;; amdgpu-corpus repo=ROCm/aiter kind=compiled arch=gfx90a opt=O3
	.text
	.amdgcn_target "amdgcn-amd-amdhsa--gfx90a"
	.amdhsa_code_object_version 6
	.section	.text._ZN7ck_tileL11flush_cacheEv,"axG",@progbits,_ZN7ck_tileL11flush_cacheEv,comdat
	.globl	_ZN7ck_tileL11flush_cacheEv     ; -- Begin function _ZN7ck_tileL11flush_cacheEv
	.p2align	8
	.type	_ZN7ck_tileL11flush_cacheEv,@function
_ZN7ck_tileL11flush_cacheEv:            ; @_ZN7ck_tileL11flush_cacheEv
; %bb.0:
	;;#ASMSTART
	s_icache_inv 
	s_nop 0 
	s_nop 0 
	;; [unrolled: 1-line block ×16, first 2 shown]
	
	;;#ASMEND
	s_endpgm
	.section	.rodata,"a",@progbits
	.p2align	6, 0x0
	.amdhsa_kernel _ZN7ck_tileL11flush_cacheEv
		.amdhsa_group_segment_fixed_size 0
		.amdhsa_private_segment_fixed_size 0
		.amdhsa_kernarg_size 0
		.amdhsa_user_sgpr_count 4
		.amdhsa_user_sgpr_private_segment_buffer 1
		.amdhsa_user_sgpr_dispatch_ptr 0
		.amdhsa_user_sgpr_queue_ptr 0
		.amdhsa_user_sgpr_kernarg_segment_ptr 0
		.amdhsa_user_sgpr_dispatch_id 0
		.amdhsa_user_sgpr_flat_scratch_init 0
		.amdhsa_user_sgpr_kernarg_preload_length 0
		.amdhsa_user_sgpr_kernarg_preload_offset 0
		.amdhsa_user_sgpr_private_segment_size 0
		.amdhsa_uses_dynamic_stack 0
		.amdhsa_system_sgpr_private_segment_wavefront_offset 0
		.amdhsa_system_sgpr_workgroup_id_x 1
		.amdhsa_system_sgpr_workgroup_id_y 0
		.amdhsa_system_sgpr_workgroup_id_z 0
		.amdhsa_system_sgpr_workgroup_info 0
		.amdhsa_system_vgpr_workitem_id 0
		.amdhsa_next_free_vgpr 1
		.amdhsa_next_free_sgpr 0
		.amdhsa_accum_offset 4
		.amdhsa_reserve_vcc 0
		.amdhsa_reserve_flat_scratch 0
		.amdhsa_float_round_mode_32 0
		.amdhsa_float_round_mode_16_64 0
		.amdhsa_float_denorm_mode_32 3
		.amdhsa_float_denorm_mode_16_64 3
		.amdhsa_dx10_clamp 1
		.amdhsa_ieee_mode 1
		.amdhsa_fp16_overflow 0
		.amdhsa_tg_split 0
		.amdhsa_exception_fp_ieee_invalid_op 0
		.amdhsa_exception_fp_denorm_src 0
		.amdhsa_exception_fp_ieee_div_zero 0
		.amdhsa_exception_fp_ieee_overflow 0
		.amdhsa_exception_fp_ieee_underflow 0
		.amdhsa_exception_fp_ieee_inexact 0
		.amdhsa_exception_int_div_zero 0
	.end_amdhsa_kernel
	.section	.text._ZN7ck_tileL11flush_cacheEv,"axG",@progbits,_ZN7ck_tileL11flush_cacheEv,comdat
.Lfunc_end0:
	.size	_ZN7ck_tileL11flush_cacheEv, .Lfunc_end0-_ZN7ck_tileL11flush_cacheEv
                                        ; -- End function
	.section	.AMDGPU.csdata,"",@progbits
; Kernel info:
; codeLenInByte = 140
; NumSgprs: 4
; NumVgprs: 0
; NumAgprs: 0
; TotalNumVgprs: 0
; ScratchSize: 0
; MemoryBound: 0
; FloatMode: 240
; IeeeMode: 1
; LDSByteSize: 0 bytes/workgroup (compile time only)
; SGPRBlocks: 0
; VGPRBlocks: 0
; NumSGPRsForWavesPerEU: 4
; NumVGPRsForWavesPerEU: 1
; AccumOffset: 4
; Occupancy: 8
; WaveLimiterHint : 0
; COMPUTE_PGM_RSRC2:SCRATCH_EN: 0
; COMPUTE_PGM_RSRC2:USER_SGPR: 4
; COMPUTE_PGM_RSRC2:TRAP_HANDLER: 0
; COMPUTE_PGM_RSRC2:TGID_X_EN: 1
; COMPUTE_PGM_RSRC2:TGID_Y_EN: 0
; COMPUTE_PGM_RSRC2:TGID_Z_EN: 0
; COMPUTE_PGM_RSRC2:TIDIG_COMP_CNT: 0
; COMPUTE_PGM_RSRC3_GFX90A:ACCUM_OFFSET: 0
; COMPUTE_PGM_RSRC3_GFX90A:TG_SPLIT: 0
	.section	.text._ZN5aiter35fused_qk_rmsnorm_group_quant_kernelIDF16_DB8_Li64ELi8ELi1ELb1ELb1ELb1ELb0ELb1ELb1EEEvPT0_PvPT_S6_S6_PKS5_S8_S8_S8_S8_ffiiiiiiiiiiiii,"axG",@progbits,_ZN5aiter35fused_qk_rmsnorm_group_quant_kernelIDF16_DB8_Li64ELi8ELi1ELb1ELb1ELb1ELb0ELb1ELb1EEEvPT0_PvPT_S6_S6_PKS5_S8_S8_S8_S8_ffiiiiiiiiiiiii,comdat
	.protected	_ZN5aiter35fused_qk_rmsnorm_group_quant_kernelIDF16_DB8_Li64ELi8ELi1ELb1ELb1ELb1ELb0ELb1ELb1EEEvPT0_PvPT_S6_S6_PKS5_S8_S8_S8_S8_ffiiiiiiiiiiiii ; -- Begin function _ZN5aiter35fused_qk_rmsnorm_group_quant_kernelIDF16_DB8_Li64ELi8ELi1ELb1ELb1ELb1ELb0ELb1ELb1EEEvPT0_PvPT_S6_S6_PKS5_S8_S8_S8_S8_ffiiiiiiiiiiiii
	.globl	_ZN5aiter35fused_qk_rmsnorm_group_quant_kernelIDF16_DB8_Li64ELi8ELi1ELb1ELb1ELb1ELb0ELb1ELb1EEEvPT0_PvPT_S6_S6_PKS5_S8_S8_S8_S8_ffiiiiiiiiiiiii
	.p2align	8
	.type	_ZN5aiter35fused_qk_rmsnorm_group_quant_kernelIDF16_DB8_Li64ELi8ELi1ELb1ELb1ELb1ELb0ELb1ELb1EEEvPT0_PvPT_S6_S6_PKS5_S8_S8_S8_S8_ffiiiiiiiiiiiii,@function
_ZN5aiter35fused_qk_rmsnorm_group_quant_kernelIDF16_DB8_Li64ELi8ELi1ELb1ELb1ELb1ELb0ELb1ELb1EEEvPT0_PvPT_S6_S6_PKS5_S8_S8_S8_S8_ffiiiiiiiiiiiii: ; @_ZN5aiter35fused_qk_rmsnorm_group_quant_kernelIDF16_DB8_Li64ELi8ELi1ELb1ELb1ELb1ELb0ELb1ELb1EEEvPT0_PvPT_S6_S6_PKS5_S8_S8_S8_S8_ffiiiiiiiiiiiii
; %bb.0:
	s_load_dwordx8 s[8:15], s[4:5], 0x50
	s_waitcnt lgkmcnt(0)
	s_cmp_ge_i32 s6, s10
	s_cbranch_scc1 .LBB1_15
; %bb.1:
	s_cmp_lg_u32 s7, 0
	s_cselect_b64 s[18:19], -1, 0
	s_cmp_eq_u32 s7, 0
	s_cselect_b64 s[22:23], -1, 0
	s_and_b64 s[0:1], s[22:23], exec
	s_load_dwordx2 s[2:3], s[4:5], 0x70
	s_load_dwordx2 s[16:17], s[4:5], 0x48
	;; [unrolled: 1-line block ×3, first 2 shown]
	s_cselect_b32 s7, s11, s12
	s_add_i32 s0, s7, 1
	s_lshr_b32 s1, s0, 31
	s_add_i32 s0, s0, s1
	s_lshl_b32 s0, s0, 1
	v_lshlrev_b32_e32 v1, 3, v0
	s_and_b32 s26, s0, -4
	v_cmp_gt_i32_e64 s[0:1], s7, v1
	v_mov_b32_e32 v20, 0
	v_mov_b32_e32 v21, 0
	;; [unrolled: 1-line block ×8, first 2 shown]
	s_and_saveexec_b64 s[20:21], s[0:1]
	s_cbranch_execz .LBB1_3
; %bb.2:
	s_load_dwordx2 s[24:25], s[4:5], 0x28
	s_load_dwordx2 s[30:31], s[4:5], 0x40
	s_and_b64 s[34:35], s[22:23], exec
	s_cselect_b32 s10, s13, s14
	v_lshlrev_b32_e32 v2, 4, v0
	s_waitcnt lgkmcnt(0)
	s_cselect_b32 s13, s25, s29
	s_cselect_b32 s27, s24, s28
	s_mul_hi_i32 s25, s10, s6
	s_mul_i32 s24, s10, s6
	s_lshl_b64 s[24:25], s[24:25], 1
	s_add_u32 s36, s27, s24
	s_addc_u32 s10, s13, s25
	s_and_b64 s[22:23], s[22:23], exec
	s_mov_b32 s27, 0x20000
	s_cselect_b32 s24, s30, s16
	s_cselect_b32 s13, s31, s17
	s_and_b32 s37, s10, 0xffff
	s_mov_b32 s38, s26
	s_mov_b32 s39, s27
	s_and_b32 s25, s13, 0xffff
	buffer_load_dwordx4 v[24:27], v2, s[36:39], 0 offen glc slc
	buffer_load_dwordx4 v[20:23], v2, s[24:27], 0 offen
.LBB1_3:
	s_or_b64 exec, exec, s[20:21]
	s_load_dwordx4 s[20:23], s[4:5], 0x7c
	s_and_b64 vcc, exec, s[18:19]
	s_cbranch_vccz .LBB1_7
; %bb.4:
	v_mov_b32_e32 v29, 0
	v_mov_b32_e32 v28, 0
	;; [unrolled: 1-line block ×8, first 2 shown]
	s_and_saveexec_b64 s[24:25], s[0:1]
	s_cbranch_execz .LBB1_6
; %bb.5:
	s_waitcnt vmcnt(1)
	v_cvt_f32_f16_sdwa v11, v24 dst_sel:DWORD dst_unused:UNUSED_PAD src0_sel:WORD_1
	v_cvt_f32_f16_e32 v10, v24
	v_cvt_f32_f16_sdwa v15, v25 dst_sel:DWORD dst_unused:UNUSED_PAD src0_sel:WORD_1
	v_cvt_f32_f16_e32 v14, v25
	;; [unrolled: 2-line block ×4, first 2 shown]
.LBB1_6:
	s_or_b64 exec, exec, s[24:25]
	s_mov_b32 s10, s9
	s_cbranch_execz .LBB1_8
	s_branch .LBB1_11
.LBB1_7:
                                        ; implicit-def: $vgpr10_vgpr11_vgpr12_vgpr13_vgpr14_vgpr15_vgpr16_vgpr17
                                        ; implicit-def: $vgpr29
                                        ; implicit-def: $vgpr12_vgpr13_vgpr14_vgpr15_vgpr16_vgpr17_vgpr18_vgpr19
                                        ; implicit-def: $vgpr2_vgpr3_vgpr4_vgpr5_vgpr6_vgpr7_vgpr8_vgpr9
	s_mov_b32 s10, s9
.LBB1_8:
	v_mov_b32_e32 v29, 0
	v_mov_b32_e32 v28, 0
	;; [unrolled: 1-line block ×8, first 2 shown]
	s_and_saveexec_b64 s[30:31], s[0:1]
	s_cbranch_execz .LBB1_10
; %bb.9:
	s_load_dwordx2 s[24:25], s[4:5], 0x38
	s_mul_hi_i32 s35, s15, s6
	s_mul_i32 s34, s15, s6
	s_lshl_b64 s[34:35], s[34:35], 1
	s_mov_b32 s27, 0x20000
	s_waitcnt lgkmcnt(0)
	s_add_u32 s24, s24, s34
	s_addc_u32 s10, s25, s35
	s_and_b32 s25, s10, 0xffff
	v_lshlrev_b32_e32 v30, 4, v0
	buffer_load_dwordx4 v[2:5], v30, s[24:27], 0 offen glc slc
	s_waitcnt vmcnt(2)
	v_cvt_f32_f16_sdwa v7, v24 dst_sel:DWORD dst_unused:UNUSED_PAD src0_sel:WORD_1
	v_cvt_f32_f16_e32 v6, v24
	v_cvt_f32_f16_sdwa v9, v25 dst_sel:DWORD dst_unused:UNUSED_PAD src0_sel:WORD_1
	v_cvt_f32_f16_e32 v8, v25
	;; [unrolled: 2-line block ×4, first 2 shown]
	s_load_dwordx2 s[24:25], s[4:5], 0x20
	s_mul_hi_i32 s23, s22, s6
	s_mul_i32 s22, s22, s6
	s_lshl_b64 s[22:23], s[22:23], 1
	s_waitcnt lgkmcnt(0)
	s_add_u32 s24, s24, s22
	s_addc_u32 s10, s25, s23
	s_and_b32 s25, s10, 0xffff
	s_waitcnt vmcnt(0)
	v_cvt_f32_f16_e32 v10, v2
	v_cvt_f32_f16_sdwa v11, v2 dst_sel:DWORD dst_unused:UNUSED_PAD src0_sel:WORD_1
	v_cvt_f32_f16_e32 v2, v3
	v_cvt_f32_f16_sdwa v3, v3 dst_sel:DWORD dst_unused:UNUSED_PAD src0_sel:WORD_1
	;; [unrolled: 2-line block ×4, first 2 shown]
	v_pk_add_f32 v[10:11], v[6:7], v[10:11]
	v_pk_add_f32 v[14:15], v[8:9], v[2:3]
	;; [unrolled: 1-line block ×4, first 2 shown]
	v_cvt_f16_f32_e32 v2, v11
	v_cvt_f16_f32_e32 v3, v15
	;; [unrolled: 1-line block ×8, first 2 shown]
	v_pack_b32_f16 v5, v8, v5
	v_pack_b32_f16 v4, v9, v4
	v_pack_b32_f16 v3, v12, v3
	v_pack_b32_f16 v2, v13, v2
	buffer_store_dwordx4 v[2:5], v30, s[24:27], 0 offen glc slc
	;;#ASMSTART
	s_nop 0
	;;#ASMEND
.LBB1_10:
	s_or_b64 exec, exec, s[30:31]
	s_mov_b32 s10, s8
.LBB1_11:
	v_mul_f32_e32 v2, v11, v11
	v_fmac_f32_e32 v2, v10, v10
	v_fmac_f32_e32 v2, v14, v14
	;; [unrolled: 1-line block ×7, first 2 shown]
	v_bfrev_b32_e32 v4, 0.5
	s_waitcnt lgkmcnt(0)
	s_load_dwordx2 s[22:23], s[4:5], 0x18
	v_mov_b32_dpp v3, v2 quad_perm:[1,0,3,2] row_mask:0xf bank_mask:0xf
	v_add_f32_e32 v2, v2, v3
	s_nop 1
	v_mov_b32_dpp v3, v2 quad_perm:[2,3,0,1] row_mask:0xf bank_mask:0xf
	v_add_f32_e32 v2, v2, v3
	s_nop 1
	v_mov_b32_dpp v3, v2 row_half_mirror row_mask:0xf bank_mask:0xf
	v_add_f32_e32 v2, v2, v3
	s_nop 1
	v_mov_b32_dpp v3, v2 row_mirror row_mask:0xf bank_mask:0xf
	v_add_f32_e32 v2, v2, v3
	s_nop 1
	v_mov_b32_dpp v3, v2 row_bcast:15 row_mask:0xf bank_mask:0xf
	v_add_f32_e32 v2, v2, v3
	s_nop 1
	v_mov_b32_dpp v3, v2 row_bcast:31 row_mask:0xf bank_mask:0xf
	v_add_f32_e32 v2, v2, v3
	v_mbcnt_lo_u32_b32 v3, -1, 0
	v_mbcnt_hi_u32_b32 v3, -1, v3
	v_lshl_or_b32 v16, v3, 2, v4
	ds_bpermute_b32 v2, v16, v2
	s_and_saveexec_b64 s[24:25], s[0:1]
	s_cbranch_execnz .LBB1_16
; %bb.12:
	s_or_b64 exec, exec, s[24:25]
	s_mov_b64 s[24:25], -1
	s_and_b64 vcc, exec, s[18:19]
	s_cbranch_vccnz .LBB1_17
.LBB1_13:
	s_andn2_b64 vcc, exec, s[24:25]
	s_cbranch_vccz .LBB1_20
.LBB1_14:
	s_cmp_lt_i32 s12, 1
	s_cbranch_scc0 .LBB1_29
.LBB1_15:
	s_endpgm
.LBB1_16:
	v_cvt_f32_u32_e32 v3, s7
	s_mov_b32 s7, 0x800000
	s_waitcnt vmcnt(0)
	v_cvt_f32_f16_sdwa v19, v23 dst_sel:DWORD dst_unused:UNUSED_PAD src0_sel:WORD_1
	v_cvt_f32_f16_e32 v18, v23
	s_waitcnt lgkmcnt(0)
	v_div_scale_f32 v4, s[30:31], v3, v3, v2
	v_rcp_f32_e32 v5, v4
	v_div_scale_f32 v8, vcc, v2, v3, v2
	v_fma_f32 v9, -v4, v5, 1.0
	v_fmac_f32_e32 v5, v9, v5
	v_mul_f32_e32 v9, v8, v5
	v_fma_f32 v12, -v4, v9, v8
	v_fmac_f32_e32 v9, v12, v5
	v_fma_f32 v4, -v4, v9, v8
	v_div_fmas_f32 v4, v4, v5, v9
	v_div_fixup_f32 v2, v4, v3, v2
	v_add_f32_e32 v2, s10, v2
	v_mul_f32_e32 v3, 0x4b800000, v2
	v_cmp_gt_f32_e32 vcc, s7, v2
	v_cndmask_b32_e32 v2, v2, v3, vcc
	v_rsq_f32_e32 v2, v2
	v_cvt_f32_f16_sdwa v3, v20 dst_sel:DWORD dst_unused:UNUSED_PAD src0_sel:WORD_1
	v_mul_f32_e32 v4, 0x45800000, v2
	v_cndmask_b32_e32 v4, v2, v4, vcc
	v_cvt_f32_f16_e32 v2, v20
	v_mov_b32_e32 v5, v4
	;;#ASMSTART
	v_pk_mul_f32 v[8:9], v[10:11], v[4:5]
	;;#ASMEND
	;;#ASMSTART
	v_pk_mul_f32 v[12:13], v[14:15], v[4:5]
	;;#ASMEND
	v_cvt_f32_f16_sdwa v15, v21 dst_sel:DWORD dst_unused:UNUSED_PAD src0_sel:WORD_1
	v_cvt_f32_f16_e32 v14, v21
	;;#ASMSTART
	v_pk_mul_f32 v[6:7], v[6:7], v[4:5]
	;;#ASMEND
	;;#ASMSTART
	v_pk_mul_f32 v[4:5], v[28:29], v[4:5]
	;;#ASMEND
	v_pk_add_f32 v[2:3], v[2:3], 1.0 op_sel_hi:[1,0]
	;;#ASMSTART
	v_pk_mul_f32 v[10:11], v[8:9], v[2:3]
	;;#ASMEND
	v_cvt_f32_f16_sdwa v9, v22 dst_sel:DWORD dst_unused:UNUSED_PAD src0_sel:WORD_1
	v_cvt_f32_f16_e32 v8, v22
	v_pk_add_f32 v[2:3], v[14:15], 1.0 op_sel_hi:[1,0]
	;;#ASMSTART
	v_pk_mul_f32 v[14:15], v[12:13], v[2:3]
	;;#ASMEND
	v_pk_add_f32 v[2:3], v[8:9], 1.0 op_sel_hi:[1,0]
	;;#ASMSTART
	v_pk_mul_f32 v[6:7], v[6:7], v[2:3]
	;;#ASMEND
	;; [unrolled: 4-line block ×3, first 2 shown]
	s_or_b64 exec, exec, s[24:25]
	s_mov_b64 s[24:25], -1
	s_and_b64 vcc, exec, s[18:19]
	s_cbranch_vccz .LBB1_13
.LBB1_17:
	s_and_saveexec_b64 s[18:19], s[0:1]
	s_cbranch_execz .LBB1_19
; %bb.18:
	s_mul_hi_i32 s25, s21, s6
	s_mul_i32 s24, s21, s6
	s_waitcnt lgkmcnt(0)
	v_cvt_f16_f32_e32 v2, v10
	v_cvt_f16_f32_e32 v3, v14
	;; [unrolled: 1-line block ×8, first 2 shown]
	s_lshl_b64 s[24:25], s[24:25], 1
	s_add_u32 s24, s22, s24
	s_addc_u32 s7, s23, s25
	s_and_b32 s25, s7, 0xffff
	s_mov_b32 s27, 0x20000
	v_pack_b32_f16 v5, v5, v8
	v_pack_b32_f16 v4, v4, v9
	;; [unrolled: 1-line block ×4, first 2 shown]
	v_lshlrev_b32_e32 v8, 4, v0
	buffer_store_dwordx4 v[2:5], v8, s[24:27], 0 offen
	;;#ASMSTART
	s_nop 0
	;;#ASMEND
.LBB1_19:
	s_or_b64 exec, exec, s[18:19]
	s_cbranch_execnz .LBB1_14
.LBB1_20:
	s_waitcnt lgkmcnt(0)
	v_mov_b32_e32 v2, 0
	s_and_saveexec_b64 s[18:19], s[0:1]
	s_cbranch_execz .LBB1_22
; %bb.21:
	s_load_dwordx2 s[24:25], s[4:5], 0x10
	s_mul_hi_i32 s31, s20, s6
	s_mul_i32 s30, s20, s6
	v_cvt_f16_f32_e32 v2, v10
	v_cvt_f16_f32_e32 v3, v14
	;; [unrolled: 1-line block ×8, first 2 shown]
	s_lshl_b64 s[30:31], s[30:31], 1
	s_waitcnt lgkmcnt(0)
	s_add_u32 s24, s24, s30
	s_addc_u32 s7, s25, s31
	s_mov_b32 s27, 0x20000
	s_and_b32 s25, s7, 0xffff
	v_pack_b32_f16 v5, v5, v8
	v_pack_b32_f16 v4, v4, v9
	;; [unrolled: 1-line block ×4, first 2 shown]
	v_lshlrev_b32_e32 v8, 4, v0
	buffer_store_dwordx4 v[2:5], v8, s[24:27], 0 offen
	;;#ASMSTART
	s_nop 0
	;;#ASMEND
	s_nop 0
	v_mov_b32_e32 v2, 0x2edbe6ff
.LBB1_22:
	s_or_b64 exec, exec, s[18:19]
	s_and_saveexec_b64 s[18:19], s[0:1]
	s_cbranch_execz .LBB1_24
; %bb.23:
	v_and_b32_e32 v3, 0x7fffffff, v10
	v_and_b32_e32 v4, 0x7fffffff, v11
	;;#ASMSTART
	v_max3_f32 v2, v2, v3, v4

	;;#ASMEND
	v_and_b32_e32 v3, 0x7fffffff, v14
	v_and_b32_e32 v4, 0x7fffffff, v15
	;;#ASMSTART
	v_max3_f32 v2, v2, v3, v4

	;;#ASMEND
	;; [unrolled: 6-line block ×4, first 2 shown]
.LBB1_24:
	s_or_b64 exec, exec, s[18:19]
	s_nop 0
	v_mov_b32_dpp v3, v2 quad_perm:[1,0,3,2] row_mask:0xf bank_mask:0xf
	v_cmp_gt_f32_e32 vcc, v2, v3
	v_cndmask_b32_e32 v2, v3, v2, vcc
	s_nop 1
	v_mov_b32_dpp v3, v2 quad_perm:[2,3,0,1] row_mask:0xf bank_mask:0xf
	v_cmp_gt_f32_e32 vcc, v2, v3
	v_cndmask_b32_e32 v2, v3, v2, vcc
	s_nop 1
	v_mov_b32_dpp v3, v2 row_half_mirror row_mask:0xf bank_mask:0xf
	v_cmp_gt_f32_e32 vcc, v2, v3
	v_cndmask_b32_e32 v2, v3, v2, vcc
	s_nop 1
	v_mov_b32_dpp v3, v2 row_mirror row_mask:0xf bank_mask:0xf
	v_cmp_gt_f32_e32 vcc, v2, v3
	v_cndmask_b32_e32 v2, v3, v2, vcc
	s_nop 1
	v_mov_b32_dpp v3, v2 row_bcast:15 row_mask:0xf bank_mask:0xf
	v_cmp_gt_f32_e32 vcc, v2, v3
	v_cndmask_b32_e32 v2, v3, v2, vcc
	s_nop 1
	v_mov_b32_dpp v3, v2 row_bcast:31 row_mask:0xf bank_mask:0xf
	v_cmp_gt_f32_e32 vcc, v2, v3
	v_cndmask_b32_e32 v2, v3, v2, vcc
	ds_bpermute_b32 v2, v16, v2
	v_cmp_eq_u32_e32 vcc, 0, v0
	s_waitcnt lgkmcnt(0)
	v_mul_f32_e32 v2, 0x3b124925, v2
	s_and_saveexec_b64 s[18:19], vcc
	s_cbranch_execz .LBB1_26
; %bb.25:
	s_load_dwordx2 s[24:25], s[4:5], 0x8
	s_mul_hi_i32 s27, s3, s6
	s_mul_i32 s26, s3, s6
	s_lshl_b64 s[26:27], s[26:27], 2
	v_mov_b32_e32 v3, 0
	s_waitcnt lgkmcnt(0)
	s_add_u32 s24, s24, s26
	s_addc_u32 s25, s25, s27
	global_store_dword v3, v2, s[24:25]
.LBB1_26:
	s_or_b64 exec, exec, s[18:19]
	;;#ASMSTART
	v_rcp_f32 v2, v2
	;;#ASMEND
	s_and_saveexec_b64 s[18:19], s[0:1]
	s_cbranch_execz .LBB1_28
; %bb.27:
	v_mov_b32_e32 v3, v2
	;;#ASMSTART
	v_pk_mul_f32 v[4:5], v[10:11], v[2:3]
	;;#ASMEND
	s_load_dwordx2 s[0:1], s[4:5], 0x0
	v_mov_b32_e32 v8, 0xc3e00000
	v_mov_b32_e32 v9, 0x43e00000
	;;#ASMSTART
	v_med3_f32 v4, v4, v8, v9
v_med3_f32 v5, v5, v8, v9
v_cvt_pk_fp8_f32 v10, v4, v5
	;;#ASMEND
	;;#ASMSTART
	v_pk_mul_f32 v[4:5], v[14:15], v[2:3]
	;;#ASMEND
	;;#ASMSTART
	v_med3_f32 v4, v4, v8, v9
v_med3_f32 v5, v5, v8, v9
v_cvt_pk_fp8_f32 v11, v4, v5
	;;#ASMEND
	s_mov_b32 s8, 0x5040100
	v_perm_b32 v5, v11, v10, s8
	s_movk_i32 s8, 0xff
	s_mul_hi_i32 s3, s2, s6
	s_mul_i32 s2, s2, s6
	v_and_b32_e32 v4, 0xffffff00, v11
	v_and_b32_sdwa v10, v5, s8 dst_sel:DWORD dst_unused:UNUSED_PAD src0_sel:WORD_1 src1_sel:DWORD
	s_mov_b32 s7, 0xffff
	s_waitcnt lgkmcnt(0)
	s_add_u32 s0, s0, s2
	v_or_b32_sdwa v4, v10, v4 dst_sel:WORD_1 dst_unused:UNUSED_PAD src0_sel:DWORD src1_sel:DWORD
	s_addc_u32 s1, s1, s3
	s_add_i32 s2, s11, 3
	v_and_or_b32 v4, v5, s7, v4
	;;#ASMSTART
	v_pk_mul_f32 v[6:7], v[6:7], v[2:3]
	;;#ASMEND
	v_mov_b32_e32 v5, v7
	s_ashr_i32 s3, s2, 31
	;;#ASMSTART
	v_med3_f32 v6, v6, v8, v9
v_med3_f32 v5, v5, v8, v9
v_cvt_pk_fp8_f32 v7, v6, v5
	;;#ASMEND
	;;#ASMSTART
	v_pk_mul_f32 v[2:3], v[28:29], v[2:3]
	;;#ASMEND
	s_lshr_b32 s3, s3, 30
	;;#ASMSTART
	v_med3_f32 v2, v2, v8, v9
v_med3_f32 v3, v3, v8, v9
v_cvt_pk_fp8_f32 v5, v2, v3
	;;#ASMEND
	s_add_i32 s2, s2, s3
	v_lshlrev_b32_e32 v2, 16, v5
	s_and_b32 s2, s2, -4
	s_and_b32 s1, s1, 0xffff
	s_mov_b32 s3, 0x20000
	v_and_or_b32 v5, v7, s7, v2
	buffer_store_dwordx2 v[4:5], v1, s[0:3], 0 offen
	;;#ASMSTART
	s_nop 0
	;;#ASMEND
.LBB1_28:
	s_or_b64 exec, exec, s[18:19]
	s_cmp_lt_i32 s12, 1
	s_cbranch_scc1 .LBB1_15
.LBB1_29:
	s_load_dword s0, s[4:5], 0x94
	s_waitcnt lgkmcnt(0)
	s_cmp_lg_u32 s0, 1
	s_cbranch_scc1 .LBB1_15
; %bb.30:
	s_lshl_b32 s0, s12, 1
	s_add_i32 s0, s0, 2
	v_cmp_gt_u32_e32 vcc, s12, v1
	s_and_b32 s18, s0, -4
	v_mov_b32_e32 v8, 0
	v_lshlrev_b32_e32 v17, 4, v0
	v_mov_b32_e32 v4, 0
	v_mov_b32_e32 v5, 0
	;; [unrolled: 1-line block ×8, first 2 shown]
	s_barrier
	s_and_saveexec_b64 s[0:1], vcc
	s_cbranch_execz .LBB1_32
; %bb.31:
	s_mul_hi_i32 s3, s14, s6
	s_mul_i32 s2, s14, s6
	s_and_b32 s17, s17, 0xffff
	s_lshl_b64 s[2:3], s[2:3], 1
	s_add_u32 s24, s28, s2
	s_mov_b32 s19, 0x20000
	s_addc_u32 s2, s29, s3
	s_and_b32 s25, s2, 0xffff
	s_mov_b32 s26, s18
	s_mov_b32 s27, s19
	buffer_load_dwordx4 v[4:7], v17, s[24:27], 0 offen glc slc
	buffer_load_dwordx4 v[0:3], v17, s[16:19], 0 offen
.LBB1_32:
	s_or_b64 exec, exec, s[0:1]
	v_mov_b32_e32 v9, 0
	v_mov_b32_e32 v12, 0
	;; [unrolled: 1-line block ×7, first 2 shown]
	s_and_saveexec_b64 s[0:1], vcc
	s_cbranch_execz .LBB1_34
; %bb.33:
	s_waitcnt vmcnt(1)
	v_cvt_f32_f16_sdwa v9, v4 dst_sel:DWORD dst_unused:UNUSED_PAD src0_sel:WORD_1
	v_cvt_f32_f16_e32 v8, v4
	v_cvt_f32_f16_sdwa v13, v5 dst_sel:DWORD dst_unused:UNUSED_PAD src0_sel:WORD_1
	v_cvt_f32_f16_e32 v12, v5
	v_cvt_f32_f16_sdwa v15, v6 dst_sel:DWORD dst_unused:UNUSED_PAD src0_sel:WORD_1
	v_cvt_f32_f16_e32 v14, v6
	v_cvt_f32_f16_sdwa v11, v7 dst_sel:DWORD dst_unused:UNUSED_PAD src0_sel:WORD_1
	v_cvt_f32_f16_e32 v10, v7
.LBB1_34:
	s_or_b64 exec, exec, s[0:1]
	s_waitcnt vmcnt(1)
	v_mul_f32_e32 v4, v9, v9
	v_fmac_f32_e32 v4, v8, v8
	v_fmac_f32_e32 v4, v12, v12
	;; [unrolled: 1-line block ×7, first 2 shown]
	s_nop 1
	v_mov_b32_dpp v5, v4 quad_perm:[1,0,3,2] row_mask:0xf bank_mask:0xf
	v_add_f32_e32 v4, v4, v5
	s_nop 1
	v_mov_b32_dpp v5, v4 quad_perm:[2,3,0,1] row_mask:0xf bank_mask:0xf
	v_add_f32_e32 v4, v4, v5
	s_nop 1
	v_mov_b32_dpp v5, v4 row_half_mirror row_mask:0xf bank_mask:0xf
	v_add_f32_e32 v4, v4, v5
	s_nop 1
	v_mov_b32_dpp v5, v4 row_mirror row_mask:0xf bank_mask:0xf
	v_add_f32_e32 v4, v4, v5
	s_nop 1
	v_mov_b32_dpp v5, v4 row_bcast:15 row_mask:0xf bank_mask:0xf
	v_add_f32_e32 v4, v4, v5
	s_nop 1
	v_mov_b32_dpp v5, v4 row_bcast:31 row_mask:0xf bank_mask:0xf
	v_add_f32_e32 v4, v4, v5
	ds_bpermute_b32 v4, v16, v4
	s_and_saveexec_b64 s[0:1], vcc
	s_cbranch_execz .LBB1_15
; %bb.35:
	v_cvt_f32_u32_e32 v5, s12
	s_mov_b32 s19, 0x20000
	s_waitcnt lgkmcnt(0)
	v_div_scale_f32 v6, s[0:1], v5, v5, v4
	v_rcp_f32_e32 v7, v6
	v_div_scale_f32 v16, vcc, v4, v5, v4
	s_mov_b32 s0, 0x800000
	v_fma_f32 v18, -v6, v7, 1.0
	v_fmac_f32_e32 v7, v18, v7
	v_mul_f32_e32 v18, v16, v7
	v_fma_f32 v19, -v6, v18, v16
	v_fmac_f32_e32 v18, v19, v7
	v_fma_f32 v6, -v6, v18, v16
	v_div_fmas_f32 v6, v6, v7, v18
	v_div_fixup_f32 v4, v6, v5, v4
	v_add_f32_e32 v4, s9, v4
	v_mul_f32_e32 v5, 0x4b800000, v4
	v_cmp_gt_f32_e32 vcc, s0, v4
	v_cndmask_b32_e32 v4, v4, v5, vcc
	v_rsq_f32_e32 v4, v4
	s_waitcnt vmcnt(0)
	v_cvt_f32_f16_sdwa v5, v0 dst_sel:DWORD dst_unused:UNUSED_PAD src0_sel:WORD_1
	v_cvt_f32_f16_sdwa v19, v1 dst_sel:DWORD dst_unused:UNUSED_PAD src0_sel:WORD_1
	v_cvt_f32_f16_e32 v18, v1
	v_mul_f32_e32 v6, 0x45800000, v4
	v_cndmask_b32_e32 v6, v4, v6, vcc
	v_cvt_f32_f16_e32 v4, v0
	v_mov_b32_e32 v7, v6
	;;#ASMSTART
	v_pk_mul_f32 v[8:9], v[8:9], v[6:7]
	;;#ASMEND
	;;#ASMSTART
	v_pk_mul_f32 v[12:13], v[12:13], v[6:7]
	;;#ASMEND
	v_pk_add_f32 v[4:5], v[4:5], 1.0 op_sel_hi:[1,0]
	;;#ASMSTART
	v_pk_mul_f32 v[14:15], v[14:15], v[6:7]
	;;#ASMEND
	;;#ASMSTART
	v_pk_mul_f32 v[0:1], v[10:11], v[6:7]
	;;#ASMEND
	;; [unrolled: 3-line block ×3, first 2 shown]
	v_cvt_f32_f16_sdwa v9, v2 dst_sel:DWORD dst_unused:UNUSED_PAD src0_sel:WORD_1
	v_cvt_f32_f16_e32 v8, v2
	v_cvt_f32_f16_sdwa v11, v3 dst_sel:DWORD dst_unused:UNUSED_PAD src0_sel:WORD_1
	v_cvt_f32_f16_e32 v10, v3
	v_pk_add_f32 v[6:7], v[18:19], 1.0 op_sel_hi:[1,0]
	;;#ASMSTART
	v_pk_mul_f32 v[2:3], v[12:13], v[6:7]
	;;#ASMEND
	v_pk_add_f32 v[6:7], v[8:9], 1.0 op_sel_hi:[1,0]
	;;#ASMSTART
	v_pk_mul_f32 v[6:7], v[14:15], v[6:7]
	;;#ASMEND
	;; [unrolled: 4-line block ×3, first 2 shown]
	s_mul_hi_i32 s1, s21, s6
	s_mul_i32 s0, s21, s6
	v_cvt_f16_f32_e32 v4, v4
	v_cvt_f16_f32_e32 v5, v5
	v_cvt_f16_f32_e32 v2, v2
	v_cvt_f16_f32_e32 v3, v3
	v_cvt_f16_f32_e32 v6, v6
	v_cvt_f16_f32_e32 v7, v7
	v_cvt_f16_f32_e32 v8, v0
	v_cvt_f16_f32_e32 v9, v1
	s_lshl_b64 s[0:1], s[0:1], 1
	s_add_u32 s16, s22, s0
	s_addc_u32 s0, s23, s1
	s_and_b32 s17, s0, 0xffff
	v_pack_b32_f16 v0, v4, v5
	v_pack_b32_f16 v1, v2, v3
	;; [unrolled: 1-line block ×4, first 2 shown]
	buffer_store_dwordx4 v[0:3], v17, s[16:19], 0 offen
	;;#ASMSTART
	s_nop 0
	;;#ASMEND
	s_endpgm
	.section	.rodata,"a",@progbits
	.p2align	6, 0x0
	.amdhsa_kernel _ZN5aiter35fused_qk_rmsnorm_group_quant_kernelIDF16_DB8_Li64ELi8ELi1ELb1ELb1ELb1ELb0ELb1ELb1EEEvPT0_PvPT_S6_S6_PKS5_S8_S8_S8_S8_ffiiiiiiiiiiiii
		.amdhsa_group_segment_fixed_size 0
		.amdhsa_private_segment_fixed_size 0
		.amdhsa_kernarg_size 400
		.amdhsa_user_sgpr_count 6
		.amdhsa_user_sgpr_private_segment_buffer 1
		.amdhsa_user_sgpr_dispatch_ptr 0
		.amdhsa_user_sgpr_queue_ptr 0
		.amdhsa_user_sgpr_kernarg_segment_ptr 1
		.amdhsa_user_sgpr_dispatch_id 0
		.amdhsa_user_sgpr_flat_scratch_init 0
		.amdhsa_user_sgpr_kernarg_preload_length 0
		.amdhsa_user_sgpr_kernarg_preload_offset 0
		.amdhsa_user_sgpr_private_segment_size 0
		.amdhsa_uses_dynamic_stack 0
		.amdhsa_system_sgpr_private_segment_wavefront_offset 0
		.amdhsa_system_sgpr_workgroup_id_x 1
		.amdhsa_system_sgpr_workgroup_id_y 1
		.amdhsa_system_sgpr_workgroup_id_z 0
		.amdhsa_system_sgpr_workgroup_info 0
		.amdhsa_system_vgpr_workitem_id 0
		.amdhsa_next_free_vgpr 31
		.amdhsa_next_free_sgpr 40
		.amdhsa_accum_offset 32
		.amdhsa_reserve_vcc 1
		.amdhsa_reserve_flat_scratch 0
		.amdhsa_float_round_mode_32 0
		.amdhsa_float_round_mode_16_64 0
		.amdhsa_float_denorm_mode_32 3
		.amdhsa_float_denorm_mode_16_64 3
		.amdhsa_dx10_clamp 1
		.amdhsa_ieee_mode 1
		.amdhsa_fp16_overflow 0
		.amdhsa_tg_split 0
		.amdhsa_exception_fp_ieee_invalid_op 0
		.amdhsa_exception_fp_denorm_src 0
		.amdhsa_exception_fp_ieee_div_zero 0
		.amdhsa_exception_fp_ieee_overflow 0
		.amdhsa_exception_fp_ieee_underflow 0
		.amdhsa_exception_fp_ieee_inexact 0
		.amdhsa_exception_int_div_zero 0
	.end_amdhsa_kernel
	.section	.text._ZN5aiter35fused_qk_rmsnorm_group_quant_kernelIDF16_DB8_Li64ELi8ELi1ELb1ELb1ELb1ELb0ELb1ELb1EEEvPT0_PvPT_S6_S6_PKS5_S8_S8_S8_S8_ffiiiiiiiiiiiii,"axG",@progbits,_ZN5aiter35fused_qk_rmsnorm_group_quant_kernelIDF16_DB8_Li64ELi8ELi1ELb1ELb1ELb1ELb0ELb1ELb1EEEvPT0_PvPT_S6_S6_PKS5_S8_S8_S8_S8_ffiiiiiiiiiiiii,comdat
.Lfunc_end1:
	.size	_ZN5aiter35fused_qk_rmsnorm_group_quant_kernelIDF16_DB8_Li64ELi8ELi1ELb1ELb1ELb1ELb0ELb1ELb1EEEvPT0_PvPT_S6_S6_PKS5_S8_S8_S8_S8_ffiiiiiiiiiiiii, .Lfunc_end1-_ZN5aiter35fused_qk_rmsnorm_group_quant_kernelIDF16_DB8_Li64ELi8ELi1ELb1ELb1ELb1ELb0ELb1ELb1EEEvPT0_PvPT_S6_S6_PKS5_S8_S8_S8_S8_ffiiiiiiiiiiiii
                                        ; -- End function
	.section	.AMDGPU.csdata,"",@progbits
; Kernel info:
; codeLenInByte = 3004
; NumSgprs: 44
; NumVgprs: 31
; NumAgprs: 0
; TotalNumVgprs: 31
; ScratchSize: 0
; MemoryBound: 0
; FloatMode: 240
; IeeeMode: 1
; LDSByteSize: 0 bytes/workgroup (compile time only)
; SGPRBlocks: 5
; VGPRBlocks: 3
; NumSGPRsForWavesPerEU: 44
; NumVGPRsForWavesPerEU: 31
; AccumOffset: 32
; Occupancy: 8
; WaveLimiterHint : 0
; COMPUTE_PGM_RSRC2:SCRATCH_EN: 0
; COMPUTE_PGM_RSRC2:USER_SGPR: 6
; COMPUTE_PGM_RSRC2:TRAP_HANDLER: 0
; COMPUTE_PGM_RSRC2:TGID_X_EN: 1
; COMPUTE_PGM_RSRC2:TGID_Y_EN: 1
; COMPUTE_PGM_RSRC2:TGID_Z_EN: 0
; COMPUTE_PGM_RSRC2:TIDIG_COMP_CNT: 0
; COMPUTE_PGM_RSRC3_GFX90A:ACCUM_OFFSET: 7
; COMPUTE_PGM_RSRC3_GFX90A:TG_SPLIT: 0
	.section	.text._ZN5aiter35fused_qk_rmsnorm_group_quant_kernelItDB8_Li64ELi8ELi1ELb1ELb1ELb1ELb0ELb1ELb1EEEvPT0_PvPT_S6_S6_PKS5_S8_S8_S8_S8_ffiiiiiiiiiiiii,"axG",@progbits,_ZN5aiter35fused_qk_rmsnorm_group_quant_kernelItDB8_Li64ELi8ELi1ELb1ELb1ELb1ELb0ELb1ELb1EEEvPT0_PvPT_S6_S6_PKS5_S8_S8_S8_S8_ffiiiiiiiiiiiii,comdat
	.protected	_ZN5aiter35fused_qk_rmsnorm_group_quant_kernelItDB8_Li64ELi8ELi1ELb1ELb1ELb1ELb0ELb1ELb1EEEvPT0_PvPT_S6_S6_PKS5_S8_S8_S8_S8_ffiiiiiiiiiiiii ; -- Begin function _ZN5aiter35fused_qk_rmsnorm_group_quant_kernelItDB8_Li64ELi8ELi1ELb1ELb1ELb1ELb0ELb1ELb1EEEvPT0_PvPT_S6_S6_PKS5_S8_S8_S8_S8_ffiiiiiiiiiiiii
	.globl	_ZN5aiter35fused_qk_rmsnorm_group_quant_kernelItDB8_Li64ELi8ELi1ELb1ELb1ELb1ELb0ELb1ELb1EEEvPT0_PvPT_S6_S6_PKS5_S8_S8_S8_S8_ffiiiiiiiiiiiii
	.p2align	8
	.type	_ZN5aiter35fused_qk_rmsnorm_group_quant_kernelItDB8_Li64ELi8ELi1ELb1ELb1ELb1ELb0ELb1ELb1EEEvPT0_PvPT_S6_S6_PKS5_S8_S8_S8_S8_ffiiiiiiiiiiiii,@function
_ZN5aiter35fused_qk_rmsnorm_group_quant_kernelItDB8_Li64ELi8ELi1ELb1ELb1ELb1ELb0ELb1ELb1EEEvPT0_PvPT_S6_S6_PKS5_S8_S8_S8_S8_ffiiiiiiiiiiiii: ; @_ZN5aiter35fused_qk_rmsnorm_group_quant_kernelItDB8_Li64ELi8ELi1ELb1ELb1ELb1ELb0ELb1ELb1EEEvPT0_PvPT_S6_S6_PKS5_S8_S8_S8_S8_ffiiiiiiiiiiiii
; %bb.0:
	s_load_dwordx8 s[8:15], s[4:5], 0x50
	s_waitcnt lgkmcnt(0)
	s_cmp_ge_i32 s6, s10
	s_cbranch_scc1 .LBB2_15
; %bb.1:
	s_cmp_lg_u32 s7, 0
	s_cselect_b64 s[18:19], -1, 0
	s_cmp_eq_u32 s7, 0
	s_cselect_b64 s[22:23], -1, 0
	s_and_b64 s[0:1], s[22:23], exec
	s_load_dwordx2 s[2:3], s[4:5], 0x70
	s_load_dwordx2 s[16:17], s[4:5], 0x48
	;; [unrolled: 1-line block ×3, first 2 shown]
	s_cselect_b32 s7, s11, s12
	s_add_i32 s0, s7, 1
	s_lshr_b32 s1, s0, 31
	s_add_i32 s0, s0, s1
	s_lshl_b32 s0, s0, 1
	v_lshlrev_b32_e32 v1, 3, v0
	s_and_b32 s26, s0, -4
	v_cmp_gt_i32_e64 s[0:1], s7, v1
	v_mov_b32_e32 v10, 0
	v_mov_b32_e32 v11, 0
	;; [unrolled: 1-line block ×8, first 2 shown]
	s_and_saveexec_b64 s[20:21], s[0:1]
	s_cbranch_execz .LBB2_3
; %bb.2:
	s_load_dwordx2 s[24:25], s[4:5], 0x28
	s_load_dwordx2 s[30:31], s[4:5], 0x40
	s_and_b64 s[34:35], s[22:23], exec
	s_cselect_b32 s10, s13, s14
	v_lshlrev_b32_e32 v2, 4, v0
	s_waitcnt lgkmcnt(0)
	s_cselect_b32 s13, s25, s29
	s_cselect_b32 s27, s24, s28
	s_mul_hi_i32 s25, s10, s6
	s_mul_i32 s24, s10, s6
	s_lshl_b64 s[24:25], s[24:25], 1
	s_add_u32 s36, s27, s24
	s_addc_u32 s10, s13, s25
	s_and_b64 s[22:23], s[22:23], exec
	s_mov_b32 s27, 0x20000
	s_cselect_b32 s24, s30, s16
	s_cselect_b32 s13, s31, s17
	s_and_b32 s37, s10, 0xffff
	s_mov_b32 s38, s26
	s_mov_b32 s39, s27
	s_and_b32 s25, s13, 0xffff
	buffer_load_dwordx4 v[14:17], v2, s[36:39], 0 offen glc slc
	buffer_load_dwordx4 v[10:13], v2, s[24:27], 0 offen
.LBB2_3:
	s_or_b64 exec, exec, s[20:21]
	s_load_dwordx4 s[20:23], s[4:5], 0x7c
	s_and_b64 vcc, exec, s[18:19]
	s_cbranch_vccz .LBB2_7
; %bb.4:
	s_mov_b32 s36, 0
	s_mov_b32 s37, s36
	;; [unrolled: 1-line block ×8, first 2 shown]
	v_pk_mov_b32 v[2:3], s[36:37], s[36:37] op_sel:[0,1]
	v_pk_mov_b32 v[4:5], s[38:39], s[38:39] op_sel:[0,1]
	;; [unrolled: 1-line block ×4, first 2 shown]
	s_and_saveexec_b64 s[24:25], s[0:1]
	s_cbranch_execz .LBB2_6
; %bb.5:
	s_waitcnt vmcnt(1)
	v_cvt_f32_u32_sdwa v3, v14 dst_sel:DWORD dst_unused:UNUSED_PAD src0_sel:WORD_1
	v_cvt_f32_u32_sdwa v2, v14 dst_sel:DWORD dst_unused:UNUSED_PAD src0_sel:WORD_0
	v_cvt_f32_u32_sdwa v5, v15 dst_sel:DWORD dst_unused:UNUSED_PAD src0_sel:WORD_1
	v_cvt_f32_u32_sdwa v4, v15 dst_sel:DWORD dst_unused:UNUSED_PAD src0_sel:WORD_0
	;; [unrolled: 2-line block ×4, first 2 shown]
.LBB2_6:
	s_or_b64 exec, exec, s[24:25]
	s_mov_b32 s10, s9
	s_cbranch_execz .LBB2_8
	s_branch .LBB2_11
.LBB2_7:
                                        ; implicit-def: $vgpr2_vgpr3_vgpr4_vgpr5_vgpr6_vgpr7_vgpr8_vgpr9
	s_mov_b32 s10, s9
.LBB2_8:
	s_mov_b32 s36, 0
	s_mov_b32 s37, s36
	;; [unrolled: 1-line block ×8, first 2 shown]
	v_pk_mov_b32 v[2:3], s[36:37], s[36:37] op_sel:[0,1]
	v_pk_mov_b32 v[4:5], s[38:39], s[38:39] op_sel:[0,1]
	;; [unrolled: 1-line block ×4, first 2 shown]
	s_and_saveexec_b64 s[30:31], s[0:1]
	s_cbranch_execz .LBB2_10
; %bb.9:
	s_load_dwordx2 s[24:25], s[4:5], 0x38
	s_mul_hi_i32 s35, s15, s6
	s_mul_i32 s34, s15, s6
	s_lshl_b64 s[34:35], s[34:35], 1
	s_mov_b32 s27, 0x20000
	s_waitcnt lgkmcnt(0)
	s_add_u32 s24, s24, s34
	s_addc_u32 s10, s25, s35
	s_and_b32 s25, s10, 0xffff
	v_lshlrev_b32_e32 v26, 4, v0
	buffer_load_dwordx4 v[2:5], v26, s[24:27], 0 offen glc slc
	s_load_dwordx2 s[24:25], s[4:5], 0x20
	s_waitcnt vmcnt(2)
	v_cvt_f32_u32_sdwa v7, v14 dst_sel:DWORD dst_unused:UNUSED_PAD src0_sel:WORD_1
	v_cvt_f32_u32_sdwa v6, v14 dst_sel:DWORD dst_unused:UNUSED_PAD src0_sel:WORD_0
	v_cvt_f32_u32_sdwa v9, v15 dst_sel:DWORD dst_unused:UNUSED_PAD src0_sel:WORD_1
	v_cvt_f32_u32_sdwa v8, v15 dst_sel:DWORD dst_unused:UNUSED_PAD src0_sel:WORD_0
	;; [unrolled: 2-line block ×4, first 2 shown]
	s_mul_hi_i32 s23, s22, s6
	s_mul_i32 s22, s22, s6
	s_lshl_b64 s[22:23], s[22:23], 1
	s_waitcnt lgkmcnt(0)
	s_add_u32 s24, s24, s22
	s_mov_b32 s10, 0x7060302
	s_addc_u32 s13, s25, s23
	s_and_b32 s25, s13, 0xffff
	s_waitcnt vmcnt(0)
	v_cvt_f32_u32_sdwa v17, v2 dst_sel:DWORD dst_unused:UNUSED_PAD src0_sel:WORD_1
	v_cvt_f32_u32_sdwa v16, v2 dst_sel:DWORD dst_unused:UNUSED_PAD src0_sel:WORD_0
	v_cvt_f32_u32_sdwa v21, v3 dst_sel:DWORD dst_unused:UNUSED_PAD src0_sel:WORD_1
	v_cvt_f32_u32_sdwa v20, v3 dst_sel:DWORD dst_unused:UNUSED_PAD src0_sel:WORD_0
	;; [unrolled: 2-line block ×4, first 2 shown]
	v_pk_add_f32 v[2:3], v[6:7], v[16:17]
	v_pk_add_f32 v[4:5], v[8:9], v[20:21]
	;; [unrolled: 1-line block ×4, first 2 shown]
	v_perm_b32 v17, v9, v8, s10
	v_perm_b32 v16, v7, v6, s10
	v_perm_b32 v15, v5, v4, s10
	v_perm_b32 v14, v3, v2, s10
	buffer_store_dwordx4 v[14:17], v26, s[24:27], 0 offen glc slc
	;;#ASMSTART
	s_nop 0
	;;#ASMEND
.LBB2_10:
	s_or_b64 exec, exec, s[30:31]
	s_mov_b32 s10, s8
.LBB2_11:
	s_waitcnt vmcnt(1)
	v_mul_f32_e32 v14, v3, v3
	v_fmac_f32_e32 v14, v2, v2
	v_fmac_f32_e32 v14, v4, v4
	;; [unrolled: 1-line block ×7, first 2 shown]
	v_bfrev_b32_e32 v16, 0.5
	s_waitcnt lgkmcnt(0)
	s_load_dwordx2 s[22:23], s[4:5], 0x18
	v_mov_b32_dpp v15, v14 quad_perm:[1,0,3,2] row_mask:0xf bank_mask:0xf
	v_add_f32_e32 v14, v14, v15
	s_nop 1
	v_mov_b32_dpp v15, v14 quad_perm:[2,3,0,1] row_mask:0xf bank_mask:0xf
	v_add_f32_e32 v14, v14, v15
	s_nop 1
	v_mov_b32_dpp v15, v14 row_half_mirror row_mask:0xf bank_mask:0xf
	v_add_f32_e32 v14, v14, v15
	s_nop 1
	v_mov_b32_dpp v15, v14 row_mirror row_mask:0xf bank_mask:0xf
	v_add_f32_e32 v14, v14, v15
	s_nop 1
	v_mov_b32_dpp v15, v14 row_bcast:15 row_mask:0xf bank_mask:0xf
	v_add_f32_e32 v14, v14, v15
	s_nop 1
	v_mov_b32_dpp v15, v14 row_bcast:31 row_mask:0xf bank_mask:0xf
	v_add_f32_e32 v15, v14, v15
	v_mbcnt_lo_u32_b32 v14, -1, 0
	v_mbcnt_hi_u32_b32 v14, -1, v14
	v_lshl_or_b32 v14, v14, 2, v16
	ds_bpermute_b32 v15, v14, v15
	s_and_saveexec_b64 s[24:25], s[0:1]
	s_cbranch_execnz .LBB2_16
; %bb.12:
	s_or_b64 exec, exec, s[24:25]
	s_mov_b64 s[24:25], -1
	s_and_b64 vcc, exec, s[18:19]
	s_cbranch_vccnz .LBB2_17
.LBB2_13:
	s_andn2_b64 vcc, exec, s[24:25]
	s_cbranch_vccz .LBB2_20
.LBB2_14:
	s_cmp_lt_i32 s12, 1
	s_cbranch_scc0 .LBB2_29
.LBB2_15:
	s_endpgm
.LBB2_16:
	v_cvt_f32_u32_e32 v16, s7
	s_mov_b32 s7, 0x800000
	s_waitcnt lgkmcnt(0)
	v_div_scale_f32 v17, s[30:31], v16, v16, v15
	v_rcp_f32_e32 v18, v17
	v_div_scale_f32 v19, vcc, v15, v16, v15
	v_fma_f32 v20, -v17, v18, 1.0
	v_fmac_f32_e32 v18, v20, v18
	v_mul_f32_e32 v20, v19, v18
	v_fma_f32 v21, -v17, v20, v19
	v_fmac_f32_e32 v20, v21, v18
	v_fma_f32 v17, -v17, v20, v19
	v_div_fmas_f32 v17, v17, v18, v20
	v_div_fixup_f32 v15, v17, v16, v15
	v_add_f32_e32 v15, s10, v15
	v_mul_f32_e32 v16, 0x4b800000, v15
	v_cmp_gt_f32_e32 vcc, s7, v15
	v_cndmask_b32_e32 v15, v15, v16, vcc
	v_rsq_f32_e32 v15, v15
	s_waitcnt vmcnt(0)
	v_cvt_f32_u32_sdwa v17, v10 dst_sel:DWORD dst_unused:UNUSED_PAD src0_sel:WORD_1
	v_cvt_f32_u32_sdwa v21, v11 dst_sel:DWORD dst_unused:UNUSED_PAD src0_sel:WORD_1
	v_cvt_f32_u32_sdwa v20, v11 dst_sel:DWORD dst_unused:UNUSED_PAD src0_sel:WORD_0
	v_mul_f32_e32 v16, 0x45800000, v15
	v_cndmask_b32_e32 v18, v15, v16, vcc
	v_cvt_f32_u32_sdwa v16, v10 dst_sel:DWORD dst_unused:UNUSED_PAD src0_sel:WORD_0
	v_mov_b32_e32 v19, v18
	;;#ASMSTART
	v_pk_mul_f32 v[2:3], v[2:3], v[18:19]
	;;#ASMEND
	;;#ASMSTART
	v_pk_mul_f32 v[4:5], v[4:5], v[18:19]
	;;#ASMEND
	v_pk_add_f32 v[10:11], v[16:17], 1.0 op_sel_hi:[1,0]
	v_cvt_f32_u32_sdwa v17, v12 dst_sel:DWORD dst_unused:UNUSED_PAD src0_sel:WORD_1
	v_cvt_f32_u32_sdwa v16, v12 dst_sel:DWORD dst_unused:UNUSED_PAD src0_sel:WORD_0
	;;#ASMSTART
	v_pk_mul_f32 v[6:7], v[6:7], v[18:19]
	;;#ASMEND
	;;#ASMSTART
	v_pk_mul_f32 v[8:9], v[8:9], v[18:19]
	;;#ASMEND
	v_cvt_f32_u32_sdwa v19, v13 dst_sel:DWORD dst_unused:UNUSED_PAD src0_sel:WORD_1
	v_cvt_f32_u32_sdwa v18, v13 dst_sel:DWORD dst_unused:UNUSED_PAD src0_sel:WORD_0
	;;#ASMSTART
	v_pk_mul_f32 v[2:3], v[2:3], v[10:11]
	;;#ASMEND
	v_pk_add_f32 v[10:11], v[20:21], 1.0 op_sel_hi:[1,0]
	;;#ASMSTART
	v_pk_mul_f32 v[4:5], v[4:5], v[10:11]
	;;#ASMEND
	v_pk_add_f32 v[10:11], v[16:17], 1.0 op_sel_hi:[1,0]
	;; [unrolled: 4-line block ×3, first 2 shown]
	;;#ASMSTART
	v_pk_mul_f32 v[8:9], v[8:9], v[10:11]
	;;#ASMEND
	s_or_b64 exec, exec, s[24:25]
	s_mov_b64 s[24:25], -1
	s_and_b64 vcc, exec, s[18:19]
	s_cbranch_vccz .LBB2_13
.LBB2_17:
	s_and_saveexec_b64 s[18:19], s[0:1]
	s_cbranch_execz .LBB2_19
; %bb.18:
	s_mul_hi_i32 s25, s21, s6
	s_mul_i32 s24, s21, s6
	s_lshl_b64 s[24:25], s[24:25], 1
	s_waitcnt lgkmcnt(0)
	s_add_u32 s24, s22, s24
	s_addc_u32 s7, s23, s25
	s_and_b32 s25, s7, 0xffff
	s_mov_b32 s7, 0x7060302
	s_mov_b32 s27, 0x20000
	s_waitcnt vmcnt(0)
	v_perm_b32 v10, v3, v2, s7
	v_perm_b32 v11, v5, v4, s7
	;; [unrolled: 1-line block ×4, first 2 shown]
	v_lshlrev_b32_e32 v15, 4, v0
	buffer_store_dwordx4 v[10:13], v15, s[24:27], 0 offen
	;;#ASMSTART
	s_nop 0
	;;#ASMEND
.LBB2_19:
	s_or_b64 exec, exec, s[18:19]
	s_cbranch_execnz .LBB2_14
.LBB2_20:
	s_waitcnt vmcnt(0)
	v_mov_b32_e32 v10, 0
	s_and_saveexec_b64 s[18:19], s[0:1]
	s_cbranch_execz .LBB2_22
; %bb.21:
	s_load_dwordx2 s[24:25], s[4:5], 0x10
	s_mul_hi_i32 s31, s20, s6
	s_mul_i32 s30, s20, s6
	s_lshl_b64 s[30:31], s[30:31], 1
	s_mov_b32 s27, 0x20000
	s_waitcnt lgkmcnt(0)
	s_add_u32 s24, s24, s30
	s_addc_u32 s7, s25, s31
	s_and_b32 s25, s7, 0xffff
	s_mov_b32 s7, 0x7060302
	v_perm_b32 v10, v3, v2, s7
	v_perm_b32 v11, v5, v4, s7
	v_perm_b32 v12, v7, v6, s7
	v_perm_b32 v13, v9, v8, s7
	v_lshlrev_b32_e32 v15, 4, v0
	buffer_store_dwordx4 v[10:13], v15, s[24:27], 0 offen
	;;#ASMSTART
	s_nop 0
	;;#ASMEND
	s_nop 0
	v_mov_b32_e32 v10, 0x2edbe6ff
.LBB2_22:
	s_or_b64 exec, exec, s[18:19]
	s_and_saveexec_b64 s[18:19], s[0:1]
	s_cbranch_execz .LBB2_24
; %bb.23:
	v_and_b32_e32 v11, 0x7fffffff, v2
	v_and_b32_e32 v12, 0x7fffffff, v3
	;;#ASMSTART
	v_max3_f32 v10, v10, v11, v12

	;;#ASMEND
	v_and_b32_e32 v11, 0x7fffffff, v4
	v_and_b32_e32 v12, 0x7fffffff, v5
	;;#ASMSTART
	v_max3_f32 v10, v10, v11, v12

	;;#ASMEND
	v_and_b32_e32 v11, 0x7fffffff, v6
	v_and_b32_e32 v12, 0x7fffffff, v7
	;;#ASMSTART
	v_max3_f32 v10, v10, v11, v12

	;;#ASMEND
	v_and_b32_e32 v11, 0x7fffffff, v8
	v_and_b32_e32 v12, 0x7fffffff, v9
	;;#ASMSTART
	v_max3_f32 v10, v10, v11, v12

	;;#ASMEND
.LBB2_24:
	s_or_b64 exec, exec, s[18:19]
	s_nop 0
	v_mov_b32_dpp v11, v10 quad_perm:[1,0,3,2] row_mask:0xf bank_mask:0xf
	v_cmp_gt_f32_e32 vcc, v10, v11
	v_cndmask_b32_e32 v10, v11, v10, vcc
	s_nop 1
	v_mov_b32_dpp v11, v10 quad_perm:[2,3,0,1] row_mask:0xf bank_mask:0xf
	v_cmp_gt_f32_e32 vcc, v10, v11
	v_cndmask_b32_e32 v10, v11, v10, vcc
	s_nop 1
	v_mov_b32_dpp v11, v10 row_half_mirror row_mask:0xf bank_mask:0xf
	v_cmp_gt_f32_e32 vcc, v10, v11
	v_cndmask_b32_e32 v10, v11, v10, vcc
	s_nop 1
	v_mov_b32_dpp v11, v10 row_mirror row_mask:0xf bank_mask:0xf
	v_cmp_gt_f32_e32 vcc, v10, v11
	v_cndmask_b32_e32 v10, v11, v10, vcc
	s_nop 1
	v_mov_b32_dpp v11, v10 row_bcast:15 row_mask:0xf bank_mask:0xf
	v_cmp_gt_f32_e32 vcc, v10, v11
	v_cndmask_b32_e32 v10, v11, v10, vcc
	s_nop 1
	v_mov_b32_dpp v11, v10 row_bcast:31 row_mask:0xf bank_mask:0xf
	v_cmp_gt_f32_e32 vcc, v10, v11
	v_cndmask_b32_e32 v10, v11, v10, vcc
	ds_bpermute_b32 v10, v14, v10
	v_cmp_eq_u32_e32 vcc, 0, v0
	s_waitcnt lgkmcnt(0)
	v_mul_f32_e32 v10, 0x3b124925, v10
	s_and_saveexec_b64 s[18:19], vcc
	s_cbranch_execz .LBB2_26
; %bb.25:
	s_load_dwordx2 s[24:25], s[4:5], 0x8
	s_mul_hi_i32 s27, s3, s6
	s_mul_i32 s26, s3, s6
	s_lshl_b64 s[26:27], s[26:27], 2
	v_mov_b32_e32 v11, 0
	s_waitcnt lgkmcnt(0)
	s_add_u32 s24, s24, s26
	s_addc_u32 s25, s25, s27
	global_store_dword v11, v10, s[24:25]
.LBB2_26:
	s_or_b64 exec, exec, s[18:19]
	;;#ASMSTART
	v_rcp_f32 v10, v10
	;;#ASMEND
	s_and_saveexec_b64 s[18:19], s[0:1]
	s_cbranch_execz .LBB2_28
; %bb.27:
	v_mov_b32_e32 v11, v10
	;;#ASMSTART
	v_pk_mul_f32 v[2:3], v[2:3], v[10:11]
	;;#ASMEND
	v_mov_b32_e32 v12, 0xc3e00000
	v_mov_b32_e32 v13, 0x43e00000
	;;#ASMSTART
	v_med3_f32 v2, v2, v12, v13
v_med3_f32 v3, v3, v12, v13
v_cvt_pk_fp8_f32 v15, v2, v3
	;;#ASMEND
	s_load_dwordx2 s[0:1], s[4:5], 0x0
	;;#ASMSTART
	v_pk_mul_f32 v[2:3], v[4:5], v[10:11]
	;;#ASMEND
	;;#ASMSTART
	v_med3_f32 v2, v2, v12, v13
v_med3_f32 v3, v3, v12, v13
v_cvt_pk_fp8_f32 v4, v2, v3
	;;#ASMEND
	s_mov_b32 s8, 0x5040100
	v_perm_b32 v3, v4, v15, s8
	s_movk_i32 s8, 0xff
	v_and_b32_e32 v2, 0xffffff00, v4
	v_and_b32_sdwa v4, v3, s8 dst_sel:DWORD dst_unused:UNUSED_PAD src0_sel:WORD_1 src1_sel:DWORD
	s_mul_hi_i32 s3, s2, s6
	s_mul_i32 s2, s2, s6
	s_mov_b32 s7, 0xffff
	v_or_b32_sdwa v2, v4, v2 dst_sel:WORD_1 dst_unused:UNUSED_PAD src0_sel:DWORD src1_sel:DWORD
	s_waitcnt lgkmcnt(0)
	s_add_u32 s0, s0, s2
	v_and_or_b32 v2, v3, s7, v2
	;;#ASMSTART
	v_pk_mul_f32 v[4:5], v[6:7], v[10:11]
	;;#ASMEND
	v_mov_b32_e32 v3, v4
	s_addc_u32 s1, s1, s3
	s_add_i32 s2, s11, 3
	;;#ASMSTART
	v_med3_f32 v3, v3, v12, v13
v_med3_f32 v5, v5, v12, v13
v_cvt_pk_fp8_f32 v6, v3, v5
	;;#ASMEND
	s_ashr_i32 s3, s2, 31
	;;#ASMSTART
	v_pk_mul_f32 v[4:5], v[8:9], v[10:11]
	;;#ASMEND
	v_mov_b32_e32 v3, v5
	s_lshr_b32 s3, s3, 30
	;;#ASMSTART
	v_med3_f32 v4, v4, v12, v13
v_med3_f32 v3, v3, v12, v13
v_cvt_pk_fp8_f32 v5, v4, v3
	;;#ASMEND
	s_add_i32 s2, s2, s3
	v_lshlrev_b32_e32 v3, 16, v5
	s_and_b32 s2, s2, -4
	s_and_b32 s1, s1, 0xffff
	s_mov_b32 s3, 0x20000
	v_and_or_b32 v3, v6, s7, v3
	buffer_store_dwordx2 v[2:3], v1, s[0:3], 0 offen
	;;#ASMSTART
	s_nop 0
	;;#ASMEND
.LBB2_28:
	s_or_b64 exec, exec, s[18:19]
	s_cmp_lt_i32 s12, 1
	s_cbranch_scc1 .LBB2_15
.LBB2_29:
	s_load_dword s0, s[4:5], 0x94
	s_waitcnt lgkmcnt(0)
	s_cmp_lg_u32 s0, 1
	s_cbranch_scc1 .LBB2_15
; %bb.30:
	s_lshl_b32 s0, s12, 1
	s_add_i32 s0, s0, 2
	v_cmp_gt_u32_e32 vcc, s12, v1
	s_and_b32 s18, s0, -4
	v_mov_b32_e32 v4, 0
	s_waitcnt vmcnt(0)
	v_lshlrev_b32_e32 v12, 4, v0
	v_mov_b32_e32 v5, 0
	v_mov_b32_e32 v6, 0
	;; [unrolled: 1-line block ×7, first 2 shown]
	s_barrier
	s_and_saveexec_b64 s[0:1], vcc
	s_cbranch_execz .LBB2_32
; %bb.31:
	s_mul_hi_i32 s3, s14, s6
	s_mul_i32 s2, s14, s6
	s_and_b32 s17, s17, 0xffff
	s_lshl_b64 s[2:3], s[2:3], 1
	s_add_u32 s24, s28, s2
	s_mov_b32 s19, 0x20000
	s_addc_u32 s2, s29, s3
	s_and_b32 s25, s2, 0xffff
	s_mov_b32 s26, s18
	s_mov_b32 s27, s19
	buffer_load_dwordx4 v[4:7], v12, s[24:27], 0 offen glc slc
	buffer_load_dwordx4 v[0:3], v12, s[16:19], 0 offen
.LBB2_32:
	s_or_b64 exec, exec, s[0:1]
	s_waitcnt vmcnt(1)
	v_cvt_f32_u32_sdwa v11, v4 dst_sel:DWORD dst_unused:UNUSED_PAD src0_sel:WORD_1
	v_cvt_f32_u32_sdwa v10, v4 dst_sel:DWORD dst_unused:UNUSED_PAD src0_sel:WORD_0
	v_cvt_f32_u32_sdwa v4, v7 dst_sel:DWORD dst_unused:UNUSED_PAD src0_sel:WORD_1
	v_cvt_f32_u32_sdwa v7, v7 dst_sel:DWORD dst_unused:UNUSED_PAD src0_sel:WORD_0
	;; [unrolled: 2-line block ×4, first 2 shown]
	v_cndmask_b32_e32 v11, 0, v11, vcc
	v_cndmask_b32_e32 v5, 0, v4, vcc
	;; [unrolled: 1-line block ×5, first 2 shown]
	v_mul_f32_e32 v13, v11, v11
	v_cndmask_b32_e32 v8, 0, v8, vcc
	v_fmac_f32_e32 v13, v10, v10
	v_cndmask_b32_e32 v9, 0, v9, vcc
	v_fmac_f32_e32 v13, v8, v8
	;; [unrolled: 2-line block ×3, first 2 shown]
	v_fmac_f32_e32 v13, v6, v6
	v_fmac_f32_e32 v13, v7, v7
	;; [unrolled: 1-line block ×4, first 2 shown]
	s_nop 1
	v_mov_b32_dpp v15, v13 quad_perm:[1,0,3,2] row_mask:0xf bank_mask:0xf
	v_add_f32_e32 v13, v13, v15
	s_nop 1
	v_mov_b32_dpp v15, v13 quad_perm:[2,3,0,1] row_mask:0xf bank_mask:0xf
	v_add_f32_e32 v13, v13, v15
	s_nop 1
	v_mov_b32_dpp v15, v13 row_half_mirror row_mask:0xf bank_mask:0xf
	v_add_f32_e32 v13, v13, v15
	s_nop 1
	v_mov_b32_dpp v15, v13 row_mirror row_mask:0xf bank_mask:0xf
	v_add_f32_e32 v13, v13, v15
	s_nop 1
	v_mov_b32_dpp v15, v13 row_bcast:15 row_mask:0xf bank_mask:0xf
	v_add_f32_e32 v13, v13, v15
	s_nop 1
	v_mov_b32_dpp v15, v13 row_bcast:31 row_mask:0xf bank_mask:0xf
	v_add_f32_e32 v13, v13, v15
	ds_bpermute_b32 v13, v14, v13
	s_and_saveexec_b64 s[0:1], vcc
	s_cbranch_execz .LBB2_15
; %bb.33:
	v_cvt_f32_u32_e32 v14, s12
	s_mov_b32 s19, 0x20000
	s_waitcnt lgkmcnt(0)
	v_div_scale_f32 v15, s[0:1], v14, v14, v13
	v_rcp_f32_e32 v16, v15
	v_div_scale_f32 v17, vcc, v13, v14, v13
	s_mov_b32 s0, 0x800000
	v_fma_f32 v18, -v15, v16, 1.0
	v_fmac_f32_e32 v16, v18, v16
	v_mul_f32_e32 v18, v17, v16
	v_fma_f32 v19, -v15, v18, v17
	v_fmac_f32_e32 v18, v19, v16
	v_fma_f32 v15, -v15, v18, v17
	v_div_fmas_f32 v15, v15, v16, v18
	v_div_fixup_f32 v13, v15, v14, v13
	v_add_f32_e32 v13, s9, v13
	v_mul_f32_e32 v14, 0x4b800000, v13
	v_cmp_gt_f32_e32 vcc, s0, v13
	v_cndmask_b32_e32 v13, v13, v14, vcc
	v_rsq_f32_e32 v13, v13
	s_waitcnt vmcnt(0)
	v_cvt_f32_u32_sdwa v15, v0 dst_sel:DWORD dst_unused:UNUSED_PAD src0_sel:WORD_1
	v_cvt_f32_u32_sdwa v19, v1 dst_sel:DWORD dst_unused:UNUSED_PAD src0_sel:WORD_1
	v_cvt_f32_u32_sdwa v18, v1 dst_sel:DWORD dst_unused:UNUSED_PAD src0_sel:WORD_0
	v_mul_f32_e32 v14, 0x45800000, v13
	v_cndmask_b32_e32 v16, v13, v14, vcc
	v_cvt_f32_u32_sdwa v14, v0 dst_sel:DWORD dst_unused:UNUSED_PAD src0_sel:WORD_0
	v_mov_b32_e32 v17, v16
	;;#ASMSTART
	v_pk_mul_f32 v[10:11], v[10:11], v[16:17]
	;;#ASMEND
	;;#ASMSTART
	v_pk_mul_f32 v[8:9], v[8:9], v[16:17]
	;;#ASMEND
	;; [unrolled: 3-line block ×4, first 2 shown]
	v_pk_add_f32 v[4:5], v[14:15], 1.0 op_sel_hi:[1,0]
	v_cvt_f32_u32_sdwa v15, v2 dst_sel:DWORD dst_unused:UNUSED_PAD src0_sel:WORD_1
	v_cvt_f32_u32_sdwa v14, v2 dst_sel:DWORD dst_unused:UNUSED_PAD src0_sel:WORD_0
	v_cvt_f32_u32_sdwa v17, v3 dst_sel:DWORD dst_unused:UNUSED_PAD src0_sel:WORD_1
	v_cvt_f32_u32_sdwa v16, v3 dst_sel:DWORD dst_unused:UNUSED_PAD src0_sel:WORD_0
	s_mul_hi_i32 s1, s21, s6
	s_mul_i32 s0, s21, s6
	s_lshl_b64 s[0:1], s[0:1], 1
	s_add_u32 s16, s22, s0
	;;#ASMSTART
	v_pk_mul_f32 v[4:5], v[10:11], v[4:5]
	;;#ASMEND
	v_pk_add_f32 v[10:11], v[18:19], 1.0 op_sel_hi:[1,0]
	;;#ASMSTART
	v_pk_mul_f32 v[2:3], v[8:9], v[10:11]
	;;#ASMEND
	v_pk_add_f32 v[8:9], v[14:15], 1.0 op_sel_hi:[1,0]
	s_addc_u32 s0, s23, s1
	;;#ASMSTART
	v_pk_mul_f32 v[6:7], v[6:7], v[8:9]
	;;#ASMEND
	v_pk_add_f32 v[8:9], v[16:17], 1.0 op_sel_hi:[1,0]
	s_and_b32 s17, s0, 0xffff
	s_mov_b32 s0, 0x7060302
	;;#ASMSTART
	v_pk_mul_f32 v[8:9], v[0:1], v[8:9]
	;;#ASMEND
	v_perm_b32 v0, v5, v4, s0
	v_perm_b32 v1, v3, v2, s0
	;; [unrolled: 1-line block ×4, first 2 shown]
	buffer_store_dwordx4 v[0:3], v12, s[16:19], 0 offen
	;;#ASMSTART
	s_nop 0
	;;#ASMEND
	s_endpgm
	.section	.rodata,"a",@progbits
	.p2align	6, 0x0
	.amdhsa_kernel _ZN5aiter35fused_qk_rmsnorm_group_quant_kernelItDB8_Li64ELi8ELi1ELb1ELb1ELb1ELb0ELb1ELb1EEEvPT0_PvPT_S6_S6_PKS5_S8_S8_S8_S8_ffiiiiiiiiiiiii
		.amdhsa_group_segment_fixed_size 0
		.amdhsa_private_segment_fixed_size 0
		.amdhsa_kernarg_size 400
		.amdhsa_user_sgpr_count 6
		.amdhsa_user_sgpr_private_segment_buffer 1
		.amdhsa_user_sgpr_dispatch_ptr 0
		.amdhsa_user_sgpr_queue_ptr 0
		.amdhsa_user_sgpr_kernarg_segment_ptr 1
		.amdhsa_user_sgpr_dispatch_id 0
		.amdhsa_user_sgpr_flat_scratch_init 0
		.amdhsa_user_sgpr_kernarg_preload_length 0
		.amdhsa_user_sgpr_kernarg_preload_offset 0
		.amdhsa_user_sgpr_private_segment_size 0
		.amdhsa_uses_dynamic_stack 0
		.amdhsa_system_sgpr_private_segment_wavefront_offset 0
		.amdhsa_system_sgpr_workgroup_id_x 1
		.amdhsa_system_sgpr_workgroup_id_y 1
		.amdhsa_system_sgpr_workgroup_id_z 0
		.amdhsa_system_sgpr_workgroup_info 0
		.amdhsa_system_vgpr_workitem_id 0
		.amdhsa_next_free_vgpr 27
		.amdhsa_next_free_sgpr 44
		.amdhsa_accum_offset 28
		.amdhsa_reserve_vcc 1
		.amdhsa_reserve_flat_scratch 0
		.amdhsa_float_round_mode_32 0
		.amdhsa_float_round_mode_16_64 0
		.amdhsa_float_denorm_mode_32 3
		.amdhsa_float_denorm_mode_16_64 3
		.amdhsa_dx10_clamp 1
		.amdhsa_ieee_mode 1
		.amdhsa_fp16_overflow 0
		.amdhsa_tg_split 0
		.amdhsa_exception_fp_ieee_invalid_op 0
		.amdhsa_exception_fp_denorm_src 0
		.amdhsa_exception_fp_ieee_div_zero 0
		.amdhsa_exception_fp_ieee_overflow 0
		.amdhsa_exception_fp_ieee_underflow 0
		.amdhsa_exception_fp_ieee_inexact 0
		.amdhsa_exception_int_div_zero 0
	.end_amdhsa_kernel
	.section	.text._ZN5aiter35fused_qk_rmsnorm_group_quant_kernelItDB8_Li64ELi8ELi1ELb1ELb1ELb1ELb0ELb1ELb1EEEvPT0_PvPT_S6_S6_PKS5_S8_S8_S8_S8_ffiiiiiiiiiiiii,"axG",@progbits,_ZN5aiter35fused_qk_rmsnorm_group_quant_kernelItDB8_Li64ELi8ELi1ELb1ELb1ELb1ELb0ELb1ELb1EEEvPT0_PvPT_S6_S6_PKS5_S8_S8_S8_S8_ffiiiiiiiiiiiii,comdat
.Lfunc_end2:
	.size	_ZN5aiter35fused_qk_rmsnorm_group_quant_kernelItDB8_Li64ELi8ELi1ELb1ELb1ELb1ELb0ELb1ELb1EEEvPT0_PvPT_S6_S6_PKS5_S8_S8_S8_S8_ffiiiiiiiiiiiii, .Lfunc_end2-_ZN5aiter35fused_qk_rmsnorm_group_quant_kernelItDB8_Li64ELi8ELi1ELb1ELb1ELb1ELb0ELb1ELb1EEEvPT0_PvPT_S6_S6_PKS5_S8_S8_S8_S8_ffiiiiiiiiiiiii
                                        ; -- End function
	.section	.AMDGPU.csdata,"",@progbits
; Kernel info:
; codeLenInByte = 3068
; NumSgprs: 48
; NumVgprs: 27
; NumAgprs: 0
; TotalNumVgprs: 27
; ScratchSize: 0
; MemoryBound: 0
; FloatMode: 240
; IeeeMode: 1
; LDSByteSize: 0 bytes/workgroup (compile time only)
; SGPRBlocks: 5
; VGPRBlocks: 3
; NumSGPRsForWavesPerEU: 48
; NumVGPRsForWavesPerEU: 27
; AccumOffset: 28
; Occupancy: 8
; WaveLimiterHint : 0
; COMPUTE_PGM_RSRC2:SCRATCH_EN: 0
; COMPUTE_PGM_RSRC2:USER_SGPR: 6
; COMPUTE_PGM_RSRC2:TRAP_HANDLER: 0
; COMPUTE_PGM_RSRC2:TGID_X_EN: 1
; COMPUTE_PGM_RSRC2:TGID_Y_EN: 1
; COMPUTE_PGM_RSRC2:TGID_Z_EN: 0
; COMPUTE_PGM_RSRC2:TIDIG_COMP_CNT: 0
; COMPUTE_PGM_RSRC3_GFX90A:ACCUM_OFFSET: 6
; COMPUTE_PGM_RSRC3_GFX90A:TG_SPLIT: 0
	.section	.text._ZN5aiter35fused_qk_rmsnorm_group_quant_kernelIDF16_DB8_Li64ELi8ELi1ELb1ELb1ELb0ELb0ELb1ELb1EEEvPT0_PvPT_S6_S6_PKS5_S8_S8_S8_S8_ffiiiiiiiiiiiii,"axG",@progbits,_ZN5aiter35fused_qk_rmsnorm_group_quant_kernelIDF16_DB8_Li64ELi8ELi1ELb1ELb1ELb0ELb0ELb1ELb1EEEvPT0_PvPT_S6_S6_PKS5_S8_S8_S8_S8_ffiiiiiiiiiiiii,comdat
	.protected	_ZN5aiter35fused_qk_rmsnorm_group_quant_kernelIDF16_DB8_Li64ELi8ELi1ELb1ELb1ELb0ELb0ELb1ELb1EEEvPT0_PvPT_S6_S6_PKS5_S8_S8_S8_S8_ffiiiiiiiiiiiii ; -- Begin function _ZN5aiter35fused_qk_rmsnorm_group_quant_kernelIDF16_DB8_Li64ELi8ELi1ELb1ELb1ELb0ELb0ELb1ELb1EEEvPT0_PvPT_S6_S6_PKS5_S8_S8_S8_S8_ffiiiiiiiiiiiii
	.globl	_ZN5aiter35fused_qk_rmsnorm_group_quant_kernelIDF16_DB8_Li64ELi8ELi1ELb1ELb1ELb0ELb0ELb1ELb1EEEvPT0_PvPT_S6_S6_PKS5_S8_S8_S8_S8_ffiiiiiiiiiiiii
	.p2align	8
	.type	_ZN5aiter35fused_qk_rmsnorm_group_quant_kernelIDF16_DB8_Li64ELi8ELi1ELb1ELb1ELb0ELb0ELb1ELb1EEEvPT0_PvPT_S6_S6_PKS5_S8_S8_S8_S8_ffiiiiiiiiiiiii,@function
_ZN5aiter35fused_qk_rmsnorm_group_quant_kernelIDF16_DB8_Li64ELi8ELi1ELb1ELb1ELb0ELb0ELb1ELb1EEEvPT0_PvPT_S6_S6_PKS5_S8_S8_S8_S8_ffiiiiiiiiiiiii: ; @_ZN5aiter35fused_qk_rmsnorm_group_quant_kernelIDF16_DB8_Li64ELi8ELi1ELb1ELb1ELb0ELb0ELb1ELb1EEEvPT0_PvPT_S6_S6_PKS5_S8_S8_S8_S8_ffiiiiiiiiiiiii
; %bb.0:
	s_load_dwordx8 s[8:15], s[4:5], 0x50
	s_waitcnt lgkmcnt(0)
	s_cmp_ge_i32 s6, s10
	s_cbranch_scc1 .LBB3_15
; %bb.1:
	s_cmp_lg_u32 s7, 0
	s_cselect_b64 s[18:19], -1, 0
	s_cmp_eq_u32 s7, 0
	s_cselect_b64 s[22:23], -1, 0
	s_and_b64 s[0:1], s[22:23], exec
	s_load_dwordx2 s[2:3], s[4:5], 0x70
	s_load_dwordx2 s[16:17], s[4:5], 0x48
	;; [unrolled: 1-line block ×3, first 2 shown]
	s_cselect_b32 s7, s11, s12
	s_add_i32 s0, s7, 1
	s_lshr_b32 s1, s0, 31
	s_add_i32 s0, s0, s1
	s_lshl_b32 s0, s0, 1
	v_lshlrev_b32_e32 v1, 3, v0
	s_and_b32 s26, s0, -4
	v_cmp_gt_i32_e64 s[0:1], s7, v1
	v_mov_b32_e32 v24, 0
	v_mov_b32_e32 v25, 0
	;; [unrolled: 1-line block ×8, first 2 shown]
	s_and_saveexec_b64 s[20:21], s[0:1]
	s_cbranch_execz .LBB3_3
; %bb.2:
	s_load_dwordx2 s[24:25], s[4:5], 0x28
	s_load_dwordx2 s[30:31], s[4:5], 0x40
	s_and_b64 s[34:35], s[22:23], exec
	s_cselect_b32 s10, s13, s14
	v_lshlrev_b32_e32 v2, 4, v0
	s_waitcnt lgkmcnt(0)
	s_cselect_b32 s13, s25, s29
	s_cselect_b32 s27, s24, s28
	s_mul_hi_i32 s25, s10, s6
	s_mul_i32 s24, s10, s6
	s_lshl_b64 s[24:25], s[24:25], 1
	s_add_u32 s36, s27, s24
	s_addc_u32 s10, s13, s25
	s_and_b64 s[22:23], s[22:23], exec
	s_mov_b32 s27, 0x20000
	s_cselect_b32 s24, s30, s16
	s_cselect_b32 s13, s31, s17
	s_and_b32 s37, s10, 0xffff
	s_mov_b32 s38, s26
	s_mov_b32 s39, s27
	s_and_b32 s25, s13, 0xffff
	buffer_load_dwordx4 v[28:31], v2, s[36:39], 0 offen glc slc
	buffer_load_dwordx4 v[24:27], v2, s[24:27], 0 offen
.LBB3_3:
	s_or_b64 exec, exec, s[20:21]
	s_load_dwordx4 s[20:23], s[4:5], 0x7c
	s_and_b64 vcc, exec, s[18:19]
	s_cbranch_vccz .LBB3_7
; %bb.4:
	v_mov_b32_e32 v33, 0
	v_mov_b32_e32 v32, 0
	;; [unrolled: 1-line block ×8, first 2 shown]
	s_and_saveexec_b64 s[24:25], s[0:1]
	s_cbranch_execz .LBB3_6
; %bb.5:
	s_waitcnt vmcnt(1)
	v_cvt_f32_f16_sdwa v17, v28 dst_sel:DWORD dst_unused:UNUSED_PAD src0_sel:WORD_1
	v_cvt_f32_f16_e32 v16, v28
	v_cvt_f32_f16_sdwa v11, v29 dst_sel:DWORD dst_unused:UNUSED_PAD src0_sel:WORD_1
	v_cvt_f32_f16_e32 v10, v29
	;; [unrolled: 2-line block ×4, first 2 shown]
.LBB3_6:
	s_or_b64 exec, exec, s[24:25]
	s_mov_b32 s10, s9
	s_cbranch_execz .LBB3_8
	s_branch .LBB3_11
.LBB3_7:
                                        ; implicit-def: $vgpr8_vgpr9_vgpr10_vgpr11_vgpr12_vgpr13_vgpr14_vgpr15
                                        ; implicit-def: $vgpr33
                                        ; implicit-def: $vgpr16_vgpr17_vgpr18_vgpr19_vgpr20_vgpr21_vgpr22_vgpr23
                                        ; implicit-def: $vgpr2_vgpr3_vgpr4_vgpr5_vgpr6_vgpr7_vgpr8_vgpr9
	s_mov_b32 s10, s9
.LBB3_8:
	v_mov_b32_e32 v33, 0
	v_mov_b32_e32 v32, 0
	;; [unrolled: 1-line block ×8, first 2 shown]
	s_and_saveexec_b64 s[30:31], s[0:1]
	s_cbranch_execz .LBB3_10
; %bb.9:
	s_load_dwordx2 s[24:25], s[4:5], 0x38
	s_mul_hi_i32 s35, s15, s6
	s_mul_i32 s34, s15, s6
	s_lshl_b64 s[34:35], s[34:35], 1
	s_mov_b32 s27, 0x20000
	s_waitcnt lgkmcnt(0)
	s_add_u32 s24, s24, s34
	s_addc_u32 s10, s25, s35
	s_and_b32 s25, s10, 0xffff
	v_lshlrev_b32_e32 v20, 4, v0
	buffer_load_dwordx4 v[2:5], v20, s[24:27], 0 offen glc slc
	s_waitcnt vmcnt(2)
	v_cvt_f32_f16_sdwa v7, v28 dst_sel:DWORD dst_unused:UNUSED_PAD src0_sel:WORD_1
	v_cvt_f32_f16_e32 v6, v28
	v_cvt_f32_f16_sdwa v9, v29 dst_sel:DWORD dst_unused:UNUSED_PAD src0_sel:WORD_1
	v_cvt_f32_f16_e32 v8, v29
	v_cvt_f32_f16_sdwa v13, v30 dst_sel:DWORD dst_unused:UNUSED_PAD src0_sel:WORD_1
	v_cvt_f32_f16_e32 v12, v30
	v_cvt_f32_f16_sdwa v15, v31 dst_sel:DWORD dst_unused:UNUSED_PAD src0_sel:WORD_1
	v_cvt_f32_f16_e32 v14, v31
	s_load_dwordx2 s[24:25], s[4:5], 0x20
	s_mul_hi_i32 s23, s22, s6
	s_mul_i32 s22, s22, s6
	s_lshl_b64 s[22:23], s[22:23], 1
	s_waitcnt lgkmcnt(0)
	s_add_u32 s24, s24, s22
	s_addc_u32 s10, s25, s23
	s_and_b32 s25, s10, 0xffff
	s_waitcnt vmcnt(0)
	v_cvt_f32_f16_e32 v10, v2
	v_cvt_f32_f16_sdwa v11, v2 dst_sel:DWORD dst_unused:UNUSED_PAD src0_sel:WORD_1
	v_cvt_f32_f16_e32 v2, v3
	v_cvt_f32_f16_sdwa v3, v3 dst_sel:DWORD dst_unused:UNUSED_PAD src0_sel:WORD_1
	;; [unrolled: 2-line block ×4, first 2 shown]
	v_pk_add_f32 v[16:17], v[6:7], v[10:11]
	v_pk_add_f32 v[10:11], v[8:9], v[2:3]
	v_pk_add_f32 v[6:7], v[12:13], v[18:19]
	v_pk_add_f32 v[32:33], v[14:15], v[4:5]
	v_cvt_f16_f32_e32 v2, v17
	v_cvt_f16_f32_e32 v3, v11
	;; [unrolled: 1-line block ×8, first 2 shown]
	v_pack_b32_f16 v5, v8, v5
	v_pack_b32_f16 v4, v9, v4
	;; [unrolled: 1-line block ×4, first 2 shown]
	buffer_store_dwordx4 v[2:5], v20, s[24:27], 0 offen glc slc
	;;#ASMSTART
	s_nop 0
	;;#ASMEND
.LBB3_10:
	s_or_b64 exec, exec, s[30:31]
	s_mov_b32 s10, s8
.LBB3_11:
	v_mul_f32_e32 v2, v17, v17
	v_fmac_f32_e32 v2, v16, v16
	v_fmac_f32_e32 v2, v10, v10
	;; [unrolled: 1-line block ×7, first 2 shown]
	v_bfrev_b32_e32 v4, 0.5
	s_waitcnt lgkmcnt(0)
	s_load_dwordx2 s[22:23], s[4:5], 0x18
	v_mov_b32_dpp v3, v2 quad_perm:[1,0,3,2] row_mask:0xf bank_mask:0xf
	v_add_f32_e32 v2, v2, v3
	s_nop 1
	v_mov_b32_dpp v3, v2 quad_perm:[2,3,0,1] row_mask:0xf bank_mask:0xf
	v_add_f32_e32 v2, v2, v3
	s_nop 1
	v_mov_b32_dpp v3, v2 row_half_mirror row_mask:0xf bank_mask:0xf
	v_add_f32_e32 v2, v2, v3
	s_nop 1
	v_mov_b32_dpp v3, v2 row_mirror row_mask:0xf bank_mask:0xf
	v_add_f32_e32 v2, v2, v3
	s_nop 1
	v_mov_b32_dpp v3, v2 row_bcast:15 row_mask:0xf bank_mask:0xf
	v_add_f32_e32 v2, v2, v3
	s_nop 1
	v_mov_b32_dpp v3, v2 row_bcast:31 row_mask:0xf bank_mask:0xf
	v_add_f32_e32 v2, v2, v3
	v_mbcnt_lo_u32_b32 v3, -1, 0
	v_mbcnt_hi_u32_b32 v3, -1, v3
	v_lshl_or_b32 v18, v3, 2, v4
	ds_bpermute_b32 v2, v18, v2
	s_and_saveexec_b64 s[24:25], s[0:1]
	s_cbranch_execnz .LBB3_16
; %bb.12:
	s_or_b64 exec, exec, s[24:25]
	s_mov_b64 s[24:25], -1
	s_and_b64 vcc, exec, s[18:19]
	s_cbranch_vccnz .LBB3_17
.LBB3_13:
	s_andn2_b64 vcc, exec, s[24:25]
	s_cbranch_vccz .LBB3_20
.LBB3_14:
	s_cmp_lt_i32 s12, 1
	s_cbranch_scc0 .LBB3_29
.LBB3_15:
	s_endpgm
.LBB3_16:
	v_cvt_f32_u32_e32 v3, s7
	s_mov_b32 s7, 0x800000
	s_waitcnt vmcnt(0)
	v_cvt_f32_f16_sdwa v13, v25 dst_sel:DWORD dst_unused:UNUSED_PAD src0_sel:WORD_1
	v_cvt_f32_f16_sdwa v15, v26 dst_sel:DWORD dst_unused:UNUSED_PAD src0_sel:WORD_1
	s_waitcnt lgkmcnt(0)
	v_div_scale_f32 v4, s[30:31], v3, v3, v2
	v_rcp_f32_e32 v5, v4
	v_div_scale_f32 v8, vcc, v2, v3, v2
	v_cvt_f32_f16_e32 v14, v26
	v_fma_f32 v9, -v4, v5, 1.0
	v_fmac_f32_e32 v5, v9, v5
	v_mul_f32_e32 v9, v8, v5
	v_fma_f32 v12, -v4, v9, v8
	v_fmac_f32_e32 v9, v12, v5
	v_fma_f32 v4, -v4, v9, v8
	v_div_fmas_f32 v4, v4, v5, v9
	v_div_fixup_f32 v2, v4, v3, v2
	v_add_f32_e32 v2, s10, v2
	v_mul_f32_e32 v3, 0x4b800000, v2
	v_cmp_gt_f32_e32 vcc, s7, v2
	v_cndmask_b32_e32 v2, v2, v3, vcc
	v_rsq_f32_e32 v2, v2
	v_cvt_f32_f16_e32 v12, v25
	v_cvt_f32_f16_sdwa v21, v27 dst_sel:DWORD dst_unused:UNUSED_PAD src0_sel:WORD_1
	v_cvt_f32_f16_e32 v20, v27
	v_mul_f32_e32 v3, 0x45800000, v2
	v_cndmask_b32_e32 v2, v2, v3, vcc
	v_mov_b32_e32 v3, v2
	;;#ASMSTART
	v_pk_mul_f32 v[4:5], v[16:17], v[2:3]
	;;#ASMEND
	;;#ASMSTART
	v_pk_mul_f32 v[8:9], v[10:11], v[2:3]
	;;#ASMEND
	;; [unrolled: 3-line block ×3, first 2 shown]
	v_cvt_f32_f16_sdwa v11, v24 dst_sel:DWORD dst_unused:UNUSED_PAD src0_sel:WORD_1
	v_cvt_f32_f16_e32 v10, v24
	;;#ASMSTART
	v_pk_mul_f32 v[2:3], v[32:33], v[2:3]
	;;#ASMEND
	;;#ASMSTART
	v_pk_mul_f32 v[16:17], v[4:5], v[10:11]
	;;#ASMEND
	;; [unrolled: 3-line block ×5, first 2 shown]
	s_or_b64 exec, exec, s[24:25]
	s_mov_b64 s[24:25], -1
	s_and_b64 vcc, exec, s[18:19]
	s_cbranch_vccz .LBB3_13
.LBB3_17:
	s_and_saveexec_b64 s[18:19], s[0:1]
	s_cbranch_execz .LBB3_19
; %bb.18:
	s_mul_hi_i32 s25, s21, s6
	s_mul_i32 s24, s21, s6
	s_waitcnt lgkmcnt(0)
	v_cvt_f16_f32_e32 v2, v16
	v_cvt_f16_f32_e32 v3, v10
	;; [unrolled: 1-line block ×8, first 2 shown]
	s_lshl_b64 s[24:25], s[24:25], 1
	s_add_u32 s24, s22, s24
	s_addc_u32 s7, s23, s25
	s_and_b32 s25, s7, 0xffff
	s_mov_b32 s27, 0x20000
	v_pack_b32_f16 v5, v5, v8
	v_pack_b32_f16 v4, v4, v9
	;; [unrolled: 1-line block ×4, first 2 shown]
	v_lshlrev_b32_e32 v8, 4, v0
	buffer_store_dwordx4 v[2:5], v8, s[24:27], 0 offen
	;;#ASMSTART
	s_nop 0
	;;#ASMEND
.LBB3_19:
	s_or_b64 exec, exec, s[18:19]
	s_cbranch_execnz .LBB3_14
.LBB3_20:
	s_waitcnt lgkmcnt(0)
	v_mov_b32_e32 v2, 0
	s_and_saveexec_b64 s[18:19], s[0:1]
	s_cbranch_execz .LBB3_22
; %bb.21:
	s_load_dwordx2 s[24:25], s[4:5], 0x10
	s_mul_hi_i32 s31, s20, s6
	s_mul_i32 s30, s20, s6
	v_cvt_f16_f32_e32 v2, v16
	v_cvt_f16_f32_e32 v3, v10
	;; [unrolled: 1-line block ×8, first 2 shown]
	s_lshl_b64 s[30:31], s[30:31], 1
	s_waitcnt lgkmcnt(0)
	s_add_u32 s24, s24, s30
	s_addc_u32 s7, s25, s31
	s_mov_b32 s27, 0x20000
	s_and_b32 s25, s7, 0xffff
	v_pack_b32_f16 v5, v5, v8
	v_pack_b32_f16 v4, v4, v9
	;; [unrolled: 1-line block ×4, first 2 shown]
	v_lshlrev_b32_e32 v8, 4, v0
	buffer_store_dwordx4 v[2:5], v8, s[24:27], 0 offen
	;;#ASMSTART
	s_nop 0
	;;#ASMEND
	s_nop 0
	v_mov_b32_e32 v2, 0x2edbe6ff
.LBB3_22:
	s_or_b64 exec, exec, s[18:19]
	s_and_saveexec_b64 s[18:19], s[0:1]
	s_cbranch_execz .LBB3_24
; %bb.23:
	v_and_b32_e32 v3, 0x7fffffff, v16
	v_and_b32_e32 v4, 0x7fffffff, v17
	;;#ASMSTART
	v_max3_f32 v2, v2, v3, v4

	;;#ASMEND
	v_and_b32_e32 v3, 0x7fffffff, v10
	v_and_b32_e32 v4, 0x7fffffff, v11
	;;#ASMSTART
	v_max3_f32 v2, v2, v3, v4

	;;#ASMEND
	;; [unrolled: 6-line block ×4, first 2 shown]
.LBB3_24:
	s_or_b64 exec, exec, s[18:19]
	s_nop 0
	v_mov_b32_dpp v3, v2 quad_perm:[1,0,3,2] row_mask:0xf bank_mask:0xf
	v_cmp_gt_f32_e32 vcc, v2, v3
	v_cndmask_b32_e32 v2, v3, v2, vcc
	s_nop 1
	v_mov_b32_dpp v3, v2 quad_perm:[2,3,0,1] row_mask:0xf bank_mask:0xf
	v_cmp_gt_f32_e32 vcc, v2, v3
	v_cndmask_b32_e32 v2, v3, v2, vcc
	s_nop 1
	v_mov_b32_dpp v3, v2 row_half_mirror row_mask:0xf bank_mask:0xf
	v_cmp_gt_f32_e32 vcc, v2, v3
	v_cndmask_b32_e32 v2, v3, v2, vcc
	s_nop 1
	v_mov_b32_dpp v3, v2 row_mirror row_mask:0xf bank_mask:0xf
	v_cmp_gt_f32_e32 vcc, v2, v3
	v_cndmask_b32_e32 v2, v3, v2, vcc
	s_nop 1
	v_mov_b32_dpp v3, v2 row_bcast:15 row_mask:0xf bank_mask:0xf
	v_cmp_gt_f32_e32 vcc, v2, v3
	v_cndmask_b32_e32 v2, v3, v2, vcc
	s_nop 1
	v_mov_b32_dpp v3, v2 row_bcast:31 row_mask:0xf bank_mask:0xf
	v_cmp_gt_f32_e32 vcc, v2, v3
	v_cndmask_b32_e32 v2, v3, v2, vcc
	ds_bpermute_b32 v2, v18, v2
	v_cmp_eq_u32_e32 vcc, 0, v0
	s_waitcnt lgkmcnt(0)
	v_mul_f32_e32 v2, 0x3b124925, v2
	s_and_saveexec_b64 s[18:19], vcc
	s_cbranch_execz .LBB3_26
; %bb.25:
	s_load_dwordx2 s[24:25], s[4:5], 0x8
	s_mul_hi_i32 s27, s3, s6
	s_mul_i32 s26, s3, s6
	s_lshl_b64 s[26:27], s[26:27], 2
	v_mov_b32_e32 v3, 0
	s_waitcnt lgkmcnt(0)
	s_add_u32 s24, s24, s26
	s_addc_u32 s25, s25, s27
	global_store_dword v3, v2, s[24:25]
.LBB3_26:
	s_or_b64 exec, exec, s[18:19]
	;;#ASMSTART
	v_rcp_f32 v2, v2
	;;#ASMEND
	s_and_saveexec_b64 s[18:19], s[0:1]
	s_cbranch_execz .LBB3_28
; %bb.27:
	v_mov_b32_e32 v3, v2
	;;#ASMSTART
	v_pk_mul_f32 v[4:5], v[16:17], v[2:3]
	;;#ASMEND
	s_load_dwordx2 s[0:1], s[4:5], 0x0
	v_mov_b32_e32 v8, 0xc3e00000
	v_mov_b32_e32 v9, 0x43e00000
	;;#ASMSTART
	v_med3_f32 v4, v4, v8, v9
v_med3_f32 v5, v5, v8, v9
v_cvt_pk_fp8_f32 v12, v4, v5
	;;#ASMEND
	;;#ASMSTART
	v_pk_mul_f32 v[4:5], v[10:11], v[2:3]
	;;#ASMEND
	;;#ASMSTART
	v_med3_f32 v4, v4, v8, v9
v_med3_f32 v5, v5, v8, v9
v_cvt_pk_fp8_f32 v10, v4, v5
	;;#ASMEND
	s_mov_b32 s8, 0x5040100
	v_perm_b32 v5, v10, v12, s8
	s_movk_i32 s8, 0xff
	s_mul_hi_i32 s3, s2, s6
	s_mul_i32 s2, s2, s6
	v_and_b32_e32 v4, 0xffffff00, v10
	v_and_b32_sdwa v10, v5, s8 dst_sel:DWORD dst_unused:UNUSED_PAD src0_sel:WORD_1 src1_sel:DWORD
	s_mov_b32 s7, 0xffff
	s_waitcnt lgkmcnt(0)
	s_add_u32 s0, s0, s2
	v_or_b32_sdwa v4, v10, v4 dst_sel:WORD_1 dst_unused:UNUSED_PAD src0_sel:DWORD src1_sel:DWORD
	s_addc_u32 s1, s1, s3
	s_add_i32 s2, s11, 3
	v_and_or_b32 v4, v5, s7, v4
	;;#ASMSTART
	v_pk_mul_f32 v[6:7], v[6:7], v[2:3]
	;;#ASMEND
	v_mov_b32_e32 v5, v7
	s_ashr_i32 s3, s2, 31
	;;#ASMSTART
	v_med3_f32 v6, v6, v8, v9
v_med3_f32 v5, v5, v8, v9
v_cvt_pk_fp8_f32 v7, v6, v5
	;;#ASMEND
	;;#ASMSTART
	v_pk_mul_f32 v[2:3], v[32:33], v[2:3]
	;;#ASMEND
	s_lshr_b32 s3, s3, 30
	;;#ASMSTART
	v_med3_f32 v2, v2, v8, v9
v_med3_f32 v3, v3, v8, v9
v_cvt_pk_fp8_f32 v5, v2, v3
	;;#ASMEND
	s_add_i32 s2, s2, s3
	v_lshlrev_b32_e32 v2, 16, v5
	s_and_b32 s2, s2, -4
	s_and_b32 s1, s1, 0xffff
	s_mov_b32 s3, 0x20000
	v_and_or_b32 v5, v7, s7, v2
	buffer_store_dwordx2 v[4:5], v1, s[0:3], 0 offen
	;;#ASMSTART
	s_nop 0
	;;#ASMEND
.LBB3_28:
	s_or_b64 exec, exec, s[18:19]
	s_cmp_lt_i32 s12, 1
	s_cbranch_scc1 .LBB3_15
.LBB3_29:
	s_load_dword s0, s[4:5], 0x94
	s_waitcnt lgkmcnt(0)
	s_cmp_lg_u32 s0, 1
	s_cbranch_scc1 .LBB3_15
; %bb.30:
	s_lshl_b32 s0, s12, 1
	s_add_i32 s0, s0, 2
	v_cmp_gt_u32_e32 vcc, s12, v1
	s_and_b32 s18, s0, -4
	v_mov_b32_e32 v8, 0
	v_lshlrev_b32_e32 v16, 4, v0
	v_mov_b32_e32 v4, 0
	v_mov_b32_e32 v5, 0
	v_mov_b32_e32 v6, 0
	v_mov_b32_e32 v7, 0
	v_mov_b32_e32 v0, 0
	v_mov_b32_e32 v1, 0
	v_mov_b32_e32 v2, 0
	v_mov_b32_e32 v3, 0
	s_barrier
	s_and_saveexec_b64 s[0:1], vcc
	s_cbranch_execz .LBB3_32
; %bb.31:
	s_mul_hi_i32 s3, s14, s6
	s_mul_i32 s2, s14, s6
	s_and_b32 s17, s17, 0xffff
	s_lshl_b64 s[2:3], s[2:3], 1
	s_add_u32 s24, s28, s2
	s_mov_b32 s19, 0x20000
	s_addc_u32 s2, s29, s3
	s_and_b32 s25, s2, 0xffff
	s_mov_b32 s26, s18
	s_mov_b32 s27, s19
	buffer_load_dwordx4 v[4:7], v16, s[24:27], 0 offen glc slc
	buffer_load_dwordx4 v[0:3], v16, s[16:19], 0 offen
.LBB3_32:
	s_or_b64 exec, exec, s[0:1]
	v_mov_b32_e32 v9, 0
	v_mov_b32_e32 v14, 0
	;; [unrolled: 1-line block ×7, first 2 shown]
	s_and_saveexec_b64 s[0:1], vcc
	s_cbranch_execz .LBB3_34
; %bb.33:
	s_waitcnt vmcnt(1)
	v_cvt_f32_f16_sdwa v9, v4 dst_sel:DWORD dst_unused:UNUSED_PAD src0_sel:WORD_1
	v_cvt_f32_f16_e32 v8, v4
	v_cvt_f32_f16_sdwa v15, v5 dst_sel:DWORD dst_unused:UNUSED_PAD src0_sel:WORD_1
	v_cvt_f32_f16_e32 v14, v5
	;; [unrolled: 2-line block ×4, first 2 shown]
.LBB3_34:
	s_or_b64 exec, exec, s[0:1]
	s_waitcnt vmcnt(1)
	v_mul_f32_e32 v4, v9, v9
	v_fmac_f32_e32 v4, v8, v8
	v_fmac_f32_e32 v4, v14, v14
	;; [unrolled: 1-line block ×7, first 2 shown]
	s_nop 1
	v_mov_b32_dpp v5, v4 quad_perm:[1,0,3,2] row_mask:0xf bank_mask:0xf
	v_add_f32_e32 v4, v4, v5
	s_nop 1
	v_mov_b32_dpp v5, v4 quad_perm:[2,3,0,1] row_mask:0xf bank_mask:0xf
	v_add_f32_e32 v4, v4, v5
	s_nop 1
	v_mov_b32_dpp v5, v4 row_half_mirror row_mask:0xf bank_mask:0xf
	v_add_f32_e32 v4, v4, v5
	s_nop 1
	v_mov_b32_dpp v5, v4 row_mirror row_mask:0xf bank_mask:0xf
	v_add_f32_e32 v4, v4, v5
	s_nop 1
	v_mov_b32_dpp v5, v4 row_bcast:15 row_mask:0xf bank_mask:0xf
	v_add_f32_e32 v4, v4, v5
	s_nop 1
	v_mov_b32_dpp v5, v4 row_bcast:31 row_mask:0xf bank_mask:0xf
	v_add_f32_e32 v4, v4, v5
	ds_bpermute_b32 v4, v18, v4
	s_and_saveexec_b64 s[0:1], vcc
	s_cbranch_execz .LBB3_15
; %bb.35:
	v_cvt_f32_u32_e32 v5, s12
	s_mov_b32 s19, 0x20000
	s_waitcnt lgkmcnt(0)
	v_div_scale_f32 v6, s[0:1], v5, v5, v4
	v_rcp_f32_e32 v7, v6
	v_div_scale_f32 v17, vcc, v4, v5, v4
	s_mov_b32 s0, 0x800000
	v_fma_f32 v18, -v6, v7, 1.0
	v_fmac_f32_e32 v7, v18, v7
	v_mul_f32_e32 v18, v17, v7
	v_fma_f32 v19, -v6, v18, v17
	v_fmac_f32_e32 v18, v19, v7
	v_fma_f32 v6, -v6, v18, v17
	v_div_fmas_f32 v6, v6, v7, v18
	v_div_fixup_f32 v4, v6, v5, v4
	v_add_f32_e32 v4, s9, v4
	v_mul_f32_e32 v5, 0x4b800000, v4
	v_cmp_gt_f32_e32 vcc, s0, v4
	v_cndmask_b32_e32 v4, v4, v5, vcc
	v_rsq_f32_e32 v4, v4
	s_waitcnt vmcnt(0)
	v_cvt_f32_f16_sdwa v19, v3 dst_sel:DWORD dst_unused:UNUSED_PAD src0_sel:WORD_1
	v_cvt_f32_f16_e32 v18, v3
	s_mul_hi_i32 s1, s21, s6
	v_mul_f32_e32 v5, 0x45800000, v4
	v_cndmask_b32_e32 v4, v4, v5, vcc
	v_mov_b32_e32 v5, v4
	;;#ASMSTART
	v_pk_mul_f32 v[6:7], v[8:9], v[4:5]
	;;#ASMEND
	;;#ASMSTART
	v_pk_mul_f32 v[8:9], v[14:15], v[4:5]
	;;#ASMEND
	;; [unrolled: 3-line block ×4, first 2 shown]
	v_cvt_f32_f16_sdwa v11, v0 dst_sel:DWORD dst_unused:UNUSED_PAD src0_sel:WORD_1
	v_cvt_f32_f16_e32 v10, v0
	v_cvt_f32_f16_sdwa v15, v1 dst_sel:DWORD dst_unused:UNUSED_PAD src0_sel:WORD_1
	v_cvt_f32_f16_e32 v14, v1
	;; [unrolled: 2-line block ×3, first 2 shown]
	;;#ASMSTART
	v_pk_mul_f32 v[2:3], v[6:7], v[10:11]
	;;#ASMEND
	;;#ASMSTART
	v_pk_mul_f32 v[6:7], v[8:9], v[14:15]
	;;#ASMEND
	;; [unrolled: 3-line block ×4, first 2 shown]
	s_mul_i32 s0, s21, s6
	v_cvt_f16_f32_e32 v2, v2
	v_cvt_f16_f32_e32 v3, v3
	;; [unrolled: 1-line block ×8, first 2 shown]
	s_lshl_b64 s[0:1], s[0:1], 1
	s_add_u32 s16, s22, s0
	s_addc_u32 s0, s23, s1
	s_and_b32 s17, s0, 0xffff
	v_pack_b32_f16 v0, v2, v3
	v_pack_b32_f16 v1, v6, v7
	;; [unrolled: 1-line block ×4, first 2 shown]
	buffer_store_dwordx4 v[0:3], v16, s[16:19], 0 offen
	;;#ASMSTART
	s_nop 0
	;;#ASMEND
	s_endpgm
	.section	.rodata,"a",@progbits
	.p2align	6, 0x0
	.amdhsa_kernel _ZN5aiter35fused_qk_rmsnorm_group_quant_kernelIDF16_DB8_Li64ELi8ELi1ELb1ELb1ELb0ELb0ELb1ELb1EEEvPT0_PvPT_S6_S6_PKS5_S8_S8_S8_S8_ffiiiiiiiiiiiii
		.amdhsa_group_segment_fixed_size 0
		.amdhsa_private_segment_fixed_size 0
		.amdhsa_kernarg_size 400
		.amdhsa_user_sgpr_count 6
		.amdhsa_user_sgpr_private_segment_buffer 1
		.amdhsa_user_sgpr_dispatch_ptr 0
		.amdhsa_user_sgpr_queue_ptr 0
		.amdhsa_user_sgpr_kernarg_segment_ptr 1
		.amdhsa_user_sgpr_dispatch_id 0
		.amdhsa_user_sgpr_flat_scratch_init 0
		.amdhsa_user_sgpr_kernarg_preload_length 0
		.amdhsa_user_sgpr_kernarg_preload_offset 0
		.amdhsa_user_sgpr_private_segment_size 0
		.amdhsa_uses_dynamic_stack 0
		.amdhsa_system_sgpr_private_segment_wavefront_offset 0
		.amdhsa_system_sgpr_workgroup_id_x 1
		.amdhsa_system_sgpr_workgroup_id_y 1
		.amdhsa_system_sgpr_workgroup_id_z 0
		.amdhsa_system_sgpr_workgroup_info 0
		.amdhsa_system_vgpr_workitem_id 0
		.amdhsa_next_free_vgpr 34
		.amdhsa_next_free_sgpr 40
		.amdhsa_accum_offset 36
		.amdhsa_reserve_vcc 1
		.amdhsa_reserve_flat_scratch 0
		.amdhsa_float_round_mode_32 0
		.amdhsa_float_round_mode_16_64 0
		.amdhsa_float_denorm_mode_32 3
		.amdhsa_float_denorm_mode_16_64 3
		.amdhsa_dx10_clamp 1
		.amdhsa_ieee_mode 1
		.amdhsa_fp16_overflow 0
		.amdhsa_tg_split 0
		.amdhsa_exception_fp_ieee_invalid_op 0
		.amdhsa_exception_fp_denorm_src 0
		.amdhsa_exception_fp_ieee_div_zero 0
		.amdhsa_exception_fp_ieee_overflow 0
		.amdhsa_exception_fp_ieee_underflow 0
		.amdhsa_exception_fp_ieee_inexact 0
		.amdhsa_exception_int_div_zero 0
	.end_amdhsa_kernel
	.section	.text._ZN5aiter35fused_qk_rmsnorm_group_quant_kernelIDF16_DB8_Li64ELi8ELi1ELb1ELb1ELb0ELb0ELb1ELb1EEEvPT0_PvPT_S6_S6_PKS5_S8_S8_S8_S8_ffiiiiiiiiiiiii,"axG",@progbits,_ZN5aiter35fused_qk_rmsnorm_group_quant_kernelIDF16_DB8_Li64ELi8ELi1ELb1ELb1ELb0ELb0ELb1ELb1EEEvPT0_PvPT_S6_S6_PKS5_S8_S8_S8_S8_ffiiiiiiiiiiiii,comdat
.Lfunc_end3:
	.size	_ZN5aiter35fused_qk_rmsnorm_group_quant_kernelIDF16_DB8_Li64ELi8ELi1ELb1ELb1ELb0ELb0ELb1ELb1EEEvPT0_PvPT_S6_S6_PKS5_S8_S8_S8_S8_ffiiiiiiiiiiiii, .Lfunc_end3-_ZN5aiter35fused_qk_rmsnorm_group_quant_kernelIDF16_DB8_Li64ELi8ELi1ELb1ELb1ELb0ELb0ELb1ELb1EEEvPT0_PvPT_S6_S6_PKS5_S8_S8_S8_S8_ffiiiiiiiiiiiii
                                        ; -- End function
	.section	.AMDGPU.csdata,"",@progbits
; Kernel info:
; codeLenInByte = 2940
; NumSgprs: 44
; NumVgprs: 34
; NumAgprs: 0
; TotalNumVgprs: 34
; ScratchSize: 0
; MemoryBound: 0
; FloatMode: 240
; IeeeMode: 1
; LDSByteSize: 0 bytes/workgroup (compile time only)
; SGPRBlocks: 5
; VGPRBlocks: 4
; NumSGPRsForWavesPerEU: 44
; NumVGPRsForWavesPerEU: 34
; AccumOffset: 36
; Occupancy: 8
; WaveLimiterHint : 0
; COMPUTE_PGM_RSRC2:SCRATCH_EN: 0
; COMPUTE_PGM_RSRC2:USER_SGPR: 6
; COMPUTE_PGM_RSRC2:TRAP_HANDLER: 0
; COMPUTE_PGM_RSRC2:TGID_X_EN: 1
; COMPUTE_PGM_RSRC2:TGID_Y_EN: 1
; COMPUTE_PGM_RSRC2:TGID_Z_EN: 0
; COMPUTE_PGM_RSRC2:TIDIG_COMP_CNT: 0
; COMPUTE_PGM_RSRC3_GFX90A:ACCUM_OFFSET: 8
; COMPUTE_PGM_RSRC3_GFX90A:TG_SPLIT: 0
	.section	.text._ZN5aiter35fused_qk_rmsnorm_group_quant_kernelItDB8_Li64ELi8ELi1ELb1ELb1ELb0ELb0ELb1ELb1EEEvPT0_PvPT_S6_S6_PKS5_S8_S8_S8_S8_ffiiiiiiiiiiiii,"axG",@progbits,_ZN5aiter35fused_qk_rmsnorm_group_quant_kernelItDB8_Li64ELi8ELi1ELb1ELb1ELb0ELb0ELb1ELb1EEEvPT0_PvPT_S6_S6_PKS5_S8_S8_S8_S8_ffiiiiiiiiiiiii,comdat
	.protected	_ZN5aiter35fused_qk_rmsnorm_group_quant_kernelItDB8_Li64ELi8ELi1ELb1ELb1ELb0ELb0ELb1ELb1EEEvPT0_PvPT_S6_S6_PKS5_S8_S8_S8_S8_ffiiiiiiiiiiiii ; -- Begin function _ZN5aiter35fused_qk_rmsnorm_group_quant_kernelItDB8_Li64ELi8ELi1ELb1ELb1ELb0ELb0ELb1ELb1EEEvPT0_PvPT_S6_S6_PKS5_S8_S8_S8_S8_ffiiiiiiiiiiiii
	.globl	_ZN5aiter35fused_qk_rmsnorm_group_quant_kernelItDB8_Li64ELi8ELi1ELb1ELb1ELb0ELb0ELb1ELb1EEEvPT0_PvPT_S6_S6_PKS5_S8_S8_S8_S8_ffiiiiiiiiiiiii
	.p2align	8
	.type	_ZN5aiter35fused_qk_rmsnorm_group_quant_kernelItDB8_Li64ELi8ELi1ELb1ELb1ELb0ELb0ELb1ELb1EEEvPT0_PvPT_S6_S6_PKS5_S8_S8_S8_S8_ffiiiiiiiiiiiii,@function
_ZN5aiter35fused_qk_rmsnorm_group_quant_kernelItDB8_Li64ELi8ELi1ELb1ELb1ELb0ELb0ELb1ELb1EEEvPT0_PvPT_S6_S6_PKS5_S8_S8_S8_S8_ffiiiiiiiiiiiii: ; @_ZN5aiter35fused_qk_rmsnorm_group_quant_kernelItDB8_Li64ELi8ELi1ELb1ELb1ELb0ELb0ELb1ELb1EEEvPT0_PvPT_S6_S6_PKS5_S8_S8_S8_S8_ffiiiiiiiiiiiii
; %bb.0:
	s_load_dwordx8 s[8:15], s[4:5], 0x50
	s_waitcnt lgkmcnt(0)
	s_cmp_ge_i32 s6, s10
	s_cbranch_scc1 .LBB4_15
; %bb.1:
	s_cmp_lg_u32 s7, 0
	s_cselect_b64 s[18:19], -1, 0
	s_cmp_eq_u32 s7, 0
	s_cselect_b64 s[22:23], -1, 0
	s_and_b64 s[0:1], s[22:23], exec
	s_load_dwordx2 s[2:3], s[4:5], 0x70
	s_load_dwordx2 s[16:17], s[4:5], 0x48
	;; [unrolled: 1-line block ×3, first 2 shown]
	s_cselect_b32 s7, s11, s12
	s_add_i32 s0, s7, 1
	s_lshr_b32 s1, s0, 31
	s_add_i32 s0, s0, s1
	s_lshl_b32 s0, s0, 1
	v_lshlrev_b32_e32 v1, 3, v0
	s_and_b32 s26, s0, -4
	v_cmp_gt_i32_e64 s[0:1], s7, v1
	v_mov_b32_e32 v10, 0
	v_mov_b32_e32 v11, 0
	;; [unrolled: 1-line block ×8, first 2 shown]
	s_and_saveexec_b64 s[20:21], s[0:1]
	s_cbranch_execz .LBB4_3
; %bb.2:
	s_load_dwordx2 s[24:25], s[4:5], 0x28
	s_load_dwordx2 s[30:31], s[4:5], 0x40
	s_and_b64 s[34:35], s[22:23], exec
	s_cselect_b32 s10, s13, s14
	v_lshlrev_b32_e32 v2, 4, v0
	s_waitcnt lgkmcnt(0)
	s_cselect_b32 s13, s25, s29
	s_cselect_b32 s27, s24, s28
	s_mul_hi_i32 s25, s10, s6
	s_mul_i32 s24, s10, s6
	s_lshl_b64 s[24:25], s[24:25], 1
	s_add_u32 s36, s27, s24
	s_addc_u32 s10, s13, s25
	s_and_b64 s[22:23], s[22:23], exec
	s_mov_b32 s27, 0x20000
	s_cselect_b32 s24, s30, s16
	s_cselect_b32 s13, s31, s17
	s_and_b32 s37, s10, 0xffff
	s_mov_b32 s38, s26
	s_mov_b32 s39, s27
	s_and_b32 s25, s13, 0xffff
	buffer_load_dwordx4 v[14:17], v2, s[36:39], 0 offen glc slc
	buffer_load_dwordx4 v[10:13], v2, s[24:27], 0 offen
.LBB4_3:
	s_or_b64 exec, exec, s[20:21]
	s_load_dwordx4 s[20:23], s[4:5], 0x7c
	s_and_b64 vcc, exec, s[18:19]
	s_cbranch_vccz .LBB4_7
; %bb.4:
	s_mov_b32 s36, 0
	s_mov_b32 s37, s36
	;; [unrolled: 1-line block ×8, first 2 shown]
	v_pk_mov_b32 v[2:3], s[36:37], s[36:37] op_sel:[0,1]
	v_pk_mov_b32 v[4:5], s[38:39], s[38:39] op_sel:[0,1]
	;; [unrolled: 1-line block ×4, first 2 shown]
	s_and_saveexec_b64 s[24:25], s[0:1]
	s_cbranch_execz .LBB4_6
; %bb.5:
	s_waitcnt vmcnt(1)
	v_cvt_f32_u32_sdwa v3, v14 dst_sel:DWORD dst_unused:UNUSED_PAD src0_sel:WORD_1
	v_cvt_f32_u32_sdwa v2, v14 dst_sel:DWORD dst_unused:UNUSED_PAD src0_sel:WORD_0
	v_cvt_f32_u32_sdwa v5, v15 dst_sel:DWORD dst_unused:UNUSED_PAD src0_sel:WORD_1
	v_cvt_f32_u32_sdwa v4, v15 dst_sel:DWORD dst_unused:UNUSED_PAD src0_sel:WORD_0
	;; [unrolled: 2-line block ×4, first 2 shown]
.LBB4_6:
	s_or_b64 exec, exec, s[24:25]
	s_mov_b32 s10, s9
	s_cbranch_execz .LBB4_8
	s_branch .LBB4_11
.LBB4_7:
                                        ; implicit-def: $vgpr2_vgpr3_vgpr4_vgpr5_vgpr6_vgpr7_vgpr8_vgpr9
	s_mov_b32 s10, s9
.LBB4_8:
	s_mov_b32 s36, 0
	s_mov_b32 s37, s36
	;; [unrolled: 1-line block ×8, first 2 shown]
	v_pk_mov_b32 v[2:3], s[36:37], s[36:37] op_sel:[0,1]
	v_pk_mov_b32 v[4:5], s[38:39], s[38:39] op_sel:[0,1]
	;; [unrolled: 1-line block ×4, first 2 shown]
	s_and_saveexec_b64 s[30:31], s[0:1]
	s_cbranch_execz .LBB4_10
; %bb.9:
	s_load_dwordx2 s[24:25], s[4:5], 0x38
	s_mul_hi_i32 s35, s15, s6
	s_mul_i32 s34, s15, s6
	s_lshl_b64 s[34:35], s[34:35], 1
	s_mov_b32 s27, 0x20000
	s_waitcnt lgkmcnt(0)
	s_add_u32 s24, s24, s34
	s_addc_u32 s10, s25, s35
	s_and_b32 s25, s10, 0xffff
	v_lshlrev_b32_e32 v26, 4, v0
	buffer_load_dwordx4 v[2:5], v26, s[24:27], 0 offen glc slc
	s_load_dwordx2 s[24:25], s[4:5], 0x20
	s_waitcnt vmcnt(2)
	v_cvt_f32_u32_sdwa v7, v14 dst_sel:DWORD dst_unused:UNUSED_PAD src0_sel:WORD_1
	v_cvt_f32_u32_sdwa v6, v14 dst_sel:DWORD dst_unused:UNUSED_PAD src0_sel:WORD_0
	v_cvt_f32_u32_sdwa v9, v15 dst_sel:DWORD dst_unused:UNUSED_PAD src0_sel:WORD_1
	v_cvt_f32_u32_sdwa v8, v15 dst_sel:DWORD dst_unused:UNUSED_PAD src0_sel:WORD_0
	;; [unrolled: 2-line block ×4, first 2 shown]
	s_mul_hi_i32 s23, s22, s6
	s_mul_i32 s22, s22, s6
	s_lshl_b64 s[22:23], s[22:23], 1
	s_waitcnt lgkmcnt(0)
	s_add_u32 s24, s24, s22
	s_mov_b32 s10, 0x7060302
	s_addc_u32 s13, s25, s23
	s_and_b32 s25, s13, 0xffff
	s_waitcnt vmcnt(0)
	v_cvt_f32_u32_sdwa v17, v2 dst_sel:DWORD dst_unused:UNUSED_PAD src0_sel:WORD_1
	v_cvt_f32_u32_sdwa v16, v2 dst_sel:DWORD dst_unused:UNUSED_PAD src0_sel:WORD_0
	v_cvt_f32_u32_sdwa v21, v3 dst_sel:DWORD dst_unused:UNUSED_PAD src0_sel:WORD_1
	v_cvt_f32_u32_sdwa v20, v3 dst_sel:DWORD dst_unused:UNUSED_PAD src0_sel:WORD_0
	;; [unrolled: 2-line block ×4, first 2 shown]
	v_pk_add_f32 v[2:3], v[6:7], v[16:17]
	v_pk_add_f32 v[4:5], v[8:9], v[20:21]
	;; [unrolled: 1-line block ×4, first 2 shown]
	v_perm_b32 v17, v9, v8, s10
	v_perm_b32 v16, v7, v6, s10
	;; [unrolled: 1-line block ×4, first 2 shown]
	buffer_store_dwordx4 v[14:17], v26, s[24:27], 0 offen glc slc
	;;#ASMSTART
	s_nop 0
	;;#ASMEND
.LBB4_10:
	s_or_b64 exec, exec, s[30:31]
	s_mov_b32 s10, s8
.LBB4_11:
	s_waitcnt vmcnt(1)
	v_mul_f32_e32 v14, v3, v3
	v_fmac_f32_e32 v14, v2, v2
	v_fmac_f32_e32 v14, v4, v4
	;; [unrolled: 1-line block ×7, first 2 shown]
	v_bfrev_b32_e32 v16, 0.5
	s_waitcnt lgkmcnt(0)
	s_load_dwordx2 s[22:23], s[4:5], 0x18
	v_mov_b32_dpp v15, v14 quad_perm:[1,0,3,2] row_mask:0xf bank_mask:0xf
	v_add_f32_e32 v14, v14, v15
	s_nop 1
	v_mov_b32_dpp v15, v14 quad_perm:[2,3,0,1] row_mask:0xf bank_mask:0xf
	v_add_f32_e32 v14, v14, v15
	s_nop 1
	v_mov_b32_dpp v15, v14 row_half_mirror row_mask:0xf bank_mask:0xf
	v_add_f32_e32 v14, v14, v15
	s_nop 1
	v_mov_b32_dpp v15, v14 row_mirror row_mask:0xf bank_mask:0xf
	v_add_f32_e32 v14, v14, v15
	s_nop 1
	v_mov_b32_dpp v15, v14 row_bcast:15 row_mask:0xf bank_mask:0xf
	v_add_f32_e32 v14, v14, v15
	s_nop 1
	v_mov_b32_dpp v15, v14 row_bcast:31 row_mask:0xf bank_mask:0xf
	v_add_f32_e32 v15, v14, v15
	v_mbcnt_lo_u32_b32 v14, -1, 0
	v_mbcnt_hi_u32_b32 v14, -1, v14
	v_lshl_or_b32 v14, v14, 2, v16
	ds_bpermute_b32 v15, v14, v15
	s_and_saveexec_b64 s[24:25], s[0:1]
	s_cbranch_execnz .LBB4_16
; %bb.12:
	s_or_b64 exec, exec, s[24:25]
	s_mov_b64 s[24:25], -1
	s_and_b64 vcc, exec, s[18:19]
	s_cbranch_vccnz .LBB4_17
.LBB4_13:
	s_andn2_b64 vcc, exec, s[24:25]
	s_cbranch_vccz .LBB4_20
.LBB4_14:
	s_cmp_lt_i32 s12, 1
	s_cbranch_scc0 .LBB4_29
.LBB4_15:
	s_endpgm
.LBB4_16:
	v_cvt_f32_u32_e32 v16, s7
	s_mov_b32 s7, 0x800000
	s_waitcnt lgkmcnt(0)
	v_div_scale_f32 v17, s[30:31], v16, v16, v15
	v_rcp_f32_e32 v18, v17
	v_div_scale_f32 v19, vcc, v15, v16, v15
	v_fma_f32 v20, -v17, v18, 1.0
	v_fmac_f32_e32 v18, v20, v18
	v_mul_f32_e32 v20, v19, v18
	v_fma_f32 v21, -v17, v20, v19
	v_fmac_f32_e32 v20, v21, v18
	v_fma_f32 v17, -v17, v20, v19
	v_div_fmas_f32 v17, v17, v18, v20
	v_div_fixup_f32 v15, v17, v16, v15
	v_add_f32_e32 v15, s10, v15
	v_mul_f32_e32 v16, 0x4b800000, v15
	v_cmp_gt_f32_e32 vcc, s7, v15
	v_cndmask_b32_e32 v15, v15, v16, vcc
	v_rsq_f32_e32 v15, v15
	s_waitcnt vmcnt(0)
	v_cvt_f32_u32_sdwa v19, v11 dst_sel:DWORD dst_unused:UNUSED_PAD src0_sel:WORD_1
	v_cvt_f32_u32_sdwa v18, v11 dst_sel:DWORD dst_unused:UNUSED_PAD src0_sel:WORD_0
	v_cvt_f32_u32_sdwa v11, v12 dst_sel:DWORD dst_unused:UNUSED_PAD src0_sel:WORD_1
	v_mul_f32_e32 v16, 0x45800000, v15
	v_cndmask_b32_e32 v16, v15, v16, vcc
	v_mov_b32_e32 v17, v16
	;;#ASMSTART
	v_pk_mul_f32 v[2:3], v[2:3], v[16:17]
	;;#ASMEND
	;;#ASMSTART
	v_pk_mul_f32 v[4:5], v[4:5], v[16:17]
	;;#ASMEND
	;; [unrolled: 3-line block ×4, first 2 shown]
	v_cvt_f32_u32_sdwa v17, v10 dst_sel:DWORD dst_unused:UNUSED_PAD src0_sel:WORD_1
	v_cvt_f32_u32_sdwa v16, v10 dst_sel:DWORD dst_unused:UNUSED_PAD src0_sel:WORD_0
	v_cvt_f32_u32_sdwa v10, v12 dst_sel:DWORD dst_unused:UNUSED_PAD src0_sel:WORD_0
	v_cvt_f32_u32_sdwa v21, v13 dst_sel:DWORD dst_unused:UNUSED_PAD src0_sel:WORD_1
	v_cvt_f32_u32_sdwa v20, v13 dst_sel:DWORD dst_unused:UNUSED_PAD src0_sel:WORD_0
	;;#ASMSTART
	v_pk_mul_f32 v[2:3], v[2:3], v[16:17]
	;;#ASMEND
	;;#ASMSTART
	v_pk_mul_f32 v[4:5], v[4:5], v[18:19]
	;;#ASMEND
	;; [unrolled: 3-line block ×4, first 2 shown]
	s_or_b64 exec, exec, s[24:25]
	s_mov_b64 s[24:25], -1
	s_and_b64 vcc, exec, s[18:19]
	s_cbranch_vccz .LBB4_13
.LBB4_17:
	s_and_saveexec_b64 s[18:19], s[0:1]
	s_cbranch_execz .LBB4_19
; %bb.18:
	s_mul_hi_i32 s25, s21, s6
	s_mul_i32 s24, s21, s6
	s_lshl_b64 s[24:25], s[24:25], 1
	s_waitcnt lgkmcnt(0)
	s_add_u32 s24, s22, s24
	s_addc_u32 s7, s23, s25
	s_and_b32 s25, s7, 0xffff
	s_mov_b32 s7, 0x7060302
	s_mov_b32 s27, 0x20000
	s_waitcnt vmcnt(0)
	v_perm_b32 v10, v3, v2, s7
	v_perm_b32 v11, v5, v4, s7
	v_perm_b32 v12, v7, v6, s7
	v_perm_b32 v13, v9, v8, s7
	v_lshlrev_b32_e32 v15, 4, v0
	buffer_store_dwordx4 v[10:13], v15, s[24:27], 0 offen
	;;#ASMSTART
	s_nop 0
	;;#ASMEND
.LBB4_19:
	s_or_b64 exec, exec, s[18:19]
	s_cbranch_execnz .LBB4_14
.LBB4_20:
	s_waitcnt vmcnt(0)
	v_mov_b32_e32 v10, 0
	s_and_saveexec_b64 s[18:19], s[0:1]
	s_cbranch_execz .LBB4_22
; %bb.21:
	s_load_dwordx2 s[24:25], s[4:5], 0x10
	s_mul_hi_i32 s31, s20, s6
	s_mul_i32 s30, s20, s6
	s_lshl_b64 s[30:31], s[30:31], 1
	s_mov_b32 s27, 0x20000
	s_waitcnt lgkmcnt(0)
	s_add_u32 s24, s24, s30
	s_addc_u32 s7, s25, s31
	s_and_b32 s25, s7, 0xffff
	s_mov_b32 s7, 0x7060302
	v_perm_b32 v10, v3, v2, s7
	v_perm_b32 v11, v5, v4, s7
	;; [unrolled: 1-line block ×4, first 2 shown]
	v_lshlrev_b32_e32 v15, 4, v0
	buffer_store_dwordx4 v[10:13], v15, s[24:27], 0 offen
	;;#ASMSTART
	s_nop 0
	;;#ASMEND
	s_nop 0
	v_mov_b32_e32 v10, 0x2edbe6ff
.LBB4_22:
	s_or_b64 exec, exec, s[18:19]
	s_and_saveexec_b64 s[18:19], s[0:1]
	s_cbranch_execz .LBB4_24
; %bb.23:
	v_and_b32_e32 v11, 0x7fffffff, v2
	v_and_b32_e32 v12, 0x7fffffff, v3
	;;#ASMSTART
	v_max3_f32 v10, v10, v11, v12

	;;#ASMEND
	v_and_b32_e32 v11, 0x7fffffff, v4
	v_and_b32_e32 v12, 0x7fffffff, v5
	;;#ASMSTART
	v_max3_f32 v10, v10, v11, v12

	;;#ASMEND
	;; [unrolled: 6-line block ×4, first 2 shown]
.LBB4_24:
	s_or_b64 exec, exec, s[18:19]
	s_nop 0
	v_mov_b32_dpp v11, v10 quad_perm:[1,0,3,2] row_mask:0xf bank_mask:0xf
	v_cmp_gt_f32_e32 vcc, v10, v11
	v_cndmask_b32_e32 v10, v11, v10, vcc
	s_nop 1
	v_mov_b32_dpp v11, v10 quad_perm:[2,3,0,1] row_mask:0xf bank_mask:0xf
	v_cmp_gt_f32_e32 vcc, v10, v11
	v_cndmask_b32_e32 v10, v11, v10, vcc
	s_nop 1
	v_mov_b32_dpp v11, v10 row_half_mirror row_mask:0xf bank_mask:0xf
	v_cmp_gt_f32_e32 vcc, v10, v11
	v_cndmask_b32_e32 v10, v11, v10, vcc
	s_nop 1
	v_mov_b32_dpp v11, v10 row_mirror row_mask:0xf bank_mask:0xf
	v_cmp_gt_f32_e32 vcc, v10, v11
	v_cndmask_b32_e32 v10, v11, v10, vcc
	s_nop 1
	v_mov_b32_dpp v11, v10 row_bcast:15 row_mask:0xf bank_mask:0xf
	v_cmp_gt_f32_e32 vcc, v10, v11
	v_cndmask_b32_e32 v10, v11, v10, vcc
	s_nop 1
	v_mov_b32_dpp v11, v10 row_bcast:31 row_mask:0xf bank_mask:0xf
	v_cmp_gt_f32_e32 vcc, v10, v11
	v_cndmask_b32_e32 v10, v11, v10, vcc
	ds_bpermute_b32 v10, v14, v10
	v_cmp_eq_u32_e32 vcc, 0, v0
	s_waitcnt lgkmcnt(0)
	v_mul_f32_e32 v10, 0x3b124925, v10
	s_and_saveexec_b64 s[18:19], vcc
	s_cbranch_execz .LBB4_26
; %bb.25:
	s_load_dwordx2 s[24:25], s[4:5], 0x8
	s_mul_hi_i32 s27, s3, s6
	s_mul_i32 s26, s3, s6
	s_lshl_b64 s[26:27], s[26:27], 2
	v_mov_b32_e32 v11, 0
	s_waitcnt lgkmcnt(0)
	s_add_u32 s24, s24, s26
	s_addc_u32 s25, s25, s27
	global_store_dword v11, v10, s[24:25]
.LBB4_26:
	s_or_b64 exec, exec, s[18:19]
	;;#ASMSTART
	v_rcp_f32 v10, v10
	;;#ASMEND
	s_and_saveexec_b64 s[18:19], s[0:1]
	s_cbranch_execz .LBB4_28
; %bb.27:
	v_mov_b32_e32 v11, v10
	;;#ASMSTART
	v_pk_mul_f32 v[2:3], v[2:3], v[10:11]
	;;#ASMEND
	v_mov_b32_e32 v12, 0xc3e00000
	v_mov_b32_e32 v13, 0x43e00000
	;;#ASMSTART
	v_med3_f32 v2, v2, v12, v13
v_med3_f32 v3, v3, v12, v13
v_cvt_pk_fp8_f32 v15, v2, v3
	;;#ASMEND
	s_load_dwordx2 s[0:1], s[4:5], 0x0
	;;#ASMSTART
	v_pk_mul_f32 v[2:3], v[4:5], v[10:11]
	;;#ASMEND
	;;#ASMSTART
	v_med3_f32 v2, v2, v12, v13
v_med3_f32 v3, v3, v12, v13
v_cvt_pk_fp8_f32 v4, v2, v3
	;;#ASMEND
	s_mov_b32 s8, 0x5040100
	v_perm_b32 v3, v4, v15, s8
	s_movk_i32 s8, 0xff
	v_and_b32_e32 v2, 0xffffff00, v4
	v_and_b32_sdwa v4, v3, s8 dst_sel:DWORD dst_unused:UNUSED_PAD src0_sel:WORD_1 src1_sel:DWORD
	s_mul_hi_i32 s3, s2, s6
	s_mul_i32 s2, s2, s6
	s_mov_b32 s7, 0xffff
	v_or_b32_sdwa v2, v4, v2 dst_sel:WORD_1 dst_unused:UNUSED_PAD src0_sel:DWORD src1_sel:DWORD
	s_waitcnt lgkmcnt(0)
	s_add_u32 s0, s0, s2
	v_and_or_b32 v2, v3, s7, v2
	;;#ASMSTART
	v_pk_mul_f32 v[4:5], v[6:7], v[10:11]
	;;#ASMEND
	v_mov_b32_e32 v3, v4
	s_addc_u32 s1, s1, s3
	s_add_i32 s2, s11, 3
	;;#ASMSTART
	v_med3_f32 v3, v3, v12, v13
v_med3_f32 v5, v5, v12, v13
v_cvt_pk_fp8_f32 v6, v3, v5
	;;#ASMEND
	s_ashr_i32 s3, s2, 31
	;;#ASMSTART
	v_pk_mul_f32 v[4:5], v[8:9], v[10:11]
	;;#ASMEND
	v_mov_b32_e32 v3, v5
	s_lshr_b32 s3, s3, 30
	;;#ASMSTART
	v_med3_f32 v4, v4, v12, v13
v_med3_f32 v3, v3, v12, v13
v_cvt_pk_fp8_f32 v5, v4, v3
	;;#ASMEND
	s_add_i32 s2, s2, s3
	v_lshlrev_b32_e32 v3, 16, v5
	s_and_b32 s2, s2, -4
	s_and_b32 s1, s1, 0xffff
	s_mov_b32 s3, 0x20000
	v_and_or_b32 v3, v6, s7, v3
	buffer_store_dwordx2 v[2:3], v1, s[0:3], 0 offen
	;;#ASMSTART
	s_nop 0
	;;#ASMEND
.LBB4_28:
	s_or_b64 exec, exec, s[18:19]
	s_cmp_lt_i32 s12, 1
	s_cbranch_scc1 .LBB4_15
.LBB4_29:
	s_load_dword s0, s[4:5], 0x94
	s_waitcnt lgkmcnt(0)
	s_cmp_lg_u32 s0, 1
	s_cbranch_scc1 .LBB4_15
; %bb.30:
	s_lshl_b32 s0, s12, 1
	s_add_i32 s0, s0, 2
	v_cmp_gt_u32_e32 vcc, s12, v1
	s_and_b32 s18, s0, -4
	v_mov_b32_e32 v4, 0
	s_waitcnt vmcnt(0)
	v_lshlrev_b32_e32 v12, 4, v0
	v_mov_b32_e32 v5, 0
	v_mov_b32_e32 v6, 0
	;; [unrolled: 1-line block ×7, first 2 shown]
	s_barrier
	s_and_saveexec_b64 s[0:1], vcc
	s_cbranch_execz .LBB4_32
; %bb.31:
	s_mul_hi_i32 s3, s14, s6
	s_mul_i32 s2, s14, s6
	s_and_b32 s17, s17, 0xffff
	s_lshl_b64 s[2:3], s[2:3], 1
	s_add_u32 s24, s28, s2
	s_mov_b32 s19, 0x20000
	s_addc_u32 s2, s29, s3
	s_and_b32 s25, s2, 0xffff
	s_mov_b32 s26, s18
	s_mov_b32 s27, s19
	buffer_load_dwordx4 v[4:7], v12, s[24:27], 0 offen glc slc
	buffer_load_dwordx4 v[0:3], v12, s[16:19], 0 offen
.LBB4_32:
	s_or_b64 exec, exec, s[0:1]
	s_waitcnt vmcnt(1)
	v_cvt_f32_u32_sdwa v11, v4 dst_sel:DWORD dst_unused:UNUSED_PAD src0_sel:WORD_1
	v_cvt_f32_u32_sdwa v10, v4 dst_sel:DWORD dst_unused:UNUSED_PAD src0_sel:WORD_0
	v_cvt_f32_u32_sdwa v4, v7 dst_sel:DWORD dst_unused:UNUSED_PAD src0_sel:WORD_1
	v_cvt_f32_u32_sdwa v7, v7 dst_sel:DWORD dst_unused:UNUSED_PAD src0_sel:WORD_0
	;; [unrolled: 2-line block ×4, first 2 shown]
	v_cndmask_b32_e32 v11, 0, v11, vcc
	v_cndmask_b32_e32 v5, 0, v4, vcc
	;; [unrolled: 1-line block ×5, first 2 shown]
	v_mul_f32_e32 v13, v11, v11
	v_cndmask_b32_e32 v8, 0, v8, vcc
	v_fmac_f32_e32 v13, v10, v10
	v_cndmask_b32_e32 v9, 0, v9, vcc
	v_fmac_f32_e32 v13, v8, v8
	;; [unrolled: 2-line block ×3, first 2 shown]
	v_fmac_f32_e32 v13, v6, v6
	v_fmac_f32_e32 v13, v7, v7
	;; [unrolled: 1-line block ×4, first 2 shown]
	s_nop 1
	v_mov_b32_dpp v15, v13 quad_perm:[1,0,3,2] row_mask:0xf bank_mask:0xf
	v_add_f32_e32 v13, v13, v15
	s_nop 1
	v_mov_b32_dpp v15, v13 quad_perm:[2,3,0,1] row_mask:0xf bank_mask:0xf
	v_add_f32_e32 v13, v13, v15
	s_nop 1
	v_mov_b32_dpp v15, v13 row_half_mirror row_mask:0xf bank_mask:0xf
	v_add_f32_e32 v13, v13, v15
	s_nop 1
	v_mov_b32_dpp v15, v13 row_mirror row_mask:0xf bank_mask:0xf
	v_add_f32_e32 v13, v13, v15
	s_nop 1
	v_mov_b32_dpp v15, v13 row_bcast:15 row_mask:0xf bank_mask:0xf
	v_add_f32_e32 v13, v13, v15
	s_nop 1
	v_mov_b32_dpp v15, v13 row_bcast:31 row_mask:0xf bank_mask:0xf
	v_add_f32_e32 v13, v13, v15
	ds_bpermute_b32 v13, v14, v13
	s_and_saveexec_b64 s[0:1], vcc
	s_cbranch_execz .LBB4_15
; %bb.33:
	v_cvt_f32_u32_e32 v14, s12
	s_mov_b32 s19, 0x20000
	s_waitcnt lgkmcnt(0)
	v_div_scale_f32 v15, s[0:1], v14, v14, v13
	v_rcp_f32_e32 v16, v15
	v_div_scale_f32 v17, vcc, v13, v14, v13
	s_mov_b32 s0, 0x800000
	v_fma_f32 v18, -v15, v16, 1.0
	v_fmac_f32_e32 v16, v18, v16
	v_mul_f32_e32 v18, v17, v16
	v_fma_f32 v19, -v15, v18, v17
	v_fmac_f32_e32 v18, v19, v16
	v_fma_f32 v15, -v15, v18, v17
	v_div_fmas_f32 v15, v15, v16, v18
	v_div_fixup_f32 v13, v15, v14, v13
	v_add_f32_e32 v13, s9, v13
	v_mul_f32_e32 v14, 0x4b800000, v13
	v_cmp_gt_f32_e32 vcc, s0, v13
	v_cndmask_b32_e32 v13, v13, v14, vcc
	v_rsq_f32_e32 v13, v13
	s_mul_hi_i32 s1, s21, s6
	s_mul_i32 s0, s21, s6
	s_lshl_b64 s[0:1], s[0:1], 1
	v_mul_f32_e32 v14, 0x45800000, v13
	v_cndmask_b32_e32 v14, v13, v14, vcc
	s_add_u32 s16, s22, s0
	v_mov_b32_e32 v15, v14
	s_addc_u32 s0, s23, s1
	;;#ASMSTART
	v_pk_mul_f32 v[10:11], v[10:11], v[14:15]
	;;#ASMEND
	;;#ASMSTART
	v_pk_mul_f32 v[8:9], v[8:9], v[14:15]
	;;#ASMEND
	;; [unrolled: 3-line block ×4, first 2 shown]
	s_waitcnt vmcnt(0)
	v_cvt_f32_u32_sdwa v15, v0 dst_sel:DWORD dst_unused:UNUSED_PAD src0_sel:WORD_1
	v_cvt_f32_u32_sdwa v14, v0 dst_sel:DWORD dst_unused:UNUSED_PAD src0_sel:WORD_0
	v_cvt_f32_u32_sdwa v17, v1 dst_sel:DWORD dst_unused:UNUSED_PAD src0_sel:WORD_1
	v_cvt_f32_u32_sdwa v16, v1 dst_sel:DWORD dst_unused:UNUSED_PAD src0_sel:WORD_0
	;; [unrolled: 2-line block ×4, first 2 shown]
	;;#ASMSTART
	v_pk_mul_f32 v[2:3], v[10:11], v[14:15]
	;;#ASMEND
	s_and_b32 s17, s0, 0xffff
	s_mov_b32 s0, 0x7060302
	;;#ASMSTART
	v_pk_mul_f32 v[8:9], v[8:9], v[16:17]
	;;#ASMEND
	;;#ASMSTART
	v_pk_mul_f32 v[6:7], v[6:7], v[0:1]
	;;#ASMEND
	;; [unrolled: 3-line block ×3, first 2 shown]
	v_perm_b32 v0, v3, v2, s0
	v_perm_b32 v1, v9, v8, s0
	v_perm_b32 v2, v7, v6, s0
	v_perm_b32 v3, v5, v4, s0
	buffer_store_dwordx4 v[0:3], v12, s[16:19], 0 offen
	;;#ASMSTART
	s_nop 0
	;;#ASMEND
	s_endpgm
	.section	.rodata,"a",@progbits
	.p2align	6, 0x0
	.amdhsa_kernel _ZN5aiter35fused_qk_rmsnorm_group_quant_kernelItDB8_Li64ELi8ELi1ELb1ELb1ELb0ELb0ELb1ELb1EEEvPT0_PvPT_S6_S6_PKS5_S8_S8_S8_S8_ffiiiiiiiiiiiii
		.amdhsa_group_segment_fixed_size 0
		.amdhsa_private_segment_fixed_size 0
		.amdhsa_kernarg_size 400
		.amdhsa_user_sgpr_count 6
		.amdhsa_user_sgpr_private_segment_buffer 1
		.amdhsa_user_sgpr_dispatch_ptr 0
		.amdhsa_user_sgpr_queue_ptr 0
		.amdhsa_user_sgpr_kernarg_segment_ptr 1
		.amdhsa_user_sgpr_dispatch_id 0
		.amdhsa_user_sgpr_flat_scratch_init 0
		.amdhsa_user_sgpr_kernarg_preload_length 0
		.amdhsa_user_sgpr_kernarg_preload_offset 0
		.amdhsa_user_sgpr_private_segment_size 0
		.amdhsa_uses_dynamic_stack 0
		.amdhsa_system_sgpr_private_segment_wavefront_offset 0
		.amdhsa_system_sgpr_workgroup_id_x 1
		.amdhsa_system_sgpr_workgroup_id_y 1
		.amdhsa_system_sgpr_workgroup_id_z 0
		.amdhsa_system_sgpr_workgroup_info 0
		.amdhsa_system_vgpr_workitem_id 0
		.amdhsa_next_free_vgpr 27
		.amdhsa_next_free_sgpr 44
		.amdhsa_accum_offset 28
		.amdhsa_reserve_vcc 1
		.amdhsa_reserve_flat_scratch 0
		.amdhsa_float_round_mode_32 0
		.amdhsa_float_round_mode_16_64 0
		.amdhsa_float_denorm_mode_32 3
		.amdhsa_float_denorm_mode_16_64 3
		.amdhsa_dx10_clamp 1
		.amdhsa_ieee_mode 1
		.amdhsa_fp16_overflow 0
		.amdhsa_tg_split 0
		.amdhsa_exception_fp_ieee_invalid_op 0
		.amdhsa_exception_fp_denorm_src 0
		.amdhsa_exception_fp_ieee_div_zero 0
		.amdhsa_exception_fp_ieee_overflow 0
		.amdhsa_exception_fp_ieee_underflow 0
		.amdhsa_exception_fp_ieee_inexact 0
		.amdhsa_exception_int_div_zero 0
	.end_amdhsa_kernel
	.section	.text._ZN5aiter35fused_qk_rmsnorm_group_quant_kernelItDB8_Li64ELi8ELi1ELb1ELb1ELb0ELb0ELb1ELb1EEEvPT0_PvPT_S6_S6_PKS5_S8_S8_S8_S8_ffiiiiiiiiiiiii,"axG",@progbits,_ZN5aiter35fused_qk_rmsnorm_group_quant_kernelItDB8_Li64ELi8ELi1ELb1ELb1ELb0ELb0ELb1ELb1EEEvPT0_PvPT_S6_S6_PKS5_S8_S8_S8_S8_ffiiiiiiiiiiiii,comdat
.Lfunc_end4:
	.size	_ZN5aiter35fused_qk_rmsnorm_group_quant_kernelItDB8_Li64ELi8ELi1ELb1ELb1ELb0ELb0ELb1ELb1EEEvPT0_PvPT_S6_S6_PKS5_S8_S8_S8_S8_ffiiiiiiiiiiiii, .Lfunc_end4-_ZN5aiter35fused_qk_rmsnorm_group_quant_kernelItDB8_Li64ELi8ELi1ELb1ELb1ELb0ELb0ELb1ELb1EEEvPT0_PvPT_S6_S6_PKS5_S8_S8_S8_S8_ffiiiiiiiiiiiii
                                        ; -- End function
	.section	.AMDGPU.csdata,"",@progbits
; Kernel info:
; codeLenInByte = 3004
; NumSgprs: 48
; NumVgprs: 27
; NumAgprs: 0
; TotalNumVgprs: 27
; ScratchSize: 0
; MemoryBound: 0
; FloatMode: 240
; IeeeMode: 1
; LDSByteSize: 0 bytes/workgroup (compile time only)
; SGPRBlocks: 5
; VGPRBlocks: 3
; NumSGPRsForWavesPerEU: 48
; NumVGPRsForWavesPerEU: 27
; AccumOffset: 28
; Occupancy: 8
; WaveLimiterHint : 0
; COMPUTE_PGM_RSRC2:SCRATCH_EN: 0
; COMPUTE_PGM_RSRC2:USER_SGPR: 6
; COMPUTE_PGM_RSRC2:TRAP_HANDLER: 0
; COMPUTE_PGM_RSRC2:TGID_X_EN: 1
; COMPUTE_PGM_RSRC2:TGID_Y_EN: 1
; COMPUTE_PGM_RSRC2:TGID_Z_EN: 0
; COMPUTE_PGM_RSRC2:TIDIG_COMP_CNT: 0
; COMPUTE_PGM_RSRC3_GFX90A:ACCUM_OFFSET: 6
; COMPUTE_PGM_RSRC3_GFX90A:TG_SPLIT: 0
	.section	.text._ZN5aiter35fused_qk_rmsnorm_group_quant_kernelIDF16_DB8_Li64ELi8ELi1ELb1ELb0ELb1ELb0ELb1ELb1EEEvPT0_PvPT_S6_S6_PKS5_S8_S8_S8_S8_ffiiiiiiiiiiiii,"axG",@progbits,_ZN5aiter35fused_qk_rmsnorm_group_quant_kernelIDF16_DB8_Li64ELi8ELi1ELb1ELb0ELb1ELb0ELb1ELb1EEEvPT0_PvPT_S6_S6_PKS5_S8_S8_S8_S8_ffiiiiiiiiiiiii,comdat
	.protected	_ZN5aiter35fused_qk_rmsnorm_group_quant_kernelIDF16_DB8_Li64ELi8ELi1ELb1ELb0ELb1ELb0ELb1ELb1EEEvPT0_PvPT_S6_S6_PKS5_S8_S8_S8_S8_ffiiiiiiiiiiiii ; -- Begin function _ZN5aiter35fused_qk_rmsnorm_group_quant_kernelIDF16_DB8_Li64ELi8ELi1ELb1ELb0ELb1ELb0ELb1ELb1EEEvPT0_PvPT_S6_S6_PKS5_S8_S8_S8_S8_ffiiiiiiiiiiiii
	.globl	_ZN5aiter35fused_qk_rmsnorm_group_quant_kernelIDF16_DB8_Li64ELi8ELi1ELb1ELb0ELb1ELb0ELb1ELb1EEEvPT0_PvPT_S6_S6_PKS5_S8_S8_S8_S8_ffiiiiiiiiiiiii
	.p2align	8
	.type	_ZN5aiter35fused_qk_rmsnorm_group_quant_kernelIDF16_DB8_Li64ELi8ELi1ELb1ELb0ELb1ELb0ELb1ELb1EEEvPT0_PvPT_S6_S6_PKS5_S8_S8_S8_S8_ffiiiiiiiiiiiii,@function
_ZN5aiter35fused_qk_rmsnorm_group_quant_kernelIDF16_DB8_Li64ELi8ELi1ELb1ELb0ELb1ELb0ELb1ELb1EEEvPT0_PvPT_S6_S6_PKS5_S8_S8_S8_S8_ffiiiiiiiiiiiii: ; @_ZN5aiter35fused_qk_rmsnorm_group_quant_kernelIDF16_DB8_Li64ELi8ELi1ELb1ELb0ELb1ELb0ELb1ELb1EEEvPT0_PvPT_S6_S6_PKS5_S8_S8_S8_S8_ffiiiiiiiiiiiii
; %bb.0:
	s_load_dwordx8 s[8:15], s[4:5], 0x50
	s_waitcnt lgkmcnt(0)
	s_cmp_ge_i32 s6, s10
	s_cbranch_scc1 .LBB5_15
; %bb.1:
	s_cmp_lg_u32 s7, 0
	s_cselect_b64 s[18:19], -1, 0
	s_cmp_eq_u32 s7, 0
	s_cselect_b64 s[20:21], -1, 0
	s_and_b64 s[0:1], s[20:21], exec
	s_load_dwordx2 s[2:3], s[4:5], 0x70
	s_load_dwordx2 s[16:17], s[4:5], 0x48
	;; [unrolled: 1-line block ×3, first 2 shown]
	s_cselect_b32 s7, s11, s12
	s_add_i32 s0, s7, 1
	s_lshr_b32 s1, s0, 31
	s_add_i32 s0, s0, s1
	s_lshl_b32 s0, s0, 1
	v_lshlrev_b32_e32 v1, 3, v0
	s_and_b32 s22, s0, -4
	v_cmp_gt_i32_e64 s[0:1], s7, v1
	v_mov_b32_e32 v20, 0
	v_mov_b32_e32 v21, 0
	;; [unrolled: 1-line block ×8, first 2 shown]
	s_and_saveexec_b64 s[24:25], s[0:1]
	s_cbranch_execz .LBB5_3
; %bb.2:
	s_load_dwordx2 s[28:29], s[4:5], 0x28
	s_load_dwordx2 s[30:31], s[4:5], 0x40
	s_and_b64 s[34:35], s[20:21], exec
	s_cselect_b32 s10, s13, s14
	v_lshlrev_b32_e32 v2, 4, v0
	s_waitcnt lgkmcnt(0)
	s_cselect_b32 s13, s29, s27
	s_cselect_b32 s23, s28, s26
	s_mul_hi_i32 s29, s10, s6
	s_mul_i32 s28, s10, s6
	s_lshl_b64 s[28:29], s[28:29], 1
	s_add_u32 s28, s23, s28
	s_addc_u32 s10, s13, s29
	s_and_b64 s[20:21], s[20:21], exec
	s_mov_b32 s23, 0x20000
	s_cselect_b32 s20, s30, s16
	s_cselect_b32 s13, s31, s17
	s_and_b32 s29, s10, 0xffff
	s_mov_b32 s30, s22
	s_mov_b32 s31, s23
	s_and_b32 s21, s13, 0xffff
	buffer_load_dwordx4 v[24:27], v2, s[28:31], 0 offen glc slc
	buffer_load_dwordx4 v[20:23], v2, s[20:23], 0 offen
.LBB5_3:
	s_or_b64 exec, exec, s[24:25]
	s_load_dwordx2 s[24:25], s[4:5], 0x80
	s_and_b64 vcc, exec, s[18:19]
	s_cbranch_vccz .LBB5_7
; %bb.4:
	v_mov_b32_e32 v29, 0
	v_mov_b32_e32 v28, 0
	;; [unrolled: 1-line block ×8, first 2 shown]
	s_and_saveexec_b64 s[20:21], s[0:1]
	s_cbranch_execz .LBB5_6
; %bb.5:
	s_waitcnt vmcnt(1)
	v_cvt_f32_f16_sdwa v11, v24 dst_sel:DWORD dst_unused:UNUSED_PAD src0_sel:WORD_1
	v_cvt_f32_f16_e32 v10, v24
	v_cvt_f32_f16_sdwa v15, v25 dst_sel:DWORD dst_unused:UNUSED_PAD src0_sel:WORD_1
	v_cvt_f32_f16_e32 v14, v25
	;; [unrolled: 2-line block ×4, first 2 shown]
.LBB5_6:
	s_or_b64 exec, exec, s[20:21]
	s_mov_b32 s10, s9
	s_cbranch_execz .LBB5_8
	s_branch .LBB5_11
.LBB5_7:
                                        ; implicit-def: $vgpr10_vgpr11_vgpr12_vgpr13_vgpr14_vgpr15_vgpr16_vgpr17
                                        ; implicit-def: $vgpr29
                                        ; implicit-def: $vgpr12_vgpr13_vgpr14_vgpr15_vgpr16_vgpr17_vgpr18_vgpr19
                                        ; implicit-def: $vgpr2_vgpr3_vgpr4_vgpr5_vgpr6_vgpr7_vgpr8_vgpr9
	s_mov_b32 s10, s9
.LBB5_8:
	v_mov_b32_e32 v29, 0
	v_mov_b32_e32 v28, 0
	;; [unrolled: 1-line block ×8, first 2 shown]
	s_and_saveexec_b64 s[28:29], s[0:1]
	s_cbranch_execz .LBB5_10
; %bb.9:
	s_load_dwordx2 s[20:21], s[4:5], 0x38
	s_mul_hi_i32 s31, s15, s6
	s_mul_i32 s30, s15, s6
	s_lshl_b64 s[30:31], s[30:31], 1
	s_mov_b32 s23, 0x20000
	s_waitcnt lgkmcnt(0)
	s_add_u32 s20, s20, s30
	s_addc_u32 s10, s21, s31
	s_and_b32 s21, s10, 0xffff
	v_lshlrev_b32_e32 v30, 4, v0
	buffer_load_dwordx4 v[2:5], v30, s[20:23], 0 offen glc slc
	s_waitcnt vmcnt(2)
	v_cvt_f32_f16_sdwa v7, v24 dst_sel:DWORD dst_unused:UNUSED_PAD src0_sel:WORD_1
	v_cvt_f32_f16_e32 v6, v24
	v_cvt_f32_f16_sdwa v9, v25 dst_sel:DWORD dst_unused:UNUSED_PAD src0_sel:WORD_1
	v_cvt_f32_f16_e32 v8, v25
	;; [unrolled: 2-line block ×4, first 2 shown]
	s_load_dwordx2 s[20:21], s[4:5], 0x20
	s_mul_hi_i32 s31, s25, s6
	s_mul_i32 s30, s25, s6
	s_lshl_b64 s[30:31], s[30:31], 1
	s_waitcnt lgkmcnt(0)
	s_add_u32 s20, s20, s30
	s_addc_u32 s10, s21, s31
	s_and_b32 s21, s10, 0xffff
	s_waitcnt vmcnt(0)
	v_cvt_f32_f16_e32 v10, v2
	v_cvt_f32_f16_sdwa v11, v2 dst_sel:DWORD dst_unused:UNUSED_PAD src0_sel:WORD_1
	v_cvt_f32_f16_e32 v2, v3
	v_cvt_f32_f16_sdwa v3, v3 dst_sel:DWORD dst_unused:UNUSED_PAD src0_sel:WORD_1
	;; [unrolled: 2-line block ×4, first 2 shown]
	v_pk_add_f32 v[10:11], v[6:7], v[10:11]
	v_pk_add_f32 v[14:15], v[8:9], v[2:3]
	;; [unrolled: 1-line block ×4, first 2 shown]
	v_cvt_f16_f32_e32 v2, v11
	v_cvt_f16_f32_e32 v3, v15
	;; [unrolled: 1-line block ×8, first 2 shown]
	v_pack_b32_f16 v5, v8, v5
	v_pack_b32_f16 v4, v9, v4
	;; [unrolled: 1-line block ×4, first 2 shown]
	buffer_store_dwordx4 v[2:5], v30, s[20:23], 0 offen glc slc
	;;#ASMSTART
	s_nop 0
	;;#ASMEND
.LBB5_10:
	s_or_b64 exec, exec, s[28:29]
	s_mov_b32 s10, s8
.LBB5_11:
	v_mul_f32_e32 v2, v11, v11
	v_fmac_f32_e32 v2, v10, v10
	v_fmac_f32_e32 v2, v14, v14
	;; [unrolled: 1-line block ×7, first 2 shown]
	v_bfrev_b32_e32 v4, 0.5
	s_load_dwordx2 s[28:29], s[4:5], 0x18
	v_mov_b32_dpp v3, v2 quad_perm:[1,0,3,2] row_mask:0xf bank_mask:0xf
	v_add_f32_e32 v2, v2, v3
	s_nop 1
	v_mov_b32_dpp v3, v2 quad_perm:[2,3,0,1] row_mask:0xf bank_mask:0xf
	v_add_f32_e32 v2, v2, v3
	s_nop 1
	v_mov_b32_dpp v3, v2 row_half_mirror row_mask:0xf bank_mask:0xf
	v_add_f32_e32 v2, v2, v3
	s_nop 1
	v_mov_b32_dpp v3, v2 row_mirror row_mask:0xf bank_mask:0xf
	v_add_f32_e32 v2, v2, v3
	s_nop 1
	v_mov_b32_dpp v3, v2 row_bcast:15 row_mask:0xf bank_mask:0xf
	v_add_f32_e32 v2, v2, v3
	s_nop 1
	v_mov_b32_dpp v3, v2 row_bcast:31 row_mask:0xf bank_mask:0xf
	v_add_f32_e32 v2, v2, v3
	v_mbcnt_lo_u32_b32 v3, -1, 0
	v_mbcnt_hi_u32_b32 v3, -1, v3
	v_lshl_or_b32 v16, v3, 2, v4
	ds_bpermute_b32 v2, v16, v2
	s_and_saveexec_b64 s[20:21], s[0:1]
	s_cbranch_execnz .LBB5_16
; %bb.12:
	s_or_b64 exec, exec, s[20:21]
	s_mov_b64 s[20:21], -1
	s_and_b64 vcc, exec, s[18:19]
	s_cbranch_vccnz .LBB5_17
.LBB5_13:
	s_andn2_b64 vcc, exec, s[20:21]
	s_cbranch_vccz .LBB5_20
.LBB5_14:
	s_cmp_lt_i32 s12, 1
	s_cbranch_scc0 .LBB5_27
.LBB5_15:
	s_endpgm
.LBB5_16:
	v_cvt_f32_u32_e32 v3, s7
	s_mov_b32 s7, 0x800000
	s_waitcnt vmcnt(0)
	v_cvt_f32_f16_sdwa v19, v23 dst_sel:DWORD dst_unused:UNUSED_PAD src0_sel:WORD_1
	v_cvt_f32_f16_e32 v18, v23
	s_waitcnt lgkmcnt(0)
	v_div_scale_f32 v4, s[30:31], v3, v3, v2
	v_rcp_f32_e32 v5, v4
	v_div_scale_f32 v8, vcc, v2, v3, v2
	v_fma_f32 v9, -v4, v5, 1.0
	v_fmac_f32_e32 v5, v9, v5
	v_mul_f32_e32 v9, v8, v5
	v_fma_f32 v12, -v4, v9, v8
	v_fmac_f32_e32 v9, v12, v5
	v_fma_f32 v4, -v4, v9, v8
	v_div_fmas_f32 v4, v4, v5, v9
	v_div_fixup_f32 v2, v4, v3, v2
	v_add_f32_e32 v2, s10, v2
	v_mul_f32_e32 v3, 0x4b800000, v2
	v_cmp_gt_f32_e32 vcc, s7, v2
	v_cndmask_b32_e32 v2, v2, v3, vcc
	v_rsq_f32_e32 v2, v2
	v_cvt_f32_f16_sdwa v3, v20 dst_sel:DWORD dst_unused:UNUSED_PAD src0_sel:WORD_1
	v_mul_f32_e32 v4, 0x45800000, v2
	v_cndmask_b32_e32 v4, v2, v4, vcc
	v_cvt_f32_f16_e32 v2, v20
	v_mov_b32_e32 v5, v4
	;;#ASMSTART
	v_pk_mul_f32 v[8:9], v[10:11], v[4:5]
	;;#ASMEND
	;;#ASMSTART
	v_pk_mul_f32 v[12:13], v[14:15], v[4:5]
	;;#ASMEND
	v_cvt_f32_f16_sdwa v15, v21 dst_sel:DWORD dst_unused:UNUSED_PAD src0_sel:WORD_1
	v_cvt_f32_f16_e32 v14, v21
	;;#ASMSTART
	v_pk_mul_f32 v[6:7], v[6:7], v[4:5]
	;;#ASMEND
	;;#ASMSTART
	v_pk_mul_f32 v[4:5], v[28:29], v[4:5]
	;;#ASMEND
	v_pk_add_f32 v[2:3], v[2:3], 1.0 op_sel_hi:[1,0]
	;;#ASMSTART
	v_pk_mul_f32 v[10:11], v[8:9], v[2:3]
	;;#ASMEND
	v_cvt_f32_f16_sdwa v9, v22 dst_sel:DWORD dst_unused:UNUSED_PAD src0_sel:WORD_1
	v_cvt_f32_f16_e32 v8, v22
	v_pk_add_f32 v[2:3], v[14:15], 1.0 op_sel_hi:[1,0]
	;;#ASMSTART
	v_pk_mul_f32 v[14:15], v[12:13], v[2:3]
	;;#ASMEND
	v_pk_add_f32 v[2:3], v[8:9], 1.0 op_sel_hi:[1,0]
	;;#ASMSTART
	v_pk_mul_f32 v[6:7], v[6:7], v[2:3]
	;;#ASMEND
	;; [unrolled: 4-line block ×3, first 2 shown]
	s_or_b64 exec, exec, s[20:21]
	s_mov_b64 s[20:21], -1
	s_and_b64 vcc, exec, s[18:19]
	s_cbranch_vccz .LBB5_13
.LBB5_17:
	s_and_saveexec_b64 s[18:19], s[0:1]
	s_cbranch_execz .LBB5_19
; %bb.18:
	s_waitcnt lgkmcnt(0)
	s_mul_hi_i32 s21, s24, s6
	s_mul_i32 s20, s24, s6
	v_cvt_f16_f32_e32 v2, v10
	v_cvt_f16_f32_e32 v3, v14
	;; [unrolled: 1-line block ×8, first 2 shown]
	s_lshl_b64 s[20:21], s[20:21], 1
	s_add_u32 s20, s28, s20
	s_addc_u32 s7, s29, s21
	s_and_b32 s21, s7, 0xffff
	s_mov_b32 s23, 0x20000
	v_pack_b32_f16 v5, v5, v8
	v_pack_b32_f16 v4, v4, v9
	;; [unrolled: 1-line block ×4, first 2 shown]
	v_lshlrev_b32_e32 v8, 4, v0
	buffer_store_dwordx4 v[2:5], v8, s[20:23], 0 offen
	;;#ASMSTART
	s_nop 0
	;;#ASMEND
.LBB5_19:
	s_or_b64 exec, exec, s[18:19]
	s_cbranch_execnz .LBB5_14
.LBB5_20:
	s_waitcnt lgkmcnt(0)
	v_mov_b32_e32 v2, 0
	s_and_saveexec_b64 s[18:19], s[0:1]
	s_cbranch_execz .LBB5_22
; %bb.21:
	v_and_b32_e32 v2, 0x7fffffff, v10
	v_and_b32_e32 v3, 0x7fffffff, v11
	v_mov_b32_e32 v4, 0x2edbe6ff
	;;#ASMSTART
	v_max3_f32 v2, v4, v2, v3

	;;#ASMEND
	v_and_b32_e32 v3, 0x7fffffff, v14
	v_and_b32_e32 v4, 0x7fffffff, v15
	;;#ASMSTART
	v_max3_f32 v2, v2, v3, v4

	;;#ASMEND
	v_and_b32_e32 v3, 0x7fffffff, v6
	v_and_b32_e32 v4, 0x7fffffff, v7
	;; [unrolled: 6-line block ×3, first 2 shown]
	;;#ASMSTART
	v_max3_f32 v2, v2, v3, v4

	;;#ASMEND
.LBB5_22:
	s_or_b64 exec, exec, s[18:19]
	s_nop 0
	v_mov_b32_dpp v3, v2 quad_perm:[1,0,3,2] row_mask:0xf bank_mask:0xf
	v_cmp_gt_f32_e32 vcc, v2, v3
	v_cndmask_b32_e32 v2, v3, v2, vcc
	s_nop 1
	v_mov_b32_dpp v3, v2 quad_perm:[2,3,0,1] row_mask:0xf bank_mask:0xf
	v_cmp_gt_f32_e32 vcc, v2, v3
	v_cndmask_b32_e32 v2, v3, v2, vcc
	s_nop 1
	v_mov_b32_dpp v3, v2 row_half_mirror row_mask:0xf bank_mask:0xf
	v_cmp_gt_f32_e32 vcc, v2, v3
	v_cndmask_b32_e32 v2, v3, v2, vcc
	s_nop 1
	v_mov_b32_dpp v3, v2 row_mirror row_mask:0xf bank_mask:0xf
	v_cmp_gt_f32_e32 vcc, v2, v3
	v_cndmask_b32_e32 v2, v3, v2, vcc
	s_nop 1
	v_mov_b32_dpp v3, v2 row_bcast:15 row_mask:0xf bank_mask:0xf
	v_cmp_gt_f32_e32 vcc, v2, v3
	v_cndmask_b32_e32 v2, v3, v2, vcc
	s_nop 1
	v_mov_b32_dpp v3, v2 row_bcast:31 row_mask:0xf bank_mask:0xf
	v_cmp_gt_f32_e32 vcc, v2, v3
	v_cndmask_b32_e32 v2, v3, v2, vcc
	ds_bpermute_b32 v2, v16, v2
	v_cmp_eq_u32_e32 vcc, 0, v0
	s_waitcnt lgkmcnt(0)
	v_mul_f32_e32 v2, 0x3b124925, v2
	s_and_saveexec_b64 s[18:19], vcc
	s_cbranch_execz .LBB5_24
; %bb.23:
	s_load_dwordx2 s[20:21], s[4:5], 0x8
	s_mul_hi_i32 s23, s3, s6
	s_mul_i32 s22, s3, s6
	s_lshl_b64 s[22:23], s[22:23], 2
	v_mov_b32_e32 v3, 0
	s_waitcnt lgkmcnt(0)
	s_add_u32 s20, s20, s22
	s_addc_u32 s21, s21, s23
	global_store_dword v3, v2, s[20:21]
.LBB5_24:
	s_or_b64 exec, exec, s[18:19]
	;;#ASMSTART
	v_rcp_f32 v2, v2
	;;#ASMEND
	s_and_saveexec_b64 s[18:19], s[0:1]
	s_cbranch_execz .LBB5_26
; %bb.25:
	v_mov_b32_e32 v3, v2
	;;#ASMSTART
	v_pk_mul_f32 v[4:5], v[10:11], v[2:3]
	;;#ASMEND
	s_load_dwordx2 s[0:1], s[4:5], 0x0
	v_mov_b32_e32 v8, 0xc3e00000
	v_mov_b32_e32 v9, 0x43e00000
	;;#ASMSTART
	v_med3_f32 v4, v4, v8, v9
v_med3_f32 v5, v5, v8, v9
v_cvt_pk_fp8_f32 v10, v4, v5
	;;#ASMEND
	;;#ASMSTART
	v_pk_mul_f32 v[4:5], v[14:15], v[2:3]
	;;#ASMEND
	;;#ASMSTART
	v_med3_f32 v4, v4, v8, v9
v_med3_f32 v5, v5, v8, v9
v_cvt_pk_fp8_f32 v11, v4, v5
	;;#ASMEND
	s_mov_b32 s8, 0x5040100
	v_perm_b32 v5, v11, v10, s8
	s_movk_i32 s8, 0xff
	s_mul_hi_i32 s3, s2, s6
	s_mul_i32 s2, s2, s6
	v_and_b32_e32 v4, 0xffffff00, v11
	v_and_b32_sdwa v10, v5, s8 dst_sel:DWORD dst_unused:UNUSED_PAD src0_sel:WORD_1 src1_sel:DWORD
	s_mov_b32 s7, 0xffff
	s_waitcnt lgkmcnt(0)
	s_add_u32 s0, s0, s2
	v_or_b32_sdwa v4, v10, v4 dst_sel:WORD_1 dst_unused:UNUSED_PAD src0_sel:DWORD src1_sel:DWORD
	s_addc_u32 s1, s1, s3
	s_add_i32 s2, s11, 3
	v_and_or_b32 v4, v5, s7, v4
	;;#ASMSTART
	v_pk_mul_f32 v[6:7], v[6:7], v[2:3]
	;;#ASMEND
	v_mov_b32_e32 v5, v7
	s_ashr_i32 s3, s2, 31
	;;#ASMSTART
	v_med3_f32 v6, v6, v8, v9
v_med3_f32 v5, v5, v8, v9
v_cvt_pk_fp8_f32 v7, v6, v5
	;;#ASMEND
	;;#ASMSTART
	v_pk_mul_f32 v[2:3], v[28:29], v[2:3]
	;;#ASMEND
	s_lshr_b32 s3, s3, 30
	;;#ASMSTART
	v_med3_f32 v2, v2, v8, v9
v_med3_f32 v3, v3, v8, v9
v_cvt_pk_fp8_f32 v5, v2, v3
	;;#ASMEND
	s_add_i32 s2, s2, s3
	v_lshlrev_b32_e32 v2, 16, v5
	s_and_b32 s2, s2, -4
	s_and_b32 s1, s1, 0xffff
	s_mov_b32 s3, 0x20000
	v_and_or_b32 v5, v7, s7, v2
	buffer_store_dwordx2 v[4:5], v1, s[0:3], 0 offen
	;;#ASMSTART
	s_nop 0
	;;#ASMEND
.LBB5_26:
	s_or_b64 exec, exec, s[18:19]
	s_cmp_lt_i32 s12, 1
	s_cbranch_scc1 .LBB5_15
.LBB5_27:
	s_load_dword s0, s[4:5], 0x94
	s_waitcnt lgkmcnt(0)
	s_cmp_lg_u32 s0, 1
	s_cbranch_scc1 .LBB5_15
; %bb.28:
	s_lshl_b32 s0, s12, 1
	s_add_i32 s0, s0, 2
	v_cmp_gt_u32_e32 vcc, s12, v1
	s_and_b32 s18, s0, -4
	v_mov_b32_e32 v8, 0
	v_lshlrev_b32_e32 v17, 4, v0
	v_mov_b32_e32 v4, 0
	v_mov_b32_e32 v5, 0
	;; [unrolled: 1-line block ×8, first 2 shown]
	s_barrier
	s_and_saveexec_b64 s[0:1], vcc
	s_cbranch_execz .LBB5_30
; %bb.29:
	s_mul_hi_i32 s3, s14, s6
	s_mul_i32 s2, s14, s6
	s_and_b32 s17, s17, 0xffff
	s_lshl_b64 s[2:3], s[2:3], 1
	s_add_u32 s20, s26, s2
	s_mov_b32 s19, 0x20000
	s_addc_u32 s2, s27, s3
	s_and_b32 s21, s2, 0xffff
	s_mov_b32 s22, s18
	s_mov_b32 s23, s19
	buffer_load_dwordx4 v[4:7], v17, s[20:23], 0 offen glc slc
	buffer_load_dwordx4 v[0:3], v17, s[16:19], 0 offen
.LBB5_30:
	s_or_b64 exec, exec, s[0:1]
	v_mov_b32_e32 v9, 0
	v_mov_b32_e32 v12, 0
	;; [unrolled: 1-line block ×7, first 2 shown]
	s_and_saveexec_b64 s[0:1], vcc
	s_cbranch_execz .LBB5_32
; %bb.31:
	s_waitcnt vmcnt(1)
	v_cvt_f32_f16_sdwa v9, v4 dst_sel:DWORD dst_unused:UNUSED_PAD src0_sel:WORD_1
	v_cvt_f32_f16_e32 v8, v4
	v_cvt_f32_f16_sdwa v13, v5 dst_sel:DWORD dst_unused:UNUSED_PAD src0_sel:WORD_1
	v_cvt_f32_f16_e32 v12, v5
	;; [unrolled: 2-line block ×4, first 2 shown]
.LBB5_32:
	s_or_b64 exec, exec, s[0:1]
	s_waitcnt vmcnt(1)
	v_mul_f32_e32 v4, v9, v9
	v_fmac_f32_e32 v4, v8, v8
	v_fmac_f32_e32 v4, v12, v12
	;; [unrolled: 1-line block ×7, first 2 shown]
	s_nop 1
	v_mov_b32_dpp v5, v4 quad_perm:[1,0,3,2] row_mask:0xf bank_mask:0xf
	v_add_f32_e32 v4, v4, v5
	s_nop 1
	v_mov_b32_dpp v5, v4 quad_perm:[2,3,0,1] row_mask:0xf bank_mask:0xf
	v_add_f32_e32 v4, v4, v5
	s_nop 1
	v_mov_b32_dpp v5, v4 row_half_mirror row_mask:0xf bank_mask:0xf
	v_add_f32_e32 v4, v4, v5
	s_nop 1
	v_mov_b32_dpp v5, v4 row_mirror row_mask:0xf bank_mask:0xf
	v_add_f32_e32 v4, v4, v5
	s_nop 1
	v_mov_b32_dpp v5, v4 row_bcast:15 row_mask:0xf bank_mask:0xf
	v_add_f32_e32 v4, v4, v5
	s_nop 1
	v_mov_b32_dpp v5, v4 row_bcast:31 row_mask:0xf bank_mask:0xf
	v_add_f32_e32 v4, v4, v5
	ds_bpermute_b32 v4, v16, v4
	s_and_saveexec_b64 s[0:1], vcc
	s_cbranch_execz .LBB5_15
; %bb.33:
	v_cvt_f32_u32_e32 v5, s12
	s_mov_b32 s19, 0x20000
	s_waitcnt lgkmcnt(0)
	v_div_scale_f32 v6, s[0:1], v5, v5, v4
	v_rcp_f32_e32 v7, v6
	v_div_scale_f32 v16, vcc, v4, v5, v4
	s_mov_b32 s0, 0x800000
	v_fma_f32 v18, -v6, v7, 1.0
	v_fmac_f32_e32 v7, v18, v7
	v_mul_f32_e32 v18, v16, v7
	v_fma_f32 v19, -v6, v18, v16
	v_fmac_f32_e32 v18, v19, v7
	v_fma_f32 v6, -v6, v18, v16
	v_div_fmas_f32 v6, v6, v7, v18
	v_div_fixup_f32 v4, v6, v5, v4
	v_add_f32_e32 v4, s9, v4
	v_mul_f32_e32 v5, 0x4b800000, v4
	v_cmp_gt_f32_e32 vcc, s0, v4
	v_cndmask_b32_e32 v4, v4, v5, vcc
	v_rsq_f32_e32 v4, v4
	s_waitcnt vmcnt(0)
	v_cvt_f32_f16_sdwa v5, v0 dst_sel:DWORD dst_unused:UNUSED_PAD src0_sel:WORD_1
	v_cvt_f32_f16_sdwa v19, v1 dst_sel:DWORD dst_unused:UNUSED_PAD src0_sel:WORD_1
	v_cvt_f32_f16_e32 v18, v1
	v_mul_f32_e32 v6, 0x45800000, v4
	v_cndmask_b32_e32 v6, v4, v6, vcc
	v_cvt_f32_f16_e32 v4, v0
	v_mov_b32_e32 v7, v6
	;;#ASMSTART
	v_pk_mul_f32 v[8:9], v[8:9], v[6:7]
	;;#ASMEND
	;;#ASMSTART
	v_pk_mul_f32 v[12:13], v[12:13], v[6:7]
	;;#ASMEND
	v_pk_add_f32 v[4:5], v[4:5], 1.0 op_sel_hi:[1,0]
	;;#ASMSTART
	v_pk_mul_f32 v[14:15], v[14:15], v[6:7]
	;;#ASMEND
	;;#ASMSTART
	v_pk_mul_f32 v[0:1], v[10:11], v[6:7]
	;;#ASMEND
	;; [unrolled: 3-line block ×3, first 2 shown]
	v_cvt_f32_f16_sdwa v9, v2 dst_sel:DWORD dst_unused:UNUSED_PAD src0_sel:WORD_1
	v_cvt_f32_f16_e32 v8, v2
	v_cvt_f32_f16_sdwa v11, v3 dst_sel:DWORD dst_unused:UNUSED_PAD src0_sel:WORD_1
	v_cvt_f32_f16_e32 v10, v3
	v_pk_add_f32 v[6:7], v[18:19], 1.0 op_sel_hi:[1,0]
	;;#ASMSTART
	v_pk_mul_f32 v[2:3], v[12:13], v[6:7]
	;;#ASMEND
	v_pk_add_f32 v[6:7], v[8:9], 1.0 op_sel_hi:[1,0]
	;;#ASMSTART
	v_pk_mul_f32 v[6:7], v[14:15], v[6:7]
	;;#ASMEND
	;; [unrolled: 4-line block ×3, first 2 shown]
	s_mul_hi_i32 s1, s24, s6
	s_mul_i32 s0, s24, s6
	v_cvt_f16_f32_e32 v4, v4
	v_cvt_f16_f32_e32 v5, v5
	;; [unrolled: 1-line block ×8, first 2 shown]
	s_lshl_b64 s[0:1], s[0:1], 1
	s_add_u32 s16, s28, s0
	s_addc_u32 s0, s29, s1
	s_and_b32 s17, s0, 0xffff
	v_pack_b32_f16 v0, v4, v5
	v_pack_b32_f16 v1, v2, v3
	;; [unrolled: 1-line block ×4, first 2 shown]
	buffer_store_dwordx4 v[0:3], v17, s[16:19], 0 offen
	;;#ASMSTART
	s_nop 0
	;;#ASMEND
	s_endpgm
	.section	.rodata,"a",@progbits
	.p2align	6, 0x0
	.amdhsa_kernel _ZN5aiter35fused_qk_rmsnorm_group_quant_kernelIDF16_DB8_Li64ELi8ELi1ELb1ELb0ELb1ELb0ELb1ELb1EEEvPT0_PvPT_S6_S6_PKS5_S8_S8_S8_S8_ffiiiiiiiiiiiii
		.amdhsa_group_segment_fixed_size 0
		.amdhsa_private_segment_fixed_size 0
		.amdhsa_kernarg_size 400
		.amdhsa_user_sgpr_count 6
		.amdhsa_user_sgpr_private_segment_buffer 1
		.amdhsa_user_sgpr_dispatch_ptr 0
		.amdhsa_user_sgpr_queue_ptr 0
		.amdhsa_user_sgpr_kernarg_segment_ptr 1
		.amdhsa_user_sgpr_dispatch_id 0
		.amdhsa_user_sgpr_flat_scratch_init 0
		.amdhsa_user_sgpr_kernarg_preload_length 0
		.amdhsa_user_sgpr_kernarg_preload_offset 0
		.amdhsa_user_sgpr_private_segment_size 0
		.amdhsa_uses_dynamic_stack 0
		.amdhsa_system_sgpr_private_segment_wavefront_offset 0
		.amdhsa_system_sgpr_workgroup_id_x 1
		.amdhsa_system_sgpr_workgroup_id_y 1
		.amdhsa_system_sgpr_workgroup_id_z 0
		.amdhsa_system_sgpr_workgroup_info 0
		.amdhsa_system_vgpr_workitem_id 0
		.amdhsa_next_free_vgpr 31
		.amdhsa_next_free_sgpr 36
		.amdhsa_accum_offset 32
		.amdhsa_reserve_vcc 1
		.amdhsa_reserve_flat_scratch 0
		.amdhsa_float_round_mode_32 0
		.amdhsa_float_round_mode_16_64 0
		.amdhsa_float_denorm_mode_32 3
		.amdhsa_float_denorm_mode_16_64 3
		.amdhsa_dx10_clamp 1
		.amdhsa_ieee_mode 1
		.amdhsa_fp16_overflow 0
		.amdhsa_tg_split 0
		.amdhsa_exception_fp_ieee_invalid_op 0
		.amdhsa_exception_fp_denorm_src 0
		.amdhsa_exception_fp_ieee_div_zero 0
		.amdhsa_exception_fp_ieee_overflow 0
		.amdhsa_exception_fp_ieee_underflow 0
		.amdhsa_exception_fp_ieee_inexact 0
		.amdhsa_exception_int_div_zero 0
	.end_amdhsa_kernel
	.section	.text._ZN5aiter35fused_qk_rmsnorm_group_quant_kernelIDF16_DB8_Li64ELi8ELi1ELb1ELb0ELb1ELb0ELb1ELb1EEEvPT0_PvPT_S6_S6_PKS5_S8_S8_S8_S8_ffiiiiiiiiiiiii,"axG",@progbits,_ZN5aiter35fused_qk_rmsnorm_group_quant_kernelIDF16_DB8_Li64ELi8ELi1ELb1ELb0ELb1ELb0ELb1ELb1EEEvPT0_PvPT_S6_S6_PKS5_S8_S8_S8_S8_ffiiiiiiiiiiiii,comdat
.Lfunc_end5:
	.size	_ZN5aiter35fused_qk_rmsnorm_group_quant_kernelIDF16_DB8_Li64ELi8ELi1ELb1ELb0ELb1ELb0ELb1ELb1EEEvPT0_PvPT_S6_S6_PKS5_S8_S8_S8_S8_ffiiiiiiiiiiiii, .Lfunc_end5-_ZN5aiter35fused_qk_rmsnorm_group_quant_kernelIDF16_DB8_Li64ELi8ELi1ELb1ELb0ELb1ELb0ELb1ELb1EEEvPT0_PvPT_S6_S6_PKS5_S8_S8_S8_S8_ffiiiiiiiiiiiii
                                        ; -- End function
	.section	.AMDGPU.csdata,"",@progbits
; Kernel info:
; codeLenInByte = 2852
; NumSgprs: 40
; NumVgprs: 31
; NumAgprs: 0
; TotalNumVgprs: 31
; ScratchSize: 0
; MemoryBound: 0
; FloatMode: 240
; IeeeMode: 1
; LDSByteSize: 0 bytes/workgroup (compile time only)
; SGPRBlocks: 4
; VGPRBlocks: 3
; NumSGPRsForWavesPerEU: 40
; NumVGPRsForWavesPerEU: 31
; AccumOffset: 32
; Occupancy: 8
; WaveLimiterHint : 0
; COMPUTE_PGM_RSRC2:SCRATCH_EN: 0
; COMPUTE_PGM_RSRC2:USER_SGPR: 6
; COMPUTE_PGM_RSRC2:TRAP_HANDLER: 0
; COMPUTE_PGM_RSRC2:TGID_X_EN: 1
; COMPUTE_PGM_RSRC2:TGID_Y_EN: 1
; COMPUTE_PGM_RSRC2:TGID_Z_EN: 0
; COMPUTE_PGM_RSRC2:TIDIG_COMP_CNT: 0
; COMPUTE_PGM_RSRC3_GFX90A:ACCUM_OFFSET: 7
; COMPUTE_PGM_RSRC3_GFX90A:TG_SPLIT: 0
	.section	.text._ZN5aiter35fused_qk_rmsnorm_group_quant_kernelItDB8_Li64ELi8ELi1ELb1ELb0ELb1ELb0ELb1ELb1EEEvPT0_PvPT_S6_S6_PKS5_S8_S8_S8_S8_ffiiiiiiiiiiiii,"axG",@progbits,_ZN5aiter35fused_qk_rmsnorm_group_quant_kernelItDB8_Li64ELi8ELi1ELb1ELb0ELb1ELb0ELb1ELb1EEEvPT0_PvPT_S6_S6_PKS5_S8_S8_S8_S8_ffiiiiiiiiiiiii,comdat
	.protected	_ZN5aiter35fused_qk_rmsnorm_group_quant_kernelItDB8_Li64ELi8ELi1ELb1ELb0ELb1ELb0ELb1ELb1EEEvPT0_PvPT_S6_S6_PKS5_S8_S8_S8_S8_ffiiiiiiiiiiiii ; -- Begin function _ZN5aiter35fused_qk_rmsnorm_group_quant_kernelItDB8_Li64ELi8ELi1ELb1ELb0ELb1ELb0ELb1ELb1EEEvPT0_PvPT_S6_S6_PKS5_S8_S8_S8_S8_ffiiiiiiiiiiiii
	.globl	_ZN5aiter35fused_qk_rmsnorm_group_quant_kernelItDB8_Li64ELi8ELi1ELb1ELb0ELb1ELb0ELb1ELb1EEEvPT0_PvPT_S6_S6_PKS5_S8_S8_S8_S8_ffiiiiiiiiiiiii
	.p2align	8
	.type	_ZN5aiter35fused_qk_rmsnorm_group_quant_kernelItDB8_Li64ELi8ELi1ELb1ELb0ELb1ELb0ELb1ELb1EEEvPT0_PvPT_S6_S6_PKS5_S8_S8_S8_S8_ffiiiiiiiiiiiii,@function
_ZN5aiter35fused_qk_rmsnorm_group_quant_kernelItDB8_Li64ELi8ELi1ELb1ELb0ELb1ELb0ELb1ELb1EEEvPT0_PvPT_S6_S6_PKS5_S8_S8_S8_S8_ffiiiiiiiiiiiii: ; @_ZN5aiter35fused_qk_rmsnorm_group_quant_kernelItDB8_Li64ELi8ELi1ELb1ELb0ELb1ELb0ELb1ELb1EEEvPT0_PvPT_S6_S6_PKS5_S8_S8_S8_S8_ffiiiiiiiiiiiii
; %bb.0:
	s_load_dwordx8 s[8:15], s[4:5], 0x50
	s_waitcnt lgkmcnt(0)
	s_cmp_ge_i32 s6, s10
	s_cbranch_scc1 .LBB6_15
; %bb.1:
	s_cmp_lg_u32 s7, 0
	s_cselect_b64 s[18:19], -1, 0
	s_cmp_eq_u32 s7, 0
	s_cselect_b64 s[20:21], -1, 0
	s_and_b64 s[0:1], s[20:21], exec
	s_load_dwordx2 s[2:3], s[4:5], 0x70
	s_load_dwordx2 s[16:17], s[4:5], 0x48
	;; [unrolled: 1-line block ×3, first 2 shown]
	s_cselect_b32 s7, s11, s12
	s_add_i32 s0, s7, 1
	s_lshr_b32 s1, s0, 31
	s_add_i32 s0, s0, s1
	s_lshl_b32 s0, s0, 1
	v_lshlrev_b32_e32 v1, 3, v0
	s_and_b32 s22, s0, -4
	v_cmp_gt_i32_e64 s[0:1], s7, v1
	v_mov_b32_e32 v10, 0
	v_mov_b32_e32 v11, 0
	;; [unrolled: 1-line block ×8, first 2 shown]
	s_and_saveexec_b64 s[24:25], s[0:1]
	s_cbranch_execz .LBB6_3
; %bb.2:
	s_load_dwordx2 s[28:29], s[4:5], 0x28
	s_load_dwordx2 s[30:31], s[4:5], 0x40
	s_and_b64 s[34:35], s[20:21], exec
	s_cselect_b32 s10, s13, s14
	v_lshlrev_b32_e32 v2, 4, v0
	s_waitcnt lgkmcnt(0)
	s_cselect_b32 s13, s29, s27
	s_cselect_b32 s23, s28, s26
	s_mul_hi_i32 s29, s10, s6
	s_mul_i32 s28, s10, s6
	s_lshl_b64 s[28:29], s[28:29], 1
	s_add_u32 s28, s23, s28
	s_addc_u32 s10, s13, s29
	s_and_b64 s[20:21], s[20:21], exec
	s_mov_b32 s23, 0x20000
	s_cselect_b32 s20, s30, s16
	s_cselect_b32 s13, s31, s17
	s_and_b32 s29, s10, 0xffff
	s_mov_b32 s30, s22
	s_mov_b32 s31, s23
	s_and_b32 s21, s13, 0xffff
	buffer_load_dwordx4 v[14:17], v2, s[28:31], 0 offen glc slc
	buffer_load_dwordx4 v[10:13], v2, s[20:23], 0 offen
.LBB6_3:
	s_or_b64 exec, exec, s[24:25]
	s_load_dwordx2 s[24:25], s[4:5], 0x80
	s_and_b64 vcc, exec, s[18:19]
	s_cbranch_vccz .LBB6_7
; %bb.4:
	s_mov_b32 s36, 0
	s_mov_b32 s37, s36
	;; [unrolled: 1-line block ×8, first 2 shown]
	v_pk_mov_b32 v[2:3], s[36:37], s[36:37] op_sel:[0,1]
	v_pk_mov_b32 v[4:5], s[38:39], s[38:39] op_sel:[0,1]
	;; [unrolled: 1-line block ×4, first 2 shown]
	s_and_saveexec_b64 s[20:21], s[0:1]
	s_cbranch_execz .LBB6_6
; %bb.5:
	s_waitcnt vmcnt(1)
	v_cvt_f32_u32_sdwa v3, v14 dst_sel:DWORD dst_unused:UNUSED_PAD src0_sel:WORD_1
	v_cvt_f32_u32_sdwa v2, v14 dst_sel:DWORD dst_unused:UNUSED_PAD src0_sel:WORD_0
	v_cvt_f32_u32_sdwa v5, v15 dst_sel:DWORD dst_unused:UNUSED_PAD src0_sel:WORD_1
	v_cvt_f32_u32_sdwa v4, v15 dst_sel:DWORD dst_unused:UNUSED_PAD src0_sel:WORD_0
	;; [unrolled: 2-line block ×4, first 2 shown]
.LBB6_6:
	s_or_b64 exec, exec, s[20:21]
	s_mov_b32 s10, s9
	s_cbranch_execz .LBB6_8
	s_branch .LBB6_11
.LBB6_7:
                                        ; implicit-def: $vgpr2_vgpr3_vgpr4_vgpr5_vgpr6_vgpr7_vgpr8_vgpr9
	s_mov_b32 s10, s9
.LBB6_8:
	s_mov_b32 s36, 0
	s_mov_b32 s37, s36
	;; [unrolled: 1-line block ×8, first 2 shown]
	v_pk_mov_b32 v[2:3], s[36:37], s[36:37] op_sel:[0,1]
	v_pk_mov_b32 v[4:5], s[38:39], s[38:39] op_sel:[0,1]
	;; [unrolled: 1-line block ×4, first 2 shown]
	s_and_saveexec_b64 s[28:29], s[0:1]
	s_cbranch_execz .LBB6_10
; %bb.9:
	s_load_dwordx2 s[20:21], s[4:5], 0x38
	s_mul_hi_i32 s31, s15, s6
	s_mul_i32 s30, s15, s6
	s_lshl_b64 s[30:31], s[30:31], 1
	s_mov_b32 s23, 0x20000
	s_waitcnt lgkmcnt(0)
	s_add_u32 s20, s20, s30
	s_addc_u32 s10, s21, s31
	s_and_b32 s21, s10, 0xffff
	v_lshlrev_b32_e32 v26, 4, v0
	buffer_load_dwordx4 v[2:5], v26, s[20:23], 0 offen glc slc
	s_load_dwordx2 s[20:21], s[4:5], 0x20
	s_waitcnt vmcnt(2)
	v_cvt_f32_u32_sdwa v7, v14 dst_sel:DWORD dst_unused:UNUSED_PAD src0_sel:WORD_1
	v_cvt_f32_u32_sdwa v6, v14 dst_sel:DWORD dst_unused:UNUSED_PAD src0_sel:WORD_0
	v_cvt_f32_u32_sdwa v9, v15 dst_sel:DWORD dst_unused:UNUSED_PAD src0_sel:WORD_1
	v_cvt_f32_u32_sdwa v8, v15 dst_sel:DWORD dst_unused:UNUSED_PAD src0_sel:WORD_0
	;; [unrolled: 2-line block ×4, first 2 shown]
	s_mul_hi_i32 s31, s25, s6
	s_mul_i32 s30, s25, s6
	s_lshl_b64 s[30:31], s[30:31], 1
	s_waitcnt lgkmcnt(0)
	s_add_u32 s20, s20, s30
	s_mov_b32 s10, 0x7060302
	s_addc_u32 s13, s21, s31
	s_and_b32 s21, s13, 0xffff
	s_waitcnt vmcnt(0)
	v_cvt_f32_u32_sdwa v17, v2 dst_sel:DWORD dst_unused:UNUSED_PAD src0_sel:WORD_1
	v_cvt_f32_u32_sdwa v16, v2 dst_sel:DWORD dst_unused:UNUSED_PAD src0_sel:WORD_0
	v_cvt_f32_u32_sdwa v21, v3 dst_sel:DWORD dst_unused:UNUSED_PAD src0_sel:WORD_1
	v_cvt_f32_u32_sdwa v20, v3 dst_sel:DWORD dst_unused:UNUSED_PAD src0_sel:WORD_0
	;; [unrolled: 2-line block ×4, first 2 shown]
	v_pk_add_f32 v[2:3], v[6:7], v[16:17]
	v_pk_add_f32 v[4:5], v[8:9], v[20:21]
	v_pk_add_f32 v[6:7], v[14:15], v[22:23]
	v_pk_add_f32 v[8:9], v[18:19], v[24:25]
	v_perm_b32 v17, v9, v8, s10
	v_perm_b32 v16, v7, v6, s10
	;; [unrolled: 1-line block ×4, first 2 shown]
	buffer_store_dwordx4 v[14:17], v26, s[20:23], 0 offen glc slc
	;;#ASMSTART
	s_nop 0
	;;#ASMEND
.LBB6_10:
	s_or_b64 exec, exec, s[28:29]
	s_mov_b32 s10, s8
.LBB6_11:
	s_waitcnt vmcnt(1)
	v_mul_f32_e32 v14, v3, v3
	v_fmac_f32_e32 v14, v2, v2
	v_fmac_f32_e32 v14, v4, v4
	;; [unrolled: 1-line block ×7, first 2 shown]
	v_bfrev_b32_e32 v16, 0.5
	s_load_dwordx2 s[28:29], s[4:5], 0x18
	v_mov_b32_dpp v15, v14 quad_perm:[1,0,3,2] row_mask:0xf bank_mask:0xf
	v_add_f32_e32 v14, v14, v15
	s_nop 1
	v_mov_b32_dpp v15, v14 quad_perm:[2,3,0,1] row_mask:0xf bank_mask:0xf
	v_add_f32_e32 v14, v14, v15
	s_nop 1
	v_mov_b32_dpp v15, v14 row_half_mirror row_mask:0xf bank_mask:0xf
	v_add_f32_e32 v14, v14, v15
	s_nop 1
	v_mov_b32_dpp v15, v14 row_mirror row_mask:0xf bank_mask:0xf
	v_add_f32_e32 v14, v14, v15
	s_nop 1
	v_mov_b32_dpp v15, v14 row_bcast:15 row_mask:0xf bank_mask:0xf
	v_add_f32_e32 v14, v14, v15
	s_nop 1
	v_mov_b32_dpp v15, v14 row_bcast:31 row_mask:0xf bank_mask:0xf
	v_add_f32_e32 v15, v14, v15
	v_mbcnt_lo_u32_b32 v14, -1, 0
	v_mbcnt_hi_u32_b32 v14, -1, v14
	v_lshl_or_b32 v14, v14, 2, v16
	ds_bpermute_b32 v15, v14, v15
	s_and_saveexec_b64 s[20:21], s[0:1]
	s_cbranch_execnz .LBB6_16
; %bb.12:
	s_or_b64 exec, exec, s[20:21]
	s_mov_b64 s[20:21], -1
	s_and_b64 vcc, exec, s[18:19]
	s_cbranch_vccnz .LBB6_17
.LBB6_13:
	s_andn2_b64 vcc, exec, s[20:21]
	s_cbranch_vccz .LBB6_20
.LBB6_14:
	s_cmp_lt_i32 s12, 1
	s_cbranch_scc0 .LBB6_27
.LBB6_15:
	s_endpgm
.LBB6_16:
	v_cvt_f32_u32_e32 v16, s7
	s_mov_b32 s7, 0x800000
	s_waitcnt lgkmcnt(0)
	v_div_scale_f32 v17, s[30:31], v16, v16, v15
	v_rcp_f32_e32 v18, v17
	v_div_scale_f32 v19, vcc, v15, v16, v15
	v_fma_f32 v20, -v17, v18, 1.0
	v_fmac_f32_e32 v18, v20, v18
	v_mul_f32_e32 v20, v19, v18
	v_fma_f32 v21, -v17, v20, v19
	v_fmac_f32_e32 v20, v21, v18
	v_fma_f32 v17, -v17, v20, v19
	v_div_fmas_f32 v17, v17, v18, v20
	v_div_fixup_f32 v15, v17, v16, v15
	v_add_f32_e32 v15, s10, v15
	v_mul_f32_e32 v16, 0x4b800000, v15
	v_cmp_gt_f32_e32 vcc, s7, v15
	v_cndmask_b32_e32 v15, v15, v16, vcc
	v_rsq_f32_e32 v15, v15
	s_waitcnt vmcnt(0)
	v_cvt_f32_u32_sdwa v17, v10 dst_sel:DWORD dst_unused:UNUSED_PAD src0_sel:WORD_1
	v_cvt_f32_u32_sdwa v21, v11 dst_sel:DWORD dst_unused:UNUSED_PAD src0_sel:WORD_1
	v_cvt_f32_u32_sdwa v20, v11 dst_sel:DWORD dst_unused:UNUSED_PAD src0_sel:WORD_0
	v_mul_f32_e32 v16, 0x45800000, v15
	v_cndmask_b32_e32 v18, v15, v16, vcc
	v_cvt_f32_u32_sdwa v16, v10 dst_sel:DWORD dst_unused:UNUSED_PAD src0_sel:WORD_0
	v_mov_b32_e32 v19, v18
	;;#ASMSTART
	v_pk_mul_f32 v[2:3], v[2:3], v[18:19]
	;;#ASMEND
	;;#ASMSTART
	v_pk_mul_f32 v[4:5], v[4:5], v[18:19]
	;;#ASMEND
	v_pk_add_f32 v[10:11], v[16:17], 1.0 op_sel_hi:[1,0]
	v_cvt_f32_u32_sdwa v17, v12 dst_sel:DWORD dst_unused:UNUSED_PAD src0_sel:WORD_1
	v_cvt_f32_u32_sdwa v16, v12 dst_sel:DWORD dst_unused:UNUSED_PAD src0_sel:WORD_0
	;;#ASMSTART
	v_pk_mul_f32 v[6:7], v[6:7], v[18:19]
	;;#ASMEND
	;;#ASMSTART
	v_pk_mul_f32 v[8:9], v[8:9], v[18:19]
	;;#ASMEND
	v_cvt_f32_u32_sdwa v19, v13 dst_sel:DWORD dst_unused:UNUSED_PAD src0_sel:WORD_1
	v_cvt_f32_u32_sdwa v18, v13 dst_sel:DWORD dst_unused:UNUSED_PAD src0_sel:WORD_0
	;;#ASMSTART
	v_pk_mul_f32 v[2:3], v[2:3], v[10:11]
	;;#ASMEND
	v_pk_add_f32 v[10:11], v[20:21], 1.0 op_sel_hi:[1,0]
	;;#ASMSTART
	v_pk_mul_f32 v[4:5], v[4:5], v[10:11]
	;;#ASMEND
	v_pk_add_f32 v[10:11], v[16:17], 1.0 op_sel_hi:[1,0]
	;; [unrolled: 4-line block ×3, first 2 shown]
	;;#ASMSTART
	v_pk_mul_f32 v[8:9], v[8:9], v[10:11]
	;;#ASMEND
	s_or_b64 exec, exec, s[20:21]
	s_mov_b64 s[20:21], -1
	s_and_b64 vcc, exec, s[18:19]
	s_cbranch_vccz .LBB6_13
.LBB6_17:
	s_and_saveexec_b64 s[18:19], s[0:1]
	s_cbranch_execz .LBB6_19
; %bb.18:
	s_waitcnt lgkmcnt(0)
	s_mul_hi_i32 s21, s24, s6
	s_mul_i32 s20, s24, s6
	s_lshl_b64 s[20:21], s[20:21], 1
	s_add_u32 s20, s28, s20
	s_addc_u32 s7, s29, s21
	s_and_b32 s21, s7, 0xffff
	s_mov_b32 s7, 0x7060302
	s_mov_b32 s23, 0x20000
	s_waitcnt vmcnt(0)
	v_perm_b32 v10, v3, v2, s7
	v_perm_b32 v11, v5, v4, s7
	;; [unrolled: 1-line block ×4, first 2 shown]
	v_lshlrev_b32_e32 v15, 4, v0
	buffer_store_dwordx4 v[10:13], v15, s[20:23], 0 offen
	;;#ASMSTART
	s_nop 0
	;;#ASMEND
.LBB6_19:
	s_or_b64 exec, exec, s[18:19]
	s_cbranch_execnz .LBB6_14
.LBB6_20:
	s_waitcnt vmcnt(0)
	v_mov_b32_e32 v10, 0
	s_and_saveexec_b64 s[18:19], s[0:1]
	s_cbranch_execz .LBB6_22
; %bb.21:
	v_and_b32_e32 v10, 0x7fffffff, v2
	v_and_b32_e32 v11, 0x7fffffff, v3
	v_mov_b32_e32 v12, 0x2edbe6ff
	;;#ASMSTART
	v_max3_f32 v10, v12, v10, v11

	;;#ASMEND
	v_and_b32_e32 v11, 0x7fffffff, v4
	v_and_b32_e32 v12, 0x7fffffff, v5
	;;#ASMSTART
	v_max3_f32 v10, v10, v11, v12

	;;#ASMEND
	v_and_b32_e32 v11, 0x7fffffff, v6
	v_and_b32_e32 v12, 0x7fffffff, v7
	;; [unrolled: 6-line block ×3, first 2 shown]
	;;#ASMSTART
	v_max3_f32 v10, v10, v11, v12

	;;#ASMEND
.LBB6_22:
	s_or_b64 exec, exec, s[18:19]
	s_nop 0
	v_mov_b32_dpp v11, v10 quad_perm:[1,0,3,2] row_mask:0xf bank_mask:0xf
	v_cmp_gt_f32_e32 vcc, v10, v11
	v_cndmask_b32_e32 v10, v11, v10, vcc
	s_nop 1
	v_mov_b32_dpp v11, v10 quad_perm:[2,3,0,1] row_mask:0xf bank_mask:0xf
	v_cmp_gt_f32_e32 vcc, v10, v11
	v_cndmask_b32_e32 v10, v11, v10, vcc
	s_nop 1
	v_mov_b32_dpp v11, v10 row_half_mirror row_mask:0xf bank_mask:0xf
	v_cmp_gt_f32_e32 vcc, v10, v11
	v_cndmask_b32_e32 v10, v11, v10, vcc
	s_nop 1
	v_mov_b32_dpp v11, v10 row_mirror row_mask:0xf bank_mask:0xf
	v_cmp_gt_f32_e32 vcc, v10, v11
	v_cndmask_b32_e32 v10, v11, v10, vcc
	s_nop 1
	v_mov_b32_dpp v11, v10 row_bcast:15 row_mask:0xf bank_mask:0xf
	v_cmp_gt_f32_e32 vcc, v10, v11
	v_cndmask_b32_e32 v10, v11, v10, vcc
	s_nop 1
	v_mov_b32_dpp v11, v10 row_bcast:31 row_mask:0xf bank_mask:0xf
	v_cmp_gt_f32_e32 vcc, v10, v11
	v_cndmask_b32_e32 v10, v11, v10, vcc
	ds_bpermute_b32 v10, v14, v10
	v_cmp_eq_u32_e32 vcc, 0, v0
	s_waitcnt lgkmcnt(0)
	v_mul_f32_e32 v10, 0x3b124925, v10
	s_and_saveexec_b64 s[18:19], vcc
	s_cbranch_execz .LBB6_24
; %bb.23:
	s_load_dwordx2 s[20:21], s[4:5], 0x8
	s_mul_hi_i32 s23, s3, s6
	s_mul_i32 s22, s3, s6
	s_lshl_b64 s[22:23], s[22:23], 2
	v_mov_b32_e32 v11, 0
	s_waitcnt lgkmcnt(0)
	s_add_u32 s20, s20, s22
	s_addc_u32 s21, s21, s23
	global_store_dword v11, v10, s[20:21]
.LBB6_24:
	s_or_b64 exec, exec, s[18:19]
	;;#ASMSTART
	v_rcp_f32 v10, v10
	;;#ASMEND
	s_and_saveexec_b64 s[18:19], s[0:1]
	s_cbranch_execz .LBB6_26
; %bb.25:
	v_mov_b32_e32 v11, v10
	;;#ASMSTART
	v_pk_mul_f32 v[2:3], v[2:3], v[10:11]
	;;#ASMEND
	v_mov_b32_e32 v12, 0xc3e00000
	v_mov_b32_e32 v13, 0x43e00000
	;;#ASMSTART
	v_med3_f32 v2, v2, v12, v13
v_med3_f32 v3, v3, v12, v13
v_cvt_pk_fp8_f32 v15, v2, v3
	;;#ASMEND
	s_load_dwordx2 s[0:1], s[4:5], 0x0
	;;#ASMSTART
	v_pk_mul_f32 v[2:3], v[4:5], v[10:11]
	;;#ASMEND
	;;#ASMSTART
	v_med3_f32 v2, v2, v12, v13
v_med3_f32 v3, v3, v12, v13
v_cvt_pk_fp8_f32 v4, v2, v3
	;;#ASMEND
	s_mov_b32 s8, 0x5040100
	v_perm_b32 v3, v4, v15, s8
	s_movk_i32 s8, 0xff
	v_and_b32_e32 v2, 0xffffff00, v4
	v_and_b32_sdwa v4, v3, s8 dst_sel:DWORD dst_unused:UNUSED_PAD src0_sel:WORD_1 src1_sel:DWORD
	s_mul_hi_i32 s3, s2, s6
	s_mul_i32 s2, s2, s6
	s_mov_b32 s7, 0xffff
	v_or_b32_sdwa v2, v4, v2 dst_sel:WORD_1 dst_unused:UNUSED_PAD src0_sel:DWORD src1_sel:DWORD
	s_waitcnt lgkmcnt(0)
	s_add_u32 s0, s0, s2
	v_and_or_b32 v2, v3, s7, v2
	;;#ASMSTART
	v_pk_mul_f32 v[4:5], v[6:7], v[10:11]
	;;#ASMEND
	v_mov_b32_e32 v3, v5
	s_addc_u32 s1, s1, s3
	s_add_i32 s2, s11, 3
	;;#ASMSTART
	v_med3_f32 v4, v4, v12, v13
v_med3_f32 v3, v3, v12, v13
v_cvt_pk_fp8_f32 v6, v4, v3
	;;#ASMEND
	s_ashr_i32 s3, s2, 31
	;;#ASMSTART
	v_pk_mul_f32 v[4:5], v[8:9], v[10:11]
	;;#ASMEND
	v_mov_b32_e32 v3, v5
	s_lshr_b32 s3, s3, 30
	;;#ASMSTART
	v_med3_f32 v4, v4, v12, v13
v_med3_f32 v3, v3, v12, v13
v_cvt_pk_fp8_f32 v5, v4, v3
	;;#ASMEND
	s_add_i32 s2, s2, s3
	v_lshlrev_b32_e32 v3, 16, v5
	s_and_b32 s2, s2, -4
	s_and_b32 s1, s1, 0xffff
	s_mov_b32 s3, 0x20000
	v_and_or_b32 v3, v6, s7, v3
	buffer_store_dwordx2 v[2:3], v1, s[0:3], 0 offen
	;;#ASMSTART
	s_nop 0
	;;#ASMEND
.LBB6_26:
	s_or_b64 exec, exec, s[18:19]
	s_cmp_lt_i32 s12, 1
	s_cbranch_scc1 .LBB6_15
.LBB6_27:
	s_load_dword s0, s[4:5], 0x94
	s_waitcnt lgkmcnt(0)
	s_cmp_lg_u32 s0, 1
	s_cbranch_scc1 .LBB6_15
; %bb.28:
	s_lshl_b32 s0, s12, 1
	s_add_i32 s0, s0, 2
	v_cmp_gt_u32_e32 vcc, s12, v1
	s_and_b32 s18, s0, -4
	v_mov_b32_e32 v4, 0
	s_waitcnt vmcnt(0)
	v_lshlrev_b32_e32 v12, 4, v0
	v_mov_b32_e32 v5, 0
	v_mov_b32_e32 v6, 0
	;; [unrolled: 1-line block ×7, first 2 shown]
	s_barrier
	s_and_saveexec_b64 s[0:1], vcc
	s_cbranch_execz .LBB6_30
; %bb.29:
	s_mul_hi_i32 s3, s14, s6
	s_mul_i32 s2, s14, s6
	s_and_b32 s17, s17, 0xffff
	s_lshl_b64 s[2:3], s[2:3], 1
	s_add_u32 s20, s26, s2
	s_mov_b32 s19, 0x20000
	s_addc_u32 s2, s27, s3
	s_and_b32 s21, s2, 0xffff
	s_mov_b32 s22, s18
	s_mov_b32 s23, s19
	buffer_load_dwordx4 v[4:7], v12, s[20:23], 0 offen glc slc
	buffer_load_dwordx4 v[0:3], v12, s[16:19], 0 offen
.LBB6_30:
	s_or_b64 exec, exec, s[0:1]
	s_waitcnt vmcnt(1)
	v_cvt_f32_u32_sdwa v11, v4 dst_sel:DWORD dst_unused:UNUSED_PAD src0_sel:WORD_1
	v_cvt_f32_u32_sdwa v10, v4 dst_sel:DWORD dst_unused:UNUSED_PAD src0_sel:WORD_0
	v_cvt_f32_u32_sdwa v4, v7 dst_sel:DWORD dst_unused:UNUSED_PAD src0_sel:WORD_1
	v_cvt_f32_u32_sdwa v7, v7 dst_sel:DWORD dst_unused:UNUSED_PAD src0_sel:WORD_0
	;; [unrolled: 2-line block ×4, first 2 shown]
	v_cndmask_b32_e32 v11, 0, v11, vcc
	v_cndmask_b32_e32 v5, 0, v4, vcc
	;; [unrolled: 1-line block ×5, first 2 shown]
	v_mul_f32_e32 v13, v11, v11
	v_cndmask_b32_e32 v8, 0, v8, vcc
	v_fmac_f32_e32 v13, v10, v10
	v_cndmask_b32_e32 v9, 0, v9, vcc
	v_fmac_f32_e32 v13, v8, v8
	;; [unrolled: 2-line block ×3, first 2 shown]
	v_fmac_f32_e32 v13, v6, v6
	v_fmac_f32_e32 v13, v7, v7
	;; [unrolled: 1-line block ×4, first 2 shown]
	s_nop 1
	v_mov_b32_dpp v15, v13 quad_perm:[1,0,3,2] row_mask:0xf bank_mask:0xf
	v_add_f32_e32 v13, v13, v15
	s_nop 1
	v_mov_b32_dpp v15, v13 quad_perm:[2,3,0,1] row_mask:0xf bank_mask:0xf
	v_add_f32_e32 v13, v13, v15
	s_nop 1
	v_mov_b32_dpp v15, v13 row_half_mirror row_mask:0xf bank_mask:0xf
	v_add_f32_e32 v13, v13, v15
	s_nop 1
	v_mov_b32_dpp v15, v13 row_mirror row_mask:0xf bank_mask:0xf
	v_add_f32_e32 v13, v13, v15
	s_nop 1
	v_mov_b32_dpp v15, v13 row_bcast:15 row_mask:0xf bank_mask:0xf
	v_add_f32_e32 v13, v13, v15
	s_nop 1
	v_mov_b32_dpp v15, v13 row_bcast:31 row_mask:0xf bank_mask:0xf
	v_add_f32_e32 v13, v13, v15
	ds_bpermute_b32 v13, v14, v13
	s_and_saveexec_b64 s[0:1], vcc
	s_cbranch_execz .LBB6_15
; %bb.31:
	v_cvt_f32_u32_e32 v14, s12
	s_mov_b32 s19, 0x20000
	s_waitcnt lgkmcnt(0)
	v_div_scale_f32 v15, s[0:1], v14, v14, v13
	v_rcp_f32_e32 v16, v15
	v_div_scale_f32 v17, vcc, v13, v14, v13
	s_mov_b32 s0, 0x800000
	v_fma_f32 v18, -v15, v16, 1.0
	v_fmac_f32_e32 v16, v18, v16
	v_mul_f32_e32 v18, v17, v16
	v_fma_f32 v19, -v15, v18, v17
	v_fmac_f32_e32 v18, v19, v16
	v_fma_f32 v15, -v15, v18, v17
	v_div_fmas_f32 v15, v15, v16, v18
	v_div_fixup_f32 v13, v15, v14, v13
	v_add_f32_e32 v13, s9, v13
	v_mul_f32_e32 v14, 0x4b800000, v13
	v_cmp_gt_f32_e32 vcc, s0, v13
	v_cndmask_b32_e32 v13, v13, v14, vcc
	v_rsq_f32_e32 v13, v13
	s_waitcnt vmcnt(0)
	v_cvt_f32_u32_sdwa v15, v0 dst_sel:DWORD dst_unused:UNUSED_PAD src0_sel:WORD_1
	v_cvt_f32_u32_sdwa v19, v1 dst_sel:DWORD dst_unused:UNUSED_PAD src0_sel:WORD_1
	v_cvt_f32_u32_sdwa v18, v1 dst_sel:DWORD dst_unused:UNUSED_PAD src0_sel:WORD_0
	v_mul_f32_e32 v14, 0x45800000, v13
	v_cndmask_b32_e32 v16, v13, v14, vcc
	v_cvt_f32_u32_sdwa v14, v0 dst_sel:DWORD dst_unused:UNUSED_PAD src0_sel:WORD_0
	v_mov_b32_e32 v17, v16
	;;#ASMSTART
	v_pk_mul_f32 v[10:11], v[10:11], v[16:17]
	;;#ASMEND
	;;#ASMSTART
	v_pk_mul_f32 v[8:9], v[8:9], v[16:17]
	;;#ASMEND
	;;#ASMSTART
	v_pk_mul_f32 v[6:7], v[6:7], v[16:17]
	;;#ASMEND
	;;#ASMSTART
	v_pk_mul_f32 v[0:1], v[4:5], v[16:17]
	;;#ASMEND
	v_pk_add_f32 v[4:5], v[14:15], 1.0 op_sel_hi:[1,0]
	v_cvt_f32_u32_sdwa v15, v2 dst_sel:DWORD dst_unused:UNUSED_PAD src0_sel:WORD_1
	v_cvt_f32_u32_sdwa v14, v2 dst_sel:DWORD dst_unused:UNUSED_PAD src0_sel:WORD_0
	v_cvt_f32_u32_sdwa v17, v3 dst_sel:DWORD dst_unused:UNUSED_PAD src0_sel:WORD_1
	v_cvt_f32_u32_sdwa v16, v3 dst_sel:DWORD dst_unused:UNUSED_PAD src0_sel:WORD_0
	s_mul_hi_i32 s1, s24, s6
	s_mul_i32 s0, s24, s6
	s_lshl_b64 s[0:1], s[0:1], 1
	s_add_u32 s16, s28, s0
	;;#ASMSTART
	v_pk_mul_f32 v[4:5], v[10:11], v[4:5]
	;;#ASMEND
	v_pk_add_f32 v[10:11], v[18:19], 1.0 op_sel_hi:[1,0]
	;;#ASMSTART
	v_pk_mul_f32 v[2:3], v[8:9], v[10:11]
	;;#ASMEND
	v_pk_add_f32 v[8:9], v[14:15], 1.0 op_sel_hi:[1,0]
	s_addc_u32 s0, s29, s1
	;;#ASMSTART
	v_pk_mul_f32 v[6:7], v[6:7], v[8:9]
	;;#ASMEND
	v_pk_add_f32 v[8:9], v[16:17], 1.0 op_sel_hi:[1,0]
	s_and_b32 s17, s0, 0xffff
	s_mov_b32 s0, 0x7060302
	;;#ASMSTART
	v_pk_mul_f32 v[8:9], v[0:1], v[8:9]
	;;#ASMEND
	v_perm_b32 v0, v5, v4, s0
	v_perm_b32 v1, v3, v2, s0
	;; [unrolled: 1-line block ×4, first 2 shown]
	buffer_store_dwordx4 v[0:3], v12, s[16:19], 0 offen
	;;#ASMSTART
	s_nop 0
	;;#ASMEND
	s_endpgm
	.section	.rodata,"a",@progbits
	.p2align	6, 0x0
	.amdhsa_kernel _ZN5aiter35fused_qk_rmsnorm_group_quant_kernelItDB8_Li64ELi8ELi1ELb1ELb0ELb1ELb0ELb1ELb1EEEvPT0_PvPT_S6_S6_PKS5_S8_S8_S8_S8_ffiiiiiiiiiiiii
		.amdhsa_group_segment_fixed_size 0
		.amdhsa_private_segment_fixed_size 0
		.amdhsa_kernarg_size 400
		.amdhsa_user_sgpr_count 6
		.amdhsa_user_sgpr_private_segment_buffer 1
		.amdhsa_user_sgpr_dispatch_ptr 0
		.amdhsa_user_sgpr_queue_ptr 0
		.amdhsa_user_sgpr_kernarg_segment_ptr 1
		.amdhsa_user_sgpr_dispatch_id 0
		.amdhsa_user_sgpr_flat_scratch_init 0
		.amdhsa_user_sgpr_kernarg_preload_length 0
		.amdhsa_user_sgpr_kernarg_preload_offset 0
		.amdhsa_user_sgpr_private_segment_size 0
		.amdhsa_uses_dynamic_stack 0
		.amdhsa_system_sgpr_private_segment_wavefront_offset 0
		.amdhsa_system_sgpr_workgroup_id_x 1
		.amdhsa_system_sgpr_workgroup_id_y 1
		.amdhsa_system_sgpr_workgroup_id_z 0
		.amdhsa_system_sgpr_workgroup_info 0
		.amdhsa_system_vgpr_workitem_id 0
		.amdhsa_next_free_vgpr 27
		.amdhsa_next_free_sgpr 44
		.amdhsa_accum_offset 28
		.amdhsa_reserve_vcc 1
		.amdhsa_reserve_flat_scratch 0
		.amdhsa_float_round_mode_32 0
		.amdhsa_float_round_mode_16_64 0
		.amdhsa_float_denorm_mode_32 3
		.amdhsa_float_denorm_mode_16_64 3
		.amdhsa_dx10_clamp 1
		.amdhsa_ieee_mode 1
		.amdhsa_fp16_overflow 0
		.amdhsa_tg_split 0
		.amdhsa_exception_fp_ieee_invalid_op 0
		.amdhsa_exception_fp_denorm_src 0
		.amdhsa_exception_fp_ieee_div_zero 0
		.amdhsa_exception_fp_ieee_overflow 0
		.amdhsa_exception_fp_ieee_underflow 0
		.amdhsa_exception_fp_ieee_inexact 0
		.amdhsa_exception_int_div_zero 0
	.end_amdhsa_kernel
	.section	.text._ZN5aiter35fused_qk_rmsnorm_group_quant_kernelItDB8_Li64ELi8ELi1ELb1ELb0ELb1ELb0ELb1ELb1EEEvPT0_PvPT_S6_S6_PKS5_S8_S8_S8_S8_ffiiiiiiiiiiiii,"axG",@progbits,_ZN5aiter35fused_qk_rmsnorm_group_quant_kernelItDB8_Li64ELi8ELi1ELb1ELb0ELb1ELb0ELb1ELb1EEEvPT0_PvPT_S6_S6_PKS5_S8_S8_S8_S8_ffiiiiiiiiiiiii,comdat
.Lfunc_end6:
	.size	_ZN5aiter35fused_qk_rmsnorm_group_quant_kernelItDB8_Li64ELi8ELi1ELb1ELb0ELb1ELb0ELb1ELb1EEEvPT0_PvPT_S6_S6_PKS5_S8_S8_S8_S8_ffiiiiiiiiiiiii, .Lfunc_end6-_ZN5aiter35fused_qk_rmsnorm_group_quant_kernelItDB8_Li64ELi8ELi1ELb1ELb0ELb1ELb0ELb1ELb1EEEvPT0_PvPT_S6_S6_PKS5_S8_S8_S8_S8_ffiiiiiiiiiiiii
                                        ; -- End function
	.section	.AMDGPU.csdata,"",@progbits
; Kernel info:
; codeLenInByte = 2940
; NumSgprs: 48
; NumVgprs: 27
; NumAgprs: 0
; TotalNumVgprs: 27
; ScratchSize: 0
; MemoryBound: 0
; FloatMode: 240
; IeeeMode: 1
; LDSByteSize: 0 bytes/workgroup (compile time only)
; SGPRBlocks: 5
; VGPRBlocks: 3
; NumSGPRsForWavesPerEU: 48
; NumVGPRsForWavesPerEU: 27
; AccumOffset: 28
; Occupancy: 8
; WaveLimiterHint : 0
; COMPUTE_PGM_RSRC2:SCRATCH_EN: 0
; COMPUTE_PGM_RSRC2:USER_SGPR: 6
; COMPUTE_PGM_RSRC2:TRAP_HANDLER: 0
; COMPUTE_PGM_RSRC2:TGID_X_EN: 1
; COMPUTE_PGM_RSRC2:TGID_Y_EN: 1
; COMPUTE_PGM_RSRC2:TGID_Z_EN: 0
; COMPUTE_PGM_RSRC2:TIDIG_COMP_CNT: 0
; COMPUTE_PGM_RSRC3_GFX90A:ACCUM_OFFSET: 6
; COMPUTE_PGM_RSRC3_GFX90A:TG_SPLIT: 0
	.section	.text._ZN5aiter35fused_qk_rmsnorm_group_quant_kernelIDF16_DB8_Li64ELi8ELi1ELb1ELb0ELb0ELb0ELb1ELb1EEEvPT0_PvPT_S6_S6_PKS5_S8_S8_S8_S8_ffiiiiiiiiiiiii,"axG",@progbits,_ZN5aiter35fused_qk_rmsnorm_group_quant_kernelIDF16_DB8_Li64ELi8ELi1ELb1ELb0ELb0ELb0ELb1ELb1EEEvPT0_PvPT_S6_S6_PKS5_S8_S8_S8_S8_ffiiiiiiiiiiiii,comdat
	.protected	_ZN5aiter35fused_qk_rmsnorm_group_quant_kernelIDF16_DB8_Li64ELi8ELi1ELb1ELb0ELb0ELb0ELb1ELb1EEEvPT0_PvPT_S6_S6_PKS5_S8_S8_S8_S8_ffiiiiiiiiiiiii ; -- Begin function _ZN5aiter35fused_qk_rmsnorm_group_quant_kernelIDF16_DB8_Li64ELi8ELi1ELb1ELb0ELb0ELb0ELb1ELb1EEEvPT0_PvPT_S6_S6_PKS5_S8_S8_S8_S8_ffiiiiiiiiiiiii
	.globl	_ZN5aiter35fused_qk_rmsnorm_group_quant_kernelIDF16_DB8_Li64ELi8ELi1ELb1ELb0ELb0ELb0ELb1ELb1EEEvPT0_PvPT_S6_S6_PKS5_S8_S8_S8_S8_ffiiiiiiiiiiiii
	.p2align	8
	.type	_ZN5aiter35fused_qk_rmsnorm_group_quant_kernelIDF16_DB8_Li64ELi8ELi1ELb1ELb0ELb0ELb0ELb1ELb1EEEvPT0_PvPT_S6_S6_PKS5_S8_S8_S8_S8_ffiiiiiiiiiiiii,@function
_ZN5aiter35fused_qk_rmsnorm_group_quant_kernelIDF16_DB8_Li64ELi8ELi1ELb1ELb0ELb0ELb0ELb1ELb1EEEvPT0_PvPT_S6_S6_PKS5_S8_S8_S8_S8_ffiiiiiiiiiiiii: ; @_ZN5aiter35fused_qk_rmsnorm_group_quant_kernelIDF16_DB8_Li64ELi8ELi1ELb1ELb0ELb0ELb0ELb1ELb1EEEvPT0_PvPT_S6_S6_PKS5_S8_S8_S8_S8_ffiiiiiiiiiiiii
; %bb.0:
	s_load_dwordx8 s[8:15], s[4:5], 0x50
	s_waitcnt lgkmcnt(0)
	s_cmp_ge_i32 s6, s10
	s_cbranch_scc1 .LBB7_15
; %bb.1:
	s_cmp_lg_u32 s7, 0
	s_cselect_b64 s[18:19], -1, 0
	s_cmp_eq_u32 s7, 0
	s_cselect_b64 s[20:21], -1, 0
	s_and_b64 s[0:1], s[20:21], exec
	s_load_dwordx2 s[2:3], s[4:5], 0x70
	s_load_dwordx2 s[16:17], s[4:5], 0x48
	;; [unrolled: 1-line block ×3, first 2 shown]
	s_cselect_b32 s7, s11, s12
	s_add_i32 s0, s7, 1
	s_lshr_b32 s1, s0, 31
	s_add_i32 s0, s0, s1
	s_lshl_b32 s0, s0, 1
	v_lshlrev_b32_e32 v1, 3, v0
	s_and_b32 s22, s0, -4
	v_cmp_gt_i32_e64 s[0:1], s7, v1
	v_mov_b32_e32 v24, 0
	v_mov_b32_e32 v25, 0
	;; [unrolled: 1-line block ×8, first 2 shown]
	s_and_saveexec_b64 s[24:25], s[0:1]
	s_cbranch_execz .LBB7_3
; %bb.2:
	s_load_dwordx2 s[28:29], s[4:5], 0x28
	s_load_dwordx2 s[30:31], s[4:5], 0x40
	s_and_b64 s[34:35], s[20:21], exec
	s_cselect_b32 s10, s13, s14
	v_lshlrev_b32_e32 v2, 4, v0
	s_waitcnt lgkmcnt(0)
	s_cselect_b32 s13, s29, s27
	s_cselect_b32 s23, s28, s26
	s_mul_hi_i32 s29, s10, s6
	s_mul_i32 s28, s10, s6
	s_lshl_b64 s[28:29], s[28:29], 1
	s_add_u32 s28, s23, s28
	s_addc_u32 s10, s13, s29
	s_and_b64 s[20:21], s[20:21], exec
	s_mov_b32 s23, 0x20000
	s_cselect_b32 s20, s30, s16
	s_cselect_b32 s13, s31, s17
	s_and_b32 s29, s10, 0xffff
	s_mov_b32 s30, s22
	s_mov_b32 s31, s23
	s_and_b32 s21, s13, 0xffff
	buffer_load_dwordx4 v[28:31], v2, s[28:31], 0 offen glc slc
	buffer_load_dwordx4 v[24:27], v2, s[20:23], 0 offen
.LBB7_3:
	s_or_b64 exec, exec, s[24:25]
	s_load_dwordx2 s[24:25], s[4:5], 0x80
	s_and_b64 vcc, exec, s[18:19]
	s_cbranch_vccz .LBB7_7
; %bb.4:
	v_mov_b32_e32 v33, 0
	v_mov_b32_e32 v32, 0
	;; [unrolled: 1-line block ×8, first 2 shown]
	s_and_saveexec_b64 s[20:21], s[0:1]
	s_cbranch_execz .LBB7_6
; %bb.5:
	s_waitcnt vmcnt(1)
	v_cvt_f32_f16_sdwa v17, v28 dst_sel:DWORD dst_unused:UNUSED_PAD src0_sel:WORD_1
	v_cvt_f32_f16_e32 v16, v28
	v_cvt_f32_f16_sdwa v11, v29 dst_sel:DWORD dst_unused:UNUSED_PAD src0_sel:WORD_1
	v_cvt_f32_f16_e32 v10, v29
	;; [unrolled: 2-line block ×4, first 2 shown]
.LBB7_6:
	s_or_b64 exec, exec, s[20:21]
	s_mov_b32 s10, s9
	s_cbranch_execz .LBB7_8
	s_branch .LBB7_11
.LBB7_7:
                                        ; implicit-def: $vgpr8_vgpr9_vgpr10_vgpr11_vgpr12_vgpr13_vgpr14_vgpr15
                                        ; implicit-def: $vgpr33
                                        ; implicit-def: $vgpr16_vgpr17_vgpr18_vgpr19_vgpr20_vgpr21_vgpr22_vgpr23
                                        ; implicit-def: $vgpr2_vgpr3_vgpr4_vgpr5_vgpr6_vgpr7_vgpr8_vgpr9
	s_mov_b32 s10, s9
.LBB7_8:
	v_mov_b32_e32 v33, 0
	v_mov_b32_e32 v32, 0
	;; [unrolled: 1-line block ×8, first 2 shown]
	s_and_saveexec_b64 s[28:29], s[0:1]
	s_cbranch_execz .LBB7_10
; %bb.9:
	s_load_dwordx2 s[20:21], s[4:5], 0x38
	s_mul_hi_i32 s31, s15, s6
	s_mul_i32 s30, s15, s6
	s_lshl_b64 s[30:31], s[30:31], 1
	s_mov_b32 s23, 0x20000
	s_waitcnt lgkmcnt(0)
	s_add_u32 s20, s20, s30
	s_addc_u32 s10, s21, s31
	s_and_b32 s21, s10, 0xffff
	v_lshlrev_b32_e32 v20, 4, v0
	buffer_load_dwordx4 v[2:5], v20, s[20:23], 0 offen glc slc
	s_waitcnt vmcnt(2)
	v_cvt_f32_f16_sdwa v7, v28 dst_sel:DWORD dst_unused:UNUSED_PAD src0_sel:WORD_1
	v_cvt_f32_f16_e32 v6, v28
	v_cvt_f32_f16_sdwa v9, v29 dst_sel:DWORD dst_unused:UNUSED_PAD src0_sel:WORD_1
	v_cvt_f32_f16_e32 v8, v29
	;; [unrolled: 2-line block ×4, first 2 shown]
	s_load_dwordx2 s[20:21], s[4:5], 0x20
	s_mul_hi_i32 s31, s25, s6
	s_mul_i32 s30, s25, s6
	s_lshl_b64 s[30:31], s[30:31], 1
	s_waitcnt lgkmcnt(0)
	s_add_u32 s20, s20, s30
	s_addc_u32 s10, s21, s31
	s_and_b32 s21, s10, 0xffff
	s_waitcnt vmcnt(0)
	v_cvt_f32_f16_e32 v10, v2
	v_cvt_f32_f16_sdwa v11, v2 dst_sel:DWORD dst_unused:UNUSED_PAD src0_sel:WORD_1
	v_cvt_f32_f16_e32 v2, v3
	v_cvt_f32_f16_sdwa v3, v3 dst_sel:DWORD dst_unused:UNUSED_PAD src0_sel:WORD_1
	;; [unrolled: 2-line block ×4, first 2 shown]
	v_pk_add_f32 v[16:17], v[6:7], v[10:11]
	v_pk_add_f32 v[10:11], v[8:9], v[2:3]
	v_pk_add_f32 v[6:7], v[12:13], v[18:19]
	v_pk_add_f32 v[32:33], v[14:15], v[4:5]
	v_cvt_f16_f32_e32 v2, v17
	v_cvt_f16_f32_e32 v3, v11
	;; [unrolled: 1-line block ×8, first 2 shown]
	v_pack_b32_f16 v5, v8, v5
	v_pack_b32_f16 v4, v9, v4
	;; [unrolled: 1-line block ×4, first 2 shown]
	buffer_store_dwordx4 v[2:5], v20, s[20:23], 0 offen glc slc
	;;#ASMSTART
	s_nop 0
	;;#ASMEND
.LBB7_10:
	s_or_b64 exec, exec, s[28:29]
	s_mov_b32 s10, s8
.LBB7_11:
	v_mul_f32_e32 v2, v17, v17
	v_fmac_f32_e32 v2, v16, v16
	v_fmac_f32_e32 v2, v10, v10
	;; [unrolled: 1-line block ×7, first 2 shown]
	v_bfrev_b32_e32 v4, 0.5
	s_load_dwordx2 s[28:29], s[4:5], 0x18
	v_mov_b32_dpp v3, v2 quad_perm:[1,0,3,2] row_mask:0xf bank_mask:0xf
	v_add_f32_e32 v2, v2, v3
	s_nop 1
	v_mov_b32_dpp v3, v2 quad_perm:[2,3,0,1] row_mask:0xf bank_mask:0xf
	v_add_f32_e32 v2, v2, v3
	s_nop 1
	v_mov_b32_dpp v3, v2 row_half_mirror row_mask:0xf bank_mask:0xf
	v_add_f32_e32 v2, v2, v3
	s_nop 1
	v_mov_b32_dpp v3, v2 row_mirror row_mask:0xf bank_mask:0xf
	v_add_f32_e32 v2, v2, v3
	s_nop 1
	v_mov_b32_dpp v3, v2 row_bcast:15 row_mask:0xf bank_mask:0xf
	v_add_f32_e32 v2, v2, v3
	s_nop 1
	v_mov_b32_dpp v3, v2 row_bcast:31 row_mask:0xf bank_mask:0xf
	v_add_f32_e32 v2, v2, v3
	v_mbcnt_lo_u32_b32 v3, -1, 0
	v_mbcnt_hi_u32_b32 v3, -1, v3
	v_lshl_or_b32 v18, v3, 2, v4
	ds_bpermute_b32 v2, v18, v2
	s_and_saveexec_b64 s[20:21], s[0:1]
	s_cbranch_execnz .LBB7_16
; %bb.12:
	s_or_b64 exec, exec, s[20:21]
	s_mov_b64 s[20:21], -1
	s_and_b64 vcc, exec, s[18:19]
	s_cbranch_vccnz .LBB7_17
.LBB7_13:
	s_andn2_b64 vcc, exec, s[20:21]
	s_cbranch_vccz .LBB7_20
.LBB7_14:
	s_cmp_lt_i32 s12, 1
	s_cbranch_scc0 .LBB7_27
.LBB7_15:
	s_endpgm
.LBB7_16:
	v_cvt_f32_u32_e32 v3, s7
	s_mov_b32 s7, 0x800000
	s_waitcnt vmcnt(0)
	v_cvt_f32_f16_sdwa v13, v25 dst_sel:DWORD dst_unused:UNUSED_PAD src0_sel:WORD_1
	v_cvt_f32_f16_sdwa v15, v26 dst_sel:DWORD dst_unused:UNUSED_PAD src0_sel:WORD_1
	s_waitcnt lgkmcnt(0)
	v_div_scale_f32 v4, s[30:31], v3, v3, v2
	v_rcp_f32_e32 v5, v4
	v_div_scale_f32 v8, vcc, v2, v3, v2
	v_cvt_f32_f16_e32 v14, v26
	v_fma_f32 v9, -v4, v5, 1.0
	v_fmac_f32_e32 v5, v9, v5
	v_mul_f32_e32 v9, v8, v5
	v_fma_f32 v12, -v4, v9, v8
	v_fmac_f32_e32 v9, v12, v5
	v_fma_f32 v4, -v4, v9, v8
	v_div_fmas_f32 v4, v4, v5, v9
	v_div_fixup_f32 v2, v4, v3, v2
	v_add_f32_e32 v2, s10, v2
	v_mul_f32_e32 v3, 0x4b800000, v2
	v_cmp_gt_f32_e32 vcc, s7, v2
	v_cndmask_b32_e32 v2, v2, v3, vcc
	v_rsq_f32_e32 v2, v2
	v_cvt_f32_f16_e32 v12, v25
	v_cvt_f32_f16_sdwa v21, v27 dst_sel:DWORD dst_unused:UNUSED_PAD src0_sel:WORD_1
	v_cvt_f32_f16_e32 v20, v27
	v_mul_f32_e32 v3, 0x45800000, v2
	v_cndmask_b32_e32 v2, v2, v3, vcc
	v_mov_b32_e32 v3, v2
	;;#ASMSTART
	v_pk_mul_f32 v[4:5], v[16:17], v[2:3]
	;;#ASMEND
	;;#ASMSTART
	v_pk_mul_f32 v[8:9], v[10:11], v[2:3]
	;;#ASMEND
	;; [unrolled: 3-line block ×3, first 2 shown]
	v_cvt_f32_f16_sdwa v11, v24 dst_sel:DWORD dst_unused:UNUSED_PAD src0_sel:WORD_1
	v_cvt_f32_f16_e32 v10, v24
	;;#ASMSTART
	v_pk_mul_f32 v[2:3], v[32:33], v[2:3]
	;;#ASMEND
	;;#ASMSTART
	v_pk_mul_f32 v[16:17], v[4:5], v[10:11]
	;;#ASMEND
	;; [unrolled: 3-line block ×5, first 2 shown]
	s_or_b64 exec, exec, s[20:21]
	s_mov_b64 s[20:21], -1
	s_and_b64 vcc, exec, s[18:19]
	s_cbranch_vccz .LBB7_13
.LBB7_17:
	s_and_saveexec_b64 s[18:19], s[0:1]
	s_cbranch_execz .LBB7_19
; %bb.18:
	s_waitcnt lgkmcnt(0)
	s_mul_hi_i32 s21, s24, s6
	s_mul_i32 s20, s24, s6
	v_cvt_f16_f32_e32 v2, v16
	v_cvt_f16_f32_e32 v3, v10
	;; [unrolled: 1-line block ×8, first 2 shown]
	s_lshl_b64 s[20:21], s[20:21], 1
	s_add_u32 s20, s28, s20
	s_addc_u32 s7, s29, s21
	s_and_b32 s21, s7, 0xffff
	s_mov_b32 s23, 0x20000
	v_pack_b32_f16 v5, v5, v8
	v_pack_b32_f16 v4, v4, v9
	;; [unrolled: 1-line block ×4, first 2 shown]
	v_lshlrev_b32_e32 v8, 4, v0
	buffer_store_dwordx4 v[2:5], v8, s[20:23], 0 offen
	;;#ASMSTART
	s_nop 0
	;;#ASMEND
.LBB7_19:
	s_or_b64 exec, exec, s[18:19]
	s_cbranch_execnz .LBB7_14
.LBB7_20:
	s_waitcnt lgkmcnt(0)
	v_mov_b32_e32 v2, 0
	s_and_saveexec_b64 s[18:19], s[0:1]
	s_cbranch_execz .LBB7_22
; %bb.21:
	v_and_b32_e32 v2, 0x7fffffff, v16
	v_and_b32_e32 v3, 0x7fffffff, v17
	v_mov_b32_e32 v4, 0x2edbe6ff
	;;#ASMSTART
	v_max3_f32 v2, v4, v2, v3

	;;#ASMEND
	v_and_b32_e32 v3, 0x7fffffff, v10
	v_and_b32_e32 v4, 0x7fffffff, v11
	;;#ASMSTART
	v_max3_f32 v2, v2, v3, v4

	;;#ASMEND
	v_and_b32_e32 v3, 0x7fffffff, v6
	v_and_b32_e32 v4, 0x7fffffff, v7
	;; [unrolled: 6-line block ×3, first 2 shown]
	;;#ASMSTART
	v_max3_f32 v2, v2, v3, v4

	;;#ASMEND
.LBB7_22:
	s_or_b64 exec, exec, s[18:19]
	s_nop 0
	v_mov_b32_dpp v3, v2 quad_perm:[1,0,3,2] row_mask:0xf bank_mask:0xf
	v_cmp_gt_f32_e32 vcc, v2, v3
	v_cndmask_b32_e32 v2, v3, v2, vcc
	s_nop 1
	v_mov_b32_dpp v3, v2 quad_perm:[2,3,0,1] row_mask:0xf bank_mask:0xf
	v_cmp_gt_f32_e32 vcc, v2, v3
	v_cndmask_b32_e32 v2, v3, v2, vcc
	s_nop 1
	v_mov_b32_dpp v3, v2 row_half_mirror row_mask:0xf bank_mask:0xf
	v_cmp_gt_f32_e32 vcc, v2, v3
	v_cndmask_b32_e32 v2, v3, v2, vcc
	s_nop 1
	v_mov_b32_dpp v3, v2 row_mirror row_mask:0xf bank_mask:0xf
	v_cmp_gt_f32_e32 vcc, v2, v3
	v_cndmask_b32_e32 v2, v3, v2, vcc
	s_nop 1
	v_mov_b32_dpp v3, v2 row_bcast:15 row_mask:0xf bank_mask:0xf
	v_cmp_gt_f32_e32 vcc, v2, v3
	v_cndmask_b32_e32 v2, v3, v2, vcc
	s_nop 1
	v_mov_b32_dpp v3, v2 row_bcast:31 row_mask:0xf bank_mask:0xf
	v_cmp_gt_f32_e32 vcc, v2, v3
	v_cndmask_b32_e32 v2, v3, v2, vcc
	ds_bpermute_b32 v2, v18, v2
	v_cmp_eq_u32_e32 vcc, 0, v0
	s_waitcnt lgkmcnt(0)
	v_mul_f32_e32 v2, 0x3b124925, v2
	s_and_saveexec_b64 s[18:19], vcc
	s_cbranch_execz .LBB7_24
; %bb.23:
	s_load_dwordx2 s[20:21], s[4:5], 0x8
	s_mul_hi_i32 s23, s3, s6
	s_mul_i32 s22, s3, s6
	s_lshl_b64 s[22:23], s[22:23], 2
	v_mov_b32_e32 v3, 0
	s_waitcnt lgkmcnt(0)
	s_add_u32 s20, s20, s22
	s_addc_u32 s21, s21, s23
	global_store_dword v3, v2, s[20:21]
.LBB7_24:
	s_or_b64 exec, exec, s[18:19]
	;;#ASMSTART
	v_rcp_f32 v2, v2
	;;#ASMEND
	s_and_saveexec_b64 s[18:19], s[0:1]
	s_cbranch_execz .LBB7_26
; %bb.25:
	v_mov_b32_e32 v3, v2
	;;#ASMSTART
	v_pk_mul_f32 v[4:5], v[16:17], v[2:3]
	;;#ASMEND
	s_load_dwordx2 s[0:1], s[4:5], 0x0
	v_mov_b32_e32 v8, 0xc3e00000
	v_mov_b32_e32 v9, 0x43e00000
	;;#ASMSTART
	v_med3_f32 v4, v4, v8, v9
v_med3_f32 v5, v5, v8, v9
v_cvt_pk_fp8_f32 v12, v4, v5
	;;#ASMEND
	;;#ASMSTART
	v_pk_mul_f32 v[4:5], v[10:11], v[2:3]
	;;#ASMEND
	;;#ASMSTART
	v_med3_f32 v4, v4, v8, v9
v_med3_f32 v5, v5, v8, v9
v_cvt_pk_fp8_f32 v10, v4, v5
	;;#ASMEND
	s_mov_b32 s8, 0x5040100
	v_perm_b32 v5, v10, v12, s8
	s_movk_i32 s8, 0xff
	s_mul_hi_i32 s3, s2, s6
	s_mul_i32 s2, s2, s6
	v_and_b32_e32 v4, 0xffffff00, v10
	v_and_b32_sdwa v10, v5, s8 dst_sel:DWORD dst_unused:UNUSED_PAD src0_sel:WORD_1 src1_sel:DWORD
	s_mov_b32 s7, 0xffff
	s_waitcnt lgkmcnt(0)
	s_add_u32 s0, s0, s2
	v_or_b32_sdwa v4, v10, v4 dst_sel:WORD_1 dst_unused:UNUSED_PAD src0_sel:DWORD src1_sel:DWORD
	s_addc_u32 s1, s1, s3
	s_add_i32 s2, s11, 3
	v_and_or_b32 v4, v5, s7, v4
	;;#ASMSTART
	v_pk_mul_f32 v[6:7], v[6:7], v[2:3]
	;;#ASMEND
	v_mov_b32_e32 v5, v7
	s_ashr_i32 s3, s2, 31
	;;#ASMSTART
	v_med3_f32 v6, v6, v8, v9
v_med3_f32 v5, v5, v8, v9
v_cvt_pk_fp8_f32 v7, v6, v5
	;;#ASMEND
	;;#ASMSTART
	v_pk_mul_f32 v[2:3], v[32:33], v[2:3]
	;;#ASMEND
	s_lshr_b32 s3, s3, 30
	;;#ASMSTART
	v_med3_f32 v2, v2, v8, v9
v_med3_f32 v3, v3, v8, v9
v_cvt_pk_fp8_f32 v5, v2, v3
	;;#ASMEND
	s_add_i32 s2, s2, s3
	v_lshlrev_b32_e32 v2, 16, v5
	s_and_b32 s2, s2, -4
	s_and_b32 s1, s1, 0xffff
	s_mov_b32 s3, 0x20000
	v_and_or_b32 v5, v7, s7, v2
	buffer_store_dwordx2 v[4:5], v1, s[0:3], 0 offen
	;;#ASMSTART
	s_nop 0
	;;#ASMEND
.LBB7_26:
	s_or_b64 exec, exec, s[18:19]
	s_cmp_lt_i32 s12, 1
	s_cbranch_scc1 .LBB7_15
.LBB7_27:
	s_load_dword s0, s[4:5], 0x94
	s_waitcnt lgkmcnt(0)
	s_cmp_lg_u32 s0, 1
	s_cbranch_scc1 .LBB7_15
; %bb.28:
	s_lshl_b32 s0, s12, 1
	s_add_i32 s0, s0, 2
	v_cmp_gt_u32_e32 vcc, s12, v1
	s_and_b32 s18, s0, -4
	v_mov_b32_e32 v8, 0
	v_lshlrev_b32_e32 v16, 4, v0
	v_mov_b32_e32 v4, 0
	v_mov_b32_e32 v5, 0
	;; [unrolled: 1-line block ×8, first 2 shown]
	s_barrier
	s_and_saveexec_b64 s[0:1], vcc
	s_cbranch_execz .LBB7_30
; %bb.29:
	s_mul_hi_i32 s3, s14, s6
	s_mul_i32 s2, s14, s6
	s_and_b32 s17, s17, 0xffff
	s_lshl_b64 s[2:3], s[2:3], 1
	s_add_u32 s20, s26, s2
	s_mov_b32 s19, 0x20000
	s_addc_u32 s2, s27, s3
	s_and_b32 s21, s2, 0xffff
	s_mov_b32 s22, s18
	s_mov_b32 s23, s19
	buffer_load_dwordx4 v[4:7], v16, s[20:23], 0 offen glc slc
	buffer_load_dwordx4 v[0:3], v16, s[16:19], 0 offen
.LBB7_30:
	s_or_b64 exec, exec, s[0:1]
	v_mov_b32_e32 v9, 0
	v_mov_b32_e32 v14, 0
	;; [unrolled: 1-line block ×7, first 2 shown]
	s_and_saveexec_b64 s[0:1], vcc
	s_cbranch_execz .LBB7_32
; %bb.31:
	s_waitcnt vmcnt(1)
	v_cvt_f32_f16_sdwa v9, v4 dst_sel:DWORD dst_unused:UNUSED_PAD src0_sel:WORD_1
	v_cvt_f32_f16_e32 v8, v4
	v_cvt_f32_f16_sdwa v15, v5 dst_sel:DWORD dst_unused:UNUSED_PAD src0_sel:WORD_1
	v_cvt_f32_f16_e32 v14, v5
	;; [unrolled: 2-line block ×4, first 2 shown]
.LBB7_32:
	s_or_b64 exec, exec, s[0:1]
	s_waitcnt vmcnt(1)
	v_mul_f32_e32 v4, v9, v9
	v_fmac_f32_e32 v4, v8, v8
	v_fmac_f32_e32 v4, v14, v14
	;; [unrolled: 1-line block ×7, first 2 shown]
	s_nop 1
	v_mov_b32_dpp v5, v4 quad_perm:[1,0,3,2] row_mask:0xf bank_mask:0xf
	v_add_f32_e32 v4, v4, v5
	s_nop 1
	v_mov_b32_dpp v5, v4 quad_perm:[2,3,0,1] row_mask:0xf bank_mask:0xf
	v_add_f32_e32 v4, v4, v5
	s_nop 1
	v_mov_b32_dpp v5, v4 row_half_mirror row_mask:0xf bank_mask:0xf
	v_add_f32_e32 v4, v4, v5
	s_nop 1
	v_mov_b32_dpp v5, v4 row_mirror row_mask:0xf bank_mask:0xf
	v_add_f32_e32 v4, v4, v5
	s_nop 1
	v_mov_b32_dpp v5, v4 row_bcast:15 row_mask:0xf bank_mask:0xf
	v_add_f32_e32 v4, v4, v5
	s_nop 1
	v_mov_b32_dpp v5, v4 row_bcast:31 row_mask:0xf bank_mask:0xf
	v_add_f32_e32 v4, v4, v5
	ds_bpermute_b32 v4, v18, v4
	s_and_saveexec_b64 s[0:1], vcc
	s_cbranch_execz .LBB7_15
; %bb.33:
	v_cvt_f32_u32_e32 v5, s12
	s_mov_b32 s19, 0x20000
	s_waitcnt lgkmcnt(0)
	v_div_scale_f32 v6, s[0:1], v5, v5, v4
	v_rcp_f32_e32 v7, v6
	v_div_scale_f32 v17, vcc, v4, v5, v4
	s_mov_b32 s0, 0x800000
	v_fma_f32 v18, -v6, v7, 1.0
	v_fmac_f32_e32 v7, v18, v7
	v_mul_f32_e32 v18, v17, v7
	v_fma_f32 v19, -v6, v18, v17
	v_fmac_f32_e32 v18, v19, v7
	v_fma_f32 v6, -v6, v18, v17
	v_div_fmas_f32 v6, v6, v7, v18
	v_div_fixup_f32 v4, v6, v5, v4
	v_add_f32_e32 v4, s9, v4
	v_mul_f32_e32 v5, 0x4b800000, v4
	v_cmp_gt_f32_e32 vcc, s0, v4
	v_cndmask_b32_e32 v4, v4, v5, vcc
	v_rsq_f32_e32 v4, v4
	s_waitcnt vmcnt(0)
	v_cvt_f32_f16_sdwa v19, v3 dst_sel:DWORD dst_unused:UNUSED_PAD src0_sel:WORD_1
	v_cvt_f32_f16_e32 v18, v3
	s_mul_hi_i32 s1, s24, s6
	v_mul_f32_e32 v5, 0x45800000, v4
	v_cndmask_b32_e32 v4, v4, v5, vcc
	v_mov_b32_e32 v5, v4
	;;#ASMSTART
	v_pk_mul_f32 v[6:7], v[8:9], v[4:5]
	;;#ASMEND
	;;#ASMSTART
	v_pk_mul_f32 v[8:9], v[14:15], v[4:5]
	;;#ASMEND
	;; [unrolled: 3-line block ×4, first 2 shown]
	v_cvt_f32_f16_sdwa v11, v0 dst_sel:DWORD dst_unused:UNUSED_PAD src0_sel:WORD_1
	v_cvt_f32_f16_e32 v10, v0
	v_cvt_f32_f16_sdwa v15, v1 dst_sel:DWORD dst_unused:UNUSED_PAD src0_sel:WORD_1
	v_cvt_f32_f16_e32 v14, v1
	;; [unrolled: 2-line block ×3, first 2 shown]
	;;#ASMSTART
	v_pk_mul_f32 v[2:3], v[6:7], v[10:11]
	;;#ASMEND
	;;#ASMSTART
	v_pk_mul_f32 v[6:7], v[8:9], v[14:15]
	;;#ASMEND
	;; [unrolled: 3-line block ×4, first 2 shown]
	s_mul_i32 s0, s24, s6
	v_cvt_f16_f32_e32 v2, v2
	v_cvt_f16_f32_e32 v3, v3
	;; [unrolled: 1-line block ×8, first 2 shown]
	s_lshl_b64 s[0:1], s[0:1], 1
	s_add_u32 s16, s28, s0
	s_addc_u32 s0, s29, s1
	s_and_b32 s17, s0, 0xffff
	v_pack_b32_f16 v0, v2, v3
	v_pack_b32_f16 v1, v6, v7
	;; [unrolled: 1-line block ×4, first 2 shown]
	buffer_store_dwordx4 v[0:3], v16, s[16:19], 0 offen
	;;#ASMSTART
	s_nop 0
	;;#ASMEND
	s_endpgm
	.section	.rodata,"a",@progbits
	.p2align	6, 0x0
	.amdhsa_kernel _ZN5aiter35fused_qk_rmsnorm_group_quant_kernelIDF16_DB8_Li64ELi8ELi1ELb1ELb0ELb0ELb0ELb1ELb1EEEvPT0_PvPT_S6_S6_PKS5_S8_S8_S8_S8_ffiiiiiiiiiiiii
		.amdhsa_group_segment_fixed_size 0
		.amdhsa_private_segment_fixed_size 0
		.amdhsa_kernarg_size 400
		.amdhsa_user_sgpr_count 6
		.amdhsa_user_sgpr_private_segment_buffer 1
		.amdhsa_user_sgpr_dispatch_ptr 0
		.amdhsa_user_sgpr_queue_ptr 0
		.amdhsa_user_sgpr_kernarg_segment_ptr 1
		.amdhsa_user_sgpr_dispatch_id 0
		.amdhsa_user_sgpr_flat_scratch_init 0
		.amdhsa_user_sgpr_kernarg_preload_length 0
		.amdhsa_user_sgpr_kernarg_preload_offset 0
		.amdhsa_user_sgpr_private_segment_size 0
		.amdhsa_uses_dynamic_stack 0
		.amdhsa_system_sgpr_private_segment_wavefront_offset 0
		.amdhsa_system_sgpr_workgroup_id_x 1
		.amdhsa_system_sgpr_workgroup_id_y 1
		.amdhsa_system_sgpr_workgroup_id_z 0
		.amdhsa_system_sgpr_workgroup_info 0
		.amdhsa_system_vgpr_workitem_id 0
		.amdhsa_next_free_vgpr 34
		.amdhsa_next_free_sgpr 36
		.amdhsa_accum_offset 36
		.amdhsa_reserve_vcc 1
		.amdhsa_reserve_flat_scratch 0
		.amdhsa_float_round_mode_32 0
		.amdhsa_float_round_mode_16_64 0
		.amdhsa_float_denorm_mode_32 3
		.amdhsa_float_denorm_mode_16_64 3
		.amdhsa_dx10_clamp 1
		.amdhsa_ieee_mode 1
		.amdhsa_fp16_overflow 0
		.amdhsa_tg_split 0
		.amdhsa_exception_fp_ieee_invalid_op 0
		.amdhsa_exception_fp_denorm_src 0
		.amdhsa_exception_fp_ieee_div_zero 0
		.amdhsa_exception_fp_ieee_overflow 0
		.amdhsa_exception_fp_ieee_underflow 0
		.amdhsa_exception_fp_ieee_inexact 0
		.amdhsa_exception_int_div_zero 0
	.end_amdhsa_kernel
	.section	.text._ZN5aiter35fused_qk_rmsnorm_group_quant_kernelIDF16_DB8_Li64ELi8ELi1ELb1ELb0ELb0ELb0ELb1ELb1EEEvPT0_PvPT_S6_S6_PKS5_S8_S8_S8_S8_ffiiiiiiiiiiiii,"axG",@progbits,_ZN5aiter35fused_qk_rmsnorm_group_quant_kernelIDF16_DB8_Li64ELi8ELi1ELb1ELb0ELb0ELb0ELb1ELb1EEEvPT0_PvPT_S6_S6_PKS5_S8_S8_S8_S8_ffiiiiiiiiiiiii,comdat
.Lfunc_end7:
	.size	_ZN5aiter35fused_qk_rmsnorm_group_quant_kernelIDF16_DB8_Li64ELi8ELi1ELb1ELb0ELb0ELb0ELb1ELb1EEEvPT0_PvPT_S6_S6_PKS5_S8_S8_S8_S8_ffiiiiiiiiiiiii, .Lfunc_end7-_ZN5aiter35fused_qk_rmsnorm_group_quant_kernelIDF16_DB8_Li64ELi8ELi1ELb1ELb0ELb0ELb0ELb1ELb1EEEvPT0_PvPT_S6_S6_PKS5_S8_S8_S8_S8_ffiiiiiiiiiiiii
                                        ; -- End function
	.section	.AMDGPU.csdata,"",@progbits
; Kernel info:
; codeLenInByte = 2788
; NumSgprs: 40
; NumVgprs: 34
; NumAgprs: 0
; TotalNumVgprs: 34
; ScratchSize: 0
; MemoryBound: 0
; FloatMode: 240
; IeeeMode: 1
; LDSByteSize: 0 bytes/workgroup (compile time only)
; SGPRBlocks: 4
; VGPRBlocks: 4
; NumSGPRsForWavesPerEU: 40
; NumVGPRsForWavesPerEU: 34
; AccumOffset: 36
; Occupancy: 8
; WaveLimiterHint : 0
; COMPUTE_PGM_RSRC2:SCRATCH_EN: 0
; COMPUTE_PGM_RSRC2:USER_SGPR: 6
; COMPUTE_PGM_RSRC2:TRAP_HANDLER: 0
; COMPUTE_PGM_RSRC2:TGID_X_EN: 1
; COMPUTE_PGM_RSRC2:TGID_Y_EN: 1
; COMPUTE_PGM_RSRC2:TGID_Z_EN: 0
; COMPUTE_PGM_RSRC2:TIDIG_COMP_CNT: 0
; COMPUTE_PGM_RSRC3_GFX90A:ACCUM_OFFSET: 8
; COMPUTE_PGM_RSRC3_GFX90A:TG_SPLIT: 0
	.section	.text._ZN5aiter35fused_qk_rmsnorm_group_quant_kernelItDB8_Li64ELi8ELi1ELb1ELb0ELb0ELb0ELb1ELb1EEEvPT0_PvPT_S6_S6_PKS5_S8_S8_S8_S8_ffiiiiiiiiiiiii,"axG",@progbits,_ZN5aiter35fused_qk_rmsnorm_group_quant_kernelItDB8_Li64ELi8ELi1ELb1ELb0ELb0ELb0ELb1ELb1EEEvPT0_PvPT_S6_S6_PKS5_S8_S8_S8_S8_ffiiiiiiiiiiiii,comdat
	.protected	_ZN5aiter35fused_qk_rmsnorm_group_quant_kernelItDB8_Li64ELi8ELi1ELb1ELb0ELb0ELb0ELb1ELb1EEEvPT0_PvPT_S6_S6_PKS5_S8_S8_S8_S8_ffiiiiiiiiiiiii ; -- Begin function _ZN5aiter35fused_qk_rmsnorm_group_quant_kernelItDB8_Li64ELi8ELi1ELb1ELb0ELb0ELb0ELb1ELb1EEEvPT0_PvPT_S6_S6_PKS5_S8_S8_S8_S8_ffiiiiiiiiiiiii
	.globl	_ZN5aiter35fused_qk_rmsnorm_group_quant_kernelItDB8_Li64ELi8ELi1ELb1ELb0ELb0ELb0ELb1ELb1EEEvPT0_PvPT_S6_S6_PKS5_S8_S8_S8_S8_ffiiiiiiiiiiiii
	.p2align	8
	.type	_ZN5aiter35fused_qk_rmsnorm_group_quant_kernelItDB8_Li64ELi8ELi1ELb1ELb0ELb0ELb0ELb1ELb1EEEvPT0_PvPT_S6_S6_PKS5_S8_S8_S8_S8_ffiiiiiiiiiiiii,@function
_ZN5aiter35fused_qk_rmsnorm_group_quant_kernelItDB8_Li64ELi8ELi1ELb1ELb0ELb0ELb0ELb1ELb1EEEvPT0_PvPT_S6_S6_PKS5_S8_S8_S8_S8_ffiiiiiiiiiiiii: ; @_ZN5aiter35fused_qk_rmsnorm_group_quant_kernelItDB8_Li64ELi8ELi1ELb1ELb0ELb0ELb0ELb1ELb1EEEvPT0_PvPT_S6_S6_PKS5_S8_S8_S8_S8_ffiiiiiiiiiiiii
; %bb.0:
	s_load_dwordx8 s[8:15], s[4:5], 0x50
	s_waitcnt lgkmcnt(0)
	s_cmp_ge_i32 s6, s10
	s_cbranch_scc1 .LBB8_15
; %bb.1:
	s_cmp_lg_u32 s7, 0
	s_cselect_b64 s[18:19], -1, 0
	s_cmp_eq_u32 s7, 0
	s_cselect_b64 s[20:21], -1, 0
	s_and_b64 s[0:1], s[20:21], exec
	s_load_dwordx2 s[2:3], s[4:5], 0x70
	s_load_dwordx2 s[16:17], s[4:5], 0x48
	;; [unrolled: 1-line block ×3, first 2 shown]
	s_cselect_b32 s7, s11, s12
	s_add_i32 s0, s7, 1
	s_lshr_b32 s1, s0, 31
	s_add_i32 s0, s0, s1
	s_lshl_b32 s0, s0, 1
	v_lshlrev_b32_e32 v1, 3, v0
	s_and_b32 s22, s0, -4
	v_cmp_gt_i32_e64 s[0:1], s7, v1
	v_mov_b32_e32 v10, 0
	v_mov_b32_e32 v11, 0
	;; [unrolled: 1-line block ×8, first 2 shown]
	s_and_saveexec_b64 s[24:25], s[0:1]
	s_cbranch_execz .LBB8_3
; %bb.2:
	s_load_dwordx2 s[28:29], s[4:5], 0x28
	s_load_dwordx2 s[30:31], s[4:5], 0x40
	s_and_b64 s[34:35], s[20:21], exec
	s_cselect_b32 s10, s13, s14
	v_lshlrev_b32_e32 v2, 4, v0
	s_waitcnt lgkmcnt(0)
	s_cselect_b32 s13, s29, s27
	s_cselect_b32 s23, s28, s26
	s_mul_hi_i32 s29, s10, s6
	s_mul_i32 s28, s10, s6
	s_lshl_b64 s[28:29], s[28:29], 1
	s_add_u32 s28, s23, s28
	s_addc_u32 s10, s13, s29
	s_and_b64 s[20:21], s[20:21], exec
	s_mov_b32 s23, 0x20000
	s_cselect_b32 s20, s30, s16
	s_cselect_b32 s13, s31, s17
	s_and_b32 s29, s10, 0xffff
	s_mov_b32 s30, s22
	s_mov_b32 s31, s23
	s_and_b32 s21, s13, 0xffff
	buffer_load_dwordx4 v[14:17], v2, s[28:31], 0 offen glc slc
	buffer_load_dwordx4 v[10:13], v2, s[20:23], 0 offen
.LBB8_3:
	s_or_b64 exec, exec, s[24:25]
	s_load_dwordx2 s[24:25], s[4:5], 0x80
	s_and_b64 vcc, exec, s[18:19]
	s_cbranch_vccz .LBB8_7
; %bb.4:
	s_mov_b32 s36, 0
	s_mov_b32 s37, s36
	;; [unrolled: 1-line block ×8, first 2 shown]
	v_pk_mov_b32 v[2:3], s[36:37], s[36:37] op_sel:[0,1]
	v_pk_mov_b32 v[4:5], s[38:39], s[38:39] op_sel:[0,1]
	;; [unrolled: 1-line block ×4, first 2 shown]
	s_and_saveexec_b64 s[20:21], s[0:1]
	s_cbranch_execz .LBB8_6
; %bb.5:
	s_waitcnt vmcnt(1)
	v_cvt_f32_u32_sdwa v3, v14 dst_sel:DWORD dst_unused:UNUSED_PAD src0_sel:WORD_1
	v_cvt_f32_u32_sdwa v2, v14 dst_sel:DWORD dst_unused:UNUSED_PAD src0_sel:WORD_0
	v_cvt_f32_u32_sdwa v5, v15 dst_sel:DWORD dst_unused:UNUSED_PAD src0_sel:WORD_1
	v_cvt_f32_u32_sdwa v4, v15 dst_sel:DWORD dst_unused:UNUSED_PAD src0_sel:WORD_0
	;; [unrolled: 2-line block ×4, first 2 shown]
.LBB8_6:
	s_or_b64 exec, exec, s[20:21]
	s_mov_b32 s10, s9
	s_cbranch_execz .LBB8_8
	s_branch .LBB8_11
.LBB8_7:
                                        ; implicit-def: $vgpr2_vgpr3_vgpr4_vgpr5_vgpr6_vgpr7_vgpr8_vgpr9
	s_mov_b32 s10, s9
.LBB8_8:
	s_mov_b32 s36, 0
	s_mov_b32 s37, s36
	;; [unrolled: 1-line block ×8, first 2 shown]
	v_pk_mov_b32 v[2:3], s[36:37], s[36:37] op_sel:[0,1]
	v_pk_mov_b32 v[4:5], s[38:39], s[38:39] op_sel:[0,1]
	;; [unrolled: 1-line block ×4, first 2 shown]
	s_and_saveexec_b64 s[28:29], s[0:1]
	s_cbranch_execz .LBB8_10
; %bb.9:
	s_load_dwordx2 s[20:21], s[4:5], 0x38
	s_mul_hi_i32 s31, s15, s6
	s_mul_i32 s30, s15, s6
	s_lshl_b64 s[30:31], s[30:31], 1
	s_mov_b32 s23, 0x20000
	s_waitcnt lgkmcnt(0)
	s_add_u32 s20, s20, s30
	s_addc_u32 s10, s21, s31
	s_and_b32 s21, s10, 0xffff
	v_lshlrev_b32_e32 v26, 4, v0
	buffer_load_dwordx4 v[2:5], v26, s[20:23], 0 offen glc slc
	s_load_dwordx2 s[20:21], s[4:5], 0x20
	s_waitcnt vmcnt(2)
	v_cvt_f32_u32_sdwa v7, v14 dst_sel:DWORD dst_unused:UNUSED_PAD src0_sel:WORD_1
	v_cvt_f32_u32_sdwa v6, v14 dst_sel:DWORD dst_unused:UNUSED_PAD src0_sel:WORD_0
	v_cvt_f32_u32_sdwa v9, v15 dst_sel:DWORD dst_unused:UNUSED_PAD src0_sel:WORD_1
	v_cvt_f32_u32_sdwa v8, v15 dst_sel:DWORD dst_unused:UNUSED_PAD src0_sel:WORD_0
	;; [unrolled: 2-line block ×4, first 2 shown]
	s_mul_hi_i32 s31, s25, s6
	s_mul_i32 s30, s25, s6
	s_lshl_b64 s[30:31], s[30:31], 1
	s_waitcnt lgkmcnt(0)
	s_add_u32 s20, s20, s30
	s_mov_b32 s10, 0x7060302
	s_addc_u32 s13, s21, s31
	s_and_b32 s21, s13, 0xffff
	s_waitcnt vmcnt(0)
	v_cvt_f32_u32_sdwa v17, v2 dst_sel:DWORD dst_unused:UNUSED_PAD src0_sel:WORD_1
	v_cvt_f32_u32_sdwa v16, v2 dst_sel:DWORD dst_unused:UNUSED_PAD src0_sel:WORD_0
	v_cvt_f32_u32_sdwa v21, v3 dst_sel:DWORD dst_unused:UNUSED_PAD src0_sel:WORD_1
	v_cvt_f32_u32_sdwa v20, v3 dst_sel:DWORD dst_unused:UNUSED_PAD src0_sel:WORD_0
	;; [unrolled: 2-line block ×4, first 2 shown]
	v_pk_add_f32 v[2:3], v[6:7], v[16:17]
	v_pk_add_f32 v[4:5], v[8:9], v[20:21]
	v_pk_add_f32 v[6:7], v[14:15], v[22:23]
	v_pk_add_f32 v[8:9], v[18:19], v[24:25]
	v_perm_b32 v17, v9, v8, s10
	v_perm_b32 v16, v7, v6, s10
	;; [unrolled: 1-line block ×4, first 2 shown]
	buffer_store_dwordx4 v[14:17], v26, s[20:23], 0 offen glc slc
	;;#ASMSTART
	s_nop 0
	;;#ASMEND
.LBB8_10:
	s_or_b64 exec, exec, s[28:29]
	s_mov_b32 s10, s8
.LBB8_11:
	s_waitcnt vmcnt(1)
	v_mul_f32_e32 v14, v3, v3
	v_fmac_f32_e32 v14, v2, v2
	v_fmac_f32_e32 v14, v4, v4
	;; [unrolled: 1-line block ×7, first 2 shown]
	v_bfrev_b32_e32 v16, 0.5
	s_load_dwordx2 s[28:29], s[4:5], 0x18
	v_mov_b32_dpp v15, v14 quad_perm:[1,0,3,2] row_mask:0xf bank_mask:0xf
	v_add_f32_e32 v14, v14, v15
	s_nop 1
	v_mov_b32_dpp v15, v14 quad_perm:[2,3,0,1] row_mask:0xf bank_mask:0xf
	v_add_f32_e32 v14, v14, v15
	s_nop 1
	v_mov_b32_dpp v15, v14 row_half_mirror row_mask:0xf bank_mask:0xf
	v_add_f32_e32 v14, v14, v15
	s_nop 1
	v_mov_b32_dpp v15, v14 row_mirror row_mask:0xf bank_mask:0xf
	v_add_f32_e32 v14, v14, v15
	s_nop 1
	v_mov_b32_dpp v15, v14 row_bcast:15 row_mask:0xf bank_mask:0xf
	v_add_f32_e32 v14, v14, v15
	s_nop 1
	v_mov_b32_dpp v15, v14 row_bcast:31 row_mask:0xf bank_mask:0xf
	v_add_f32_e32 v15, v14, v15
	v_mbcnt_lo_u32_b32 v14, -1, 0
	v_mbcnt_hi_u32_b32 v14, -1, v14
	v_lshl_or_b32 v14, v14, 2, v16
	ds_bpermute_b32 v15, v14, v15
	s_and_saveexec_b64 s[20:21], s[0:1]
	s_cbranch_execnz .LBB8_16
; %bb.12:
	s_or_b64 exec, exec, s[20:21]
	s_mov_b64 s[20:21], -1
	s_and_b64 vcc, exec, s[18:19]
	s_cbranch_vccnz .LBB8_17
.LBB8_13:
	s_andn2_b64 vcc, exec, s[20:21]
	s_cbranch_vccz .LBB8_20
.LBB8_14:
	s_cmp_lt_i32 s12, 1
	s_cbranch_scc0 .LBB8_27
.LBB8_15:
	s_endpgm
.LBB8_16:
	v_cvt_f32_u32_e32 v16, s7
	s_mov_b32 s7, 0x800000
	s_waitcnt lgkmcnt(0)
	v_div_scale_f32 v17, s[30:31], v16, v16, v15
	v_rcp_f32_e32 v18, v17
	v_div_scale_f32 v19, vcc, v15, v16, v15
	v_fma_f32 v20, -v17, v18, 1.0
	v_fmac_f32_e32 v18, v20, v18
	v_mul_f32_e32 v20, v19, v18
	v_fma_f32 v21, -v17, v20, v19
	v_fmac_f32_e32 v20, v21, v18
	v_fma_f32 v17, -v17, v20, v19
	v_div_fmas_f32 v17, v17, v18, v20
	v_div_fixup_f32 v15, v17, v16, v15
	v_add_f32_e32 v15, s10, v15
	v_mul_f32_e32 v16, 0x4b800000, v15
	v_cmp_gt_f32_e32 vcc, s7, v15
	v_cndmask_b32_e32 v15, v15, v16, vcc
	v_rsq_f32_e32 v15, v15
	s_waitcnt vmcnt(0)
	v_cvt_f32_u32_sdwa v19, v11 dst_sel:DWORD dst_unused:UNUSED_PAD src0_sel:WORD_1
	v_cvt_f32_u32_sdwa v18, v11 dst_sel:DWORD dst_unused:UNUSED_PAD src0_sel:WORD_0
	v_cvt_f32_u32_sdwa v11, v12 dst_sel:DWORD dst_unused:UNUSED_PAD src0_sel:WORD_1
	v_mul_f32_e32 v16, 0x45800000, v15
	v_cndmask_b32_e32 v16, v15, v16, vcc
	v_mov_b32_e32 v17, v16
	;;#ASMSTART
	v_pk_mul_f32 v[2:3], v[2:3], v[16:17]
	;;#ASMEND
	;;#ASMSTART
	v_pk_mul_f32 v[4:5], v[4:5], v[16:17]
	;;#ASMEND
	;; [unrolled: 3-line block ×4, first 2 shown]
	v_cvt_f32_u32_sdwa v17, v10 dst_sel:DWORD dst_unused:UNUSED_PAD src0_sel:WORD_1
	v_cvt_f32_u32_sdwa v16, v10 dst_sel:DWORD dst_unused:UNUSED_PAD src0_sel:WORD_0
	v_cvt_f32_u32_sdwa v10, v12 dst_sel:DWORD dst_unused:UNUSED_PAD src0_sel:WORD_0
	v_cvt_f32_u32_sdwa v21, v13 dst_sel:DWORD dst_unused:UNUSED_PAD src0_sel:WORD_1
	v_cvt_f32_u32_sdwa v20, v13 dst_sel:DWORD dst_unused:UNUSED_PAD src0_sel:WORD_0
	;;#ASMSTART
	v_pk_mul_f32 v[2:3], v[2:3], v[16:17]
	;;#ASMEND
	;;#ASMSTART
	v_pk_mul_f32 v[4:5], v[4:5], v[18:19]
	;;#ASMEND
	;; [unrolled: 3-line block ×4, first 2 shown]
	s_or_b64 exec, exec, s[20:21]
	s_mov_b64 s[20:21], -1
	s_and_b64 vcc, exec, s[18:19]
	s_cbranch_vccz .LBB8_13
.LBB8_17:
	s_and_saveexec_b64 s[18:19], s[0:1]
	s_cbranch_execz .LBB8_19
; %bb.18:
	s_waitcnt lgkmcnt(0)
	s_mul_hi_i32 s21, s24, s6
	s_mul_i32 s20, s24, s6
	s_lshl_b64 s[20:21], s[20:21], 1
	s_add_u32 s20, s28, s20
	s_addc_u32 s7, s29, s21
	s_and_b32 s21, s7, 0xffff
	s_mov_b32 s7, 0x7060302
	s_mov_b32 s23, 0x20000
	s_waitcnt vmcnt(0)
	v_perm_b32 v10, v3, v2, s7
	v_perm_b32 v11, v5, v4, s7
	;; [unrolled: 1-line block ×4, first 2 shown]
	v_lshlrev_b32_e32 v15, 4, v0
	buffer_store_dwordx4 v[10:13], v15, s[20:23], 0 offen
	;;#ASMSTART
	s_nop 0
	;;#ASMEND
.LBB8_19:
	s_or_b64 exec, exec, s[18:19]
	s_cbranch_execnz .LBB8_14
.LBB8_20:
	s_waitcnt vmcnt(0)
	v_mov_b32_e32 v10, 0
	s_and_saveexec_b64 s[18:19], s[0:1]
	s_cbranch_execz .LBB8_22
; %bb.21:
	v_and_b32_e32 v10, 0x7fffffff, v2
	v_and_b32_e32 v11, 0x7fffffff, v3
	v_mov_b32_e32 v12, 0x2edbe6ff
	;;#ASMSTART
	v_max3_f32 v10, v12, v10, v11

	;;#ASMEND
	v_and_b32_e32 v11, 0x7fffffff, v4
	v_and_b32_e32 v12, 0x7fffffff, v5
	;;#ASMSTART
	v_max3_f32 v10, v10, v11, v12

	;;#ASMEND
	v_and_b32_e32 v11, 0x7fffffff, v6
	v_and_b32_e32 v12, 0x7fffffff, v7
	;; [unrolled: 6-line block ×3, first 2 shown]
	;;#ASMSTART
	v_max3_f32 v10, v10, v11, v12

	;;#ASMEND
.LBB8_22:
	s_or_b64 exec, exec, s[18:19]
	s_nop 0
	v_mov_b32_dpp v11, v10 quad_perm:[1,0,3,2] row_mask:0xf bank_mask:0xf
	v_cmp_gt_f32_e32 vcc, v10, v11
	v_cndmask_b32_e32 v10, v11, v10, vcc
	s_nop 1
	v_mov_b32_dpp v11, v10 quad_perm:[2,3,0,1] row_mask:0xf bank_mask:0xf
	v_cmp_gt_f32_e32 vcc, v10, v11
	v_cndmask_b32_e32 v10, v11, v10, vcc
	s_nop 1
	v_mov_b32_dpp v11, v10 row_half_mirror row_mask:0xf bank_mask:0xf
	v_cmp_gt_f32_e32 vcc, v10, v11
	v_cndmask_b32_e32 v10, v11, v10, vcc
	s_nop 1
	v_mov_b32_dpp v11, v10 row_mirror row_mask:0xf bank_mask:0xf
	v_cmp_gt_f32_e32 vcc, v10, v11
	v_cndmask_b32_e32 v10, v11, v10, vcc
	s_nop 1
	v_mov_b32_dpp v11, v10 row_bcast:15 row_mask:0xf bank_mask:0xf
	v_cmp_gt_f32_e32 vcc, v10, v11
	v_cndmask_b32_e32 v10, v11, v10, vcc
	s_nop 1
	v_mov_b32_dpp v11, v10 row_bcast:31 row_mask:0xf bank_mask:0xf
	v_cmp_gt_f32_e32 vcc, v10, v11
	v_cndmask_b32_e32 v10, v11, v10, vcc
	ds_bpermute_b32 v10, v14, v10
	v_cmp_eq_u32_e32 vcc, 0, v0
	s_waitcnt lgkmcnt(0)
	v_mul_f32_e32 v10, 0x3b124925, v10
	s_and_saveexec_b64 s[18:19], vcc
	s_cbranch_execz .LBB8_24
; %bb.23:
	s_load_dwordx2 s[20:21], s[4:5], 0x8
	s_mul_hi_i32 s23, s3, s6
	s_mul_i32 s22, s3, s6
	s_lshl_b64 s[22:23], s[22:23], 2
	v_mov_b32_e32 v11, 0
	s_waitcnt lgkmcnt(0)
	s_add_u32 s20, s20, s22
	s_addc_u32 s21, s21, s23
	global_store_dword v11, v10, s[20:21]
.LBB8_24:
	s_or_b64 exec, exec, s[18:19]
	;;#ASMSTART
	v_rcp_f32 v10, v10
	;;#ASMEND
	s_and_saveexec_b64 s[18:19], s[0:1]
	s_cbranch_execz .LBB8_26
; %bb.25:
	v_mov_b32_e32 v11, v10
	;;#ASMSTART
	v_pk_mul_f32 v[2:3], v[2:3], v[10:11]
	;;#ASMEND
	v_mov_b32_e32 v12, 0xc3e00000
	v_mov_b32_e32 v13, 0x43e00000
	;;#ASMSTART
	v_med3_f32 v2, v2, v12, v13
v_med3_f32 v3, v3, v12, v13
v_cvt_pk_fp8_f32 v15, v2, v3
	;;#ASMEND
	s_load_dwordx2 s[0:1], s[4:5], 0x0
	;;#ASMSTART
	v_pk_mul_f32 v[2:3], v[4:5], v[10:11]
	;;#ASMEND
	;;#ASMSTART
	v_med3_f32 v2, v2, v12, v13
v_med3_f32 v3, v3, v12, v13
v_cvt_pk_fp8_f32 v4, v2, v3
	;;#ASMEND
	s_mov_b32 s8, 0x5040100
	v_perm_b32 v3, v4, v15, s8
	s_movk_i32 s8, 0xff
	v_and_b32_e32 v2, 0xffffff00, v4
	v_and_b32_sdwa v4, v3, s8 dst_sel:DWORD dst_unused:UNUSED_PAD src0_sel:WORD_1 src1_sel:DWORD
	s_mul_hi_i32 s3, s2, s6
	s_mul_i32 s2, s2, s6
	s_mov_b32 s7, 0xffff
	v_or_b32_sdwa v2, v4, v2 dst_sel:WORD_1 dst_unused:UNUSED_PAD src0_sel:DWORD src1_sel:DWORD
	s_waitcnt lgkmcnt(0)
	s_add_u32 s0, s0, s2
	v_and_or_b32 v2, v3, s7, v2
	;;#ASMSTART
	v_pk_mul_f32 v[4:5], v[6:7], v[10:11]
	;;#ASMEND
	v_mov_b32_e32 v3, v5
	s_addc_u32 s1, s1, s3
	s_add_i32 s2, s11, 3
	;;#ASMSTART
	v_med3_f32 v4, v4, v12, v13
v_med3_f32 v3, v3, v12, v13
v_cvt_pk_fp8_f32 v6, v4, v3
	;;#ASMEND
	s_ashr_i32 s3, s2, 31
	;;#ASMSTART
	v_pk_mul_f32 v[4:5], v[8:9], v[10:11]
	;;#ASMEND
	v_mov_b32_e32 v3, v5
	s_lshr_b32 s3, s3, 30
	;;#ASMSTART
	v_med3_f32 v4, v4, v12, v13
v_med3_f32 v3, v3, v12, v13
v_cvt_pk_fp8_f32 v5, v4, v3
	;;#ASMEND
	s_add_i32 s2, s2, s3
	v_lshlrev_b32_e32 v3, 16, v5
	s_and_b32 s2, s2, -4
	s_and_b32 s1, s1, 0xffff
	s_mov_b32 s3, 0x20000
	v_and_or_b32 v3, v6, s7, v3
	buffer_store_dwordx2 v[2:3], v1, s[0:3], 0 offen
	;;#ASMSTART
	s_nop 0
	;;#ASMEND
.LBB8_26:
	s_or_b64 exec, exec, s[18:19]
	s_cmp_lt_i32 s12, 1
	s_cbranch_scc1 .LBB8_15
.LBB8_27:
	s_load_dword s0, s[4:5], 0x94
	s_waitcnt lgkmcnt(0)
	s_cmp_lg_u32 s0, 1
	s_cbranch_scc1 .LBB8_15
; %bb.28:
	s_lshl_b32 s0, s12, 1
	s_add_i32 s0, s0, 2
	v_cmp_gt_u32_e32 vcc, s12, v1
	s_and_b32 s18, s0, -4
	v_mov_b32_e32 v4, 0
	s_waitcnt vmcnt(0)
	v_lshlrev_b32_e32 v12, 4, v0
	v_mov_b32_e32 v5, 0
	v_mov_b32_e32 v6, 0
	;; [unrolled: 1-line block ×7, first 2 shown]
	s_barrier
	s_and_saveexec_b64 s[0:1], vcc
	s_cbranch_execz .LBB8_30
; %bb.29:
	s_mul_hi_i32 s3, s14, s6
	s_mul_i32 s2, s14, s6
	s_and_b32 s17, s17, 0xffff
	s_lshl_b64 s[2:3], s[2:3], 1
	s_add_u32 s20, s26, s2
	s_mov_b32 s19, 0x20000
	s_addc_u32 s2, s27, s3
	s_and_b32 s21, s2, 0xffff
	s_mov_b32 s22, s18
	s_mov_b32 s23, s19
	buffer_load_dwordx4 v[4:7], v12, s[20:23], 0 offen glc slc
	buffer_load_dwordx4 v[0:3], v12, s[16:19], 0 offen
.LBB8_30:
	s_or_b64 exec, exec, s[0:1]
	s_waitcnt vmcnt(1)
	v_cvt_f32_u32_sdwa v11, v4 dst_sel:DWORD dst_unused:UNUSED_PAD src0_sel:WORD_1
	v_cvt_f32_u32_sdwa v10, v4 dst_sel:DWORD dst_unused:UNUSED_PAD src0_sel:WORD_0
	v_cvt_f32_u32_sdwa v4, v7 dst_sel:DWORD dst_unused:UNUSED_PAD src0_sel:WORD_1
	v_cvt_f32_u32_sdwa v7, v7 dst_sel:DWORD dst_unused:UNUSED_PAD src0_sel:WORD_0
	;; [unrolled: 2-line block ×4, first 2 shown]
	v_cndmask_b32_e32 v11, 0, v11, vcc
	v_cndmask_b32_e32 v5, 0, v4, vcc
	;; [unrolled: 1-line block ×5, first 2 shown]
	v_mul_f32_e32 v13, v11, v11
	v_cndmask_b32_e32 v8, 0, v8, vcc
	v_fmac_f32_e32 v13, v10, v10
	v_cndmask_b32_e32 v9, 0, v9, vcc
	v_fmac_f32_e32 v13, v8, v8
	v_cndmask_b32_e32 v6, 0, v6, vcc
	v_fmac_f32_e32 v13, v9, v9
	v_fmac_f32_e32 v13, v6, v6
	v_fmac_f32_e32 v13, v7, v7
	;; [unrolled: 1-line block ×4, first 2 shown]
	s_nop 1
	v_mov_b32_dpp v15, v13 quad_perm:[1,0,3,2] row_mask:0xf bank_mask:0xf
	v_add_f32_e32 v13, v13, v15
	s_nop 1
	v_mov_b32_dpp v15, v13 quad_perm:[2,3,0,1] row_mask:0xf bank_mask:0xf
	v_add_f32_e32 v13, v13, v15
	s_nop 1
	v_mov_b32_dpp v15, v13 row_half_mirror row_mask:0xf bank_mask:0xf
	v_add_f32_e32 v13, v13, v15
	s_nop 1
	v_mov_b32_dpp v15, v13 row_mirror row_mask:0xf bank_mask:0xf
	v_add_f32_e32 v13, v13, v15
	s_nop 1
	v_mov_b32_dpp v15, v13 row_bcast:15 row_mask:0xf bank_mask:0xf
	v_add_f32_e32 v13, v13, v15
	s_nop 1
	v_mov_b32_dpp v15, v13 row_bcast:31 row_mask:0xf bank_mask:0xf
	v_add_f32_e32 v13, v13, v15
	ds_bpermute_b32 v13, v14, v13
	s_and_saveexec_b64 s[0:1], vcc
	s_cbranch_execz .LBB8_15
; %bb.31:
	v_cvt_f32_u32_e32 v14, s12
	s_mov_b32 s19, 0x20000
	s_waitcnt lgkmcnt(0)
	v_div_scale_f32 v15, s[0:1], v14, v14, v13
	v_rcp_f32_e32 v16, v15
	v_div_scale_f32 v17, vcc, v13, v14, v13
	s_mov_b32 s0, 0x800000
	v_fma_f32 v18, -v15, v16, 1.0
	v_fmac_f32_e32 v16, v18, v16
	v_mul_f32_e32 v18, v17, v16
	v_fma_f32 v19, -v15, v18, v17
	v_fmac_f32_e32 v18, v19, v16
	v_fma_f32 v15, -v15, v18, v17
	v_div_fmas_f32 v15, v15, v16, v18
	v_div_fixup_f32 v13, v15, v14, v13
	v_add_f32_e32 v13, s9, v13
	v_mul_f32_e32 v14, 0x4b800000, v13
	v_cmp_gt_f32_e32 vcc, s0, v13
	v_cndmask_b32_e32 v13, v13, v14, vcc
	v_rsq_f32_e32 v13, v13
	s_mul_hi_i32 s1, s24, s6
	s_mul_i32 s0, s24, s6
	s_lshl_b64 s[0:1], s[0:1], 1
	v_mul_f32_e32 v14, 0x45800000, v13
	v_cndmask_b32_e32 v14, v13, v14, vcc
	s_add_u32 s16, s28, s0
	v_mov_b32_e32 v15, v14
	s_addc_u32 s0, s29, s1
	;;#ASMSTART
	v_pk_mul_f32 v[10:11], v[10:11], v[14:15]
	;;#ASMEND
	;;#ASMSTART
	v_pk_mul_f32 v[8:9], v[8:9], v[14:15]
	;;#ASMEND
	;; [unrolled: 3-line block ×4, first 2 shown]
	s_waitcnt vmcnt(0)
	v_cvt_f32_u32_sdwa v15, v0 dst_sel:DWORD dst_unused:UNUSED_PAD src0_sel:WORD_1
	v_cvt_f32_u32_sdwa v14, v0 dst_sel:DWORD dst_unused:UNUSED_PAD src0_sel:WORD_0
	v_cvt_f32_u32_sdwa v17, v1 dst_sel:DWORD dst_unused:UNUSED_PAD src0_sel:WORD_1
	v_cvt_f32_u32_sdwa v16, v1 dst_sel:DWORD dst_unused:UNUSED_PAD src0_sel:WORD_0
	;; [unrolled: 2-line block ×4, first 2 shown]
	;;#ASMSTART
	v_pk_mul_f32 v[2:3], v[10:11], v[14:15]
	;;#ASMEND
	s_and_b32 s17, s0, 0xffff
	s_mov_b32 s0, 0x7060302
	;;#ASMSTART
	v_pk_mul_f32 v[8:9], v[8:9], v[16:17]
	;;#ASMEND
	;;#ASMSTART
	v_pk_mul_f32 v[6:7], v[6:7], v[0:1]
	;;#ASMEND
	;; [unrolled: 3-line block ×3, first 2 shown]
	v_perm_b32 v0, v3, v2, s0
	v_perm_b32 v1, v9, v8, s0
	;; [unrolled: 1-line block ×4, first 2 shown]
	buffer_store_dwordx4 v[0:3], v12, s[16:19], 0 offen
	;;#ASMSTART
	s_nop 0
	;;#ASMEND
	s_endpgm
	.section	.rodata,"a",@progbits
	.p2align	6, 0x0
	.amdhsa_kernel _ZN5aiter35fused_qk_rmsnorm_group_quant_kernelItDB8_Li64ELi8ELi1ELb1ELb0ELb0ELb0ELb1ELb1EEEvPT0_PvPT_S6_S6_PKS5_S8_S8_S8_S8_ffiiiiiiiiiiiii
		.amdhsa_group_segment_fixed_size 0
		.amdhsa_private_segment_fixed_size 0
		.amdhsa_kernarg_size 400
		.amdhsa_user_sgpr_count 6
		.amdhsa_user_sgpr_private_segment_buffer 1
		.amdhsa_user_sgpr_dispatch_ptr 0
		.amdhsa_user_sgpr_queue_ptr 0
		.amdhsa_user_sgpr_kernarg_segment_ptr 1
		.amdhsa_user_sgpr_dispatch_id 0
		.amdhsa_user_sgpr_flat_scratch_init 0
		.amdhsa_user_sgpr_kernarg_preload_length 0
		.amdhsa_user_sgpr_kernarg_preload_offset 0
		.amdhsa_user_sgpr_private_segment_size 0
		.amdhsa_uses_dynamic_stack 0
		.amdhsa_system_sgpr_private_segment_wavefront_offset 0
		.amdhsa_system_sgpr_workgroup_id_x 1
		.amdhsa_system_sgpr_workgroup_id_y 1
		.amdhsa_system_sgpr_workgroup_id_z 0
		.amdhsa_system_sgpr_workgroup_info 0
		.amdhsa_system_vgpr_workitem_id 0
		.amdhsa_next_free_vgpr 27
		.amdhsa_next_free_sgpr 44
		.amdhsa_accum_offset 28
		.amdhsa_reserve_vcc 1
		.amdhsa_reserve_flat_scratch 0
		.amdhsa_float_round_mode_32 0
		.amdhsa_float_round_mode_16_64 0
		.amdhsa_float_denorm_mode_32 3
		.amdhsa_float_denorm_mode_16_64 3
		.amdhsa_dx10_clamp 1
		.amdhsa_ieee_mode 1
		.amdhsa_fp16_overflow 0
		.amdhsa_tg_split 0
		.amdhsa_exception_fp_ieee_invalid_op 0
		.amdhsa_exception_fp_denorm_src 0
		.amdhsa_exception_fp_ieee_div_zero 0
		.amdhsa_exception_fp_ieee_overflow 0
		.amdhsa_exception_fp_ieee_underflow 0
		.amdhsa_exception_fp_ieee_inexact 0
		.amdhsa_exception_int_div_zero 0
	.end_amdhsa_kernel
	.section	.text._ZN5aiter35fused_qk_rmsnorm_group_quant_kernelItDB8_Li64ELi8ELi1ELb1ELb0ELb0ELb0ELb1ELb1EEEvPT0_PvPT_S6_S6_PKS5_S8_S8_S8_S8_ffiiiiiiiiiiiii,"axG",@progbits,_ZN5aiter35fused_qk_rmsnorm_group_quant_kernelItDB8_Li64ELi8ELi1ELb1ELb0ELb0ELb0ELb1ELb1EEEvPT0_PvPT_S6_S6_PKS5_S8_S8_S8_S8_ffiiiiiiiiiiiii,comdat
.Lfunc_end8:
	.size	_ZN5aiter35fused_qk_rmsnorm_group_quant_kernelItDB8_Li64ELi8ELi1ELb1ELb0ELb0ELb0ELb1ELb1EEEvPT0_PvPT_S6_S6_PKS5_S8_S8_S8_S8_ffiiiiiiiiiiiii, .Lfunc_end8-_ZN5aiter35fused_qk_rmsnorm_group_quant_kernelItDB8_Li64ELi8ELi1ELb1ELb0ELb0ELb0ELb1ELb1EEEvPT0_PvPT_S6_S6_PKS5_S8_S8_S8_S8_ffiiiiiiiiiiiii
                                        ; -- End function
	.section	.AMDGPU.csdata,"",@progbits
; Kernel info:
; codeLenInByte = 2876
; NumSgprs: 48
; NumVgprs: 27
; NumAgprs: 0
; TotalNumVgprs: 27
; ScratchSize: 0
; MemoryBound: 0
; FloatMode: 240
; IeeeMode: 1
; LDSByteSize: 0 bytes/workgroup (compile time only)
; SGPRBlocks: 5
; VGPRBlocks: 3
; NumSGPRsForWavesPerEU: 48
; NumVGPRsForWavesPerEU: 27
; AccumOffset: 28
; Occupancy: 8
; WaveLimiterHint : 0
; COMPUTE_PGM_RSRC2:SCRATCH_EN: 0
; COMPUTE_PGM_RSRC2:USER_SGPR: 6
; COMPUTE_PGM_RSRC2:TRAP_HANDLER: 0
; COMPUTE_PGM_RSRC2:TGID_X_EN: 1
; COMPUTE_PGM_RSRC2:TGID_Y_EN: 1
; COMPUTE_PGM_RSRC2:TGID_Z_EN: 0
; COMPUTE_PGM_RSRC2:TIDIG_COMP_CNT: 0
; COMPUTE_PGM_RSRC3_GFX90A:ACCUM_OFFSET: 6
; COMPUTE_PGM_RSRC3_GFX90A:TG_SPLIT: 0
	.section	.text._ZN5aiter35fused_qk_rmsnorm_group_quant_kernelIDF16_DB8_Li64ELi8ELi1ELb0ELb1ELb1ELb0ELb1ELb1EEEvPT0_PvPT_S6_S6_PKS5_S8_S8_S8_S8_ffiiiiiiiiiiiii,"axG",@progbits,_ZN5aiter35fused_qk_rmsnorm_group_quant_kernelIDF16_DB8_Li64ELi8ELi1ELb0ELb1ELb1ELb0ELb1ELb1EEEvPT0_PvPT_S6_S6_PKS5_S8_S8_S8_S8_ffiiiiiiiiiiiii,comdat
	.protected	_ZN5aiter35fused_qk_rmsnorm_group_quant_kernelIDF16_DB8_Li64ELi8ELi1ELb0ELb1ELb1ELb0ELb1ELb1EEEvPT0_PvPT_S6_S6_PKS5_S8_S8_S8_S8_ffiiiiiiiiiiiii ; -- Begin function _ZN5aiter35fused_qk_rmsnorm_group_quant_kernelIDF16_DB8_Li64ELi8ELi1ELb0ELb1ELb1ELb0ELb1ELb1EEEvPT0_PvPT_S6_S6_PKS5_S8_S8_S8_S8_ffiiiiiiiiiiiii
	.globl	_ZN5aiter35fused_qk_rmsnorm_group_quant_kernelIDF16_DB8_Li64ELi8ELi1ELb0ELb1ELb1ELb0ELb1ELb1EEEvPT0_PvPT_S6_S6_PKS5_S8_S8_S8_S8_ffiiiiiiiiiiiii
	.p2align	8
	.type	_ZN5aiter35fused_qk_rmsnorm_group_quant_kernelIDF16_DB8_Li64ELi8ELi1ELb0ELb1ELb1ELb0ELb1ELb1EEEvPT0_PvPT_S6_S6_PKS5_S8_S8_S8_S8_ffiiiiiiiiiiiii,@function
_ZN5aiter35fused_qk_rmsnorm_group_quant_kernelIDF16_DB8_Li64ELi8ELi1ELb0ELb1ELb1ELb0ELb1ELb1EEEvPT0_PvPT_S6_S6_PKS5_S8_S8_S8_S8_ffiiiiiiiiiiiii: ; @_ZN5aiter35fused_qk_rmsnorm_group_quant_kernelIDF16_DB8_Li64ELi8ELi1ELb0ELb1ELb1ELb0ELb1ELb1EEEvPT0_PvPT_S6_S6_PKS5_S8_S8_S8_S8_ffiiiiiiiiiiiii
; %bb.0:
	s_load_dwordx4 s[12:15], s[4:5], 0x50
	s_waitcnt lgkmcnt(0)
	s_cmp_ge_i32 s6, s14
	s_cbranch_scc1 .LBB9_10
; %bb.1:
	s_load_dwordx2 s[8:9], s[4:5], 0x48
	s_load_dwordx2 s[26:27], s[4:5], 0x30
	s_load_dwordx4 s[16:19], s[4:5], 0x60
	s_cmp_lg_u32 s7, 0
	s_cselect_b64 s[2:3], -1, 0
	s_cmp_eq_u32 s7, 0
	s_cselect_b64 vcc, -1, 0
	s_and_b64 s[0:1], vcc, exec
	s_waitcnt lgkmcnt(0)
	s_cselect_b32 s7, s15, s16
	s_add_i32 s0, s7, 1
	s_lshr_b32 s1, s0, 31
	s_add_i32 s0, s0, s1
	s_lshl_b32 s0, s0, 1
	v_lshlrev_b32_e32 v1, 3, v0
	s_and_b32 s22, s0, -4
	v_cmp_gt_i32_e64 s[0:1], s7, v1
	v_mov_b32_e32 v10, 0
	v_mov_b32_e32 v2, 0
	;; [unrolled: 1-line block ×9, first 2 shown]
	s_and_saveexec_b64 s[10:11], s[0:1]
	s_cbranch_execz .LBB9_3
; %bb.2:
	s_load_dwordx2 s[20:21], s[4:5], 0x28
	s_load_dwordx2 s[24:25], s[4:5], 0x40
	s_and_b64 s[28:29], vcc, exec
	s_cselect_b32 s14, s17, s18
	s_mov_b32 s23, 0x20000
	s_waitcnt lgkmcnt(0)
	s_cselect_b32 s17, s21, s27
	s_cselect_b32 s19, s20, s26
	s_mul_hi_i32 s21, s14, s6
	s_mul_i32 s20, s14, s6
	s_lshl_b64 s[20:21], s[20:21], 1
	s_add_u32 s28, s19, s20
	s_addc_u32 s14, s17, s21
	s_and_b64 s[20:21], vcc, exec
	s_cselect_b32 s20, s24, s8
	s_cselect_b32 s17, s25, s9
	v_lshlrev_b32_e32 v11, 4, v0
	s_and_b32 s29, s14, 0xffff
	s_mov_b32 s30, s22
	s_mov_b32 s31, s23
	s_and_b32 s21, s17, 0xffff
	buffer_load_dwordx4 v[6:9], v11, s[28:31], 0 offen glc slc
	buffer_load_dwordx4 v[2:5], v11, s[20:23], 0 offen
.LBB9_3:
	s_or_b64 exec, exec, s[10:11]
	v_mov_b32_e32 v11, 0
	v_mov_b32_e32 v16, 0
	;; [unrolled: 1-line block ×7, first 2 shown]
	s_and_saveexec_b64 s[10:11], s[0:1]
	s_cbranch_execz .LBB9_5
; %bb.4:
	s_waitcnt vmcnt(1)
	v_cvt_f32_f16_sdwa v11, v6 dst_sel:DWORD dst_unused:UNUSED_PAD src0_sel:WORD_1
	v_cvt_f32_f16_e32 v10, v6
	v_cvt_f32_f16_sdwa v17, v7 dst_sel:DWORD dst_unused:UNUSED_PAD src0_sel:WORD_1
	v_cvt_f32_f16_e32 v16, v7
	;; [unrolled: 2-line block ×4, first 2 shown]
.LBB9_5:
	s_or_b64 exec, exec, s[10:11]
	s_waitcnt vmcnt(1)
	v_mul_f32_e32 v6, v11, v11
	v_fmac_f32_e32 v6, v10, v10
	v_fmac_f32_e32 v6, v16, v16
	;; [unrolled: 1-line block ×7, first 2 shown]
	v_bfrev_b32_e32 v8, 0.5
	s_load_dwordx2 s[24:25], s[4:5], 0x18
	v_mov_b32_dpp v7, v6 quad_perm:[1,0,3,2] row_mask:0xf bank_mask:0xf
	v_add_f32_e32 v6, v6, v7
	s_nop 1
	v_mov_b32_dpp v7, v6 quad_perm:[2,3,0,1] row_mask:0xf bank_mask:0xf
	v_add_f32_e32 v6, v6, v7
	s_nop 1
	v_mov_b32_dpp v7, v6 row_half_mirror row_mask:0xf bank_mask:0xf
	v_add_f32_e32 v6, v6, v7
	s_nop 1
	v_mov_b32_dpp v7, v6 row_mirror row_mask:0xf bank_mask:0xf
	v_add_f32_e32 v6, v6, v7
	s_nop 1
	v_mov_b32_dpp v7, v6 row_bcast:15 row_mask:0xf bank_mask:0xf
	v_add_f32_e32 v6, v6, v7
	s_nop 1
	v_mov_b32_dpp v7, v6 row_bcast:31 row_mask:0xf bank_mask:0xf
	v_add_f32_e32 v6, v6, v7
	v_mbcnt_lo_u32_b32 v7, -1, 0
	v_mbcnt_hi_u32_b32 v7, -1, v7
	v_lshl_or_b32 v18, v7, 2, v8
	ds_bpermute_b32 v6, v18, v6
	s_and_saveexec_b64 s[10:11], s[0:1]
	s_cbranch_execz .LBB9_7
; %bb.6:
	v_cvt_f32_u32_e32 v7, s7
	v_mov_b32_e32 v8, s13
	v_mov_b32_e32 v9, s12
	v_cndmask_b32_e32 v8, v8, v9, vcc
	s_waitcnt lgkmcnt(0)
	v_div_scale_f32 v19, s[20:21], v7, v7, v6
	v_rcp_f32_e32 v20, v19
	v_div_scale_f32 v9, vcc, v6, v7, v6
	s_mov_b32 s7, 0x800000
	v_fma_f32 v21, -v19, v20, 1.0
	v_fmac_f32_e32 v20, v21, v20
	v_mul_f32_e32 v21, v9, v20
	v_fma_f32 v22, -v19, v21, v9
	v_fmac_f32_e32 v21, v22, v20
	v_fma_f32 v9, -v19, v21, v9
	v_div_fmas_f32 v9, v9, v20, v21
	v_div_fixup_f32 v6, v9, v7, v6
	v_add_f32_e32 v6, v8, v6
	v_mul_f32_e32 v7, 0x4b800000, v6
	v_cmp_gt_f32_e32 vcc, s7, v6
	v_cndmask_b32_e32 v6, v6, v7, vcc
	v_rsq_f32_e32 v6, v6
	s_waitcnt vmcnt(0)
	v_cvt_f32_f16_sdwa v21, v3 dst_sel:DWORD dst_unused:UNUSED_PAD src0_sel:WORD_1
	v_cvt_f32_f16_e32 v20, v3
	v_mul_f32_e32 v7, 0x45800000, v6
	v_cndmask_b32_e32 v6, v6, v7, vcc
	v_mov_b32_e32 v7, v6
	;;#ASMSTART
	v_pk_mul_f32 v[8:9], v[10:11], v[6:7]
	;;#ASMEND
	v_cvt_f32_f16_sdwa v11, v2 dst_sel:DWORD dst_unused:UNUSED_PAD src0_sel:WORD_1
	v_cvt_f32_f16_e32 v10, v2
	;;#ASMSTART
	v_pk_mul_f32 v[16:17], v[16:17], v[6:7]
	;;#ASMEND
	;;#ASMSTART
	v_pk_mul_f32 v[14:15], v[14:15], v[6:7]
	;;#ASMEND
	;; [unrolled: 3-line block ×3, first 2 shown]
	v_pk_add_f32 v[6:7], v[10:11], 1.0 op_sel_hi:[1,0]
	;;#ASMSTART
	v_pk_mul_f32 v[10:11], v[8:9], v[6:7]
	;;#ASMEND
	v_cvt_f32_f16_sdwa v9, v4 dst_sel:DWORD dst_unused:UNUSED_PAD src0_sel:WORD_1
	v_cvt_f32_f16_e32 v8, v4
	v_cvt_f32_f16_sdwa v13, v5 dst_sel:DWORD dst_unused:UNUSED_PAD src0_sel:WORD_1
	v_cvt_f32_f16_e32 v12, v5
	v_pk_add_f32 v[6:7], v[20:21], 1.0 op_sel_hi:[1,0]
	v_pk_add_f32 v[4:5], v[8:9], 1.0 op_sel_hi:[1,0]
	;;#ASMSTART
	v_pk_mul_f32 v[16:17], v[16:17], v[6:7]
	;;#ASMEND
	;;#ASMSTART
	v_pk_mul_f32 v[14:15], v[14:15], v[4:5]
	;;#ASMEND
	v_pk_add_f32 v[4:5], v[12:13], 1.0 op_sel_hi:[1,0]
	;;#ASMSTART
	v_pk_mul_f32 v[12:13], v[2:3], v[4:5]
	;;#ASMEND
.LBB9_7:
	s_or_b64 exec, exec, s[10:11]
	s_load_dwordx2 s[28:29], s[4:5], 0x7c
	s_mov_b64 s[10:11], -1
	s_and_b64 vcc, exec, s[2:3]
	s_cbranch_vccnz .LBB9_11
; %bb.8:
	s_andn2_b64 vcc, exec, s[10:11]
	s_cbranch_vccz .LBB9_14
.LBB9_9:
	s_cmp_lt_i32 s16, 1
	s_cbranch_scc0 .LBB9_23
.LBB9_10:
	s_endpgm
.LBB9_11:
	s_and_saveexec_b64 s[2:3], s[0:1]
	s_cbranch_execz .LBB9_13
; %bb.12:
	s_waitcnt lgkmcnt(0)
	s_mul_hi_i32 s11, s29, s6
	s_mul_i32 s10, s29, s6
	s_waitcnt vmcnt(0)
	v_cvt_f16_f32_e32 v2, v10
	v_cvt_f16_f32_e32 v3, v16
	;; [unrolled: 1-line block ×8, first 2 shown]
	s_lshl_b64 s[10:11], s[10:11], 1
	s_add_u32 s20, s24, s10
	s_addc_u32 s7, s25, s11
	s_and_b32 s21, s7, 0xffff
	s_mov_b32 s23, 0x20000
	v_pack_b32_f16 v5, v5, v6
	v_pack_b32_f16 v4, v4, v7
	;; [unrolled: 1-line block ×4, first 2 shown]
	v_lshlrev_b32_e32 v6, 4, v0
	buffer_store_dwordx4 v[2:5], v6, s[20:23], 0 offen
	;;#ASMSTART
	s_nop 0
	;;#ASMEND
.LBB9_13:
	s_or_b64 exec, exec, s[2:3]
	s_cbranch_execnz .LBB9_9
.LBB9_14:
	s_waitcnt vmcnt(0)
	v_mov_b32_e32 v2, 0
	s_and_saveexec_b64 s[2:3], s[0:1]
	s_cbranch_execz .LBB9_16
; %bb.15:
	s_load_dwordx2 s[10:11], s[4:5], 0x10
	s_waitcnt lgkmcnt(0)
	s_mul_hi_i32 s21, s28, s6
	s_mul_i32 s20, s28, s6
	v_cvt_f16_f32_e32 v2, v10
	v_cvt_f16_f32_e32 v3, v16
	;; [unrolled: 1-line block ×8, first 2 shown]
	s_lshl_b64 s[20:21], s[20:21], 1
	s_add_u32 s20, s10, s20
	s_addc_u32 s7, s11, s21
	s_mov_b32 s23, 0x20000
	s_and_b32 s21, s7, 0xffff
	v_pack_b32_f16 v5, v5, v6
	v_pack_b32_f16 v4, v4, v7
	;; [unrolled: 1-line block ×4, first 2 shown]
	v_lshlrev_b32_e32 v6, 4, v0
	buffer_store_dwordx4 v[2:5], v6, s[20:23], 0 offen
	;;#ASMSTART
	s_nop 0
	;;#ASMEND
	s_nop 0
	v_mov_b32_e32 v2, 0x2edbe6ff
.LBB9_16:
	s_or_b64 exec, exec, s[2:3]
	s_and_saveexec_b64 s[2:3], s[0:1]
	s_cbranch_execz .LBB9_18
; %bb.17:
	v_and_b32_e32 v3, 0x7fffffff, v10
	v_and_b32_e32 v4, 0x7fffffff, v11
	;;#ASMSTART
	v_max3_f32 v2, v2, v3, v4

	;;#ASMEND
	v_and_b32_e32 v3, 0x7fffffff, v16
	v_and_b32_e32 v4, 0x7fffffff, v17
	;;#ASMSTART
	v_max3_f32 v2, v2, v3, v4

	;;#ASMEND
	;; [unrolled: 6-line block ×4, first 2 shown]
.LBB9_18:
	s_or_b64 exec, exec, s[2:3]
	s_nop 0
	v_mov_b32_dpp v3, v2 quad_perm:[1,0,3,2] row_mask:0xf bank_mask:0xf
	v_cmp_gt_f32_e32 vcc, v2, v3
	v_cndmask_b32_e32 v2, v3, v2, vcc
	s_load_dwordx2 s[2:3], s[4:5], 0x70
	s_nop 0
	v_mov_b32_dpp v3, v2 quad_perm:[2,3,0,1] row_mask:0xf bank_mask:0xf
	v_cmp_gt_f32_e32 vcc, v2, v3
	v_cndmask_b32_e32 v2, v3, v2, vcc
	s_nop 1
	v_mov_b32_dpp v3, v2 row_half_mirror row_mask:0xf bank_mask:0xf
	v_cmp_gt_f32_e32 vcc, v2, v3
	v_cndmask_b32_e32 v2, v3, v2, vcc
	s_nop 1
	v_mov_b32_dpp v3, v2 row_mirror row_mask:0xf bank_mask:0xf
	v_cmp_gt_f32_e32 vcc, v2, v3
	v_cndmask_b32_e32 v2, v3, v2, vcc
	s_nop 1
	v_mov_b32_dpp v3, v2 row_bcast:15 row_mask:0xf bank_mask:0xf
	v_cmp_gt_f32_e32 vcc, v2, v3
	v_cndmask_b32_e32 v2, v3, v2, vcc
	s_nop 1
	v_mov_b32_dpp v3, v2 row_bcast:31 row_mask:0xf bank_mask:0xf
	v_cmp_gt_f32_e32 vcc, v2, v3
	v_cndmask_b32_e32 v2, v3, v2, vcc
	ds_bpermute_b32 v2, v18, v2
	v_cmp_eq_u32_e32 vcc, 0, v0
	s_waitcnt lgkmcnt(0)
	v_mul_f32_e32 v2, 0x3b124925, v2
	s_and_saveexec_b64 s[10:11], vcc
	s_cbranch_execz .LBB9_20
; %bb.19:
	s_load_dwordx2 s[20:21], s[4:5], 0x8
	s_mul_hi_i32 s23, s3, s6
	s_mul_i32 s22, s3, s6
	s_lshl_b64 s[22:23], s[22:23], 2
	v_mov_b32_e32 v3, 0
	s_waitcnt lgkmcnt(0)
	s_add_u32 s20, s20, s22
	s_addc_u32 s21, s21, s23
	global_store_dword v3, v2, s[20:21]
.LBB9_20:
	s_or_b64 exec, exec, s[10:11]
	;;#ASMSTART
	v_rcp_f32 v2, v2
	;;#ASMEND
	s_and_saveexec_b64 s[10:11], s[0:1]
	s_cbranch_execz .LBB9_22
; %bb.21:
	v_mov_b32_e32 v3, v2
	;;#ASMSTART
	v_pk_mul_f32 v[4:5], v[10:11], v[2:3]
	;;#ASMEND
	s_load_dwordx2 s[0:1], s[4:5], 0x0
	v_mov_b32_e32 v8, 0xc3e00000
	v_mov_b32_e32 v9, 0x43e00000
	;;#ASMSTART
	v_med3_f32 v4, v4, v8, v9
v_med3_f32 v5, v5, v8, v9
v_cvt_pk_fp8_f32 v6, v4, v5
	;;#ASMEND
	;;#ASMSTART
	v_pk_mul_f32 v[4:5], v[16:17], v[2:3]
	;;#ASMEND
	;;#ASMSTART
	v_med3_f32 v4, v4, v8, v9
v_med3_f32 v5, v5, v8, v9
v_cvt_pk_fp8_f32 v7, v4, v5
	;;#ASMEND
	s_mov_b32 s12, 0x5040100
	v_perm_b32 v5, v7, v6, s12
	s_movk_i32 s12, 0xff
	s_mul_hi_i32 s3, s2, s6
	s_mul_i32 s2, s2, s6
	v_and_b32_e32 v4, 0xffffff00, v7
	v_and_b32_sdwa v6, v5, s12 dst_sel:DWORD dst_unused:UNUSED_PAD src0_sel:WORD_1 src1_sel:DWORD
	s_mov_b32 s7, 0xffff
	s_waitcnt lgkmcnt(0)
	s_add_u32 s0, s0, s2
	v_or_b32_sdwa v4, v6, v4 dst_sel:WORD_1 dst_unused:UNUSED_PAD src0_sel:DWORD src1_sel:DWORD
	s_addc_u32 s1, s1, s3
	s_add_i32 s2, s15, 3
	v_and_or_b32 v4, v5, s7, v4
	;;#ASMSTART
	v_pk_mul_f32 v[6:7], v[14:15], v[2:3]
	;;#ASMEND
	v_mov_b32_e32 v5, v7
	s_ashr_i32 s3, s2, 31
	;;#ASMSTART
	v_med3_f32 v6, v6, v8, v9
v_med3_f32 v5, v5, v8, v9
v_cvt_pk_fp8_f32 v7, v6, v5
	;;#ASMEND
	;;#ASMSTART
	v_pk_mul_f32 v[2:3], v[12:13], v[2:3]
	;;#ASMEND
	s_lshr_b32 s3, s3, 30
	;;#ASMSTART
	v_med3_f32 v2, v2, v8, v9
v_med3_f32 v3, v3, v8, v9
v_cvt_pk_fp8_f32 v5, v2, v3
	;;#ASMEND
	s_add_i32 s2, s2, s3
	v_lshlrev_b32_e32 v2, 16, v5
	s_and_b32 s2, s2, -4
	s_and_b32 s1, s1, 0xffff
	s_mov_b32 s3, 0x20000
	v_and_or_b32 v5, v7, s7, v2
	buffer_store_dwordx2 v[4:5], v1, s[0:3], 0 offen
	;;#ASMSTART
	s_nop 0
	;;#ASMEND
.LBB9_22:
	s_or_b64 exec, exec, s[10:11]
	s_cmp_lt_i32 s16, 1
	s_cbranch_scc1 .LBB9_10
.LBB9_23:
	s_load_dword s0, s[4:5], 0x94
	s_waitcnt lgkmcnt(0)
	s_cmp_lg_u32 s0, 1
	s_cbranch_scc1 .LBB9_10
; %bb.24:
	s_lshl_b32 s0, s16, 1
	s_add_i32 s0, s0, 2
	v_cmp_gt_u32_e32 vcc, s16, v1
	s_and_b32 s10, s0, -4
	v_mov_b32_e32 v8, 0
	v_lshlrev_b32_e32 v16, 4, v0
	s_waitcnt vmcnt(0)
	v_mov_b32_e32 v4, 0
	v_mov_b32_e32 v5, 0
	;; [unrolled: 1-line block ×8, first 2 shown]
	s_barrier
	s_and_saveexec_b64 s[0:1], vcc
	s_cbranch_execz .LBB9_26
; %bb.25:
	s_mul_hi_i32 s3, s18, s6
	s_mul_i32 s2, s18, s6
	s_and_b32 s9, s9, 0xffff
	s_lshl_b64 s[2:3], s[2:3], 1
	s_add_u32 s20, s26, s2
	s_mov_b32 s11, 0x20000
	s_addc_u32 s2, s27, s3
	s_and_b32 s21, s2, 0xffff
	s_mov_b32 s22, s10
	s_mov_b32 s23, s11
	buffer_load_dwordx4 v[4:7], v16, s[20:23], 0 offen glc slc
	buffer_load_dwordx4 v[0:3], v16, s[8:11], 0 offen
.LBB9_26:
	s_or_b64 exec, exec, s[0:1]
	v_mov_b32_e32 v9, 0
	v_mov_b32_e32 v12, 0
	;; [unrolled: 1-line block ×7, first 2 shown]
	s_and_saveexec_b64 s[0:1], vcc
	s_cbranch_execz .LBB9_28
; %bb.27:
	s_waitcnt vmcnt(1)
	v_cvt_f32_f16_sdwa v9, v4 dst_sel:DWORD dst_unused:UNUSED_PAD src0_sel:WORD_1
	v_cvt_f32_f16_e32 v8, v4
	v_cvt_f32_f16_sdwa v13, v5 dst_sel:DWORD dst_unused:UNUSED_PAD src0_sel:WORD_1
	v_cvt_f32_f16_e32 v12, v5
	v_cvt_f32_f16_sdwa v15, v6 dst_sel:DWORD dst_unused:UNUSED_PAD src0_sel:WORD_1
	v_cvt_f32_f16_e32 v14, v6
	v_cvt_f32_f16_sdwa v11, v7 dst_sel:DWORD dst_unused:UNUSED_PAD src0_sel:WORD_1
	v_cvt_f32_f16_e32 v10, v7
.LBB9_28:
	s_or_b64 exec, exec, s[0:1]
	s_waitcnt vmcnt(1)
	v_mul_f32_e32 v4, v9, v9
	v_fmac_f32_e32 v4, v8, v8
	v_fmac_f32_e32 v4, v12, v12
	;; [unrolled: 1-line block ×7, first 2 shown]
	s_nop 1
	v_mov_b32_dpp v5, v4 quad_perm:[1,0,3,2] row_mask:0xf bank_mask:0xf
	v_add_f32_e32 v4, v4, v5
	s_nop 1
	v_mov_b32_dpp v5, v4 quad_perm:[2,3,0,1] row_mask:0xf bank_mask:0xf
	v_add_f32_e32 v4, v4, v5
	s_nop 1
	v_mov_b32_dpp v5, v4 row_half_mirror row_mask:0xf bank_mask:0xf
	v_add_f32_e32 v4, v4, v5
	s_nop 1
	v_mov_b32_dpp v5, v4 row_mirror row_mask:0xf bank_mask:0xf
	v_add_f32_e32 v4, v4, v5
	s_nop 1
	v_mov_b32_dpp v5, v4 row_bcast:15 row_mask:0xf bank_mask:0xf
	v_add_f32_e32 v4, v4, v5
	s_nop 1
	v_mov_b32_dpp v5, v4 row_bcast:31 row_mask:0xf bank_mask:0xf
	v_add_f32_e32 v4, v4, v5
	ds_bpermute_b32 v4, v18, v4
	s_and_saveexec_b64 s[0:1], vcc
	s_cbranch_execz .LBB9_10
; %bb.29:
	v_cvt_f32_u32_e32 v5, s16
	s_mov_b32 s11, 0x20000
	s_waitcnt lgkmcnt(0)
	v_div_scale_f32 v6, s[0:1], v5, v5, v4
	v_rcp_f32_e32 v7, v6
	v_div_scale_f32 v17, vcc, v4, v5, v4
	s_mov_b32 s0, 0x800000
	v_fma_f32 v18, -v6, v7, 1.0
	v_fmac_f32_e32 v7, v18, v7
	v_mul_f32_e32 v18, v17, v7
	v_fma_f32 v19, -v6, v18, v17
	v_fmac_f32_e32 v18, v19, v7
	v_fma_f32 v6, -v6, v18, v17
	v_div_fmas_f32 v6, v6, v7, v18
	v_div_fixup_f32 v4, v6, v5, v4
	v_add_f32_e32 v4, s13, v4
	v_mul_f32_e32 v5, 0x4b800000, v4
	v_cmp_gt_f32_e32 vcc, s0, v4
	v_cndmask_b32_e32 v4, v4, v5, vcc
	v_rsq_f32_e32 v4, v4
	s_waitcnt vmcnt(0)
	v_cvt_f32_f16_sdwa v5, v0 dst_sel:DWORD dst_unused:UNUSED_PAD src0_sel:WORD_1
	v_cvt_f32_f16_sdwa v19, v1 dst_sel:DWORD dst_unused:UNUSED_PAD src0_sel:WORD_1
	v_cvt_f32_f16_e32 v18, v1
	v_mul_f32_e32 v6, 0x45800000, v4
	v_cndmask_b32_e32 v6, v4, v6, vcc
	v_cvt_f32_f16_e32 v4, v0
	v_mov_b32_e32 v7, v6
	;;#ASMSTART
	v_pk_mul_f32 v[8:9], v[8:9], v[6:7]
	;;#ASMEND
	;;#ASMSTART
	v_pk_mul_f32 v[12:13], v[12:13], v[6:7]
	;;#ASMEND
	v_pk_add_f32 v[4:5], v[4:5], 1.0 op_sel_hi:[1,0]
	;;#ASMSTART
	v_pk_mul_f32 v[14:15], v[14:15], v[6:7]
	;;#ASMEND
	;;#ASMSTART
	v_pk_mul_f32 v[0:1], v[10:11], v[6:7]
	;;#ASMEND
	;; [unrolled: 3-line block ×3, first 2 shown]
	v_cvt_f32_f16_sdwa v9, v2 dst_sel:DWORD dst_unused:UNUSED_PAD src0_sel:WORD_1
	v_cvt_f32_f16_e32 v8, v2
	v_cvt_f32_f16_sdwa v11, v3 dst_sel:DWORD dst_unused:UNUSED_PAD src0_sel:WORD_1
	v_cvt_f32_f16_e32 v10, v3
	v_pk_add_f32 v[6:7], v[18:19], 1.0 op_sel_hi:[1,0]
	;;#ASMSTART
	v_pk_mul_f32 v[2:3], v[12:13], v[6:7]
	;;#ASMEND
	v_pk_add_f32 v[6:7], v[8:9], 1.0 op_sel_hi:[1,0]
	;;#ASMSTART
	v_pk_mul_f32 v[6:7], v[14:15], v[6:7]
	;;#ASMEND
	v_pk_add_f32 v[8:9], v[10:11], 1.0 op_sel_hi:[1,0]
	;;#ASMSTART
	v_pk_mul_f32 v[0:1], v[0:1], v[8:9]
	;;#ASMEND
	s_mul_hi_i32 s1, s29, s6
	s_mul_i32 s0, s29, s6
	v_cvt_f16_f32_e32 v4, v4
	v_cvt_f16_f32_e32 v5, v5
	;; [unrolled: 1-line block ×8, first 2 shown]
	s_lshl_b64 s[0:1], s[0:1], 1
	s_add_u32 s8, s24, s0
	s_addc_u32 s0, s25, s1
	s_and_b32 s9, s0, 0xffff
	v_pack_b32_f16 v0, v4, v5
	v_pack_b32_f16 v1, v2, v3
	;; [unrolled: 1-line block ×4, first 2 shown]
	buffer_store_dwordx4 v[0:3], v16, s[8:11], 0 offen
	;;#ASMSTART
	s_nop 0
	;;#ASMEND
	s_endpgm
	.section	.rodata,"a",@progbits
	.p2align	6, 0x0
	.amdhsa_kernel _ZN5aiter35fused_qk_rmsnorm_group_quant_kernelIDF16_DB8_Li64ELi8ELi1ELb0ELb1ELb1ELb0ELb1ELb1EEEvPT0_PvPT_S6_S6_PKS5_S8_S8_S8_S8_ffiiiiiiiiiiiii
		.amdhsa_group_segment_fixed_size 0
		.amdhsa_private_segment_fixed_size 0
		.amdhsa_kernarg_size 400
		.amdhsa_user_sgpr_count 6
		.amdhsa_user_sgpr_private_segment_buffer 1
		.amdhsa_user_sgpr_dispatch_ptr 0
		.amdhsa_user_sgpr_queue_ptr 0
		.amdhsa_user_sgpr_kernarg_segment_ptr 1
		.amdhsa_user_sgpr_dispatch_id 0
		.amdhsa_user_sgpr_flat_scratch_init 0
		.amdhsa_user_sgpr_kernarg_preload_length 0
		.amdhsa_user_sgpr_kernarg_preload_offset 0
		.amdhsa_user_sgpr_private_segment_size 0
		.amdhsa_uses_dynamic_stack 0
		.amdhsa_system_sgpr_private_segment_wavefront_offset 0
		.amdhsa_system_sgpr_workgroup_id_x 1
		.amdhsa_system_sgpr_workgroup_id_y 1
		.amdhsa_system_sgpr_workgroup_id_z 0
		.amdhsa_system_sgpr_workgroup_info 0
		.amdhsa_system_vgpr_workitem_id 0
		.amdhsa_next_free_vgpr 23
		.amdhsa_next_free_sgpr 32
		.amdhsa_accum_offset 24
		.amdhsa_reserve_vcc 1
		.amdhsa_reserve_flat_scratch 0
		.amdhsa_float_round_mode_32 0
		.amdhsa_float_round_mode_16_64 0
		.amdhsa_float_denorm_mode_32 3
		.amdhsa_float_denorm_mode_16_64 3
		.amdhsa_dx10_clamp 1
		.amdhsa_ieee_mode 1
		.amdhsa_fp16_overflow 0
		.amdhsa_tg_split 0
		.amdhsa_exception_fp_ieee_invalid_op 0
		.amdhsa_exception_fp_denorm_src 0
		.amdhsa_exception_fp_ieee_div_zero 0
		.amdhsa_exception_fp_ieee_overflow 0
		.amdhsa_exception_fp_ieee_underflow 0
		.amdhsa_exception_fp_ieee_inexact 0
		.amdhsa_exception_int_div_zero 0
	.end_amdhsa_kernel
	.section	.text._ZN5aiter35fused_qk_rmsnorm_group_quant_kernelIDF16_DB8_Li64ELi8ELi1ELb0ELb1ELb1ELb0ELb1ELb1EEEvPT0_PvPT_S6_S6_PKS5_S8_S8_S8_S8_ffiiiiiiiiiiiii,"axG",@progbits,_ZN5aiter35fused_qk_rmsnorm_group_quant_kernelIDF16_DB8_Li64ELi8ELi1ELb0ELb1ELb1ELb0ELb1ELb1EEEvPT0_PvPT_S6_S6_PKS5_S8_S8_S8_S8_ffiiiiiiiiiiiii,comdat
.Lfunc_end9:
	.size	_ZN5aiter35fused_qk_rmsnorm_group_quant_kernelIDF16_DB8_Li64ELi8ELi1ELb0ELb1ELb1ELb0ELb1ELb1EEEvPT0_PvPT_S6_S6_PKS5_S8_S8_S8_S8_ffiiiiiiiiiiiii, .Lfunc_end9-_ZN5aiter35fused_qk_rmsnorm_group_quant_kernelIDF16_DB8_Li64ELi8ELi1ELb0ELb1ELb1ELb0ELb1ELb1EEEvPT0_PvPT_S6_S6_PKS5_S8_S8_S8_S8_ffiiiiiiiiiiiii
                                        ; -- End function
	.section	.AMDGPU.csdata,"",@progbits
; Kernel info:
; codeLenInByte = 2632
; NumSgprs: 36
; NumVgprs: 23
; NumAgprs: 0
; TotalNumVgprs: 23
; ScratchSize: 0
; MemoryBound: 0
; FloatMode: 240
; IeeeMode: 1
; LDSByteSize: 0 bytes/workgroup (compile time only)
; SGPRBlocks: 4
; VGPRBlocks: 2
; NumSGPRsForWavesPerEU: 36
; NumVGPRsForWavesPerEU: 23
; AccumOffset: 24
; Occupancy: 8
; WaveLimiterHint : 0
; COMPUTE_PGM_RSRC2:SCRATCH_EN: 0
; COMPUTE_PGM_RSRC2:USER_SGPR: 6
; COMPUTE_PGM_RSRC2:TRAP_HANDLER: 0
; COMPUTE_PGM_RSRC2:TGID_X_EN: 1
; COMPUTE_PGM_RSRC2:TGID_Y_EN: 1
; COMPUTE_PGM_RSRC2:TGID_Z_EN: 0
; COMPUTE_PGM_RSRC2:TIDIG_COMP_CNT: 0
; COMPUTE_PGM_RSRC3_GFX90A:ACCUM_OFFSET: 5
; COMPUTE_PGM_RSRC3_GFX90A:TG_SPLIT: 0
	.section	.text._ZN5aiter35fused_qk_rmsnorm_group_quant_kernelItDB8_Li64ELi8ELi1ELb0ELb1ELb1ELb0ELb1ELb1EEEvPT0_PvPT_S6_S6_PKS5_S8_S8_S8_S8_ffiiiiiiiiiiiii,"axG",@progbits,_ZN5aiter35fused_qk_rmsnorm_group_quant_kernelItDB8_Li64ELi8ELi1ELb0ELb1ELb1ELb0ELb1ELb1EEEvPT0_PvPT_S6_S6_PKS5_S8_S8_S8_S8_ffiiiiiiiiiiiii,comdat
	.protected	_ZN5aiter35fused_qk_rmsnorm_group_quant_kernelItDB8_Li64ELi8ELi1ELb0ELb1ELb1ELb0ELb1ELb1EEEvPT0_PvPT_S6_S6_PKS5_S8_S8_S8_S8_ffiiiiiiiiiiiii ; -- Begin function _ZN5aiter35fused_qk_rmsnorm_group_quant_kernelItDB8_Li64ELi8ELi1ELb0ELb1ELb1ELb0ELb1ELb1EEEvPT0_PvPT_S6_S6_PKS5_S8_S8_S8_S8_ffiiiiiiiiiiiii
	.globl	_ZN5aiter35fused_qk_rmsnorm_group_quant_kernelItDB8_Li64ELi8ELi1ELb0ELb1ELb1ELb0ELb1ELb1EEEvPT0_PvPT_S6_S6_PKS5_S8_S8_S8_S8_ffiiiiiiiiiiiii
	.p2align	8
	.type	_ZN5aiter35fused_qk_rmsnorm_group_quant_kernelItDB8_Li64ELi8ELi1ELb0ELb1ELb1ELb0ELb1ELb1EEEvPT0_PvPT_S6_S6_PKS5_S8_S8_S8_S8_ffiiiiiiiiiiiii,@function
_ZN5aiter35fused_qk_rmsnorm_group_quant_kernelItDB8_Li64ELi8ELi1ELb0ELb1ELb1ELb0ELb1ELb1EEEvPT0_PvPT_S6_S6_PKS5_S8_S8_S8_S8_ffiiiiiiiiiiiii: ; @_ZN5aiter35fused_qk_rmsnorm_group_quant_kernelItDB8_Li64ELi8ELi1ELb0ELb1ELb1ELb0ELb1ELb1EEEvPT0_PvPT_S6_S6_PKS5_S8_S8_S8_S8_ffiiiiiiiiiiiii
; %bb.0:
	s_load_dwordx4 s[12:15], s[4:5], 0x50
	s_waitcnt lgkmcnt(0)
	s_cmp_ge_i32 s6, s14
	s_cbranch_scc1 .LBB10_8
; %bb.1:
	s_load_dwordx2 s[8:9], s[4:5], 0x48
	s_load_dwordx2 s[26:27], s[4:5], 0x30
	s_load_dwordx4 s[16:19], s[4:5], 0x60
	s_cmp_lg_u32 s7, 0
	s_cselect_b64 s[2:3], -1, 0
	s_cmp_eq_u32 s7, 0
	s_cselect_b64 vcc, -1, 0
	s_and_b64 s[0:1], vcc, exec
	s_waitcnt lgkmcnt(0)
	s_cselect_b32 s7, s15, s16
	s_add_i32 s0, s7, 1
	s_lshr_b32 s1, s0, 31
	s_add_i32 s0, s0, s1
	s_lshl_b32 s0, s0, 1
	v_lshlrev_b32_e32 v1, 3, v0
	s_and_b32 s22, s0, -4
	v_cmp_gt_i32_e64 s[0:1], s7, v1
	v_mov_b32_e32 v2, 0
	v_mov_b32_e32 v3, 0
	;; [unrolled: 1-line block ×8, first 2 shown]
	s_and_saveexec_b64 s[10:11], s[0:1]
	s_cbranch_execz .LBB10_3
; %bb.2:
	s_load_dwordx2 s[20:21], s[4:5], 0x28
	s_load_dwordx2 s[24:25], s[4:5], 0x40
	s_and_b64 s[28:29], vcc, exec
	s_cselect_b32 s14, s17, s18
	s_mov_b32 s23, 0x20000
	s_waitcnt lgkmcnt(0)
	s_cselect_b32 s17, s21, s27
	s_cselect_b32 s19, s20, s26
	s_mul_hi_i32 s21, s14, s6
	s_mul_i32 s20, s14, s6
	s_lshl_b64 s[20:21], s[20:21], 1
	s_add_u32 s28, s19, s20
	s_addc_u32 s14, s17, s21
	s_and_b64 s[20:21], vcc, exec
	s_cselect_b32 s20, s24, s8
	s_cselect_b32 s17, s25, s9
	v_lshlrev_b32_e32 v10, 4, v0
	s_and_b32 s29, s14, 0xffff
	s_mov_b32 s30, s22
	s_mov_b32 s31, s23
	s_and_b32 s21, s17, 0xffff
	buffer_load_dwordx4 v[6:9], v10, s[28:31], 0 offen glc slc
	buffer_load_dwordx4 v[2:5], v10, s[20:23], 0 offen
.LBB10_3:
	s_or_b64 exec, exec, s[10:11]
	s_waitcnt vmcnt(1)
	v_cvt_f32_u32_sdwa v13, v6 dst_sel:DWORD dst_unused:UNUSED_PAD src0_sel:WORD_1
	v_cvt_f32_u32_sdwa v12, v6 dst_sel:DWORD dst_unused:UNUSED_PAD src0_sel:WORD_0
	v_cvt_f32_u32_sdwa v6, v9 dst_sel:DWORD dst_unused:UNUSED_PAD src0_sel:WORD_1
	v_cvt_f32_u32_sdwa v9, v9 dst_sel:DWORD dst_unused:UNUSED_PAD src0_sel:WORD_0
	;; [unrolled: 2-line block ×4, first 2 shown]
	v_cndmask_b32_e64 v13, 0, v13, s[0:1]
	v_cndmask_b32_e64 v7, 0, v6, s[0:1]
	;; [unrolled: 1-line block ×5, first 2 shown]
	v_mul_f32_e32 v14, v13, v13
	v_cndmask_b32_e64 v10, 0, v10, s[0:1]
	v_fmac_f32_e32 v14, v12, v12
	v_cndmask_b32_e64 v11, 0, v11, s[0:1]
	v_fmac_f32_e32 v14, v10, v10
	;; [unrolled: 2-line block ×3, first 2 shown]
	v_fmac_f32_e32 v14, v8, v8
	v_fmac_f32_e32 v14, v9, v9
	;; [unrolled: 1-line block ×4, first 2 shown]
	v_bfrev_b32_e32 v16, 0.5
	s_load_dwordx2 s[24:25], s[4:5], 0x18
	v_mov_b32_dpp v15, v14 quad_perm:[1,0,3,2] row_mask:0xf bank_mask:0xf
	v_add_f32_e32 v14, v14, v15
	s_nop 1
	v_mov_b32_dpp v15, v14 quad_perm:[2,3,0,1] row_mask:0xf bank_mask:0xf
	v_add_f32_e32 v14, v14, v15
	s_nop 1
	v_mov_b32_dpp v15, v14 row_half_mirror row_mask:0xf bank_mask:0xf
	v_add_f32_e32 v14, v14, v15
	s_nop 1
	v_mov_b32_dpp v15, v14 row_mirror row_mask:0xf bank_mask:0xf
	v_add_f32_e32 v14, v14, v15
	s_nop 1
	v_mov_b32_dpp v15, v14 row_bcast:15 row_mask:0xf bank_mask:0xf
	v_add_f32_e32 v14, v14, v15
	s_nop 1
	v_mov_b32_dpp v15, v14 row_bcast:31 row_mask:0xf bank_mask:0xf
	v_add_f32_e32 v15, v14, v15
	v_mbcnt_lo_u32_b32 v14, -1, 0
	v_mbcnt_hi_u32_b32 v14, -1, v14
	v_lshl_or_b32 v14, v14, 2, v16
	ds_bpermute_b32 v15, v14, v15
	s_and_saveexec_b64 s[10:11], s[0:1]
	s_cbranch_execz .LBB10_5
; %bb.4:
	v_cvt_f32_u32_e32 v16, s7
	v_mov_b32_e32 v17, s13
	v_mov_b32_e32 v18, s12
	v_cndmask_b32_e32 v17, v17, v18, vcc
	s_waitcnt lgkmcnt(0)
	v_div_scale_f32 v19, s[20:21], v16, v16, v15
	v_rcp_f32_e32 v20, v19
	v_div_scale_f32 v18, vcc, v15, v16, v15
	s_mov_b32 s7, 0x800000
	v_fma_f32 v21, -v19, v20, 1.0
	v_fmac_f32_e32 v20, v21, v20
	v_mul_f32_e32 v21, v18, v20
	v_fma_f32 v22, -v19, v21, v18
	v_fmac_f32_e32 v21, v22, v20
	v_fma_f32 v18, -v19, v21, v18
	v_div_fmas_f32 v18, v18, v20, v21
	v_div_fixup_f32 v15, v18, v16, v15
	v_add_f32_e32 v15, v17, v15
	v_mul_f32_e32 v16, 0x4b800000, v15
	v_cmp_gt_f32_e32 vcc, s7, v15
	v_cndmask_b32_e32 v15, v15, v16, vcc
	v_rsq_f32_e32 v15, v15
	s_waitcnt vmcnt(0)
	v_cvt_f32_u32_sdwa v19, v2 dst_sel:DWORD dst_unused:UNUSED_PAD src0_sel:WORD_1
	v_cvt_f32_u32_sdwa v18, v2 dst_sel:DWORD dst_unused:UNUSED_PAD src0_sel:WORD_0
	v_cvt_f32_u32_sdwa v21, v3 dst_sel:DWORD dst_unused:UNUSED_PAD src0_sel:WORD_1
	v_mul_f32_e32 v16, 0x45800000, v15
	v_cndmask_b32_e32 v16, v15, v16, vcc
	v_mov_b32_e32 v17, v16
	;;#ASMSTART
	v_pk_mul_f32 v[12:13], v[12:13], v[16:17]
	;;#ASMEND
	;;#ASMSTART
	v_pk_mul_f32 v[10:11], v[10:11], v[16:17]
	;;#ASMEND
	;; [unrolled: 3-line block ×3, first 2 shown]
	v_cvt_f32_u32_sdwa v20, v3 dst_sel:DWORD dst_unused:UNUSED_PAD src0_sel:WORD_0
	;;#ASMSTART
	v_pk_mul_f32 v[2:3], v[6:7], v[16:17]
	;;#ASMEND
	v_cvt_f32_u32_sdwa v17, v4 dst_sel:DWORD dst_unused:UNUSED_PAD src0_sel:WORD_1
	v_cvt_f32_u32_sdwa v16, v4 dst_sel:DWORD dst_unused:UNUSED_PAD src0_sel:WORD_0
	v_pk_add_f32 v[6:7], v[18:19], 1.0 op_sel_hi:[1,0]
	v_cvt_f32_u32_sdwa v19, v5 dst_sel:DWORD dst_unused:UNUSED_PAD src0_sel:WORD_1
	v_cvt_f32_u32_sdwa v18, v5 dst_sel:DWORD dst_unused:UNUSED_PAD src0_sel:WORD_0
	;;#ASMSTART
	v_pk_mul_f32 v[12:13], v[12:13], v[6:7]
	;;#ASMEND
	v_pk_add_f32 v[6:7], v[20:21], 1.0 op_sel_hi:[1,0]
	v_pk_add_f32 v[4:5], v[16:17], 1.0 op_sel_hi:[1,0]
	;;#ASMSTART
	v_pk_mul_f32 v[10:11], v[10:11], v[6:7]
	;;#ASMEND
	;;#ASMSTART
	v_pk_mul_f32 v[8:9], v[8:9], v[4:5]
	;;#ASMEND
	v_pk_add_f32 v[4:5], v[18:19], 1.0 op_sel_hi:[1,0]
	;;#ASMSTART
	v_pk_mul_f32 v[6:7], v[2:3], v[4:5]
	;;#ASMEND
.LBB10_5:
	s_or_b64 exec, exec, s[10:11]
	s_load_dwordx2 s[28:29], s[4:5], 0x7c
	s_mov_b64 s[10:11], -1
	s_and_b64 vcc, exec, s[2:3]
	s_cbranch_vccnz .LBB10_9
; %bb.6:
	s_andn2_b64 vcc, exec, s[10:11]
	s_cbranch_vccz .LBB10_12
.LBB10_7:
	s_cmp_lt_i32 s16, 1
	s_cbranch_scc0 .LBB10_21
.LBB10_8:
	s_endpgm
.LBB10_9:
	s_and_saveexec_b64 s[2:3], s[0:1]
	s_cbranch_execz .LBB10_11
; %bb.10:
	s_waitcnt lgkmcnt(0)
	s_mul_hi_i32 s11, s29, s6
	s_mul_i32 s10, s29, s6
	s_lshl_b64 s[10:11], s[10:11], 1
	s_add_u32 s20, s24, s10
	s_addc_u32 s7, s25, s11
	s_and_b32 s21, s7, 0xffff
	s_mov_b32 s7, 0x7060302
	s_mov_b32 s23, 0x20000
	s_waitcnt vmcnt(0)
	v_perm_b32 v2, v13, v12, s7
	v_perm_b32 v3, v11, v10, s7
	;; [unrolled: 1-line block ×4, first 2 shown]
	v_lshlrev_b32_e32 v15, 4, v0
	buffer_store_dwordx4 v[2:5], v15, s[20:23], 0 offen
	;;#ASMSTART
	s_nop 0
	;;#ASMEND
.LBB10_11:
	s_or_b64 exec, exec, s[2:3]
	s_cbranch_execnz .LBB10_7
.LBB10_12:
	s_waitcnt vmcnt(0)
	v_mov_b32_e32 v2, 0
	s_and_saveexec_b64 s[2:3], s[0:1]
	s_cbranch_execz .LBB10_14
; %bb.13:
	s_load_dwordx2 s[10:11], s[4:5], 0x10
	s_waitcnt lgkmcnt(0)
	s_mul_hi_i32 s21, s28, s6
	s_mul_i32 s20, s28, s6
	s_lshl_b64 s[20:21], s[20:21], 1
	s_mov_b32 s23, 0x20000
	s_add_u32 s20, s10, s20
	s_addc_u32 s7, s11, s21
	s_and_b32 s21, s7, 0xffff
	s_mov_b32 s7, 0x7060302
	v_perm_b32 v2, v13, v12, s7
	v_perm_b32 v3, v11, v10, s7
	;; [unrolled: 1-line block ×4, first 2 shown]
	v_lshlrev_b32_e32 v15, 4, v0
	buffer_store_dwordx4 v[2:5], v15, s[20:23], 0 offen
	;;#ASMSTART
	s_nop 0
	;;#ASMEND
	s_nop 0
	v_mov_b32_e32 v2, 0x2edbe6ff
.LBB10_14:
	s_or_b64 exec, exec, s[2:3]
	s_and_saveexec_b64 s[2:3], s[0:1]
	s_cbranch_execz .LBB10_16
; %bb.15:
	v_and_b32_e32 v3, 0x7fffffff, v12
	v_and_b32_e32 v4, 0x7fffffff, v13
	;;#ASMSTART
	v_max3_f32 v2, v2, v3, v4

	;;#ASMEND
	v_and_b32_e32 v3, 0x7fffffff, v10
	v_and_b32_e32 v4, 0x7fffffff, v11
	;;#ASMSTART
	v_max3_f32 v2, v2, v3, v4

	;;#ASMEND
	v_and_b32_e32 v3, 0x7fffffff, v8
	v_and_b32_e32 v4, 0x7fffffff, v9
	;;#ASMSTART
	v_max3_f32 v2, v2, v3, v4

	;;#ASMEND
	v_and_b32_e32 v3, 0x7fffffff, v6
	v_and_b32_e32 v4, 0x7fffffff, v7
	;;#ASMSTART
	v_max3_f32 v2, v2, v3, v4

	;;#ASMEND
.LBB10_16:
	s_or_b64 exec, exec, s[2:3]
	s_nop 0
	v_mov_b32_dpp v3, v2 quad_perm:[1,0,3,2] row_mask:0xf bank_mask:0xf
	v_cmp_gt_f32_e32 vcc, v2, v3
	v_cndmask_b32_e32 v2, v3, v2, vcc
	s_load_dwordx2 s[2:3], s[4:5], 0x70
	s_nop 0
	v_mov_b32_dpp v3, v2 quad_perm:[2,3,0,1] row_mask:0xf bank_mask:0xf
	v_cmp_gt_f32_e32 vcc, v2, v3
	v_cndmask_b32_e32 v2, v3, v2, vcc
	s_nop 1
	v_mov_b32_dpp v3, v2 row_half_mirror row_mask:0xf bank_mask:0xf
	v_cmp_gt_f32_e32 vcc, v2, v3
	v_cndmask_b32_e32 v2, v3, v2, vcc
	s_nop 1
	v_mov_b32_dpp v3, v2 row_mirror row_mask:0xf bank_mask:0xf
	v_cmp_gt_f32_e32 vcc, v2, v3
	v_cndmask_b32_e32 v2, v3, v2, vcc
	s_nop 1
	v_mov_b32_dpp v3, v2 row_bcast:15 row_mask:0xf bank_mask:0xf
	v_cmp_gt_f32_e32 vcc, v2, v3
	v_cndmask_b32_e32 v2, v3, v2, vcc
	s_nop 1
	v_mov_b32_dpp v3, v2 row_bcast:31 row_mask:0xf bank_mask:0xf
	v_cmp_gt_f32_e32 vcc, v2, v3
	v_cndmask_b32_e32 v2, v3, v2, vcc
	ds_bpermute_b32 v2, v14, v2
	v_cmp_eq_u32_e32 vcc, 0, v0
	s_waitcnt lgkmcnt(0)
	v_mul_f32_e32 v2, 0x3b124925, v2
	s_and_saveexec_b64 s[10:11], vcc
	s_cbranch_execz .LBB10_18
; %bb.17:
	s_load_dwordx2 s[20:21], s[4:5], 0x8
	s_mul_hi_i32 s23, s3, s6
	s_mul_i32 s22, s3, s6
	s_lshl_b64 s[22:23], s[22:23], 2
	v_mov_b32_e32 v3, 0
	s_waitcnt lgkmcnt(0)
	s_add_u32 s20, s20, s22
	s_addc_u32 s21, s21, s23
	global_store_dword v3, v2, s[20:21]
.LBB10_18:
	s_or_b64 exec, exec, s[10:11]
	;;#ASMSTART
	v_rcp_f32 v2, v2
	;;#ASMEND
	s_and_saveexec_b64 s[10:11], s[0:1]
	s_cbranch_execz .LBB10_20
; %bb.19:
	v_mov_b32_e32 v3, v2
	;;#ASMSTART
	v_pk_mul_f32 v[4:5], v[12:13], v[2:3]
	;;#ASMEND
	s_load_dwordx2 s[0:1], s[4:5], 0x0
	v_mov_b32_e32 v12, 0xc3e00000
	v_mov_b32_e32 v13, 0x43e00000
	;;#ASMSTART
	v_med3_f32 v4, v4, v12, v13
v_med3_f32 v5, v5, v12, v13
v_cvt_pk_fp8_f32 v15, v4, v5
	;;#ASMEND
	;;#ASMSTART
	v_pk_mul_f32 v[4:5], v[10:11], v[2:3]
	;;#ASMEND
	;;#ASMSTART
	v_med3_f32 v4, v4, v12, v13
v_med3_f32 v5, v5, v12, v13
v_cvt_pk_fp8_f32 v10, v4, v5
	;;#ASMEND
	s_mov_b32 s12, 0x5040100
	v_perm_b32 v5, v10, v15, s12
	s_movk_i32 s12, 0xff
	s_mul_hi_i32 s3, s2, s6
	s_mul_i32 s2, s2, s6
	v_and_b32_e32 v4, 0xffffff00, v10
	v_and_b32_sdwa v10, v5, s12 dst_sel:DWORD dst_unused:UNUSED_PAD src0_sel:WORD_1 src1_sel:DWORD
	s_mov_b32 s7, 0xffff
	s_waitcnt lgkmcnt(0)
	s_add_u32 s0, s0, s2
	v_or_b32_sdwa v4, v10, v4 dst_sel:WORD_1 dst_unused:UNUSED_PAD src0_sel:DWORD src1_sel:DWORD
	s_addc_u32 s1, s1, s3
	s_add_i32 s2, s15, 3
	v_and_or_b32 v4, v5, s7, v4
	;;#ASMSTART
	v_pk_mul_f32 v[8:9], v[8:9], v[2:3]
	;;#ASMEND
	v_mov_b32_e32 v5, v9
	s_ashr_i32 s3, s2, 31
	;;#ASMSTART
	v_med3_f32 v8, v8, v12, v13
v_med3_f32 v5, v5, v12, v13
v_cvt_pk_fp8_f32 v9, v8, v5
	;;#ASMEND
	;;#ASMSTART
	v_pk_mul_f32 v[2:3], v[6:7], v[2:3]
	;;#ASMEND
	s_lshr_b32 s3, s3, 30
	;;#ASMSTART
	v_med3_f32 v2, v2, v12, v13
v_med3_f32 v3, v3, v12, v13
v_cvt_pk_fp8_f32 v5, v2, v3
	;;#ASMEND
	s_add_i32 s2, s2, s3
	v_lshlrev_b32_e32 v2, 16, v5
	s_and_b32 s2, s2, -4
	s_and_b32 s1, s1, 0xffff
	s_mov_b32 s3, 0x20000
	v_and_or_b32 v5, v9, s7, v2
	buffer_store_dwordx2 v[4:5], v1, s[0:3], 0 offen
	;;#ASMSTART
	s_nop 0
	;;#ASMEND
.LBB10_20:
	s_or_b64 exec, exec, s[10:11]
	s_cmp_lt_i32 s16, 1
	s_cbranch_scc1 .LBB10_8
.LBB10_21:
	s_load_dword s0, s[4:5], 0x94
	s_waitcnt lgkmcnt(0)
	s_cmp_lg_u32 s0, 1
	s_cbranch_scc1 .LBB10_8
; %bb.22:
	s_lshl_b32 s0, s16, 1
	s_add_i32 s0, s0, 2
	v_cmp_gt_u32_e32 vcc, s16, v1
	s_and_b32 s10, s0, -4
	s_waitcnt vmcnt(0)
	v_mov_b32_e32 v4, 0
	v_lshlrev_b32_e32 v12, 4, v0
	v_mov_b32_e32 v5, 0
	v_mov_b32_e32 v6, 0
	;; [unrolled: 1-line block ×7, first 2 shown]
	s_barrier
	s_and_saveexec_b64 s[0:1], vcc
	s_cbranch_execz .LBB10_24
; %bb.23:
	s_mul_hi_i32 s3, s18, s6
	s_mul_i32 s2, s18, s6
	s_and_b32 s9, s9, 0xffff
	s_lshl_b64 s[2:3], s[2:3], 1
	s_add_u32 s20, s26, s2
	s_mov_b32 s11, 0x20000
	s_addc_u32 s2, s27, s3
	s_and_b32 s21, s2, 0xffff
	s_mov_b32 s22, s10
	s_mov_b32 s23, s11
	buffer_load_dwordx4 v[4:7], v12, s[20:23], 0 offen glc slc
	buffer_load_dwordx4 v[0:3], v12, s[8:11], 0 offen
.LBB10_24:
	s_or_b64 exec, exec, s[0:1]
	s_waitcnt vmcnt(1)
	v_cvt_f32_u32_sdwa v11, v4 dst_sel:DWORD dst_unused:UNUSED_PAD src0_sel:WORD_1
	v_cvt_f32_u32_sdwa v10, v4 dst_sel:DWORD dst_unused:UNUSED_PAD src0_sel:WORD_0
	v_cvt_f32_u32_sdwa v4, v7 dst_sel:DWORD dst_unused:UNUSED_PAD src0_sel:WORD_1
	v_cvt_f32_u32_sdwa v7, v7 dst_sel:DWORD dst_unused:UNUSED_PAD src0_sel:WORD_0
	;; [unrolled: 2-line block ×4, first 2 shown]
	v_cndmask_b32_e32 v11, 0, v11, vcc
	v_cndmask_b32_e32 v5, 0, v4, vcc
	;; [unrolled: 1-line block ×5, first 2 shown]
	v_mul_f32_e32 v13, v11, v11
	v_cndmask_b32_e32 v8, 0, v8, vcc
	v_fmac_f32_e32 v13, v10, v10
	v_cndmask_b32_e32 v9, 0, v9, vcc
	v_fmac_f32_e32 v13, v8, v8
	;; [unrolled: 2-line block ×3, first 2 shown]
	v_fmac_f32_e32 v13, v6, v6
	v_fmac_f32_e32 v13, v7, v7
	;; [unrolled: 1-line block ×4, first 2 shown]
	s_nop 1
	v_mov_b32_dpp v15, v13 quad_perm:[1,0,3,2] row_mask:0xf bank_mask:0xf
	v_add_f32_e32 v13, v13, v15
	s_nop 1
	v_mov_b32_dpp v15, v13 quad_perm:[2,3,0,1] row_mask:0xf bank_mask:0xf
	v_add_f32_e32 v13, v13, v15
	s_nop 1
	v_mov_b32_dpp v15, v13 row_half_mirror row_mask:0xf bank_mask:0xf
	v_add_f32_e32 v13, v13, v15
	s_nop 1
	v_mov_b32_dpp v15, v13 row_mirror row_mask:0xf bank_mask:0xf
	v_add_f32_e32 v13, v13, v15
	s_nop 1
	v_mov_b32_dpp v15, v13 row_bcast:15 row_mask:0xf bank_mask:0xf
	v_add_f32_e32 v13, v13, v15
	s_nop 1
	v_mov_b32_dpp v15, v13 row_bcast:31 row_mask:0xf bank_mask:0xf
	v_add_f32_e32 v13, v13, v15
	ds_bpermute_b32 v13, v14, v13
	s_and_saveexec_b64 s[0:1], vcc
	s_cbranch_execz .LBB10_8
; %bb.25:
	v_cvt_f32_u32_e32 v14, s16
	s_mov_b32 s11, 0x20000
	s_waitcnt lgkmcnt(0)
	v_div_scale_f32 v15, s[0:1], v14, v14, v13
	v_rcp_f32_e32 v16, v15
	v_div_scale_f32 v17, vcc, v13, v14, v13
	s_mov_b32 s0, 0x800000
	v_fma_f32 v18, -v15, v16, 1.0
	v_fmac_f32_e32 v16, v18, v16
	v_mul_f32_e32 v18, v17, v16
	v_fma_f32 v19, -v15, v18, v17
	v_fmac_f32_e32 v18, v19, v16
	v_fma_f32 v15, -v15, v18, v17
	v_div_fmas_f32 v15, v15, v16, v18
	v_div_fixup_f32 v13, v15, v14, v13
	v_add_f32_e32 v13, s13, v13
	v_mul_f32_e32 v14, 0x4b800000, v13
	v_cmp_gt_f32_e32 vcc, s0, v13
	v_cndmask_b32_e32 v13, v13, v14, vcc
	v_rsq_f32_e32 v13, v13
	s_waitcnt vmcnt(0)
	v_cvt_f32_u32_sdwa v15, v0 dst_sel:DWORD dst_unused:UNUSED_PAD src0_sel:WORD_1
	v_cvt_f32_u32_sdwa v19, v1 dst_sel:DWORD dst_unused:UNUSED_PAD src0_sel:WORD_1
	v_cvt_f32_u32_sdwa v18, v1 dst_sel:DWORD dst_unused:UNUSED_PAD src0_sel:WORD_0
	v_mul_f32_e32 v14, 0x45800000, v13
	v_cndmask_b32_e32 v16, v13, v14, vcc
	v_cvt_f32_u32_sdwa v14, v0 dst_sel:DWORD dst_unused:UNUSED_PAD src0_sel:WORD_0
	v_mov_b32_e32 v17, v16
	;;#ASMSTART
	v_pk_mul_f32 v[10:11], v[10:11], v[16:17]
	;;#ASMEND
	;;#ASMSTART
	v_pk_mul_f32 v[8:9], v[8:9], v[16:17]
	;;#ASMEND
	;; [unrolled: 3-line block ×4, first 2 shown]
	v_pk_add_f32 v[4:5], v[14:15], 1.0 op_sel_hi:[1,0]
	v_cvt_f32_u32_sdwa v15, v2 dst_sel:DWORD dst_unused:UNUSED_PAD src0_sel:WORD_1
	v_cvt_f32_u32_sdwa v14, v2 dst_sel:DWORD dst_unused:UNUSED_PAD src0_sel:WORD_0
	v_cvt_f32_u32_sdwa v17, v3 dst_sel:DWORD dst_unused:UNUSED_PAD src0_sel:WORD_1
	v_cvt_f32_u32_sdwa v16, v3 dst_sel:DWORD dst_unused:UNUSED_PAD src0_sel:WORD_0
	s_mul_hi_i32 s1, s29, s6
	s_mul_i32 s0, s29, s6
	s_lshl_b64 s[0:1], s[0:1], 1
	s_add_u32 s8, s24, s0
	;;#ASMSTART
	v_pk_mul_f32 v[4:5], v[10:11], v[4:5]
	;;#ASMEND
	v_pk_add_f32 v[10:11], v[18:19], 1.0 op_sel_hi:[1,0]
	;;#ASMSTART
	v_pk_mul_f32 v[2:3], v[8:9], v[10:11]
	;;#ASMEND
	v_pk_add_f32 v[8:9], v[14:15], 1.0 op_sel_hi:[1,0]
	s_addc_u32 s0, s25, s1
	;;#ASMSTART
	v_pk_mul_f32 v[6:7], v[6:7], v[8:9]
	;;#ASMEND
	v_pk_add_f32 v[8:9], v[16:17], 1.0 op_sel_hi:[1,0]
	s_and_b32 s9, s0, 0xffff
	s_mov_b32 s0, 0x7060302
	;;#ASMSTART
	v_pk_mul_f32 v[8:9], v[0:1], v[8:9]
	;;#ASMEND
	v_perm_b32 v0, v5, v4, s0
	v_perm_b32 v1, v3, v2, s0
	;; [unrolled: 1-line block ×4, first 2 shown]
	buffer_store_dwordx4 v[0:3], v12, s[8:11], 0 offen
	;;#ASMSTART
	s_nop 0
	;;#ASMEND
	s_endpgm
	.section	.rodata,"a",@progbits
	.p2align	6, 0x0
	.amdhsa_kernel _ZN5aiter35fused_qk_rmsnorm_group_quant_kernelItDB8_Li64ELi8ELi1ELb0ELb1ELb1ELb0ELb1ELb1EEEvPT0_PvPT_S6_S6_PKS5_S8_S8_S8_S8_ffiiiiiiiiiiiii
		.amdhsa_group_segment_fixed_size 0
		.amdhsa_private_segment_fixed_size 0
		.amdhsa_kernarg_size 400
		.amdhsa_user_sgpr_count 6
		.amdhsa_user_sgpr_private_segment_buffer 1
		.amdhsa_user_sgpr_dispatch_ptr 0
		.amdhsa_user_sgpr_queue_ptr 0
		.amdhsa_user_sgpr_kernarg_segment_ptr 1
		.amdhsa_user_sgpr_dispatch_id 0
		.amdhsa_user_sgpr_flat_scratch_init 0
		.amdhsa_user_sgpr_kernarg_preload_length 0
		.amdhsa_user_sgpr_kernarg_preload_offset 0
		.amdhsa_user_sgpr_private_segment_size 0
		.amdhsa_uses_dynamic_stack 0
		.amdhsa_system_sgpr_private_segment_wavefront_offset 0
		.amdhsa_system_sgpr_workgroup_id_x 1
		.amdhsa_system_sgpr_workgroup_id_y 1
		.amdhsa_system_sgpr_workgroup_id_z 0
		.amdhsa_system_sgpr_workgroup_info 0
		.amdhsa_system_vgpr_workitem_id 0
		.amdhsa_next_free_vgpr 23
		.amdhsa_next_free_sgpr 32
		.amdhsa_accum_offset 24
		.amdhsa_reserve_vcc 1
		.amdhsa_reserve_flat_scratch 0
		.amdhsa_float_round_mode_32 0
		.amdhsa_float_round_mode_16_64 0
		.amdhsa_float_denorm_mode_32 3
		.amdhsa_float_denorm_mode_16_64 3
		.amdhsa_dx10_clamp 1
		.amdhsa_ieee_mode 1
		.amdhsa_fp16_overflow 0
		.amdhsa_tg_split 0
		.amdhsa_exception_fp_ieee_invalid_op 0
		.amdhsa_exception_fp_denorm_src 0
		.amdhsa_exception_fp_ieee_div_zero 0
		.amdhsa_exception_fp_ieee_overflow 0
		.amdhsa_exception_fp_ieee_underflow 0
		.amdhsa_exception_fp_ieee_inexact 0
		.amdhsa_exception_int_div_zero 0
	.end_amdhsa_kernel
	.section	.text._ZN5aiter35fused_qk_rmsnorm_group_quant_kernelItDB8_Li64ELi8ELi1ELb0ELb1ELb1ELb0ELb1ELb1EEEvPT0_PvPT_S6_S6_PKS5_S8_S8_S8_S8_ffiiiiiiiiiiiii,"axG",@progbits,_ZN5aiter35fused_qk_rmsnorm_group_quant_kernelItDB8_Li64ELi8ELi1ELb0ELb1ELb1ELb0ELb1ELb1EEEvPT0_PvPT_S6_S6_PKS5_S8_S8_S8_S8_ffiiiiiiiiiiiii,comdat
.Lfunc_end10:
	.size	_ZN5aiter35fused_qk_rmsnorm_group_quant_kernelItDB8_Li64ELi8ELi1ELb0ELb1ELb1ELb0ELb1ELb1EEEvPT0_PvPT_S6_S6_PKS5_S8_S8_S8_S8_ffiiiiiiiiiiiii, .Lfunc_end10-_ZN5aiter35fused_qk_rmsnorm_group_quant_kernelItDB8_Li64ELi8ELi1ELb0ELb1ELb1ELb0ELb1ELb1EEEvPT0_PvPT_S6_S6_PKS5_S8_S8_S8_S8_ffiiiiiiiiiiiii
                                        ; -- End function
	.section	.AMDGPU.csdata,"",@progbits
; Kernel info:
; codeLenInByte = 2624
; NumSgprs: 36
; NumVgprs: 23
; NumAgprs: 0
; TotalNumVgprs: 23
; ScratchSize: 0
; MemoryBound: 0
; FloatMode: 240
; IeeeMode: 1
; LDSByteSize: 0 bytes/workgroup (compile time only)
; SGPRBlocks: 4
; VGPRBlocks: 2
; NumSGPRsForWavesPerEU: 36
; NumVGPRsForWavesPerEU: 23
; AccumOffset: 24
; Occupancy: 8
; WaveLimiterHint : 0
; COMPUTE_PGM_RSRC2:SCRATCH_EN: 0
; COMPUTE_PGM_RSRC2:USER_SGPR: 6
; COMPUTE_PGM_RSRC2:TRAP_HANDLER: 0
; COMPUTE_PGM_RSRC2:TGID_X_EN: 1
; COMPUTE_PGM_RSRC2:TGID_Y_EN: 1
; COMPUTE_PGM_RSRC2:TGID_Z_EN: 0
; COMPUTE_PGM_RSRC2:TIDIG_COMP_CNT: 0
; COMPUTE_PGM_RSRC3_GFX90A:ACCUM_OFFSET: 5
; COMPUTE_PGM_RSRC3_GFX90A:TG_SPLIT: 0
	.section	.text._ZN5aiter35fused_qk_rmsnorm_group_quant_kernelIDF16_DB8_Li64ELi8ELi1ELb0ELb1ELb0ELb0ELb1ELb1EEEvPT0_PvPT_S6_S6_PKS5_S8_S8_S8_S8_ffiiiiiiiiiiiii,"axG",@progbits,_ZN5aiter35fused_qk_rmsnorm_group_quant_kernelIDF16_DB8_Li64ELi8ELi1ELb0ELb1ELb0ELb0ELb1ELb1EEEvPT0_PvPT_S6_S6_PKS5_S8_S8_S8_S8_ffiiiiiiiiiiiii,comdat
	.protected	_ZN5aiter35fused_qk_rmsnorm_group_quant_kernelIDF16_DB8_Li64ELi8ELi1ELb0ELb1ELb0ELb0ELb1ELb1EEEvPT0_PvPT_S6_S6_PKS5_S8_S8_S8_S8_ffiiiiiiiiiiiii ; -- Begin function _ZN5aiter35fused_qk_rmsnorm_group_quant_kernelIDF16_DB8_Li64ELi8ELi1ELb0ELb1ELb0ELb0ELb1ELb1EEEvPT0_PvPT_S6_S6_PKS5_S8_S8_S8_S8_ffiiiiiiiiiiiii
	.globl	_ZN5aiter35fused_qk_rmsnorm_group_quant_kernelIDF16_DB8_Li64ELi8ELi1ELb0ELb1ELb0ELb0ELb1ELb1EEEvPT0_PvPT_S6_S6_PKS5_S8_S8_S8_S8_ffiiiiiiiiiiiii
	.p2align	8
	.type	_ZN5aiter35fused_qk_rmsnorm_group_quant_kernelIDF16_DB8_Li64ELi8ELi1ELb0ELb1ELb0ELb0ELb1ELb1EEEvPT0_PvPT_S6_S6_PKS5_S8_S8_S8_S8_ffiiiiiiiiiiiii,@function
_ZN5aiter35fused_qk_rmsnorm_group_quant_kernelIDF16_DB8_Li64ELi8ELi1ELb0ELb1ELb0ELb0ELb1ELb1EEEvPT0_PvPT_S6_S6_PKS5_S8_S8_S8_S8_ffiiiiiiiiiiiii: ; @_ZN5aiter35fused_qk_rmsnorm_group_quant_kernelIDF16_DB8_Li64ELi8ELi1ELb0ELb1ELb0ELb0ELb1ELb1EEEvPT0_PvPT_S6_S6_PKS5_S8_S8_S8_S8_ffiiiiiiiiiiiii
; %bb.0:
	s_load_dwordx4 s[12:15], s[4:5], 0x50
	s_waitcnt lgkmcnt(0)
	s_cmp_ge_i32 s6, s14
	s_cbranch_scc1 .LBB11_10
; %bb.1:
	s_load_dwordx2 s[8:9], s[4:5], 0x48
	s_load_dwordx2 s[26:27], s[4:5], 0x30
	s_load_dwordx4 s[16:19], s[4:5], 0x60
	s_cmp_lg_u32 s7, 0
	s_cselect_b64 s[2:3], -1, 0
	s_cmp_eq_u32 s7, 0
	s_cselect_b64 vcc, -1, 0
	s_and_b64 s[0:1], vcc, exec
	s_waitcnt lgkmcnt(0)
	s_cselect_b32 s7, s15, s16
	s_add_i32 s0, s7, 1
	s_lshr_b32 s1, s0, 31
	s_add_i32 s0, s0, s1
	s_lshl_b32 s0, s0, 1
	v_lshlrev_b32_e32 v1, 3, v0
	s_and_b32 s22, s0, -4
	v_cmp_gt_i32_e64 s[0:1], s7, v1
	v_mov_b32_e32 v10, 0
	v_mov_b32_e32 v2, 0
	;; [unrolled: 1-line block ×9, first 2 shown]
	s_and_saveexec_b64 s[10:11], s[0:1]
	s_cbranch_execz .LBB11_3
; %bb.2:
	s_load_dwordx2 s[20:21], s[4:5], 0x28
	s_load_dwordx2 s[24:25], s[4:5], 0x40
	s_and_b64 s[28:29], vcc, exec
	s_cselect_b32 s14, s17, s18
	s_mov_b32 s23, 0x20000
	s_waitcnt lgkmcnt(0)
	s_cselect_b32 s17, s21, s27
	s_cselect_b32 s19, s20, s26
	s_mul_hi_i32 s21, s14, s6
	s_mul_i32 s20, s14, s6
	s_lshl_b64 s[20:21], s[20:21], 1
	s_add_u32 s28, s19, s20
	s_addc_u32 s14, s17, s21
	s_and_b64 s[20:21], vcc, exec
	s_cselect_b32 s20, s24, s8
	s_cselect_b32 s17, s25, s9
	v_lshlrev_b32_e32 v11, 4, v0
	s_and_b32 s29, s14, 0xffff
	s_mov_b32 s30, s22
	s_mov_b32 s31, s23
	s_and_b32 s21, s17, 0xffff
	buffer_load_dwordx4 v[6:9], v11, s[28:31], 0 offen glc slc
	buffer_load_dwordx4 v[2:5], v11, s[20:23], 0 offen
.LBB11_3:
	s_or_b64 exec, exec, s[10:11]
	v_mov_b32_e32 v11, 0
	v_mov_b32_e32 v16, 0
	;; [unrolled: 1-line block ×7, first 2 shown]
	s_and_saveexec_b64 s[10:11], s[0:1]
	s_cbranch_execz .LBB11_5
; %bb.4:
	s_waitcnt vmcnt(1)
	v_cvt_f32_f16_sdwa v11, v6 dst_sel:DWORD dst_unused:UNUSED_PAD src0_sel:WORD_1
	v_cvt_f32_f16_e32 v10, v6
	v_cvt_f32_f16_sdwa v17, v7 dst_sel:DWORD dst_unused:UNUSED_PAD src0_sel:WORD_1
	v_cvt_f32_f16_e32 v16, v7
	;; [unrolled: 2-line block ×4, first 2 shown]
.LBB11_5:
	s_or_b64 exec, exec, s[10:11]
	s_waitcnt vmcnt(1)
	v_mul_f32_e32 v6, v11, v11
	v_fmac_f32_e32 v6, v10, v10
	v_fmac_f32_e32 v6, v16, v16
	;; [unrolled: 1-line block ×7, first 2 shown]
	v_bfrev_b32_e32 v8, 0.5
	s_load_dwordx2 s[24:25], s[4:5], 0x18
	v_mov_b32_dpp v7, v6 quad_perm:[1,0,3,2] row_mask:0xf bank_mask:0xf
	v_add_f32_e32 v6, v6, v7
	s_nop 1
	v_mov_b32_dpp v7, v6 quad_perm:[2,3,0,1] row_mask:0xf bank_mask:0xf
	v_add_f32_e32 v6, v6, v7
	s_nop 1
	v_mov_b32_dpp v7, v6 row_half_mirror row_mask:0xf bank_mask:0xf
	v_add_f32_e32 v6, v6, v7
	s_nop 1
	v_mov_b32_dpp v7, v6 row_mirror row_mask:0xf bank_mask:0xf
	v_add_f32_e32 v6, v6, v7
	s_nop 1
	v_mov_b32_dpp v7, v6 row_bcast:15 row_mask:0xf bank_mask:0xf
	v_add_f32_e32 v6, v6, v7
	s_nop 1
	v_mov_b32_dpp v7, v6 row_bcast:31 row_mask:0xf bank_mask:0xf
	v_add_f32_e32 v6, v6, v7
	v_mbcnt_lo_u32_b32 v7, -1, 0
	v_mbcnt_hi_u32_b32 v7, -1, v7
	v_lshl_or_b32 v18, v7, 2, v8
	ds_bpermute_b32 v6, v18, v6
	s_and_saveexec_b64 s[10:11], s[0:1]
	s_cbranch_execz .LBB11_7
; %bb.6:
	v_cvt_f32_u32_e32 v7, s7
	v_mov_b32_e32 v8, s13
	v_mov_b32_e32 v9, s12
	v_cndmask_b32_e32 v8, v8, v9, vcc
	s_waitcnt lgkmcnt(0)
	v_div_scale_f32 v19, s[20:21], v7, v7, v6
	v_rcp_f32_e32 v20, v19
	v_div_scale_f32 v9, vcc, v6, v7, v6
	s_mov_b32 s7, 0x800000
	v_fma_f32 v21, -v19, v20, 1.0
	v_fmac_f32_e32 v20, v21, v20
	v_mul_f32_e32 v21, v9, v20
	v_fma_f32 v22, -v19, v21, v9
	v_fmac_f32_e32 v21, v22, v20
	v_fma_f32 v9, -v19, v21, v9
	v_div_fmas_f32 v9, v9, v20, v21
	v_div_fixup_f32 v6, v9, v7, v6
	v_add_f32_e32 v6, v8, v6
	v_mul_f32_e32 v7, 0x4b800000, v6
	v_cmp_gt_f32_e32 vcc, s7, v6
	v_cndmask_b32_e32 v6, v6, v7, vcc
	v_rsq_f32_e32 v6, v6
	s_waitcnt vmcnt(0)
	v_cvt_f32_f16_sdwa v21, v5 dst_sel:DWORD dst_unused:UNUSED_PAD src0_sel:WORD_1
	v_cvt_f32_f16_e32 v20, v5
	v_mul_f32_e32 v7, 0x45800000, v6
	v_cndmask_b32_e32 v6, v6, v7, vcc
	v_mov_b32_e32 v7, v6
	;;#ASMSTART
	v_pk_mul_f32 v[8:9], v[10:11], v[6:7]
	;;#ASMEND
	;;#ASMSTART
	v_pk_mul_f32 v[16:17], v[16:17], v[6:7]
	;;#ASMEND
	;; [unrolled: 3-line block ×4, first 2 shown]
	v_cvt_f32_f16_sdwa v11, v2 dst_sel:DWORD dst_unused:UNUSED_PAD src0_sel:WORD_1
	v_cvt_f32_f16_e32 v10, v2
	v_cvt_f32_f16_sdwa v13, v3 dst_sel:DWORD dst_unused:UNUSED_PAD src0_sel:WORD_1
	v_cvt_f32_f16_e32 v12, v3
	v_cvt_f32_f16_sdwa v3, v4 dst_sel:DWORD dst_unused:UNUSED_PAD src0_sel:WORD_1
	v_cvt_f32_f16_e32 v2, v4
	;;#ASMSTART
	v_pk_mul_f32 v[10:11], v[8:9], v[10:11]
	;;#ASMEND
	;;#ASMSTART
	v_pk_mul_f32 v[16:17], v[16:17], v[12:13]
	;;#ASMEND
	;; [unrolled: 3-line block ×4, first 2 shown]
.LBB11_7:
	s_or_b64 exec, exec, s[10:11]
	s_load_dwordx2 s[28:29], s[4:5], 0x7c
	s_mov_b64 s[10:11], -1
	s_and_b64 vcc, exec, s[2:3]
	s_cbranch_vccnz .LBB11_11
; %bb.8:
	s_andn2_b64 vcc, exec, s[10:11]
	s_cbranch_vccz .LBB11_14
.LBB11_9:
	s_cmp_lt_i32 s16, 1
	s_cbranch_scc0 .LBB11_23
.LBB11_10:
	s_endpgm
.LBB11_11:
	s_and_saveexec_b64 s[2:3], s[0:1]
	s_cbranch_execz .LBB11_13
; %bb.12:
	s_waitcnt lgkmcnt(0)
	s_mul_hi_i32 s11, s29, s6
	s_mul_i32 s10, s29, s6
	s_waitcnt vmcnt(0)
	v_cvt_f16_f32_e32 v2, v10
	v_cvt_f16_f32_e32 v3, v16
	;; [unrolled: 1-line block ×8, first 2 shown]
	s_lshl_b64 s[10:11], s[10:11], 1
	s_add_u32 s20, s24, s10
	s_addc_u32 s7, s25, s11
	s_and_b32 s21, s7, 0xffff
	s_mov_b32 s23, 0x20000
	v_pack_b32_f16 v5, v5, v6
	v_pack_b32_f16 v4, v4, v7
	;; [unrolled: 1-line block ×4, first 2 shown]
	v_lshlrev_b32_e32 v6, 4, v0
	buffer_store_dwordx4 v[2:5], v6, s[20:23], 0 offen
	;;#ASMSTART
	s_nop 0
	;;#ASMEND
.LBB11_13:
	s_or_b64 exec, exec, s[2:3]
	s_cbranch_execnz .LBB11_9
.LBB11_14:
	s_waitcnt vmcnt(0)
	v_mov_b32_e32 v2, 0
	s_and_saveexec_b64 s[2:3], s[0:1]
	s_cbranch_execz .LBB11_16
; %bb.15:
	s_load_dwordx2 s[10:11], s[4:5], 0x10
	s_waitcnt lgkmcnt(0)
	s_mul_hi_i32 s21, s28, s6
	s_mul_i32 s20, s28, s6
	v_cvt_f16_f32_e32 v2, v10
	v_cvt_f16_f32_e32 v3, v16
	;; [unrolled: 1-line block ×8, first 2 shown]
	s_lshl_b64 s[20:21], s[20:21], 1
	s_add_u32 s20, s10, s20
	s_addc_u32 s7, s11, s21
	s_mov_b32 s23, 0x20000
	s_and_b32 s21, s7, 0xffff
	v_pack_b32_f16 v5, v5, v6
	v_pack_b32_f16 v4, v4, v7
	;; [unrolled: 1-line block ×4, first 2 shown]
	v_lshlrev_b32_e32 v6, 4, v0
	buffer_store_dwordx4 v[2:5], v6, s[20:23], 0 offen
	;;#ASMSTART
	s_nop 0
	;;#ASMEND
	s_nop 0
	v_mov_b32_e32 v2, 0x2edbe6ff
.LBB11_16:
	s_or_b64 exec, exec, s[2:3]
	s_and_saveexec_b64 s[2:3], s[0:1]
	s_cbranch_execz .LBB11_18
; %bb.17:
	v_and_b32_e32 v3, 0x7fffffff, v10
	v_and_b32_e32 v4, 0x7fffffff, v11
	;;#ASMSTART
	v_max3_f32 v2, v2, v3, v4

	;;#ASMEND
	v_and_b32_e32 v3, 0x7fffffff, v16
	v_and_b32_e32 v4, 0x7fffffff, v17
	;;#ASMSTART
	v_max3_f32 v2, v2, v3, v4

	;;#ASMEND
	;; [unrolled: 6-line block ×4, first 2 shown]
.LBB11_18:
	s_or_b64 exec, exec, s[2:3]
	s_nop 0
	v_mov_b32_dpp v3, v2 quad_perm:[1,0,3,2] row_mask:0xf bank_mask:0xf
	v_cmp_gt_f32_e32 vcc, v2, v3
	v_cndmask_b32_e32 v2, v3, v2, vcc
	s_load_dwordx2 s[2:3], s[4:5], 0x70
	s_nop 0
	v_mov_b32_dpp v3, v2 quad_perm:[2,3,0,1] row_mask:0xf bank_mask:0xf
	v_cmp_gt_f32_e32 vcc, v2, v3
	v_cndmask_b32_e32 v2, v3, v2, vcc
	s_nop 1
	v_mov_b32_dpp v3, v2 row_half_mirror row_mask:0xf bank_mask:0xf
	v_cmp_gt_f32_e32 vcc, v2, v3
	v_cndmask_b32_e32 v2, v3, v2, vcc
	s_nop 1
	v_mov_b32_dpp v3, v2 row_mirror row_mask:0xf bank_mask:0xf
	v_cmp_gt_f32_e32 vcc, v2, v3
	v_cndmask_b32_e32 v2, v3, v2, vcc
	s_nop 1
	v_mov_b32_dpp v3, v2 row_bcast:15 row_mask:0xf bank_mask:0xf
	v_cmp_gt_f32_e32 vcc, v2, v3
	v_cndmask_b32_e32 v2, v3, v2, vcc
	s_nop 1
	v_mov_b32_dpp v3, v2 row_bcast:31 row_mask:0xf bank_mask:0xf
	v_cmp_gt_f32_e32 vcc, v2, v3
	v_cndmask_b32_e32 v2, v3, v2, vcc
	ds_bpermute_b32 v2, v18, v2
	v_cmp_eq_u32_e32 vcc, 0, v0
	s_waitcnt lgkmcnt(0)
	v_mul_f32_e32 v2, 0x3b124925, v2
	s_and_saveexec_b64 s[10:11], vcc
	s_cbranch_execz .LBB11_20
; %bb.19:
	s_load_dwordx2 s[20:21], s[4:5], 0x8
	s_mul_hi_i32 s23, s3, s6
	s_mul_i32 s22, s3, s6
	s_lshl_b64 s[22:23], s[22:23], 2
	v_mov_b32_e32 v3, 0
	s_waitcnt lgkmcnt(0)
	s_add_u32 s20, s20, s22
	s_addc_u32 s21, s21, s23
	global_store_dword v3, v2, s[20:21]
.LBB11_20:
	s_or_b64 exec, exec, s[10:11]
	;;#ASMSTART
	v_rcp_f32 v2, v2
	;;#ASMEND
	s_and_saveexec_b64 s[10:11], s[0:1]
	s_cbranch_execz .LBB11_22
; %bb.21:
	v_mov_b32_e32 v3, v2
	;;#ASMSTART
	v_pk_mul_f32 v[4:5], v[10:11], v[2:3]
	;;#ASMEND
	s_load_dwordx2 s[0:1], s[4:5], 0x0
	v_mov_b32_e32 v8, 0xc3e00000
	v_mov_b32_e32 v9, 0x43e00000
	;;#ASMSTART
	v_med3_f32 v4, v4, v8, v9
v_med3_f32 v5, v5, v8, v9
v_cvt_pk_fp8_f32 v6, v4, v5
	;;#ASMEND
	;;#ASMSTART
	v_pk_mul_f32 v[4:5], v[16:17], v[2:3]
	;;#ASMEND
	;;#ASMSTART
	v_med3_f32 v4, v4, v8, v9
v_med3_f32 v5, v5, v8, v9
v_cvt_pk_fp8_f32 v7, v4, v5
	;;#ASMEND
	s_mov_b32 s12, 0x5040100
	v_perm_b32 v5, v7, v6, s12
	s_movk_i32 s12, 0xff
	s_mul_hi_i32 s3, s2, s6
	s_mul_i32 s2, s2, s6
	v_and_b32_e32 v4, 0xffffff00, v7
	v_and_b32_sdwa v6, v5, s12 dst_sel:DWORD dst_unused:UNUSED_PAD src0_sel:WORD_1 src1_sel:DWORD
	s_mov_b32 s7, 0xffff
	s_waitcnt lgkmcnt(0)
	s_add_u32 s0, s0, s2
	v_or_b32_sdwa v4, v6, v4 dst_sel:WORD_1 dst_unused:UNUSED_PAD src0_sel:DWORD src1_sel:DWORD
	s_addc_u32 s1, s1, s3
	s_add_i32 s2, s15, 3
	v_and_or_b32 v4, v5, s7, v4
	;;#ASMSTART
	v_pk_mul_f32 v[6:7], v[14:15], v[2:3]
	;;#ASMEND
	v_mov_b32_e32 v5, v7
	s_ashr_i32 s3, s2, 31
	;;#ASMSTART
	v_med3_f32 v6, v6, v8, v9
v_med3_f32 v5, v5, v8, v9
v_cvt_pk_fp8_f32 v7, v6, v5
	;;#ASMEND
	;;#ASMSTART
	v_pk_mul_f32 v[2:3], v[12:13], v[2:3]
	;;#ASMEND
	s_lshr_b32 s3, s3, 30
	;;#ASMSTART
	v_med3_f32 v2, v2, v8, v9
v_med3_f32 v3, v3, v8, v9
v_cvt_pk_fp8_f32 v5, v2, v3
	;;#ASMEND
	s_add_i32 s2, s2, s3
	v_lshlrev_b32_e32 v2, 16, v5
	s_and_b32 s2, s2, -4
	s_and_b32 s1, s1, 0xffff
	s_mov_b32 s3, 0x20000
	v_and_or_b32 v5, v7, s7, v2
	buffer_store_dwordx2 v[4:5], v1, s[0:3], 0 offen
	;;#ASMSTART
	s_nop 0
	;;#ASMEND
.LBB11_22:
	s_or_b64 exec, exec, s[10:11]
	s_cmp_lt_i32 s16, 1
	s_cbranch_scc1 .LBB11_10
.LBB11_23:
	s_load_dword s0, s[4:5], 0x94
	s_waitcnt lgkmcnt(0)
	s_cmp_lg_u32 s0, 1
	s_cbranch_scc1 .LBB11_10
; %bb.24:
	s_lshl_b32 s0, s16, 1
	s_add_i32 s0, s0, 2
	v_cmp_gt_u32_e32 vcc, s16, v1
	s_and_b32 s10, s0, -4
	v_mov_b32_e32 v8, 0
	v_lshlrev_b32_e32 v16, 4, v0
	s_waitcnt vmcnt(0)
	v_mov_b32_e32 v4, 0
	v_mov_b32_e32 v5, 0
	;; [unrolled: 1-line block ×8, first 2 shown]
	s_barrier
	s_and_saveexec_b64 s[0:1], vcc
	s_cbranch_execz .LBB11_26
; %bb.25:
	s_mul_hi_i32 s3, s18, s6
	s_mul_i32 s2, s18, s6
	s_and_b32 s9, s9, 0xffff
	s_lshl_b64 s[2:3], s[2:3], 1
	s_add_u32 s20, s26, s2
	s_mov_b32 s11, 0x20000
	s_addc_u32 s2, s27, s3
	s_and_b32 s21, s2, 0xffff
	s_mov_b32 s22, s10
	s_mov_b32 s23, s11
	buffer_load_dwordx4 v[4:7], v16, s[20:23], 0 offen glc slc
	buffer_load_dwordx4 v[0:3], v16, s[8:11], 0 offen
.LBB11_26:
	s_or_b64 exec, exec, s[0:1]
	v_mov_b32_e32 v9, 0
	v_mov_b32_e32 v14, 0
	v_mov_b32_e32 v15, 0
	v_mov_b32_e32 v12, 0
	v_mov_b32_e32 v13, 0
	v_mov_b32_e32 v10, 0
	v_mov_b32_e32 v11, 0
	s_and_saveexec_b64 s[0:1], vcc
	s_cbranch_execz .LBB11_28
; %bb.27:
	s_waitcnt vmcnt(1)
	v_cvt_f32_f16_sdwa v9, v4 dst_sel:DWORD dst_unused:UNUSED_PAD src0_sel:WORD_1
	v_cvt_f32_f16_e32 v8, v4
	v_cvt_f32_f16_sdwa v15, v5 dst_sel:DWORD dst_unused:UNUSED_PAD src0_sel:WORD_1
	v_cvt_f32_f16_e32 v14, v5
	;; [unrolled: 2-line block ×4, first 2 shown]
.LBB11_28:
	s_or_b64 exec, exec, s[0:1]
	s_waitcnt vmcnt(1)
	v_mul_f32_e32 v4, v9, v9
	v_fmac_f32_e32 v4, v8, v8
	v_fmac_f32_e32 v4, v14, v14
	;; [unrolled: 1-line block ×7, first 2 shown]
	s_nop 1
	v_mov_b32_dpp v5, v4 quad_perm:[1,0,3,2] row_mask:0xf bank_mask:0xf
	v_add_f32_e32 v4, v4, v5
	s_nop 1
	v_mov_b32_dpp v5, v4 quad_perm:[2,3,0,1] row_mask:0xf bank_mask:0xf
	v_add_f32_e32 v4, v4, v5
	s_nop 1
	v_mov_b32_dpp v5, v4 row_half_mirror row_mask:0xf bank_mask:0xf
	v_add_f32_e32 v4, v4, v5
	s_nop 1
	v_mov_b32_dpp v5, v4 row_mirror row_mask:0xf bank_mask:0xf
	v_add_f32_e32 v4, v4, v5
	s_nop 1
	v_mov_b32_dpp v5, v4 row_bcast:15 row_mask:0xf bank_mask:0xf
	v_add_f32_e32 v4, v4, v5
	s_nop 1
	v_mov_b32_dpp v5, v4 row_bcast:31 row_mask:0xf bank_mask:0xf
	v_add_f32_e32 v4, v4, v5
	ds_bpermute_b32 v4, v18, v4
	s_and_saveexec_b64 s[0:1], vcc
	s_cbranch_execz .LBB11_10
; %bb.29:
	v_cvt_f32_u32_e32 v5, s16
	s_mov_b32 s11, 0x20000
	s_waitcnt lgkmcnt(0)
	v_div_scale_f32 v6, s[0:1], v5, v5, v4
	v_rcp_f32_e32 v7, v6
	v_div_scale_f32 v17, vcc, v4, v5, v4
	s_mov_b32 s0, 0x800000
	v_fma_f32 v18, -v6, v7, 1.0
	v_fmac_f32_e32 v7, v18, v7
	v_mul_f32_e32 v18, v17, v7
	v_fma_f32 v19, -v6, v18, v17
	v_fmac_f32_e32 v18, v19, v7
	v_fma_f32 v6, -v6, v18, v17
	v_div_fmas_f32 v6, v6, v7, v18
	v_div_fixup_f32 v4, v6, v5, v4
	v_add_f32_e32 v4, s13, v4
	v_mul_f32_e32 v5, 0x4b800000, v4
	v_cmp_gt_f32_e32 vcc, s0, v4
	v_cndmask_b32_e32 v4, v4, v5, vcc
	v_rsq_f32_e32 v4, v4
	s_waitcnt vmcnt(0)
	v_cvt_f32_f16_sdwa v19, v3 dst_sel:DWORD dst_unused:UNUSED_PAD src0_sel:WORD_1
	v_cvt_f32_f16_e32 v18, v3
	s_mul_hi_i32 s1, s29, s6
	v_mul_f32_e32 v5, 0x45800000, v4
	v_cndmask_b32_e32 v4, v4, v5, vcc
	v_mov_b32_e32 v5, v4
	;;#ASMSTART
	v_pk_mul_f32 v[6:7], v[8:9], v[4:5]
	;;#ASMEND
	;;#ASMSTART
	v_pk_mul_f32 v[8:9], v[14:15], v[4:5]
	;;#ASMEND
	;; [unrolled: 3-line block ×4, first 2 shown]
	v_cvt_f32_f16_sdwa v11, v0 dst_sel:DWORD dst_unused:UNUSED_PAD src0_sel:WORD_1
	v_cvt_f32_f16_e32 v10, v0
	v_cvt_f32_f16_sdwa v15, v1 dst_sel:DWORD dst_unused:UNUSED_PAD src0_sel:WORD_1
	v_cvt_f32_f16_e32 v14, v1
	;; [unrolled: 2-line block ×3, first 2 shown]
	;;#ASMSTART
	v_pk_mul_f32 v[2:3], v[6:7], v[10:11]
	;;#ASMEND
	;;#ASMSTART
	v_pk_mul_f32 v[6:7], v[8:9], v[14:15]
	;;#ASMEND
	;; [unrolled: 3-line block ×4, first 2 shown]
	s_mul_i32 s0, s29, s6
	v_cvt_f16_f32_e32 v2, v2
	v_cvt_f16_f32_e32 v3, v3
	;; [unrolled: 1-line block ×8, first 2 shown]
	s_lshl_b64 s[0:1], s[0:1], 1
	s_add_u32 s8, s24, s0
	s_addc_u32 s0, s25, s1
	s_and_b32 s9, s0, 0xffff
	v_pack_b32_f16 v0, v2, v3
	v_pack_b32_f16 v1, v6, v7
	;; [unrolled: 1-line block ×4, first 2 shown]
	buffer_store_dwordx4 v[0:3], v16, s[8:11], 0 offen
	;;#ASMSTART
	s_nop 0
	;;#ASMEND
	s_endpgm
	.section	.rodata,"a",@progbits
	.p2align	6, 0x0
	.amdhsa_kernel _ZN5aiter35fused_qk_rmsnorm_group_quant_kernelIDF16_DB8_Li64ELi8ELi1ELb0ELb1ELb0ELb0ELb1ELb1EEEvPT0_PvPT_S6_S6_PKS5_S8_S8_S8_S8_ffiiiiiiiiiiiii
		.amdhsa_group_segment_fixed_size 0
		.amdhsa_private_segment_fixed_size 0
		.amdhsa_kernarg_size 400
		.amdhsa_user_sgpr_count 6
		.amdhsa_user_sgpr_private_segment_buffer 1
		.amdhsa_user_sgpr_dispatch_ptr 0
		.amdhsa_user_sgpr_queue_ptr 0
		.amdhsa_user_sgpr_kernarg_segment_ptr 1
		.amdhsa_user_sgpr_dispatch_id 0
		.amdhsa_user_sgpr_flat_scratch_init 0
		.amdhsa_user_sgpr_kernarg_preload_length 0
		.amdhsa_user_sgpr_kernarg_preload_offset 0
		.amdhsa_user_sgpr_private_segment_size 0
		.amdhsa_uses_dynamic_stack 0
		.amdhsa_system_sgpr_private_segment_wavefront_offset 0
		.amdhsa_system_sgpr_workgroup_id_x 1
		.amdhsa_system_sgpr_workgroup_id_y 1
		.amdhsa_system_sgpr_workgroup_id_z 0
		.amdhsa_system_sgpr_workgroup_info 0
		.amdhsa_system_vgpr_workitem_id 0
		.amdhsa_next_free_vgpr 23
		.amdhsa_next_free_sgpr 32
		.amdhsa_accum_offset 24
		.amdhsa_reserve_vcc 1
		.amdhsa_reserve_flat_scratch 0
		.amdhsa_float_round_mode_32 0
		.amdhsa_float_round_mode_16_64 0
		.amdhsa_float_denorm_mode_32 3
		.amdhsa_float_denorm_mode_16_64 3
		.amdhsa_dx10_clamp 1
		.amdhsa_ieee_mode 1
		.amdhsa_fp16_overflow 0
		.amdhsa_tg_split 0
		.amdhsa_exception_fp_ieee_invalid_op 0
		.amdhsa_exception_fp_denorm_src 0
		.amdhsa_exception_fp_ieee_div_zero 0
		.amdhsa_exception_fp_ieee_overflow 0
		.amdhsa_exception_fp_ieee_underflow 0
		.amdhsa_exception_fp_ieee_inexact 0
		.amdhsa_exception_int_div_zero 0
	.end_amdhsa_kernel
	.section	.text._ZN5aiter35fused_qk_rmsnorm_group_quant_kernelIDF16_DB8_Li64ELi8ELi1ELb0ELb1ELb0ELb0ELb1ELb1EEEvPT0_PvPT_S6_S6_PKS5_S8_S8_S8_S8_ffiiiiiiiiiiiii,"axG",@progbits,_ZN5aiter35fused_qk_rmsnorm_group_quant_kernelIDF16_DB8_Li64ELi8ELi1ELb0ELb1ELb0ELb0ELb1ELb1EEEvPT0_PvPT_S6_S6_PKS5_S8_S8_S8_S8_ffiiiiiiiiiiiii,comdat
.Lfunc_end11:
	.size	_ZN5aiter35fused_qk_rmsnorm_group_quant_kernelIDF16_DB8_Li64ELi8ELi1ELb0ELb1ELb0ELb0ELb1ELb1EEEvPT0_PvPT_S6_S6_PKS5_S8_S8_S8_S8_ffiiiiiiiiiiiii, .Lfunc_end11-_ZN5aiter35fused_qk_rmsnorm_group_quant_kernelIDF16_DB8_Li64ELi8ELi1ELb0ELb1ELb0ELb0ELb1ELb1EEEvPT0_PvPT_S6_S6_PKS5_S8_S8_S8_S8_ffiiiiiiiiiiiii
                                        ; -- End function
	.section	.AMDGPU.csdata,"",@progbits
; Kernel info:
; codeLenInByte = 2568
; NumSgprs: 36
; NumVgprs: 23
; NumAgprs: 0
; TotalNumVgprs: 23
; ScratchSize: 0
; MemoryBound: 0
; FloatMode: 240
; IeeeMode: 1
; LDSByteSize: 0 bytes/workgroup (compile time only)
; SGPRBlocks: 4
; VGPRBlocks: 2
; NumSGPRsForWavesPerEU: 36
; NumVGPRsForWavesPerEU: 23
; AccumOffset: 24
; Occupancy: 8
; WaveLimiterHint : 0
; COMPUTE_PGM_RSRC2:SCRATCH_EN: 0
; COMPUTE_PGM_RSRC2:USER_SGPR: 6
; COMPUTE_PGM_RSRC2:TRAP_HANDLER: 0
; COMPUTE_PGM_RSRC2:TGID_X_EN: 1
; COMPUTE_PGM_RSRC2:TGID_Y_EN: 1
; COMPUTE_PGM_RSRC2:TGID_Z_EN: 0
; COMPUTE_PGM_RSRC2:TIDIG_COMP_CNT: 0
; COMPUTE_PGM_RSRC3_GFX90A:ACCUM_OFFSET: 5
; COMPUTE_PGM_RSRC3_GFX90A:TG_SPLIT: 0
	.section	.text._ZN5aiter35fused_qk_rmsnorm_group_quant_kernelItDB8_Li64ELi8ELi1ELb0ELb1ELb0ELb0ELb1ELb1EEEvPT0_PvPT_S6_S6_PKS5_S8_S8_S8_S8_ffiiiiiiiiiiiii,"axG",@progbits,_ZN5aiter35fused_qk_rmsnorm_group_quant_kernelItDB8_Li64ELi8ELi1ELb0ELb1ELb0ELb0ELb1ELb1EEEvPT0_PvPT_S6_S6_PKS5_S8_S8_S8_S8_ffiiiiiiiiiiiii,comdat
	.protected	_ZN5aiter35fused_qk_rmsnorm_group_quant_kernelItDB8_Li64ELi8ELi1ELb0ELb1ELb0ELb0ELb1ELb1EEEvPT0_PvPT_S6_S6_PKS5_S8_S8_S8_S8_ffiiiiiiiiiiiii ; -- Begin function _ZN5aiter35fused_qk_rmsnorm_group_quant_kernelItDB8_Li64ELi8ELi1ELb0ELb1ELb0ELb0ELb1ELb1EEEvPT0_PvPT_S6_S6_PKS5_S8_S8_S8_S8_ffiiiiiiiiiiiii
	.globl	_ZN5aiter35fused_qk_rmsnorm_group_quant_kernelItDB8_Li64ELi8ELi1ELb0ELb1ELb0ELb0ELb1ELb1EEEvPT0_PvPT_S6_S6_PKS5_S8_S8_S8_S8_ffiiiiiiiiiiiii
	.p2align	8
	.type	_ZN5aiter35fused_qk_rmsnorm_group_quant_kernelItDB8_Li64ELi8ELi1ELb0ELb1ELb0ELb0ELb1ELb1EEEvPT0_PvPT_S6_S6_PKS5_S8_S8_S8_S8_ffiiiiiiiiiiiii,@function
_ZN5aiter35fused_qk_rmsnorm_group_quant_kernelItDB8_Li64ELi8ELi1ELb0ELb1ELb0ELb0ELb1ELb1EEEvPT0_PvPT_S6_S6_PKS5_S8_S8_S8_S8_ffiiiiiiiiiiiii: ; @_ZN5aiter35fused_qk_rmsnorm_group_quant_kernelItDB8_Li64ELi8ELi1ELb0ELb1ELb0ELb0ELb1ELb1EEEvPT0_PvPT_S6_S6_PKS5_S8_S8_S8_S8_ffiiiiiiiiiiiii
; %bb.0:
	s_load_dwordx4 s[12:15], s[4:5], 0x50
	s_waitcnt lgkmcnt(0)
	s_cmp_ge_i32 s6, s14
	s_cbranch_scc1 .LBB12_8
; %bb.1:
	s_load_dwordx2 s[8:9], s[4:5], 0x48
	s_load_dwordx2 s[26:27], s[4:5], 0x30
	s_load_dwordx4 s[16:19], s[4:5], 0x60
	s_cmp_lg_u32 s7, 0
	s_cselect_b64 s[2:3], -1, 0
	s_cmp_eq_u32 s7, 0
	s_cselect_b64 vcc, -1, 0
	s_and_b64 s[0:1], vcc, exec
	s_waitcnt lgkmcnt(0)
	s_cselect_b32 s7, s15, s16
	s_add_i32 s0, s7, 1
	s_lshr_b32 s1, s0, 31
	s_add_i32 s0, s0, s1
	s_lshl_b32 s0, s0, 1
	v_lshlrev_b32_e32 v1, 3, v0
	s_and_b32 s22, s0, -4
	v_cmp_gt_i32_e64 s[0:1], s7, v1
	v_mov_b32_e32 v2, 0
	v_mov_b32_e32 v3, 0
	;; [unrolled: 1-line block ×8, first 2 shown]
	s_and_saveexec_b64 s[10:11], s[0:1]
	s_cbranch_execz .LBB12_3
; %bb.2:
	s_load_dwordx2 s[20:21], s[4:5], 0x28
	s_load_dwordx2 s[24:25], s[4:5], 0x40
	s_and_b64 s[28:29], vcc, exec
	s_cselect_b32 s14, s17, s18
	s_mov_b32 s23, 0x20000
	s_waitcnt lgkmcnt(0)
	s_cselect_b32 s17, s21, s27
	s_cselect_b32 s19, s20, s26
	s_mul_hi_i32 s21, s14, s6
	s_mul_i32 s20, s14, s6
	s_lshl_b64 s[20:21], s[20:21], 1
	s_add_u32 s28, s19, s20
	s_addc_u32 s14, s17, s21
	s_and_b64 s[20:21], vcc, exec
	s_cselect_b32 s20, s24, s8
	s_cselect_b32 s17, s25, s9
	v_lshlrev_b32_e32 v10, 4, v0
	s_and_b32 s29, s14, 0xffff
	s_mov_b32 s30, s22
	s_mov_b32 s31, s23
	s_and_b32 s21, s17, 0xffff
	buffer_load_dwordx4 v[6:9], v10, s[28:31], 0 offen glc slc
	buffer_load_dwordx4 v[2:5], v10, s[20:23], 0 offen
.LBB12_3:
	s_or_b64 exec, exec, s[10:11]
	s_waitcnt vmcnt(1)
	v_cvt_f32_u32_sdwa v13, v6 dst_sel:DWORD dst_unused:UNUSED_PAD src0_sel:WORD_1
	v_cvt_f32_u32_sdwa v12, v6 dst_sel:DWORD dst_unused:UNUSED_PAD src0_sel:WORD_0
	v_cvt_f32_u32_sdwa v6, v9 dst_sel:DWORD dst_unused:UNUSED_PAD src0_sel:WORD_1
	v_cvt_f32_u32_sdwa v9, v9 dst_sel:DWORD dst_unused:UNUSED_PAD src0_sel:WORD_0
	;; [unrolled: 2-line block ×4, first 2 shown]
	v_cndmask_b32_e64 v13, 0, v13, s[0:1]
	v_cndmask_b32_e64 v7, 0, v6, s[0:1]
	;; [unrolled: 1-line block ×5, first 2 shown]
	v_mul_f32_e32 v14, v13, v13
	v_cndmask_b32_e64 v10, 0, v10, s[0:1]
	v_fmac_f32_e32 v14, v12, v12
	v_cndmask_b32_e64 v11, 0, v11, s[0:1]
	v_fmac_f32_e32 v14, v10, v10
	;; [unrolled: 2-line block ×3, first 2 shown]
	v_fmac_f32_e32 v14, v8, v8
	v_fmac_f32_e32 v14, v9, v9
	;; [unrolled: 1-line block ×4, first 2 shown]
	v_bfrev_b32_e32 v16, 0.5
	s_load_dwordx2 s[24:25], s[4:5], 0x18
	v_mov_b32_dpp v15, v14 quad_perm:[1,0,3,2] row_mask:0xf bank_mask:0xf
	v_add_f32_e32 v14, v14, v15
	s_nop 1
	v_mov_b32_dpp v15, v14 quad_perm:[2,3,0,1] row_mask:0xf bank_mask:0xf
	v_add_f32_e32 v14, v14, v15
	s_nop 1
	v_mov_b32_dpp v15, v14 row_half_mirror row_mask:0xf bank_mask:0xf
	v_add_f32_e32 v14, v14, v15
	s_nop 1
	v_mov_b32_dpp v15, v14 row_mirror row_mask:0xf bank_mask:0xf
	v_add_f32_e32 v14, v14, v15
	s_nop 1
	v_mov_b32_dpp v15, v14 row_bcast:15 row_mask:0xf bank_mask:0xf
	v_add_f32_e32 v14, v14, v15
	s_nop 1
	v_mov_b32_dpp v15, v14 row_bcast:31 row_mask:0xf bank_mask:0xf
	v_add_f32_e32 v15, v14, v15
	v_mbcnt_lo_u32_b32 v14, -1, 0
	v_mbcnt_hi_u32_b32 v14, -1, v14
	v_lshl_or_b32 v14, v14, 2, v16
	ds_bpermute_b32 v15, v14, v15
	s_and_saveexec_b64 s[10:11], s[0:1]
	s_cbranch_execz .LBB12_5
; %bb.4:
	v_cvt_f32_u32_e32 v16, s7
	v_mov_b32_e32 v17, s13
	v_mov_b32_e32 v18, s12
	v_cndmask_b32_e32 v17, v17, v18, vcc
	s_waitcnt lgkmcnt(0)
	v_div_scale_f32 v19, s[20:21], v16, v16, v15
	v_rcp_f32_e32 v20, v19
	v_div_scale_f32 v18, vcc, v15, v16, v15
	s_mov_b32 s7, 0x800000
	v_fma_f32 v21, -v19, v20, 1.0
	v_fmac_f32_e32 v20, v21, v20
	v_mul_f32_e32 v21, v18, v20
	v_fma_f32 v22, -v19, v21, v18
	v_fmac_f32_e32 v21, v22, v20
	v_fma_f32 v18, -v19, v21, v18
	v_div_fmas_f32 v18, v18, v20, v21
	v_div_fixup_f32 v15, v18, v16, v15
	v_add_f32_e32 v15, v17, v15
	v_mul_f32_e32 v16, 0x4b800000, v15
	v_cmp_gt_f32_e32 vcc, s7, v15
	v_cndmask_b32_e32 v15, v15, v16, vcc
	v_rsq_f32_e32 v15, v15
	s_waitcnt vmcnt(0)
	v_cvt_f32_u32_sdwa v19, v3 dst_sel:DWORD dst_unused:UNUSED_PAD src0_sel:WORD_1
	v_cvt_f32_u32_sdwa v18, v3 dst_sel:DWORD dst_unused:UNUSED_PAD src0_sel:WORD_0
	v_cvt_f32_u32_sdwa v3, v4 dst_sel:DWORD dst_unused:UNUSED_PAD src0_sel:WORD_1
	v_mul_f32_e32 v16, 0x45800000, v15
	v_cndmask_b32_e32 v16, v15, v16, vcc
	v_mov_b32_e32 v17, v16
	;;#ASMSTART
	v_pk_mul_f32 v[12:13], v[12:13], v[16:17]
	;;#ASMEND
	;;#ASMSTART
	v_pk_mul_f32 v[10:11], v[10:11], v[16:17]
	;;#ASMEND
	;;#ASMSTART
	v_pk_mul_f32 v[8:9], v[8:9], v[16:17]
	;;#ASMEND
	;;#ASMSTART
	v_pk_mul_f32 v[6:7], v[6:7], v[16:17]
	;;#ASMEND
	v_cvt_f32_u32_sdwa v17, v2 dst_sel:DWORD dst_unused:UNUSED_PAD src0_sel:WORD_1
	v_cvt_f32_u32_sdwa v16, v2 dst_sel:DWORD dst_unused:UNUSED_PAD src0_sel:WORD_0
	v_cvt_f32_u32_sdwa v2, v4 dst_sel:DWORD dst_unused:UNUSED_PAD src0_sel:WORD_0
	v_cvt_f32_u32_sdwa v21, v5 dst_sel:DWORD dst_unused:UNUSED_PAD src0_sel:WORD_1
	v_cvt_f32_u32_sdwa v20, v5 dst_sel:DWORD dst_unused:UNUSED_PAD src0_sel:WORD_0
	;;#ASMSTART
	v_pk_mul_f32 v[12:13], v[12:13], v[16:17]
	;;#ASMEND
	;;#ASMSTART
	v_pk_mul_f32 v[10:11], v[10:11], v[18:19]
	;;#ASMEND
	;; [unrolled: 3-line block ×4, first 2 shown]
.LBB12_5:
	s_or_b64 exec, exec, s[10:11]
	s_load_dwordx2 s[28:29], s[4:5], 0x7c
	s_mov_b64 s[10:11], -1
	s_and_b64 vcc, exec, s[2:3]
	s_cbranch_vccnz .LBB12_9
; %bb.6:
	s_andn2_b64 vcc, exec, s[10:11]
	s_cbranch_vccz .LBB12_12
.LBB12_7:
	s_cmp_lt_i32 s16, 1
	s_cbranch_scc0 .LBB12_21
.LBB12_8:
	s_endpgm
.LBB12_9:
	s_and_saveexec_b64 s[2:3], s[0:1]
	s_cbranch_execz .LBB12_11
; %bb.10:
	s_waitcnt lgkmcnt(0)
	s_mul_hi_i32 s11, s29, s6
	s_mul_i32 s10, s29, s6
	s_lshl_b64 s[10:11], s[10:11], 1
	s_add_u32 s20, s24, s10
	s_addc_u32 s7, s25, s11
	s_and_b32 s21, s7, 0xffff
	s_mov_b32 s7, 0x7060302
	s_mov_b32 s23, 0x20000
	s_waitcnt vmcnt(0)
	v_perm_b32 v2, v13, v12, s7
	v_perm_b32 v3, v11, v10, s7
	;; [unrolled: 1-line block ×4, first 2 shown]
	v_lshlrev_b32_e32 v15, 4, v0
	buffer_store_dwordx4 v[2:5], v15, s[20:23], 0 offen
	;;#ASMSTART
	s_nop 0
	;;#ASMEND
.LBB12_11:
	s_or_b64 exec, exec, s[2:3]
	s_cbranch_execnz .LBB12_7
.LBB12_12:
	s_waitcnt vmcnt(0)
	v_mov_b32_e32 v2, 0
	s_and_saveexec_b64 s[2:3], s[0:1]
	s_cbranch_execz .LBB12_14
; %bb.13:
	s_load_dwordx2 s[10:11], s[4:5], 0x10
	s_waitcnt lgkmcnt(0)
	s_mul_hi_i32 s21, s28, s6
	s_mul_i32 s20, s28, s6
	s_lshl_b64 s[20:21], s[20:21], 1
	s_mov_b32 s23, 0x20000
	s_add_u32 s20, s10, s20
	s_addc_u32 s7, s11, s21
	s_and_b32 s21, s7, 0xffff
	s_mov_b32 s7, 0x7060302
	v_perm_b32 v2, v13, v12, s7
	v_perm_b32 v3, v11, v10, s7
	;; [unrolled: 1-line block ×4, first 2 shown]
	v_lshlrev_b32_e32 v15, 4, v0
	buffer_store_dwordx4 v[2:5], v15, s[20:23], 0 offen
	;;#ASMSTART
	s_nop 0
	;;#ASMEND
	s_nop 0
	v_mov_b32_e32 v2, 0x2edbe6ff
.LBB12_14:
	s_or_b64 exec, exec, s[2:3]
	s_and_saveexec_b64 s[2:3], s[0:1]
	s_cbranch_execz .LBB12_16
; %bb.15:
	v_and_b32_e32 v3, 0x7fffffff, v12
	v_and_b32_e32 v4, 0x7fffffff, v13
	;;#ASMSTART
	v_max3_f32 v2, v2, v3, v4

	;;#ASMEND
	v_and_b32_e32 v3, 0x7fffffff, v10
	v_and_b32_e32 v4, 0x7fffffff, v11
	;;#ASMSTART
	v_max3_f32 v2, v2, v3, v4

	;;#ASMEND
	v_and_b32_e32 v3, 0x7fffffff, v8
	v_and_b32_e32 v4, 0x7fffffff, v9
	;;#ASMSTART
	v_max3_f32 v2, v2, v3, v4

	;;#ASMEND
	v_and_b32_e32 v3, 0x7fffffff, v6
	v_and_b32_e32 v4, 0x7fffffff, v7
	;;#ASMSTART
	v_max3_f32 v2, v2, v3, v4

	;;#ASMEND
.LBB12_16:
	s_or_b64 exec, exec, s[2:3]
	s_nop 0
	v_mov_b32_dpp v3, v2 quad_perm:[1,0,3,2] row_mask:0xf bank_mask:0xf
	v_cmp_gt_f32_e32 vcc, v2, v3
	v_cndmask_b32_e32 v2, v3, v2, vcc
	s_load_dwordx2 s[2:3], s[4:5], 0x70
	s_nop 0
	v_mov_b32_dpp v3, v2 quad_perm:[2,3,0,1] row_mask:0xf bank_mask:0xf
	v_cmp_gt_f32_e32 vcc, v2, v3
	v_cndmask_b32_e32 v2, v3, v2, vcc
	s_nop 1
	v_mov_b32_dpp v3, v2 row_half_mirror row_mask:0xf bank_mask:0xf
	v_cmp_gt_f32_e32 vcc, v2, v3
	v_cndmask_b32_e32 v2, v3, v2, vcc
	s_nop 1
	v_mov_b32_dpp v3, v2 row_mirror row_mask:0xf bank_mask:0xf
	v_cmp_gt_f32_e32 vcc, v2, v3
	v_cndmask_b32_e32 v2, v3, v2, vcc
	s_nop 1
	v_mov_b32_dpp v3, v2 row_bcast:15 row_mask:0xf bank_mask:0xf
	v_cmp_gt_f32_e32 vcc, v2, v3
	v_cndmask_b32_e32 v2, v3, v2, vcc
	s_nop 1
	v_mov_b32_dpp v3, v2 row_bcast:31 row_mask:0xf bank_mask:0xf
	v_cmp_gt_f32_e32 vcc, v2, v3
	v_cndmask_b32_e32 v2, v3, v2, vcc
	ds_bpermute_b32 v2, v14, v2
	v_cmp_eq_u32_e32 vcc, 0, v0
	s_waitcnt lgkmcnt(0)
	v_mul_f32_e32 v2, 0x3b124925, v2
	s_and_saveexec_b64 s[10:11], vcc
	s_cbranch_execz .LBB12_18
; %bb.17:
	s_load_dwordx2 s[20:21], s[4:5], 0x8
	s_mul_hi_i32 s23, s3, s6
	s_mul_i32 s22, s3, s6
	s_lshl_b64 s[22:23], s[22:23], 2
	v_mov_b32_e32 v3, 0
	s_waitcnt lgkmcnt(0)
	s_add_u32 s20, s20, s22
	s_addc_u32 s21, s21, s23
	global_store_dword v3, v2, s[20:21]
.LBB12_18:
	s_or_b64 exec, exec, s[10:11]
	;;#ASMSTART
	v_rcp_f32 v2, v2
	;;#ASMEND
	s_and_saveexec_b64 s[10:11], s[0:1]
	s_cbranch_execz .LBB12_20
; %bb.19:
	v_mov_b32_e32 v3, v2
	;;#ASMSTART
	v_pk_mul_f32 v[4:5], v[12:13], v[2:3]
	;;#ASMEND
	s_load_dwordx2 s[0:1], s[4:5], 0x0
	v_mov_b32_e32 v12, 0xc3e00000
	v_mov_b32_e32 v13, 0x43e00000
	;;#ASMSTART
	v_med3_f32 v4, v4, v12, v13
v_med3_f32 v5, v5, v12, v13
v_cvt_pk_fp8_f32 v15, v4, v5
	;;#ASMEND
	;;#ASMSTART
	v_pk_mul_f32 v[4:5], v[10:11], v[2:3]
	;;#ASMEND
	;;#ASMSTART
	v_med3_f32 v4, v4, v12, v13
v_med3_f32 v5, v5, v12, v13
v_cvt_pk_fp8_f32 v10, v4, v5
	;;#ASMEND
	s_mov_b32 s12, 0x5040100
	v_perm_b32 v5, v10, v15, s12
	s_movk_i32 s12, 0xff
	s_mul_hi_i32 s3, s2, s6
	s_mul_i32 s2, s2, s6
	v_and_b32_e32 v4, 0xffffff00, v10
	v_and_b32_sdwa v10, v5, s12 dst_sel:DWORD dst_unused:UNUSED_PAD src0_sel:WORD_1 src1_sel:DWORD
	s_mov_b32 s7, 0xffff
	s_waitcnt lgkmcnt(0)
	s_add_u32 s0, s0, s2
	v_or_b32_sdwa v4, v10, v4 dst_sel:WORD_1 dst_unused:UNUSED_PAD src0_sel:DWORD src1_sel:DWORD
	s_addc_u32 s1, s1, s3
	s_add_i32 s2, s15, 3
	v_and_or_b32 v4, v5, s7, v4
	;;#ASMSTART
	v_pk_mul_f32 v[8:9], v[8:9], v[2:3]
	;;#ASMEND
	v_mov_b32_e32 v5, v9
	s_ashr_i32 s3, s2, 31
	;;#ASMSTART
	v_med3_f32 v8, v8, v12, v13
v_med3_f32 v5, v5, v12, v13
v_cvt_pk_fp8_f32 v9, v8, v5
	;;#ASMEND
	;;#ASMSTART
	v_pk_mul_f32 v[2:3], v[6:7], v[2:3]
	;;#ASMEND
	s_lshr_b32 s3, s3, 30
	;;#ASMSTART
	v_med3_f32 v2, v2, v12, v13
v_med3_f32 v3, v3, v12, v13
v_cvt_pk_fp8_f32 v5, v2, v3
	;;#ASMEND
	s_add_i32 s2, s2, s3
	v_lshlrev_b32_e32 v2, 16, v5
	s_and_b32 s2, s2, -4
	s_and_b32 s1, s1, 0xffff
	s_mov_b32 s3, 0x20000
	v_and_or_b32 v5, v9, s7, v2
	buffer_store_dwordx2 v[4:5], v1, s[0:3], 0 offen
	;;#ASMSTART
	s_nop 0
	;;#ASMEND
.LBB12_20:
	s_or_b64 exec, exec, s[10:11]
	s_cmp_lt_i32 s16, 1
	s_cbranch_scc1 .LBB12_8
.LBB12_21:
	s_load_dword s0, s[4:5], 0x94
	s_waitcnt lgkmcnt(0)
	s_cmp_lg_u32 s0, 1
	s_cbranch_scc1 .LBB12_8
; %bb.22:
	s_lshl_b32 s0, s16, 1
	s_add_i32 s0, s0, 2
	v_cmp_gt_u32_e32 vcc, s16, v1
	s_and_b32 s10, s0, -4
	s_waitcnt vmcnt(0)
	v_mov_b32_e32 v4, 0
	v_lshlrev_b32_e32 v12, 4, v0
	v_mov_b32_e32 v5, 0
	v_mov_b32_e32 v6, 0
	;; [unrolled: 1-line block ×7, first 2 shown]
	s_barrier
	s_and_saveexec_b64 s[0:1], vcc
	s_cbranch_execz .LBB12_24
; %bb.23:
	s_mul_hi_i32 s3, s18, s6
	s_mul_i32 s2, s18, s6
	s_and_b32 s9, s9, 0xffff
	s_lshl_b64 s[2:3], s[2:3], 1
	s_add_u32 s20, s26, s2
	s_mov_b32 s11, 0x20000
	s_addc_u32 s2, s27, s3
	s_and_b32 s21, s2, 0xffff
	s_mov_b32 s22, s10
	s_mov_b32 s23, s11
	buffer_load_dwordx4 v[4:7], v12, s[20:23], 0 offen glc slc
	buffer_load_dwordx4 v[0:3], v12, s[8:11], 0 offen
.LBB12_24:
	s_or_b64 exec, exec, s[0:1]
	s_waitcnt vmcnt(1)
	v_cvt_f32_u32_sdwa v11, v4 dst_sel:DWORD dst_unused:UNUSED_PAD src0_sel:WORD_1
	v_cvt_f32_u32_sdwa v10, v4 dst_sel:DWORD dst_unused:UNUSED_PAD src0_sel:WORD_0
	v_cvt_f32_u32_sdwa v4, v7 dst_sel:DWORD dst_unused:UNUSED_PAD src0_sel:WORD_1
	v_cvt_f32_u32_sdwa v7, v7 dst_sel:DWORD dst_unused:UNUSED_PAD src0_sel:WORD_0
	;; [unrolled: 2-line block ×4, first 2 shown]
	v_cndmask_b32_e32 v11, 0, v11, vcc
	v_cndmask_b32_e32 v5, 0, v4, vcc
	;; [unrolled: 1-line block ×5, first 2 shown]
	v_mul_f32_e32 v13, v11, v11
	v_cndmask_b32_e32 v8, 0, v8, vcc
	v_fmac_f32_e32 v13, v10, v10
	v_cndmask_b32_e32 v9, 0, v9, vcc
	v_fmac_f32_e32 v13, v8, v8
	;; [unrolled: 2-line block ×3, first 2 shown]
	v_fmac_f32_e32 v13, v6, v6
	v_fmac_f32_e32 v13, v7, v7
	v_fmac_f32_e32 v13, v4, v4
	v_fmac_f32_e32 v13, v5, v5
	s_nop 1
	v_mov_b32_dpp v15, v13 quad_perm:[1,0,3,2] row_mask:0xf bank_mask:0xf
	v_add_f32_e32 v13, v13, v15
	s_nop 1
	v_mov_b32_dpp v15, v13 quad_perm:[2,3,0,1] row_mask:0xf bank_mask:0xf
	v_add_f32_e32 v13, v13, v15
	s_nop 1
	v_mov_b32_dpp v15, v13 row_half_mirror row_mask:0xf bank_mask:0xf
	v_add_f32_e32 v13, v13, v15
	s_nop 1
	v_mov_b32_dpp v15, v13 row_mirror row_mask:0xf bank_mask:0xf
	v_add_f32_e32 v13, v13, v15
	s_nop 1
	v_mov_b32_dpp v15, v13 row_bcast:15 row_mask:0xf bank_mask:0xf
	v_add_f32_e32 v13, v13, v15
	s_nop 1
	v_mov_b32_dpp v15, v13 row_bcast:31 row_mask:0xf bank_mask:0xf
	v_add_f32_e32 v13, v13, v15
	ds_bpermute_b32 v13, v14, v13
	s_and_saveexec_b64 s[0:1], vcc
	s_cbranch_execz .LBB12_8
; %bb.25:
	v_cvt_f32_u32_e32 v14, s16
	s_mov_b32 s11, 0x20000
	s_waitcnt lgkmcnt(0)
	v_div_scale_f32 v15, s[0:1], v14, v14, v13
	v_rcp_f32_e32 v16, v15
	v_div_scale_f32 v17, vcc, v13, v14, v13
	s_mov_b32 s0, 0x800000
	v_fma_f32 v18, -v15, v16, 1.0
	v_fmac_f32_e32 v16, v18, v16
	v_mul_f32_e32 v18, v17, v16
	v_fma_f32 v19, -v15, v18, v17
	v_fmac_f32_e32 v18, v19, v16
	v_fma_f32 v15, -v15, v18, v17
	v_div_fmas_f32 v15, v15, v16, v18
	v_div_fixup_f32 v13, v15, v14, v13
	v_add_f32_e32 v13, s13, v13
	v_mul_f32_e32 v14, 0x4b800000, v13
	v_cmp_gt_f32_e32 vcc, s0, v13
	v_cndmask_b32_e32 v13, v13, v14, vcc
	v_rsq_f32_e32 v13, v13
	s_mul_hi_i32 s1, s29, s6
	s_mul_i32 s0, s29, s6
	s_lshl_b64 s[0:1], s[0:1], 1
	v_mul_f32_e32 v14, 0x45800000, v13
	v_cndmask_b32_e32 v14, v13, v14, vcc
	s_add_u32 s8, s24, s0
	v_mov_b32_e32 v15, v14
	s_addc_u32 s0, s25, s1
	;;#ASMSTART
	v_pk_mul_f32 v[10:11], v[10:11], v[14:15]
	;;#ASMEND
	;;#ASMSTART
	v_pk_mul_f32 v[8:9], v[8:9], v[14:15]
	;;#ASMEND
	;; [unrolled: 3-line block ×4, first 2 shown]
	s_waitcnt vmcnt(0)
	v_cvt_f32_u32_sdwa v15, v0 dst_sel:DWORD dst_unused:UNUSED_PAD src0_sel:WORD_1
	v_cvt_f32_u32_sdwa v14, v0 dst_sel:DWORD dst_unused:UNUSED_PAD src0_sel:WORD_0
	v_cvt_f32_u32_sdwa v17, v1 dst_sel:DWORD dst_unused:UNUSED_PAD src0_sel:WORD_1
	v_cvt_f32_u32_sdwa v16, v1 dst_sel:DWORD dst_unused:UNUSED_PAD src0_sel:WORD_0
	;; [unrolled: 2-line block ×4, first 2 shown]
	;;#ASMSTART
	v_pk_mul_f32 v[2:3], v[10:11], v[14:15]
	;;#ASMEND
	s_and_b32 s9, s0, 0xffff
	s_mov_b32 s0, 0x7060302
	;;#ASMSTART
	v_pk_mul_f32 v[8:9], v[8:9], v[16:17]
	;;#ASMEND
	;;#ASMSTART
	v_pk_mul_f32 v[6:7], v[6:7], v[0:1]
	;;#ASMEND
	;; [unrolled: 3-line block ×3, first 2 shown]
	v_perm_b32 v0, v3, v2, s0
	v_perm_b32 v1, v9, v8, s0
	;; [unrolled: 1-line block ×4, first 2 shown]
	buffer_store_dwordx4 v[0:3], v12, s[8:11], 0 offen
	;;#ASMSTART
	s_nop 0
	;;#ASMEND
	s_endpgm
	.section	.rodata,"a",@progbits
	.p2align	6, 0x0
	.amdhsa_kernel _ZN5aiter35fused_qk_rmsnorm_group_quant_kernelItDB8_Li64ELi8ELi1ELb0ELb1ELb0ELb0ELb1ELb1EEEvPT0_PvPT_S6_S6_PKS5_S8_S8_S8_S8_ffiiiiiiiiiiiii
		.amdhsa_group_segment_fixed_size 0
		.amdhsa_private_segment_fixed_size 0
		.amdhsa_kernarg_size 400
		.amdhsa_user_sgpr_count 6
		.amdhsa_user_sgpr_private_segment_buffer 1
		.amdhsa_user_sgpr_dispatch_ptr 0
		.amdhsa_user_sgpr_queue_ptr 0
		.amdhsa_user_sgpr_kernarg_segment_ptr 1
		.amdhsa_user_sgpr_dispatch_id 0
		.amdhsa_user_sgpr_flat_scratch_init 0
		.amdhsa_user_sgpr_kernarg_preload_length 0
		.amdhsa_user_sgpr_kernarg_preload_offset 0
		.amdhsa_user_sgpr_private_segment_size 0
		.amdhsa_uses_dynamic_stack 0
		.amdhsa_system_sgpr_private_segment_wavefront_offset 0
		.amdhsa_system_sgpr_workgroup_id_x 1
		.amdhsa_system_sgpr_workgroup_id_y 1
		.amdhsa_system_sgpr_workgroup_id_z 0
		.amdhsa_system_sgpr_workgroup_info 0
		.amdhsa_system_vgpr_workitem_id 0
		.amdhsa_next_free_vgpr 23
		.amdhsa_next_free_sgpr 32
		.amdhsa_accum_offset 24
		.amdhsa_reserve_vcc 1
		.amdhsa_reserve_flat_scratch 0
		.amdhsa_float_round_mode_32 0
		.amdhsa_float_round_mode_16_64 0
		.amdhsa_float_denorm_mode_32 3
		.amdhsa_float_denorm_mode_16_64 3
		.amdhsa_dx10_clamp 1
		.amdhsa_ieee_mode 1
		.amdhsa_fp16_overflow 0
		.amdhsa_tg_split 0
		.amdhsa_exception_fp_ieee_invalid_op 0
		.amdhsa_exception_fp_denorm_src 0
		.amdhsa_exception_fp_ieee_div_zero 0
		.amdhsa_exception_fp_ieee_overflow 0
		.amdhsa_exception_fp_ieee_underflow 0
		.amdhsa_exception_fp_ieee_inexact 0
		.amdhsa_exception_int_div_zero 0
	.end_amdhsa_kernel
	.section	.text._ZN5aiter35fused_qk_rmsnorm_group_quant_kernelItDB8_Li64ELi8ELi1ELb0ELb1ELb0ELb0ELb1ELb1EEEvPT0_PvPT_S6_S6_PKS5_S8_S8_S8_S8_ffiiiiiiiiiiiii,"axG",@progbits,_ZN5aiter35fused_qk_rmsnorm_group_quant_kernelItDB8_Li64ELi8ELi1ELb0ELb1ELb0ELb0ELb1ELb1EEEvPT0_PvPT_S6_S6_PKS5_S8_S8_S8_S8_ffiiiiiiiiiiiii,comdat
.Lfunc_end12:
	.size	_ZN5aiter35fused_qk_rmsnorm_group_quant_kernelItDB8_Li64ELi8ELi1ELb0ELb1ELb0ELb0ELb1ELb1EEEvPT0_PvPT_S6_S6_PKS5_S8_S8_S8_S8_ffiiiiiiiiiiiii, .Lfunc_end12-_ZN5aiter35fused_qk_rmsnorm_group_quant_kernelItDB8_Li64ELi8ELi1ELb0ELb1ELb0ELb0ELb1ELb1EEEvPT0_PvPT_S6_S6_PKS5_S8_S8_S8_S8_ffiiiiiiiiiiiii
                                        ; -- End function
	.section	.AMDGPU.csdata,"",@progbits
; Kernel info:
; codeLenInByte = 2560
; NumSgprs: 36
; NumVgprs: 23
; NumAgprs: 0
; TotalNumVgprs: 23
; ScratchSize: 0
; MemoryBound: 0
; FloatMode: 240
; IeeeMode: 1
; LDSByteSize: 0 bytes/workgroup (compile time only)
; SGPRBlocks: 4
; VGPRBlocks: 2
; NumSGPRsForWavesPerEU: 36
; NumVGPRsForWavesPerEU: 23
; AccumOffset: 24
; Occupancy: 8
; WaveLimiterHint : 0
; COMPUTE_PGM_RSRC2:SCRATCH_EN: 0
; COMPUTE_PGM_RSRC2:USER_SGPR: 6
; COMPUTE_PGM_RSRC2:TRAP_HANDLER: 0
; COMPUTE_PGM_RSRC2:TGID_X_EN: 1
; COMPUTE_PGM_RSRC2:TGID_Y_EN: 1
; COMPUTE_PGM_RSRC2:TGID_Z_EN: 0
; COMPUTE_PGM_RSRC2:TIDIG_COMP_CNT: 0
; COMPUTE_PGM_RSRC3_GFX90A:ACCUM_OFFSET: 5
; COMPUTE_PGM_RSRC3_GFX90A:TG_SPLIT: 0
	.section	.text._ZN5aiter35fused_qk_rmsnorm_group_quant_kernelIDF16_DB8_Li64ELi8ELi1ELb0ELb0ELb1ELb0ELb1ELb1EEEvPT0_PvPT_S6_S6_PKS5_S8_S8_S8_S8_ffiiiiiiiiiiiii,"axG",@progbits,_ZN5aiter35fused_qk_rmsnorm_group_quant_kernelIDF16_DB8_Li64ELi8ELi1ELb0ELb0ELb1ELb0ELb1ELb1EEEvPT0_PvPT_S6_S6_PKS5_S8_S8_S8_S8_ffiiiiiiiiiiiii,comdat
	.protected	_ZN5aiter35fused_qk_rmsnorm_group_quant_kernelIDF16_DB8_Li64ELi8ELi1ELb0ELb0ELb1ELb0ELb1ELb1EEEvPT0_PvPT_S6_S6_PKS5_S8_S8_S8_S8_ffiiiiiiiiiiiii ; -- Begin function _ZN5aiter35fused_qk_rmsnorm_group_quant_kernelIDF16_DB8_Li64ELi8ELi1ELb0ELb0ELb1ELb0ELb1ELb1EEEvPT0_PvPT_S6_S6_PKS5_S8_S8_S8_S8_ffiiiiiiiiiiiii
	.globl	_ZN5aiter35fused_qk_rmsnorm_group_quant_kernelIDF16_DB8_Li64ELi8ELi1ELb0ELb0ELb1ELb0ELb1ELb1EEEvPT0_PvPT_S6_S6_PKS5_S8_S8_S8_S8_ffiiiiiiiiiiiii
	.p2align	8
	.type	_ZN5aiter35fused_qk_rmsnorm_group_quant_kernelIDF16_DB8_Li64ELi8ELi1ELb0ELb0ELb1ELb0ELb1ELb1EEEvPT0_PvPT_S6_S6_PKS5_S8_S8_S8_S8_ffiiiiiiiiiiiii,@function
_ZN5aiter35fused_qk_rmsnorm_group_quant_kernelIDF16_DB8_Li64ELi8ELi1ELb0ELb0ELb1ELb0ELb1ELb1EEEvPT0_PvPT_S6_S6_PKS5_S8_S8_S8_S8_ffiiiiiiiiiiiii: ; @_ZN5aiter35fused_qk_rmsnorm_group_quant_kernelIDF16_DB8_Li64ELi8ELi1ELb0ELb0ELb1ELb0ELb1ELb1EEEvPT0_PvPT_S6_S6_PKS5_S8_S8_S8_S8_ffiiiiiiiiiiiii
; %bb.0:
	s_load_dwordx4 s[12:15], s[4:5], 0x50
	s_waitcnt lgkmcnt(0)
	s_cmp_ge_i32 s6, s14
	s_cbranch_scc1 .LBB13_10
; %bb.1:
	s_load_dwordx2 s[8:9], s[4:5], 0x48
	s_load_dwordx2 s[26:27], s[4:5], 0x30
	s_load_dwordx4 s[16:19], s[4:5], 0x60
	s_cmp_lg_u32 s7, 0
	s_cselect_b64 s[2:3], -1, 0
	s_cmp_eq_u32 s7, 0
	s_cselect_b64 vcc, -1, 0
	s_and_b64 s[0:1], vcc, exec
	s_waitcnt lgkmcnt(0)
	s_cselect_b32 s7, s15, s16
	s_add_i32 s0, s7, 1
	s_lshr_b32 s1, s0, 31
	s_add_i32 s0, s0, s1
	s_lshl_b32 s0, s0, 1
	v_lshlrev_b32_e32 v1, 3, v0
	s_and_b32 s22, s0, -4
	v_cmp_gt_i32_e64 s[0:1], s7, v1
	v_mov_b32_e32 v10, 0
	v_mov_b32_e32 v2, 0
	;; [unrolled: 1-line block ×9, first 2 shown]
	s_and_saveexec_b64 s[10:11], s[0:1]
	s_cbranch_execz .LBB13_3
; %bb.2:
	s_load_dwordx2 s[20:21], s[4:5], 0x28
	s_load_dwordx2 s[24:25], s[4:5], 0x40
	s_and_b64 s[28:29], vcc, exec
	s_cselect_b32 s14, s17, s18
	s_mov_b32 s23, 0x20000
	s_waitcnt lgkmcnt(0)
	s_cselect_b32 s17, s21, s27
	s_cselect_b32 s19, s20, s26
	s_mul_hi_i32 s21, s14, s6
	s_mul_i32 s20, s14, s6
	s_lshl_b64 s[20:21], s[20:21], 1
	s_add_u32 s28, s19, s20
	s_addc_u32 s14, s17, s21
	s_and_b64 s[20:21], vcc, exec
	s_cselect_b32 s20, s24, s8
	s_cselect_b32 s17, s25, s9
	v_lshlrev_b32_e32 v11, 4, v0
	s_and_b32 s29, s14, 0xffff
	s_mov_b32 s30, s22
	s_mov_b32 s31, s23
	s_and_b32 s21, s17, 0xffff
	buffer_load_dwordx4 v[6:9], v11, s[28:31], 0 offen glc slc
	buffer_load_dwordx4 v[2:5], v11, s[20:23], 0 offen
.LBB13_3:
	s_or_b64 exec, exec, s[10:11]
	v_mov_b32_e32 v11, 0
	v_mov_b32_e32 v16, 0
	;; [unrolled: 1-line block ×7, first 2 shown]
	s_and_saveexec_b64 s[10:11], s[0:1]
	s_cbranch_execz .LBB13_5
; %bb.4:
	s_waitcnt vmcnt(1)
	v_cvt_f32_f16_sdwa v11, v6 dst_sel:DWORD dst_unused:UNUSED_PAD src0_sel:WORD_1
	v_cvt_f32_f16_e32 v10, v6
	v_cvt_f32_f16_sdwa v17, v7 dst_sel:DWORD dst_unused:UNUSED_PAD src0_sel:WORD_1
	v_cvt_f32_f16_e32 v16, v7
	;; [unrolled: 2-line block ×4, first 2 shown]
.LBB13_5:
	s_or_b64 exec, exec, s[10:11]
	s_waitcnt vmcnt(1)
	v_mul_f32_e32 v6, v11, v11
	v_fmac_f32_e32 v6, v10, v10
	v_fmac_f32_e32 v6, v16, v16
	;; [unrolled: 1-line block ×7, first 2 shown]
	v_bfrev_b32_e32 v8, 0.5
	s_load_dwordx2 s[24:25], s[4:5], 0x18
	v_mov_b32_dpp v7, v6 quad_perm:[1,0,3,2] row_mask:0xf bank_mask:0xf
	v_add_f32_e32 v6, v6, v7
	s_nop 1
	v_mov_b32_dpp v7, v6 quad_perm:[2,3,0,1] row_mask:0xf bank_mask:0xf
	v_add_f32_e32 v6, v6, v7
	s_nop 1
	v_mov_b32_dpp v7, v6 row_half_mirror row_mask:0xf bank_mask:0xf
	v_add_f32_e32 v6, v6, v7
	s_nop 1
	v_mov_b32_dpp v7, v6 row_mirror row_mask:0xf bank_mask:0xf
	v_add_f32_e32 v6, v6, v7
	s_nop 1
	v_mov_b32_dpp v7, v6 row_bcast:15 row_mask:0xf bank_mask:0xf
	v_add_f32_e32 v6, v6, v7
	s_nop 1
	v_mov_b32_dpp v7, v6 row_bcast:31 row_mask:0xf bank_mask:0xf
	v_add_f32_e32 v6, v6, v7
	v_mbcnt_lo_u32_b32 v7, -1, 0
	v_mbcnt_hi_u32_b32 v7, -1, v7
	v_lshl_or_b32 v18, v7, 2, v8
	ds_bpermute_b32 v6, v18, v6
	s_and_saveexec_b64 s[10:11], s[0:1]
	s_cbranch_execz .LBB13_7
; %bb.6:
	v_cvt_f32_u32_e32 v7, s7
	v_mov_b32_e32 v8, s13
	v_mov_b32_e32 v9, s12
	v_cndmask_b32_e32 v8, v8, v9, vcc
	s_waitcnt lgkmcnt(0)
	v_div_scale_f32 v19, s[20:21], v7, v7, v6
	v_rcp_f32_e32 v20, v19
	v_div_scale_f32 v9, vcc, v6, v7, v6
	s_mov_b32 s7, 0x800000
	v_fma_f32 v21, -v19, v20, 1.0
	v_fmac_f32_e32 v20, v21, v20
	v_mul_f32_e32 v21, v9, v20
	v_fma_f32 v22, -v19, v21, v9
	v_fmac_f32_e32 v21, v22, v20
	v_fma_f32 v9, -v19, v21, v9
	v_div_fmas_f32 v9, v9, v20, v21
	v_div_fixup_f32 v6, v9, v7, v6
	v_add_f32_e32 v6, v8, v6
	v_mul_f32_e32 v7, 0x4b800000, v6
	v_cmp_gt_f32_e32 vcc, s7, v6
	v_cndmask_b32_e32 v6, v6, v7, vcc
	v_rsq_f32_e32 v6, v6
	s_waitcnt vmcnt(0)
	v_cvt_f32_f16_sdwa v21, v3 dst_sel:DWORD dst_unused:UNUSED_PAD src0_sel:WORD_1
	v_cvt_f32_f16_e32 v20, v3
	v_mul_f32_e32 v7, 0x45800000, v6
	v_cndmask_b32_e32 v6, v6, v7, vcc
	v_mov_b32_e32 v7, v6
	;;#ASMSTART
	v_pk_mul_f32 v[8:9], v[10:11], v[6:7]
	;;#ASMEND
	v_cvt_f32_f16_sdwa v11, v2 dst_sel:DWORD dst_unused:UNUSED_PAD src0_sel:WORD_1
	v_cvt_f32_f16_e32 v10, v2
	;;#ASMSTART
	v_pk_mul_f32 v[16:17], v[16:17], v[6:7]
	;;#ASMEND
	;;#ASMSTART
	v_pk_mul_f32 v[14:15], v[14:15], v[6:7]
	;;#ASMEND
	;; [unrolled: 3-line block ×3, first 2 shown]
	v_pk_add_f32 v[6:7], v[10:11], 1.0 op_sel_hi:[1,0]
	;;#ASMSTART
	v_pk_mul_f32 v[10:11], v[8:9], v[6:7]
	;;#ASMEND
	v_cvt_f32_f16_sdwa v9, v4 dst_sel:DWORD dst_unused:UNUSED_PAD src0_sel:WORD_1
	v_cvt_f32_f16_e32 v8, v4
	v_cvt_f32_f16_sdwa v13, v5 dst_sel:DWORD dst_unused:UNUSED_PAD src0_sel:WORD_1
	v_cvt_f32_f16_e32 v12, v5
	v_pk_add_f32 v[6:7], v[20:21], 1.0 op_sel_hi:[1,0]
	v_pk_add_f32 v[4:5], v[8:9], 1.0 op_sel_hi:[1,0]
	;;#ASMSTART
	v_pk_mul_f32 v[16:17], v[16:17], v[6:7]
	;;#ASMEND
	;;#ASMSTART
	v_pk_mul_f32 v[14:15], v[14:15], v[4:5]
	;;#ASMEND
	v_pk_add_f32 v[4:5], v[12:13], 1.0 op_sel_hi:[1,0]
	;;#ASMSTART
	v_pk_mul_f32 v[12:13], v[2:3], v[4:5]
	;;#ASMEND
.LBB13_7:
	s_or_b64 exec, exec, s[10:11]
	s_load_dword s7, s[4:5], 0x80
	s_mov_b64 s[10:11], -1
	s_and_b64 vcc, exec, s[2:3]
	s_cbranch_vccnz .LBB13_11
; %bb.8:
	s_andn2_b64 vcc, exec, s[10:11]
	s_cbranch_vccz .LBB13_14
.LBB13_9:
	s_cmp_lt_i32 s16, 1
	s_cbranch_scc0 .LBB13_21
.LBB13_10:
	s_endpgm
.LBB13_11:
	s_and_saveexec_b64 s[2:3], s[0:1]
	s_cbranch_execz .LBB13_13
; %bb.12:
	s_waitcnt lgkmcnt(0)
	s_mul_hi_i32 s11, s7, s6
	s_mul_i32 s10, s7, s6
	s_waitcnt vmcnt(0)
	v_cvt_f16_f32_e32 v2, v10
	v_cvt_f16_f32_e32 v3, v16
	;; [unrolled: 1-line block ×8, first 2 shown]
	s_lshl_b64 s[10:11], s[10:11], 1
	s_add_u32 s20, s24, s10
	s_addc_u32 s10, s25, s11
	s_and_b32 s21, s10, 0xffff
	s_mov_b32 s23, 0x20000
	v_pack_b32_f16 v5, v5, v6
	v_pack_b32_f16 v4, v4, v7
	;; [unrolled: 1-line block ×4, first 2 shown]
	v_lshlrev_b32_e32 v6, 4, v0
	buffer_store_dwordx4 v[2:5], v6, s[20:23], 0 offen
	;;#ASMSTART
	s_nop 0
	;;#ASMEND
.LBB13_13:
	s_or_b64 exec, exec, s[2:3]
	s_cbranch_execnz .LBB13_9
.LBB13_14:
	s_waitcnt vmcnt(0)
	v_mov_b32_e32 v2, 0
	s_and_saveexec_b64 s[2:3], s[0:1]
	s_cbranch_execz .LBB13_16
; %bb.15:
	v_and_b32_e32 v2, 0x7fffffff, v10
	v_and_b32_e32 v3, 0x7fffffff, v11
	v_mov_b32_e32 v4, 0x2edbe6ff
	;;#ASMSTART
	v_max3_f32 v2, v4, v2, v3

	;;#ASMEND
	v_and_b32_e32 v3, 0x7fffffff, v16
	v_and_b32_e32 v4, 0x7fffffff, v17
	;;#ASMSTART
	v_max3_f32 v2, v2, v3, v4

	;;#ASMEND
	v_and_b32_e32 v3, 0x7fffffff, v14
	v_and_b32_e32 v4, 0x7fffffff, v15
	;;#ASMSTART
	v_max3_f32 v2, v2, v3, v4

	;;#ASMEND
	v_and_b32_e32 v3, 0x7fffffff, v12
	v_and_b32_e32 v4, 0x7fffffff, v13
	;;#ASMSTART
	v_max3_f32 v2, v2, v3, v4

	;;#ASMEND
.LBB13_16:
	s_or_b64 exec, exec, s[2:3]
	s_nop 0
	v_mov_b32_dpp v3, v2 quad_perm:[1,0,3,2] row_mask:0xf bank_mask:0xf
	v_cmp_gt_f32_e32 vcc, v2, v3
	v_cndmask_b32_e32 v2, v3, v2, vcc
	s_load_dwordx2 s[2:3], s[4:5], 0x70
	s_nop 0
	v_mov_b32_dpp v3, v2 quad_perm:[2,3,0,1] row_mask:0xf bank_mask:0xf
	v_cmp_gt_f32_e32 vcc, v2, v3
	v_cndmask_b32_e32 v2, v3, v2, vcc
	s_nop 1
	v_mov_b32_dpp v3, v2 row_half_mirror row_mask:0xf bank_mask:0xf
	v_cmp_gt_f32_e32 vcc, v2, v3
	v_cndmask_b32_e32 v2, v3, v2, vcc
	s_nop 1
	v_mov_b32_dpp v3, v2 row_mirror row_mask:0xf bank_mask:0xf
	v_cmp_gt_f32_e32 vcc, v2, v3
	v_cndmask_b32_e32 v2, v3, v2, vcc
	s_nop 1
	v_mov_b32_dpp v3, v2 row_bcast:15 row_mask:0xf bank_mask:0xf
	v_cmp_gt_f32_e32 vcc, v2, v3
	v_cndmask_b32_e32 v2, v3, v2, vcc
	s_nop 1
	v_mov_b32_dpp v3, v2 row_bcast:31 row_mask:0xf bank_mask:0xf
	v_cmp_gt_f32_e32 vcc, v2, v3
	v_cndmask_b32_e32 v2, v3, v2, vcc
	ds_bpermute_b32 v2, v18, v2
	v_cmp_eq_u32_e32 vcc, 0, v0
	s_waitcnt lgkmcnt(0)
	v_mul_f32_e32 v2, 0x3b124925, v2
	s_and_saveexec_b64 s[10:11], vcc
	s_cbranch_execz .LBB13_18
; %bb.17:
	s_load_dwordx2 s[20:21], s[4:5], 0x8
	s_mul_hi_i32 s23, s3, s6
	s_mul_i32 s22, s3, s6
	s_lshl_b64 s[22:23], s[22:23], 2
	v_mov_b32_e32 v3, 0
	s_waitcnt lgkmcnt(0)
	s_add_u32 s20, s20, s22
	s_addc_u32 s21, s21, s23
	global_store_dword v3, v2, s[20:21]
.LBB13_18:
	s_or_b64 exec, exec, s[10:11]
	;;#ASMSTART
	v_rcp_f32 v2, v2
	;;#ASMEND
	s_and_saveexec_b64 s[10:11], s[0:1]
	s_cbranch_execz .LBB13_20
; %bb.19:
	v_mov_b32_e32 v3, v2
	;;#ASMSTART
	v_pk_mul_f32 v[4:5], v[10:11], v[2:3]
	;;#ASMEND
	s_load_dwordx2 s[0:1], s[4:5], 0x0
	v_mov_b32_e32 v8, 0xc3e00000
	v_mov_b32_e32 v9, 0x43e00000
	;;#ASMSTART
	v_med3_f32 v4, v4, v8, v9
v_med3_f32 v5, v5, v8, v9
v_cvt_pk_fp8_f32 v6, v4, v5
	;;#ASMEND
	;;#ASMSTART
	v_pk_mul_f32 v[4:5], v[16:17], v[2:3]
	;;#ASMEND
	;;#ASMSTART
	v_med3_f32 v4, v4, v8, v9
v_med3_f32 v5, v5, v8, v9
v_cvt_pk_fp8_f32 v7, v4, v5
	;;#ASMEND
	s_mov_b32 s14, 0x5040100
	v_perm_b32 v5, v7, v6, s14
	s_movk_i32 s14, 0xff
	s_mul_hi_i32 s3, s2, s6
	s_mul_i32 s2, s2, s6
	v_and_b32_e32 v4, 0xffffff00, v7
	v_and_b32_sdwa v6, v5, s14 dst_sel:DWORD dst_unused:UNUSED_PAD src0_sel:WORD_1 src1_sel:DWORD
	s_mov_b32 s12, 0xffff
	s_waitcnt lgkmcnt(0)
	s_add_u32 s0, s0, s2
	v_or_b32_sdwa v4, v6, v4 dst_sel:WORD_1 dst_unused:UNUSED_PAD src0_sel:DWORD src1_sel:DWORD
	s_addc_u32 s1, s1, s3
	s_add_i32 s2, s15, 3
	v_and_or_b32 v4, v5, s12, v4
	;;#ASMSTART
	v_pk_mul_f32 v[6:7], v[14:15], v[2:3]
	;;#ASMEND
	v_mov_b32_e32 v5, v7
	s_ashr_i32 s3, s2, 31
	;;#ASMSTART
	v_med3_f32 v6, v6, v8, v9
v_med3_f32 v5, v5, v8, v9
v_cvt_pk_fp8_f32 v7, v6, v5
	;;#ASMEND
	;;#ASMSTART
	v_pk_mul_f32 v[2:3], v[12:13], v[2:3]
	;;#ASMEND
	s_lshr_b32 s3, s3, 30
	;;#ASMSTART
	v_med3_f32 v2, v2, v8, v9
v_med3_f32 v3, v3, v8, v9
v_cvt_pk_fp8_f32 v5, v2, v3
	;;#ASMEND
	s_add_i32 s2, s2, s3
	v_lshlrev_b32_e32 v2, 16, v5
	s_and_b32 s2, s2, -4
	s_and_b32 s1, s1, 0xffff
	s_mov_b32 s3, 0x20000
	v_and_or_b32 v5, v7, s12, v2
	buffer_store_dwordx2 v[4:5], v1, s[0:3], 0 offen
	;;#ASMSTART
	s_nop 0
	;;#ASMEND
.LBB13_20:
	s_or_b64 exec, exec, s[10:11]
	s_cmp_lt_i32 s16, 1
	s_cbranch_scc1 .LBB13_10
.LBB13_21:
	s_load_dword s0, s[4:5], 0x94
	s_waitcnt lgkmcnt(0)
	s_cmp_lg_u32 s0, 1
	s_cbranch_scc1 .LBB13_10
; %bb.22:
	s_lshl_b32 s0, s16, 1
	s_add_i32 s0, s0, 2
	v_cmp_gt_u32_e32 vcc, s16, v1
	s_and_b32 s10, s0, -4
	v_mov_b32_e32 v8, 0
	v_lshlrev_b32_e32 v16, 4, v0
	s_waitcnt vmcnt(0)
	v_mov_b32_e32 v4, 0
	v_mov_b32_e32 v5, 0
	;; [unrolled: 1-line block ×8, first 2 shown]
	s_barrier
	s_and_saveexec_b64 s[0:1], vcc
	s_cbranch_execz .LBB13_24
; %bb.23:
	s_mul_hi_i32 s3, s18, s6
	s_mul_i32 s2, s18, s6
	s_and_b32 s9, s9, 0xffff
	s_lshl_b64 s[2:3], s[2:3], 1
	s_add_u32 s20, s26, s2
	s_mov_b32 s11, 0x20000
	s_addc_u32 s2, s27, s3
	s_and_b32 s21, s2, 0xffff
	s_mov_b32 s22, s10
	s_mov_b32 s23, s11
	buffer_load_dwordx4 v[4:7], v16, s[20:23], 0 offen glc slc
	buffer_load_dwordx4 v[0:3], v16, s[8:11], 0 offen
.LBB13_24:
	s_or_b64 exec, exec, s[0:1]
	v_mov_b32_e32 v9, 0
	v_mov_b32_e32 v12, 0
	;; [unrolled: 1-line block ×7, first 2 shown]
	s_and_saveexec_b64 s[0:1], vcc
	s_cbranch_execz .LBB13_26
; %bb.25:
	s_waitcnt vmcnt(1)
	v_cvt_f32_f16_sdwa v9, v4 dst_sel:DWORD dst_unused:UNUSED_PAD src0_sel:WORD_1
	v_cvt_f32_f16_e32 v8, v4
	v_cvt_f32_f16_sdwa v13, v5 dst_sel:DWORD dst_unused:UNUSED_PAD src0_sel:WORD_1
	v_cvt_f32_f16_e32 v12, v5
	;; [unrolled: 2-line block ×4, first 2 shown]
.LBB13_26:
	s_or_b64 exec, exec, s[0:1]
	s_waitcnt vmcnt(1)
	v_mul_f32_e32 v4, v9, v9
	v_fmac_f32_e32 v4, v8, v8
	v_fmac_f32_e32 v4, v12, v12
	;; [unrolled: 1-line block ×7, first 2 shown]
	s_nop 1
	v_mov_b32_dpp v5, v4 quad_perm:[1,0,3,2] row_mask:0xf bank_mask:0xf
	v_add_f32_e32 v4, v4, v5
	s_nop 1
	v_mov_b32_dpp v5, v4 quad_perm:[2,3,0,1] row_mask:0xf bank_mask:0xf
	v_add_f32_e32 v4, v4, v5
	s_nop 1
	v_mov_b32_dpp v5, v4 row_half_mirror row_mask:0xf bank_mask:0xf
	v_add_f32_e32 v4, v4, v5
	s_nop 1
	v_mov_b32_dpp v5, v4 row_mirror row_mask:0xf bank_mask:0xf
	v_add_f32_e32 v4, v4, v5
	s_nop 1
	v_mov_b32_dpp v5, v4 row_bcast:15 row_mask:0xf bank_mask:0xf
	v_add_f32_e32 v4, v4, v5
	s_nop 1
	v_mov_b32_dpp v5, v4 row_bcast:31 row_mask:0xf bank_mask:0xf
	v_add_f32_e32 v4, v4, v5
	ds_bpermute_b32 v4, v18, v4
	s_and_saveexec_b64 s[0:1], vcc
	s_cbranch_execz .LBB13_10
; %bb.27:
	v_cvt_f32_u32_e32 v5, s16
	s_mov_b32 s11, 0x20000
	s_waitcnt lgkmcnt(0)
	v_div_scale_f32 v6, s[0:1], v5, v5, v4
	v_rcp_f32_e32 v7, v6
	v_div_scale_f32 v17, vcc, v4, v5, v4
	s_mov_b32 s0, 0x800000
	v_fma_f32 v18, -v6, v7, 1.0
	v_fmac_f32_e32 v7, v18, v7
	v_mul_f32_e32 v18, v17, v7
	v_fma_f32 v19, -v6, v18, v17
	v_fmac_f32_e32 v18, v19, v7
	v_fma_f32 v6, -v6, v18, v17
	v_div_fmas_f32 v6, v6, v7, v18
	v_div_fixup_f32 v4, v6, v5, v4
	v_add_f32_e32 v4, s13, v4
	v_mul_f32_e32 v5, 0x4b800000, v4
	v_cmp_gt_f32_e32 vcc, s0, v4
	v_cndmask_b32_e32 v4, v4, v5, vcc
	v_rsq_f32_e32 v4, v4
	s_waitcnt vmcnt(0)
	v_cvt_f32_f16_sdwa v5, v0 dst_sel:DWORD dst_unused:UNUSED_PAD src0_sel:WORD_1
	v_cvt_f32_f16_sdwa v19, v1 dst_sel:DWORD dst_unused:UNUSED_PAD src0_sel:WORD_1
	v_cvt_f32_f16_e32 v18, v1
	v_mul_f32_e32 v6, 0x45800000, v4
	v_cndmask_b32_e32 v6, v4, v6, vcc
	v_cvt_f32_f16_e32 v4, v0
	v_mov_b32_e32 v7, v6
	;;#ASMSTART
	v_pk_mul_f32 v[8:9], v[8:9], v[6:7]
	;;#ASMEND
	;;#ASMSTART
	v_pk_mul_f32 v[12:13], v[12:13], v[6:7]
	;;#ASMEND
	v_pk_add_f32 v[4:5], v[4:5], 1.0 op_sel_hi:[1,0]
	;;#ASMSTART
	v_pk_mul_f32 v[14:15], v[14:15], v[6:7]
	;;#ASMEND
	;;#ASMSTART
	v_pk_mul_f32 v[0:1], v[10:11], v[6:7]
	;;#ASMEND
	;; [unrolled: 3-line block ×3, first 2 shown]
	v_cvt_f32_f16_sdwa v9, v2 dst_sel:DWORD dst_unused:UNUSED_PAD src0_sel:WORD_1
	v_cvt_f32_f16_e32 v8, v2
	v_cvt_f32_f16_sdwa v11, v3 dst_sel:DWORD dst_unused:UNUSED_PAD src0_sel:WORD_1
	v_cvt_f32_f16_e32 v10, v3
	v_pk_add_f32 v[6:7], v[18:19], 1.0 op_sel_hi:[1,0]
	;;#ASMSTART
	v_pk_mul_f32 v[2:3], v[12:13], v[6:7]
	;;#ASMEND
	v_pk_add_f32 v[6:7], v[8:9], 1.0 op_sel_hi:[1,0]
	;;#ASMSTART
	v_pk_mul_f32 v[6:7], v[14:15], v[6:7]
	;;#ASMEND
	;; [unrolled: 4-line block ×3, first 2 shown]
	s_mul_hi_i32 s1, s7, s6
	s_mul_i32 s0, s7, s6
	v_cvt_f16_f32_e32 v4, v4
	v_cvt_f16_f32_e32 v5, v5
	;; [unrolled: 1-line block ×8, first 2 shown]
	s_lshl_b64 s[0:1], s[0:1], 1
	s_add_u32 s8, s24, s0
	s_addc_u32 s0, s25, s1
	s_and_b32 s9, s0, 0xffff
	v_pack_b32_f16 v0, v4, v5
	v_pack_b32_f16 v1, v2, v3
	;; [unrolled: 1-line block ×4, first 2 shown]
	buffer_store_dwordx4 v[0:3], v16, s[8:11], 0 offen
	;;#ASMSTART
	s_nop 0
	;;#ASMEND
	s_endpgm
	.section	.rodata,"a",@progbits
	.p2align	6, 0x0
	.amdhsa_kernel _ZN5aiter35fused_qk_rmsnorm_group_quant_kernelIDF16_DB8_Li64ELi8ELi1ELb0ELb0ELb1ELb0ELb1ELb1EEEvPT0_PvPT_S6_S6_PKS5_S8_S8_S8_S8_ffiiiiiiiiiiiii
		.amdhsa_group_segment_fixed_size 0
		.amdhsa_private_segment_fixed_size 0
		.amdhsa_kernarg_size 400
		.amdhsa_user_sgpr_count 6
		.amdhsa_user_sgpr_private_segment_buffer 1
		.amdhsa_user_sgpr_dispatch_ptr 0
		.amdhsa_user_sgpr_queue_ptr 0
		.amdhsa_user_sgpr_kernarg_segment_ptr 1
		.amdhsa_user_sgpr_dispatch_id 0
		.amdhsa_user_sgpr_flat_scratch_init 0
		.amdhsa_user_sgpr_kernarg_preload_length 0
		.amdhsa_user_sgpr_kernarg_preload_offset 0
		.amdhsa_user_sgpr_private_segment_size 0
		.amdhsa_uses_dynamic_stack 0
		.amdhsa_system_sgpr_private_segment_wavefront_offset 0
		.amdhsa_system_sgpr_workgroup_id_x 1
		.amdhsa_system_sgpr_workgroup_id_y 1
		.amdhsa_system_sgpr_workgroup_id_z 0
		.amdhsa_system_sgpr_workgroup_info 0
		.amdhsa_system_vgpr_workitem_id 0
		.amdhsa_next_free_vgpr 23
		.amdhsa_next_free_sgpr 32
		.amdhsa_accum_offset 24
		.amdhsa_reserve_vcc 1
		.amdhsa_reserve_flat_scratch 0
		.amdhsa_float_round_mode_32 0
		.amdhsa_float_round_mode_16_64 0
		.amdhsa_float_denorm_mode_32 3
		.amdhsa_float_denorm_mode_16_64 3
		.amdhsa_dx10_clamp 1
		.amdhsa_ieee_mode 1
		.amdhsa_fp16_overflow 0
		.amdhsa_tg_split 0
		.amdhsa_exception_fp_ieee_invalid_op 0
		.amdhsa_exception_fp_denorm_src 0
		.amdhsa_exception_fp_ieee_div_zero 0
		.amdhsa_exception_fp_ieee_overflow 0
		.amdhsa_exception_fp_ieee_underflow 0
		.amdhsa_exception_fp_ieee_inexact 0
		.amdhsa_exception_int_div_zero 0
	.end_amdhsa_kernel
	.section	.text._ZN5aiter35fused_qk_rmsnorm_group_quant_kernelIDF16_DB8_Li64ELi8ELi1ELb0ELb0ELb1ELb0ELb1ELb1EEEvPT0_PvPT_S6_S6_PKS5_S8_S8_S8_S8_ffiiiiiiiiiiiii,"axG",@progbits,_ZN5aiter35fused_qk_rmsnorm_group_quant_kernelIDF16_DB8_Li64ELi8ELi1ELb0ELb0ELb1ELb0ELb1ELb1EEEvPT0_PvPT_S6_S6_PKS5_S8_S8_S8_S8_ffiiiiiiiiiiiii,comdat
.Lfunc_end13:
	.size	_ZN5aiter35fused_qk_rmsnorm_group_quant_kernelIDF16_DB8_Li64ELi8ELi1ELb0ELb0ELb1ELb0ELb1ELb1EEEvPT0_PvPT_S6_S6_PKS5_S8_S8_S8_S8_ffiiiiiiiiiiiii, .Lfunc_end13-_ZN5aiter35fused_qk_rmsnorm_group_quant_kernelIDF16_DB8_Li64ELi8ELi1ELb0ELb0ELb1ELb0ELb1ELb1EEEvPT0_PvPT_S6_S6_PKS5_S8_S8_S8_S8_ffiiiiiiiiiiiii
                                        ; -- End function
	.section	.AMDGPU.csdata,"",@progbits
; Kernel info:
; codeLenInByte = 2484
; NumSgprs: 36
; NumVgprs: 23
; NumAgprs: 0
; TotalNumVgprs: 23
; ScratchSize: 0
; MemoryBound: 0
; FloatMode: 240
; IeeeMode: 1
; LDSByteSize: 0 bytes/workgroup (compile time only)
; SGPRBlocks: 4
; VGPRBlocks: 2
; NumSGPRsForWavesPerEU: 36
; NumVGPRsForWavesPerEU: 23
; AccumOffset: 24
; Occupancy: 8
; WaveLimiterHint : 0
; COMPUTE_PGM_RSRC2:SCRATCH_EN: 0
; COMPUTE_PGM_RSRC2:USER_SGPR: 6
; COMPUTE_PGM_RSRC2:TRAP_HANDLER: 0
; COMPUTE_PGM_RSRC2:TGID_X_EN: 1
; COMPUTE_PGM_RSRC2:TGID_Y_EN: 1
; COMPUTE_PGM_RSRC2:TGID_Z_EN: 0
; COMPUTE_PGM_RSRC2:TIDIG_COMP_CNT: 0
; COMPUTE_PGM_RSRC3_GFX90A:ACCUM_OFFSET: 5
; COMPUTE_PGM_RSRC3_GFX90A:TG_SPLIT: 0
	.section	.text._ZN5aiter35fused_qk_rmsnorm_group_quant_kernelItDB8_Li64ELi8ELi1ELb0ELb0ELb1ELb0ELb1ELb1EEEvPT0_PvPT_S6_S6_PKS5_S8_S8_S8_S8_ffiiiiiiiiiiiii,"axG",@progbits,_ZN5aiter35fused_qk_rmsnorm_group_quant_kernelItDB8_Li64ELi8ELi1ELb0ELb0ELb1ELb0ELb1ELb1EEEvPT0_PvPT_S6_S6_PKS5_S8_S8_S8_S8_ffiiiiiiiiiiiii,comdat
	.protected	_ZN5aiter35fused_qk_rmsnorm_group_quant_kernelItDB8_Li64ELi8ELi1ELb0ELb0ELb1ELb0ELb1ELb1EEEvPT0_PvPT_S6_S6_PKS5_S8_S8_S8_S8_ffiiiiiiiiiiiii ; -- Begin function _ZN5aiter35fused_qk_rmsnorm_group_quant_kernelItDB8_Li64ELi8ELi1ELb0ELb0ELb1ELb0ELb1ELb1EEEvPT0_PvPT_S6_S6_PKS5_S8_S8_S8_S8_ffiiiiiiiiiiiii
	.globl	_ZN5aiter35fused_qk_rmsnorm_group_quant_kernelItDB8_Li64ELi8ELi1ELb0ELb0ELb1ELb0ELb1ELb1EEEvPT0_PvPT_S6_S6_PKS5_S8_S8_S8_S8_ffiiiiiiiiiiiii
	.p2align	8
	.type	_ZN5aiter35fused_qk_rmsnorm_group_quant_kernelItDB8_Li64ELi8ELi1ELb0ELb0ELb1ELb0ELb1ELb1EEEvPT0_PvPT_S6_S6_PKS5_S8_S8_S8_S8_ffiiiiiiiiiiiii,@function
_ZN5aiter35fused_qk_rmsnorm_group_quant_kernelItDB8_Li64ELi8ELi1ELb0ELb0ELb1ELb0ELb1ELb1EEEvPT0_PvPT_S6_S6_PKS5_S8_S8_S8_S8_ffiiiiiiiiiiiii: ; @_ZN5aiter35fused_qk_rmsnorm_group_quant_kernelItDB8_Li64ELi8ELi1ELb0ELb0ELb1ELb0ELb1ELb1EEEvPT0_PvPT_S6_S6_PKS5_S8_S8_S8_S8_ffiiiiiiiiiiiii
; %bb.0:
	s_load_dwordx4 s[12:15], s[4:5], 0x50
	s_waitcnt lgkmcnt(0)
	s_cmp_ge_i32 s6, s14
	s_cbranch_scc1 .LBB14_8
; %bb.1:
	s_load_dwordx2 s[8:9], s[4:5], 0x48
	s_load_dwordx2 s[26:27], s[4:5], 0x30
	s_load_dwordx4 s[16:19], s[4:5], 0x60
	s_cmp_lg_u32 s7, 0
	s_cselect_b64 s[2:3], -1, 0
	s_cmp_eq_u32 s7, 0
	s_cselect_b64 vcc, -1, 0
	s_and_b64 s[0:1], vcc, exec
	s_waitcnt lgkmcnt(0)
	s_cselect_b32 s7, s15, s16
	s_add_i32 s0, s7, 1
	s_lshr_b32 s1, s0, 31
	s_add_i32 s0, s0, s1
	s_lshl_b32 s0, s0, 1
	v_lshlrev_b32_e32 v1, 3, v0
	s_and_b32 s22, s0, -4
	v_cmp_gt_i32_e64 s[0:1], s7, v1
	v_mov_b32_e32 v2, 0
	v_mov_b32_e32 v3, 0
	;; [unrolled: 1-line block ×8, first 2 shown]
	s_and_saveexec_b64 s[10:11], s[0:1]
	s_cbranch_execz .LBB14_3
; %bb.2:
	s_load_dwordx2 s[20:21], s[4:5], 0x28
	s_load_dwordx2 s[24:25], s[4:5], 0x40
	s_and_b64 s[28:29], vcc, exec
	s_cselect_b32 s14, s17, s18
	s_mov_b32 s23, 0x20000
	s_waitcnt lgkmcnt(0)
	s_cselect_b32 s17, s21, s27
	s_cselect_b32 s19, s20, s26
	s_mul_hi_i32 s21, s14, s6
	s_mul_i32 s20, s14, s6
	s_lshl_b64 s[20:21], s[20:21], 1
	s_add_u32 s28, s19, s20
	s_addc_u32 s14, s17, s21
	s_and_b64 s[20:21], vcc, exec
	s_cselect_b32 s20, s24, s8
	s_cselect_b32 s17, s25, s9
	v_lshlrev_b32_e32 v10, 4, v0
	s_and_b32 s29, s14, 0xffff
	s_mov_b32 s30, s22
	s_mov_b32 s31, s23
	s_and_b32 s21, s17, 0xffff
	buffer_load_dwordx4 v[6:9], v10, s[28:31], 0 offen glc slc
	buffer_load_dwordx4 v[2:5], v10, s[20:23], 0 offen
.LBB14_3:
	s_or_b64 exec, exec, s[10:11]
	s_waitcnt vmcnt(1)
	v_cvt_f32_u32_sdwa v13, v6 dst_sel:DWORD dst_unused:UNUSED_PAD src0_sel:WORD_1
	v_cvt_f32_u32_sdwa v12, v6 dst_sel:DWORD dst_unused:UNUSED_PAD src0_sel:WORD_0
	v_cvt_f32_u32_sdwa v6, v9 dst_sel:DWORD dst_unused:UNUSED_PAD src0_sel:WORD_1
	v_cvt_f32_u32_sdwa v9, v9 dst_sel:DWORD dst_unused:UNUSED_PAD src0_sel:WORD_0
	;; [unrolled: 2-line block ×4, first 2 shown]
	v_cndmask_b32_e64 v13, 0, v13, s[0:1]
	v_cndmask_b32_e64 v7, 0, v6, s[0:1]
	;; [unrolled: 1-line block ×5, first 2 shown]
	v_mul_f32_e32 v14, v13, v13
	v_cndmask_b32_e64 v10, 0, v10, s[0:1]
	v_fmac_f32_e32 v14, v12, v12
	v_cndmask_b32_e64 v11, 0, v11, s[0:1]
	v_fmac_f32_e32 v14, v10, v10
	;; [unrolled: 2-line block ×3, first 2 shown]
	v_fmac_f32_e32 v14, v8, v8
	v_fmac_f32_e32 v14, v9, v9
	;; [unrolled: 1-line block ×4, first 2 shown]
	v_bfrev_b32_e32 v16, 0.5
	s_load_dwordx2 s[24:25], s[4:5], 0x18
	v_mov_b32_dpp v15, v14 quad_perm:[1,0,3,2] row_mask:0xf bank_mask:0xf
	v_add_f32_e32 v14, v14, v15
	s_nop 1
	v_mov_b32_dpp v15, v14 quad_perm:[2,3,0,1] row_mask:0xf bank_mask:0xf
	v_add_f32_e32 v14, v14, v15
	s_nop 1
	v_mov_b32_dpp v15, v14 row_half_mirror row_mask:0xf bank_mask:0xf
	v_add_f32_e32 v14, v14, v15
	s_nop 1
	v_mov_b32_dpp v15, v14 row_mirror row_mask:0xf bank_mask:0xf
	v_add_f32_e32 v14, v14, v15
	s_nop 1
	v_mov_b32_dpp v15, v14 row_bcast:15 row_mask:0xf bank_mask:0xf
	v_add_f32_e32 v14, v14, v15
	s_nop 1
	v_mov_b32_dpp v15, v14 row_bcast:31 row_mask:0xf bank_mask:0xf
	v_add_f32_e32 v15, v14, v15
	v_mbcnt_lo_u32_b32 v14, -1, 0
	v_mbcnt_hi_u32_b32 v14, -1, v14
	v_lshl_or_b32 v14, v14, 2, v16
	ds_bpermute_b32 v15, v14, v15
	s_and_saveexec_b64 s[10:11], s[0:1]
	s_cbranch_execz .LBB14_5
; %bb.4:
	v_cvt_f32_u32_e32 v16, s7
	v_mov_b32_e32 v17, s13
	v_mov_b32_e32 v18, s12
	v_cndmask_b32_e32 v17, v17, v18, vcc
	s_waitcnt lgkmcnt(0)
	v_div_scale_f32 v19, s[20:21], v16, v16, v15
	v_rcp_f32_e32 v20, v19
	v_div_scale_f32 v18, vcc, v15, v16, v15
	s_mov_b32 s7, 0x800000
	v_fma_f32 v21, -v19, v20, 1.0
	v_fmac_f32_e32 v20, v21, v20
	v_mul_f32_e32 v21, v18, v20
	v_fma_f32 v22, -v19, v21, v18
	v_fmac_f32_e32 v21, v22, v20
	v_fma_f32 v18, -v19, v21, v18
	v_div_fmas_f32 v18, v18, v20, v21
	v_div_fixup_f32 v15, v18, v16, v15
	v_add_f32_e32 v15, v17, v15
	v_mul_f32_e32 v16, 0x4b800000, v15
	v_cmp_gt_f32_e32 vcc, s7, v15
	v_cndmask_b32_e32 v15, v15, v16, vcc
	v_rsq_f32_e32 v15, v15
	s_waitcnt vmcnt(0)
	v_cvt_f32_u32_sdwa v19, v2 dst_sel:DWORD dst_unused:UNUSED_PAD src0_sel:WORD_1
	v_cvt_f32_u32_sdwa v18, v2 dst_sel:DWORD dst_unused:UNUSED_PAD src0_sel:WORD_0
	v_cvt_f32_u32_sdwa v21, v3 dst_sel:DWORD dst_unused:UNUSED_PAD src0_sel:WORD_1
	v_mul_f32_e32 v16, 0x45800000, v15
	v_cndmask_b32_e32 v16, v15, v16, vcc
	v_mov_b32_e32 v17, v16
	;;#ASMSTART
	v_pk_mul_f32 v[12:13], v[12:13], v[16:17]
	;;#ASMEND
	;;#ASMSTART
	v_pk_mul_f32 v[10:11], v[10:11], v[16:17]
	;;#ASMEND
	;; [unrolled: 3-line block ×3, first 2 shown]
	v_cvt_f32_u32_sdwa v20, v3 dst_sel:DWORD dst_unused:UNUSED_PAD src0_sel:WORD_0
	;;#ASMSTART
	v_pk_mul_f32 v[2:3], v[6:7], v[16:17]
	;;#ASMEND
	v_cvt_f32_u32_sdwa v17, v4 dst_sel:DWORD dst_unused:UNUSED_PAD src0_sel:WORD_1
	v_cvt_f32_u32_sdwa v16, v4 dst_sel:DWORD dst_unused:UNUSED_PAD src0_sel:WORD_0
	v_pk_add_f32 v[6:7], v[18:19], 1.0 op_sel_hi:[1,0]
	v_cvt_f32_u32_sdwa v19, v5 dst_sel:DWORD dst_unused:UNUSED_PAD src0_sel:WORD_1
	v_cvt_f32_u32_sdwa v18, v5 dst_sel:DWORD dst_unused:UNUSED_PAD src0_sel:WORD_0
	;;#ASMSTART
	v_pk_mul_f32 v[12:13], v[12:13], v[6:7]
	;;#ASMEND
	v_pk_add_f32 v[6:7], v[20:21], 1.0 op_sel_hi:[1,0]
	v_pk_add_f32 v[4:5], v[16:17], 1.0 op_sel_hi:[1,0]
	;;#ASMSTART
	v_pk_mul_f32 v[10:11], v[10:11], v[6:7]
	;;#ASMEND
	;;#ASMSTART
	v_pk_mul_f32 v[8:9], v[8:9], v[4:5]
	;;#ASMEND
	v_pk_add_f32 v[4:5], v[18:19], 1.0 op_sel_hi:[1,0]
	;;#ASMSTART
	v_pk_mul_f32 v[6:7], v[2:3], v[4:5]
	;;#ASMEND
.LBB14_5:
	s_or_b64 exec, exec, s[10:11]
	s_load_dword s7, s[4:5], 0x80
	s_mov_b64 s[10:11], -1
	s_and_b64 vcc, exec, s[2:3]
	s_cbranch_vccnz .LBB14_9
; %bb.6:
	s_andn2_b64 vcc, exec, s[10:11]
	s_cbranch_vccz .LBB14_12
.LBB14_7:
	s_cmp_lt_i32 s16, 1
	s_cbranch_scc0 .LBB14_19
.LBB14_8:
	s_endpgm
.LBB14_9:
	s_and_saveexec_b64 s[2:3], s[0:1]
	s_cbranch_execz .LBB14_11
; %bb.10:
	s_waitcnt lgkmcnt(0)
	s_mul_hi_i32 s11, s7, s6
	s_mul_i32 s10, s7, s6
	s_lshl_b64 s[10:11], s[10:11], 1
	s_add_u32 s20, s24, s10
	s_addc_u32 s10, s25, s11
	s_and_b32 s21, s10, 0xffff
	s_mov_b32 s10, 0x7060302
	s_mov_b32 s23, 0x20000
	s_waitcnt vmcnt(0)
	v_perm_b32 v2, v13, v12, s10
	v_perm_b32 v3, v11, v10, s10
	;; [unrolled: 1-line block ×4, first 2 shown]
	v_lshlrev_b32_e32 v15, 4, v0
	buffer_store_dwordx4 v[2:5], v15, s[20:23], 0 offen
	;;#ASMSTART
	s_nop 0
	;;#ASMEND
.LBB14_11:
	s_or_b64 exec, exec, s[2:3]
	s_cbranch_execnz .LBB14_7
.LBB14_12:
	s_waitcnt vmcnt(0)
	v_mov_b32_e32 v2, 0
	s_and_saveexec_b64 s[2:3], s[0:1]
	s_cbranch_execz .LBB14_14
; %bb.13:
	v_and_b32_e32 v2, 0x7fffffff, v12
	v_and_b32_e32 v3, 0x7fffffff, v13
	v_mov_b32_e32 v4, 0x2edbe6ff
	;;#ASMSTART
	v_max3_f32 v2, v4, v2, v3

	;;#ASMEND
	v_and_b32_e32 v3, 0x7fffffff, v10
	v_and_b32_e32 v4, 0x7fffffff, v11
	;;#ASMSTART
	v_max3_f32 v2, v2, v3, v4

	;;#ASMEND
	v_and_b32_e32 v3, 0x7fffffff, v8
	v_and_b32_e32 v4, 0x7fffffff, v9
	;; [unrolled: 6-line block ×3, first 2 shown]
	;;#ASMSTART
	v_max3_f32 v2, v2, v3, v4

	;;#ASMEND
.LBB14_14:
	s_or_b64 exec, exec, s[2:3]
	s_nop 0
	v_mov_b32_dpp v3, v2 quad_perm:[1,0,3,2] row_mask:0xf bank_mask:0xf
	v_cmp_gt_f32_e32 vcc, v2, v3
	v_cndmask_b32_e32 v2, v3, v2, vcc
	s_load_dwordx2 s[2:3], s[4:5], 0x70
	s_nop 0
	v_mov_b32_dpp v3, v2 quad_perm:[2,3,0,1] row_mask:0xf bank_mask:0xf
	v_cmp_gt_f32_e32 vcc, v2, v3
	v_cndmask_b32_e32 v2, v3, v2, vcc
	s_nop 1
	v_mov_b32_dpp v3, v2 row_half_mirror row_mask:0xf bank_mask:0xf
	v_cmp_gt_f32_e32 vcc, v2, v3
	v_cndmask_b32_e32 v2, v3, v2, vcc
	s_nop 1
	v_mov_b32_dpp v3, v2 row_mirror row_mask:0xf bank_mask:0xf
	v_cmp_gt_f32_e32 vcc, v2, v3
	v_cndmask_b32_e32 v2, v3, v2, vcc
	s_nop 1
	v_mov_b32_dpp v3, v2 row_bcast:15 row_mask:0xf bank_mask:0xf
	v_cmp_gt_f32_e32 vcc, v2, v3
	v_cndmask_b32_e32 v2, v3, v2, vcc
	s_nop 1
	v_mov_b32_dpp v3, v2 row_bcast:31 row_mask:0xf bank_mask:0xf
	v_cmp_gt_f32_e32 vcc, v2, v3
	v_cndmask_b32_e32 v2, v3, v2, vcc
	ds_bpermute_b32 v2, v14, v2
	v_cmp_eq_u32_e32 vcc, 0, v0
	s_waitcnt lgkmcnt(0)
	v_mul_f32_e32 v2, 0x3b124925, v2
	s_and_saveexec_b64 s[10:11], vcc
	s_cbranch_execz .LBB14_16
; %bb.15:
	s_load_dwordx2 s[20:21], s[4:5], 0x8
	s_mul_hi_i32 s23, s3, s6
	s_mul_i32 s22, s3, s6
	s_lshl_b64 s[22:23], s[22:23], 2
	v_mov_b32_e32 v3, 0
	s_waitcnt lgkmcnt(0)
	s_add_u32 s20, s20, s22
	s_addc_u32 s21, s21, s23
	global_store_dword v3, v2, s[20:21]
.LBB14_16:
	s_or_b64 exec, exec, s[10:11]
	;;#ASMSTART
	v_rcp_f32 v2, v2
	;;#ASMEND
	s_and_saveexec_b64 s[10:11], s[0:1]
	s_cbranch_execz .LBB14_18
; %bb.17:
	v_mov_b32_e32 v3, v2
	;;#ASMSTART
	v_pk_mul_f32 v[4:5], v[12:13], v[2:3]
	;;#ASMEND
	s_load_dwordx2 s[0:1], s[4:5], 0x0
	v_mov_b32_e32 v12, 0xc3e00000
	v_mov_b32_e32 v13, 0x43e00000
	;;#ASMSTART
	v_med3_f32 v4, v4, v12, v13
v_med3_f32 v5, v5, v12, v13
v_cvt_pk_fp8_f32 v15, v4, v5
	;;#ASMEND
	;;#ASMSTART
	v_pk_mul_f32 v[4:5], v[10:11], v[2:3]
	;;#ASMEND
	;;#ASMSTART
	v_med3_f32 v4, v4, v12, v13
v_med3_f32 v5, v5, v12, v13
v_cvt_pk_fp8_f32 v10, v4, v5
	;;#ASMEND
	s_mov_b32 s14, 0x5040100
	v_perm_b32 v5, v10, v15, s14
	s_movk_i32 s14, 0xff
	s_mul_hi_i32 s3, s2, s6
	s_mul_i32 s2, s2, s6
	v_and_b32_e32 v4, 0xffffff00, v10
	v_and_b32_sdwa v10, v5, s14 dst_sel:DWORD dst_unused:UNUSED_PAD src0_sel:WORD_1 src1_sel:DWORD
	s_mov_b32 s12, 0xffff
	s_waitcnt lgkmcnt(0)
	s_add_u32 s0, s0, s2
	v_or_b32_sdwa v4, v10, v4 dst_sel:WORD_1 dst_unused:UNUSED_PAD src0_sel:DWORD src1_sel:DWORD
	s_addc_u32 s1, s1, s3
	s_add_i32 s2, s15, 3
	v_and_or_b32 v4, v5, s12, v4
	;;#ASMSTART
	v_pk_mul_f32 v[8:9], v[8:9], v[2:3]
	;;#ASMEND
	v_mov_b32_e32 v5, v9
	s_ashr_i32 s3, s2, 31
	;;#ASMSTART
	v_med3_f32 v8, v8, v12, v13
v_med3_f32 v5, v5, v12, v13
v_cvt_pk_fp8_f32 v9, v8, v5
	;;#ASMEND
	;;#ASMSTART
	v_pk_mul_f32 v[2:3], v[6:7], v[2:3]
	;;#ASMEND
	s_lshr_b32 s3, s3, 30
	;;#ASMSTART
	v_med3_f32 v2, v2, v12, v13
v_med3_f32 v3, v3, v12, v13
v_cvt_pk_fp8_f32 v5, v2, v3
	;;#ASMEND
	s_add_i32 s2, s2, s3
	v_lshlrev_b32_e32 v2, 16, v5
	s_and_b32 s2, s2, -4
	s_and_b32 s1, s1, 0xffff
	s_mov_b32 s3, 0x20000
	v_and_or_b32 v5, v9, s12, v2
	buffer_store_dwordx2 v[4:5], v1, s[0:3], 0 offen
	;;#ASMSTART
	s_nop 0
	;;#ASMEND
.LBB14_18:
	s_or_b64 exec, exec, s[10:11]
	s_cmp_lt_i32 s16, 1
	s_cbranch_scc1 .LBB14_8
.LBB14_19:
	s_load_dword s0, s[4:5], 0x94
	s_waitcnt lgkmcnt(0)
	s_cmp_lg_u32 s0, 1
	s_cbranch_scc1 .LBB14_8
; %bb.20:
	s_lshl_b32 s0, s16, 1
	s_add_i32 s0, s0, 2
	v_cmp_gt_u32_e32 vcc, s16, v1
	s_and_b32 s10, s0, -4
	s_waitcnt vmcnt(0)
	v_mov_b32_e32 v4, 0
	v_lshlrev_b32_e32 v12, 4, v0
	v_mov_b32_e32 v5, 0
	v_mov_b32_e32 v6, 0
	;; [unrolled: 1-line block ×7, first 2 shown]
	s_barrier
	s_and_saveexec_b64 s[0:1], vcc
	s_cbranch_execz .LBB14_22
; %bb.21:
	s_mul_hi_i32 s3, s18, s6
	s_mul_i32 s2, s18, s6
	s_and_b32 s9, s9, 0xffff
	s_lshl_b64 s[2:3], s[2:3], 1
	s_add_u32 s20, s26, s2
	s_mov_b32 s11, 0x20000
	s_addc_u32 s2, s27, s3
	s_and_b32 s21, s2, 0xffff
	s_mov_b32 s22, s10
	s_mov_b32 s23, s11
	buffer_load_dwordx4 v[4:7], v12, s[20:23], 0 offen glc slc
	buffer_load_dwordx4 v[0:3], v12, s[8:11], 0 offen
.LBB14_22:
	s_or_b64 exec, exec, s[0:1]
	s_waitcnt vmcnt(1)
	v_cvt_f32_u32_sdwa v11, v4 dst_sel:DWORD dst_unused:UNUSED_PAD src0_sel:WORD_1
	v_cvt_f32_u32_sdwa v10, v4 dst_sel:DWORD dst_unused:UNUSED_PAD src0_sel:WORD_0
	v_cvt_f32_u32_sdwa v4, v7 dst_sel:DWORD dst_unused:UNUSED_PAD src0_sel:WORD_1
	v_cvt_f32_u32_sdwa v7, v7 dst_sel:DWORD dst_unused:UNUSED_PAD src0_sel:WORD_0
	;; [unrolled: 2-line block ×4, first 2 shown]
	v_cndmask_b32_e32 v11, 0, v11, vcc
	v_cndmask_b32_e32 v5, 0, v4, vcc
	v_cndmask_b32_e32 v4, 0, v7, vcc
	v_cndmask_b32_e32 v7, 0, v13, vcc
	v_cndmask_b32_e32 v10, 0, v10, vcc
	v_mul_f32_e32 v13, v11, v11
	v_cndmask_b32_e32 v8, 0, v8, vcc
	v_fmac_f32_e32 v13, v10, v10
	v_cndmask_b32_e32 v9, 0, v9, vcc
	v_fmac_f32_e32 v13, v8, v8
	;; [unrolled: 2-line block ×3, first 2 shown]
	v_fmac_f32_e32 v13, v6, v6
	v_fmac_f32_e32 v13, v7, v7
	;; [unrolled: 1-line block ×4, first 2 shown]
	s_nop 1
	v_mov_b32_dpp v15, v13 quad_perm:[1,0,3,2] row_mask:0xf bank_mask:0xf
	v_add_f32_e32 v13, v13, v15
	s_nop 1
	v_mov_b32_dpp v15, v13 quad_perm:[2,3,0,1] row_mask:0xf bank_mask:0xf
	v_add_f32_e32 v13, v13, v15
	s_nop 1
	v_mov_b32_dpp v15, v13 row_half_mirror row_mask:0xf bank_mask:0xf
	v_add_f32_e32 v13, v13, v15
	s_nop 1
	v_mov_b32_dpp v15, v13 row_mirror row_mask:0xf bank_mask:0xf
	v_add_f32_e32 v13, v13, v15
	s_nop 1
	v_mov_b32_dpp v15, v13 row_bcast:15 row_mask:0xf bank_mask:0xf
	v_add_f32_e32 v13, v13, v15
	s_nop 1
	v_mov_b32_dpp v15, v13 row_bcast:31 row_mask:0xf bank_mask:0xf
	v_add_f32_e32 v13, v13, v15
	ds_bpermute_b32 v13, v14, v13
	s_and_saveexec_b64 s[0:1], vcc
	s_cbranch_execz .LBB14_8
; %bb.23:
	v_cvt_f32_u32_e32 v14, s16
	s_mov_b32 s11, 0x20000
	s_waitcnt lgkmcnt(0)
	v_div_scale_f32 v15, s[0:1], v14, v14, v13
	v_rcp_f32_e32 v16, v15
	v_div_scale_f32 v17, vcc, v13, v14, v13
	s_mov_b32 s0, 0x800000
	v_fma_f32 v18, -v15, v16, 1.0
	v_fmac_f32_e32 v16, v18, v16
	v_mul_f32_e32 v18, v17, v16
	v_fma_f32 v19, -v15, v18, v17
	v_fmac_f32_e32 v18, v19, v16
	v_fma_f32 v15, -v15, v18, v17
	v_div_fmas_f32 v15, v15, v16, v18
	v_div_fixup_f32 v13, v15, v14, v13
	v_add_f32_e32 v13, s13, v13
	v_mul_f32_e32 v14, 0x4b800000, v13
	v_cmp_gt_f32_e32 vcc, s0, v13
	v_cndmask_b32_e32 v13, v13, v14, vcc
	v_rsq_f32_e32 v13, v13
	s_waitcnt vmcnt(0)
	v_cvt_f32_u32_sdwa v15, v0 dst_sel:DWORD dst_unused:UNUSED_PAD src0_sel:WORD_1
	v_cvt_f32_u32_sdwa v19, v1 dst_sel:DWORD dst_unused:UNUSED_PAD src0_sel:WORD_1
	v_cvt_f32_u32_sdwa v18, v1 dst_sel:DWORD dst_unused:UNUSED_PAD src0_sel:WORD_0
	v_mul_f32_e32 v14, 0x45800000, v13
	v_cndmask_b32_e32 v16, v13, v14, vcc
	v_cvt_f32_u32_sdwa v14, v0 dst_sel:DWORD dst_unused:UNUSED_PAD src0_sel:WORD_0
	v_mov_b32_e32 v17, v16
	;;#ASMSTART
	v_pk_mul_f32 v[10:11], v[10:11], v[16:17]
	;;#ASMEND
	;;#ASMSTART
	v_pk_mul_f32 v[8:9], v[8:9], v[16:17]
	;;#ASMEND
	;; [unrolled: 3-line block ×4, first 2 shown]
	v_pk_add_f32 v[4:5], v[14:15], 1.0 op_sel_hi:[1,0]
	v_cvt_f32_u32_sdwa v15, v2 dst_sel:DWORD dst_unused:UNUSED_PAD src0_sel:WORD_1
	v_cvt_f32_u32_sdwa v14, v2 dst_sel:DWORD dst_unused:UNUSED_PAD src0_sel:WORD_0
	v_cvt_f32_u32_sdwa v17, v3 dst_sel:DWORD dst_unused:UNUSED_PAD src0_sel:WORD_1
	v_cvt_f32_u32_sdwa v16, v3 dst_sel:DWORD dst_unused:UNUSED_PAD src0_sel:WORD_0
	s_mul_hi_i32 s1, s7, s6
	s_mul_i32 s0, s7, s6
	s_lshl_b64 s[0:1], s[0:1], 1
	s_add_u32 s8, s24, s0
	;;#ASMSTART
	v_pk_mul_f32 v[4:5], v[10:11], v[4:5]
	;;#ASMEND
	v_pk_add_f32 v[10:11], v[18:19], 1.0 op_sel_hi:[1,0]
	;;#ASMSTART
	v_pk_mul_f32 v[2:3], v[8:9], v[10:11]
	;;#ASMEND
	v_pk_add_f32 v[8:9], v[14:15], 1.0 op_sel_hi:[1,0]
	s_addc_u32 s0, s25, s1
	;;#ASMSTART
	v_pk_mul_f32 v[6:7], v[6:7], v[8:9]
	;;#ASMEND
	v_pk_add_f32 v[8:9], v[16:17], 1.0 op_sel_hi:[1,0]
	s_and_b32 s9, s0, 0xffff
	s_mov_b32 s0, 0x7060302
	;;#ASMSTART
	v_pk_mul_f32 v[8:9], v[0:1], v[8:9]
	;;#ASMEND
	v_perm_b32 v0, v5, v4, s0
	v_perm_b32 v1, v3, v2, s0
	v_perm_b32 v2, v7, v6, s0
	v_perm_b32 v3, v9, v8, s0
	buffer_store_dwordx4 v[0:3], v12, s[8:11], 0 offen
	;;#ASMSTART
	s_nop 0
	;;#ASMEND
	s_endpgm
	.section	.rodata,"a",@progbits
	.p2align	6, 0x0
	.amdhsa_kernel _ZN5aiter35fused_qk_rmsnorm_group_quant_kernelItDB8_Li64ELi8ELi1ELb0ELb0ELb1ELb0ELb1ELb1EEEvPT0_PvPT_S6_S6_PKS5_S8_S8_S8_S8_ffiiiiiiiiiiiii
		.amdhsa_group_segment_fixed_size 0
		.amdhsa_private_segment_fixed_size 0
		.amdhsa_kernarg_size 400
		.amdhsa_user_sgpr_count 6
		.amdhsa_user_sgpr_private_segment_buffer 1
		.amdhsa_user_sgpr_dispatch_ptr 0
		.amdhsa_user_sgpr_queue_ptr 0
		.amdhsa_user_sgpr_kernarg_segment_ptr 1
		.amdhsa_user_sgpr_dispatch_id 0
		.amdhsa_user_sgpr_flat_scratch_init 0
		.amdhsa_user_sgpr_kernarg_preload_length 0
		.amdhsa_user_sgpr_kernarg_preload_offset 0
		.amdhsa_user_sgpr_private_segment_size 0
		.amdhsa_uses_dynamic_stack 0
		.amdhsa_system_sgpr_private_segment_wavefront_offset 0
		.amdhsa_system_sgpr_workgroup_id_x 1
		.amdhsa_system_sgpr_workgroup_id_y 1
		.amdhsa_system_sgpr_workgroup_id_z 0
		.amdhsa_system_sgpr_workgroup_info 0
		.amdhsa_system_vgpr_workitem_id 0
		.amdhsa_next_free_vgpr 23
		.amdhsa_next_free_sgpr 32
		.amdhsa_accum_offset 24
		.amdhsa_reserve_vcc 1
		.amdhsa_reserve_flat_scratch 0
		.amdhsa_float_round_mode_32 0
		.amdhsa_float_round_mode_16_64 0
		.amdhsa_float_denorm_mode_32 3
		.amdhsa_float_denorm_mode_16_64 3
		.amdhsa_dx10_clamp 1
		.amdhsa_ieee_mode 1
		.amdhsa_fp16_overflow 0
		.amdhsa_tg_split 0
		.amdhsa_exception_fp_ieee_invalid_op 0
		.amdhsa_exception_fp_denorm_src 0
		.amdhsa_exception_fp_ieee_div_zero 0
		.amdhsa_exception_fp_ieee_overflow 0
		.amdhsa_exception_fp_ieee_underflow 0
		.amdhsa_exception_fp_ieee_inexact 0
		.amdhsa_exception_int_div_zero 0
	.end_amdhsa_kernel
	.section	.text._ZN5aiter35fused_qk_rmsnorm_group_quant_kernelItDB8_Li64ELi8ELi1ELb0ELb0ELb1ELb0ELb1ELb1EEEvPT0_PvPT_S6_S6_PKS5_S8_S8_S8_S8_ffiiiiiiiiiiiii,"axG",@progbits,_ZN5aiter35fused_qk_rmsnorm_group_quant_kernelItDB8_Li64ELi8ELi1ELb0ELb0ELb1ELb0ELb1ELb1EEEvPT0_PvPT_S6_S6_PKS5_S8_S8_S8_S8_ffiiiiiiiiiiiii,comdat
.Lfunc_end14:
	.size	_ZN5aiter35fused_qk_rmsnorm_group_quant_kernelItDB8_Li64ELi8ELi1ELb0ELb0ELb1ELb0ELb1ELb1EEEvPT0_PvPT_S6_S6_PKS5_S8_S8_S8_S8_ffiiiiiiiiiiiii, .Lfunc_end14-_ZN5aiter35fused_qk_rmsnorm_group_quant_kernelItDB8_Li64ELi8ELi1ELb0ELb0ELb1ELb0ELb1ELb1EEEvPT0_PvPT_S6_S6_PKS5_S8_S8_S8_S8_ffiiiiiiiiiiiii
                                        ; -- End function
	.section	.AMDGPU.csdata,"",@progbits
; Kernel info:
; codeLenInByte = 2500
; NumSgprs: 36
; NumVgprs: 23
; NumAgprs: 0
; TotalNumVgprs: 23
; ScratchSize: 0
; MemoryBound: 0
; FloatMode: 240
; IeeeMode: 1
; LDSByteSize: 0 bytes/workgroup (compile time only)
; SGPRBlocks: 4
; VGPRBlocks: 2
; NumSGPRsForWavesPerEU: 36
; NumVGPRsForWavesPerEU: 23
; AccumOffset: 24
; Occupancy: 8
; WaveLimiterHint : 0
; COMPUTE_PGM_RSRC2:SCRATCH_EN: 0
; COMPUTE_PGM_RSRC2:USER_SGPR: 6
; COMPUTE_PGM_RSRC2:TRAP_HANDLER: 0
; COMPUTE_PGM_RSRC2:TGID_X_EN: 1
; COMPUTE_PGM_RSRC2:TGID_Y_EN: 1
; COMPUTE_PGM_RSRC2:TGID_Z_EN: 0
; COMPUTE_PGM_RSRC2:TIDIG_COMP_CNT: 0
; COMPUTE_PGM_RSRC3_GFX90A:ACCUM_OFFSET: 5
; COMPUTE_PGM_RSRC3_GFX90A:TG_SPLIT: 0
	.section	.text._ZN5aiter35fused_qk_rmsnorm_group_quant_kernelIDF16_DB8_Li64ELi8ELi1ELb0ELb0ELb0ELb0ELb1ELb1EEEvPT0_PvPT_S6_S6_PKS5_S8_S8_S8_S8_ffiiiiiiiiiiiii,"axG",@progbits,_ZN5aiter35fused_qk_rmsnorm_group_quant_kernelIDF16_DB8_Li64ELi8ELi1ELb0ELb0ELb0ELb0ELb1ELb1EEEvPT0_PvPT_S6_S6_PKS5_S8_S8_S8_S8_ffiiiiiiiiiiiii,comdat
	.protected	_ZN5aiter35fused_qk_rmsnorm_group_quant_kernelIDF16_DB8_Li64ELi8ELi1ELb0ELb0ELb0ELb0ELb1ELb1EEEvPT0_PvPT_S6_S6_PKS5_S8_S8_S8_S8_ffiiiiiiiiiiiii ; -- Begin function _ZN5aiter35fused_qk_rmsnorm_group_quant_kernelIDF16_DB8_Li64ELi8ELi1ELb0ELb0ELb0ELb0ELb1ELb1EEEvPT0_PvPT_S6_S6_PKS5_S8_S8_S8_S8_ffiiiiiiiiiiiii
	.globl	_ZN5aiter35fused_qk_rmsnorm_group_quant_kernelIDF16_DB8_Li64ELi8ELi1ELb0ELb0ELb0ELb0ELb1ELb1EEEvPT0_PvPT_S6_S6_PKS5_S8_S8_S8_S8_ffiiiiiiiiiiiii
	.p2align	8
	.type	_ZN5aiter35fused_qk_rmsnorm_group_quant_kernelIDF16_DB8_Li64ELi8ELi1ELb0ELb0ELb0ELb0ELb1ELb1EEEvPT0_PvPT_S6_S6_PKS5_S8_S8_S8_S8_ffiiiiiiiiiiiii,@function
_ZN5aiter35fused_qk_rmsnorm_group_quant_kernelIDF16_DB8_Li64ELi8ELi1ELb0ELb0ELb0ELb0ELb1ELb1EEEvPT0_PvPT_S6_S6_PKS5_S8_S8_S8_S8_ffiiiiiiiiiiiii: ; @_ZN5aiter35fused_qk_rmsnorm_group_quant_kernelIDF16_DB8_Li64ELi8ELi1ELb0ELb0ELb0ELb0ELb1ELb1EEEvPT0_PvPT_S6_S6_PKS5_S8_S8_S8_S8_ffiiiiiiiiiiiii
; %bb.0:
	s_load_dwordx4 s[12:15], s[4:5], 0x50
	s_waitcnt lgkmcnt(0)
	s_cmp_ge_i32 s6, s14
	s_cbranch_scc1 .LBB15_10
; %bb.1:
	s_load_dwordx2 s[8:9], s[4:5], 0x48
	s_load_dwordx2 s[26:27], s[4:5], 0x30
	s_load_dwordx4 s[16:19], s[4:5], 0x60
	s_cmp_lg_u32 s7, 0
	s_cselect_b64 s[2:3], -1, 0
	s_cmp_eq_u32 s7, 0
	s_cselect_b64 vcc, -1, 0
	s_and_b64 s[0:1], vcc, exec
	s_waitcnt lgkmcnt(0)
	s_cselect_b32 s7, s15, s16
	s_add_i32 s0, s7, 1
	s_lshr_b32 s1, s0, 31
	s_add_i32 s0, s0, s1
	s_lshl_b32 s0, s0, 1
	v_lshlrev_b32_e32 v1, 3, v0
	s_and_b32 s22, s0, -4
	v_cmp_gt_i32_e64 s[0:1], s7, v1
	v_mov_b32_e32 v10, 0
	v_mov_b32_e32 v2, 0
	v_mov_b32_e32 v3, 0
	v_mov_b32_e32 v4, 0
	v_mov_b32_e32 v5, 0
	v_mov_b32_e32 v6, 0
	v_mov_b32_e32 v7, 0
	v_mov_b32_e32 v8, 0
	v_mov_b32_e32 v9, 0
	s_and_saveexec_b64 s[10:11], s[0:1]
	s_cbranch_execz .LBB15_3
; %bb.2:
	s_load_dwordx2 s[20:21], s[4:5], 0x28
	s_load_dwordx2 s[24:25], s[4:5], 0x40
	s_and_b64 s[28:29], vcc, exec
	s_cselect_b32 s14, s17, s18
	s_mov_b32 s23, 0x20000
	s_waitcnt lgkmcnt(0)
	s_cselect_b32 s17, s21, s27
	s_cselect_b32 s19, s20, s26
	s_mul_hi_i32 s21, s14, s6
	s_mul_i32 s20, s14, s6
	s_lshl_b64 s[20:21], s[20:21], 1
	s_add_u32 s28, s19, s20
	s_addc_u32 s14, s17, s21
	s_and_b64 s[20:21], vcc, exec
	s_cselect_b32 s20, s24, s8
	s_cselect_b32 s17, s25, s9
	v_lshlrev_b32_e32 v11, 4, v0
	s_and_b32 s29, s14, 0xffff
	s_mov_b32 s30, s22
	s_mov_b32 s31, s23
	s_and_b32 s21, s17, 0xffff
	buffer_load_dwordx4 v[6:9], v11, s[28:31], 0 offen glc slc
	buffer_load_dwordx4 v[2:5], v11, s[20:23], 0 offen
.LBB15_3:
	s_or_b64 exec, exec, s[10:11]
	v_mov_b32_e32 v11, 0
	v_mov_b32_e32 v16, 0
	;; [unrolled: 1-line block ×7, first 2 shown]
	s_and_saveexec_b64 s[10:11], s[0:1]
	s_cbranch_execz .LBB15_5
; %bb.4:
	s_waitcnt vmcnt(1)
	v_cvt_f32_f16_sdwa v11, v6 dst_sel:DWORD dst_unused:UNUSED_PAD src0_sel:WORD_1
	v_cvt_f32_f16_e32 v10, v6
	v_cvt_f32_f16_sdwa v17, v7 dst_sel:DWORD dst_unused:UNUSED_PAD src0_sel:WORD_1
	v_cvt_f32_f16_e32 v16, v7
	;; [unrolled: 2-line block ×4, first 2 shown]
.LBB15_5:
	s_or_b64 exec, exec, s[10:11]
	s_waitcnt vmcnt(1)
	v_mul_f32_e32 v6, v11, v11
	v_fmac_f32_e32 v6, v10, v10
	v_fmac_f32_e32 v6, v16, v16
	;; [unrolled: 1-line block ×7, first 2 shown]
	v_bfrev_b32_e32 v8, 0.5
	s_load_dwordx2 s[24:25], s[4:5], 0x18
	v_mov_b32_dpp v7, v6 quad_perm:[1,0,3,2] row_mask:0xf bank_mask:0xf
	v_add_f32_e32 v6, v6, v7
	s_nop 1
	v_mov_b32_dpp v7, v6 quad_perm:[2,3,0,1] row_mask:0xf bank_mask:0xf
	v_add_f32_e32 v6, v6, v7
	s_nop 1
	v_mov_b32_dpp v7, v6 row_half_mirror row_mask:0xf bank_mask:0xf
	v_add_f32_e32 v6, v6, v7
	s_nop 1
	v_mov_b32_dpp v7, v6 row_mirror row_mask:0xf bank_mask:0xf
	v_add_f32_e32 v6, v6, v7
	s_nop 1
	v_mov_b32_dpp v7, v6 row_bcast:15 row_mask:0xf bank_mask:0xf
	v_add_f32_e32 v6, v6, v7
	s_nop 1
	v_mov_b32_dpp v7, v6 row_bcast:31 row_mask:0xf bank_mask:0xf
	v_add_f32_e32 v6, v6, v7
	v_mbcnt_lo_u32_b32 v7, -1, 0
	v_mbcnt_hi_u32_b32 v7, -1, v7
	v_lshl_or_b32 v18, v7, 2, v8
	ds_bpermute_b32 v6, v18, v6
	s_and_saveexec_b64 s[10:11], s[0:1]
	s_cbranch_execz .LBB15_7
; %bb.6:
	v_cvt_f32_u32_e32 v7, s7
	v_mov_b32_e32 v8, s13
	v_mov_b32_e32 v9, s12
	v_cndmask_b32_e32 v8, v8, v9, vcc
	s_waitcnt lgkmcnt(0)
	v_div_scale_f32 v19, s[20:21], v7, v7, v6
	v_rcp_f32_e32 v20, v19
	v_div_scale_f32 v9, vcc, v6, v7, v6
	s_mov_b32 s7, 0x800000
	v_fma_f32 v21, -v19, v20, 1.0
	v_fmac_f32_e32 v20, v21, v20
	v_mul_f32_e32 v21, v9, v20
	v_fma_f32 v22, -v19, v21, v9
	v_fmac_f32_e32 v21, v22, v20
	v_fma_f32 v9, -v19, v21, v9
	v_div_fmas_f32 v9, v9, v20, v21
	v_div_fixup_f32 v6, v9, v7, v6
	v_add_f32_e32 v6, v8, v6
	v_mul_f32_e32 v7, 0x4b800000, v6
	v_cmp_gt_f32_e32 vcc, s7, v6
	v_cndmask_b32_e32 v6, v6, v7, vcc
	v_rsq_f32_e32 v6, v6
	s_waitcnt vmcnt(0)
	v_cvt_f32_f16_sdwa v21, v5 dst_sel:DWORD dst_unused:UNUSED_PAD src0_sel:WORD_1
	v_cvt_f32_f16_e32 v20, v5
	v_mul_f32_e32 v7, 0x45800000, v6
	v_cndmask_b32_e32 v6, v6, v7, vcc
	v_mov_b32_e32 v7, v6
	;;#ASMSTART
	v_pk_mul_f32 v[8:9], v[10:11], v[6:7]
	;;#ASMEND
	;;#ASMSTART
	v_pk_mul_f32 v[16:17], v[16:17], v[6:7]
	;;#ASMEND
	;; [unrolled: 3-line block ×4, first 2 shown]
	v_cvt_f32_f16_sdwa v11, v2 dst_sel:DWORD dst_unused:UNUSED_PAD src0_sel:WORD_1
	v_cvt_f32_f16_e32 v10, v2
	v_cvt_f32_f16_sdwa v13, v3 dst_sel:DWORD dst_unused:UNUSED_PAD src0_sel:WORD_1
	v_cvt_f32_f16_e32 v12, v3
	;; [unrolled: 2-line block ×3, first 2 shown]
	;;#ASMSTART
	v_pk_mul_f32 v[10:11], v[8:9], v[10:11]
	;;#ASMEND
	;;#ASMSTART
	v_pk_mul_f32 v[16:17], v[16:17], v[12:13]
	;;#ASMEND
	;; [unrolled: 3-line block ×4, first 2 shown]
.LBB15_7:
	s_or_b64 exec, exec, s[10:11]
	s_load_dword s7, s[4:5], 0x80
	s_mov_b64 s[10:11], -1
	s_and_b64 vcc, exec, s[2:3]
	s_cbranch_vccnz .LBB15_11
; %bb.8:
	s_andn2_b64 vcc, exec, s[10:11]
	s_cbranch_vccz .LBB15_14
.LBB15_9:
	s_cmp_lt_i32 s16, 1
	s_cbranch_scc0 .LBB15_21
.LBB15_10:
	s_endpgm
.LBB15_11:
	s_and_saveexec_b64 s[2:3], s[0:1]
	s_cbranch_execz .LBB15_13
; %bb.12:
	s_waitcnt lgkmcnt(0)
	s_mul_hi_i32 s11, s7, s6
	s_mul_i32 s10, s7, s6
	s_waitcnt vmcnt(0)
	v_cvt_f16_f32_e32 v2, v10
	v_cvt_f16_f32_e32 v3, v16
	;; [unrolled: 1-line block ×8, first 2 shown]
	s_lshl_b64 s[10:11], s[10:11], 1
	s_add_u32 s20, s24, s10
	s_addc_u32 s10, s25, s11
	s_and_b32 s21, s10, 0xffff
	s_mov_b32 s23, 0x20000
	v_pack_b32_f16 v5, v5, v6
	v_pack_b32_f16 v4, v4, v7
	;; [unrolled: 1-line block ×4, first 2 shown]
	v_lshlrev_b32_e32 v6, 4, v0
	buffer_store_dwordx4 v[2:5], v6, s[20:23], 0 offen
	;;#ASMSTART
	s_nop 0
	;;#ASMEND
.LBB15_13:
	s_or_b64 exec, exec, s[2:3]
	s_cbranch_execnz .LBB15_9
.LBB15_14:
	s_waitcnt vmcnt(0)
	v_mov_b32_e32 v2, 0
	s_and_saveexec_b64 s[2:3], s[0:1]
	s_cbranch_execz .LBB15_16
; %bb.15:
	v_and_b32_e32 v2, 0x7fffffff, v10
	v_and_b32_e32 v3, 0x7fffffff, v11
	v_mov_b32_e32 v4, 0x2edbe6ff
	;;#ASMSTART
	v_max3_f32 v2, v4, v2, v3

	;;#ASMEND
	v_and_b32_e32 v3, 0x7fffffff, v16
	v_and_b32_e32 v4, 0x7fffffff, v17
	;;#ASMSTART
	v_max3_f32 v2, v2, v3, v4

	;;#ASMEND
	v_and_b32_e32 v3, 0x7fffffff, v14
	v_and_b32_e32 v4, 0x7fffffff, v15
	;; [unrolled: 6-line block ×3, first 2 shown]
	;;#ASMSTART
	v_max3_f32 v2, v2, v3, v4

	;;#ASMEND
.LBB15_16:
	s_or_b64 exec, exec, s[2:3]
	s_nop 0
	v_mov_b32_dpp v3, v2 quad_perm:[1,0,3,2] row_mask:0xf bank_mask:0xf
	v_cmp_gt_f32_e32 vcc, v2, v3
	v_cndmask_b32_e32 v2, v3, v2, vcc
	s_load_dwordx2 s[2:3], s[4:5], 0x70
	s_nop 0
	v_mov_b32_dpp v3, v2 quad_perm:[2,3,0,1] row_mask:0xf bank_mask:0xf
	v_cmp_gt_f32_e32 vcc, v2, v3
	v_cndmask_b32_e32 v2, v3, v2, vcc
	s_nop 1
	v_mov_b32_dpp v3, v2 row_half_mirror row_mask:0xf bank_mask:0xf
	v_cmp_gt_f32_e32 vcc, v2, v3
	v_cndmask_b32_e32 v2, v3, v2, vcc
	s_nop 1
	v_mov_b32_dpp v3, v2 row_mirror row_mask:0xf bank_mask:0xf
	v_cmp_gt_f32_e32 vcc, v2, v3
	v_cndmask_b32_e32 v2, v3, v2, vcc
	s_nop 1
	v_mov_b32_dpp v3, v2 row_bcast:15 row_mask:0xf bank_mask:0xf
	v_cmp_gt_f32_e32 vcc, v2, v3
	v_cndmask_b32_e32 v2, v3, v2, vcc
	s_nop 1
	v_mov_b32_dpp v3, v2 row_bcast:31 row_mask:0xf bank_mask:0xf
	v_cmp_gt_f32_e32 vcc, v2, v3
	v_cndmask_b32_e32 v2, v3, v2, vcc
	ds_bpermute_b32 v2, v18, v2
	v_cmp_eq_u32_e32 vcc, 0, v0
	s_waitcnt lgkmcnt(0)
	v_mul_f32_e32 v2, 0x3b124925, v2
	s_and_saveexec_b64 s[10:11], vcc
	s_cbranch_execz .LBB15_18
; %bb.17:
	s_load_dwordx2 s[20:21], s[4:5], 0x8
	s_mul_hi_i32 s23, s3, s6
	s_mul_i32 s22, s3, s6
	s_lshl_b64 s[22:23], s[22:23], 2
	v_mov_b32_e32 v3, 0
	s_waitcnt lgkmcnt(0)
	s_add_u32 s20, s20, s22
	s_addc_u32 s21, s21, s23
	global_store_dword v3, v2, s[20:21]
.LBB15_18:
	s_or_b64 exec, exec, s[10:11]
	;;#ASMSTART
	v_rcp_f32 v2, v2
	;;#ASMEND
	s_and_saveexec_b64 s[10:11], s[0:1]
	s_cbranch_execz .LBB15_20
; %bb.19:
	v_mov_b32_e32 v3, v2
	;;#ASMSTART
	v_pk_mul_f32 v[4:5], v[10:11], v[2:3]
	;;#ASMEND
	s_load_dwordx2 s[0:1], s[4:5], 0x0
	v_mov_b32_e32 v8, 0xc3e00000
	v_mov_b32_e32 v9, 0x43e00000
	;;#ASMSTART
	v_med3_f32 v4, v4, v8, v9
v_med3_f32 v5, v5, v8, v9
v_cvt_pk_fp8_f32 v6, v4, v5
	;;#ASMEND
	;;#ASMSTART
	v_pk_mul_f32 v[4:5], v[16:17], v[2:3]
	;;#ASMEND
	;;#ASMSTART
	v_med3_f32 v4, v4, v8, v9
v_med3_f32 v5, v5, v8, v9
v_cvt_pk_fp8_f32 v7, v4, v5
	;;#ASMEND
	s_mov_b32 s14, 0x5040100
	v_perm_b32 v5, v7, v6, s14
	s_movk_i32 s14, 0xff
	s_mul_hi_i32 s3, s2, s6
	s_mul_i32 s2, s2, s6
	v_and_b32_e32 v4, 0xffffff00, v7
	v_and_b32_sdwa v6, v5, s14 dst_sel:DWORD dst_unused:UNUSED_PAD src0_sel:WORD_1 src1_sel:DWORD
	s_mov_b32 s12, 0xffff
	s_waitcnt lgkmcnt(0)
	s_add_u32 s0, s0, s2
	v_or_b32_sdwa v4, v6, v4 dst_sel:WORD_1 dst_unused:UNUSED_PAD src0_sel:DWORD src1_sel:DWORD
	s_addc_u32 s1, s1, s3
	s_add_i32 s2, s15, 3
	v_and_or_b32 v4, v5, s12, v4
	;;#ASMSTART
	v_pk_mul_f32 v[6:7], v[14:15], v[2:3]
	;;#ASMEND
	v_mov_b32_e32 v5, v7
	s_ashr_i32 s3, s2, 31
	;;#ASMSTART
	v_med3_f32 v6, v6, v8, v9
v_med3_f32 v5, v5, v8, v9
v_cvt_pk_fp8_f32 v7, v6, v5
	;;#ASMEND
	;;#ASMSTART
	v_pk_mul_f32 v[2:3], v[12:13], v[2:3]
	;;#ASMEND
	s_lshr_b32 s3, s3, 30
	;;#ASMSTART
	v_med3_f32 v2, v2, v8, v9
v_med3_f32 v3, v3, v8, v9
v_cvt_pk_fp8_f32 v5, v2, v3
	;;#ASMEND
	s_add_i32 s2, s2, s3
	v_lshlrev_b32_e32 v2, 16, v5
	s_and_b32 s2, s2, -4
	s_and_b32 s1, s1, 0xffff
	s_mov_b32 s3, 0x20000
	v_and_or_b32 v5, v7, s12, v2
	buffer_store_dwordx2 v[4:5], v1, s[0:3], 0 offen
	;;#ASMSTART
	s_nop 0
	;;#ASMEND
.LBB15_20:
	s_or_b64 exec, exec, s[10:11]
	s_cmp_lt_i32 s16, 1
	s_cbranch_scc1 .LBB15_10
.LBB15_21:
	s_load_dword s0, s[4:5], 0x94
	s_waitcnt lgkmcnt(0)
	s_cmp_lg_u32 s0, 1
	s_cbranch_scc1 .LBB15_10
; %bb.22:
	s_lshl_b32 s0, s16, 1
	s_add_i32 s0, s0, 2
	v_cmp_gt_u32_e32 vcc, s16, v1
	s_and_b32 s10, s0, -4
	v_mov_b32_e32 v8, 0
	v_lshlrev_b32_e32 v16, 4, v0
	s_waitcnt vmcnt(0)
	v_mov_b32_e32 v4, 0
	v_mov_b32_e32 v5, 0
	v_mov_b32_e32 v6, 0
	v_mov_b32_e32 v7, 0
	v_mov_b32_e32 v0, 0
	v_mov_b32_e32 v1, 0
	v_mov_b32_e32 v2, 0
	v_mov_b32_e32 v3, 0
	s_barrier
	s_and_saveexec_b64 s[0:1], vcc
	s_cbranch_execz .LBB15_24
; %bb.23:
	s_mul_hi_i32 s3, s18, s6
	s_mul_i32 s2, s18, s6
	s_and_b32 s9, s9, 0xffff
	s_lshl_b64 s[2:3], s[2:3], 1
	s_add_u32 s20, s26, s2
	s_mov_b32 s11, 0x20000
	s_addc_u32 s2, s27, s3
	s_and_b32 s21, s2, 0xffff
	s_mov_b32 s22, s10
	s_mov_b32 s23, s11
	buffer_load_dwordx4 v[4:7], v16, s[20:23], 0 offen glc slc
	buffer_load_dwordx4 v[0:3], v16, s[8:11], 0 offen
.LBB15_24:
	s_or_b64 exec, exec, s[0:1]
	v_mov_b32_e32 v9, 0
	v_mov_b32_e32 v14, 0
	;; [unrolled: 1-line block ×7, first 2 shown]
	s_and_saveexec_b64 s[0:1], vcc
	s_cbranch_execz .LBB15_26
; %bb.25:
	s_waitcnt vmcnt(1)
	v_cvt_f32_f16_sdwa v9, v4 dst_sel:DWORD dst_unused:UNUSED_PAD src0_sel:WORD_1
	v_cvt_f32_f16_e32 v8, v4
	v_cvt_f32_f16_sdwa v15, v5 dst_sel:DWORD dst_unused:UNUSED_PAD src0_sel:WORD_1
	v_cvt_f32_f16_e32 v14, v5
	v_cvt_f32_f16_sdwa v13, v6 dst_sel:DWORD dst_unused:UNUSED_PAD src0_sel:WORD_1
	v_cvt_f32_f16_e32 v12, v6
	v_cvt_f32_f16_sdwa v11, v7 dst_sel:DWORD dst_unused:UNUSED_PAD src0_sel:WORD_1
	v_cvt_f32_f16_e32 v10, v7
.LBB15_26:
	s_or_b64 exec, exec, s[0:1]
	s_waitcnt vmcnt(1)
	v_mul_f32_e32 v4, v9, v9
	v_fmac_f32_e32 v4, v8, v8
	v_fmac_f32_e32 v4, v14, v14
	;; [unrolled: 1-line block ×7, first 2 shown]
	s_nop 1
	v_mov_b32_dpp v5, v4 quad_perm:[1,0,3,2] row_mask:0xf bank_mask:0xf
	v_add_f32_e32 v4, v4, v5
	s_nop 1
	v_mov_b32_dpp v5, v4 quad_perm:[2,3,0,1] row_mask:0xf bank_mask:0xf
	v_add_f32_e32 v4, v4, v5
	s_nop 1
	v_mov_b32_dpp v5, v4 row_half_mirror row_mask:0xf bank_mask:0xf
	v_add_f32_e32 v4, v4, v5
	s_nop 1
	v_mov_b32_dpp v5, v4 row_mirror row_mask:0xf bank_mask:0xf
	v_add_f32_e32 v4, v4, v5
	s_nop 1
	v_mov_b32_dpp v5, v4 row_bcast:15 row_mask:0xf bank_mask:0xf
	v_add_f32_e32 v4, v4, v5
	s_nop 1
	v_mov_b32_dpp v5, v4 row_bcast:31 row_mask:0xf bank_mask:0xf
	v_add_f32_e32 v4, v4, v5
	ds_bpermute_b32 v4, v18, v4
	s_and_saveexec_b64 s[0:1], vcc
	s_cbranch_execz .LBB15_10
; %bb.27:
	v_cvt_f32_u32_e32 v5, s16
	s_mov_b32 s11, 0x20000
	s_waitcnt lgkmcnt(0)
	v_div_scale_f32 v6, s[0:1], v5, v5, v4
	v_rcp_f32_e32 v7, v6
	v_div_scale_f32 v17, vcc, v4, v5, v4
	s_mov_b32 s0, 0x800000
	v_fma_f32 v18, -v6, v7, 1.0
	v_fmac_f32_e32 v7, v18, v7
	v_mul_f32_e32 v18, v17, v7
	v_fma_f32 v19, -v6, v18, v17
	v_fmac_f32_e32 v18, v19, v7
	v_fma_f32 v6, -v6, v18, v17
	v_div_fmas_f32 v6, v6, v7, v18
	v_div_fixup_f32 v4, v6, v5, v4
	v_add_f32_e32 v4, s13, v4
	v_mul_f32_e32 v5, 0x4b800000, v4
	v_cmp_gt_f32_e32 vcc, s0, v4
	v_cndmask_b32_e32 v4, v4, v5, vcc
	v_rsq_f32_e32 v4, v4
	s_waitcnt vmcnt(0)
	v_cvt_f32_f16_sdwa v19, v3 dst_sel:DWORD dst_unused:UNUSED_PAD src0_sel:WORD_1
	v_cvt_f32_f16_e32 v18, v3
	s_mul_hi_i32 s1, s7, s6
	v_mul_f32_e32 v5, 0x45800000, v4
	v_cndmask_b32_e32 v4, v4, v5, vcc
	v_mov_b32_e32 v5, v4
	;;#ASMSTART
	v_pk_mul_f32 v[6:7], v[8:9], v[4:5]
	;;#ASMEND
	;;#ASMSTART
	v_pk_mul_f32 v[8:9], v[14:15], v[4:5]
	;;#ASMEND
	;; [unrolled: 3-line block ×4, first 2 shown]
	v_cvt_f32_f16_sdwa v11, v0 dst_sel:DWORD dst_unused:UNUSED_PAD src0_sel:WORD_1
	v_cvt_f32_f16_e32 v10, v0
	v_cvt_f32_f16_sdwa v15, v1 dst_sel:DWORD dst_unused:UNUSED_PAD src0_sel:WORD_1
	v_cvt_f32_f16_e32 v14, v1
	;; [unrolled: 2-line block ×3, first 2 shown]
	;;#ASMSTART
	v_pk_mul_f32 v[2:3], v[6:7], v[10:11]
	;;#ASMEND
	;;#ASMSTART
	v_pk_mul_f32 v[6:7], v[8:9], v[14:15]
	;;#ASMEND
	;; [unrolled: 3-line block ×4, first 2 shown]
	s_mul_i32 s0, s7, s6
	v_cvt_f16_f32_e32 v2, v2
	v_cvt_f16_f32_e32 v3, v3
	;; [unrolled: 1-line block ×8, first 2 shown]
	s_lshl_b64 s[0:1], s[0:1], 1
	s_add_u32 s8, s24, s0
	s_addc_u32 s0, s25, s1
	s_and_b32 s9, s0, 0xffff
	v_pack_b32_f16 v0, v2, v3
	v_pack_b32_f16 v1, v6, v7
	;; [unrolled: 1-line block ×4, first 2 shown]
	buffer_store_dwordx4 v[0:3], v16, s[8:11], 0 offen
	;;#ASMSTART
	s_nop 0
	;;#ASMEND
	s_endpgm
	.section	.rodata,"a",@progbits
	.p2align	6, 0x0
	.amdhsa_kernel _ZN5aiter35fused_qk_rmsnorm_group_quant_kernelIDF16_DB8_Li64ELi8ELi1ELb0ELb0ELb0ELb0ELb1ELb1EEEvPT0_PvPT_S6_S6_PKS5_S8_S8_S8_S8_ffiiiiiiiiiiiii
		.amdhsa_group_segment_fixed_size 0
		.amdhsa_private_segment_fixed_size 0
		.amdhsa_kernarg_size 400
		.amdhsa_user_sgpr_count 6
		.amdhsa_user_sgpr_private_segment_buffer 1
		.amdhsa_user_sgpr_dispatch_ptr 0
		.amdhsa_user_sgpr_queue_ptr 0
		.amdhsa_user_sgpr_kernarg_segment_ptr 1
		.amdhsa_user_sgpr_dispatch_id 0
		.amdhsa_user_sgpr_flat_scratch_init 0
		.amdhsa_user_sgpr_kernarg_preload_length 0
		.amdhsa_user_sgpr_kernarg_preload_offset 0
		.amdhsa_user_sgpr_private_segment_size 0
		.amdhsa_uses_dynamic_stack 0
		.amdhsa_system_sgpr_private_segment_wavefront_offset 0
		.amdhsa_system_sgpr_workgroup_id_x 1
		.amdhsa_system_sgpr_workgroup_id_y 1
		.amdhsa_system_sgpr_workgroup_id_z 0
		.amdhsa_system_sgpr_workgroup_info 0
		.amdhsa_system_vgpr_workitem_id 0
		.amdhsa_next_free_vgpr 23
		.amdhsa_next_free_sgpr 32
		.amdhsa_accum_offset 24
		.amdhsa_reserve_vcc 1
		.amdhsa_reserve_flat_scratch 0
		.amdhsa_float_round_mode_32 0
		.amdhsa_float_round_mode_16_64 0
		.amdhsa_float_denorm_mode_32 3
		.amdhsa_float_denorm_mode_16_64 3
		.amdhsa_dx10_clamp 1
		.amdhsa_ieee_mode 1
		.amdhsa_fp16_overflow 0
		.amdhsa_tg_split 0
		.amdhsa_exception_fp_ieee_invalid_op 0
		.amdhsa_exception_fp_denorm_src 0
		.amdhsa_exception_fp_ieee_div_zero 0
		.amdhsa_exception_fp_ieee_overflow 0
		.amdhsa_exception_fp_ieee_underflow 0
		.amdhsa_exception_fp_ieee_inexact 0
		.amdhsa_exception_int_div_zero 0
	.end_amdhsa_kernel
	.section	.text._ZN5aiter35fused_qk_rmsnorm_group_quant_kernelIDF16_DB8_Li64ELi8ELi1ELb0ELb0ELb0ELb0ELb1ELb1EEEvPT0_PvPT_S6_S6_PKS5_S8_S8_S8_S8_ffiiiiiiiiiiiii,"axG",@progbits,_ZN5aiter35fused_qk_rmsnorm_group_quant_kernelIDF16_DB8_Li64ELi8ELi1ELb0ELb0ELb0ELb0ELb1ELb1EEEvPT0_PvPT_S6_S6_PKS5_S8_S8_S8_S8_ffiiiiiiiiiiiii,comdat
.Lfunc_end15:
	.size	_ZN5aiter35fused_qk_rmsnorm_group_quant_kernelIDF16_DB8_Li64ELi8ELi1ELb0ELb0ELb0ELb0ELb1ELb1EEEvPT0_PvPT_S6_S6_PKS5_S8_S8_S8_S8_ffiiiiiiiiiiiii, .Lfunc_end15-_ZN5aiter35fused_qk_rmsnorm_group_quant_kernelIDF16_DB8_Li64ELi8ELi1ELb0ELb0ELb0ELb0ELb1ELb1EEEvPT0_PvPT_S6_S6_PKS5_S8_S8_S8_S8_ffiiiiiiiiiiiii
                                        ; -- End function
	.section	.AMDGPU.csdata,"",@progbits
; Kernel info:
; codeLenInByte = 2420
; NumSgprs: 36
; NumVgprs: 23
; NumAgprs: 0
; TotalNumVgprs: 23
; ScratchSize: 0
; MemoryBound: 0
; FloatMode: 240
; IeeeMode: 1
; LDSByteSize: 0 bytes/workgroup (compile time only)
; SGPRBlocks: 4
; VGPRBlocks: 2
; NumSGPRsForWavesPerEU: 36
; NumVGPRsForWavesPerEU: 23
; AccumOffset: 24
; Occupancy: 8
; WaveLimiterHint : 0
; COMPUTE_PGM_RSRC2:SCRATCH_EN: 0
; COMPUTE_PGM_RSRC2:USER_SGPR: 6
; COMPUTE_PGM_RSRC2:TRAP_HANDLER: 0
; COMPUTE_PGM_RSRC2:TGID_X_EN: 1
; COMPUTE_PGM_RSRC2:TGID_Y_EN: 1
; COMPUTE_PGM_RSRC2:TGID_Z_EN: 0
; COMPUTE_PGM_RSRC2:TIDIG_COMP_CNT: 0
; COMPUTE_PGM_RSRC3_GFX90A:ACCUM_OFFSET: 5
; COMPUTE_PGM_RSRC3_GFX90A:TG_SPLIT: 0
	.section	.text._ZN5aiter35fused_qk_rmsnorm_group_quant_kernelItDB8_Li64ELi8ELi1ELb0ELb0ELb0ELb0ELb1ELb1EEEvPT0_PvPT_S6_S6_PKS5_S8_S8_S8_S8_ffiiiiiiiiiiiii,"axG",@progbits,_ZN5aiter35fused_qk_rmsnorm_group_quant_kernelItDB8_Li64ELi8ELi1ELb0ELb0ELb0ELb0ELb1ELb1EEEvPT0_PvPT_S6_S6_PKS5_S8_S8_S8_S8_ffiiiiiiiiiiiii,comdat
	.protected	_ZN5aiter35fused_qk_rmsnorm_group_quant_kernelItDB8_Li64ELi8ELi1ELb0ELb0ELb0ELb0ELb1ELb1EEEvPT0_PvPT_S6_S6_PKS5_S8_S8_S8_S8_ffiiiiiiiiiiiii ; -- Begin function _ZN5aiter35fused_qk_rmsnorm_group_quant_kernelItDB8_Li64ELi8ELi1ELb0ELb0ELb0ELb0ELb1ELb1EEEvPT0_PvPT_S6_S6_PKS5_S8_S8_S8_S8_ffiiiiiiiiiiiii
	.globl	_ZN5aiter35fused_qk_rmsnorm_group_quant_kernelItDB8_Li64ELi8ELi1ELb0ELb0ELb0ELb0ELb1ELb1EEEvPT0_PvPT_S6_S6_PKS5_S8_S8_S8_S8_ffiiiiiiiiiiiii
	.p2align	8
	.type	_ZN5aiter35fused_qk_rmsnorm_group_quant_kernelItDB8_Li64ELi8ELi1ELb0ELb0ELb0ELb0ELb1ELb1EEEvPT0_PvPT_S6_S6_PKS5_S8_S8_S8_S8_ffiiiiiiiiiiiii,@function
_ZN5aiter35fused_qk_rmsnorm_group_quant_kernelItDB8_Li64ELi8ELi1ELb0ELb0ELb0ELb0ELb1ELb1EEEvPT0_PvPT_S6_S6_PKS5_S8_S8_S8_S8_ffiiiiiiiiiiiii: ; @_ZN5aiter35fused_qk_rmsnorm_group_quant_kernelItDB8_Li64ELi8ELi1ELb0ELb0ELb0ELb0ELb1ELb1EEEvPT0_PvPT_S6_S6_PKS5_S8_S8_S8_S8_ffiiiiiiiiiiiii
; %bb.0:
	s_load_dwordx4 s[12:15], s[4:5], 0x50
	s_waitcnt lgkmcnt(0)
	s_cmp_ge_i32 s6, s14
	s_cbranch_scc1 .LBB16_8
; %bb.1:
	s_load_dwordx2 s[8:9], s[4:5], 0x48
	s_load_dwordx2 s[26:27], s[4:5], 0x30
	s_load_dwordx4 s[16:19], s[4:5], 0x60
	s_cmp_lg_u32 s7, 0
	s_cselect_b64 s[2:3], -1, 0
	s_cmp_eq_u32 s7, 0
	s_cselect_b64 vcc, -1, 0
	s_and_b64 s[0:1], vcc, exec
	s_waitcnt lgkmcnt(0)
	s_cselect_b32 s7, s15, s16
	s_add_i32 s0, s7, 1
	s_lshr_b32 s1, s0, 31
	s_add_i32 s0, s0, s1
	s_lshl_b32 s0, s0, 1
	v_lshlrev_b32_e32 v1, 3, v0
	s_and_b32 s22, s0, -4
	v_cmp_gt_i32_e64 s[0:1], s7, v1
	v_mov_b32_e32 v2, 0
	v_mov_b32_e32 v3, 0
	v_mov_b32_e32 v4, 0
	v_mov_b32_e32 v5, 0
	v_mov_b32_e32 v6, 0
	v_mov_b32_e32 v7, 0
	v_mov_b32_e32 v8, 0
	v_mov_b32_e32 v9, 0
	s_and_saveexec_b64 s[10:11], s[0:1]
	s_cbranch_execz .LBB16_3
; %bb.2:
	s_load_dwordx2 s[20:21], s[4:5], 0x28
	s_load_dwordx2 s[24:25], s[4:5], 0x40
	s_and_b64 s[28:29], vcc, exec
	s_cselect_b32 s14, s17, s18
	s_mov_b32 s23, 0x20000
	s_waitcnt lgkmcnt(0)
	s_cselect_b32 s17, s21, s27
	s_cselect_b32 s19, s20, s26
	s_mul_hi_i32 s21, s14, s6
	s_mul_i32 s20, s14, s6
	s_lshl_b64 s[20:21], s[20:21], 1
	s_add_u32 s28, s19, s20
	s_addc_u32 s14, s17, s21
	s_and_b64 s[20:21], vcc, exec
	s_cselect_b32 s20, s24, s8
	s_cselect_b32 s17, s25, s9
	v_lshlrev_b32_e32 v10, 4, v0
	s_and_b32 s29, s14, 0xffff
	s_mov_b32 s30, s22
	s_mov_b32 s31, s23
	s_and_b32 s21, s17, 0xffff
	buffer_load_dwordx4 v[6:9], v10, s[28:31], 0 offen glc slc
	buffer_load_dwordx4 v[2:5], v10, s[20:23], 0 offen
.LBB16_3:
	s_or_b64 exec, exec, s[10:11]
	s_waitcnt vmcnt(1)
	v_cvt_f32_u32_sdwa v13, v6 dst_sel:DWORD dst_unused:UNUSED_PAD src0_sel:WORD_1
	v_cvt_f32_u32_sdwa v12, v6 dst_sel:DWORD dst_unused:UNUSED_PAD src0_sel:WORD_0
	v_cvt_f32_u32_sdwa v6, v9 dst_sel:DWORD dst_unused:UNUSED_PAD src0_sel:WORD_1
	v_cvt_f32_u32_sdwa v9, v9 dst_sel:DWORD dst_unused:UNUSED_PAD src0_sel:WORD_0
	;; [unrolled: 2-line block ×4, first 2 shown]
	v_cndmask_b32_e64 v13, 0, v13, s[0:1]
	v_cndmask_b32_e64 v7, 0, v6, s[0:1]
	;; [unrolled: 1-line block ×5, first 2 shown]
	v_mul_f32_e32 v14, v13, v13
	v_cndmask_b32_e64 v10, 0, v10, s[0:1]
	v_fmac_f32_e32 v14, v12, v12
	v_cndmask_b32_e64 v11, 0, v11, s[0:1]
	v_fmac_f32_e32 v14, v10, v10
	;; [unrolled: 2-line block ×3, first 2 shown]
	v_fmac_f32_e32 v14, v8, v8
	v_fmac_f32_e32 v14, v9, v9
	;; [unrolled: 1-line block ×4, first 2 shown]
	v_bfrev_b32_e32 v16, 0.5
	s_load_dwordx2 s[24:25], s[4:5], 0x18
	v_mov_b32_dpp v15, v14 quad_perm:[1,0,3,2] row_mask:0xf bank_mask:0xf
	v_add_f32_e32 v14, v14, v15
	s_nop 1
	v_mov_b32_dpp v15, v14 quad_perm:[2,3,0,1] row_mask:0xf bank_mask:0xf
	v_add_f32_e32 v14, v14, v15
	s_nop 1
	v_mov_b32_dpp v15, v14 row_half_mirror row_mask:0xf bank_mask:0xf
	v_add_f32_e32 v14, v14, v15
	s_nop 1
	v_mov_b32_dpp v15, v14 row_mirror row_mask:0xf bank_mask:0xf
	v_add_f32_e32 v14, v14, v15
	s_nop 1
	v_mov_b32_dpp v15, v14 row_bcast:15 row_mask:0xf bank_mask:0xf
	v_add_f32_e32 v14, v14, v15
	s_nop 1
	v_mov_b32_dpp v15, v14 row_bcast:31 row_mask:0xf bank_mask:0xf
	v_add_f32_e32 v15, v14, v15
	v_mbcnt_lo_u32_b32 v14, -1, 0
	v_mbcnt_hi_u32_b32 v14, -1, v14
	v_lshl_or_b32 v14, v14, 2, v16
	ds_bpermute_b32 v15, v14, v15
	s_and_saveexec_b64 s[10:11], s[0:1]
	s_cbranch_execz .LBB16_5
; %bb.4:
	v_cvt_f32_u32_e32 v16, s7
	v_mov_b32_e32 v17, s13
	v_mov_b32_e32 v18, s12
	v_cndmask_b32_e32 v17, v17, v18, vcc
	s_waitcnt lgkmcnt(0)
	v_div_scale_f32 v19, s[20:21], v16, v16, v15
	v_rcp_f32_e32 v20, v19
	v_div_scale_f32 v18, vcc, v15, v16, v15
	s_mov_b32 s7, 0x800000
	v_fma_f32 v21, -v19, v20, 1.0
	v_fmac_f32_e32 v20, v21, v20
	v_mul_f32_e32 v21, v18, v20
	v_fma_f32 v22, -v19, v21, v18
	v_fmac_f32_e32 v21, v22, v20
	v_fma_f32 v18, -v19, v21, v18
	v_div_fmas_f32 v18, v18, v20, v21
	v_div_fixup_f32 v15, v18, v16, v15
	v_add_f32_e32 v15, v17, v15
	v_mul_f32_e32 v16, 0x4b800000, v15
	v_cmp_gt_f32_e32 vcc, s7, v15
	v_cndmask_b32_e32 v15, v15, v16, vcc
	v_rsq_f32_e32 v15, v15
	s_waitcnt vmcnt(0)
	v_cvt_f32_u32_sdwa v19, v3 dst_sel:DWORD dst_unused:UNUSED_PAD src0_sel:WORD_1
	v_cvt_f32_u32_sdwa v18, v3 dst_sel:DWORD dst_unused:UNUSED_PAD src0_sel:WORD_0
	v_cvt_f32_u32_sdwa v3, v4 dst_sel:DWORD dst_unused:UNUSED_PAD src0_sel:WORD_1
	v_mul_f32_e32 v16, 0x45800000, v15
	v_cndmask_b32_e32 v16, v15, v16, vcc
	v_mov_b32_e32 v17, v16
	;;#ASMSTART
	v_pk_mul_f32 v[12:13], v[12:13], v[16:17]
	;;#ASMEND
	;;#ASMSTART
	v_pk_mul_f32 v[10:11], v[10:11], v[16:17]
	;;#ASMEND
	;; [unrolled: 3-line block ×4, first 2 shown]
	v_cvt_f32_u32_sdwa v17, v2 dst_sel:DWORD dst_unused:UNUSED_PAD src0_sel:WORD_1
	v_cvt_f32_u32_sdwa v16, v2 dst_sel:DWORD dst_unused:UNUSED_PAD src0_sel:WORD_0
	v_cvt_f32_u32_sdwa v2, v4 dst_sel:DWORD dst_unused:UNUSED_PAD src0_sel:WORD_0
	v_cvt_f32_u32_sdwa v21, v5 dst_sel:DWORD dst_unused:UNUSED_PAD src0_sel:WORD_1
	v_cvt_f32_u32_sdwa v20, v5 dst_sel:DWORD dst_unused:UNUSED_PAD src0_sel:WORD_0
	;;#ASMSTART
	v_pk_mul_f32 v[12:13], v[12:13], v[16:17]
	;;#ASMEND
	;;#ASMSTART
	v_pk_mul_f32 v[10:11], v[10:11], v[18:19]
	;;#ASMEND
	;; [unrolled: 3-line block ×4, first 2 shown]
.LBB16_5:
	s_or_b64 exec, exec, s[10:11]
	s_load_dword s7, s[4:5], 0x80
	s_mov_b64 s[10:11], -1
	s_and_b64 vcc, exec, s[2:3]
	s_cbranch_vccnz .LBB16_9
; %bb.6:
	s_andn2_b64 vcc, exec, s[10:11]
	s_cbranch_vccz .LBB16_12
.LBB16_7:
	s_cmp_lt_i32 s16, 1
	s_cbranch_scc0 .LBB16_19
.LBB16_8:
	s_endpgm
.LBB16_9:
	s_and_saveexec_b64 s[2:3], s[0:1]
	s_cbranch_execz .LBB16_11
; %bb.10:
	s_waitcnt lgkmcnt(0)
	s_mul_hi_i32 s11, s7, s6
	s_mul_i32 s10, s7, s6
	s_lshl_b64 s[10:11], s[10:11], 1
	s_add_u32 s20, s24, s10
	s_addc_u32 s10, s25, s11
	s_and_b32 s21, s10, 0xffff
	s_mov_b32 s10, 0x7060302
	s_mov_b32 s23, 0x20000
	s_waitcnt vmcnt(0)
	v_perm_b32 v2, v13, v12, s10
	v_perm_b32 v3, v11, v10, s10
	;; [unrolled: 1-line block ×4, first 2 shown]
	v_lshlrev_b32_e32 v15, 4, v0
	buffer_store_dwordx4 v[2:5], v15, s[20:23], 0 offen
	;;#ASMSTART
	s_nop 0
	;;#ASMEND
.LBB16_11:
	s_or_b64 exec, exec, s[2:3]
	s_cbranch_execnz .LBB16_7
.LBB16_12:
	s_waitcnt vmcnt(0)
	v_mov_b32_e32 v2, 0
	s_and_saveexec_b64 s[2:3], s[0:1]
	s_cbranch_execz .LBB16_14
; %bb.13:
	v_and_b32_e32 v2, 0x7fffffff, v12
	v_and_b32_e32 v3, 0x7fffffff, v13
	v_mov_b32_e32 v4, 0x2edbe6ff
	;;#ASMSTART
	v_max3_f32 v2, v4, v2, v3

	;;#ASMEND
	v_and_b32_e32 v3, 0x7fffffff, v10
	v_and_b32_e32 v4, 0x7fffffff, v11
	;;#ASMSTART
	v_max3_f32 v2, v2, v3, v4

	;;#ASMEND
	v_and_b32_e32 v3, 0x7fffffff, v8
	v_and_b32_e32 v4, 0x7fffffff, v9
	;;#ASMSTART
	v_max3_f32 v2, v2, v3, v4

	;;#ASMEND
	v_and_b32_e32 v3, 0x7fffffff, v6
	v_and_b32_e32 v4, 0x7fffffff, v7
	;;#ASMSTART
	v_max3_f32 v2, v2, v3, v4

	;;#ASMEND
.LBB16_14:
	s_or_b64 exec, exec, s[2:3]
	s_nop 0
	v_mov_b32_dpp v3, v2 quad_perm:[1,0,3,2] row_mask:0xf bank_mask:0xf
	v_cmp_gt_f32_e32 vcc, v2, v3
	v_cndmask_b32_e32 v2, v3, v2, vcc
	s_load_dwordx2 s[2:3], s[4:5], 0x70
	s_nop 0
	v_mov_b32_dpp v3, v2 quad_perm:[2,3,0,1] row_mask:0xf bank_mask:0xf
	v_cmp_gt_f32_e32 vcc, v2, v3
	v_cndmask_b32_e32 v2, v3, v2, vcc
	s_nop 1
	v_mov_b32_dpp v3, v2 row_half_mirror row_mask:0xf bank_mask:0xf
	v_cmp_gt_f32_e32 vcc, v2, v3
	v_cndmask_b32_e32 v2, v3, v2, vcc
	s_nop 1
	v_mov_b32_dpp v3, v2 row_mirror row_mask:0xf bank_mask:0xf
	v_cmp_gt_f32_e32 vcc, v2, v3
	v_cndmask_b32_e32 v2, v3, v2, vcc
	s_nop 1
	v_mov_b32_dpp v3, v2 row_bcast:15 row_mask:0xf bank_mask:0xf
	v_cmp_gt_f32_e32 vcc, v2, v3
	v_cndmask_b32_e32 v2, v3, v2, vcc
	s_nop 1
	v_mov_b32_dpp v3, v2 row_bcast:31 row_mask:0xf bank_mask:0xf
	v_cmp_gt_f32_e32 vcc, v2, v3
	v_cndmask_b32_e32 v2, v3, v2, vcc
	ds_bpermute_b32 v2, v14, v2
	v_cmp_eq_u32_e32 vcc, 0, v0
	s_waitcnt lgkmcnt(0)
	v_mul_f32_e32 v2, 0x3b124925, v2
	s_and_saveexec_b64 s[10:11], vcc
	s_cbranch_execz .LBB16_16
; %bb.15:
	s_load_dwordx2 s[20:21], s[4:5], 0x8
	s_mul_hi_i32 s23, s3, s6
	s_mul_i32 s22, s3, s6
	s_lshl_b64 s[22:23], s[22:23], 2
	v_mov_b32_e32 v3, 0
	s_waitcnt lgkmcnt(0)
	s_add_u32 s20, s20, s22
	s_addc_u32 s21, s21, s23
	global_store_dword v3, v2, s[20:21]
.LBB16_16:
	s_or_b64 exec, exec, s[10:11]
	;;#ASMSTART
	v_rcp_f32 v2, v2
	;;#ASMEND
	s_and_saveexec_b64 s[10:11], s[0:1]
	s_cbranch_execz .LBB16_18
; %bb.17:
	v_mov_b32_e32 v3, v2
	;;#ASMSTART
	v_pk_mul_f32 v[4:5], v[12:13], v[2:3]
	;;#ASMEND
	s_load_dwordx2 s[0:1], s[4:5], 0x0
	v_mov_b32_e32 v12, 0xc3e00000
	v_mov_b32_e32 v13, 0x43e00000
	;;#ASMSTART
	v_med3_f32 v4, v4, v12, v13
v_med3_f32 v5, v5, v12, v13
v_cvt_pk_fp8_f32 v15, v4, v5
	;;#ASMEND
	;;#ASMSTART
	v_pk_mul_f32 v[4:5], v[10:11], v[2:3]
	;;#ASMEND
	;;#ASMSTART
	v_med3_f32 v4, v4, v12, v13
v_med3_f32 v5, v5, v12, v13
v_cvt_pk_fp8_f32 v10, v4, v5
	;;#ASMEND
	s_mov_b32 s14, 0x5040100
	v_perm_b32 v5, v10, v15, s14
	s_movk_i32 s14, 0xff
	s_mul_hi_i32 s3, s2, s6
	s_mul_i32 s2, s2, s6
	v_and_b32_e32 v4, 0xffffff00, v10
	v_and_b32_sdwa v10, v5, s14 dst_sel:DWORD dst_unused:UNUSED_PAD src0_sel:WORD_1 src1_sel:DWORD
	s_mov_b32 s12, 0xffff
	s_waitcnt lgkmcnt(0)
	s_add_u32 s0, s0, s2
	v_or_b32_sdwa v4, v10, v4 dst_sel:WORD_1 dst_unused:UNUSED_PAD src0_sel:DWORD src1_sel:DWORD
	s_addc_u32 s1, s1, s3
	s_add_i32 s2, s15, 3
	v_and_or_b32 v4, v5, s12, v4
	;;#ASMSTART
	v_pk_mul_f32 v[8:9], v[8:9], v[2:3]
	;;#ASMEND
	v_mov_b32_e32 v5, v9
	s_ashr_i32 s3, s2, 31
	;;#ASMSTART
	v_med3_f32 v8, v8, v12, v13
v_med3_f32 v5, v5, v12, v13
v_cvt_pk_fp8_f32 v9, v8, v5
	;;#ASMEND
	;;#ASMSTART
	v_pk_mul_f32 v[2:3], v[6:7], v[2:3]
	;;#ASMEND
	s_lshr_b32 s3, s3, 30
	;;#ASMSTART
	v_med3_f32 v2, v2, v12, v13
v_med3_f32 v3, v3, v12, v13
v_cvt_pk_fp8_f32 v5, v2, v3
	;;#ASMEND
	s_add_i32 s2, s2, s3
	v_lshlrev_b32_e32 v2, 16, v5
	s_and_b32 s2, s2, -4
	s_and_b32 s1, s1, 0xffff
	s_mov_b32 s3, 0x20000
	v_and_or_b32 v5, v9, s12, v2
	buffer_store_dwordx2 v[4:5], v1, s[0:3], 0 offen
	;;#ASMSTART
	s_nop 0
	;;#ASMEND
.LBB16_18:
	s_or_b64 exec, exec, s[10:11]
	s_cmp_lt_i32 s16, 1
	s_cbranch_scc1 .LBB16_8
.LBB16_19:
	s_load_dword s0, s[4:5], 0x94
	s_waitcnt lgkmcnt(0)
	s_cmp_lg_u32 s0, 1
	s_cbranch_scc1 .LBB16_8
; %bb.20:
	s_lshl_b32 s0, s16, 1
	s_add_i32 s0, s0, 2
	v_cmp_gt_u32_e32 vcc, s16, v1
	s_and_b32 s10, s0, -4
	s_waitcnt vmcnt(0)
	v_mov_b32_e32 v4, 0
	v_lshlrev_b32_e32 v12, 4, v0
	v_mov_b32_e32 v5, 0
	v_mov_b32_e32 v6, 0
	;; [unrolled: 1-line block ×7, first 2 shown]
	s_barrier
	s_and_saveexec_b64 s[0:1], vcc
	s_cbranch_execz .LBB16_22
; %bb.21:
	s_mul_hi_i32 s3, s18, s6
	s_mul_i32 s2, s18, s6
	s_and_b32 s9, s9, 0xffff
	s_lshl_b64 s[2:3], s[2:3], 1
	s_add_u32 s20, s26, s2
	s_mov_b32 s11, 0x20000
	s_addc_u32 s2, s27, s3
	s_and_b32 s21, s2, 0xffff
	s_mov_b32 s22, s10
	s_mov_b32 s23, s11
	buffer_load_dwordx4 v[4:7], v12, s[20:23], 0 offen glc slc
	buffer_load_dwordx4 v[0:3], v12, s[8:11], 0 offen
.LBB16_22:
	s_or_b64 exec, exec, s[0:1]
	s_waitcnt vmcnt(1)
	v_cvt_f32_u32_sdwa v11, v4 dst_sel:DWORD dst_unused:UNUSED_PAD src0_sel:WORD_1
	v_cvt_f32_u32_sdwa v10, v4 dst_sel:DWORD dst_unused:UNUSED_PAD src0_sel:WORD_0
	v_cvt_f32_u32_sdwa v4, v7 dst_sel:DWORD dst_unused:UNUSED_PAD src0_sel:WORD_1
	v_cvt_f32_u32_sdwa v7, v7 dst_sel:DWORD dst_unused:UNUSED_PAD src0_sel:WORD_0
	v_cvt_f32_u32_sdwa v13, v6 dst_sel:DWORD dst_unused:UNUSED_PAD src0_sel:WORD_1
	v_cvt_f32_u32_sdwa v8, v5 dst_sel:DWORD dst_unused:UNUSED_PAD src0_sel:WORD_0
	v_cvt_f32_u32_sdwa v9, v5 dst_sel:DWORD dst_unused:UNUSED_PAD src0_sel:WORD_1
	v_cvt_f32_u32_sdwa v6, v6 dst_sel:DWORD dst_unused:UNUSED_PAD src0_sel:WORD_0
	v_cndmask_b32_e32 v11, 0, v11, vcc
	v_cndmask_b32_e32 v5, 0, v4, vcc
	;; [unrolled: 1-line block ×5, first 2 shown]
	v_mul_f32_e32 v13, v11, v11
	v_cndmask_b32_e32 v8, 0, v8, vcc
	v_fmac_f32_e32 v13, v10, v10
	v_cndmask_b32_e32 v9, 0, v9, vcc
	v_fmac_f32_e32 v13, v8, v8
	;; [unrolled: 2-line block ×3, first 2 shown]
	v_fmac_f32_e32 v13, v6, v6
	v_fmac_f32_e32 v13, v7, v7
	;; [unrolled: 1-line block ×4, first 2 shown]
	s_nop 1
	v_mov_b32_dpp v15, v13 quad_perm:[1,0,3,2] row_mask:0xf bank_mask:0xf
	v_add_f32_e32 v13, v13, v15
	s_nop 1
	v_mov_b32_dpp v15, v13 quad_perm:[2,3,0,1] row_mask:0xf bank_mask:0xf
	v_add_f32_e32 v13, v13, v15
	s_nop 1
	v_mov_b32_dpp v15, v13 row_half_mirror row_mask:0xf bank_mask:0xf
	v_add_f32_e32 v13, v13, v15
	s_nop 1
	v_mov_b32_dpp v15, v13 row_mirror row_mask:0xf bank_mask:0xf
	v_add_f32_e32 v13, v13, v15
	s_nop 1
	v_mov_b32_dpp v15, v13 row_bcast:15 row_mask:0xf bank_mask:0xf
	v_add_f32_e32 v13, v13, v15
	s_nop 1
	v_mov_b32_dpp v15, v13 row_bcast:31 row_mask:0xf bank_mask:0xf
	v_add_f32_e32 v13, v13, v15
	ds_bpermute_b32 v13, v14, v13
	s_and_saveexec_b64 s[0:1], vcc
	s_cbranch_execz .LBB16_8
; %bb.23:
	v_cvt_f32_u32_e32 v14, s16
	s_mov_b32 s11, 0x20000
	s_waitcnt lgkmcnt(0)
	v_div_scale_f32 v15, s[0:1], v14, v14, v13
	v_rcp_f32_e32 v16, v15
	v_div_scale_f32 v17, vcc, v13, v14, v13
	s_mov_b32 s0, 0x800000
	v_fma_f32 v18, -v15, v16, 1.0
	v_fmac_f32_e32 v16, v18, v16
	v_mul_f32_e32 v18, v17, v16
	v_fma_f32 v19, -v15, v18, v17
	v_fmac_f32_e32 v18, v19, v16
	v_fma_f32 v15, -v15, v18, v17
	v_div_fmas_f32 v15, v15, v16, v18
	v_div_fixup_f32 v13, v15, v14, v13
	v_add_f32_e32 v13, s13, v13
	v_mul_f32_e32 v14, 0x4b800000, v13
	v_cmp_gt_f32_e32 vcc, s0, v13
	v_cndmask_b32_e32 v13, v13, v14, vcc
	v_rsq_f32_e32 v13, v13
	s_mul_hi_i32 s1, s7, s6
	s_mul_i32 s0, s7, s6
	s_lshl_b64 s[0:1], s[0:1], 1
	v_mul_f32_e32 v14, 0x45800000, v13
	v_cndmask_b32_e32 v14, v13, v14, vcc
	s_add_u32 s8, s24, s0
	v_mov_b32_e32 v15, v14
	s_addc_u32 s0, s25, s1
	;;#ASMSTART
	v_pk_mul_f32 v[10:11], v[10:11], v[14:15]
	;;#ASMEND
	;;#ASMSTART
	v_pk_mul_f32 v[8:9], v[8:9], v[14:15]
	;;#ASMEND
	;; [unrolled: 3-line block ×4, first 2 shown]
	s_waitcnt vmcnt(0)
	v_cvt_f32_u32_sdwa v15, v0 dst_sel:DWORD dst_unused:UNUSED_PAD src0_sel:WORD_1
	v_cvt_f32_u32_sdwa v14, v0 dst_sel:DWORD dst_unused:UNUSED_PAD src0_sel:WORD_0
	v_cvt_f32_u32_sdwa v17, v1 dst_sel:DWORD dst_unused:UNUSED_PAD src0_sel:WORD_1
	v_cvt_f32_u32_sdwa v16, v1 dst_sel:DWORD dst_unused:UNUSED_PAD src0_sel:WORD_0
	;; [unrolled: 2-line block ×4, first 2 shown]
	;;#ASMSTART
	v_pk_mul_f32 v[2:3], v[10:11], v[14:15]
	;;#ASMEND
	s_and_b32 s9, s0, 0xffff
	s_mov_b32 s0, 0x7060302
	;;#ASMSTART
	v_pk_mul_f32 v[8:9], v[8:9], v[16:17]
	;;#ASMEND
	;;#ASMSTART
	v_pk_mul_f32 v[6:7], v[6:7], v[0:1]
	;;#ASMEND
	;; [unrolled: 3-line block ×3, first 2 shown]
	v_perm_b32 v0, v3, v2, s0
	v_perm_b32 v1, v9, v8, s0
	;; [unrolled: 1-line block ×4, first 2 shown]
	buffer_store_dwordx4 v[0:3], v12, s[8:11], 0 offen
	;;#ASMSTART
	s_nop 0
	;;#ASMEND
	s_endpgm
	.section	.rodata,"a",@progbits
	.p2align	6, 0x0
	.amdhsa_kernel _ZN5aiter35fused_qk_rmsnorm_group_quant_kernelItDB8_Li64ELi8ELi1ELb0ELb0ELb0ELb0ELb1ELb1EEEvPT0_PvPT_S6_S6_PKS5_S8_S8_S8_S8_ffiiiiiiiiiiiii
		.amdhsa_group_segment_fixed_size 0
		.amdhsa_private_segment_fixed_size 0
		.amdhsa_kernarg_size 400
		.amdhsa_user_sgpr_count 6
		.amdhsa_user_sgpr_private_segment_buffer 1
		.amdhsa_user_sgpr_dispatch_ptr 0
		.amdhsa_user_sgpr_queue_ptr 0
		.amdhsa_user_sgpr_kernarg_segment_ptr 1
		.amdhsa_user_sgpr_dispatch_id 0
		.amdhsa_user_sgpr_flat_scratch_init 0
		.amdhsa_user_sgpr_kernarg_preload_length 0
		.amdhsa_user_sgpr_kernarg_preload_offset 0
		.amdhsa_user_sgpr_private_segment_size 0
		.amdhsa_uses_dynamic_stack 0
		.amdhsa_system_sgpr_private_segment_wavefront_offset 0
		.amdhsa_system_sgpr_workgroup_id_x 1
		.amdhsa_system_sgpr_workgroup_id_y 1
		.amdhsa_system_sgpr_workgroup_id_z 0
		.amdhsa_system_sgpr_workgroup_info 0
		.amdhsa_system_vgpr_workitem_id 0
		.amdhsa_next_free_vgpr 23
		.amdhsa_next_free_sgpr 32
		.amdhsa_accum_offset 24
		.amdhsa_reserve_vcc 1
		.amdhsa_reserve_flat_scratch 0
		.amdhsa_float_round_mode_32 0
		.amdhsa_float_round_mode_16_64 0
		.amdhsa_float_denorm_mode_32 3
		.amdhsa_float_denorm_mode_16_64 3
		.amdhsa_dx10_clamp 1
		.amdhsa_ieee_mode 1
		.amdhsa_fp16_overflow 0
		.amdhsa_tg_split 0
		.amdhsa_exception_fp_ieee_invalid_op 0
		.amdhsa_exception_fp_denorm_src 0
		.amdhsa_exception_fp_ieee_div_zero 0
		.amdhsa_exception_fp_ieee_overflow 0
		.amdhsa_exception_fp_ieee_underflow 0
		.amdhsa_exception_fp_ieee_inexact 0
		.amdhsa_exception_int_div_zero 0
	.end_amdhsa_kernel
	.section	.text._ZN5aiter35fused_qk_rmsnorm_group_quant_kernelItDB8_Li64ELi8ELi1ELb0ELb0ELb0ELb0ELb1ELb1EEEvPT0_PvPT_S6_S6_PKS5_S8_S8_S8_S8_ffiiiiiiiiiiiii,"axG",@progbits,_ZN5aiter35fused_qk_rmsnorm_group_quant_kernelItDB8_Li64ELi8ELi1ELb0ELb0ELb0ELb0ELb1ELb1EEEvPT0_PvPT_S6_S6_PKS5_S8_S8_S8_S8_ffiiiiiiiiiiiii,comdat
.Lfunc_end16:
	.size	_ZN5aiter35fused_qk_rmsnorm_group_quant_kernelItDB8_Li64ELi8ELi1ELb0ELb0ELb0ELb0ELb1ELb1EEEvPT0_PvPT_S6_S6_PKS5_S8_S8_S8_S8_ffiiiiiiiiiiiii, .Lfunc_end16-_ZN5aiter35fused_qk_rmsnorm_group_quant_kernelItDB8_Li64ELi8ELi1ELb0ELb0ELb0ELb0ELb1ELb1EEEvPT0_PvPT_S6_S6_PKS5_S8_S8_S8_S8_ffiiiiiiiiiiiii
                                        ; -- End function
	.section	.AMDGPU.csdata,"",@progbits
; Kernel info:
; codeLenInByte = 2436
; NumSgprs: 36
; NumVgprs: 23
; NumAgprs: 0
; TotalNumVgprs: 23
; ScratchSize: 0
; MemoryBound: 0
; FloatMode: 240
; IeeeMode: 1
; LDSByteSize: 0 bytes/workgroup (compile time only)
; SGPRBlocks: 4
; VGPRBlocks: 2
; NumSGPRsForWavesPerEU: 36
; NumVGPRsForWavesPerEU: 23
; AccumOffset: 24
; Occupancy: 8
; WaveLimiterHint : 0
; COMPUTE_PGM_RSRC2:SCRATCH_EN: 0
; COMPUTE_PGM_RSRC2:USER_SGPR: 6
; COMPUTE_PGM_RSRC2:TRAP_HANDLER: 0
; COMPUTE_PGM_RSRC2:TGID_X_EN: 1
; COMPUTE_PGM_RSRC2:TGID_Y_EN: 1
; COMPUTE_PGM_RSRC2:TGID_Z_EN: 0
; COMPUTE_PGM_RSRC2:TIDIG_COMP_CNT: 0
; COMPUTE_PGM_RSRC3_GFX90A:ACCUM_OFFSET: 5
; COMPUTE_PGM_RSRC3_GFX90A:TG_SPLIT: 0
	.section	.text._ZN5aiter35fused_qk_rmsnorm_group_quant_kernelIDF16_DB8_Li128ELi8ELi1ELb1ELb1ELb1ELb0ELb1ELb1EEEvPT0_PvPT_S6_S6_PKS5_S8_S8_S8_S8_ffiiiiiiiiiiiii,"axG",@progbits,_ZN5aiter35fused_qk_rmsnorm_group_quant_kernelIDF16_DB8_Li128ELi8ELi1ELb1ELb1ELb1ELb0ELb1ELb1EEEvPT0_PvPT_S6_S6_PKS5_S8_S8_S8_S8_ffiiiiiiiiiiiii,comdat
	.protected	_ZN5aiter35fused_qk_rmsnorm_group_quant_kernelIDF16_DB8_Li128ELi8ELi1ELb1ELb1ELb1ELb0ELb1ELb1EEEvPT0_PvPT_S6_S6_PKS5_S8_S8_S8_S8_ffiiiiiiiiiiiii ; -- Begin function _ZN5aiter35fused_qk_rmsnorm_group_quant_kernelIDF16_DB8_Li128ELi8ELi1ELb1ELb1ELb1ELb0ELb1ELb1EEEvPT0_PvPT_S6_S6_PKS5_S8_S8_S8_S8_ffiiiiiiiiiiiii
	.globl	_ZN5aiter35fused_qk_rmsnorm_group_quant_kernelIDF16_DB8_Li128ELi8ELi1ELb1ELb1ELb1ELb0ELb1ELb1EEEvPT0_PvPT_S6_S6_PKS5_S8_S8_S8_S8_ffiiiiiiiiiiiii
	.p2align	8
	.type	_ZN5aiter35fused_qk_rmsnorm_group_quant_kernelIDF16_DB8_Li128ELi8ELi1ELb1ELb1ELb1ELb0ELb1ELb1EEEvPT0_PvPT_S6_S6_PKS5_S8_S8_S8_S8_ffiiiiiiiiiiiii,@function
_ZN5aiter35fused_qk_rmsnorm_group_quant_kernelIDF16_DB8_Li128ELi8ELi1ELb1ELb1ELb1ELb0ELb1ELb1EEEvPT0_PvPT_S6_S6_PKS5_S8_S8_S8_S8_ffiiiiiiiiiiiii: ; @_ZN5aiter35fused_qk_rmsnorm_group_quant_kernelIDF16_DB8_Li128ELi8ELi1ELb1ELb1ELb1ELb0ELb1ELb1EEEvPT0_PvPT_S6_S6_PKS5_S8_S8_S8_S8_ffiiiiiiiiiiiii
; %bb.0:
	s_load_dwordx8 s[12:19], s[4:5], 0x50
	s_waitcnt lgkmcnt(0)
	s_cmp_ge_i32 s6, s14
	s_cbranch_scc1 .LBB17_17
; %bb.1:
	s_cmp_lg_u32 s7, 0
	s_cselect_b64 s[22:23], -1, 0
	s_cmp_eq_u32 s7, 0
	s_cselect_b64 s[8:9], -1, 0
	s_and_b64 s[0:1], s[8:9], exec
	s_load_dwordx2 s[10:11], s[4:5], 0x70
	s_load_dwordx2 s[20:21], s[4:5], 0x48
	s_load_dwordx2 s[34:35], s[4:5], 0x30
	s_cselect_b32 s7, s15, s16
	s_add_i32 s0, s7, 1
	s_lshr_b32 s1, s0, 31
	s_add_i32 s0, s0, s1
	s_lshl_b32 s0, s0, 1
	v_lshlrev_b32_e32 v1, 3, v0
	s_and_b32 s30, s0, -4
	v_cmp_gt_i32_e64 s[0:1], s7, v1
	v_mov_b32_e32 v20, 0
	v_mov_b32_e32 v21, 0
	;; [unrolled: 1-line block ×8, first 2 shown]
	s_and_saveexec_b64 s[2:3], s[0:1]
	s_cbranch_execz .LBB17_3
; %bb.2:
	s_load_dwordx2 s[24:25], s[4:5], 0x28
	s_load_dwordx2 s[26:27], s[4:5], 0x40
	s_and_b64 s[28:29], s[8:9], exec
	s_cselect_b32 s14, s17, s18
	s_mov_b32 s31, 0x20000
	s_waitcnt lgkmcnt(0)
	s_cselect_b32 s17, s25, s35
	s_cselect_b32 s28, s24, s34
	s_mul_hi_i32 s25, s14, s6
	s_mul_i32 s24, s14, s6
	s_lshl_b64 s[24:25], s[24:25], 1
	s_add_u32 s24, s28, s24
	s_addc_u32 s14, s17, s25
	s_and_b64 s[28:29], s[8:9], exec
	s_cselect_b32 s28, s26, s20
	s_cselect_b32 s17, s27, s21
	v_lshlrev_b32_e32 v2, 4, v0
	s_and_b32 s25, s14, 0xffff
	s_mov_b32 s26, s30
	s_mov_b32 s27, s31
	s_and_b32 s29, s17, 0xffff
	buffer_load_dwordx4 v[24:27], v2, s[24:27], 0 offen glc slc
	buffer_load_dwordx4 v[20:23], v2, s[28:31], 0 offen
.LBB17_3:
	s_or_b64 exec, exec, s[2:3]
	s_load_dwordx4 s[24:27], s[4:5], 0x7c
	s_and_b64 vcc, exec, s[22:23]
	s_cbranch_vccz .LBB17_7
; %bb.4:
	v_mov_b32_e32 v29, 0
	v_mov_b32_e32 v28, 0
	;; [unrolled: 1-line block ×8, first 2 shown]
	s_and_saveexec_b64 s[2:3], s[0:1]
	s_cbranch_execz .LBB17_6
; %bb.5:
	s_waitcnt vmcnt(1)
	v_cvt_f32_f16_sdwa v11, v24 dst_sel:DWORD dst_unused:UNUSED_PAD src0_sel:WORD_1
	v_cvt_f32_f16_e32 v10, v24
	v_cvt_f32_f16_sdwa v15, v25 dst_sel:DWORD dst_unused:UNUSED_PAD src0_sel:WORD_1
	v_cvt_f32_f16_e32 v14, v25
	;; [unrolled: 2-line block ×4, first 2 shown]
.LBB17_6:
	s_or_b64 exec, exec, s[2:3]
	s_cbranch_execz .LBB17_8
	s_branch .LBB17_11
.LBB17_7:
                                        ; implicit-def: $vgpr10_vgpr11_vgpr12_vgpr13_vgpr14_vgpr15_vgpr16_vgpr17
                                        ; implicit-def: $vgpr29
                                        ; implicit-def: $vgpr12_vgpr13_vgpr14_vgpr15_vgpr16_vgpr17_vgpr18_vgpr19
                                        ; implicit-def: $vgpr2_vgpr3_vgpr4_vgpr5_vgpr6_vgpr7_vgpr8_vgpr9
.LBB17_8:
	v_mov_b32_e32 v29, 0
	v_mov_b32_e32 v28, 0
	;; [unrolled: 1-line block ×8, first 2 shown]
	s_and_saveexec_b64 s[2:3], s[0:1]
	s_cbranch_execz .LBB17_10
; %bb.9:
	s_load_dwordx2 s[28:29], s[4:5], 0x38
	s_mul_hi_i32 s37, s19, s6
	s_mul_i32 s36, s19, s6
	s_lshl_b64 s[36:37], s[36:37], 1
	s_mov_b32 s31, 0x20000
	s_waitcnt lgkmcnt(0)
	s_add_u32 s28, s28, s36
	s_addc_u32 s14, s29, s37
	s_and_b32 s29, s14, 0xffff
	v_lshlrev_b32_e32 v30, 4, v0
	buffer_load_dwordx4 v[2:5], v30, s[28:31], 0 offen glc slc
	s_waitcnt vmcnt(2)
	v_cvt_f32_f16_sdwa v7, v24 dst_sel:DWORD dst_unused:UNUSED_PAD src0_sel:WORD_1
	v_cvt_f32_f16_e32 v6, v24
	v_cvt_f32_f16_sdwa v9, v25 dst_sel:DWORD dst_unused:UNUSED_PAD src0_sel:WORD_1
	v_cvt_f32_f16_e32 v8, v25
	v_cvt_f32_f16_sdwa v13, v26 dst_sel:DWORD dst_unused:UNUSED_PAD src0_sel:WORD_1
	v_cvt_f32_f16_e32 v12, v26
	v_cvt_f32_f16_sdwa v17, v27 dst_sel:DWORD dst_unused:UNUSED_PAD src0_sel:WORD_1
	v_cvt_f32_f16_e32 v16, v27
	s_load_dwordx2 s[28:29], s[4:5], 0x20
	s_mul_hi_i32 s27, s26, s6
	s_mul_i32 s26, s26, s6
	s_lshl_b64 s[26:27], s[26:27], 1
	s_waitcnt lgkmcnt(0)
	s_add_u32 s28, s28, s26
	s_addc_u32 s14, s29, s27
	s_and_b32 s29, s14, 0xffff
	s_waitcnt vmcnt(0)
	v_cvt_f32_f16_e32 v10, v2
	v_cvt_f32_f16_sdwa v11, v2 dst_sel:DWORD dst_unused:UNUSED_PAD src0_sel:WORD_1
	v_cvt_f32_f16_e32 v2, v3
	v_cvt_f32_f16_sdwa v3, v3 dst_sel:DWORD dst_unused:UNUSED_PAD src0_sel:WORD_1
	;; [unrolled: 2-line block ×4, first 2 shown]
	v_pk_add_f32 v[10:11], v[6:7], v[10:11]
	v_pk_add_f32 v[14:15], v[8:9], v[2:3]
	;; [unrolled: 1-line block ×4, first 2 shown]
	v_cvt_f16_f32_e32 v2, v11
	v_cvt_f16_f32_e32 v3, v15
	;; [unrolled: 1-line block ×8, first 2 shown]
	v_pack_b32_f16 v5, v8, v5
	v_pack_b32_f16 v4, v9, v4
	v_pack_b32_f16 v3, v12, v3
	v_pack_b32_f16 v2, v13, v2
	buffer_store_dwordx4 v[2:5], v30, s[28:31], 0 offen glc slc
	;;#ASMSTART
	s_nop 0
	;;#ASMEND
.LBB17_10:
	s_or_b64 exec, exec, s[2:3]
.LBB17_11:
	v_mul_f32_e32 v2, v11, v11
	v_fmac_f32_e32 v2, v10, v10
	v_fmac_f32_e32 v2, v14, v14
	;; [unrolled: 1-line block ×7, first 2 shown]
	v_and_b32_e32 v4, 63, v0
	v_cmp_eq_u32_e64 s[2:3], 63, v4
	v_mov_b32_dpp v3, v2 quad_perm:[1,0,3,2] row_mask:0xf bank_mask:0xf
	v_add_f32_e32 v2, v2, v3
	s_nop 1
	v_mov_b32_dpp v3, v2 quad_perm:[2,3,0,1] row_mask:0xf bank_mask:0xf
	v_add_f32_e32 v2, v2, v3
	s_nop 1
	v_mov_b32_dpp v3, v2 row_half_mirror row_mask:0xf bank_mask:0xf
	v_add_f32_e32 v2, v2, v3
	s_nop 1
	v_mov_b32_dpp v3, v2 row_mirror row_mask:0xf bank_mask:0xf
	v_add_f32_e32 v2, v2, v3
	s_nop 1
	v_mov_b32_dpp v3, v2 row_bcast:15 row_mask:0xf bank_mask:0xf
	v_add_f32_e32 v2, v2, v3
	s_nop 1
	v_mov_b32_dpp v3, v2 row_bcast:31 row_mask:0xf bank_mask:0xf
	s_waitcnt lgkmcnt(0)
	s_and_saveexec_b64 s[26:27], s[2:3]
	s_cbranch_execz .LBB17_13
; %bb.12:
	v_add_f32_e32 v2, v2, v3
	v_lshrrev_b32_e32 v3, 4, v0
	v_and_b32_e32 v3, 60, v3
	ds_write_b32 v3, v2 offset:16
.LBB17_13:
	s_or_b64 exec, exec, s[26:27]
	v_and_b32_e32 v2, 1, v0
	v_lshlrev_b32_e32 v18, 2, v2
	s_waitcnt lgkmcnt(0)
	s_barrier
	ds_read_b32 v2, v18 offset:16
	s_load_dwordx2 s[26:27], s[4:5], 0x18
	s_waitcnt lgkmcnt(0)
	v_mov_b32_dpp v3, v2 quad_perm:[1,0,3,2] row_mask:0xf bank_mask:0xf
	s_and_saveexec_b64 s[28:29], s[0:1]
	s_cbranch_execnz .LBB17_18
; %bb.14:
	s_or_b64 exec, exec, s[28:29]
	s_mov_b64 s[8:9], -1
	s_and_b64 vcc, exec, s[22:23]
	s_cbranch_vccnz .LBB17_19
.LBB17_15:
	s_andn2_b64 vcc, exec, s[8:9]
	s_cbranch_vccz .LBB17_22
.LBB17_16:
	s_cmp_lt_i32 s16, 1
	s_cbranch_scc0 .LBB17_33
.LBB17_17:
	s_endpgm
.LBB17_18:
	v_cvt_f32_u32_e32 v4, s7
	v_add_f32_e32 v2, v2, v3
	v_mov_b32_e32 v8, s13
	v_mov_b32_e32 v9, s12
	v_div_scale_f32 v3, s[36:37], v4, v4, v2
	v_rcp_f32_e32 v5, v3
	v_cndmask_b32_e64 v8, v8, v9, s[8:9]
	s_mov_b32 s7, 0x800000
	s_waitcnt vmcnt(0)
	v_cvt_f32_f16_sdwa v17, v23 dst_sel:DWORD dst_unused:UNUSED_PAD src0_sel:WORD_1
	v_fma_f32 v9, -v3, v5, 1.0
	v_fmac_f32_e32 v5, v9, v5
	v_div_scale_f32 v9, vcc, v2, v4, v2
	v_mul_f32_e32 v12, v9, v5
	v_fma_f32 v13, -v3, v12, v9
	v_fmac_f32_e32 v12, v13, v5
	v_fma_f32 v3, -v3, v12, v9
	v_div_fmas_f32 v3, v3, v5, v12
	v_div_fixup_f32 v2, v3, v4, v2
	v_add_f32_e32 v2, v8, v2
	v_mul_f32_e32 v3, 0x4b800000, v2
	v_cmp_gt_f32_e32 vcc, s7, v2
	v_cndmask_b32_e32 v2, v2, v3, vcc
	v_rsq_f32_e32 v2, v2
	v_cvt_f32_f16_sdwa v13, v21 dst_sel:DWORD dst_unused:UNUSED_PAD src0_sel:WORD_1
	v_cvt_f32_f16_e32 v12, v21
	v_cvt_f32_f16_e32 v16, v23
	v_mul_f32_e32 v3, 0x45800000, v2
	v_cndmask_b32_e32 v2, v2, v3, vcc
	v_mov_b32_e32 v3, v2
	;;#ASMSTART
	v_pk_mul_f32 v[4:5], v[10:11], v[2:3]
	;;#ASMEND
	v_cvt_f32_f16_sdwa v11, v20 dst_sel:DWORD dst_unused:UNUSED_PAD src0_sel:WORD_1
	v_cvt_f32_f16_e32 v10, v20
	;;#ASMSTART
	v_pk_mul_f32 v[8:9], v[14:15], v[2:3]
	;;#ASMEND
	;;#ASMSTART
	v_pk_mul_f32 v[6:7], v[6:7], v[2:3]
	;;#ASMEND
	;; [unrolled: 3-line block ×3, first 2 shown]
	v_pk_add_f32 v[10:11], v[10:11], 1.0 op_sel_hi:[1,0]
	;;#ASMSTART
	v_pk_mul_f32 v[10:11], v[4:5], v[10:11]
	;;#ASMEND
	v_pk_add_f32 v[4:5], v[12:13], 1.0 op_sel_hi:[1,0]
	v_cvt_f32_f16_sdwa v13, v22 dst_sel:DWORD dst_unused:UNUSED_PAD src0_sel:WORD_1
	v_cvt_f32_f16_e32 v12, v22
	;;#ASMSTART
	v_pk_mul_f32 v[14:15], v[8:9], v[4:5]
	;;#ASMEND
	v_pk_add_f32 v[4:5], v[12:13], 1.0 op_sel_hi:[1,0]
	;;#ASMSTART
	v_pk_mul_f32 v[6:7], v[6:7], v[4:5]
	;;#ASMEND
	v_pk_add_f32 v[4:5], v[16:17], 1.0 op_sel_hi:[1,0]
	;;#ASMSTART
	v_pk_mul_f32 v[28:29], v[2:3], v[4:5]
	;;#ASMEND
	s_or_b64 exec, exec, s[28:29]
	s_mov_b64 s[8:9], -1
	s_and_b64 vcc, exec, s[22:23]
	s_cbranch_vccz .LBB17_15
.LBB17_19:
	s_and_saveexec_b64 s[8:9], s[0:1]
	s_cbranch_execz .LBB17_21
; %bb.20:
	s_mul_hi_i32 s23, s25, s6
	s_mul_i32 s22, s25, s6
	v_cvt_f16_f32_e32 v2, v10
	v_cvt_f16_f32_e32 v3, v14
	;; [unrolled: 1-line block ×8, first 2 shown]
	s_lshl_b64 s[22:23], s[22:23], 1
	s_add_u32 s28, s26, s22
	s_addc_u32 s7, s27, s23
	s_and_b32 s29, s7, 0xffff
	s_mov_b32 s31, 0x20000
	v_pack_b32_f16 v5, v5, v8
	v_pack_b32_f16 v4, v4, v9
	;; [unrolled: 1-line block ×4, first 2 shown]
	v_lshlrev_b32_e32 v8, 4, v0
	buffer_store_dwordx4 v[2:5], v8, s[28:31], 0 offen
	;;#ASMSTART
	s_nop 0
	;;#ASMEND
.LBB17_21:
	s_or_b64 exec, exec, s[8:9]
	s_cbranch_execnz .LBB17_16
.LBB17_22:
	v_mov_b32_e32 v2, 0
	s_and_saveexec_b64 s[8:9], s[0:1]
	s_cbranch_execz .LBB17_24
; %bb.23:
	s_load_dwordx2 s[22:23], s[4:5], 0x10
	s_mul_hi_i32 s29, s24, s6
	s_mul_i32 s28, s24, s6
	v_cvt_f16_f32_e32 v2, v10
	v_cvt_f16_f32_e32 v3, v14
	;; [unrolled: 1-line block ×8, first 2 shown]
	s_lshl_b64 s[28:29], s[28:29], 1
	s_waitcnt lgkmcnt(0)
	s_add_u32 s28, s22, s28
	s_addc_u32 s7, s23, s29
	s_mov_b32 s31, 0x20000
	s_and_b32 s29, s7, 0xffff
	v_pack_b32_f16 v5, v5, v8
	v_pack_b32_f16 v4, v4, v9
	;; [unrolled: 1-line block ×4, first 2 shown]
	v_lshlrev_b32_e32 v8, 4, v0
	buffer_store_dwordx4 v[2:5], v8, s[28:31], 0 offen
	;;#ASMSTART
	s_nop 0
	;;#ASMEND
	s_nop 0
	v_mov_b32_e32 v2, 0x2edbe6ff
.LBB17_24:
	s_or_b64 exec, exec, s[8:9]
	s_and_saveexec_b64 s[8:9], s[0:1]
	s_cbranch_execz .LBB17_26
; %bb.25:
	v_and_b32_e32 v3, 0x7fffffff, v10
	v_and_b32_e32 v4, 0x7fffffff, v11
	;;#ASMSTART
	v_max3_f32 v2, v2, v3, v4

	;;#ASMEND
	v_and_b32_e32 v3, 0x7fffffff, v14
	v_and_b32_e32 v4, 0x7fffffff, v15
	;;#ASMSTART
	v_max3_f32 v2, v2, v3, v4

	;;#ASMEND
	;; [unrolled: 6-line block ×4, first 2 shown]
.LBB17_26:
	s_or_b64 exec, exec, s[8:9]
	s_nop 0
	v_mov_b32_dpp v3, v2 quad_perm:[1,0,3,2] row_mask:0xf bank_mask:0xf
	v_cmp_gt_f32_e32 vcc, v2, v3
	v_cndmask_b32_e32 v2, v3, v2, vcc
	s_nop 1
	v_mov_b32_dpp v3, v2 quad_perm:[2,3,0,1] row_mask:0xf bank_mask:0xf
	v_cmp_gt_f32_e32 vcc, v2, v3
	v_cndmask_b32_e32 v2, v3, v2, vcc
	s_nop 1
	v_mov_b32_dpp v3, v2 row_half_mirror row_mask:0xf bank_mask:0xf
	v_cmp_gt_f32_e32 vcc, v2, v3
	v_cndmask_b32_e32 v2, v3, v2, vcc
	s_nop 1
	v_mov_b32_dpp v3, v2 row_mirror row_mask:0xf bank_mask:0xf
	v_cmp_gt_f32_e32 vcc, v2, v3
	v_cndmask_b32_e32 v2, v3, v2, vcc
	s_nop 1
	v_mov_b32_dpp v3, v2 row_bcast:15 row_mask:0xf bank_mask:0xf
	v_cmp_gt_f32_e32 vcc, v2, v3
	v_cndmask_b32_e32 v2, v3, v2, vcc
	s_nop 1
	v_mov_b32_dpp v3, v2 row_bcast:31 row_mask:0xf bank_mask:0xf
	s_and_saveexec_b64 s[8:9], s[2:3]
	s_cbranch_execz .LBB17_28
; %bb.27:
	v_cmp_gt_f32_e32 vcc, v2, v3
	v_cndmask_b32_e32 v2, v3, v2, vcc
	v_lshrrev_b32_e32 v3, 4, v0
	v_and_b32_e32 v3, 60, v3
	ds_write_b32 v3, v2
.LBB17_28:
	s_or_b64 exec, exec, s[8:9]
	s_waitcnt lgkmcnt(0)
	s_barrier
	ds_read_b32 v2, v18
	s_waitcnt lgkmcnt(0)
	s_nop 0
	v_mov_b32_dpp v3, v2 quad_perm:[1,0,3,2] row_mask:0xf bank_mask:0xf
	v_cmp_gt_f32_e32 vcc, v2, v3
	v_cndmask_b32_e32 v2, v3, v2, vcc
	v_mul_f32_e32 v2, 0x3b124925, v2
	v_cmp_eq_u32_e32 vcc, 0, v0
	s_and_saveexec_b64 s[8:9], vcc
	s_cbranch_execz .LBB17_30
; %bb.29:
	s_load_dwordx2 s[22:23], s[4:5], 0x8
	s_mul_hi_i32 s29, s11, s6
	s_mul_i32 s28, s11, s6
	s_lshl_b64 s[28:29], s[28:29], 2
	v_mov_b32_e32 v3, 0
	s_waitcnt lgkmcnt(0)
	s_add_u32 s22, s22, s28
	s_addc_u32 s23, s23, s29
	global_store_dword v3, v2, s[22:23]
.LBB17_30:
	s_or_b64 exec, exec, s[8:9]
	;;#ASMSTART
	v_rcp_f32 v2, v2
	;;#ASMEND
	s_and_saveexec_b64 s[22:23], s[0:1]
	s_cbranch_execz .LBB17_32
; %bb.31:
	s_load_dwordx2 s[0:1], s[4:5], 0x0
	s_mul_i32 s8, s10, s6
	v_mov_b32_e32 v3, v2
	;;#ASMSTART
	v_pk_mul_f32 v[4:5], v[10:11], v[2:3]
	;;#ASMEND
	s_mul_hi_i32 s7, s10, s6
	s_waitcnt lgkmcnt(0)
	s_add_u32 s8, s0, s8
	v_mov_b32_e32 v8, 0xc3e00000
	v_mov_b32_e32 v9, 0x43e00000
	;;#ASMSTART
	v_med3_f32 v4, v4, v8, v9
v_med3_f32 v5, v5, v8, v9
v_cvt_pk_fp8_f32 v10, v4, v5
	;;#ASMEND
	s_addc_u32 s0, s1, s7
	;;#ASMSTART
	v_pk_mul_f32 v[4:5], v[14:15], v[2:3]
	;;#ASMEND
	s_and_b32 s9, s0, 0xffff
	;;#ASMSTART
	v_med3_f32 v4, v4, v8, v9
v_med3_f32 v5, v5, v8, v9
v_cvt_pk_fp8_f32 v11, v4, v5
	;;#ASMEND
	s_mov_b32 s0, 0x5040100
	v_perm_b32 v5, v11, v10, s0
	s_movk_i32 s0, 0xff
	v_and_b32_e32 v4, 0xffffff00, v11
	v_and_b32_sdwa v10, v5, s0 dst_sel:DWORD dst_unused:UNUSED_PAD src0_sel:WORD_1 src1_sel:DWORD
	s_mov_b32 s12, 0xffff
	v_or_b32_sdwa v4, v10, v4 dst_sel:WORD_1 dst_unused:UNUSED_PAD src0_sel:DWORD src1_sel:DWORD
	s_add_i32 s1, s15, 3
	v_and_or_b32 v4, v5, s12, v4
	;;#ASMSTART
	v_pk_mul_f32 v[6:7], v[6:7], v[2:3]
	;;#ASMEND
	v_mov_b32_e32 v5, v7
	s_ashr_i32 s7, s1, 31
	;;#ASMSTART
	v_med3_f32 v6, v6, v8, v9
v_med3_f32 v5, v5, v8, v9
v_cvt_pk_fp8_f32 v7, v6, v5
	;;#ASMEND
	;;#ASMSTART
	v_pk_mul_f32 v[2:3], v[28:29], v[2:3]
	;;#ASMEND
	s_lshr_b32 s7, s7, 30
	;;#ASMSTART
	v_med3_f32 v2, v2, v8, v9
v_med3_f32 v3, v3, v8, v9
v_cvt_pk_fp8_f32 v5, v2, v3
	;;#ASMEND
	s_add_i32 s1, s1, s7
	v_lshlrev_b32_e32 v2, 16, v5
	s_and_b32 s10, s1, -4
	s_mov_b32 s11, 0x20000
	v_and_or_b32 v5, v7, s12, v2
	buffer_store_dwordx2 v[4:5], v1, s[8:11], 0 offen
	;;#ASMSTART
	s_nop 0
	;;#ASMEND
.LBB17_32:
	s_or_b64 exec, exec, s[22:23]
	s_cmp_lt_i32 s16, 1
	s_cbranch_scc1 .LBB17_17
.LBB17_33:
	s_load_dword s0, s[4:5], 0x94
	s_waitcnt lgkmcnt(0)
	s_cmp_lg_u32 s0, 1
	s_cbranch_scc1 .LBB17_17
; %bb.34:
	s_lshl_b32 s0, s16, 1
	s_add_i32 s0, s0, 2
	v_cmp_gt_u32_e32 vcc, s16, v1
	s_and_b32 s22, s0, -4
	v_mov_b32_e32 v10, 0
	v_lshlrev_b32_e32 v1, 4, v0
	v_mov_b32_e32 v6, 0
	v_mov_b32_e32 v7, 0
	v_mov_b32_e32 v8, 0
	v_mov_b32_e32 v9, 0
	v_mov_b32_e32 v2, 0
	v_mov_b32_e32 v3, 0
	v_mov_b32_e32 v4, 0
	v_mov_b32_e32 v5, 0
	s_barrier
	s_and_saveexec_b64 s[0:1], vcc
	s_cbranch_execz .LBB17_36
; %bb.35:
	s_mul_hi_i32 s5, s18, s6
	s_mul_i32 s4, s18, s6
	s_and_b32 s21, s21, 0xffff
	s_lshl_b64 s[4:5], s[4:5], 1
	s_add_u32 s8, s34, s4
	s_mov_b32 s23, 0x20000
	s_addc_u32 s4, s35, s5
	s_and_b32 s9, s4, 0xffff
	s_mov_b32 s10, s22
	s_mov_b32 s11, s23
	buffer_load_dwordx4 v[6:9], v1, s[8:11], 0 offen glc slc
	buffer_load_dwordx4 v[2:5], v1, s[20:23], 0 offen
.LBB17_36:
	s_or_b64 exec, exec, s[0:1]
	v_mov_b32_e32 v11, 0
	v_mov_b32_e32 v16, 0
	;; [unrolled: 1-line block ×7, first 2 shown]
	s_and_saveexec_b64 s[0:1], vcc
	s_cbranch_execz .LBB17_38
; %bb.37:
	s_waitcnt vmcnt(1)
	v_cvt_f32_f16_sdwa v11, v6 dst_sel:DWORD dst_unused:UNUSED_PAD src0_sel:WORD_1
	v_cvt_f32_f16_e32 v10, v6
	v_cvt_f32_f16_sdwa v17, v7 dst_sel:DWORD dst_unused:UNUSED_PAD src0_sel:WORD_1
	v_cvt_f32_f16_e32 v16, v7
	;; [unrolled: 2-line block ×4, first 2 shown]
.LBB17_38:
	s_or_b64 exec, exec, s[0:1]
	s_waitcnt vmcnt(1)
	v_mul_f32_e32 v6, v11, v11
	v_fmac_f32_e32 v6, v10, v10
	v_fmac_f32_e32 v6, v16, v16
	v_fmac_f32_e32 v6, v17, v17
	v_fmac_f32_e32 v6, v14, v14
	v_fmac_f32_e32 v6, v15, v15
	v_fmac_f32_e32 v6, v12, v12
	v_fmac_f32_e32 v6, v13, v13
	s_nop 1
	v_mov_b32_dpp v7, v6 quad_perm:[1,0,3,2] row_mask:0xf bank_mask:0xf
	v_add_f32_e32 v6, v6, v7
	s_nop 1
	v_mov_b32_dpp v7, v6 quad_perm:[2,3,0,1] row_mask:0xf bank_mask:0xf
	v_add_f32_e32 v6, v6, v7
	s_nop 1
	v_mov_b32_dpp v7, v6 row_half_mirror row_mask:0xf bank_mask:0xf
	v_add_f32_e32 v6, v6, v7
	s_nop 1
	v_mov_b32_dpp v7, v6 row_mirror row_mask:0xf bank_mask:0xf
	v_add_f32_e32 v6, v6, v7
	s_nop 1
	v_mov_b32_dpp v7, v6 row_bcast:15 row_mask:0xf bank_mask:0xf
	v_add_f32_e32 v6, v6, v7
	s_nop 1
	v_mov_b32_dpp v7, v6 row_bcast:31 row_mask:0xf bank_mask:0xf
	s_and_saveexec_b64 s[0:1], s[2:3]
	s_cbranch_execz .LBB17_40
; %bb.39:
	v_lshrrev_b32_e32 v0, 4, v0
	v_add_f32_e32 v6, v6, v7
	v_and_b32_e32 v0, 60, v0
	ds_write_b32 v0, v6 offset:8
.LBB17_40:
	s_or_b64 exec, exec, s[0:1]
	s_waitcnt lgkmcnt(0)
	s_barrier
	ds_read_b32 v0, v18 offset:8
	s_waitcnt lgkmcnt(0)
	s_nop 0
	v_mov_b32_dpp v6, v0 quad_perm:[1,0,3,2] row_mask:0xf bank_mask:0xf
	s_and_saveexec_b64 s[0:1], vcc
	s_cbranch_execz .LBB17_17
; %bb.41:
	v_cvt_f32_u32_e32 v7, s16
	v_add_f32_e32 v0, v0, v6
	s_mov_b32 s23, 0x20000
	v_div_scale_f32 v6, s[0:1], v7, v7, v0
	v_rcp_f32_e32 v8, v6
	v_div_scale_f32 v9, vcc, v0, v7, v0
	s_mov_b32 s0, 0x800000
	v_fma_f32 v18, -v6, v8, 1.0
	v_fmac_f32_e32 v8, v18, v8
	v_mul_f32_e32 v18, v9, v8
	v_fma_f32 v19, -v6, v18, v9
	v_fmac_f32_e32 v18, v19, v8
	v_fma_f32 v6, -v6, v18, v9
	v_div_fmas_f32 v6, v6, v8, v18
	v_div_fixup_f32 v0, v6, v7, v0
	v_add_f32_e32 v0, s13, v0
	v_mul_f32_e32 v6, 0x4b800000, v0
	v_cmp_gt_f32_e32 vcc, s0, v0
	v_cndmask_b32_e32 v0, v0, v6, vcc
	v_rsq_f32_e32 v0, v0
	s_waitcnt vmcnt(0)
	v_cvt_f32_f16_sdwa v19, v3 dst_sel:DWORD dst_unused:UNUSED_PAD src0_sel:WORD_1
	v_cvt_f32_f16_e32 v18, v3
	s_mul_hi_i32 s1, s25, s6
	v_mul_f32_e32 v6, 0x45800000, v0
	v_cndmask_b32_e32 v6, v0, v6, vcc
	v_mov_b32_e32 v7, v6
	;;#ASMSTART
	v_pk_mul_f32 v[8:9], v[10:11], v[6:7]
	;;#ASMEND
	;;#ASMSTART
	v_pk_mul_f32 v[10:11], v[16:17], v[6:7]
	;;#ASMEND
	v_cvt_f32_f16_sdwa v17, v2 dst_sel:DWORD dst_unused:UNUSED_PAD src0_sel:WORD_1
	v_cvt_f32_f16_e32 v16, v2
	;;#ASMSTART
	v_pk_mul_f32 v[14:15], v[14:15], v[6:7]
	;;#ASMEND
	;;#ASMSTART
	v_pk_mul_f32 v[2:3], v[12:13], v[6:7]
	;;#ASMEND
	v_cvt_f32_f16_sdwa v13, v4 dst_sel:DWORD dst_unused:UNUSED_PAD src0_sel:WORD_1
	v_cvt_f32_f16_e32 v12, v4
	v_pk_add_f32 v[6:7], v[16:17], 1.0 op_sel_hi:[1,0]
	v_cvt_f32_f16_sdwa v17, v5 dst_sel:DWORD dst_unused:UNUSED_PAD src0_sel:WORD_1
	v_cvt_f32_f16_e32 v16, v5
	;;#ASMSTART
	v_pk_mul_f32 v[6:7], v[8:9], v[6:7]
	;;#ASMEND
	v_pk_add_f32 v[8:9], v[18:19], 1.0 op_sel_hi:[1,0]
	;;#ASMSTART
	v_pk_mul_f32 v[4:5], v[10:11], v[8:9]
	;;#ASMEND
	v_pk_add_f32 v[8:9], v[12:13], 1.0 op_sel_hi:[1,0]
	;; [unrolled: 4-line block ×3, first 2 shown]
	;;#ASMSTART
	v_pk_mul_f32 v[2:3], v[2:3], v[10:11]
	;;#ASMEND
	s_mul_i32 s0, s25, s6
	v_cvt_f16_f32_e32 v0, v6
	v_cvt_f16_f32_e32 v6, v7
	;; [unrolled: 1-line block ×8, first 2 shown]
	s_lshl_b64 s[0:1], s[0:1], 1
	s_add_u32 s20, s26, s0
	s_addc_u32 s0, s27, s1
	s_and_b32 s21, s0, 0xffff
	v_pack_b32_f16 v2, v0, v6
	v_pack_b32_f16 v3, v4, v5
	;; [unrolled: 1-line block ×4, first 2 shown]
	buffer_store_dwordx4 v[2:5], v1, s[20:23], 0 offen
	;;#ASMSTART
	s_nop 0
	;;#ASMEND
	s_endpgm
	.section	.rodata,"a",@progbits
	.p2align	6, 0x0
	.amdhsa_kernel _ZN5aiter35fused_qk_rmsnorm_group_quant_kernelIDF16_DB8_Li128ELi8ELi1ELb1ELb1ELb1ELb0ELb1ELb1EEEvPT0_PvPT_S6_S6_PKS5_S8_S8_S8_S8_ffiiiiiiiiiiiii
		.amdhsa_group_segment_fixed_size 24
		.amdhsa_private_segment_fixed_size 0
		.amdhsa_kernarg_size 400
		.amdhsa_user_sgpr_count 6
		.amdhsa_user_sgpr_private_segment_buffer 1
		.amdhsa_user_sgpr_dispatch_ptr 0
		.amdhsa_user_sgpr_queue_ptr 0
		.amdhsa_user_sgpr_kernarg_segment_ptr 1
		.amdhsa_user_sgpr_dispatch_id 0
		.amdhsa_user_sgpr_flat_scratch_init 0
		.amdhsa_user_sgpr_kernarg_preload_length 0
		.amdhsa_user_sgpr_kernarg_preload_offset 0
		.amdhsa_user_sgpr_private_segment_size 0
		.amdhsa_uses_dynamic_stack 0
		.amdhsa_system_sgpr_private_segment_wavefront_offset 0
		.amdhsa_system_sgpr_workgroup_id_x 1
		.amdhsa_system_sgpr_workgroup_id_y 1
		.amdhsa_system_sgpr_workgroup_id_z 0
		.amdhsa_system_sgpr_workgroup_info 0
		.amdhsa_system_vgpr_workitem_id 0
		.amdhsa_next_free_vgpr 31
		.amdhsa_next_free_sgpr 38
		.amdhsa_accum_offset 32
		.amdhsa_reserve_vcc 1
		.amdhsa_reserve_flat_scratch 0
		.amdhsa_float_round_mode_32 0
		.amdhsa_float_round_mode_16_64 0
		.amdhsa_float_denorm_mode_32 3
		.amdhsa_float_denorm_mode_16_64 3
		.amdhsa_dx10_clamp 1
		.amdhsa_ieee_mode 1
		.amdhsa_fp16_overflow 0
		.amdhsa_tg_split 0
		.amdhsa_exception_fp_ieee_invalid_op 0
		.amdhsa_exception_fp_denorm_src 0
		.amdhsa_exception_fp_ieee_div_zero 0
		.amdhsa_exception_fp_ieee_overflow 0
		.amdhsa_exception_fp_ieee_underflow 0
		.amdhsa_exception_fp_ieee_inexact 0
		.amdhsa_exception_int_div_zero 0
	.end_amdhsa_kernel
	.section	.text._ZN5aiter35fused_qk_rmsnorm_group_quant_kernelIDF16_DB8_Li128ELi8ELi1ELb1ELb1ELb1ELb0ELb1ELb1EEEvPT0_PvPT_S6_S6_PKS5_S8_S8_S8_S8_ffiiiiiiiiiiiii,"axG",@progbits,_ZN5aiter35fused_qk_rmsnorm_group_quant_kernelIDF16_DB8_Li128ELi8ELi1ELb1ELb1ELb1ELb0ELb1ELb1EEEvPT0_PvPT_S6_S6_PKS5_S8_S8_S8_S8_ffiiiiiiiiiiiii,comdat
.Lfunc_end17:
	.size	_ZN5aiter35fused_qk_rmsnorm_group_quant_kernelIDF16_DB8_Li128ELi8ELi1ELb1ELb1ELb1ELb0ELb1ELb1EEEvPT0_PvPT_S6_S6_PKS5_S8_S8_S8_S8_ffiiiiiiiiiiiii, .Lfunc_end17-_ZN5aiter35fused_qk_rmsnorm_group_quant_kernelIDF16_DB8_Li128ELi8ELi1ELb1ELb1ELb1ELb0ELb1ELb1EEEvPT0_PvPT_S6_S6_PKS5_S8_S8_S8_S8_ffiiiiiiiiiiiii
                                        ; -- End function
	.section	.AMDGPU.csdata,"",@progbits
; Kernel info:
; codeLenInByte = 3148
; NumSgprs: 42
; NumVgprs: 31
; NumAgprs: 0
; TotalNumVgprs: 31
; ScratchSize: 0
; MemoryBound: 0
; FloatMode: 240
; IeeeMode: 1
; LDSByteSize: 24 bytes/workgroup (compile time only)
; SGPRBlocks: 5
; VGPRBlocks: 3
; NumSGPRsForWavesPerEU: 42
; NumVGPRsForWavesPerEU: 31
; AccumOffset: 32
; Occupancy: 8
; WaveLimiterHint : 0
; COMPUTE_PGM_RSRC2:SCRATCH_EN: 0
; COMPUTE_PGM_RSRC2:USER_SGPR: 6
; COMPUTE_PGM_RSRC2:TRAP_HANDLER: 0
; COMPUTE_PGM_RSRC2:TGID_X_EN: 1
; COMPUTE_PGM_RSRC2:TGID_Y_EN: 1
; COMPUTE_PGM_RSRC2:TGID_Z_EN: 0
; COMPUTE_PGM_RSRC2:TIDIG_COMP_CNT: 0
; COMPUTE_PGM_RSRC3_GFX90A:ACCUM_OFFSET: 7
; COMPUTE_PGM_RSRC3_GFX90A:TG_SPLIT: 0
	.section	.text._ZN5aiter35fused_qk_rmsnorm_group_quant_kernelItDB8_Li128ELi8ELi1ELb1ELb1ELb1ELb0ELb1ELb1EEEvPT0_PvPT_S6_S6_PKS5_S8_S8_S8_S8_ffiiiiiiiiiiiii,"axG",@progbits,_ZN5aiter35fused_qk_rmsnorm_group_quant_kernelItDB8_Li128ELi8ELi1ELb1ELb1ELb1ELb0ELb1ELb1EEEvPT0_PvPT_S6_S6_PKS5_S8_S8_S8_S8_ffiiiiiiiiiiiii,comdat
	.protected	_ZN5aiter35fused_qk_rmsnorm_group_quant_kernelItDB8_Li128ELi8ELi1ELb1ELb1ELb1ELb0ELb1ELb1EEEvPT0_PvPT_S6_S6_PKS5_S8_S8_S8_S8_ffiiiiiiiiiiiii ; -- Begin function _ZN5aiter35fused_qk_rmsnorm_group_quant_kernelItDB8_Li128ELi8ELi1ELb1ELb1ELb1ELb0ELb1ELb1EEEvPT0_PvPT_S6_S6_PKS5_S8_S8_S8_S8_ffiiiiiiiiiiiii
	.globl	_ZN5aiter35fused_qk_rmsnorm_group_quant_kernelItDB8_Li128ELi8ELi1ELb1ELb1ELb1ELb0ELb1ELb1EEEvPT0_PvPT_S6_S6_PKS5_S8_S8_S8_S8_ffiiiiiiiiiiiii
	.p2align	8
	.type	_ZN5aiter35fused_qk_rmsnorm_group_quant_kernelItDB8_Li128ELi8ELi1ELb1ELb1ELb1ELb0ELb1ELb1EEEvPT0_PvPT_S6_S6_PKS5_S8_S8_S8_S8_ffiiiiiiiiiiiii,@function
_ZN5aiter35fused_qk_rmsnorm_group_quant_kernelItDB8_Li128ELi8ELi1ELb1ELb1ELb1ELb0ELb1ELb1EEEvPT0_PvPT_S6_S6_PKS5_S8_S8_S8_S8_ffiiiiiiiiiiiii: ; @_ZN5aiter35fused_qk_rmsnorm_group_quant_kernelItDB8_Li128ELi8ELi1ELb1ELb1ELb1ELb0ELb1ELb1EEEvPT0_PvPT_S6_S6_PKS5_S8_S8_S8_S8_ffiiiiiiiiiiiii
; %bb.0:
	s_load_dwordx8 s[12:19], s[4:5], 0x50
	s_waitcnt lgkmcnt(0)
	s_cmp_ge_i32 s6, s14
	s_cbranch_scc1 .LBB18_17
; %bb.1:
	s_cmp_lg_u32 s7, 0
	s_cselect_b64 s[22:23], -1, 0
	s_cmp_eq_u32 s7, 0
	s_cselect_b64 s[8:9], -1, 0
	s_and_b64 s[0:1], s[8:9], exec
	s_load_dwordx2 s[10:11], s[4:5], 0x70
	s_load_dwordx2 s[20:21], s[4:5], 0x48
	;; [unrolled: 1-line block ×3, first 2 shown]
	s_cselect_b32 s7, s15, s16
	s_add_i32 s0, s7, 1
	s_lshr_b32 s1, s0, 31
	s_add_i32 s0, s0, s1
	s_lshl_b32 s0, s0, 1
	v_lshlrev_b32_e32 v1, 3, v0
	s_and_b32 s30, s0, -4
	v_cmp_gt_i32_e64 s[0:1], s7, v1
	v_mov_b32_e32 v10, 0
	v_mov_b32_e32 v11, 0
	;; [unrolled: 1-line block ×8, first 2 shown]
	s_and_saveexec_b64 s[2:3], s[0:1]
	s_cbranch_execz .LBB18_3
; %bb.2:
	s_load_dwordx2 s[24:25], s[4:5], 0x28
	s_load_dwordx2 s[26:27], s[4:5], 0x40
	s_and_b64 s[28:29], s[8:9], exec
	s_cselect_b32 s14, s17, s18
	s_mov_b32 s31, 0x20000
	s_waitcnt lgkmcnt(0)
	s_cselect_b32 s17, s25, s35
	s_cselect_b32 s28, s24, s34
	s_mul_hi_i32 s25, s14, s6
	s_mul_i32 s24, s14, s6
	s_lshl_b64 s[24:25], s[24:25], 1
	s_add_u32 s24, s28, s24
	s_addc_u32 s14, s17, s25
	s_and_b64 s[28:29], s[8:9], exec
	s_cselect_b32 s28, s26, s20
	s_cselect_b32 s17, s27, s21
	v_lshlrev_b32_e32 v2, 4, v0
	s_and_b32 s25, s14, 0xffff
	s_mov_b32 s26, s30
	s_mov_b32 s27, s31
	s_and_b32 s29, s17, 0xffff
	buffer_load_dwordx4 v[14:17], v2, s[24:27], 0 offen glc slc
	buffer_load_dwordx4 v[10:13], v2, s[28:31], 0 offen
.LBB18_3:
	s_or_b64 exec, exec, s[2:3]
	s_load_dwordx4 s[24:27], s[4:5], 0x7c
	s_and_b64 vcc, exec, s[22:23]
	s_cbranch_vccz .LBB18_7
; %bb.4:
	s_mov_b32 s36, 0
	s_mov_b32 s37, s36
	;; [unrolled: 1-line block ×8, first 2 shown]
	v_pk_mov_b32 v[2:3], s[36:37], s[36:37] op_sel:[0,1]
	v_pk_mov_b32 v[4:5], s[38:39], s[38:39] op_sel:[0,1]
	;; [unrolled: 1-line block ×4, first 2 shown]
	s_and_saveexec_b64 s[2:3], s[0:1]
	s_cbranch_execz .LBB18_6
; %bb.5:
	s_waitcnt vmcnt(1)
	v_cvt_f32_u32_sdwa v3, v14 dst_sel:DWORD dst_unused:UNUSED_PAD src0_sel:WORD_1
	v_cvt_f32_u32_sdwa v2, v14 dst_sel:DWORD dst_unused:UNUSED_PAD src0_sel:WORD_0
	v_cvt_f32_u32_sdwa v5, v15 dst_sel:DWORD dst_unused:UNUSED_PAD src0_sel:WORD_1
	v_cvt_f32_u32_sdwa v4, v15 dst_sel:DWORD dst_unused:UNUSED_PAD src0_sel:WORD_0
	;; [unrolled: 2-line block ×4, first 2 shown]
.LBB18_6:
	s_or_b64 exec, exec, s[2:3]
	s_cbranch_execz .LBB18_8
	s_branch .LBB18_11
.LBB18_7:
                                        ; implicit-def: $vgpr2_vgpr3_vgpr4_vgpr5_vgpr6_vgpr7_vgpr8_vgpr9
.LBB18_8:
	s_mov_b32 s36, 0
	s_mov_b32 s37, s36
	s_mov_b32 s38, s36
	s_mov_b32 s39, s36
	s_mov_b32 s40, s36
	s_mov_b32 s41, s36
	s_mov_b32 s42, s36
	s_mov_b32 s43, s36
	v_pk_mov_b32 v[2:3], s[36:37], s[36:37] op_sel:[0,1]
	v_pk_mov_b32 v[4:5], s[38:39], s[38:39] op_sel:[0,1]
	;; [unrolled: 1-line block ×4, first 2 shown]
	s_and_saveexec_b64 s[2:3], s[0:1]
	s_cbranch_execz .LBB18_10
; %bb.9:
	s_load_dwordx2 s[28:29], s[4:5], 0x38
	s_mul_hi_i32 s37, s19, s6
	s_mul_i32 s36, s19, s6
	s_lshl_b64 s[36:37], s[36:37], 1
	s_mov_b32 s31, 0x20000
	s_waitcnt lgkmcnt(0)
	s_add_u32 s28, s28, s36
	s_addc_u32 s14, s29, s37
	s_and_b32 s29, s14, 0xffff
	v_lshlrev_b32_e32 v26, 4, v0
	buffer_load_dwordx4 v[2:5], v26, s[28:31], 0 offen glc slc
	s_load_dwordx2 s[28:29], s[4:5], 0x20
	s_waitcnt vmcnt(2)
	v_cvt_f32_u32_sdwa v7, v14 dst_sel:DWORD dst_unused:UNUSED_PAD src0_sel:WORD_1
	v_cvt_f32_u32_sdwa v6, v14 dst_sel:DWORD dst_unused:UNUSED_PAD src0_sel:WORD_0
	v_cvt_f32_u32_sdwa v9, v15 dst_sel:DWORD dst_unused:UNUSED_PAD src0_sel:WORD_1
	v_cvt_f32_u32_sdwa v8, v15 dst_sel:DWORD dst_unused:UNUSED_PAD src0_sel:WORD_0
	;; [unrolled: 2-line block ×4, first 2 shown]
	s_mul_hi_i32 s27, s26, s6
	s_mul_i32 s26, s26, s6
	s_lshl_b64 s[26:27], s[26:27], 1
	s_waitcnt lgkmcnt(0)
	s_add_u32 s28, s28, s26
	s_mov_b32 s14, 0x7060302
	s_addc_u32 s17, s29, s27
	s_and_b32 s29, s17, 0xffff
	s_waitcnt vmcnt(0)
	v_cvt_f32_u32_sdwa v17, v2 dst_sel:DWORD dst_unused:UNUSED_PAD src0_sel:WORD_1
	v_cvt_f32_u32_sdwa v16, v2 dst_sel:DWORD dst_unused:UNUSED_PAD src0_sel:WORD_0
	v_cvt_f32_u32_sdwa v21, v3 dst_sel:DWORD dst_unused:UNUSED_PAD src0_sel:WORD_1
	v_cvt_f32_u32_sdwa v20, v3 dst_sel:DWORD dst_unused:UNUSED_PAD src0_sel:WORD_0
	;; [unrolled: 2-line block ×4, first 2 shown]
	v_pk_add_f32 v[2:3], v[6:7], v[16:17]
	v_pk_add_f32 v[4:5], v[8:9], v[20:21]
	;; [unrolled: 1-line block ×4, first 2 shown]
	v_perm_b32 v17, v9, v8, s14
	v_perm_b32 v16, v7, v6, s14
	;; [unrolled: 1-line block ×4, first 2 shown]
	buffer_store_dwordx4 v[14:17], v26, s[28:31], 0 offen glc slc
	;;#ASMSTART
	s_nop 0
	;;#ASMEND
.LBB18_10:
	s_or_b64 exec, exec, s[2:3]
.LBB18_11:
	s_waitcnt vmcnt(1)
	v_mul_f32_e32 v14, v3, v3
	v_fmac_f32_e32 v14, v2, v2
	v_fmac_f32_e32 v14, v4, v4
	;; [unrolled: 1-line block ×7, first 2 shown]
	v_and_b32_e32 v16, 63, v0
	v_cmp_eq_u32_e64 s[2:3], 63, v16
	v_mov_b32_dpp v15, v14 quad_perm:[1,0,3,2] row_mask:0xf bank_mask:0xf
	v_add_f32_e32 v14, v14, v15
	s_nop 1
	v_mov_b32_dpp v15, v14 quad_perm:[2,3,0,1] row_mask:0xf bank_mask:0xf
	v_add_f32_e32 v14, v14, v15
	s_nop 1
	v_mov_b32_dpp v15, v14 row_half_mirror row_mask:0xf bank_mask:0xf
	v_add_f32_e32 v14, v14, v15
	s_nop 1
	v_mov_b32_dpp v15, v14 row_mirror row_mask:0xf bank_mask:0xf
	v_add_f32_e32 v14, v14, v15
	s_nop 1
	v_mov_b32_dpp v15, v14 row_bcast:15 row_mask:0xf bank_mask:0xf
	v_add_f32_e32 v14, v14, v15
	s_nop 1
	v_mov_b32_dpp v15, v14 row_bcast:31 row_mask:0xf bank_mask:0xf
	s_waitcnt lgkmcnt(0)
	s_and_saveexec_b64 s[26:27], s[2:3]
	s_cbranch_execz .LBB18_13
; %bb.12:
	v_add_f32_e32 v14, v14, v15
	v_lshrrev_b32_e32 v15, 4, v0
	v_and_b32_e32 v15, 60, v15
	ds_write_b32 v15, v14 offset:16
.LBB18_13:
	s_or_b64 exec, exec, s[26:27]
	v_and_b32_e32 v14, 1, v0
	v_lshlrev_b32_e32 v14, 2, v14
	s_waitcnt lgkmcnt(0)
	s_barrier
	ds_read_b32 v15, v14 offset:16
	s_load_dwordx2 s[26:27], s[4:5], 0x18
	s_waitcnt lgkmcnt(0)
	v_mov_b32_dpp v16, v15 quad_perm:[1,0,3,2] row_mask:0xf bank_mask:0xf
	s_and_saveexec_b64 s[28:29], s[0:1]
	s_cbranch_execnz .LBB18_18
; %bb.14:
	s_or_b64 exec, exec, s[28:29]
	s_mov_b64 s[8:9], -1
	s_and_b64 vcc, exec, s[22:23]
	s_cbranch_vccnz .LBB18_19
.LBB18_15:
	s_andn2_b64 vcc, exec, s[8:9]
	s_cbranch_vccz .LBB18_22
.LBB18_16:
	s_cmp_lt_i32 s16, 1
	s_cbranch_scc0 .LBB18_33
.LBB18_17:
	s_endpgm
.LBB18_18:
	v_cvt_f32_u32_e32 v17, s7
	v_add_f32_e32 v15, v15, v16
	v_mov_b32_e32 v19, s13
	v_mov_b32_e32 v20, s12
	v_div_scale_f32 v16, s[36:37], v17, v17, v15
	v_rcp_f32_e32 v18, v16
	v_cndmask_b32_e64 v19, v19, v20, s[8:9]
	s_mov_b32 s7, 0x800000
	v_fma_f32 v20, -v16, v18, 1.0
	v_fmac_f32_e32 v18, v20, v18
	v_div_scale_f32 v20, vcc, v15, v17, v15
	v_mul_f32_e32 v21, v20, v18
	v_fma_f32 v22, -v16, v21, v20
	v_fmac_f32_e32 v21, v22, v18
	v_fma_f32 v16, -v16, v21, v20
	v_div_fmas_f32 v16, v16, v18, v21
	v_div_fixup_f32 v15, v16, v17, v15
	v_add_f32_e32 v15, v19, v15
	v_mul_f32_e32 v16, 0x4b800000, v15
	v_cmp_gt_f32_e32 vcc, s7, v15
	v_cndmask_b32_e32 v15, v15, v16, vcc
	v_rsq_f32_e32 v15, v15
	s_waitcnt vmcnt(0)
	v_cvt_f32_u32_sdwa v19, v10 dst_sel:DWORD dst_unused:UNUSED_PAD src0_sel:WORD_1
	v_cvt_f32_u32_sdwa v18, v10 dst_sel:DWORD dst_unused:UNUSED_PAD src0_sel:WORD_0
	v_cvt_f32_u32_sdwa v21, v11 dst_sel:DWORD dst_unused:UNUSED_PAD src0_sel:WORD_1
	v_mul_f32_e32 v16, 0x45800000, v15
	v_cndmask_b32_e32 v16, v15, v16, vcc
	v_mov_b32_e32 v17, v16
	v_cvt_f32_u32_sdwa v20, v11 dst_sel:DWORD dst_unused:UNUSED_PAD src0_sel:WORD_0
	;;#ASMSTART
	v_pk_mul_f32 v[2:3], v[2:3], v[16:17]
	;;#ASMEND
	;;#ASMSTART
	v_pk_mul_f32 v[4:5], v[4:5], v[16:17]
	;;#ASMEND
	;; [unrolled: 3-line block ×4, first 2 shown]
	v_cvt_f32_u32_sdwa v17, v12 dst_sel:DWORD dst_unused:UNUSED_PAD src0_sel:WORD_1
	v_cvt_f32_u32_sdwa v16, v12 dst_sel:DWORD dst_unused:UNUSED_PAD src0_sel:WORD_0
	v_pk_add_f32 v[10:11], v[18:19], 1.0 op_sel_hi:[1,0]
	v_cvt_f32_u32_sdwa v19, v13 dst_sel:DWORD dst_unused:UNUSED_PAD src0_sel:WORD_1
	v_cvt_f32_u32_sdwa v18, v13 dst_sel:DWORD dst_unused:UNUSED_PAD src0_sel:WORD_0
	;;#ASMSTART
	v_pk_mul_f32 v[2:3], v[2:3], v[10:11]
	;;#ASMEND
	v_pk_add_f32 v[10:11], v[20:21], 1.0 op_sel_hi:[1,0]
	;;#ASMSTART
	v_pk_mul_f32 v[4:5], v[4:5], v[10:11]
	;;#ASMEND
	v_pk_add_f32 v[10:11], v[16:17], 1.0 op_sel_hi:[1,0]
	;;#ASMSTART
	v_pk_mul_f32 v[6:7], v[6:7], v[10:11]
	;;#ASMEND
	v_pk_add_f32 v[10:11], v[18:19], 1.0 op_sel_hi:[1,0]
	;;#ASMSTART
	v_pk_mul_f32 v[8:9], v[8:9], v[10:11]
	;;#ASMEND
	s_or_b64 exec, exec, s[28:29]
	s_mov_b64 s[8:9], -1
	s_and_b64 vcc, exec, s[22:23]
	s_cbranch_vccz .LBB18_15
.LBB18_19:
	s_and_saveexec_b64 s[8:9], s[0:1]
	s_cbranch_execz .LBB18_21
; %bb.20:
	s_mul_hi_i32 s23, s25, s6
	s_mul_i32 s22, s25, s6
	s_lshl_b64 s[22:23], s[22:23], 1
	s_add_u32 s28, s26, s22
	s_addc_u32 s7, s27, s23
	s_and_b32 s29, s7, 0xffff
	s_mov_b32 s7, 0x7060302
	s_mov_b32 s31, 0x20000
	s_waitcnt vmcnt(0)
	v_perm_b32 v10, v3, v2, s7
	v_perm_b32 v11, v5, v4, s7
	;; [unrolled: 1-line block ×4, first 2 shown]
	v_lshlrev_b32_e32 v15, 4, v0
	buffer_store_dwordx4 v[10:13], v15, s[28:31], 0 offen
	;;#ASMSTART
	s_nop 0
	;;#ASMEND
.LBB18_21:
	s_or_b64 exec, exec, s[8:9]
	s_cbranch_execnz .LBB18_16
.LBB18_22:
	s_waitcnt vmcnt(0)
	v_mov_b32_e32 v10, 0
	s_and_saveexec_b64 s[8:9], s[0:1]
	s_cbranch_execz .LBB18_24
; %bb.23:
	s_load_dwordx2 s[22:23], s[4:5], 0x10
	s_mul_hi_i32 s29, s24, s6
	s_mul_i32 s28, s24, s6
	s_lshl_b64 s[28:29], s[28:29], 1
	s_mov_b32 s31, 0x20000
	s_waitcnt lgkmcnt(0)
	s_add_u32 s28, s22, s28
	s_addc_u32 s7, s23, s29
	s_and_b32 s29, s7, 0xffff
	s_mov_b32 s7, 0x7060302
	v_perm_b32 v10, v3, v2, s7
	v_perm_b32 v11, v5, v4, s7
	;; [unrolled: 1-line block ×4, first 2 shown]
	v_lshlrev_b32_e32 v15, 4, v0
	buffer_store_dwordx4 v[10:13], v15, s[28:31], 0 offen
	;;#ASMSTART
	s_nop 0
	;;#ASMEND
	s_nop 0
	v_mov_b32_e32 v10, 0x2edbe6ff
.LBB18_24:
	s_or_b64 exec, exec, s[8:9]
	s_and_saveexec_b64 s[8:9], s[0:1]
	s_cbranch_execz .LBB18_26
; %bb.25:
	v_and_b32_e32 v11, 0x7fffffff, v2
	v_and_b32_e32 v12, 0x7fffffff, v3
	;;#ASMSTART
	v_max3_f32 v10, v10, v11, v12

	;;#ASMEND
	v_and_b32_e32 v11, 0x7fffffff, v4
	v_and_b32_e32 v12, 0x7fffffff, v5
	;;#ASMSTART
	v_max3_f32 v10, v10, v11, v12

	;;#ASMEND
	;; [unrolled: 6-line block ×4, first 2 shown]
.LBB18_26:
	s_or_b64 exec, exec, s[8:9]
	s_nop 0
	v_mov_b32_dpp v11, v10 quad_perm:[1,0,3,2] row_mask:0xf bank_mask:0xf
	v_cmp_gt_f32_e32 vcc, v10, v11
	v_cndmask_b32_e32 v10, v11, v10, vcc
	s_nop 1
	v_mov_b32_dpp v11, v10 quad_perm:[2,3,0,1] row_mask:0xf bank_mask:0xf
	v_cmp_gt_f32_e32 vcc, v10, v11
	v_cndmask_b32_e32 v10, v11, v10, vcc
	s_nop 1
	v_mov_b32_dpp v11, v10 row_half_mirror row_mask:0xf bank_mask:0xf
	v_cmp_gt_f32_e32 vcc, v10, v11
	v_cndmask_b32_e32 v10, v11, v10, vcc
	s_nop 1
	v_mov_b32_dpp v11, v10 row_mirror row_mask:0xf bank_mask:0xf
	v_cmp_gt_f32_e32 vcc, v10, v11
	v_cndmask_b32_e32 v10, v11, v10, vcc
	s_nop 1
	v_mov_b32_dpp v11, v10 row_bcast:15 row_mask:0xf bank_mask:0xf
	v_cmp_gt_f32_e32 vcc, v10, v11
	v_cndmask_b32_e32 v10, v11, v10, vcc
	s_nop 1
	v_mov_b32_dpp v11, v10 row_bcast:31 row_mask:0xf bank_mask:0xf
	s_and_saveexec_b64 s[8:9], s[2:3]
	s_cbranch_execz .LBB18_28
; %bb.27:
	v_cmp_gt_f32_e32 vcc, v10, v11
	v_cndmask_b32_e32 v10, v11, v10, vcc
	v_lshrrev_b32_e32 v11, 4, v0
	v_and_b32_e32 v11, 60, v11
	ds_write_b32 v11, v10
.LBB18_28:
	s_or_b64 exec, exec, s[8:9]
	s_waitcnt lgkmcnt(0)
	s_barrier
	ds_read_b32 v10, v14
	s_waitcnt lgkmcnt(0)
	s_nop 0
	v_mov_b32_dpp v11, v10 quad_perm:[1,0,3,2] row_mask:0xf bank_mask:0xf
	v_cmp_gt_f32_e32 vcc, v10, v11
	v_cndmask_b32_e32 v10, v11, v10, vcc
	v_mul_f32_e32 v10, 0x3b124925, v10
	v_cmp_eq_u32_e32 vcc, 0, v0
	s_and_saveexec_b64 s[8:9], vcc
	s_cbranch_execz .LBB18_30
; %bb.29:
	s_load_dwordx2 s[22:23], s[4:5], 0x8
	s_mul_hi_i32 s29, s11, s6
	s_mul_i32 s28, s11, s6
	s_lshl_b64 s[28:29], s[28:29], 2
	v_mov_b32_e32 v11, 0
	s_waitcnt lgkmcnt(0)
	s_add_u32 s22, s22, s28
	s_addc_u32 s23, s23, s29
	global_store_dword v11, v10, s[22:23]
.LBB18_30:
	s_or_b64 exec, exec, s[8:9]
	;;#ASMSTART
	v_rcp_f32 v10, v10
	;;#ASMEND
	s_and_saveexec_b64 s[22:23], s[0:1]
	s_cbranch_execz .LBB18_32
; %bb.31:
	s_load_dwordx2 s[0:1], s[4:5], 0x0
	s_mul_i32 s8, s10, s6
	v_mov_b32_e32 v11, v10
	;;#ASMSTART
	v_pk_mul_f32 v[2:3], v[2:3], v[10:11]
	;;#ASMEND
	s_mul_hi_i32 s7, s10, s6
	s_waitcnt lgkmcnt(0)
	s_add_u32 s8, s0, s8
	v_mov_b32_e32 v12, 0xc3e00000
	v_mov_b32_e32 v13, 0x43e00000
	;;#ASMSTART
	v_med3_f32 v2, v2, v12, v13
v_med3_f32 v3, v3, v12, v13
v_cvt_pk_fp8_f32 v15, v2, v3
	;;#ASMEND
	s_addc_u32 s0, s1, s7
	;;#ASMSTART
	v_pk_mul_f32 v[2:3], v[4:5], v[10:11]
	;;#ASMEND
	s_and_b32 s9, s0, 0xffff
	;;#ASMSTART
	v_med3_f32 v2, v2, v12, v13
v_med3_f32 v3, v3, v12, v13
v_cvt_pk_fp8_f32 v4, v2, v3
	;;#ASMEND
	s_mov_b32 s0, 0x5040100
	v_perm_b32 v3, v4, v15, s0
	s_movk_i32 s0, 0xff
	v_and_b32_e32 v2, 0xffffff00, v4
	v_and_b32_sdwa v4, v3, s0 dst_sel:DWORD dst_unused:UNUSED_PAD src0_sel:WORD_1 src1_sel:DWORD
	s_mov_b32 s12, 0xffff
	v_or_b32_sdwa v2, v4, v2 dst_sel:WORD_1 dst_unused:UNUSED_PAD src0_sel:DWORD src1_sel:DWORD
	v_and_or_b32 v2, v3, s12, v2
	;;#ASMSTART
	v_pk_mul_f32 v[4:5], v[6:7], v[10:11]
	;;#ASMEND
	v_mov_b32_e32 v3, v4
	s_add_i32 s1, s15, 3
	;;#ASMSTART
	v_med3_f32 v3, v3, v12, v13
v_med3_f32 v5, v5, v12, v13
v_cvt_pk_fp8_f32 v6, v3, v5
	;;#ASMEND
	s_ashr_i32 s7, s1, 31
	;;#ASMSTART
	v_pk_mul_f32 v[4:5], v[8:9], v[10:11]
	;;#ASMEND
	v_mov_b32_e32 v3, v5
	s_lshr_b32 s7, s7, 30
	;;#ASMSTART
	v_med3_f32 v4, v4, v12, v13
v_med3_f32 v3, v3, v12, v13
v_cvt_pk_fp8_f32 v5, v4, v3
	;;#ASMEND
	s_add_i32 s1, s1, s7
	v_lshlrev_b32_e32 v3, 16, v5
	s_and_b32 s10, s1, -4
	s_mov_b32 s11, 0x20000
	v_and_or_b32 v3, v6, s12, v3
	buffer_store_dwordx2 v[2:3], v1, s[8:11], 0 offen
	;;#ASMSTART
	s_nop 0
	;;#ASMEND
.LBB18_32:
	s_or_b64 exec, exec, s[22:23]
	s_cmp_lt_i32 s16, 1
	s_cbranch_scc1 .LBB18_17
.LBB18_33:
	s_load_dword s0, s[4:5], 0x94
	s_waitcnt lgkmcnt(0)
	s_cmp_lg_u32 s0, 1
	s_cbranch_scc1 .LBB18_17
; %bb.34:
	s_lshl_b32 s0, s16, 1
	s_add_i32 s0, s0, 2
	v_cmp_gt_u32_e32 vcc, s16, v1
	s_and_b32 s22, s0, -4
	v_mov_b32_e32 v6, 0
	v_lshlrev_b32_e32 v1, 4, v0
	v_mov_b32_e32 v7, 0
	v_mov_b32_e32 v8, 0
	;; [unrolled: 1-line block ×7, first 2 shown]
	s_barrier
	s_and_saveexec_b64 s[0:1], vcc
	s_cbranch_execz .LBB18_36
; %bb.35:
	s_mul_hi_i32 s5, s18, s6
	s_mul_i32 s4, s18, s6
	s_and_b32 s21, s21, 0xffff
	s_lshl_b64 s[4:5], s[4:5], 1
	s_add_u32 s8, s34, s4
	s_mov_b32 s23, 0x20000
	s_addc_u32 s4, s35, s5
	s_and_b32 s9, s4, 0xffff
	s_mov_b32 s10, s22
	s_mov_b32 s11, s23
	buffer_load_dwordx4 v[6:9], v1, s[8:11], 0 offen glc slc
	buffer_load_dwordx4 v[2:5], v1, s[20:23], 0 offen
.LBB18_36:
	s_or_b64 exec, exec, s[0:1]
	s_waitcnt vmcnt(0)
	v_cvt_f32_u32_sdwa v13, v6 dst_sel:DWORD dst_unused:UNUSED_PAD src0_sel:WORD_1
	v_cvt_f32_u32_sdwa v12, v6 dst_sel:DWORD dst_unused:UNUSED_PAD src0_sel:WORD_0
	v_cvt_f32_u32_sdwa v6, v9 dst_sel:DWORD dst_unused:UNUSED_PAD src0_sel:WORD_1
	v_cvt_f32_u32_sdwa v9, v9 dst_sel:DWORD dst_unused:UNUSED_PAD src0_sel:WORD_0
	;; [unrolled: 2-line block ×4, first 2 shown]
	v_cndmask_b32_e32 v13, 0, v13, vcc
	v_cndmask_b32_e32 v7, 0, v6, vcc
	;; [unrolled: 1-line block ×5, first 2 shown]
	v_mul_f32_e32 v15, v13, v13
	v_cndmask_b32_e32 v10, 0, v10, vcc
	v_fmac_f32_e32 v15, v12, v12
	v_cndmask_b32_e32 v11, 0, v11, vcc
	v_fmac_f32_e32 v15, v10, v10
	;; [unrolled: 2-line block ×3, first 2 shown]
	v_fmac_f32_e32 v15, v8, v8
	v_fmac_f32_e32 v15, v9, v9
	;; [unrolled: 1-line block ×4, first 2 shown]
	s_nop 1
	v_mov_b32_dpp v16, v15 quad_perm:[1,0,3,2] row_mask:0xf bank_mask:0xf
	v_add_f32_e32 v15, v15, v16
	s_nop 1
	v_mov_b32_dpp v16, v15 quad_perm:[2,3,0,1] row_mask:0xf bank_mask:0xf
	v_add_f32_e32 v15, v15, v16
	s_nop 1
	v_mov_b32_dpp v16, v15 row_half_mirror row_mask:0xf bank_mask:0xf
	v_add_f32_e32 v15, v15, v16
	s_nop 1
	v_mov_b32_dpp v16, v15 row_mirror row_mask:0xf bank_mask:0xf
	v_add_f32_e32 v15, v15, v16
	s_nop 1
	v_mov_b32_dpp v16, v15 row_bcast:15 row_mask:0xf bank_mask:0xf
	v_add_f32_e32 v15, v15, v16
	s_nop 1
	v_mov_b32_dpp v16, v15 row_bcast:31 row_mask:0xf bank_mask:0xf
	s_and_saveexec_b64 s[0:1], s[2:3]
	s_cbranch_execz .LBB18_38
; %bb.37:
	v_lshrrev_b32_e32 v0, 4, v0
	v_add_f32_e32 v15, v15, v16
	v_and_b32_e32 v0, 60, v0
	ds_write_b32 v0, v15 offset:8
.LBB18_38:
	s_or_b64 exec, exec, s[0:1]
	s_waitcnt lgkmcnt(0)
	s_barrier
	ds_read_b32 v0, v14 offset:8
	s_waitcnt lgkmcnt(0)
	s_nop 0
	v_mov_b32_dpp v14, v0 quad_perm:[1,0,3,2] row_mask:0xf bank_mask:0xf
	s_and_saveexec_b64 s[0:1], vcc
	s_cbranch_execz .LBB18_17
; %bb.39:
	v_cvt_f32_u32_e32 v15, s16
	v_add_f32_e32 v0, v0, v14
	s_mov_b32 s23, 0x20000
	v_div_scale_f32 v14, s[0:1], v15, v15, v0
	v_rcp_f32_e32 v16, v14
	v_div_scale_f32 v17, vcc, v0, v15, v0
	s_mov_b32 s0, 0x800000
	v_fma_f32 v18, -v14, v16, 1.0
	v_fmac_f32_e32 v16, v18, v16
	v_mul_f32_e32 v18, v17, v16
	v_fma_f32 v19, -v14, v18, v17
	v_fmac_f32_e32 v18, v19, v16
	v_fma_f32 v14, -v14, v18, v17
	v_div_fmas_f32 v14, v14, v16, v18
	v_div_fixup_f32 v0, v14, v15, v0
	v_add_f32_e32 v0, s13, v0
	v_mul_f32_e32 v14, 0x4b800000, v0
	v_cmp_gt_f32_e32 vcc, s0, v0
	v_cndmask_b32_e32 v0, v0, v14, vcc
	v_rsq_f32_e32 v0, v0
	v_cvt_f32_u32_sdwa v17, v2 dst_sel:DWORD dst_unused:UNUSED_PAD src0_sel:WORD_1
	v_cvt_f32_u32_sdwa v16, v2 dst_sel:DWORD dst_unused:UNUSED_PAD src0_sel:WORD_0
	v_cvt_f32_u32_sdwa v19, v3 dst_sel:DWORD dst_unused:UNUSED_PAD src0_sel:WORD_1
	v_mul_f32_e32 v14, 0x45800000, v0
	v_cndmask_b32_e32 v14, v0, v14, vcc
	v_mov_b32_e32 v15, v14
	;;#ASMSTART
	v_pk_mul_f32 v[12:13], v[12:13], v[14:15]
	;;#ASMEND
	;;#ASMSTART
	v_pk_mul_f32 v[10:11], v[10:11], v[14:15]
	;;#ASMEND
	;; [unrolled: 3-line block ×3, first 2 shown]
	v_cvt_f32_u32_sdwa v18, v3 dst_sel:DWORD dst_unused:UNUSED_PAD src0_sel:WORD_0
	;;#ASMSTART
	v_pk_mul_f32 v[2:3], v[6:7], v[14:15]
	;;#ASMEND
	v_cvt_f32_u32_sdwa v15, v4 dst_sel:DWORD dst_unused:UNUSED_PAD src0_sel:WORD_1
	v_cvt_f32_u32_sdwa v14, v4 dst_sel:DWORD dst_unused:UNUSED_PAD src0_sel:WORD_0
	v_pk_add_f32 v[6:7], v[16:17], 1.0 op_sel_hi:[1,0]
	v_cvt_f32_u32_sdwa v17, v5 dst_sel:DWORD dst_unused:UNUSED_PAD src0_sel:WORD_1
	v_cvt_f32_u32_sdwa v16, v5 dst_sel:DWORD dst_unused:UNUSED_PAD src0_sel:WORD_0
	s_mul_hi_i32 s1, s25, s6
	s_mul_i32 s0, s25, s6
	s_lshl_b64 s[0:1], s[0:1], 1
	s_add_u32 s20, s26, s0
	;;#ASMSTART
	v_pk_mul_f32 v[6:7], v[12:13], v[6:7]
	;;#ASMEND
	v_pk_add_f32 v[12:13], v[18:19], 1.0 op_sel_hi:[1,0]
	;;#ASMSTART
	v_pk_mul_f32 v[4:5], v[10:11], v[12:13]
	;;#ASMEND
	v_pk_add_f32 v[10:11], v[14:15], 1.0 op_sel_hi:[1,0]
	s_addc_u32 s0, s27, s1
	;;#ASMSTART
	v_pk_mul_f32 v[8:9], v[8:9], v[10:11]
	;;#ASMEND
	v_pk_add_f32 v[10:11], v[16:17], 1.0 op_sel_hi:[1,0]
	s_and_b32 s21, s0, 0xffff
	s_mov_b32 s0, 0x7060302
	;;#ASMSTART
	v_pk_mul_f32 v[10:11], v[2:3], v[10:11]
	;;#ASMEND
	v_perm_b32 v2, v7, v6, s0
	v_perm_b32 v3, v5, v4, s0
	;; [unrolled: 1-line block ×4, first 2 shown]
	buffer_store_dwordx4 v[2:5], v1, s[20:23], 0 offen
	;;#ASMSTART
	s_nop 0
	;;#ASMEND
	s_endpgm
	.section	.rodata,"a",@progbits
	.p2align	6, 0x0
	.amdhsa_kernel _ZN5aiter35fused_qk_rmsnorm_group_quant_kernelItDB8_Li128ELi8ELi1ELb1ELb1ELb1ELb0ELb1ELb1EEEvPT0_PvPT_S6_S6_PKS5_S8_S8_S8_S8_ffiiiiiiiiiiiii
		.amdhsa_group_segment_fixed_size 24
		.amdhsa_private_segment_fixed_size 0
		.amdhsa_kernarg_size 400
		.amdhsa_user_sgpr_count 6
		.amdhsa_user_sgpr_private_segment_buffer 1
		.amdhsa_user_sgpr_dispatch_ptr 0
		.amdhsa_user_sgpr_queue_ptr 0
		.amdhsa_user_sgpr_kernarg_segment_ptr 1
		.amdhsa_user_sgpr_dispatch_id 0
		.amdhsa_user_sgpr_flat_scratch_init 0
		.amdhsa_user_sgpr_kernarg_preload_length 0
		.amdhsa_user_sgpr_kernarg_preload_offset 0
		.amdhsa_user_sgpr_private_segment_size 0
		.amdhsa_uses_dynamic_stack 0
		.amdhsa_system_sgpr_private_segment_wavefront_offset 0
		.amdhsa_system_sgpr_workgroup_id_x 1
		.amdhsa_system_sgpr_workgroup_id_y 1
		.amdhsa_system_sgpr_workgroup_id_z 0
		.amdhsa_system_sgpr_workgroup_info 0
		.amdhsa_system_vgpr_workitem_id 0
		.amdhsa_next_free_vgpr 27
		.amdhsa_next_free_sgpr 44
		.amdhsa_accum_offset 28
		.amdhsa_reserve_vcc 1
		.amdhsa_reserve_flat_scratch 0
		.amdhsa_float_round_mode_32 0
		.amdhsa_float_round_mode_16_64 0
		.amdhsa_float_denorm_mode_32 3
		.amdhsa_float_denorm_mode_16_64 3
		.amdhsa_dx10_clamp 1
		.amdhsa_ieee_mode 1
		.amdhsa_fp16_overflow 0
		.amdhsa_tg_split 0
		.amdhsa_exception_fp_ieee_invalid_op 0
		.amdhsa_exception_fp_denorm_src 0
		.amdhsa_exception_fp_ieee_div_zero 0
		.amdhsa_exception_fp_ieee_overflow 0
		.amdhsa_exception_fp_ieee_underflow 0
		.amdhsa_exception_fp_ieee_inexact 0
		.amdhsa_exception_int_div_zero 0
	.end_amdhsa_kernel
	.section	.text._ZN5aiter35fused_qk_rmsnorm_group_quant_kernelItDB8_Li128ELi8ELi1ELb1ELb1ELb1ELb0ELb1ELb1EEEvPT0_PvPT_S6_S6_PKS5_S8_S8_S8_S8_ffiiiiiiiiiiiii,"axG",@progbits,_ZN5aiter35fused_qk_rmsnorm_group_quant_kernelItDB8_Li128ELi8ELi1ELb1ELb1ELb1ELb0ELb1ELb1EEEvPT0_PvPT_S6_S6_PKS5_S8_S8_S8_S8_ffiiiiiiiiiiiii,comdat
.Lfunc_end18:
	.size	_ZN5aiter35fused_qk_rmsnorm_group_quant_kernelItDB8_Li128ELi8ELi1ELb1ELb1ELb1ELb0ELb1ELb1EEEvPT0_PvPT_S6_S6_PKS5_S8_S8_S8_S8_ffiiiiiiiiiiiii, .Lfunc_end18-_ZN5aiter35fused_qk_rmsnorm_group_quant_kernelItDB8_Li128ELi8ELi1ELb1ELb1ELb1ELb0ELb1ELb1EEEvPT0_PvPT_S6_S6_PKS5_S8_S8_S8_S8_ffiiiiiiiiiiiii
                                        ; -- End function
	.section	.AMDGPU.csdata,"",@progbits
; Kernel info:
; codeLenInByte = 3208
; NumSgprs: 48
; NumVgprs: 27
; NumAgprs: 0
; TotalNumVgprs: 27
; ScratchSize: 0
; MemoryBound: 0
; FloatMode: 240
; IeeeMode: 1
; LDSByteSize: 24 bytes/workgroup (compile time only)
; SGPRBlocks: 5
; VGPRBlocks: 3
; NumSGPRsForWavesPerEU: 48
; NumVGPRsForWavesPerEU: 27
; AccumOffset: 28
; Occupancy: 8
; WaveLimiterHint : 0
; COMPUTE_PGM_RSRC2:SCRATCH_EN: 0
; COMPUTE_PGM_RSRC2:USER_SGPR: 6
; COMPUTE_PGM_RSRC2:TRAP_HANDLER: 0
; COMPUTE_PGM_RSRC2:TGID_X_EN: 1
; COMPUTE_PGM_RSRC2:TGID_Y_EN: 1
; COMPUTE_PGM_RSRC2:TGID_Z_EN: 0
; COMPUTE_PGM_RSRC2:TIDIG_COMP_CNT: 0
; COMPUTE_PGM_RSRC3_GFX90A:ACCUM_OFFSET: 6
; COMPUTE_PGM_RSRC3_GFX90A:TG_SPLIT: 0
	.section	.text._ZN5aiter35fused_qk_rmsnorm_group_quant_kernelIDF16_DB8_Li128ELi8ELi1ELb1ELb1ELb0ELb0ELb1ELb1EEEvPT0_PvPT_S6_S6_PKS5_S8_S8_S8_S8_ffiiiiiiiiiiiii,"axG",@progbits,_ZN5aiter35fused_qk_rmsnorm_group_quant_kernelIDF16_DB8_Li128ELi8ELi1ELb1ELb1ELb0ELb0ELb1ELb1EEEvPT0_PvPT_S6_S6_PKS5_S8_S8_S8_S8_ffiiiiiiiiiiiii,comdat
	.protected	_ZN5aiter35fused_qk_rmsnorm_group_quant_kernelIDF16_DB8_Li128ELi8ELi1ELb1ELb1ELb0ELb0ELb1ELb1EEEvPT0_PvPT_S6_S6_PKS5_S8_S8_S8_S8_ffiiiiiiiiiiiii ; -- Begin function _ZN5aiter35fused_qk_rmsnorm_group_quant_kernelIDF16_DB8_Li128ELi8ELi1ELb1ELb1ELb0ELb0ELb1ELb1EEEvPT0_PvPT_S6_S6_PKS5_S8_S8_S8_S8_ffiiiiiiiiiiiii
	.globl	_ZN5aiter35fused_qk_rmsnorm_group_quant_kernelIDF16_DB8_Li128ELi8ELi1ELb1ELb1ELb0ELb0ELb1ELb1EEEvPT0_PvPT_S6_S6_PKS5_S8_S8_S8_S8_ffiiiiiiiiiiiii
	.p2align	8
	.type	_ZN5aiter35fused_qk_rmsnorm_group_quant_kernelIDF16_DB8_Li128ELi8ELi1ELb1ELb1ELb0ELb0ELb1ELb1EEEvPT0_PvPT_S6_S6_PKS5_S8_S8_S8_S8_ffiiiiiiiiiiiii,@function
_ZN5aiter35fused_qk_rmsnorm_group_quant_kernelIDF16_DB8_Li128ELi8ELi1ELb1ELb1ELb0ELb0ELb1ELb1EEEvPT0_PvPT_S6_S6_PKS5_S8_S8_S8_S8_ffiiiiiiiiiiiii: ; @_ZN5aiter35fused_qk_rmsnorm_group_quant_kernelIDF16_DB8_Li128ELi8ELi1ELb1ELb1ELb0ELb0ELb1ELb1EEEvPT0_PvPT_S6_S6_PKS5_S8_S8_S8_S8_ffiiiiiiiiiiiii
; %bb.0:
	s_load_dwordx8 s[12:19], s[4:5], 0x50
	s_waitcnt lgkmcnt(0)
	s_cmp_ge_i32 s6, s14
	s_cbranch_scc1 .LBB19_17
; %bb.1:
	s_cmp_lg_u32 s7, 0
	s_cselect_b64 s[22:23], -1, 0
	s_cmp_eq_u32 s7, 0
	s_cselect_b64 s[8:9], -1, 0
	s_and_b64 s[0:1], s[8:9], exec
	s_load_dwordx2 s[10:11], s[4:5], 0x70
	s_load_dwordx2 s[20:21], s[4:5], 0x48
	;; [unrolled: 1-line block ×3, first 2 shown]
	s_cselect_b32 s7, s15, s16
	s_add_i32 s0, s7, 1
	s_lshr_b32 s1, s0, 31
	s_add_i32 s0, s0, s1
	s_lshl_b32 s0, s0, 1
	v_lshlrev_b32_e32 v1, 3, v0
	s_and_b32 s30, s0, -4
	v_cmp_gt_i32_e64 s[0:1], s7, v1
	v_mov_b32_e32 v24, 0
	v_mov_b32_e32 v25, 0
	;; [unrolled: 1-line block ×8, first 2 shown]
	s_and_saveexec_b64 s[2:3], s[0:1]
	s_cbranch_execz .LBB19_3
; %bb.2:
	s_load_dwordx2 s[24:25], s[4:5], 0x28
	s_load_dwordx2 s[26:27], s[4:5], 0x40
	s_and_b64 s[28:29], s[8:9], exec
	s_cselect_b32 s14, s17, s18
	s_mov_b32 s31, 0x20000
	s_waitcnt lgkmcnt(0)
	s_cselect_b32 s17, s25, s35
	s_cselect_b32 s28, s24, s34
	s_mul_hi_i32 s25, s14, s6
	s_mul_i32 s24, s14, s6
	s_lshl_b64 s[24:25], s[24:25], 1
	s_add_u32 s24, s28, s24
	s_addc_u32 s14, s17, s25
	s_and_b64 s[28:29], s[8:9], exec
	s_cselect_b32 s28, s26, s20
	s_cselect_b32 s17, s27, s21
	v_lshlrev_b32_e32 v2, 4, v0
	s_and_b32 s25, s14, 0xffff
	s_mov_b32 s26, s30
	s_mov_b32 s27, s31
	s_and_b32 s29, s17, 0xffff
	buffer_load_dwordx4 v[28:31], v2, s[24:27], 0 offen glc slc
	buffer_load_dwordx4 v[24:27], v2, s[28:31], 0 offen
.LBB19_3:
	s_or_b64 exec, exec, s[2:3]
	s_load_dwordx4 s[24:27], s[4:5], 0x7c
	s_and_b64 vcc, exec, s[22:23]
	s_cbranch_vccz .LBB19_7
; %bb.4:
	v_mov_b32_e32 v33, 0
	v_mov_b32_e32 v32, 0
	;; [unrolled: 1-line block ×8, first 2 shown]
	s_and_saveexec_b64 s[2:3], s[0:1]
	s_cbranch_execz .LBB19_6
; %bb.5:
	s_waitcnt vmcnt(1)
	v_cvt_f32_f16_sdwa v17, v28 dst_sel:DWORD dst_unused:UNUSED_PAD src0_sel:WORD_1
	v_cvt_f32_f16_e32 v16, v28
	v_cvt_f32_f16_sdwa v11, v29 dst_sel:DWORD dst_unused:UNUSED_PAD src0_sel:WORD_1
	v_cvt_f32_f16_e32 v10, v29
	;; [unrolled: 2-line block ×4, first 2 shown]
.LBB19_6:
	s_or_b64 exec, exec, s[2:3]
	s_cbranch_execz .LBB19_8
	s_branch .LBB19_11
.LBB19_7:
                                        ; implicit-def: $vgpr8_vgpr9_vgpr10_vgpr11_vgpr12_vgpr13_vgpr14_vgpr15
                                        ; implicit-def: $vgpr33
                                        ; implicit-def: $vgpr16_vgpr17_vgpr18_vgpr19_vgpr20_vgpr21_vgpr22_vgpr23
                                        ; implicit-def: $vgpr2_vgpr3_vgpr4_vgpr5_vgpr6_vgpr7_vgpr8_vgpr9
.LBB19_8:
	v_mov_b32_e32 v33, 0
	v_mov_b32_e32 v32, 0
	;; [unrolled: 1-line block ×8, first 2 shown]
	s_and_saveexec_b64 s[2:3], s[0:1]
	s_cbranch_execz .LBB19_10
; %bb.9:
	s_load_dwordx2 s[28:29], s[4:5], 0x38
	s_mul_hi_i32 s37, s19, s6
	s_mul_i32 s36, s19, s6
	s_lshl_b64 s[36:37], s[36:37], 1
	s_mov_b32 s31, 0x20000
	s_waitcnt lgkmcnt(0)
	s_add_u32 s28, s28, s36
	s_addc_u32 s14, s29, s37
	s_and_b32 s29, s14, 0xffff
	v_lshlrev_b32_e32 v20, 4, v0
	buffer_load_dwordx4 v[2:5], v20, s[28:31], 0 offen glc slc
	s_waitcnt vmcnt(2)
	v_cvt_f32_f16_sdwa v7, v28 dst_sel:DWORD dst_unused:UNUSED_PAD src0_sel:WORD_1
	v_cvt_f32_f16_e32 v6, v28
	v_cvt_f32_f16_sdwa v9, v29 dst_sel:DWORD dst_unused:UNUSED_PAD src0_sel:WORD_1
	v_cvt_f32_f16_e32 v8, v29
	;; [unrolled: 2-line block ×4, first 2 shown]
	s_load_dwordx2 s[28:29], s[4:5], 0x20
	s_mul_hi_i32 s27, s26, s6
	s_mul_i32 s26, s26, s6
	s_lshl_b64 s[26:27], s[26:27], 1
	s_waitcnt lgkmcnt(0)
	s_add_u32 s28, s28, s26
	s_addc_u32 s14, s29, s27
	s_and_b32 s29, s14, 0xffff
	s_waitcnt vmcnt(0)
	v_cvt_f32_f16_e32 v10, v2
	v_cvt_f32_f16_sdwa v11, v2 dst_sel:DWORD dst_unused:UNUSED_PAD src0_sel:WORD_1
	v_cvt_f32_f16_e32 v2, v3
	v_cvt_f32_f16_sdwa v3, v3 dst_sel:DWORD dst_unused:UNUSED_PAD src0_sel:WORD_1
	v_cvt_f32_f16_e32 v18, v4
	v_cvt_f32_f16_sdwa v19, v4 dst_sel:DWORD dst_unused:UNUSED_PAD src0_sel:WORD_1
	v_cvt_f32_f16_e32 v4, v5
	v_cvt_f32_f16_sdwa v5, v5 dst_sel:DWORD dst_unused:UNUSED_PAD src0_sel:WORD_1
	v_pk_add_f32 v[16:17], v[6:7], v[10:11]
	v_pk_add_f32 v[10:11], v[8:9], v[2:3]
	;; [unrolled: 1-line block ×4, first 2 shown]
	v_cvt_f16_f32_e32 v2, v17
	v_cvt_f16_f32_e32 v3, v11
	;; [unrolled: 1-line block ×8, first 2 shown]
	v_pack_b32_f16 v5, v8, v5
	v_pack_b32_f16 v4, v9, v4
	v_pack_b32_f16 v3, v12, v3
	v_pack_b32_f16 v2, v13, v2
	buffer_store_dwordx4 v[2:5], v20, s[28:31], 0 offen glc slc
	;;#ASMSTART
	s_nop 0
	;;#ASMEND
.LBB19_10:
	s_or_b64 exec, exec, s[2:3]
.LBB19_11:
	v_mul_f32_e32 v2, v17, v17
	v_fmac_f32_e32 v2, v16, v16
	v_fmac_f32_e32 v2, v10, v10
	;; [unrolled: 1-line block ×7, first 2 shown]
	v_and_b32_e32 v4, 63, v0
	v_cmp_eq_u32_e64 s[2:3], 63, v4
	v_mov_b32_dpp v3, v2 quad_perm:[1,0,3,2] row_mask:0xf bank_mask:0xf
	v_add_f32_e32 v2, v2, v3
	s_nop 1
	v_mov_b32_dpp v3, v2 quad_perm:[2,3,0,1] row_mask:0xf bank_mask:0xf
	v_add_f32_e32 v2, v2, v3
	s_nop 1
	v_mov_b32_dpp v3, v2 row_half_mirror row_mask:0xf bank_mask:0xf
	v_add_f32_e32 v2, v2, v3
	s_nop 1
	v_mov_b32_dpp v3, v2 row_mirror row_mask:0xf bank_mask:0xf
	v_add_f32_e32 v2, v2, v3
	s_nop 1
	v_mov_b32_dpp v3, v2 row_bcast:15 row_mask:0xf bank_mask:0xf
	v_add_f32_e32 v2, v2, v3
	s_nop 1
	v_mov_b32_dpp v3, v2 row_bcast:31 row_mask:0xf bank_mask:0xf
	s_waitcnt lgkmcnt(0)
	s_and_saveexec_b64 s[26:27], s[2:3]
	s_cbranch_execz .LBB19_13
; %bb.12:
	v_add_f32_e32 v2, v2, v3
	v_lshrrev_b32_e32 v3, 4, v0
	v_and_b32_e32 v3, 60, v3
	ds_write_b32 v3, v2 offset:16
.LBB19_13:
	s_or_b64 exec, exec, s[26:27]
	v_and_b32_e32 v2, 1, v0
	v_lshlrev_b32_e32 v18, 2, v2
	s_waitcnt lgkmcnt(0)
	s_barrier
	ds_read_b32 v2, v18 offset:16
	s_load_dwordx2 s[26:27], s[4:5], 0x18
	s_waitcnt lgkmcnt(0)
	v_mov_b32_dpp v3, v2 quad_perm:[1,0,3,2] row_mask:0xf bank_mask:0xf
	s_and_saveexec_b64 s[28:29], s[0:1]
	s_cbranch_execnz .LBB19_18
; %bb.14:
	s_or_b64 exec, exec, s[28:29]
	s_mov_b64 s[8:9], -1
	s_and_b64 vcc, exec, s[22:23]
	s_cbranch_vccnz .LBB19_19
.LBB19_15:
	s_andn2_b64 vcc, exec, s[8:9]
	s_cbranch_vccz .LBB19_22
.LBB19_16:
	s_cmp_lt_i32 s16, 1
	s_cbranch_scc0 .LBB19_33
.LBB19_17:
	s_endpgm
.LBB19_18:
	v_cvt_f32_u32_e32 v4, s7
	v_add_f32_e32 v2, v2, v3
	v_mov_b32_e32 v8, s13
	v_mov_b32_e32 v9, s12
	v_div_scale_f32 v3, s[36:37], v4, v4, v2
	v_rcp_f32_e32 v5, v3
	v_cndmask_b32_e64 v8, v8, v9, s[8:9]
	s_mov_b32 s7, 0x800000
	s_waitcnt vmcnt(0)
	v_cvt_f32_f16_sdwa v15, v26 dst_sel:DWORD dst_unused:UNUSED_PAD src0_sel:WORD_1
	v_fma_f32 v9, -v3, v5, 1.0
	v_fmac_f32_e32 v5, v9, v5
	v_div_scale_f32 v9, vcc, v2, v4, v2
	v_mul_f32_e32 v12, v9, v5
	v_fma_f32 v13, -v3, v12, v9
	v_fmac_f32_e32 v12, v13, v5
	v_fma_f32 v3, -v3, v12, v9
	v_div_fmas_f32 v3, v3, v5, v12
	v_div_fixup_f32 v2, v3, v4, v2
	v_add_f32_e32 v2, v8, v2
	v_mul_f32_e32 v3, 0x4b800000, v2
	v_cmp_gt_f32_e32 vcc, s7, v2
	v_cndmask_b32_e32 v2, v2, v3, vcc
	v_rsq_f32_e32 v2, v2
	v_cvt_f32_f16_sdwa v13, v25 dst_sel:DWORD dst_unused:UNUSED_PAD src0_sel:WORD_1
	v_cvt_f32_f16_e32 v12, v25
	v_cvt_f32_f16_e32 v14, v26
	v_mul_f32_e32 v3, 0x45800000, v2
	v_cndmask_b32_e32 v2, v2, v3, vcc
	v_mov_b32_e32 v3, v2
	;;#ASMSTART
	v_pk_mul_f32 v[4:5], v[16:17], v[2:3]
	;;#ASMEND
	;;#ASMSTART
	v_pk_mul_f32 v[8:9], v[10:11], v[2:3]
	;;#ASMEND
	;;#ASMSTART
	v_pk_mul_f32 v[6:7], v[6:7], v[2:3]
	;;#ASMEND
	v_cvt_f32_f16_sdwa v11, v24 dst_sel:DWORD dst_unused:UNUSED_PAD src0_sel:WORD_1
	v_cvt_f32_f16_e32 v10, v24
	;;#ASMSTART
	v_pk_mul_f32 v[2:3], v[32:33], v[2:3]
	;;#ASMEND
	v_cvt_f32_f16_sdwa v21, v27 dst_sel:DWORD dst_unused:UNUSED_PAD src0_sel:WORD_1
	v_cvt_f32_f16_e32 v20, v27
	;;#ASMSTART
	v_pk_mul_f32 v[16:17], v[4:5], v[10:11]
	;;#ASMEND
	;;#ASMSTART
	v_pk_mul_f32 v[10:11], v[8:9], v[12:13]
	;;#ASMEND
	;;#ASMSTART
	v_pk_mul_f32 v[6:7], v[6:7], v[14:15]
	;;#ASMEND
	;;#ASMSTART
	v_pk_mul_f32 v[32:33], v[2:3], v[20:21]
	;;#ASMEND
	s_or_b64 exec, exec, s[28:29]
	s_mov_b64 s[8:9], -1
	s_and_b64 vcc, exec, s[22:23]
	s_cbranch_vccz .LBB19_15
.LBB19_19:
	s_and_saveexec_b64 s[8:9], s[0:1]
	s_cbranch_execz .LBB19_21
; %bb.20:
	s_mul_hi_i32 s23, s25, s6
	s_mul_i32 s22, s25, s6
	v_cvt_f16_f32_e32 v2, v16
	v_cvt_f16_f32_e32 v3, v10
	;; [unrolled: 1-line block ×8, first 2 shown]
	s_lshl_b64 s[22:23], s[22:23], 1
	s_add_u32 s28, s26, s22
	s_addc_u32 s7, s27, s23
	s_and_b32 s29, s7, 0xffff
	s_mov_b32 s31, 0x20000
	v_pack_b32_f16 v5, v5, v8
	v_pack_b32_f16 v4, v4, v9
	;; [unrolled: 1-line block ×4, first 2 shown]
	v_lshlrev_b32_e32 v8, 4, v0
	buffer_store_dwordx4 v[2:5], v8, s[28:31], 0 offen
	;;#ASMSTART
	s_nop 0
	;;#ASMEND
.LBB19_21:
	s_or_b64 exec, exec, s[8:9]
	s_cbranch_execnz .LBB19_16
.LBB19_22:
	v_mov_b32_e32 v2, 0
	s_and_saveexec_b64 s[8:9], s[0:1]
	s_cbranch_execz .LBB19_24
; %bb.23:
	s_load_dwordx2 s[22:23], s[4:5], 0x10
	s_mul_hi_i32 s29, s24, s6
	s_mul_i32 s28, s24, s6
	v_cvt_f16_f32_e32 v2, v16
	v_cvt_f16_f32_e32 v3, v10
	;; [unrolled: 1-line block ×8, first 2 shown]
	s_lshl_b64 s[28:29], s[28:29], 1
	s_waitcnt lgkmcnt(0)
	s_add_u32 s28, s22, s28
	s_addc_u32 s7, s23, s29
	s_mov_b32 s31, 0x20000
	s_and_b32 s29, s7, 0xffff
	v_pack_b32_f16 v5, v5, v8
	v_pack_b32_f16 v4, v4, v9
	;; [unrolled: 1-line block ×4, first 2 shown]
	v_lshlrev_b32_e32 v8, 4, v0
	buffer_store_dwordx4 v[2:5], v8, s[28:31], 0 offen
	;;#ASMSTART
	s_nop 0
	;;#ASMEND
	s_nop 0
	v_mov_b32_e32 v2, 0x2edbe6ff
.LBB19_24:
	s_or_b64 exec, exec, s[8:9]
	s_and_saveexec_b64 s[8:9], s[0:1]
	s_cbranch_execz .LBB19_26
; %bb.25:
	v_and_b32_e32 v3, 0x7fffffff, v16
	v_and_b32_e32 v4, 0x7fffffff, v17
	;;#ASMSTART
	v_max3_f32 v2, v2, v3, v4

	;;#ASMEND
	v_and_b32_e32 v3, 0x7fffffff, v10
	v_and_b32_e32 v4, 0x7fffffff, v11
	;;#ASMSTART
	v_max3_f32 v2, v2, v3, v4

	;;#ASMEND
	;; [unrolled: 6-line block ×4, first 2 shown]
.LBB19_26:
	s_or_b64 exec, exec, s[8:9]
	s_nop 0
	v_mov_b32_dpp v3, v2 quad_perm:[1,0,3,2] row_mask:0xf bank_mask:0xf
	v_cmp_gt_f32_e32 vcc, v2, v3
	v_cndmask_b32_e32 v2, v3, v2, vcc
	s_nop 1
	v_mov_b32_dpp v3, v2 quad_perm:[2,3,0,1] row_mask:0xf bank_mask:0xf
	v_cmp_gt_f32_e32 vcc, v2, v3
	v_cndmask_b32_e32 v2, v3, v2, vcc
	s_nop 1
	v_mov_b32_dpp v3, v2 row_half_mirror row_mask:0xf bank_mask:0xf
	v_cmp_gt_f32_e32 vcc, v2, v3
	v_cndmask_b32_e32 v2, v3, v2, vcc
	s_nop 1
	v_mov_b32_dpp v3, v2 row_mirror row_mask:0xf bank_mask:0xf
	v_cmp_gt_f32_e32 vcc, v2, v3
	v_cndmask_b32_e32 v2, v3, v2, vcc
	s_nop 1
	v_mov_b32_dpp v3, v2 row_bcast:15 row_mask:0xf bank_mask:0xf
	v_cmp_gt_f32_e32 vcc, v2, v3
	v_cndmask_b32_e32 v2, v3, v2, vcc
	s_nop 1
	v_mov_b32_dpp v3, v2 row_bcast:31 row_mask:0xf bank_mask:0xf
	s_and_saveexec_b64 s[8:9], s[2:3]
	s_cbranch_execz .LBB19_28
; %bb.27:
	v_cmp_gt_f32_e32 vcc, v2, v3
	v_cndmask_b32_e32 v2, v3, v2, vcc
	v_lshrrev_b32_e32 v3, 4, v0
	v_and_b32_e32 v3, 60, v3
	ds_write_b32 v3, v2
.LBB19_28:
	s_or_b64 exec, exec, s[8:9]
	s_waitcnt lgkmcnt(0)
	s_barrier
	ds_read_b32 v2, v18
	s_waitcnt lgkmcnt(0)
	s_nop 0
	v_mov_b32_dpp v3, v2 quad_perm:[1,0,3,2] row_mask:0xf bank_mask:0xf
	v_cmp_gt_f32_e32 vcc, v2, v3
	v_cndmask_b32_e32 v2, v3, v2, vcc
	v_mul_f32_e32 v2, 0x3b124925, v2
	v_cmp_eq_u32_e32 vcc, 0, v0
	s_and_saveexec_b64 s[8:9], vcc
	s_cbranch_execz .LBB19_30
; %bb.29:
	s_load_dwordx2 s[22:23], s[4:5], 0x8
	s_mul_hi_i32 s29, s11, s6
	s_mul_i32 s28, s11, s6
	s_lshl_b64 s[28:29], s[28:29], 2
	v_mov_b32_e32 v3, 0
	s_waitcnt lgkmcnt(0)
	s_add_u32 s22, s22, s28
	s_addc_u32 s23, s23, s29
	global_store_dword v3, v2, s[22:23]
.LBB19_30:
	s_or_b64 exec, exec, s[8:9]
	;;#ASMSTART
	v_rcp_f32 v2, v2
	;;#ASMEND
	s_and_saveexec_b64 s[22:23], s[0:1]
	s_cbranch_execz .LBB19_32
; %bb.31:
	s_load_dwordx2 s[0:1], s[4:5], 0x0
	s_mul_i32 s8, s10, s6
	v_mov_b32_e32 v3, v2
	;;#ASMSTART
	v_pk_mul_f32 v[4:5], v[16:17], v[2:3]
	;;#ASMEND
	s_mul_hi_i32 s7, s10, s6
	s_waitcnt lgkmcnt(0)
	s_add_u32 s8, s0, s8
	v_mov_b32_e32 v8, 0xc3e00000
	v_mov_b32_e32 v9, 0x43e00000
	;;#ASMSTART
	v_med3_f32 v4, v4, v8, v9
v_med3_f32 v5, v5, v8, v9
v_cvt_pk_fp8_f32 v12, v4, v5
	;;#ASMEND
	s_addc_u32 s0, s1, s7
	;;#ASMSTART
	v_pk_mul_f32 v[4:5], v[10:11], v[2:3]
	;;#ASMEND
	s_and_b32 s9, s0, 0xffff
	;;#ASMSTART
	v_med3_f32 v4, v4, v8, v9
v_med3_f32 v5, v5, v8, v9
v_cvt_pk_fp8_f32 v10, v4, v5
	;;#ASMEND
	s_mov_b32 s0, 0x5040100
	v_perm_b32 v5, v10, v12, s0
	s_movk_i32 s0, 0xff
	v_and_b32_e32 v4, 0xffffff00, v10
	v_and_b32_sdwa v10, v5, s0 dst_sel:DWORD dst_unused:UNUSED_PAD src0_sel:WORD_1 src1_sel:DWORD
	s_mov_b32 s12, 0xffff
	v_or_b32_sdwa v4, v10, v4 dst_sel:WORD_1 dst_unused:UNUSED_PAD src0_sel:DWORD src1_sel:DWORD
	s_add_i32 s1, s15, 3
	v_and_or_b32 v4, v5, s12, v4
	;;#ASMSTART
	v_pk_mul_f32 v[6:7], v[6:7], v[2:3]
	;;#ASMEND
	v_mov_b32_e32 v5, v7
	s_ashr_i32 s7, s1, 31
	;;#ASMSTART
	v_med3_f32 v6, v6, v8, v9
v_med3_f32 v5, v5, v8, v9
v_cvt_pk_fp8_f32 v7, v6, v5
	;;#ASMEND
	;;#ASMSTART
	v_pk_mul_f32 v[2:3], v[32:33], v[2:3]
	;;#ASMEND
	s_lshr_b32 s7, s7, 30
	;;#ASMSTART
	v_med3_f32 v2, v2, v8, v9
v_med3_f32 v3, v3, v8, v9
v_cvt_pk_fp8_f32 v5, v2, v3
	;;#ASMEND
	s_add_i32 s1, s1, s7
	v_lshlrev_b32_e32 v2, 16, v5
	s_and_b32 s10, s1, -4
	s_mov_b32 s11, 0x20000
	v_and_or_b32 v5, v7, s12, v2
	buffer_store_dwordx2 v[4:5], v1, s[8:11], 0 offen
	;;#ASMSTART
	s_nop 0
	;;#ASMEND
.LBB19_32:
	s_or_b64 exec, exec, s[22:23]
	s_cmp_lt_i32 s16, 1
	s_cbranch_scc1 .LBB19_17
.LBB19_33:
	s_load_dword s0, s[4:5], 0x94
	s_waitcnt lgkmcnt(0)
	s_cmp_lg_u32 s0, 1
	s_cbranch_scc1 .LBB19_17
; %bb.34:
	s_lshl_b32 s0, s16, 1
	s_add_i32 s0, s0, 2
	v_cmp_gt_u32_e32 vcc, s16, v1
	s_and_b32 s22, s0, -4
	v_mov_b32_e32 v10, 0
	v_lshlrev_b32_e32 v1, 4, v0
	v_mov_b32_e32 v6, 0
	v_mov_b32_e32 v7, 0
	;; [unrolled: 1-line block ×8, first 2 shown]
	s_barrier
	s_and_saveexec_b64 s[0:1], vcc
	s_cbranch_execz .LBB19_36
; %bb.35:
	s_mul_hi_i32 s5, s18, s6
	s_mul_i32 s4, s18, s6
	s_and_b32 s21, s21, 0xffff
	s_lshl_b64 s[4:5], s[4:5], 1
	s_add_u32 s8, s34, s4
	s_mov_b32 s23, 0x20000
	s_addc_u32 s4, s35, s5
	s_and_b32 s9, s4, 0xffff
	s_mov_b32 s10, s22
	s_mov_b32 s11, s23
	buffer_load_dwordx4 v[6:9], v1, s[8:11], 0 offen glc slc
	buffer_load_dwordx4 v[2:5], v1, s[20:23], 0 offen
.LBB19_36:
	s_or_b64 exec, exec, s[0:1]
	v_mov_b32_e32 v11, 0
	v_mov_b32_e32 v16, 0
	;; [unrolled: 1-line block ×7, first 2 shown]
	s_and_saveexec_b64 s[0:1], vcc
	s_cbranch_execz .LBB19_38
; %bb.37:
	s_waitcnt vmcnt(1)
	v_cvt_f32_f16_sdwa v11, v6 dst_sel:DWORD dst_unused:UNUSED_PAD src0_sel:WORD_1
	v_cvt_f32_f16_e32 v10, v6
	v_cvt_f32_f16_sdwa v17, v7 dst_sel:DWORD dst_unused:UNUSED_PAD src0_sel:WORD_1
	v_cvt_f32_f16_e32 v16, v7
	;; [unrolled: 2-line block ×4, first 2 shown]
.LBB19_38:
	s_or_b64 exec, exec, s[0:1]
	s_waitcnt vmcnt(1)
	v_mul_f32_e32 v6, v11, v11
	v_fmac_f32_e32 v6, v10, v10
	v_fmac_f32_e32 v6, v16, v16
	;; [unrolled: 1-line block ×7, first 2 shown]
	s_nop 1
	v_mov_b32_dpp v7, v6 quad_perm:[1,0,3,2] row_mask:0xf bank_mask:0xf
	v_add_f32_e32 v6, v6, v7
	s_nop 1
	v_mov_b32_dpp v7, v6 quad_perm:[2,3,0,1] row_mask:0xf bank_mask:0xf
	v_add_f32_e32 v6, v6, v7
	s_nop 1
	v_mov_b32_dpp v7, v6 row_half_mirror row_mask:0xf bank_mask:0xf
	v_add_f32_e32 v6, v6, v7
	s_nop 1
	v_mov_b32_dpp v7, v6 row_mirror row_mask:0xf bank_mask:0xf
	v_add_f32_e32 v6, v6, v7
	s_nop 1
	v_mov_b32_dpp v7, v6 row_bcast:15 row_mask:0xf bank_mask:0xf
	v_add_f32_e32 v6, v6, v7
	s_nop 1
	v_mov_b32_dpp v7, v6 row_bcast:31 row_mask:0xf bank_mask:0xf
	s_and_saveexec_b64 s[0:1], s[2:3]
	s_cbranch_execz .LBB19_40
; %bb.39:
	v_lshrrev_b32_e32 v0, 4, v0
	v_add_f32_e32 v6, v6, v7
	v_and_b32_e32 v0, 60, v0
	ds_write_b32 v0, v6 offset:8
.LBB19_40:
	s_or_b64 exec, exec, s[0:1]
	s_waitcnt lgkmcnt(0)
	s_barrier
	ds_read_b32 v0, v18 offset:8
	s_waitcnt lgkmcnt(0)
	s_nop 0
	v_mov_b32_dpp v6, v0 quad_perm:[1,0,3,2] row_mask:0xf bank_mask:0xf
	s_and_saveexec_b64 s[0:1], vcc
	s_cbranch_execz .LBB19_17
; %bb.41:
	v_cvt_f32_u32_e32 v7, s16
	v_add_f32_e32 v0, v0, v6
	s_mov_b32 s23, 0x20000
	v_div_scale_f32 v6, s[0:1], v7, v7, v0
	v_rcp_f32_e32 v8, v6
	v_div_scale_f32 v9, vcc, v0, v7, v0
	s_mov_b32 s0, 0x800000
	v_fma_f32 v18, -v6, v8, 1.0
	v_fmac_f32_e32 v8, v18, v8
	v_mul_f32_e32 v18, v9, v8
	v_fma_f32 v19, -v6, v18, v9
	v_fmac_f32_e32 v18, v19, v8
	v_fma_f32 v6, -v6, v18, v9
	v_div_fmas_f32 v6, v6, v8, v18
	v_div_fixup_f32 v0, v6, v7, v0
	v_add_f32_e32 v0, s13, v0
	v_mul_f32_e32 v6, 0x4b800000, v0
	v_cmp_gt_f32_e32 vcc, s0, v0
	v_cndmask_b32_e32 v0, v0, v6, vcc
	v_rsq_f32_e32 v0, v0
	s_waitcnt vmcnt(0)
	v_cvt_f32_f16_sdwa v19, v5 dst_sel:DWORD dst_unused:UNUSED_PAD src0_sel:WORD_1
	v_cvt_f32_f16_e32 v18, v5
	s_mul_hi_i32 s1, s25, s6
	v_mul_f32_e32 v6, 0x45800000, v0
	v_cndmask_b32_e32 v6, v0, v6, vcc
	v_mov_b32_e32 v7, v6
	;;#ASMSTART
	v_pk_mul_f32 v[8:9], v[10:11], v[6:7]
	;;#ASMEND
	;;#ASMSTART
	v_pk_mul_f32 v[10:11], v[16:17], v[6:7]
	;;#ASMEND
	;; [unrolled: 3-line block ×4, first 2 shown]
	v_cvt_f32_f16_sdwa v13, v2 dst_sel:DWORD dst_unused:UNUSED_PAD src0_sel:WORD_1
	v_cvt_f32_f16_e32 v12, v2
	v_cvt_f32_f16_sdwa v17, v3 dst_sel:DWORD dst_unused:UNUSED_PAD src0_sel:WORD_1
	v_cvt_f32_f16_e32 v16, v3
	;; [unrolled: 2-line block ×3, first 2 shown]
	;;#ASMSTART
	v_pk_mul_f32 v[4:5], v[8:9], v[12:13]
	;;#ASMEND
	;;#ASMSTART
	v_pk_mul_f32 v[8:9], v[10:11], v[16:17]
	;;#ASMEND
	;; [unrolled: 3-line block ×4, first 2 shown]
	s_mul_i32 s0, s25, s6
	v_cvt_f16_f32_e32 v0, v4
	v_cvt_f16_f32_e32 v4, v5
	;; [unrolled: 1-line block ×8, first 2 shown]
	s_lshl_b64 s[0:1], s[0:1], 1
	s_add_u32 s20, s26, s0
	s_addc_u32 s0, s27, s1
	s_and_b32 s21, s0, 0xffff
	v_pack_b32_f16 v2, v0, v4
	v_pack_b32_f16 v3, v5, v8
	;; [unrolled: 1-line block ×4, first 2 shown]
	buffer_store_dwordx4 v[2:5], v1, s[20:23], 0 offen
	;;#ASMSTART
	s_nop 0
	;;#ASMEND
	s_endpgm
	.section	.rodata,"a",@progbits
	.p2align	6, 0x0
	.amdhsa_kernel _ZN5aiter35fused_qk_rmsnorm_group_quant_kernelIDF16_DB8_Li128ELi8ELi1ELb1ELb1ELb0ELb0ELb1ELb1EEEvPT0_PvPT_S6_S6_PKS5_S8_S8_S8_S8_ffiiiiiiiiiiiii
		.amdhsa_group_segment_fixed_size 24
		.amdhsa_private_segment_fixed_size 0
		.amdhsa_kernarg_size 400
		.amdhsa_user_sgpr_count 6
		.amdhsa_user_sgpr_private_segment_buffer 1
		.amdhsa_user_sgpr_dispatch_ptr 0
		.amdhsa_user_sgpr_queue_ptr 0
		.amdhsa_user_sgpr_kernarg_segment_ptr 1
		.amdhsa_user_sgpr_dispatch_id 0
		.amdhsa_user_sgpr_flat_scratch_init 0
		.amdhsa_user_sgpr_kernarg_preload_length 0
		.amdhsa_user_sgpr_kernarg_preload_offset 0
		.amdhsa_user_sgpr_private_segment_size 0
		.amdhsa_uses_dynamic_stack 0
		.amdhsa_system_sgpr_private_segment_wavefront_offset 0
		.amdhsa_system_sgpr_workgroup_id_x 1
		.amdhsa_system_sgpr_workgroup_id_y 1
		.amdhsa_system_sgpr_workgroup_id_z 0
		.amdhsa_system_sgpr_workgroup_info 0
		.amdhsa_system_vgpr_workitem_id 0
		.amdhsa_next_free_vgpr 34
		.amdhsa_next_free_sgpr 38
		.amdhsa_accum_offset 36
		.amdhsa_reserve_vcc 1
		.amdhsa_reserve_flat_scratch 0
		.amdhsa_float_round_mode_32 0
		.amdhsa_float_round_mode_16_64 0
		.amdhsa_float_denorm_mode_32 3
		.amdhsa_float_denorm_mode_16_64 3
		.amdhsa_dx10_clamp 1
		.amdhsa_ieee_mode 1
		.amdhsa_fp16_overflow 0
		.amdhsa_tg_split 0
		.amdhsa_exception_fp_ieee_invalid_op 0
		.amdhsa_exception_fp_denorm_src 0
		.amdhsa_exception_fp_ieee_div_zero 0
		.amdhsa_exception_fp_ieee_overflow 0
		.amdhsa_exception_fp_ieee_underflow 0
		.amdhsa_exception_fp_ieee_inexact 0
		.amdhsa_exception_int_div_zero 0
	.end_amdhsa_kernel
	.section	.text._ZN5aiter35fused_qk_rmsnorm_group_quant_kernelIDF16_DB8_Li128ELi8ELi1ELb1ELb1ELb0ELb0ELb1ELb1EEEvPT0_PvPT_S6_S6_PKS5_S8_S8_S8_S8_ffiiiiiiiiiiiii,"axG",@progbits,_ZN5aiter35fused_qk_rmsnorm_group_quant_kernelIDF16_DB8_Li128ELi8ELi1ELb1ELb1ELb0ELb0ELb1ELb1EEEvPT0_PvPT_S6_S6_PKS5_S8_S8_S8_S8_ffiiiiiiiiiiiii,comdat
.Lfunc_end19:
	.size	_ZN5aiter35fused_qk_rmsnorm_group_quant_kernelIDF16_DB8_Li128ELi8ELi1ELb1ELb1ELb0ELb0ELb1ELb1EEEvPT0_PvPT_S6_S6_PKS5_S8_S8_S8_S8_ffiiiiiiiiiiiii, .Lfunc_end19-_ZN5aiter35fused_qk_rmsnorm_group_quant_kernelIDF16_DB8_Li128ELi8ELi1ELb1ELb1ELb0ELb0ELb1ELb1EEEvPT0_PvPT_S6_S6_PKS5_S8_S8_S8_S8_ffiiiiiiiiiiiii
                                        ; -- End function
	.section	.AMDGPU.csdata,"",@progbits
; Kernel info:
; codeLenInByte = 3084
; NumSgprs: 42
; NumVgprs: 34
; NumAgprs: 0
; TotalNumVgprs: 34
; ScratchSize: 0
; MemoryBound: 0
; FloatMode: 240
; IeeeMode: 1
; LDSByteSize: 24 bytes/workgroup (compile time only)
; SGPRBlocks: 5
; VGPRBlocks: 4
; NumSGPRsForWavesPerEU: 42
; NumVGPRsForWavesPerEU: 34
; AccumOffset: 36
; Occupancy: 8
; WaveLimiterHint : 0
; COMPUTE_PGM_RSRC2:SCRATCH_EN: 0
; COMPUTE_PGM_RSRC2:USER_SGPR: 6
; COMPUTE_PGM_RSRC2:TRAP_HANDLER: 0
; COMPUTE_PGM_RSRC2:TGID_X_EN: 1
; COMPUTE_PGM_RSRC2:TGID_Y_EN: 1
; COMPUTE_PGM_RSRC2:TGID_Z_EN: 0
; COMPUTE_PGM_RSRC2:TIDIG_COMP_CNT: 0
; COMPUTE_PGM_RSRC3_GFX90A:ACCUM_OFFSET: 8
; COMPUTE_PGM_RSRC3_GFX90A:TG_SPLIT: 0
	.section	.text._ZN5aiter35fused_qk_rmsnorm_group_quant_kernelItDB8_Li128ELi8ELi1ELb1ELb1ELb0ELb0ELb1ELb1EEEvPT0_PvPT_S6_S6_PKS5_S8_S8_S8_S8_ffiiiiiiiiiiiii,"axG",@progbits,_ZN5aiter35fused_qk_rmsnorm_group_quant_kernelItDB8_Li128ELi8ELi1ELb1ELb1ELb0ELb0ELb1ELb1EEEvPT0_PvPT_S6_S6_PKS5_S8_S8_S8_S8_ffiiiiiiiiiiiii,comdat
	.protected	_ZN5aiter35fused_qk_rmsnorm_group_quant_kernelItDB8_Li128ELi8ELi1ELb1ELb1ELb0ELb0ELb1ELb1EEEvPT0_PvPT_S6_S6_PKS5_S8_S8_S8_S8_ffiiiiiiiiiiiii ; -- Begin function _ZN5aiter35fused_qk_rmsnorm_group_quant_kernelItDB8_Li128ELi8ELi1ELb1ELb1ELb0ELb0ELb1ELb1EEEvPT0_PvPT_S6_S6_PKS5_S8_S8_S8_S8_ffiiiiiiiiiiiii
	.globl	_ZN5aiter35fused_qk_rmsnorm_group_quant_kernelItDB8_Li128ELi8ELi1ELb1ELb1ELb0ELb0ELb1ELb1EEEvPT0_PvPT_S6_S6_PKS5_S8_S8_S8_S8_ffiiiiiiiiiiiii
	.p2align	8
	.type	_ZN5aiter35fused_qk_rmsnorm_group_quant_kernelItDB8_Li128ELi8ELi1ELb1ELb1ELb0ELb0ELb1ELb1EEEvPT0_PvPT_S6_S6_PKS5_S8_S8_S8_S8_ffiiiiiiiiiiiii,@function
_ZN5aiter35fused_qk_rmsnorm_group_quant_kernelItDB8_Li128ELi8ELi1ELb1ELb1ELb0ELb0ELb1ELb1EEEvPT0_PvPT_S6_S6_PKS5_S8_S8_S8_S8_ffiiiiiiiiiiiii: ; @_ZN5aiter35fused_qk_rmsnorm_group_quant_kernelItDB8_Li128ELi8ELi1ELb1ELb1ELb0ELb0ELb1ELb1EEEvPT0_PvPT_S6_S6_PKS5_S8_S8_S8_S8_ffiiiiiiiiiiiii
; %bb.0:
	s_load_dwordx8 s[12:19], s[4:5], 0x50
	s_waitcnt lgkmcnt(0)
	s_cmp_ge_i32 s6, s14
	s_cbranch_scc1 .LBB20_17
; %bb.1:
	s_cmp_lg_u32 s7, 0
	s_cselect_b64 s[22:23], -1, 0
	s_cmp_eq_u32 s7, 0
	s_cselect_b64 s[8:9], -1, 0
	s_and_b64 s[0:1], s[8:9], exec
	s_load_dwordx2 s[10:11], s[4:5], 0x70
	s_load_dwordx2 s[20:21], s[4:5], 0x48
	;; [unrolled: 1-line block ×3, first 2 shown]
	s_cselect_b32 s7, s15, s16
	s_add_i32 s0, s7, 1
	s_lshr_b32 s1, s0, 31
	s_add_i32 s0, s0, s1
	s_lshl_b32 s0, s0, 1
	v_lshlrev_b32_e32 v1, 3, v0
	s_and_b32 s30, s0, -4
	v_cmp_gt_i32_e64 s[0:1], s7, v1
	v_mov_b32_e32 v10, 0
	v_mov_b32_e32 v11, 0
	;; [unrolled: 1-line block ×8, first 2 shown]
	s_and_saveexec_b64 s[2:3], s[0:1]
	s_cbranch_execz .LBB20_3
; %bb.2:
	s_load_dwordx2 s[24:25], s[4:5], 0x28
	s_load_dwordx2 s[26:27], s[4:5], 0x40
	s_and_b64 s[28:29], s[8:9], exec
	s_cselect_b32 s14, s17, s18
	s_mov_b32 s31, 0x20000
	s_waitcnt lgkmcnt(0)
	s_cselect_b32 s17, s25, s35
	s_cselect_b32 s28, s24, s34
	s_mul_hi_i32 s25, s14, s6
	s_mul_i32 s24, s14, s6
	s_lshl_b64 s[24:25], s[24:25], 1
	s_add_u32 s24, s28, s24
	s_addc_u32 s14, s17, s25
	s_and_b64 s[28:29], s[8:9], exec
	s_cselect_b32 s28, s26, s20
	s_cselect_b32 s17, s27, s21
	v_lshlrev_b32_e32 v2, 4, v0
	s_and_b32 s25, s14, 0xffff
	s_mov_b32 s26, s30
	s_mov_b32 s27, s31
	s_and_b32 s29, s17, 0xffff
	buffer_load_dwordx4 v[14:17], v2, s[24:27], 0 offen glc slc
	buffer_load_dwordx4 v[10:13], v2, s[28:31], 0 offen
.LBB20_3:
	s_or_b64 exec, exec, s[2:3]
	s_load_dwordx4 s[24:27], s[4:5], 0x7c
	s_and_b64 vcc, exec, s[22:23]
	s_cbranch_vccz .LBB20_7
; %bb.4:
	s_mov_b32 s36, 0
	s_mov_b32 s37, s36
	;; [unrolled: 1-line block ×8, first 2 shown]
	v_pk_mov_b32 v[2:3], s[36:37], s[36:37] op_sel:[0,1]
	v_pk_mov_b32 v[4:5], s[38:39], s[38:39] op_sel:[0,1]
	;; [unrolled: 1-line block ×4, first 2 shown]
	s_and_saveexec_b64 s[2:3], s[0:1]
	s_cbranch_execz .LBB20_6
; %bb.5:
	s_waitcnt vmcnt(1)
	v_cvt_f32_u32_sdwa v3, v14 dst_sel:DWORD dst_unused:UNUSED_PAD src0_sel:WORD_1
	v_cvt_f32_u32_sdwa v2, v14 dst_sel:DWORD dst_unused:UNUSED_PAD src0_sel:WORD_0
	v_cvt_f32_u32_sdwa v5, v15 dst_sel:DWORD dst_unused:UNUSED_PAD src0_sel:WORD_1
	v_cvt_f32_u32_sdwa v4, v15 dst_sel:DWORD dst_unused:UNUSED_PAD src0_sel:WORD_0
	;; [unrolled: 2-line block ×4, first 2 shown]
.LBB20_6:
	s_or_b64 exec, exec, s[2:3]
	s_cbranch_execz .LBB20_8
	s_branch .LBB20_11
.LBB20_7:
                                        ; implicit-def: $vgpr2_vgpr3_vgpr4_vgpr5_vgpr6_vgpr7_vgpr8_vgpr9
.LBB20_8:
	s_mov_b32 s36, 0
	s_mov_b32 s37, s36
	;; [unrolled: 1-line block ×8, first 2 shown]
	v_pk_mov_b32 v[2:3], s[36:37], s[36:37] op_sel:[0,1]
	v_pk_mov_b32 v[4:5], s[38:39], s[38:39] op_sel:[0,1]
	;; [unrolled: 1-line block ×4, first 2 shown]
	s_and_saveexec_b64 s[2:3], s[0:1]
	s_cbranch_execz .LBB20_10
; %bb.9:
	s_load_dwordx2 s[28:29], s[4:5], 0x38
	s_mul_hi_i32 s37, s19, s6
	s_mul_i32 s36, s19, s6
	s_lshl_b64 s[36:37], s[36:37], 1
	s_mov_b32 s31, 0x20000
	s_waitcnt lgkmcnt(0)
	s_add_u32 s28, s28, s36
	s_addc_u32 s14, s29, s37
	s_and_b32 s29, s14, 0xffff
	v_lshlrev_b32_e32 v26, 4, v0
	buffer_load_dwordx4 v[2:5], v26, s[28:31], 0 offen glc slc
	s_load_dwordx2 s[28:29], s[4:5], 0x20
	s_waitcnt vmcnt(2)
	v_cvt_f32_u32_sdwa v7, v14 dst_sel:DWORD dst_unused:UNUSED_PAD src0_sel:WORD_1
	v_cvt_f32_u32_sdwa v6, v14 dst_sel:DWORD dst_unused:UNUSED_PAD src0_sel:WORD_0
	v_cvt_f32_u32_sdwa v9, v15 dst_sel:DWORD dst_unused:UNUSED_PAD src0_sel:WORD_1
	v_cvt_f32_u32_sdwa v8, v15 dst_sel:DWORD dst_unused:UNUSED_PAD src0_sel:WORD_0
	;; [unrolled: 2-line block ×4, first 2 shown]
	s_mul_hi_i32 s27, s26, s6
	s_mul_i32 s26, s26, s6
	s_lshl_b64 s[26:27], s[26:27], 1
	s_waitcnt lgkmcnt(0)
	s_add_u32 s28, s28, s26
	s_mov_b32 s14, 0x7060302
	s_addc_u32 s17, s29, s27
	s_and_b32 s29, s17, 0xffff
	s_waitcnt vmcnt(0)
	v_cvt_f32_u32_sdwa v17, v2 dst_sel:DWORD dst_unused:UNUSED_PAD src0_sel:WORD_1
	v_cvt_f32_u32_sdwa v16, v2 dst_sel:DWORD dst_unused:UNUSED_PAD src0_sel:WORD_0
	v_cvt_f32_u32_sdwa v21, v3 dst_sel:DWORD dst_unused:UNUSED_PAD src0_sel:WORD_1
	v_cvt_f32_u32_sdwa v20, v3 dst_sel:DWORD dst_unused:UNUSED_PAD src0_sel:WORD_0
	;; [unrolled: 2-line block ×4, first 2 shown]
	v_pk_add_f32 v[2:3], v[6:7], v[16:17]
	v_pk_add_f32 v[4:5], v[8:9], v[20:21]
	;; [unrolled: 1-line block ×4, first 2 shown]
	v_perm_b32 v17, v9, v8, s14
	v_perm_b32 v16, v7, v6, s14
	;; [unrolled: 1-line block ×4, first 2 shown]
	buffer_store_dwordx4 v[14:17], v26, s[28:31], 0 offen glc slc
	;;#ASMSTART
	s_nop 0
	;;#ASMEND
.LBB20_10:
	s_or_b64 exec, exec, s[2:3]
.LBB20_11:
	s_waitcnt vmcnt(1)
	v_mul_f32_e32 v14, v3, v3
	v_fmac_f32_e32 v14, v2, v2
	v_fmac_f32_e32 v14, v4, v4
	;; [unrolled: 1-line block ×7, first 2 shown]
	v_and_b32_e32 v16, 63, v0
	v_cmp_eq_u32_e64 s[2:3], 63, v16
	v_mov_b32_dpp v15, v14 quad_perm:[1,0,3,2] row_mask:0xf bank_mask:0xf
	v_add_f32_e32 v14, v14, v15
	s_nop 1
	v_mov_b32_dpp v15, v14 quad_perm:[2,3,0,1] row_mask:0xf bank_mask:0xf
	v_add_f32_e32 v14, v14, v15
	s_nop 1
	v_mov_b32_dpp v15, v14 row_half_mirror row_mask:0xf bank_mask:0xf
	v_add_f32_e32 v14, v14, v15
	s_nop 1
	v_mov_b32_dpp v15, v14 row_mirror row_mask:0xf bank_mask:0xf
	v_add_f32_e32 v14, v14, v15
	s_nop 1
	v_mov_b32_dpp v15, v14 row_bcast:15 row_mask:0xf bank_mask:0xf
	v_add_f32_e32 v14, v14, v15
	s_nop 1
	v_mov_b32_dpp v15, v14 row_bcast:31 row_mask:0xf bank_mask:0xf
	s_waitcnt lgkmcnt(0)
	s_and_saveexec_b64 s[26:27], s[2:3]
	s_cbranch_execz .LBB20_13
; %bb.12:
	v_add_f32_e32 v14, v14, v15
	v_lshrrev_b32_e32 v15, 4, v0
	v_and_b32_e32 v15, 60, v15
	ds_write_b32 v15, v14 offset:16
.LBB20_13:
	s_or_b64 exec, exec, s[26:27]
	v_and_b32_e32 v14, 1, v0
	v_lshlrev_b32_e32 v14, 2, v14
	s_waitcnt lgkmcnt(0)
	s_barrier
	ds_read_b32 v15, v14 offset:16
	s_load_dwordx2 s[26:27], s[4:5], 0x18
	s_waitcnt lgkmcnt(0)
	v_mov_b32_dpp v16, v15 quad_perm:[1,0,3,2] row_mask:0xf bank_mask:0xf
	s_and_saveexec_b64 s[28:29], s[0:1]
	s_cbranch_execnz .LBB20_18
; %bb.14:
	s_or_b64 exec, exec, s[28:29]
	s_mov_b64 s[8:9], -1
	s_and_b64 vcc, exec, s[22:23]
	s_cbranch_vccnz .LBB20_19
.LBB20_15:
	s_andn2_b64 vcc, exec, s[8:9]
	s_cbranch_vccz .LBB20_22
.LBB20_16:
	s_cmp_lt_i32 s16, 1
	s_cbranch_scc0 .LBB20_33
.LBB20_17:
	s_endpgm
.LBB20_18:
	v_cvt_f32_u32_e32 v17, s7
	v_add_f32_e32 v15, v15, v16
	v_mov_b32_e32 v19, s13
	v_mov_b32_e32 v20, s12
	v_div_scale_f32 v16, s[36:37], v17, v17, v15
	v_rcp_f32_e32 v18, v16
	v_cndmask_b32_e64 v19, v19, v20, s[8:9]
	s_mov_b32 s7, 0x800000
	v_fma_f32 v20, -v16, v18, 1.0
	v_fmac_f32_e32 v18, v20, v18
	v_div_scale_f32 v20, vcc, v15, v17, v15
	v_mul_f32_e32 v21, v20, v18
	v_fma_f32 v22, -v16, v21, v20
	v_fmac_f32_e32 v21, v22, v18
	v_fma_f32 v16, -v16, v21, v20
	v_div_fmas_f32 v16, v16, v18, v21
	v_div_fixup_f32 v15, v16, v17, v15
	v_add_f32_e32 v15, v19, v15
	v_mul_f32_e32 v16, 0x4b800000, v15
	v_cmp_gt_f32_e32 vcc, s7, v15
	v_cndmask_b32_e32 v15, v15, v16, vcc
	v_rsq_f32_e32 v15, v15
	s_waitcnt vmcnt(0)
	v_cvt_f32_u32_sdwa v19, v11 dst_sel:DWORD dst_unused:UNUSED_PAD src0_sel:WORD_1
	v_cvt_f32_u32_sdwa v18, v11 dst_sel:DWORD dst_unused:UNUSED_PAD src0_sel:WORD_0
	v_cvt_f32_u32_sdwa v11, v12 dst_sel:DWORD dst_unused:UNUSED_PAD src0_sel:WORD_1
	v_mul_f32_e32 v16, 0x45800000, v15
	v_cndmask_b32_e32 v16, v15, v16, vcc
	v_mov_b32_e32 v17, v16
	;;#ASMSTART
	v_pk_mul_f32 v[2:3], v[2:3], v[16:17]
	;;#ASMEND
	;;#ASMSTART
	v_pk_mul_f32 v[4:5], v[4:5], v[16:17]
	;;#ASMEND
	;; [unrolled: 3-line block ×4, first 2 shown]
	v_cvt_f32_u32_sdwa v17, v10 dst_sel:DWORD dst_unused:UNUSED_PAD src0_sel:WORD_1
	v_cvt_f32_u32_sdwa v16, v10 dst_sel:DWORD dst_unused:UNUSED_PAD src0_sel:WORD_0
	v_cvt_f32_u32_sdwa v10, v12 dst_sel:DWORD dst_unused:UNUSED_PAD src0_sel:WORD_0
	v_cvt_f32_u32_sdwa v21, v13 dst_sel:DWORD dst_unused:UNUSED_PAD src0_sel:WORD_1
	v_cvt_f32_u32_sdwa v20, v13 dst_sel:DWORD dst_unused:UNUSED_PAD src0_sel:WORD_0
	;;#ASMSTART
	v_pk_mul_f32 v[2:3], v[2:3], v[16:17]
	;;#ASMEND
	;;#ASMSTART
	v_pk_mul_f32 v[4:5], v[4:5], v[18:19]
	;;#ASMEND
	;; [unrolled: 3-line block ×4, first 2 shown]
	s_or_b64 exec, exec, s[28:29]
	s_mov_b64 s[8:9], -1
	s_and_b64 vcc, exec, s[22:23]
	s_cbranch_vccz .LBB20_15
.LBB20_19:
	s_and_saveexec_b64 s[8:9], s[0:1]
	s_cbranch_execz .LBB20_21
; %bb.20:
	s_mul_hi_i32 s23, s25, s6
	s_mul_i32 s22, s25, s6
	s_lshl_b64 s[22:23], s[22:23], 1
	s_add_u32 s28, s26, s22
	s_addc_u32 s7, s27, s23
	s_and_b32 s29, s7, 0xffff
	s_mov_b32 s7, 0x7060302
	s_mov_b32 s31, 0x20000
	s_waitcnt vmcnt(0)
	v_perm_b32 v10, v3, v2, s7
	v_perm_b32 v11, v5, v4, s7
	;; [unrolled: 1-line block ×4, first 2 shown]
	v_lshlrev_b32_e32 v15, 4, v0
	buffer_store_dwordx4 v[10:13], v15, s[28:31], 0 offen
	;;#ASMSTART
	s_nop 0
	;;#ASMEND
.LBB20_21:
	s_or_b64 exec, exec, s[8:9]
	s_cbranch_execnz .LBB20_16
.LBB20_22:
	s_waitcnt vmcnt(0)
	v_mov_b32_e32 v10, 0
	s_and_saveexec_b64 s[8:9], s[0:1]
	s_cbranch_execz .LBB20_24
; %bb.23:
	s_load_dwordx2 s[22:23], s[4:5], 0x10
	s_mul_hi_i32 s29, s24, s6
	s_mul_i32 s28, s24, s6
	s_lshl_b64 s[28:29], s[28:29], 1
	s_mov_b32 s31, 0x20000
	s_waitcnt lgkmcnt(0)
	s_add_u32 s28, s22, s28
	s_addc_u32 s7, s23, s29
	s_and_b32 s29, s7, 0xffff
	s_mov_b32 s7, 0x7060302
	v_perm_b32 v10, v3, v2, s7
	v_perm_b32 v11, v5, v4, s7
	;; [unrolled: 1-line block ×4, first 2 shown]
	v_lshlrev_b32_e32 v15, 4, v0
	buffer_store_dwordx4 v[10:13], v15, s[28:31], 0 offen
	;;#ASMSTART
	s_nop 0
	;;#ASMEND
	s_nop 0
	v_mov_b32_e32 v10, 0x2edbe6ff
.LBB20_24:
	s_or_b64 exec, exec, s[8:9]
	s_and_saveexec_b64 s[8:9], s[0:1]
	s_cbranch_execz .LBB20_26
; %bb.25:
	v_and_b32_e32 v11, 0x7fffffff, v2
	v_and_b32_e32 v12, 0x7fffffff, v3
	;;#ASMSTART
	v_max3_f32 v10, v10, v11, v12

	;;#ASMEND
	v_and_b32_e32 v11, 0x7fffffff, v4
	v_and_b32_e32 v12, 0x7fffffff, v5
	;;#ASMSTART
	v_max3_f32 v10, v10, v11, v12

	;;#ASMEND
	;; [unrolled: 6-line block ×4, first 2 shown]
.LBB20_26:
	s_or_b64 exec, exec, s[8:9]
	s_nop 0
	v_mov_b32_dpp v11, v10 quad_perm:[1,0,3,2] row_mask:0xf bank_mask:0xf
	v_cmp_gt_f32_e32 vcc, v10, v11
	v_cndmask_b32_e32 v10, v11, v10, vcc
	s_nop 1
	v_mov_b32_dpp v11, v10 quad_perm:[2,3,0,1] row_mask:0xf bank_mask:0xf
	v_cmp_gt_f32_e32 vcc, v10, v11
	v_cndmask_b32_e32 v10, v11, v10, vcc
	s_nop 1
	v_mov_b32_dpp v11, v10 row_half_mirror row_mask:0xf bank_mask:0xf
	v_cmp_gt_f32_e32 vcc, v10, v11
	v_cndmask_b32_e32 v10, v11, v10, vcc
	s_nop 1
	v_mov_b32_dpp v11, v10 row_mirror row_mask:0xf bank_mask:0xf
	v_cmp_gt_f32_e32 vcc, v10, v11
	v_cndmask_b32_e32 v10, v11, v10, vcc
	s_nop 1
	v_mov_b32_dpp v11, v10 row_bcast:15 row_mask:0xf bank_mask:0xf
	v_cmp_gt_f32_e32 vcc, v10, v11
	v_cndmask_b32_e32 v10, v11, v10, vcc
	s_nop 1
	v_mov_b32_dpp v11, v10 row_bcast:31 row_mask:0xf bank_mask:0xf
	s_and_saveexec_b64 s[8:9], s[2:3]
	s_cbranch_execz .LBB20_28
; %bb.27:
	v_cmp_gt_f32_e32 vcc, v10, v11
	v_cndmask_b32_e32 v10, v11, v10, vcc
	v_lshrrev_b32_e32 v11, 4, v0
	v_and_b32_e32 v11, 60, v11
	ds_write_b32 v11, v10
.LBB20_28:
	s_or_b64 exec, exec, s[8:9]
	s_waitcnt lgkmcnt(0)
	s_barrier
	ds_read_b32 v10, v14
	s_waitcnt lgkmcnt(0)
	s_nop 0
	v_mov_b32_dpp v11, v10 quad_perm:[1,0,3,2] row_mask:0xf bank_mask:0xf
	v_cmp_gt_f32_e32 vcc, v10, v11
	v_cndmask_b32_e32 v10, v11, v10, vcc
	v_mul_f32_e32 v10, 0x3b124925, v10
	v_cmp_eq_u32_e32 vcc, 0, v0
	s_and_saveexec_b64 s[8:9], vcc
	s_cbranch_execz .LBB20_30
; %bb.29:
	s_load_dwordx2 s[22:23], s[4:5], 0x8
	s_mul_hi_i32 s29, s11, s6
	s_mul_i32 s28, s11, s6
	s_lshl_b64 s[28:29], s[28:29], 2
	v_mov_b32_e32 v11, 0
	s_waitcnt lgkmcnt(0)
	s_add_u32 s22, s22, s28
	s_addc_u32 s23, s23, s29
	global_store_dword v11, v10, s[22:23]
.LBB20_30:
	s_or_b64 exec, exec, s[8:9]
	;;#ASMSTART
	v_rcp_f32 v10, v10
	;;#ASMEND
	s_and_saveexec_b64 s[22:23], s[0:1]
	s_cbranch_execz .LBB20_32
; %bb.31:
	s_load_dwordx2 s[0:1], s[4:5], 0x0
	s_mul_i32 s8, s10, s6
	v_mov_b32_e32 v11, v10
	;;#ASMSTART
	v_pk_mul_f32 v[2:3], v[2:3], v[10:11]
	;;#ASMEND
	s_mul_hi_i32 s7, s10, s6
	s_waitcnt lgkmcnt(0)
	s_add_u32 s8, s0, s8
	v_mov_b32_e32 v12, 0xc3e00000
	v_mov_b32_e32 v13, 0x43e00000
	;;#ASMSTART
	v_med3_f32 v2, v2, v12, v13
v_med3_f32 v3, v3, v12, v13
v_cvt_pk_fp8_f32 v15, v2, v3
	;;#ASMEND
	s_addc_u32 s0, s1, s7
	;;#ASMSTART
	v_pk_mul_f32 v[2:3], v[4:5], v[10:11]
	;;#ASMEND
	s_and_b32 s9, s0, 0xffff
	;;#ASMSTART
	v_med3_f32 v2, v2, v12, v13
v_med3_f32 v3, v3, v12, v13
v_cvt_pk_fp8_f32 v4, v2, v3
	;;#ASMEND
	s_mov_b32 s0, 0x5040100
	v_perm_b32 v3, v4, v15, s0
	s_movk_i32 s0, 0xff
	v_and_b32_e32 v2, 0xffffff00, v4
	v_and_b32_sdwa v4, v3, s0 dst_sel:DWORD dst_unused:UNUSED_PAD src0_sel:WORD_1 src1_sel:DWORD
	s_mov_b32 s12, 0xffff
	v_or_b32_sdwa v2, v4, v2 dst_sel:WORD_1 dst_unused:UNUSED_PAD src0_sel:DWORD src1_sel:DWORD
	v_and_or_b32 v2, v3, s12, v2
	;;#ASMSTART
	v_pk_mul_f32 v[4:5], v[6:7], v[10:11]
	;;#ASMEND
	v_mov_b32_e32 v3, v4
	s_add_i32 s1, s15, 3
	;;#ASMSTART
	v_med3_f32 v3, v3, v12, v13
v_med3_f32 v5, v5, v12, v13
v_cvt_pk_fp8_f32 v6, v3, v5
	;;#ASMEND
	s_ashr_i32 s7, s1, 31
	;;#ASMSTART
	v_pk_mul_f32 v[4:5], v[8:9], v[10:11]
	;;#ASMEND
	v_mov_b32_e32 v3, v5
	s_lshr_b32 s7, s7, 30
	;;#ASMSTART
	v_med3_f32 v4, v4, v12, v13
v_med3_f32 v3, v3, v12, v13
v_cvt_pk_fp8_f32 v5, v4, v3
	;;#ASMEND
	s_add_i32 s1, s1, s7
	v_lshlrev_b32_e32 v3, 16, v5
	s_and_b32 s10, s1, -4
	s_mov_b32 s11, 0x20000
	v_and_or_b32 v3, v6, s12, v3
	buffer_store_dwordx2 v[2:3], v1, s[8:11], 0 offen
	;;#ASMSTART
	s_nop 0
	;;#ASMEND
.LBB20_32:
	s_or_b64 exec, exec, s[22:23]
	s_cmp_lt_i32 s16, 1
	s_cbranch_scc1 .LBB20_17
.LBB20_33:
	s_load_dword s0, s[4:5], 0x94
	s_waitcnt lgkmcnt(0)
	s_cmp_lg_u32 s0, 1
	s_cbranch_scc1 .LBB20_17
; %bb.34:
	s_lshl_b32 s0, s16, 1
	s_add_i32 s0, s0, 2
	v_cmp_gt_u32_e32 vcc, s16, v1
	s_and_b32 s22, s0, -4
	v_mov_b32_e32 v6, 0
	v_lshlrev_b32_e32 v1, 4, v0
	v_mov_b32_e32 v7, 0
	v_mov_b32_e32 v8, 0
	;; [unrolled: 1-line block ×7, first 2 shown]
	s_barrier
	s_and_saveexec_b64 s[0:1], vcc
	s_cbranch_execz .LBB20_36
; %bb.35:
	s_mul_hi_i32 s5, s18, s6
	s_mul_i32 s4, s18, s6
	s_and_b32 s21, s21, 0xffff
	s_lshl_b64 s[4:5], s[4:5], 1
	s_add_u32 s8, s34, s4
	s_mov_b32 s23, 0x20000
	s_addc_u32 s4, s35, s5
	s_and_b32 s9, s4, 0xffff
	s_mov_b32 s10, s22
	s_mov_b32 s11, s23
	buffer_load_dwordx4 v[6:9], v1, s[8:11], 0 offen glc slc
	buffer_load_dwordx4 v[2:5], v1, s[20:23], 0 offen
.LBB20_36:
	s_or_b64 exec, exec, s[0:1]
	s_waitcnt vmcnt(0)
	v_cvt_f32_u32_sdwa v13, v6 dst_sel:DWORD dst_unused:UNUSED_PAD src0_sel:WORD_1
	v_cvt_f32_u32_sdwa v12, v6 dst_sel:DWORD dst_unused:UNUSED_PAD src0_sel:WORD_0
	v_cvt_f32_u32_sdwa v6, v9 dst_sel:DWORD dst_unused:UNUSED_PAD src0_sel:WORD_1
	v_cvt_f32_u32_sdwa v9, v9 dst_sel:DWORD dst_unused:UNUSED_PAD src0_sel:WORD_0
	;; [unrolled: 2-line block ×4, first 2 shown]
	v_cndmask_b32_e32 v13, 0, v13, vcc
	v_cndmask_b32_e32 v7, 0, v6, vcc
	;; [unrolled: 1-line block ×5, first 2 shown]
	v_mul_f32_e32 v15, v13, v13
	v_cndmask_b32_e32 v10, 0, v10, vcc
	v_fmac_f32_e32 v15, v12, v12
	v_cndmask_b32_e32 v11, 0, v11, vcc
	v_fmac_f32_e32 v15, v10, v10
	;; [unrolled: 2-line block ×3, first 2 shown]
	v_fmac_f32_e32 v15, v8, v8
	v_fmac_f32_e32 v15, v9, v9
	;; [unrolled: 1-line block ×4, first 2 shown]
	s_nop 1
	v_mov_b32_dpp v16, v15 quad_perm:[1,0,3,2] row_mask:0xf bank_mask:0xf
	v_add_f32_e32 v15, v15, v16
	s_nop 1
	v_mov_b32_dpp v16, v15 quad_perm:[2,3,0,1] row_mask:0xf bank_mask:0xf
	v_add_f32_e32 v15, v15, v16
	s_nop 1
	v_mov_b32_dpp v16, v15 row_half_mirror row_mask:0xf bank_mask:0xf
	v_add_f32_e32 v15, v15, v16
	s_nop 1
	v_mov_b32_dpp v16, v15 row_mirror row_mask:0xf bank_mask:0xf
	v_add_f32_e32 v15, v15, v16
	s_nop 1
	v_mov_b32_dpp v16, v15 row_bcast:15 row_mask:0xf bank_mask:0xf
	v_add_f32_e32 v15, v15, v16
	s_nop 1
	v_mov_b32_dpp v16, v15 row_bcast:31 row_mask:0xf bank_mask:0xf
	s_and_saveexec_b64 s[0:1], s[2:3]
	s_cbranch_execz .LBB20_38
; %bb.37:
	v_lshrrev_b32_e32 v0, 4, v0
	v_add_f32_e32 v15, v15, v16
	v_and_b32_e32 v0, 60, v0
	ds_write_b32 v0, v15 offset:8
.LBB20_38:
	s_or_b64 exec, exec, s[0:1]
	s_waitcnt lgkmcnt(0)
	s_barrier
	ds_read_b32 v0, v14 offset:8
	s_waitcnt lgkmcnt(0)
	s_nop 0
	v_mov_b32_dpp v14, v0 quad_perm:[1,0,3,2] row_mask:0xf bank_mask:0xf
	s_and_saveexec_b64 s[0:1], vcc
	s_cbranch_execz .LBB20_17
; %bb.39:
	v_cvt_f32_u32_e32 v15, s16
	v_add_f32_e32 v0, v0, v14
	s_mov_b32 s23, 0x20000
	v_div_scale_f32 v14, s[0:1], v15, v15, v0
	v_rcp_f32_e32 v16, v14
	v_div_scale_f32 v17, vcc, v0, v15, v0
	s_mov_b32 s0, 0x800000
	v_fma_f32 v18, -v14, v16, 1.0
	v_fmac_f32_e32 v16, v18, v16
	v_mul_f32_e32 v18, v17, v16
	v_fma_f32 v19, -v14, v18, v17
	v_fmac_f32_e32 v18, v19, v16
	v_fma_f32 v14, -v14, v18, v17
	v_div_fmas_f32 v14, v14, v16, v18
	v_div_fixup_f32 v0, v14, v15, v0
	v_add_f32_e32 v0, s13, v0
	v_mul_f32_e32 v14, 0x4b800000, v0
	v_cmp_gt_f32_e32 vcc, s0, v0
	v_cndmask_b32_e32 v0, v0, v14, vcc
	v_rsq_f32_e32 v0, v0
	s_mul_hi_i32 s1, s25, s6
	s_mul_i32 s0, s25, s6
	s_lshl_b64 s[0:1], s[0:1], 1
	v_mul_f32_e32 v14, 0x45800000, v0
	v_cndmask_b32_e32 v14, v0, v14, vcc
	s_add_u32 s20, s26, s0
	v_mov_b32_e32 v15, v14
	s_addc_u32 s0, s27, s1
	;;#ASMSTART
	v_pk_mul_f32 v[12:13], v[12:13], v[14:15]
	;;#ASMEND
	;;#ASMSTART
	v_pk_mul_f32 v[10:11], v[10:11], v[14:15]
	;;#ASMEND
	;; [unrolled: 3-line block ×4, first 2 shown]
	v_cvt_f32_u32_sdwa v15, v2 dst_sel:DWORD dst_unused:UNUSED_PAD src0_sel:WORD_1
	v_cvt_f32_u32_sdwa v14, v2 dst_sel:DWORD dst_unused:UNUSED_PAD src0_sel:WORD_0
	v_cvt_f32_u32_sdwa v17, v3 dst_sel:DWORD dst_unused:UNUSED_PAD src0_sel:WORD_1
	v_cvt_f32_u32_sdwa v16, v3 dst_sel:DWORD dst_unused:UNUSED_PAD src0_sel:WORD_0
	;; [unrolled: 2-line block ×4, first 2 shown]
	;;#ASMSTART
	v_pk_mul_f32 v[4:5], v[12:13], v[14:15]
	;;#ASMEND
	s_and_b32 s21, s0, 0xffff
	s_mov_b32 s0, 0x7060302
	;;#ASMSTART
	v_pk_mul_f32 v[10:11], v[10:11], v[16:17]
	;;#ASMEND
	;;#ASMSTART
	v_pk_mul_f32 v[8:9], v[8:9], v[2:3]
	;;#ASMEND
	;; [unrolled: 3-line block ×3, first 2 shown]
	v_perm_b32 v2, v5, v4, s0
	v_perm_b32 v3, v11, v10, s0
	;; [unrolled: 1-line block ×4, first 2 shown]
	buffer_store_dwordx4 v[2:5], v1, s[20:23], 0 offen
	;;#ASMSTART
	s_nop 0
	;;#ASMEND
	s_endpgm
	.section	.rodata,"a",@progbits
	.p2align	6, 0x0
	.amdhsa_kernel _ZN5aiter35fused_qk_rmsnorm_group_quant_kernelItDB8_Li128ELi8ELi1ELb1ELb1ELb0ELb0ELb1ELb1EEEvPT0_PvPT_S6_S6_PKS5_S8_S8_S8_S8_ffiiiiiiiiiiiii
		.amdhsa_group_segment_fixed_size 24
		.amdhsa_private_segment_fixed_size 0
		.amdhsa_kernarg_size 400
		.amdhsa_user_sgpr_count 6
		.amdhsa_user_sgpr_private_segment_buffer 1
		.amdhsa_user_sgpr_dispatch_ptr 0
		.amdhsa_user_sgpr_queue_ptr 0
		.amdhsa_user_sgpr_kernarg_segment_ptr 1
		.amdhsa_user_sgpr_dispatch_id 0
		.amdhsa_user_sgpr_flat_scratch_init 0
		.amdhsa_user_sgpr_kernarg_preload_length 0
		.amdhsa_user_sgpr_kernarg_preload_offset 0
		.amdhsa_user_sgpr_private_segment_size 0
		.amdhsa_uses_dynamic_stack 0
		.amdhsa_system_sgpr_private_segment_wavefront_offset 0
		.amdhsa_system_sgpr_workgroup_id_x 1
		.amdhsa_system_sgpr_workgroup_id_y 1
		.amdhsa_system_sgpr_workgroup_id_z 0
		.amdhsa_system_sgpr_workgroup_info 0
		.amdhsa_system_vgpr_workitem_id 0
		.amdhsa_next_free_vgpr 27
		.amdhsa_next_free_sgpr 44
		.amdhsa_accum_offset 28
		.amdhsa_reserve_vcc 1
		.amdhsa_reserve_flat_scratch 0
		.amdhsa_float_round_mode_32 0
		.amdhsa_float_round_mode_16_64 0
		.amdhsa_float_denorm_mode_32 3
		.amdhsa_float_denorm_mode_16_64 3
		.amdhsa_dx10_clamp 1
		.amdhsa_ieee_mode 1
		.amdhsa_fp16_overflow 0
		.amdhsa_tg_split 0
		.amdhsa_exception_fp_ieee_invalid_op 0
		.amdhsa_exception_fp_denorm_src 0
		.amdhsa_exception_fp_ieee_div_zero 0
		.amdhsa_exception_fp_ieee_overflow 0
		.amdhsa_exception_fp_ieee_underflow 0
		.amdhsa_exception_fp_ieee_inexact 0
		.amdhsa_exception_int_div_zero 0
	.end_amdhsa_kernel
	.section	.text._ZN5aiter35fused_qk_rmsnorm_group_quant_kernelItDB8_Li128ELi8ELi1ELb1ELb1ELb0ELb0ELb1ELb1EEEvPT0_PvPT_S6_S6_PKS5_S8_S8_S8_S8_ffiiiiiiiiiiiii,"axG",@progbits,_ZN5aiter35fused_qk_rmsnorm_group_quant_kernelItDB8_Li128ELi8ELi1ELb1ELb1ELb0ELb0ELb1ELb1EEEvPT0_PvPT_S6_S6_PKS5_S8_S8_S8_S8_ffiiiiiiiiiiiii,comdat
.Lfunc_end20:
	.size	_ZN5aiter35fused_qk_rmsnorm_group_quant_kernelItDB8_Li128ELi8ELi1ELb1ELb1ELb0ELb0ELb1ELb1EEEvPT0_PvPT_S6_S6_PKS5_S8_S8_S8_S8_ffiiiiiiiiiiiii, .Lfunc_end20-_ZN5aiter35fused_qk_rmsnorm_group_quant_kernelItDB8_Li128ELi8ELi1ELb1ELb1ELb0ELb0ELb1ELb1EEEvPT0_PvPT_S6_S6_PKS5_S8_S8_S8_S8_ffiiiiiiiiiiiii
                                        ; -- End function
	.section	.AMDGPU.csdata,"",@progbits
; Kernel info:
; codeLenInByte = 3144
; NumSgprs: 48
; NumVgprs: 27
; NumAgprs: 0
; TotalNumVgprs: 27
; ScratchSize: 0
; MemoryBound: 0
; FloatMode: 240
; IeeeMode: 1
; LDSByteSize: 24 bytes/workgroup (compile time only)
; SGPRBlocks: 5
; VGPRBlocks: 3
; NumSGPRsForWavesPerEU: 48
; NumVGPRsForWavesPerEU: 27
; AccumOffset: 28
; Occupancy: 8
; WaveLimiterHint : 0
; COMPUTE_PGM_RSRC2:SCRATCH_EN: 0
; COMPUTE_PGM_RSRC2:USER_SGPR: 6
; COMPUTE_PGM_RSRC2:TRAP_HANDLER: 0
; COMPUTE_PGM_RSRC2:TGID_X_EN: 1
; COMPUTE_PGM_RSRC2:TGID_Y_EN: 1
; COMPUTE_PGM_RSRC2:TGID_Z_EN: 0
; COMPUTE_PGM_RSRC2:TIDIG_COMP_CNT: 0
; COMPUTE_PGM_RSRC3_GFX90A:ACCUM_OFFSET: 6
; COMPUTE_PGM_RSRC3_GFX90A:TG_SPLIT: 0
	.section	.text._ZN5aiter35fused_qk_rmsnorm_group_quant_kernelIDF16_DB8_Li128ELi8ELi1ELb1ELb0ELb1ELb0ELb1ELb1EEEvPT0_PvPT_S6_S6_PKS5_S8_S8_S8_S8_ffiiiiiiiiiiiii,"axG",@progbits,_ZN5aiter35fused_qk_rmsnorm_group_quant_kernelIDF16_DB8_Li128ELi8ELi1ELb1ELb0ELb1ELb0ELb1ELb1EEEvPT0_PvPT_S6_S6_PKS5_S8_S8_S8_S8_ffiiiiiiiiiiiii,comdat
	.protected	_ZN5aiter35fused_qk_rmsnorm_group_quant_kernelIDF16_DB8_Li128ELi8ELi1ELb1ELb0ELb1ELb0ELb1ELb1EEEvPT0_PvPT_S6_S6_PKS5_S8_S8_S8_S8_ffiiiiiiiiiiiii ; -- Begin function _ZN5aiter35fused_qk_rmsnorm_group_quant_kernelIDF16_DB8_Li128ELi8ELi1ELb1ELb0ELb1ELb0ELb1ELb1EEEvPT0_PvPT_S6_S6_PKS5_S8_S8_S8_S8_ffiiiiiiiiiiiii
	.globl	_ZN5aiter35fused_qk_rmsnorm_group_quant_kernelIDF16_DB8_Li128ELi8ELi1ELb1ELb0ELb1ELb0ELb1ELb1EEEvPT0_PvPT_S6_S6_PKS5_S8_S8_S8_S8_ffiiiiiiiiiiiii
	.p2align	8
	.type	_ZN5aiter35fused_qk_rmsnorm_group_quant_kernelIDF16_DB8_Li128ELi8ELi1ELb1ELb0ELb1ELb0ELb1ELb1EEEvPT0_PvPT_S6_S6_PKS5_S8_S8_S8_S8_ffiiiiiiiiiiiii,@function
_ZN5aiter35fused_qk_rmsnorm_group_quant_kernelIDF16_DB8_Li128ELi8ELi1ELb1ELb0ELb1ELb0ELb1ELb1EEEvPT0_PvPT_S6_S6_PKS5_S8_S8_S8_S8_ffiiiiiiiiiiiii: ; @_ZN5aiter35fused_qk_rmsnorm_group_quant_kernelIDF16_DB8_Li128ELi8ELi1ELb1ELb0ELb1ELb0ELb1ELb1EEEvPT0_PvPT_S6_S6_PKS5_S8_S8_S8_S8_ffiiiiiiiiiiiii
; %bb.0:
	s_load_dwordx8 s[12:19], s[4:5], 0x50
	s_waitcnt lgkmcnt(0)
	s_cmp_ge_i32 s6, s14
	s_cbranch_scc1 .LBB21_17
; %bb.1:
	s_cmp_lg_u32 s7, 0
	s_cselect_b64 s[22:23], -1, 0
	s_cmp_eq_u32 s7, 0
	s_cselect_b64 s[8:9], -1, 0
	s_and_b64 s[0:1], s[8:9], exec
	s_load_dwordx2 s[10:11], s[4:5], 0x70
	s_load_dwordx2 s[20:21], s[4:5], 0x48
	;; [unrolled: 1-line block ×3, first 2 shown]
	s_cselect_b32 s7, s15, s16
	s_add_i32 s0, s7, 1
	s_lshr_b32 s1, s0, 31
	s_add_i32 s0, s0, s1
	s_lshl_b32 s0, s0, 1
	v_lshlrev_b32_e32 v1, 3, v0
	s_and_b32 s26, s0, -4
	v_cmp_gt_i32_e64 s[0:1], s7, v1
	v_mov_b32_e32 v20, 0
	v_mov_b32_e32 v21, 0
	;; [unrolled: 1-line block ×8, first 2 shown]
	s_and_saveexec_b64 s[2:3], s[0:1]
	s_cbranch_execz .LBB21_3
; %bb.2:
	s_load_dwordx2 s[24:25], s[4:5], 0x28
	s_load_dwordx2 s[28:29], s[4:5], 0x40
	s_and_b64 s[34:35], s[8:9], exec
	s_cselect_b32 s14, s17, s18
	v_lshlrev_b32_e32 v2, 4, v0
	s_waitcnt lgkmcnt(0)
	s_cselect_b32 s17, s25, s31
	s_cselect_b32 s27, s24, s30
	s_mul_hi_i32 s25, s14, s6
	s_mul_i32 s24, s14, s6
	s_lshl_b64 s[24:25], s[24:25], 1
	s_add_u32 s36, s27, s24
	s_addc_u32 s14, s17, s25
	s_and_b64 s[24:25], s[8:9], exec
	s_mov_b32 s27, 0x20000
	s_cselect_b32 s24, s28, s20
	s_cselect_b32 s17, s29, s21
	s_and_b32 s37, s14, 0xffff
	s_mov_b32 s38, s26
	s_mov_b32 s39, s27
	s_and_b32 s25, s17, 0xffff
	buffer_load_dwordx4 v[24:27], v2, s[36:39], 0 offen glc slc
	buffer_load_dwordx4 v[20:23], v2, s[24:27], 0 offen
.LBB21_3:
	s_or_b64 exec, exec, s[2:3]
	s_load_dwordx2 s[28:29], s[4:5], 0x80
	s_and_b64 vcc, exec, s[22:23]
	s_cbranch_vccz .LBB21_7
; %bb.4:
	v_mov_b32_e32 v29, 0
	v_mov_b32_e32 v28, 0
	;; [unrolled: 1-line block ×8, first 2 shown]
	s_and_saveexec_b64 s[2:3], s[0:1]
	s_cbranch_execz .LBB21_6
; %bb.5:
	s_waitcnt vmcnt(1)
	v_cvt_f32_f16_sdwa v11, v24 dst_sel:DWORD dst_unused:UNUSED_PAD src0_sel:WORD_1
	v_cvt_f32_f16_e32 v10, v24
	v_cvt_f32_f16_sdwa v15, v25 dst_sel:DWORD dst_unused:UNUSED_PAD src0_sel:WORD_1
	v_cvt_f32_f16_e32 v14, v25
	;; [unrolled: 2-line block ×4, first 2 shown]
.LBB21_6:
	s_or_b64 exec, exec, s[2:3]
	s_cbranch_execz .LBB21_8
	s_branch .LBB21_11
.LBB21_7:
                                        ; implicit-def: $vgpr10_vgpr11_vgpr12_vgpr13_vgpr14_vgpr15_vgpr16_vgpr17
                                        ; implicit-def: $vgpr29
                                        ; implicit-def: $vgpr12_vgpr13_vgpr14_vgpr15_vgpr16_vgpr17_vgpr18_vgpr19
                                        ; implicit-def: $vgpr2_vgpr3_vgpr4_vgpr5_vgpr6_vgpr7_vgpr8_vgpr9
.LBB21_8:
	v_mov_b32_e32 v29, 0
	v_mov_b32_e32 v28, 0
	;; [unrolled: 1-line block ×8, first 2 shown]
	s_and_saveexec_b64 s[2:3], s[0:1]
	s_cbranch_execz .LBB21_10
; %bb.9:
	s_load_dwordx2 s[24:25], s[4:5], 0x38
	s_mul_hi_i32 s35, s19, s6
	s_mul_i32 s34, s19, s6
	s_lshl_b64 s[34:35], s[34:35], 1
	s_mov_b32 s27, 0x20000
	s_waitcnt lgkmcnt(0)
	s_add_u32 s24, s24, s34
	s_addc_u32 s14, s25, s35
	s_and_b32 s25, s14, 0xffff
	v_lshlrev_b32_e32 v30, 4, v0
	buffer_load_dwordx4 v[2:5], v30, s[24:27], 0 offen glc slc
	s_waitcnt vmcnt(2)
	v_cvt_f32_f16_sdwa v7, v24 dst_sel:DWORD dst_unused:UNUSED_PAD src0_sel:WORD_1
	v_cvt_f32_f16_e32 v6, v24
	v_cvt_f32_f16_sdwa v9, v25 dst_sel:DWORD dst_unused:UNUSED_PAD src0_sel:WORD_1
	v_cvt_f32_f16_e32 v8, v25
	;; [unrolled: 2-line block ×4, first 2 shown]
	s_load_dwordx2 s[24:25], s[4:5], 0x20
	s_mul_hi_i32 s35, s29, s6
	s_mul_i32 s34, s29, s6
	s_lshl_b64 s[34:35], s[34:35], 1
	s_waitcnt lgkmcnt(0)
	s_add_u32 s24, s24, s34
	s_addc_u32 s14, s25, s35
	s_and_b32 s25, s14, 0xffff
	s_waitcnt vmcnt(0)
	v_cvt_f32_f16_e32 v10, v2
	v_cvt_f32_f16_sdwa v11, v2 dst_sel:DWORD dst_unused:UNUSED_PAD src0_sel:WORD_1
	v_cvt_f32_f16_e32 v2, v3
	v_cvt_f32_f16_sdwa v3, v3 dst_sel:DWORD dst_unused:UNUSED_PAD src0_sel:WORD_1
	;; [unrolled: 2-line block ×4, first 2 shown]
	v_pk_add_f32 v[10:11], v[6:7], v[10:11]
	v_pk_add_f32 v[14:15], v[8:9], v[2:3]
	;; [unrolled: 1-line block ×4, first 2 shown]
	v_cvt_f16_f32_e32 v2, v11
	v_cvt_f16_f32_e32 v3, v15
	;; [unrolled: 1-line block ×8, first 2 shown]
	v_pack_b32_f16 v5, v8, v5
	v_pack_b32_f16 v4, v9, v4
	;; [unrolled: 1-line block ×4, first 2 shown]
	buffer_store_dwordx4 v[2:5], v30, s[24:27], 0 offen glc slc
	;;#ASMSTART
	s_nop 0
	;;#ASMEND
.LBB21_10:
	s_or_b64 exec, exec, s[2:3]
.LBB21_11:
	v_mul_f32_e32 v2, v11, v11
	v_fmac_f32_e32 v2, v10, v10
	v_fmac_f32_e32 v2, v14, v14
	;; [unrolled: 1-line block ×7, first 2 shown]
	v_and_b32_e32 v4, 63, v0
	v_cmp_eq_u32_e64 s[2:3], 63, v4
	v_mov_b32_dpp v3, v2 quad_perm:[1,0,3,2] row_mask:0xf bank_mask:0xf
	v_add_f32_e32 v2, v2, v3
	s_nop 1
	v_mov_b32_dpp v3, v2 quad_perm:[2,3,0,1] row_mask:0xf bank_mask:0xf
	v_add_f32_e32 v2, v2, v3
	s_nop 1
	v_mov_b32_dpp v3, v2 row_half_mirror row_mask:0xf bank_mask:0xf
	v_add_f32_e32 v2, v2, v3
	s_nop 1
	v_mov_b32_dpp v3, v2 row_mirror row_mask:0xf bank_mask:0xf
	v_add_f32_e32 v2, v2, v3
	s_nop 1
	v_mov_b32_dpp v3, v2 row_bcast:15 row_mask:0xf bank_mask:0xf
	v_add_f32_e32 v2, v2, v3
	s_nop 1
	v_mov_b32_dpp v3, v2 row_bcast:31 row_mask:0xf bank_mask:0xf
	s_and_saveexec_b64 s[24:25], s[2:3]
	s_cbranch_execz .LBB21_13
; %bb.12:
	v_add_f32_e32 v2, v2, v3
	v_lshrrev_b32_e32 v3, 4, v0
	v_and_b32_e32 v3, 60, v3
	ds_write_b32 v3, v2 offset:16
.LBB21_13:
	s_or_b64 exec, exec, s[24:25]
	v_and_b32_e32 v2, 1, v0
	v_lshlrev_b32_e32 v18, 2, v2
	s_waitcnt lgkmcnt(0)
	s_barrier
	ds_read_b32 v2, v18 offset:16
	s_load_dwordx2 s[34:35], s[4:5], 0x18
	s_waitcnt lgkmcnt(0)
	v_mov_b32_dpp v3, v2 quad_perm:[1,0,3,2] row_mask:0xf bank_mask:0xf
	s_and_saveexec_b64 s[24:25], s[0:1]
	s_cbranch_execnz .LBB21_18
; %bb.14:
	s_or_b64 exec, exec, s[24:25]
	s_mov_b64 s[8:9], -1
	s_and_b64 vcc, exec, s[22:23]
	s_cbranch_vccnz .LBB21_19
.LBB21_15:
	s_andn2_b64 vcc, exec, s[8:9]
	s_cbranch_vccz .LBB21_22
.LBB21_16:
	s_cmp_lt_i32 s16, 1
	s_cbranch_scc0 .LBB21_31
.LBB21_17:
	s_endpgm
.LBB21_18:
	v_cvt_f32_u32_e32 v4, s7
	v_add_f32_e32 v2, v2, v3
	v_mov_b32_e32 v8, s13
	v_mov_b32_e32 v9, s12
	v_div_scale_f32 v3, s[36:37], v4, v4, v2
	v_rcp_f32_e32 v5, v3
	v_cndmask_b32_e64 v8, v8, v9, s[8:9]
	s_mov_b32 s7, 0x800000
	s_waitcnt vmcnt(0)
	v_cvt_f32_f16_sdwa v17, v23 dst_sel:DWORD dst_unused:UNUSED_PAD src0_sel:WORD_1
	v_fma_f32 v9, -v3, v5, 1.0
	v_fmac_f32_e32 v5, v9, v5
	v_div_scale_f32 v9, vcc, v2, v4, v2
	v_mul_f32_e32 v12, v9, v5
	v_fma_f32 v13, -v3, v12, v9
	v_fmac_f32_e32 v12, v13, v5
	v_fma_f32 v3, -v3, v12, v9
	v_div_fmas_f32 v3, v3, v5, v12
	v_div_fixup_f32 v2, v3, v4, v2
	v_add_f32_e32 v2, v8, v2
	v_mul_f32_e32 v3, 0x4b800000, v2
	v_cmp_gt_f32_e32 vcc, s7, v2
	v_cndmask_b32_e32 v2, v2, v3, vcc
	v_rsq_f32_e32 v2, v2
	v_cvt_f32_f16_sdwa v13, v21 dst_sel:DWORD dst_unused:UNUSED_PAD src0_sel:WORD_1
	v_cvt_f32_f16_e32 v12, v21
	v_cvt_f32_f16_e32 v16, v23
	v_mul_f32_e32 v3, 0x45800000, v2
	v_cndmask_b32_e32 v2, v2, v3, vcc
	v_mov_b32_e32 v3, v2
	;;#ASMSTART
	v_pk_mul_f32 v[4:5], v[10:11], v[2:3]
	;;#ASMEND
	v_cvt_f32_f16_sdwa v11, v20 dst_sel:DWORD dst_unused:UNUSED_PAD src0_sel:WORD_1
	v_cvt_f32_f16_e32 v10, v20
	;;#ASMSTART
	v_pk_mul_f32 v[8:9], v[14:15], v[2:3]
	;;#ASMEND
	;;#ASMSTART
	v_pk_mul_f32 v[6:7], v[6:7], v[2:3]
	;;#ASMEND
	;; [unrolled: 3-line block ×3, first 2 shown]
	v_pk_add_f32 v[10:11], v[10:11], 1.0 op_sel_hi:[1,0]
	;;#ASMSTART
	v_pk_mul_f32 v[10:11], v[4:5], v[10:11]
	;;#ASMEND
	v_pk_add_f32 v[4:5], v[12:13], 1.0 op_sel_hi:[1,0]
	v_cvt_f32_f16_sdwa v13, v22 dst_sel:DWORD dst_unused:UNUSED_PAD src0_sel:WORD_1
	v_cvt_f32_f16_e32 v12, v22
	;;#ASMSTART
	v_pk_mul_f32 v[14:15], v[8:9], v[4:5]
	;;#ASMEND
	v_pk_add_f32 v[4:5], v[12:13], 1.0 op_sel_hi:[1,0]
	;;#ASMSTART
	v_pk_mul_f32 v[6:7], v[6:7], v[4:5]
	;;#ASMEND
	v_pk_add_f32 v[4:5], v[16:17], 1.0 op_sel_hi:[1,0]
	;;#ASMSTART
	v_pk_mul_f32 v[28:29], v[2:3], v[4:5]
	;;#ASMEND
	s_or_b64 exec, exec, s[24:25]
	s_mov_b64 s[8:9], -1
	s_and_b64 vcc, exec, s[22:23]
	s_cbranch_vccz .LBB21_15
.LBB21_19:
	s_and_saveexec_b64 s[8:9], s[0:1]
	s_cbranch_execz .LBB21_21
; %bb.20:
	s_mul_hi_i32 s23, s28, s6
	s_mul_i32 s22, s28, s6
	v_cvt_f16_f32_e32 v2, v10
	v_cvt_f16_f32_e32 v3, v14
	;; [unrolled: 1-line block ×8, first 2 shown]
	s_lshl_b64 s[22:23], s[22:23], 1
	s_add_u32 s24, s34, s22
	s_addc_u32 s7, s35, s23
	s_and_b32 s25, s7, 0xffff
	s_mov_b32 s27, 0x20000
	v_pack_b32_f16 v5, v5, v8
	v_pack_b32_f16 v4, v4, v9
	;; [unrolled: 1-line block ×4, first 2 shown]
	v_lshlrev_b32_e32 v8, 4, v0
	buffer_store_dwordx4 v[2:5], v8, s[24:27], 0 offen
	;;#ASMSTART
	s_nop 0
	;;#ASMEND
.LBB21_21:
	s_or_b64 exec, exec, s[8:9]
	s_cbranch_execnz .LBB21_16
.LBB21_22:
	v_mov_b32_e32 v2, 0
	s_and_saveexec_b64 s[8:9], s[0:1]
	s_cbranch_execz .LBB21_24
; %bb.23:
	v_and_b32_e32 v2, 0x7fffffff, v10
	v_and_b32_e32 v3, 0x7fffffff, v11
	v_mov_b32_e32 v4, 0x2edbe6ff
	;;#ASMSTART
	v_max3_f32 v2, v4, v2, v3

	;;#ASMEND
	v_and_b32_e32 v3, 0x7fffffff, v14
	v_and_b32_e32 v4, 0x7fffffff, v15
	;;#ASMSTART
	v_max3_f32 v2, v2, v3, v4

	;;#ASMEND
	v_and_b32_e32 v3, 0x7fffffff, v6
	v_and_b32_e32 v4, 0x7fffffff, v7
	;; [unrolled: 6-line block ×3, first 2 shown]
	;;#ASMSTART
	v_max3_f32 v2, v2, v3, v4

	;;#ASMEND
.LBB21_24:
	s_or_b64 exec, exec, s[8:9]
	s_nop 0
	v_mov_b32_dpp v3, v2 quad_perm:[1,0,3,2] row_mask:0xf bank_mask:0xf
	v_cmp_gt_f32_e32 vcc, v2, v3
	v_cndmask_b32_e32 v2, v3, v2, vcc
	s_nop 1
	v_mov_b32_dpp v3, v2 quad_perm:[2,3,0,1] row_mask:0xf bank_mask:0xf
	v_cmp_gt_f32_e32 vcc, v2, v3
	v_cndmask_b32_e32 v2, v3, v2, vcc
	s_nop 1
	v_mov_b32_dpp v3, v2 row_half_mirror row_mask:0xf bank_mask:0xf
	v_cmp_gt_f32_e32 vcc, v2, v3
	v_cndmask_b32_e32 v2, v3, v2, vcc
	s_nop 1
	v_mov_b32_dpp v3, v2 row_mirror row_mask:0xf bank_mask:0xf
	v_cmp_gt_f32_e32 vcc, v2, v3
	v_cndmask_b32_e32 v2, v3, v2, vcc
	s_nop 1
	v_mov_b32_dpp v3, v2 row_bcast:15 row_mask:0xf bank_mask:0xf
	v_cmp_gt_f32_e32 vcc, v2, v3
	v_cndmask_b32_e32 v2, v3, v2, vcc
	s_nop 1
	v_mov_b32_dpp v3, v2 row_bcast:31 row_mask:0xf bank_mask:0xf
	s_and_saveexec_b64 s[8:9], s[2:3]
	s_cbranch_execz .LBB21_26
; %bb.25:
	v_cmp_gt_f32_e32 vcc, v2, v3
	v_cndmask_b32_e32 v2, v3, v2, vcc
	v_lshrrev_b32_e32 v3, 4, v0
	v_and_b32_e32 v3, 60, v3
	ds_write_b32 v3, v2
.LBB21_26:
	s_or_b64 exec, exec, s[8:9]
	s_waitcnt lgkmcnt(0)
	s_barrier
	ds_read_b32 v2, v18
	s_waitcnt lgkmcnt(0)
	s_nop 0
	v_mov_b32_dpp v3, v2 quad_perm:[1,0,3,2] row_mask:0xf bank_mask:0xf
	v_cmp_gt_f32_e32 vcc, v2, v3
	v_cndmask_b32_e32 v2, v3, v2, vcc
	v_mul_f32_e32 v2, 0x3b124925, v2
	v_cmp_eq_u32_e32 vcc, 0, v0
	s_and_saveexec_b64 s[8:9], vcc
	s_cbranch_execz .LBB21_28
; %bb.27:
	s_load_dwordx2 s[22:23], s[4:5], 0x8
	s_mul_hi_i32 s25, s11, s6
	s_mul_i32 s24, s11, s6
	s_lshl_b64 s[24:25], s[24:25], 2
	v_mov_b32_e32 v3, 0
	s_waitcnt lgkmcnt(0)
	s_add_u32 s22, s22, s24
	s_addc_u32 s23, s23, s25
	global_store_dword v3, v2, s[22:23]
.LBB21_28:
	s_or_b64 exec, exec, s[8:9]
	;;#ASMSTART
	v_rcp_f32 v2, v2
	;;#ASMEND
	s_and_saveexec_b64 s[22:23], s[0:1]
	s_cbranch_execz .LBB21_30
; %bb.29:
	s_load_dwordx2 s[0:1], s[4:5], 0x0
	s_mul_i32 s8, s10, s6
	v_mov_b32_e32 v3, v2
	;;#ASMSTART
	v_pk_mul_f32 v[4:5], v[10:11], v[2:3]
	;;#ASMEND
	s_mul_hi_i32 s7, s10, s6
	s_waitcnt lgkmcnt(0)
	s_add_u32 s8, s0, s8
	v_mov_b32_e32 v8, 0xc3e00000
	v_mov_b32_e32 v9, 0x43e00000
	;;#ASMSTART
	v_med3_f32 v4, v4, v8, v9
v_med3_f32 v5, v5, v8, v9
v_cvt_pk_fp8_f32 v10, v4, v5
	;;#ASMEND
	s_addc_u32 s0, s1, s7
	;;#ASMSTART
	v_pk_mul_f32 v[4:5], v[14:15], v[2:3]
	;;#ASMEND
	s_and_b32 s9, s0, 0xffff
	;;#ASMSTART
	v_med3_f32 v4, v4, v8, v9
v_med3_f32 v5, v5, v8, v9
v_cvt_pk_fp8_f32 v11, v4, v5
	;;#ASMEND
	s_mov_b32 s0, 0x5040100
	v_perm_b32 v5, v11, v10, s0
	s_movk_i32 s0, 0xff
	v_and_b32_e32 v4, 0xffffff00, v11
	v_and_b32_sdwa v10, v5, s0 dst_sel:DWORD dst_unused:UNUSED_PAD src0_sel:WORD_1 src1_sel:DWORD
	s_mov_b32 s12, 0xffff
	v_or_b32_sdwa v4, v10, v4 dst_sel:WORD_1 dst_unused:UNUSED_PAD src0_sel:DWORD src1_sel:DWORD
	s_add_i32 s1, s15, 3
	v_and_or_b32 v4, v5, s12, v4
	;;#ASMSTART
	v_pk_mul_f32 v[6:7], v[6:7], v[2:3]
	;;#ASMEND
	v_mov_b32_e32 v5, v7
	s_ashr_i32 s7, s1, 31
	;;#ASMSTART
	v_med3_f32 v6, v6, v8, v9
v_med3_f32 v5, v5, v8, v9
v_cvt_pk_fp8_f32 v7, v6, v5
	;;#ASMEND
	;;#ASMSTART
	v_pk_mul_f32 v[2:3], v[28:29], v[2:3]
	;;#ASMEND
	s_lshr_b32 s7, s7, 30
	;;#ASMSTART
	v_med3_f32 v2, v2, v8, v9
v_med3_f32 v3, v3, v8, v9
v_cvt_pk_fp8_f32 v5, v2, v3
	;;#ASMEND
	s_add_i32 s1, s1, s7
	v_lshlrev_b32_e32 v2, 16, v5
	s_and_b32 s10, s1, -4
	s_mov_b32 s11, 0x20000
	v_and_or_b32 v5, v7, s12, v2
	buffer_store_dwordx2 v[4:5], v1, s[8:11], 0 offen
	;;#ASMSTART
	s_nop 0
	;;#ASMEND
.LBB21_30:
	s_or_b64 exec, exec, s[22:23]
	s_cmp_lt_i32 s16, 1
	s_cbranch_scc1 .LBB21_17
.LBB21_31:
	s_load_dword s0, s[4:5], 0x94
	s_waitcnt lgkmcnt(0)
	s_cmp_lg_u32 s0, 1
	s_cbranch_scc1 .LBB21_17
; %bb.32:
	s_lshl_b32 s0, s16, 1
	s_add_i32 s0, s0, 2
	v_cmp_gt_u32_e32 vcc, s16, v1
	s_and_b32 s22, s0, -4
	v_mov_b32_e32 v10, 0
	v_lshlrev_b32_e32 v1, 4, v0
	v_mov_b32_e32 v6, 0
	v_mov_b32_e32 v7, 0
	;; [unrolled: 1-line block ×8, first 2 shown]
	s_barrier
	s_and_saveexec_b64 s[0:1], vcc
	s_cbranch_execz .LBB21_34
; %bb.33:
	s_mul_hi_i32 s5, s18, s6
	s_mul_i32 s4, s18, s6
	s_and_b32 s21, s21, 0xffff
	s_lshl_b64 s[4:5], s[4:5], 1
	s_add_u32 s8, s30, s4
	s_mov_b32 s23, 0x20000
	s_addc_u32 s4, s31, s5
	s_and_b32 s9, s4, 0xffff
	s_mov_b32 s10, s22
	s_mov_b32 s11, s23
	buffer_load_dwordx4 v[6:9], v1, s[8:11], 0 offen glc slc
	buffer_load_dwordx4 v[2:5], v1, s[20:23], 0 offen
.LBB21_34:
	s_or_b64 exec, exec, s[0:1]
	v_mov_b32_e32 v11, 0
	v_mov_b32_e32 v16, 0
	;; [unrolled: 1-line block ×7, first 2 shown]
	s_and_saveexec_b64 s[0:1], vcc
	s_cbranch_execz .LBB21_36
; %bb.35:
	s_waitcnt vmcnt(1)
	v_cvt_f32_f16_sdwa v11, v6 dst_sel:DWORD dst_unused:UNUSED_PAD src0_sel:WORD_1
	v_cvt_f32_f16_e32 v10, v6
	v_cvt_f32_f16_sdwa v17, v7 dst_sel:DWORD dst_unused:UNUSED_PAD src0_sel:WORD_1
	v_cvt_f32_f16_e32 v16, v7
	;; [unrolled: 2-line block ×4, first 2 shown]
.LBB21_36:
	s_or_b64 exec, exec, s[0:1]
	s_waitcnt vmcnt(1)
	v_mul_f32_e32 v6, v11, v11
	v_fmac_f32_e32 v6, v10, v10
	v_fmac_f32_e32 v6, v16, v16
	;; [unrolled: 1-line block ×7, first 2 shown]
	s_nop 1
	v_mov_b32_dpp v7, v6 quad_perm:[1,0,3,2] row_mask:0xf bank_mask:0xf
	v_add_f32_e32 v6, v6, v7
	s_nop 1
	v_mov_b32_dpp v7, v6 quad_perm:[2,3,0,1] row_mask:0xf bank_mask:0xf
	v_add_f32_e32 v6, v6, v7
	s_nop 1
	v_mov_b32_dpp v7, v6 row_half_mirror row_mask:0xf bank_mask:0xf
	v_add_f32_e32 v6, v6, v7
	s_nop 1
	v_mov_b32_dpp v7, v6 row_mirror row_mask:0xf bank_mask:0xf
	v_add_f32_e32 v6, v6, v7
	s_nop 1
	v_mov_b32_dpp v7, v6 row_bcast:15 row_mask:0xf bank_mask:0xf
	v_add_f32_e32 v6, v6, v7
	s_nop 1
	v_mov_b32_dpp v7, v6 row_bcast:31 row_mask:0xf bank_mask:0xf
	s_and_saveexec_b64 s[0:1], s[2:3]
	s_cbranch_execz .LBB21_38
; %bb.37:
	v_lshrrev_b32_e32 v0, 4, v0
	v_add_f32_e32 v6, v6, v7
	v_and_b32_e32 v0, 60, v0
	ds_write_b32 v0, v6 offset:8
.LBB21_38:
	s_or_b64 exec, exec, s[0:1]
	s_waitcnt lgkmcnt(0)
	s_barrier
	ds_read_b32 v0, v18 offset:8
	s_waitcnt lgkmcnt(0)
	s_nop 0
	v_mov_b32_dpp v6, v0 quad_perm:[1,0,3,2] row_mask:0xf bank_mask:0xf
	s_and_saveexec_b64 s[0:1], vcc
	s_cbranch_execz .LBB21_17
; %bb.39:
	v_cvt_f32_u32_e32 v7, s16
	v_add_f32_e32 v0, v0, v6
	s_mov_b32 s23, 0x20000
	v_div_scale_f32 v6, s[0:1], v7, v7, v0
	v_rcp_f32_e32 v8, v6
	v_div_scale_f32 v9, vcc, v0, v7, v0
	s_mov_b32 s0, 0x800000
	v_fma_f32 v18, -v6, v8, 1.0
	v_fmac_f32_e32 v8, v18, v8
	v_mul_f32_e32 v18, v9, v8
	v_fma_f32 v19, -v6, v18, v9
	v_fmac_f32_e32 v18, v19, v8
	v_fma_f32 v6, -v6, v18, v9
	v_div_fmas_f32 v6, v6, v8, v18
	v_div_fixup_f32 v0, v6, v7, v0
	v_add_f32_e32 v0, s13, v0
	v_mul_f32_e32 v6, 0x4b800000, v0
	v_cmp_gt_f32_e32 vcc, s0, v0
	v_cndmask_b32_e32 v0, v0, v6, vcc
	v_rsq_f32_e32 v0, v0
	s_waitcnt vmcnt(0)
	v_cvt_f32_f16_sdwa v19, v3 dst_sel:DWORD dst_unused:UNUSED_PAD src0_sel:WORD_1
	v_cvt_f32_f16_e32 v18, v3
	s_mul_hi_i32 s1, s28, s6
	v_mul_f32_e32 v6, 0x45800000, v0
	v_cndmask_b32_e32 v6, v0, v6, vcc
	v_mov_b32_e32 v7, v6
	;;#ASMSTART
	v_pk_mul_f32 v[8:9], v[10:11], v[6:7]
	;;#ASMEND
	;;#ASMSTART
	v_pk_mul_f32 v[10:11], v[16:17], v[6:7]
	;;#ASMEND
	v_cvt_f32_f16_sdwa v17, v2 dst_sel:DWORD dst_unused:UNUSED_PAD src0_sel:WORD_1
	v_cvt_f32_f16_e32 v16, v2
	;;#ASMSTART
	v_pk_mul_f32 v[14:15], v[14:15], v[6:7]
	;;#ASMEND
	;;#ASMSTART
	v_pk_mul_f32 v[2:3], v[12:13], v[6:7]
	;;#ASMEND
	v_cvt_f32_f16_sdwa v13, v4 dst_sel:DWORD dst_unused:UNUSED_PAD src0_sel:WORD_1
	v_cvt_f32_f16_e32 v12, v4
	v_pk_add_f32 v[6:7], v[16:17], 1.0 op_sel_hi:[1,0]
	v_cvt_f32_f16_sdwa v17, v5 dst_sel:DWORD dst_unused:UNUSED_PAD src0_sel:WORD_1
	v_cvt_f32_f16_e32 v16, v5
	;;#ASMSTART
	v_pk_mul_f32 v[6:7], v[8:9], v[6:7]
	;;#ASMEND
	v_pk_add_f32 v[8:9], v[18:19], 1.0 op_sel_hi:[1,0]
	;;#ASMSTART
	v_pk_mul_f32 v[4:5], v[10:11], v[8:9]
	;;#ASMEND
	v_pk_add_f32 v[8:9], v[12:13], 1.0 op_sel_hi:[1,0]
	;; [unrolled: 4-line block ×3, first 2 shown]
	;;#ASMSTART
	v_pk_mul_f32 v[2:3], v[2:3], v[10:11]
	;;#ASMEND
	s_mul_i32 s0, s28, s6
	v_cvt_f16_f32_e32 v0, v6
	v_cvt_f16_f32_e32 v6, v7
	;; [unrolled: 1-line block ×8, first 2 shown]
	s_lshl_b64 s[0:1], s[0:1], 1
	s_add_u32 s20, s34, s0
	s_addc_u32 s0, s35, s1
	s_and_b32 s21, s0, 0xffff
	v_pack_b32_f16 v2, v0, v6
	v_pack_b32_f16 v3, v4, v5
	;; [unrolled: 1-line block ×4, first 2 shown]
	buffer_store_dwordx4 v[2:5], v1, s[20:23], 0 offen
	;;#ASMSTART
	s_nop 0
	;;#ASMEND
	s_endpgm
	.section	.rodata,"a",@progbits
	.p2align	6, 0x0
	.amdhsa_kernel _ZN5aiter35fused_qk_rmsnorm_group_quant_kernelIDF16_DB8_Li128ELi8ELi1ELb1ELb0ELb1ELb0ELb1ELb1EEEvPT0_PvPT_S6_S6_PKS5_S8_S8_S8_S8_ffiiiiiiiiiiiii
		.amdhsa_group_segment_fixed_size 24
		.amdhsa_private_segment_fixed_size 0
		.amdhsa_kernarg_size 400
		.amdhsa_user_sgpr_count 6
		.amdhsa_user_sgpr_private_segment_buffer 1
		.amdhsa_user_sgpr_dispatch_ptr 0
		.amdhsa_user_sgpr_queue_ptr 0
		.amdhsa_user_sgpr_kernarg_segment_ptr 1
		.amdhsa_user_sgpr_dispatch_id 0
		.amdhsa_user_sgpr_flat_scratch_init 0
		.amdhsa_user_sgpr_kernarg_preload_length 0
		.amdhsa_user_sgpr_kernarg_preload_offset 0
		.amdhsa_user_sgpr_private_segment_size 0
		.amdhsa_uses_dynamic_stack 0
		.amdhsa_system_sgpr_private_segment_wavefront_offset 0
		.amdhsa_system_sgpr_workgroup_id_x 1
		.amdhsa_system_sgpr_workgroup_id_y 1
		.amdhsa_system_sgpr_workgroup_id_z 0
		.amdhsa_system_sgpr_workgroup_info 0
		.amdhsa_system_vgpr_workitem_id 0
		.amdhsa_next_free_vgpr 31
		.amdhsa_next_free_sgpr 40
		.amdhsa_accum_offset 32
		.amdhsa_reserve_vcc 1
		.amdhsa_reserve_flat_scratch 0
		.amdhsa_float_round_mode_32 0
		.amdhsa_float_round_mode_16_64 0
		.amdhsa_float_denorm_mode_32 3
		.amdhsa_float_denorm_mode_16_64 3
		.amdhsa_dx10_clamp 1
		.amdhsa_ieee_mode 1
		.amdhsa_fp16_overflow 0
		.amdhsa_tg_split 0
		.amdhsa_exception_fp_ieee_invalid_op 0
		.amdhsa_exception_fp_denorm_src 0
		.amdhsa_exception_fp_ieee_div_zero 0
		.amdhsa_exception_fp_ieee_overflow 0
		.amdhsa_exception_fp_ieee_underflow 0
		.amdhsa_exception_fp_ieee_inexact 0
		.amdhsa_exception_int_div_zero 0
	.end_amdhsa_kernel
	.section	.text._ZN5aiter35fused_qk_rmsnorm_group_quant_kernelIDF16_DB8_Li128ELi8ELi1ELb1ELb0ELb1ELb0ELb1ELb1EEEvPT0_PvPT_S6_S6_PKS5_S8_S8_S8_S8_ffiiiiiiiiiiiii,"axG",@progbits,_ZN5aiter35fused_qk_rmsnorm_group_quant_kernelIDF16_DB8_Li128ELi8ELi1ELb1ELb0ELb1ELb0ELb1ELb1EEEvPT0_PvPT_S6_S6_PKS5_S8_S8_S8_S8_ffiiiiiiiiiiiii,comdat
.Lfunc_end21:
	.size	_ZN5aiter35fused_qk_rmsnorm_group_quant_kernelIDF16_DB8_Li128ELi8ELi1ELb1ELb0ELb1ELb0ELb1ELb1EEEvPT0_PvPT_S6_S6_PKS5_S8_S8_S8_S8_ffiiiiiiiiiiiii, .Lfunc_end21-_ZN5aiter35fused_qk_rmsnorm_group_quant_kernelIDF16_DB8_Li128ELi8ELi1ELb1ELb0ELb1ELb0ELb1ELb1EEEvPT0_PvPT_S6_S6_PKS5_S8_S8_S8_S8_ffiiiiiiiiiiiii
                                        ; -- End function
	.section	.AMDGPU.csdata,"",@progbits
; Kernel info:
; codeLenInByte = 2996
; NumSgprs: 44
; NumVgprs: 31
; NumAgprs: 0
; TotalNumVgprs: 31
; ScratchSize: 0
; MemoryBound: 0
; FloatMode: 240
; IeeeMode: 1
; LDSByteSize: 24 bytes/workgroup (compile time only)
; SGPRBlocks: 5
; VGPRBlocks: 3
; NumSGPRsForWavesPerEU: 44
; NumVGPRsForWavesPerEU: 31
; AccumOffset: 32
; Occupancy: 8
; WaveLimiterHint : 0
; COMPUTE_PGM_RSRC2:SCRATCH_EN: 0
; COMPUTE_PGM_RSRC2:USER_SGPR: 6
; COMPUTE_PGM_RSRC2:TRAP_HANDLER: 0
; COMPUTE_PGM_RSRC2:TGID_X_EN: 1
; COMPUTE_PGM_RSRC2:TGID_Y_EN: 1
; COMPUTE_PGM_RSRC2:TGID_Z_EN: 0
; COMPUTE_PGM_RSRC2:TIDIG_COMP_CNT: 0
; COMPUTE_PGM_RSRC3_GFX90A:ACCUM_OFFSET: 7
; COMPUTE_PGM_RSRC3_GFX90A:TG_SPLIT: 0
	.section	.text._ZN5aiter35fused_qk_rmsnorm_group_quant_kernelItDB8_Li128ELi8ELi1ELb1ELb0ELb1ELb0ELb1ELb1EEEvPT0_PvPT_S6_S6_PKS5_S8_S8_S8_S8_ffiiiiiiiiiiiii,"axG",@progbits,_ZN5aiter35fused_qk_rmsnorm_group_quant_kernelItDB8_Li128ELi8ELi1ELb1ELb0ELb1ELb0ELb1ELb1EEEvPT0_PvPT_S6_S6_PKS5_S8_S8_S8_S8_ffiiiiiiiiiiiii,comdat
	.protected	_ZN5aiter35fused_qk_rmsnorm_group_quant_kernelItDB8_Li128ELi8ELi1ELb1ELb0ELb1ELb0ELb1ELb1EEEvPT0_PvPT_S6_S6_PKS5_S8_S8_S8_S8_ffiiiiiiiiiiiii ; -- Begin function _ZN5aiter35fused_qk_rmsnorm_group_quant_kernelItDB8_Li128ELi8ELi1ELb1ELb0ELb1ELb0ELb1ELb1EEEvPT0_PvPT_S6_S6_PKS5_S8_S8_S8_S8_ffiiiiiiiiiiiii
	.globl	_ZN5aiter35fused_qk_rmsnorm_group_quant_kernelItDB8_Li128ELi8ELi1ELb1ELb0ELb1ELb0ELb1ELb1EEEvPT0_PvPT_S6_S6_PKS5_S8_S8_S8_S8_ffiiiiiiiiiiiii
	.p2align	8
	.type	_ZN5aiter35fused_qk_rmsnorm_group_quant_kernelItDB8_Li128ELi8ELi1ELb1ELb0ELb1ELb0ELb1ELb1EEEvPT0_PvPT_S6_S6_PKS5_S8_S8_S8_S8_ffiiiiiiiiiiiii,@function
_ZN5aiter35fused_qk_rmsnorm_group_quant_kernelItDB8_Li128ELi8ELi1ELb1ELb0ELb1ELb0ELb1ELb1EEEvPT0_PvPT_S6_S6_PKS5_S8_S8_S8_S8_ffiiiiiiiiiiiii: ; @_ZN5aiter35fused_qk_rmsnorm_group_quant_kernelItDB8_Li128ELi8ELi1ELb1ELb0ELb1ELb0ELb1ELb1EEEvPT0_PvPT_S6_S6_PKS5_S8_S8_S8_S8_ffiiiiiiiiiiiii
; %bb.0:
	s_load_dwordx8 s[12:19], s[4:5], 0x50
	s_waitcnt lgkmcnt(0)
	s_cmp_ge_i32 s6, s14
	s_cbranch_scc1 .LBB22_17
; %bb.1:
	s_cmp_lg_u32 s7, 0
	s_cselect_b64 s[22:23], -1, 0
	s_cmp_eq_u32 s7, 0
	s_cselect_b64 s[8:9], -1, 0
	s_and_b64 s[0:1], s[8:9], exec
	s_load_dwordx2 s[10:11], s[4:5], 0x70
	s_load_dwordx2 s[20:21], s[4:5], 0x48
	;; [unrolled: 1-line block ×3, first 2 shown]
	s_cselect_b32 s7, s15, s16
	s_add_i32 s0, s7, 1
	s_lshr_b32 s1, s0, 31
	s_add_i32 s0, s0, s1
	s_lshl_b32 s0, s0, 1
	v_lshlrev_b32_e32 v1, 3, v0
	s_and_b32 s26, s0, -4
	v_cmp_gt_i32_e64 s[0:1], s7, v1
	v_mov_b32_e32 v10, 0
	v_mov_b32_e32 v11, 0
	v_mov_b32_e32 v12, 0
	v_mov_b32_e32 v13, 0
	v_mov_b32_e32 v14, 0
	v_mov_b32_e32 v15, 0
	v_mov_b32_e32 v16, 0
	v_mov_b32_e32 v17, 0
	s_and_saveexec_b64 s[2:3], s[0:1]
	s_cbranch_execz .LBB22_3
; %bb.2:
	s_load_dwordx2 s[24:25], s[4:5], 0x28
	s_load_dwordx2 s[28:29], s[4:5], 0x40
	s_and_b64 s[34:35], s[8:9], exec
	s_cselect_b32 s14, s17, s18
	v_lshlrev_b32_e32 v2, 4, v0
	s_waitcnt lgkmcnt(0)
	s_cselect_b32 s17, s25, s31
	s_cselect_b32 s27, s24, s30
	s_mul_hi_i32 s25, s14, s6
	s_mul_i32 s24, s14, s6
	s_lshl_b64 s[24:25], s[24:25], 1
	s_add_u32 s36, s27, s24
	s_addc_u32 s14, s17, s25
	s_and_b64 s[24:25], s[8:9], exec
	s_mov_b32 s27, 0x20000
	s_cselect_b32 s24, s28, s20
	s_cselect_b32 s17, s29, s21
	s_and_b32 s37, s14, 0xffff
	s_mov_b32 s38, s26
	s_mov_b32 s39, s27
	s_and_b32 s25, s17, 0xffff
	buffer_load_dwordx4 v[14:17], v2, s[36:39], 0 offen glc slc
	buffer_load_dwordx4 v[10:13], v2, s[24:27], 0 offen
.LBB22_3:
	s_or_b64 exec, exec, s[2:3]
	s_load_dwordx2 s[28:29], s[4:5], 0x80
	s_and_b64 vcc, exec, s[22:23]
	s_cbranch_vccz .LBB22_7
; %bb.4:
	s_mov_b32 s36, 0
	s_mov_b32 s37, s36
	;; [unrolled: 1-line block ×8, first 2 shown]
	v_pk_mov_b32 v[2:3], s[36:37], s[36:37] op_sel:[0,1]
	v_pk_mov_b32 v[4:5], s[38:39], s[38:39] op_sel:[0,1]
	;; [unrolled: 1-line block ×4, first 2 shown]
	s_and_saveexec_b64 s[2:3], s[0:1]
	s_cbranch_execz .LBB22_6
; %bb.5:
	s_waitcnt vmcnt(1)
	v_cvt_f32_u32_sdwa v3, v14 dst_sel:DWORD dst_unused:UNUSED_PAD src0_sel:WORD_1
	v_cvt_f32_u32_sdwa v2, v14 dst_sel:DWORD dst_unused:UNUSED_PAD src0_sel:WORD_0
	v_cvt_f32_u32_sdwa v5, v15 dst_sel:DWORD dst_unused:UNUSED_PAD src0_sel:WORD_1
	v_cvt_f32_u32_sdwa v4, v15 dst_sel:DWORD dst_unused:UNUSED_PAD src0_sel:WORD_0
	;; [unrolled: 2-line block ×4, first 2 shown]
.LBB22_6:
	s_or_b64 exec, exec, s[2:3]
	s_cbranch_execz .LBB22_8
	s_branch .LBB22_11
.LBB22_7:
                                        ; implicit-def: $vgpr2_vgpr3_vgpr4_vgpr5_vgpr6_vgpr7_vgpr8_vgpr9
.LBB22_8:
	s_mov_b32 s36, 0
	s_mov_b32 s37, s36
	;; [unrolled: 1-line block ×8, first 2 shown]
	v_pk_mov_b32 v[2:3], s[36:37], s[36:37] op_sel:[0,1]
	v_pk_mov_b32 v[4:5], s[38:39], s[38:39] op_sel:[0,1]
	;; [unrolled: 1-line block ×4, first 2 shown]
	s_and_saveexec_b64 s[2:3], s[0:1]
	s_cbranch_execz .LBB22_10
; %bb.9:
	s_load_dwordx2 s[24:25], s[4:5], 0x38
	s_mul_hi_i32 s35, s19, s6
	s_mul_i32 s34, s19, s6
	s_lshl_b64 s[34:35], s[34:35], 1
	s_mov_b32 s27, 0x20000
	s_waitcnt lgkmcnt(0)
	s_add_u32 s24, s24, s34
	s_addc_u32 s14, s25, s35
	s_and_b32 s25, s14, 0xffff
	v_lshlrev_b32_e32 v26, 4, v0
	buffer_load_dwordx4 v[2:5], v26, s[24:27], 0 offen glc slc
	s_load_dwordx2 s[24:25], s[4:5], 0x20
	s_waitcnt vmcnt(2)
	v_cvt_f32_u32_sdwa v7, v14 dst_sel:DWORD dst_unused:UNUSED_PAD src0_sel:WORD_1
	v_cvt_f32_u32_sdwa v6, v14 dst_sel:DWORD dst_unused:UNUSED_PAD src0_sel:WORD_0
	v_cvt_f32_u32_sdwa v9, v15 dst_sel:DWORD dst_unused:UNUSED_PAD src0_sel:WORD_1
	v_cvt_f32_u32_sdwa v8, v15 dst_sel:DWORD dst_unused:UNUSED_PAD src0_sel:WORD_0
	;; [unrolled: 2-line block ×4, first 2 shown]
	s_mul_hi_i32 s35, s29, s6
	s_mul_i32 s34, s29, s6
	s_lshl_b64 s[34:35], s[34:35], 1
	s_waitcnt lgkmcnt(0)
	s_add_u32 s24, s24, s34
	s_mov_b32 s14, 0x7060302
	s_addc_u32 s17, s25, s35
	s_and_b32 s25, s17, 0xffff
	s_waitcnt vmcnt(0)
	v_cvt_f32_u32_sdwa v17, v2 dst_sel:DWORD dst_unused:UNUSED_PAD src0_sel:WORD_1
	v_cvt_f32_u32_sdwa v16, v2 dst_sel:DWORD dst_unused:UNUSED_PAD src0_sel:WORD_0
	v_cvt_f32_u32_sdwa v21, v3 dst_sel:DWORD dst_unused:UNUSED_PAD src0_sel:WORD_1
	v_cvt_f32_u32_sdwa v20, v3 dst_sel:DWORD dst_unused:UNUSED_PAD src0_sel:WORD_0
	;; [unrolled: 2-line block ×4, first 2 shown]
	v_pk_add_f32 v[2:3], v[6:7], v[16:17]
	v_pk_add_f32 v[4:5], v[8:9], v[20:21]
	v_pk_add_f32 v[6:7], v[14:15], v[22:23]
	v_pk_add_f32 v[8:9], v[18:19], v[24:25]
	v_perm_b32 v17, v9, v8, s14
	v_perm_b32 v16, v7, v6, s14
	;; [unrolled: 1-line block ×4, first 2 shown]
	buffer_store_dwordx4 v[14:17], v26, s[24:27], 0 offen glc slc
	;;#ASMSTART
	s_nop 0
	;;#ASMEND
.LBB22_10:
	s_or_b64 exec, exec, s[2:3]
.LBB22_11:
	s_waitcnt vmcnt(1)
	v_mul_f32_e32 v14, v3, v3
	v_fmac_f32_e32 v14, v2, v2
	v_fmac_f32_e32 v14, v4, v4
	;; [unrolled: 1-line block ×7, first 2 shown]
	v_and_b32_e32 v16, 63, v0
	v_cmp_eq_u32_e64 s[2:3], 63, v16
	v_mov_b32_dpp v15, v14 quad_perm:[1,0,3,2] row_mask:0xf bank_mask:0xf
	v_add_f32_e32 v14, v14, v15
	s_nop 1
	v_mov_b32_dpp v15, v14 quad_perm:[2,3,0,1] row_mask:0xf bank_mask:0xf
	v_add_f32_e32 v14, v14, v15
	s_nop 1
	v_mov_b32_dpp v15, v14 row_half_mirror row_mask:0xf bank_mask:0xf
	v_add_f32_e32 v14, v14, v15
	s_nop 1
	v_mov_b32_dpp v15, v14 row_mirror row_mask:0xf bank_mask:0xf
	v_add_f32_e32 v14, v14, v15
	s_nop 1
	v_mov_b32_dpp v15, v14 row_bcast:15 row_mask:0xf bank_mask:0xf
	v_add_f32_e32 v14, v14, v15
	s_nop 1
	v_mov_b32_dpp v15, v14 row_bcast:31 row_mask:0xf bank_mask:0xf
	s_and_saveexec_b64 s[24:25], s[2:3]
	s_cbranch_execz .LBB22_13
; %bb.12:
	v_add_f32_e32 v14, v14, v15
	v_lshrrev_b32_e32 v15, 4, v0
	v_and_b32_e32 v15, 60, v15
	ds_write_b32 v15, v14 offset:16
.LBB22_13:
	s_or_b64 exec, exec, s[24:25]
	v_and_b32_e32 v14, 1, v0
	v_lshlrev_b32_e32 v14, 2, v14
	s_waitcnt lgkmcnt(0)
	s_barrier
	ds_read_b32 v15, v14 offset:16
	s_load_dwordx2 s[34:35], s[4:5], 0x18
	s_waitcnt lgkmcnt(0)
	v_mov_b32_dpp v16, v15 quad_perm:[1,0,3,2] row_mask:0xf bank_mask:0xf
	s_and_saveexec_b64 s[24:25], s[0:1]
	s_cbranch_execnz .LBB22_18
; %bb.14:
	s_or_b64 exec, exec, s[24:25]
	s_mov_b64 s[8:9], -1
	s_and_b64 vcc, exec, s[22:23]
	s_cbranch_vccnz .LBB22_19
.LBB22_15:
	s_andn2_b64 vcc, exec, s[8:9]
	s_cbranch_vccz .LBB22_22
.LBB22_16:
	s_cmp_lt_i32 s16, 1
	s_cbranch_scc0 .LBB22_31
.LBB22_17:
	s_endpgm
.LBB22_18:
	v_cvt_f32_u32_e32 v17, s7
	v_add_f32_e32 v15, v15, v16
	v_mov_b32_e32 v19, s13
	v_mov_b32_e32 v20, s12
	v_div_scale_f32 v16, s[36:37], v17, v17, v15
	v_rcp_f32_e32 v18, v16
	v_cndmask_b32_e64 v19, v19, v20, s[8:9]
	s_mov_b32 s7, 0x800000
	v_fma_f32 v20, -v16, v18, 1.0
	v_fmac_f32_e32 v18, v20, v18
	v_div_scale_f32 v20, vcc, v15, v17, v15
	v_mul_f32_e32 v21, v20, v18
	v_fma_f32 v22, -v16, v21, v20
	v_fmac_f32_e32 v21, v22, v18
	v_fma_f32 v16, -v16, v21, v20
	v_div_fmas_f32 v16, v16, v18, v21
	v_div_fixup_f32 v15, v16, v17, v15
	v_add_f32_e32 v15, v19, v15
	v_mul_f32_e32 v16, 0x4b800000, v15
	v_cmp_gt_f32_e32 vcc, s7, v15
	v_cndmask_b32_e32 v15, v15, v16, vcc
	v_rsq_f32_e32 v15, v15
	s_waitcnt vmcnt(0)
	v_cvt_f32_u32_sdwa v19, v10 dst_sel:DWORD dst_unused:UNUSED_PAD src0_sel:WORD_1
	v_cvt_f32_u32_sdwa v18, v10 dst_sel:DWORD dst_unused:UNUSED_PAD src0_sel:WORD_0
	v_cvt_f32_u32_sdwa v21, v11 dst_sel:DWORD dst_unused:UNUSED_PAD src0_sel:WORD_1
	v_mul_f32_e32 v16, 0x45800000, v15
	v_cndmask_b32_e32 v16, v15, v16, vcc
	v_mov_b32_e32 v17, v16
	v_cvt_f32_u32_sdwa v20, v11 dst_sel:DWORD dst_unused:UNUSED_PAD src0_sel:WORD_0
	;;#ASMSTART
	v_pk_mul_f32 v[2:3], v[2:3], v[16:17]
	;;#ASMEND
	;;#ASMSTART
	v_pk_mul_f32 v[4:5], v[4:5], v[16:17]
	;;#ASMEND
	;; [unrolled: 3-line block ×4, first 2 shown]
	v_cvt_f32_u32_sdwa v17, v12 dst_sel:DWORD dst_unused:UNUSED_PAD src0_sel:WORD_1
	v_cvt_f32_u32_sdwa v16, v12 dst_sel:DWORD dst_unused:UNUSED_PAD src0_sel:WORD_0
	v_pk_add_f32 v[10:11], v[18:19], 1.0 op_sel_hi:[1,0]
	v_cvt_f32_u32_sdwa v19, v13 dst_sel:DWORD dst_unused:UNUSED_PAD src0_sel:WORD_1
	v_cvt_f32_u32_sdwa v18, v13 dst_sel:DWORD dst_unused:UNUSED_PAD src0_sel:WORD_0
	;;#ASMSTART
	v_pk_mul_f32 v[2:3], v[2:3], v[10:11]
	;;#ASMEND
	v_pk_add_f32 v[10:11], v[20:21], 1.0 op_sel_hi:[1,0]
	;;#ASMSTART
	v_pk_mul_f32 v[4:5], v[4:5], v[10:11]
	;;#ASMEND
	v_pk_add_f32 v[10:11], v[16:17], 1.0 op_sel_hi:[1,0]
	;; [unrolled: 4-line block ×3, first 2 shown]
	;;#ASMSTART
	v_pk_mul_f32 v[8:9], v[8:9], v[10:11]
	;;#ASMEND
	s_or_b64 exec, exec, s[24:25]
	s_mov_b64 s[8:9], -1
	s_and_b64 vcc, exec, s[22:23]
	s_cbranch_vccz .LBB22_15
.LBB22_19:
	s_and_saveexec_b64 s[8:9], s[0:1]
	s_cbranch_execz .LBB22_21
; %bb.20:
	s_mul_hi_i32 s23, s28, s6
	s_mul_i32 s22, s28, s6
	s_lshl_b64 s[22:23], s[22:23], 1
	s_add_u32 s24, s34, s22
	s_addc_u32 s7, s35, s23
	s_and_b32 s25, s7, 0xffff
	s_mov_b32 s7, 0x7060302
	s_mov_b32 s27, 0x20000
	s_waitcnt vmcnt(0)
	v_perm_b32 v10, v3, v2, s7
	v_perm_b32 v11, v5, v4, s7
	;; [unrolled: 1-line block ×4, first 2 shown]
	v_lshlrev_b32_e32 v15, 4, v0
	buffer_store_dwordx4 v[10:13], v15, s[24:27], 0 offen
	;;#ASMSTART
	s_nop 0
	;;#ASMEND
.LBB22_21:
	s_or_b64 exec, exec, s[8:9]
	s_cbranch_execnz .LBB22_16
.LBB22_22:
	s_waitcnt vmcnt(0)
	v_mov_b32_e32 v10, 0
	s_and_saveexec_b64 s[8:9], s[0:1]
	s_cbranch_execz .LBB22_24
; %bb.23:
	v_and_b32_e32 v10, 0x7fffffff, v2
	v_and_b32_e32 v11, 0x7fffffff, v3
	v_mov_b32_e32 v12, 0x2edbe6ff
	;;#ASMSTART
	v_max3_f32 v10, v12, v10, v11

	;;#ASMEND
	v_and_b32_e32 v11, 0x7fffffff, v4
	v_and_b32_e32 v12, 0x7fffffff, v5
	;;#ASMSTART
	v_max3_f32 v10, v10, v11, v12

	;;#ASMEND
	v_and_b32_e32 v11, 0x7fffffff, v6
	v_and_b32_e32 v12, 0x7fffffff, v7
	;; [unrolled: 6-line block ×3, first 2 shown]
	;;#ASMSTART
	v_max3_f32 v10, v10, v11, v12

	;;#ASMEND
.LBB22_24:
	s_or_b64 exec, exec, s[8:9]
	s_nop 0
	v_mov_b32_dpp v11, v10 quad_perm:[1,0,3,2] row_mask:0xf bank_mask:0xf
	v_cmp_gt_f32_e32 vcc, v10, v11
	v_cndmask_b32_e32 v10, v11, v10, vcc
	s_nop 1
	v_mov_b32_dpp v11, v10 quad_perm:[2,3,0,1] row_mask:0xf bank_mask:0xf
	v_cmp_gt_f32_e32 vcc, v10, v11
	v_cndmask_b32_e32 v10, v11, v10, vcc
	s_nop 1
	v_mov_b32_dpp v11, v10 row_half_mirror row_mask:0xf bank_mask:0xf
	v_cmp_gt_f32_e32 vcc, v10, v11
	v_cndmask_b32_e32 v10, v11, v10, vcc
	s_nop 1
	v_mov_b32_dpp v11, v10 row_mirror row_mask:0xf bank_mask:0xf
	v_cmp_gt_f32_e32 vcc, v10, v11
	v_cndmask_b32_e32 v10, v11, v10, vcc
	s_nop 1
	v_mov_b32_dpp v11, v10 row_bcast:15 row_mask:0xf bank_mask:0xf
	v_cmp_gt_f32_e32 vcc, v10, v11
	v_cndmask_b32_e32 v10, v11, v10, vcc
	s_nop 1
	v_mov_b32_dpp v11, v10 row_bcast:31 row_mask:0xf bank_mask:0xf
	s_and_saveexec_b64 s[8:9], s[2:3]
	s_cbranch_execz .LBB22_26
; %bb.25:
	v_cmp_gt_f32_e32 vcc, v10, v11
	v_cndmask_b32_e32 v10, v11, v10, vcc
	v_lshrrev_b32_e32 v11, 4, v0
	v_and_b32_e32 v11, 60, v11
	ds_write_b32 v11, v10
.LBB22_26:
	s_or_b64 exec, exec, s[8:9]
	s_waitcnt lgkmcnt(0)
	s_barrier
	ds_read_b32 v10, v14
	s_waitcnt lgkmcnt(0)
	s_nop 0
	v_mov_b32_dpp v11, v10 quad_perm:[1,0,3,2] row_mask:0xf bank_mask:0xf
	v_cmp_gt_f32_e32 vcc, v10, v11
	v_cndmask_b32_e32 v10, v11, v10, vcc
	v_mul_f32_e32 v10, 0x3b124925, v10
	v_cmp_eq_u32_e32 vcc, 0, v0
	s_and_saveexec_b64 s[8:9], vcc
	s_cbranch_execz .LBB22_28
; %bb.27:
	s_load_dwordx2 s[22:23], s[4:5], 0x8
	s_mul_hi_i32 s25, s11, s6
	s_mul_i32 s24, s11, s6
	s_lshl_b64 s[24:25], s[24:25], 2
	v_mov_b32_e32 v11, 0
	s_waitcnt lgkmcnt(0)
	s_add_u32 s22, s22, s24
	s_addc_u32 s23, s23, s25
	global_store_dword v11, v10, s[22:23]
.LBB22_28:
	s_or_b64 exec, exec, s[8:9]
	;;#ASMSTART
	v_rcp_f32 v10, v10
	;;#ASMEND
	s_and_saveexec_b64 s[22:23], s[0:1]
	s_cbranch_execz .LBB22_30
; %bb.29:
	s_load_dwordx2 s[0:1], s[4:5], 0x0
	s_mul_i32 s8, s10, s6
	v_mov_b32_e32 v11, v10
	;;#ASMSTART
	v_pk_mul_f32 v[2:3], v[2:3], v[10:11]
	;;#ASMEND
	s_mul_hi_i32 s7, s10, s6
	s_waitcnt lgkmcnt(0)
	s_add_u32 s8, s0, s8
	v_mov_b32_e32 v12, 0xc3e00000
	v_mov_b32_e32 v13, 0x43e00000
	;;#ASMSTART
	v_med3_f32 v2, v2, v12, v13
v_med3_f32 v3, v3, v12, v13
v_cvt_pk_fp8_f32 v15, v2, v3
	;;#ASMEND
	s_addc_u32 s0, s1, s7
	;;#ASMSTART
	v_pk_mul_f32 v[2:3], v[4:5], v[10:11]
	;;#ASMEND
	s_and_b32 s9, s0, 0xffff
	;;#ASMSTART
	v_med3_f32 v2, v2, v12, v13
v_med3_f32 v3, v3, v12, v13
v_cvt_pk_fp8_f32 v4, v2, v3
	;;#ASMEND
	s_mov_b32 s0, 0x5040100
	v_perm_b32 v3, v4, v15, s0
	s_movk_i32 s0, 0xff
	v_and_b32_e32 v2, 0xffffff00, v4
	v_and_b32_sdwa v4, v3, s0 dst_sel:DWORD dst_unused:UNUSED_PAD src0_sel:WORD_1 src1_sel:DWORD
	s_mov_b32 s12, 0xffff
	v_or_b32_sdwa v2, v4, v2 dst_sel:WORD_1 dst_unused:UNUSED_PAD src0_sel:DWORD src1_sel:DWORD
	v_and_or_b32 v2, v3, s12, v2
	;;#ASMSTART
	v_pk_mul_f32 v[4:5], v[6:7], v[10:11]
	;;#ASMEND
	v_mov_b32_e32 v3, v5
	s_add_i32 s1, s15, 3
	;;#ASMSTART
	v_med3_f32 v4, v4, v12, v13
v_med3_f32 v3, v3, v12, v13
v_cvt_pk_fp8_f32 v6, v4, v3
	;;#ASMEND
	s_ashr_i32 s7, s1, 31
	;;#ASMSTART
	v_pk_mul_f32 v[4:5], v[8:9], v[10:11]
	;;#ASMEND
	v_mov_b32_e32 v3, v5
	s_lshr_b32 s7, s7, 30
	;;#ASMSTART
	v_med3_f32 v4, v4, v12, v13
v_med3_f32 v3, v3, v12, v13
v_cvt_pk_fp8_f32 v5, v4, v3
	;;#ASMEND
	s_add_i32 s1, s1, s7
	v_lshlrev_b32_e32 v3, 16, v5
	s_and_b32 s10, s1, -4
	s_mov_b32 s11, 0x20000
	v_and_or_b32 v3, v6, s12, v3
	buffer_store_dwordx2 v[2:3], v1, s[8:11], 0 offen
	;;#ASMSTART
	s_nop 0
	;;#ASMEND
.LBB22_30:
	s_or_b64 exec, exec, s[22:23]
	s_cmp_lt_i32 s16, 1
	s_cbranch_scc1 .LBB22_17
.LBB22_31:
	s_load_dword s0, s[4:5], 0x94
	s_waitcnt lgkmcnt(0)
	s_cmp_lg_u32 s0, 1
	s_cbranch_scc1 .LBB22_17
; %bb.32:
	s_lshl_b32 s0, s16, 1
	s_add_i32 s0, s0, 2
	v_cmp_gt_u32_e32 vcc, s16, v1
	s_and_b32 s22, s0, -4
	v_mov_b32_e32 v6, 0
	v_lshlrev_b32_e32 v1, 4, v0
	v_mov_b32_e32 v7, 0
	v_mov_b32_e32 v8, 0
	;; [unrolled: 1-line block ×7, first 2 shown]
	s_barrier
	s_and_saveexec_b64 s[0:1], vcc
	s_cbranch_execz .LBB22_34
; %bb.33:
	s_mul_hi_i32 s5, s18, s6
	s_mul_i32 s4, s18, s6
	s_and_b32 s21, s21, 0xffff
	s_lshl_b64 s[4:5], s[4:5], 1
	s_add_u32 s8, s30, s4
	s_mov_b32 s23, 0x20000
	s_addc_u32 s4, s31, s5
	s_and_b32 s9, s4, 0xffff
	s_mov_b32 s10, s22
	s_mov_b32 s11, s23
	buffer_load_dwordx4 v[6:9], v1, s[8:11], 0 offen glc slc
	buffer_load_dwordx4 v[2:5], v1, s[20:23], 0 offen
.LBB22_34:
	s_or_b64 exec, exec, s[0:1]
	s_waitcnt vmcnt(0)
	v_cvt_f32_u32_sdwa v13, v6 dst_sel:DWORD dst_unused:UNUSED_PAD src0_sel:WORD_1
	v_cvt_f32_u32_sdwa v12, v6 dst_sel:DWORD dst_unused:UNUSED_PAD src0_sel:WORD_0
	v_cvt_f32_u32_sdwa v6, v9 dst_sel:DWORD dst_unused:UNUSED_PAD src0_sel:WORD_1
	v_cvt_f32_u32_sdwa v9, v9 dst_sel:DWORD dst_unused:UNUSED_PAD src0_sel:WORD_0
	;; [unrolled: 2-line block ×4, first 2 shown]
	v_cndmask_b32_e32 v13, 0, v13, vcc
	v_cndmask_b32_e32 v7, 0, v6, vcc
	;; [unrolled: 1-line block ×5, first 2 shown]
	v_mul_f32_e32 v15, v13, v13
	v_cndmask_b32_e32 v10, 0, v10, vcc
	v_fmac_f32_e32 v15, v12, v12
	v_cndmask_b32_e32 v11, 0, v11, vcc
	v_fmac_f32_e32 v15, v10, v10
	;; [unrolled: 2-line block ×3, first 2 shown]
	v_fmac_f32_e32 v15, v8, v8
	v_fmac_f32_e32 v15, v9, v9
	v_fmac_f32_e32 v15, v6, v6
	v_fmac_f32_e32 v15, v7, v7
	s_nop 1
	v_mov_b32_dpp v16, v15 quad_perm:[1,0,3,2] row_mask:0xf bank_mask:0xf
	v_add_f32_e32 v15, v15, v16
	s_nop 1
	v_mov_b32_dpp v16, v15 quad_perm:[2,3,0,1] row_mask:0xf bank_mask:0xf
	v_add_f32_e32 v15, v15, v16
	s_nop 1
	v_mov_b32_dpp v16, v15 row_half_mirror row_mask:0xf bank_mask:0xf
	v_add_f32_e32 v15, v15, v16
	s_nop 1
	v_mov_b32_dpp v16, v15 row_mirror row_mask:0xf bank_mask:0xf
	v_add_f32_e32 v15, v15, v16
	s_nop 1
	v_mov_b32_dpp v16, v15 row_bcast:15 row_mask:0xf bank_mask:0xf
	v_add_f32_e32 v15, v15, v16
	s_nop 1
	v_mov_b32_dpp v16, v15 row_bcast:31 row_mask:0xf bank_mask:0xf
	s_and_saveexec_b64 s[0:1], s[2:3]
	s_cbranch_execz .LBB22_36
; %bb.35:
	v_lshrrev_b32_e32 v0, 4, v0
	v_add_f32_e32 v15, v15, v16
	v_and_b32_e32 v0, 60, v0
	ds_write_b32 v0, v15 offset:8
.LBB22_36:
	s_or_b64 exec, exec, s[0:1]
	s_waitcnt lgkmcnt(0)
	s_barrier
	ds_read_b32 v0, v14 offset:8
	s_waitcnt lgkmcnt(0)
	s_nop 0
	v_mov_b32_dpp v14, v0 quad_perm:[1,0,3,2] row_mask:0xf bank_mask:0xf
	s_and_saveexec_b64 s[0:1], vcc
	s_cbranch_execz .LBB22_17
; %bb.37:
	v_cvt_f32_u32_e32 v15, s16
	v_add_f32_e32 v0, v0, v14
	s_mov_b32 s23, 0x20000
	v_div_scale_f32 v14, s[0:1], v15, v15, v0
	v_rcp_f32_e32 v16, v14
	v_div_scale_f32 v17, vcc, v0, v15, v0
	s_mov_b32 s0, 0x800000
	v_fma_f32 v18, -v14, v16, 1.0
	v_fmac_f32_e32 v16, v18, v16
	v_mul_f32_e32 v18, v17, v16
	v_fma_f32 v19, -v14, v18, v17
	v_fmac_f32_e32 v18, v19, v16
	v_fma_f32 v14, -v14, v18, v17
	v_div_fmas_f32 v14, v14, v16, v18
	v_div_fixup_f32 v0, v14, v15, v0
	v_add_f32_e32 v0, s13, v0
	v_mul_f32_e32 v14, 0x4b800000, v0
	v_cmp_gt_f32_e32 vcc, s0, v0
	v_cndmask_b32_e32 v0, v0, v14, vcc
	v_rsq_f32_e32 v0, v0
	v_cvt_f32_u32_sdwa v17, v2 dst_sel:DWORD dst_unused:UNUSED_PAD src0_sel:WORD_1
	v_cvt_f32_u32_sdwa v16, v2 dst_sel:DWORD dst_unused:UNUSED_PAD src0_sel:WORD_0
	v_cvt_f32_u32_sdwa v19, v3 dst_sel:DWORD dst_unused:UNUSED_PAD src0_sel:WORD_1
	v_mul_f32_e32 v14, 0x45800000, v0
	v_cndmask_b32_e32 v14, v0, v14, vcc
	v_mov_b32_e32 v15, v14
	;;#ASMSTART
	v_pk_mul_f32 v[12:13], v[12:13], v[14:15]
	;;#ASMEND
	;;#ASMSTART
	v_pk_mul_f32 v[10:11], v[10:11], v[14:15]
	;;#ASMEND
	;; [unrolled: 3-line block ×3, first 2 shown]
	v_cvt_f32_u32_sdwa v18, v3 dst_sel:DWORD dst_unused:UNUSED_PAD src0_sel:WORD_0
	;;#ASMSTART
	v_pk_mul_f32 v[2:3], v[6:7], v[14:15]
	;;#ASMEND
	v_cvt_f32_u32_sdwa v15, v4 dst_sel:DWORD dst_unused:UNUSED_PAD src0_sel:WORD_1
	v_cvt_f32_u32_sdwa v14, v4 dst_sel:DWORD dst_unused:UNUSED_PAD src0_sel:WORD_0
	v_pk_add_f32 v[6:7], v[16:17], 1.0 op_sel_hi:[1,0]
	v_cvt_f32_u32_sdwa v17, v5 dst_sel:DWORD dst_unused:UNUSED_PAD src0_sel:WORD_1
	v_cvt_f32_u32_sdwa v16, v5 dst_sel:DWORD dst_unused:UNUSED_PAD src0_sel:WORD_0
	s_mul_hi_i32 s1, s28, s6
	s_mul_i32 s0, s28, s6
	s_lshl_b64 s[0:1], s[0:1], 1
	s_add_u32 s20, s34, s0
	;;#ASMSTART
	v_pk_mul_f32 v[6:7], v[12:13], v[6:7]
	;;#ASMEND
	v_pk_add_f32 v[12:13], v[18:19], 1.0 op_sel_hi:[1,0]
	;;#ASMSTART
	v_pk_mul_f32 v[4:5], v[10:11], v[12:13]
	;;#ASMEND
	v_pk_add_f32 v[10:11], v[14:15], 1.0 op_sel_hi:[1,0]
	s_addc_u32 s0, s35, s1
	;;#ASMSTART
	v_pk_mul_f32 v[8:9], v[8:9], v[10:11]
	;;#ASMEND
	v_pk_add_f32 v[10:11], v[16:17], 1.0 op_sel_hi:[1,0]
	s_and_b32 s21, s0, 0xffff
	s_mov_b32 s0, 0x7060302
	;;#ASMSTART
	v_pk_mul_f32 v[10:11], v[2:3], v[10:11]
	;;#ASMEND
	v_perm_b32 v2, v7, v6, s0
	v_perm_b32 v3, v5, v4, s0
	;; [unrolled: 1-line block ×4, first 2 shown]
	buffer_store_dwordx4 v[2:5], v1, s[20:23], 0 offen
	;;#ASMSTART
	s_nop 0
	;;#ASMEND
	s_endpgm
	.section	.rodata,"a",@progbits
	.p2align	6, 0x0
	.amdhsa_kernel _ZN5aiter35fused_qk_rmsnorm_group_quant_kernelItDB8_Li128ELi8ELi1ELb1ELb0ELb1ELb0ELb1ELb1EEEvPT0_PvPT_S6_S6_PKS5_S8_S8_S8_S8_ffiiiiiiiiiiiii
		.amdhsa_group_segment_fixed_size 24
		.amdhsa_private_segment_fixed_size 0
		.amdhsa_kernarg_size 400
		.amdhsa_user_sgpr_count 6
		.amdhsa_user_sgpr_private_segment_buffer 1
		.amdhsa_user_sgpr_dispatch_ptr 0
		.amdhsa_user_sgpr_queue_ptr 0
		.amdhsa_user_sgpr_kernarg_segment_ptr 1
		.amdhsa_user_sgpr_dispatch_id 0
		.amdhsa_user_sgpr_flat_scratch_init 0
		.amdhsa_user_sgpr_kernarg_preload_length 0
		.amdhsa_user_sgpr_kernarg_preload_offset 0
		.amdhsa_user_sgpr_private_segment_size 0
		.amdhsa_uses_dynamic_stack 0
		.amdhsa_system_sgpr_private_segment_wavefront_offset 0
		.amdhsa_system_sgpr_workgroup_id_x 1
		.amdhsa_system_sgpr_workgroup_id_y 1
		.amdhsa_system_sgpr_workgroup_id_z 0
		.amdhsa_system_sgpr_workgroup_info 0
		.amdhsa_system_vgpr_workitem_id 0
		.amdhsa_next_free_vgpr 27
		.amdhsa_next_free_sgpr 44
		.amdhsa_accum_offset 28
		.amdhsa_reserve_vcc 1
		.amdhsa_reserve_flat_scratch 0
		.amdhsa_float_round_mode_32 0
		.amdhsa_float_round_mode_16_64 0
		.amdhsa_float_denorm_mode_32 3
		.amdhsa_float_denorm_mode_16_64 3
		.amdhsa_dx10_clamp 1
		.amdhsa_ieee_mode 1
		.amdhsa_fp16_overflow 0
		.amdhsa_tg_split 0
		.amdhsa_exception_fp_ieee_invalid_op 0
		.amdhsa_exception_fp_denorm_src 0
		.amdhsa_exception_fp_ieee_div_zero 0
		.amdhsa_exception_fp_ieee_overflow 0
		.amdhsa_exception_fp_ieee_underflow 0
		.amdhsa_exception_fp_ieee_inexact 0
		.amdhsa_exception_int_div_zero 0
	.end_amdhsa_kernel
	.section	.text._ZN5aiter35fused_qk_rmsnorm_group_quant_kernelItDB8_Li128ELi8ELi1ELb1ELb0ELb1ELb0ELb1ELb1EEEvPT0_PvPT_S6_S6_PKS5_S8_S8_S8_S8_ffiiiiiiiiiiiii,"axG",@progbits,_ZN5aiter35fused_qk_rmsnorm_group_quant_kernelItDB8_Li128ELi8ELi1ELb1ELb0ELb1ELb0ELb1ELb1EEEvPT0_PvPT_S6_S6_PKS5_S8_S8_S8_S8_ffiiiiiiiiiiiii,comdat
.Lfunc_end22:
	.size	_ZN5aiter35fused_qk_rmsnorm_group_quant_kernelItDB8_Li128ELi8ELi1ELb1ELb0ELb1ELb0ELb1ELb1EEEvPT0_PvPT_S6_S6_PKS5_S8_S8_S8_S8_ffiiiiiiiiiiiii, .Lfunc_end22-_ZN5aiter35fused_qk_rmsnorm_group_quant_kernelItDB8_Li128ELi8ELi1ELb1ELb0ELb1ELb0ELb1ELb1EEEvPT0_PvPT_S6_S6_PKS5_S8_S8_S8_S8_ffiiiiiiiiiiiii
                                        ; -- End function
	.section	.AMDGPU.csdata,"",@progbits
; Kernel info:
; codeLenInByte = 3080
; NumSgprs: 48
; NumVgprs: 27
; NumAgprs: 0
; TotalNumVgprs: 27
; ScratchSize: 0
; MemoryBound: 0
; FloatMode: 240
; IeeeMode: 1
; LDSByteSize: 24 bytes/workgroup (compile time only)
; SGPRBlocks: 5
; VGPRBlocks: 3
; NumSGPRsForWavesPerEU: 48
; NumVGPRsForWavesPerEU: 27
; AccumOffset: 28
; Occupancy: 8
; WaveLimiterHint : 0
; COMPUTE_PGM_RSRC2:SCRATCH_EN: 0
; COMPUTE_PGM_RSRC2:USER_SGPR: 6
; COMPUTE_PGM_RSRC2:TRAP_HANDLER: 0
; COMPUTE_PGM_RSRC2:TGID_X_EN: 1
; COMPUTE_PGM_RSRC2:TGID_Y_EN: 1
; COMPUTE_PGM_RSRC2:TGID_Z_EN: 0
; COMPUTE_PGM_RSRC2:TIDIG_COMP_CNT: 0
; COMPUTE_PGM_RSRC3_GFX90A:ACCUM_OFFSET: 6
; COMPUTE_PGM_RSRC3_GFX90A:TG_SPLIT: 0
	.section	.text._ZN5aiter35fused_qk_rmsnorm_group_quant_kernelIDF16_DB8_Li128ELi8ELi1ELb1ELb0ELb0ELb0ELb1ELb1EEEvPT0_PvPT_S6_S6_PKS5_S8_S8_S8_S8_ffiiiiiiiiiiiii,"axG",@progbits,_ZN5aiter35fused_qk_rmsnorm_group_quant_kernelIDF16_DB8_Li128ELi8ELi1ELb1ELb0ELb0ELb0ELb1ELb1EEEvPT0_PvPT_S6_S6_PKS5_S8_S8_S8_S8_ffiiiiiiiiiiiii,comdat
	.protected	_ZN5aiter35fused_qk_rmsnorm_group_quant_kernelIDF16_DB8_Li128ELi8ELi1ELb1ELb0ELb0ELb0ELb1ELb1EEEvPT0_PvPT_S6_S6_PKS5_S8_S8_S8_S8_ffiiiiiiiiiiiii ; -- Begin function _ZN5aiter35fused_qk_rmsnorm_group_quant_kernelIDF16_DB8_Li128ELi8ELi1ELb1ELb0ELb0ELb0ELb1ELb1EEEvPT0_PvPT_S6_S6_PKS5_S8_S8_S8_S8_ffiiiiiiiiiiiii
	.globl	_ZN5aiter35fused_qk_rmsnorm_group_quant_kernelIDF16_DB8_Li128ELi8ELi1ELb1ELb0ELb0ELb0ELb1ELb1EEEvPT0_PvPT_S6_S6_PKS5_S8_S8_S8_S8_ffiiiiiiiiiiiii
	.p2align	8
	.type	_ZN5aiter35fused_qk_rmsnorm_group_quant_kernelIDF16_DB8_Li128ELi8ELi1ELb1ELb0ELb0ELb0ELb1ELb1EEEvPT0_PvPT_S6_S6_PKS5_S8_S8_S8_S8_ffiiiiiiiiiiiii,@function
_ZN5aiter35fused_qk_rmsnorm_group_quant_kernelIDF16_DB8_Li128ELi8ELi1ELb1ELb0ELb0ELb0ELb1ELb1EEEvPT0_PvPT_S6_S6_PKS5_S8_S8_S8_S8_ffiiiiiiiiiiiii: ; @_ZN5aiter35fused_qk_rmsnorm_group_quant_kernelIDF16_DB8_Li128ELi8ELi1ELb1ELb0ELb0ELb0ELb1ELb1EEEvPT0_PvPT_S6_S6_PKS5_S8_S8_S8_S8_ffiiiiiiiiiiiii
; %bb.0:
	s_load_dwordx8 s[12:19], s[4:5], 0x50
	s_waitcnt lgkmcnt(0)
	s_cmp_ge_i32 s6, s14
	s_cbranch_scc1 .LBB23_17
; %bb.1:
	s_cmp_lg_u32 s7, 0
	s_cselect_b64 s[22:23], -1, 0
	s_cmp_eq_u32 s7, 0
	s_cselect_b64 s[8:9], -1, 0
	s_and_b64 s[0:1], s[8:9], exec
	s_load_dwordx2 s[10:11], s[4:5], 0x70
	s_load_dwordx2 s[20:21], s[4:5], 0x48
	;; [unrolled: 1-line block ×3, first 2 shown]
	s_cselect_b32 s7, s15, s16
	s_add_i32 s0, s7, 1
	s_lshr_b32 s1, s0, 31
	s_add_i32 s0, s0, s1
	s_lshl_b32 s0, s0, 1
	v_lshlrev_b32_e32 v1, 3, v0
	s_and_b32 s26, s0, -4
	v_cmp_gt_i32_e64 s[0:1], s7, v1
	v_mov_b32_e32 v24, 0
	v_mov_b32_e32 v25, 0
	;; [unrolled: 1-line block ×8, first 2 shown]
	s_and_saveexec_b64 s[2:3], s[0:1]
	s_cbranch_execz .LBB23_3
; %bb.2:
	s_load_dwordx2 s[24:25], s[4:5], 0x28
	s_load_dwordx2 s[28:29], s[4:5], 0x40
	s_and_b64 s[34:35], s[8:9], exec
	s_cselect_b32 s14, s17, s18
	v_lshlrev_b32_e32 v2, 4, v0
	s_waitcnt lgkmcnt(0)
	s_cselect_b32 s17, s25, s31
	s_cselect_b32 s27, s24, s30
	s_mul_hi_i32 s25, s14, s6
	s_mul_i32 s24, s14, s6
	s_lshl_b64 s[24:25], s[24:25], 1
	s_add_u32 s36, s27, s24
	s_addc_u32 s14, s17, s25
	s_and_b64 s[24:25], s[8:9], exec
	s_mov_b32 s27, 0x20000
	s_cselect_b32 s24, s28, s20
	s_cselect_b32 s17, s29, s21
	s_and_b32 s37, s14, 0xffff
	s_mov_b32 s38, s26
	s_mov_b32 s39, s27
	s_and_b32 s25, s17, 0xffff
	buffer_load_dwordx4 v[28:31], v2, s[36:39], 0 offen glc slc
	buffer_load_dwordx4 v[24:27], v2, s[24:27], 0 offen
.LBB23_3:
	s_or_b64 exec, exec, s[2:3]
	s_load_dwordx2 s[28:29], s[4:5], 0x80
	s_and_b64 vcc, exec, s[22:23]
	s_cbranch_vccz .LBB23_7
; %bb.4:
	v_mov_b32_e32 v33, 0
	v_mov_b32_e32 v32, 0
	v_mov_b32_e32 v7, 0
	v_mov_b32_e32 v6, 0
	v_mov_b32_e32 v11, 0
	v_mov_b32_e32 v10, 0
	v_mov_b32_e32 v17, 0
	v_mov_b32_e32 v16, 0
	s_and_saveexec_b64 s[2:3], s[0:1]
	s_cbranch_execz .LBB23_6
; %bb.5:
	s_waitcnt vmcnt(1)
	v_cvt_f32_f16_sdwa v17, v28 dst_sel:DWORD dst_unused:UNUSED_PAD src0_sel:WORD_1
	v_cvt_f32_f16_e32 v16, v28
	v_cvt_f32_f16_sdwa v11, v29 dst_sel:DWORD dst_unused:UNUSED_PAD src0_sel:WORD_1
	v_cvt_f32_f16_e32 v10, v29
	;; [unrolled: 2-line block ×4, first 2 shown]
.LBB23_6:
	s_or_b64 exec, exec, s[2:3]
	s_cbranch_execz .LBB23_8
	s_branch .LBB23_11
.LBB23_7:
                                        ; implicit-def: $vgpr8_vgpr9_vgpr10_vgpr11_vgpr12_vgpr13_vgpr14_vgpr15
                                        ; implicit-def: $vgpr33
                                        ; implicit-def: $vgpr16_vgpr17_vgpr18_vgpr19_vgpr20_vgpr21_vgpr22_vgpr23
                                        ; implicit-def: $vgpr2_vgpr3_vgpr4_vgpr5_vgpr6_vgpr7_vgpr8_vgpr9
.LBB23_8:
	v_mov_b32_e32 v33, 0
	v_mov_b32_e32 v32, 0
	;; [unrolled: 1-line block ×8, first 2 shown]
	s_and_saveexec_b64 s[2:3], s[0:1]
	s_cbranch_execz .LBB23_10
; %bb.9:
	s_load_dwordx2 s[24:25], s[4:5], 0x38
	s_mul_hi_i32 s35, s19, s6
	s_mul_i32 s34, s19, s6
	s_lshl_b64 s[34:35], s[34:35], 1
	s_mov_b32 s27, 0x20000
	s_waitcnt lgkmcnt(0)
	s_add_u32 s24, s24, s34
	s_addc_u32 s14, s25, s35
	s_and_b32 s25, s14, 0xffff
	v_lshlrev_b32_e32 v20, 4, v0
	buffer_load_dwordx4 v[2:5], v20, s[24:27], 0 offen glc slc
	s_waitcnt vmcnt(2)
	v_cvt_f32_f16_sdwa v7, v28 dst_sel:DWORD dst_unused:UNUSED_PAD src0_sel:WORD_1
	v_cvt_f32_f16_e32 v6, v28
	v_cvt_f32_f16_sdwa v9, v29 dst_sel:DWORD dst_unused:UNUSED_PAD src0_sel:WORD_1
	v_cvt_f32_f16_e32 v8, v29
	;; [unrolled: 2-line block ×4, first 2 shown]
	s_load_dwordx2 s[24:25], s[4:5], 0x20
	s_mul_hi_i32 s35, s29, s6
	s_mul_i32 s34, s29, s6
	s_lshl_b64 s[34:35], s[34:35], 1
	s_waitcnt lgkmcnt(0)
	s_add_u32 s24, s24, s34
	s_addc_u32 s14, s25, s35
	s_and_b32 s25, s14, 0xffff
	s_waitcnt vmcnt(0)
	v_cvt_f32_f16_e32 v10, v2
	v_cvt_f32_f16_sdwa v11, v2 dst_sel:DWORD dst_unused:UNUSED_PAD src0_sel:WORD_1
	v_cvt_f32_f16_e32 v2, v3
	v_cvt_f32_f16_sdwa v3, v3 dst_sel:DWORD dst_unused:UNUSED_PAD src0_sel:WORD_1
	;; [unrolled: 2-line block ×4, first 2 shown]
	v_pk_add_f32 v[16:17], v[6:7], v[10:11]
	v_pk_add_f32 v[10:11], v[8:9], v[2:3]
	;; [unrolled: 1-line block ×4, first 2 shown]
	v_cvt_f16_f32_e32 v2, v17
	v_cvt_f16_f32_e32 v3, v11
	;; [unrolled: 1-line block ×8, first 2 shown]
	v_pack_b32_f16 v5, v8, v5
	v_pack_b32_f16 v4, v9, v4
	;; [unrolled: 1-line block ×4, first 2 shown]
	buffer_store_dwordx4 v[2:5], v20, s[24:27], 0 offen glc slc
	;;#ASMSTART
	s_nop 0
	;;#ASMEND
.LBB23_10:
	s_or_b64 exec, exec, s[2:3]
.LBB23_11:
	v_mul_f32_e32 v2, v17, v17
	v_fmac_f32_e32 v2, v16, v16
	v_fmac_f32_e32 v2, v10, v10
	;; [unrolled: 1-line block ×7, first 2 shown]
	v_and_b32_e32 v4, 63, v0
	v_cmp_eq_u32_e64 s[2:3], 63, v4
	v_mov_b32_dpp v3, v2 quad_perm:[1,0,3,2] row_mask:0xf bank_mask:0xf
	v_add_f32_e32 v2, v2, v3
	s_nop 1
	v_mov_b32_dpp v3, v2 quad_perm:[2,3,0,1] row_mask:0xf bank_mask:0xf
	v_add_f32_e32 v2, v2, v3
	s_nop 1
	v_mov_b32_dpp v3, v2 row_half_mirror row_mask:0xf bank_mask:0xf
	v_add_f32_e32 v2, v2, v3
	s_nop 1
	v_mov_b32_dpp v3, v2 row_mirror row_mask:0xf bank_mask:0xf
	v_add_f32_e32 v2, v2, v3
	s_nop 1
	v_mov_b32_dpp v3, v2 row_bcast:15 row_mask:0xf bank_mask:0xf
	v_add_f32_e32 v2, v2, v3
	s_nop 1
	v_mov_b32_dpp v3, v2 row_bcast:31 row_mask:0xf bank_mask:0xf
	s_and_saveexec_b64 s[24:25], s[2:3]
	s_cbranch_execz .LBB23_13
; %bb.12:
	v_add_f32_e32 v2, v2, v3
	v_lshrrev_b32_e32 v3, 4, v0
	v_and_b32_e32 v3, 60, v3
	ds_write_b32 v3, v2 offset:16
.LBB23_13:
	s_or_b64 exec, exec, s[24:25]
	v_and_b32_e32 v2, 1, v0
	v_lshlrev_b32_e32 v18, 2, v2
	s_waitcnt lgkmcnt(0)
	s_barrier
	ds_read_b32 v2, v18 offset:16
	s_load_dwordx2 s[34:35], s[4:5], 0x18
	s_waitcnt lgkmcnt(0)
	v_mov_b32_dpp v3, v2 quad_perm:[1,0,3,2] row_mask:0xf bank_mask:0xf
	s_and_saveexec_b64 s[24:25], s[0:1]
	s_cbranch_execnz .LBB23_18
; %bb.14:
	s_or_b64 exec, exec, s[24:25]
	s_mov_b64 s[8:9], -1
	s_and_b64 vcc, exec, s[22:23]
	s_cbranch_vccnz .LBB23_19
.LBB23_15:
	s_andn2_b64 vcc, exec, s[8:9]
	s_cbranch_vccz .LBB23_22
.LBB23_16:
	s_cmp_lt_i32 s16, 1
	s_cbranch_scc0 .LBB23_31
.LBB23_17:
	s_endpgm
.LBB23_18:
	v_cvt_f32_u32_e32 v4, s7
	v_add_f32_e32 v2, v2, v3
	v_mov_b32_e32 v8, s13
	v_mov_b32_e32 v9, s12
	v_div_scale_f32 v3, s[36:37], v4, v4, v2
	v_rcp_f32_e32 v5, v3
	v_cndmask_b32_e64 v8, v8, v9, s[8:9]
	s_mov_b32 s7, 0x800000
	s_waitcnt vmcnt(0)
	v_cvt_f32_f16_sdwa v15, v26 dst_sel:DWORD dst_unused:UNUSED_PAD src0_sel:WORD_1
	v_fma_f32 v9, -v3, v5, 1.0
	v_fmac_f32_e32 v5, v9, v5
	v_div_scale_f32 v9, vcc, v2, v4, v2
	v_mul_f32_e32 v12, v9, v5
	v_fma_f32 v13, -v3, v12, v9
	v_fmac_f32_e32 v12, v13, v5
	v_fma_f32 v3, -v3, v12, v9
	v_div_fmas_f32 v3, v3, v5, v12
	v_div_fixup_f32 v2, v3, v4, v2
	v_add_f32_e32 v2, v8, v2
	v_mul_f32_e32 v3, 0x4b800000, v2
	v_cmp_gt_f32_e32 vcc, s7, v2
	v_cndmask_b32_e32 v2, v2, v3, vcc
	v_rsq_f32_e32 v2, v2
	v_cvt_f32_f16_sdwa v13, v25 dst_sel:DWORD dst_unused:UNUSED_PAD src0_sel:WORD_1
	v_cvt_f32_f16_e32 v12, v25
	v_cvt_f32_f16_e32 v14, v26
	v_mul_f32_e32 v3, 0x45800000, v2
	v_cndmask_b32_e32 v2, v2, v3, vcc
	v_mov_b32_e32 v3, v2
	;;#ASMSTART
	v_pk_mul_f32 v[4:5], v[16:17], v[2:3]
	;;#ASMEND
	;;#ASMSTART
	v_pk_mul_f32 v[8:9], v[10:11], v[2:3]
	;;#ASMEND
	;; [unrolled: 3-line block ×3, first 2 shown]
	v_cvt_f32_f16_sdwa v11, v24 dst_sel:DWORD dst_unused:UNUSED_PAD src0_sel:WORD_1
	v_cvt_f32_f16_e32 v10, v24
	;;#ASMSTART
	v_pk_mul_f32 v[2:3], v[32:33], v[2:3]
	;;#ASMEND
	v_cvt_f32_f16_sdwa v21, v27 dst_sel:DWORD dst_unused:UNUSED_PAD src0_sel:WORD_1
	v_cvt_f32_f16_e32 v20, v27
	;;#ASMSTART
	v_pk_mul_f32 v[16:17], v[4:5], v[10:11]
	;;#ASMEND
	;;#ASMSTART
	v_pk_mul_f32 v[10:11], v[8:9], v[12:13]
	;;#ASMEND
	;; [unrolled: 3-line block ×4, first 2 shown]
	s_or_b64 exec, exec, s[24:25]
	s_mov_b64 s[8:9], -1
	s_and_b64 vcc, exec, s[22:23]
	s_cbranch_vccz .LBB23_15
.LBB23_19:
	s_and_saveexec_b64 s[8:9], s[0:1]
	s_cbranch_execz .LBB23_21
; %bb.20:
	s_mul_hi_i32 s23, s28, s6
	s_mul_i32 s22, s28, s6
	v_cvt_f16_f32_e32 v2, v16
	v_cvt_f16_f32_e32 v3, v10
	;; [unrolled: 1-line block ×8, first 2 shown]
	s_lshl_b64 s[22:23], s[22:23], 1
	s_add_u32 s24, s34, s22
	s_addc_u32 s7, s35, s23
	s_and_b32 s25, s7, 0xffff
	s_mov_b32 s27, 0x20000
	v_pack_b32_f16 v5, v5, v8
	v_pack_b32_f16 v4, v4, v9
	;; [unrolled: 1-line block ×4, first 2 shown]
	v_lshlrev_b32_e32 v8, 4, v0
	buffer_store_dwordx4 v[2:5], v8, s[24:27], 0 offen
	;;#ASMSTART
	s_nop 0
	;;#ASMEND
.LBB23_21:
	s_or_b64 exec, exec, s[8:9]
	s_cbranch_execnz .LBB23_16
.LBB23_22:
	v_mov_b32_e32 v2, 0
	s_and_saveexec_b64 s[8:9], s[0:1]
	s_cbranch_execz .LBB23_24
; %bb.23:
	v_and_b32_e32 v2, 0x7fffffff, v16
	v_and_b32_e32 v3, 0x7fffffff, v17
	v_mov_b32_e32 v4, 0x2edbe6ff
	;;#ASMSTART
	v_max3_f32 v2, v4, v2, v3

	;;#ASMEND
	v_and_b32_e32 v3, 0x7fffffff, v10
	v_and_b32_e32 v4, 0x7fffffff, v11
	;;#ASMSTART
	v_max3_f32 v2, v2, v3, v4

	;;#ASMEND
	v_and_b32_e32 v3, 0x7fffffff, v6
	v_and_b32_e32 v4, 0x7fffffff, v7
	;; [unrolled: 6-line block ×3, first 2 shown]
	;;#ASMSTART
	v_max3_f32 v2, v2, v3, v4

	;;#ASMEND
.LBB23_24:
	s_or_b64 exec, exec, s[8:9]
	s_nop 0
	v_mov_b32_dpp v3, v2 quad_perm:[1,0,3,2] row_mask:0xf bank_mask:0xf
	v_cmp_gt_f32_e32 vcc, v2, v3
	v_cndmask_b32_e32 v2, v3, v2, vcc
	s_nop 1
	v_mov_b32_dpp v3, v2 quad_perm:[2,3,0,1] row_mask:0xf bank_mask:0xf
	v_cmp_gt_f32_e32 vcc, v2, v3
	v_cndmask_b32_e32 v2, v3, v2, vcc
	s_nop 1
	v_mov_b32_dpp v3, v2 row_half_mirror row_mask:0xf bank_mask:0xf
	v_cmp_gt_f32_e32 vcc, v2, v3
	v_cndmask_b32_e32 v2, v3, v2, vcc
	s_nop 1
	v_mov_b32_dpp v3, v2 row_mirror row_mask:0xf bank_mask:0xf
	v_cmp_gt_f32_e32 vcc, v2, v3
	v_cndmask_b32_e32 v2, v3, v2, vcc
	s_nop 1
	v_mov_b32_dpp v3, v2 row_bcast:15 row_mask:0xf bank_mask:0xf
	v_cmp_gt_f32_e32 vcc, v2, v3
	v_cndmask_b32_e32 v2, v3, v2, vcc
	s_nop 1
	v_mov_b32_dpp v3, v2 row_bcast:31 row_mask:0xf bank_mask:0xf
	s_and_saveexec_b64 s[8:9], s[2:3]
	s_cbranch_execz .LBB23_26
; %bb.25:
	v_cmp_gt_f32_e32 vcc, v2, v3
	v_cndmask_b32_e32 v2, v3, v2, vcc
	v_lshrrev_b32_e32 v3, 4, v0
	v_and_b32_e32 v3, 60, v3
	ds_write_b32 v3, v2
.LBB23_26:
	s_or_b64 exec, exec, s[8:9]
	s_waitcnt lgkmcnt(0)
	s_barrier
	ds_read_b32 v2, v18
	s_waitcnt lgkmcnt(0)
	s_nop 0
	v_mov_b32_dpp v3, v2 quad_perm:[1,0,3,2] row_mask:0xf bank_mask:0xf
	v_cmp_gt_f32_e32 vcc, v2, v3
	v_cndmask_b32_e32 v2, v3, v2, vcc
	v_mul_f32_e32 v2, 0x3b124925, v2
	v_cmp_eq_u32_e32 vcc, 0, v0
	s_and_saveexec_b64 s[8:9], vcc
	s_cbranch_execz .LBB23_28
; %bb.27:
	s_load_dwordx2 s[22:23], s[4:5], 0x8
	s_mul_hi_i32 s25, s11, s6
	s_mul_i32 s24, s11, s6
	s_lshl_b64 s[24:25], s[24:25], 2
	v_mov_b32_e32 v3, 0
	s_waitcnt lgkmcnt(0)
	s_add_u32 s22, s22, s24
	s_addc_u32 s23, s23, s25
	global_store_dword v3, v2, s[22:23]
.LBB23_28:
	s_or_b64 exec, exec, s[8:9]
	;;#ASMSTART
	v_rcp_f32 v2, v2
	;;#ASMEND
	s_and_saveexec_b64 s[22:23], s[0:1]
	s_cbranch_execz .LBB23_30
; %bb.29:
	s_load_dwordx2 s[0:1], s[4:5], 0x0
	s_mul_i32 s8, s10, s6
	v_mov_b32_e32 v3, v2
	;;#ASMSTART
	v_pk_mul_f32 v[4:5], v[16:17], v[2:3]
	;;#ASMEND
	s_mul_hi_i32 s7, s10, s6
	s_waitcnt lgkmcnt(0)
	s_add_u32 s8, s0, s8
	v_mov_b32_e32 v8, 0xc3e00000
	v_mov_b32_e32 v9, 0x43e00000
	;;#ASMSTART
	v_med3_f32 v4, v4, v8, v9
v_med3_f32 v5, v5, v8, v9
v_cvt_pk_fp8_f32 v12, v4, v5
	;;#ASMEND
	s_addc_u32 s0, s1, s7
	;;#ASMSTART
	v_pk_mul_f32 v[4:5], v[10:11], v[2:3]
	;;#ASMEND
	s_and_b32 s9, s0, 0xffff
	;;#ASMSTART
	v_med3_f32 v4, v4, v8, v9
v_med3_f32 v5, v5, v8, v9
v_cvt_pk_fp8_f32 v10, v4, v5
	;;#ASMEND
	s_mov_b32 s0, 0x5040100
	v_perm_b32 v5, v10, v12, s0
	s_movk_i32 s0, 0xff
	v_and_b32_e32 v4, 0xffffff00, v10
	v_and_b32_sdwa v10, v5, s0 dst_sel:DWORD dst_unused:UNUSED_PAD src0_sel:WORD_1 src1_sel:DWORD
	s_mov_b32 s12, 0xffff
	v_or_b32_sdwa v4, v10, v4 dst_sel:WORD_1 dst_unused:UNUSED_PAD src0_sel:DWORD src1_sel:DWORD
	s_add_i32 s1, s15, 3
	v_and_or_b32 v4, v5, s12, v4
	;;#ASMSTART
	v_pk_mul_f32 v[6:7], v[6:7], v[2:3]
	;;#ASMEND
	v_mov_b32_e32 v5, v7
	s_ashr_i32 s7, s1, 31
	;;#ASMSTART
	v_med3_f32 v6, v6, v8, v9
v_med3_f32 v5, v5, v8, v9
v_cvt_pk_fp8_f32 v7, v6, v5
	;;#ASMEND
	;;#ASMSTART
	v_pk_mul_f32 v[2:3], v[32:33], v[2:3]
	;;#ASMEND
	s_lshr_b32 s7, s7, 30
	;;#ASMSTART
	v_med3_f32 v2, v2, v8, v9
v_med3_f32 v3, v3, v8, v9
v_cvt_pk_fp8_f32 v5, v2, v3
	;;#ASMEND
	s_add_i32 s1, s1, s7
	v_lshlrev_b32_e32 v2, 16, v5
	s_and_b32 s10, s1, -4
	s_mov_b32 s11, 0x20000
	v_and_or_b32 v5, v7, s12, v2
	buffer_store_dwordx2 v[4:5], v1, s[8:11], 0 offen
	;;#ASMSTART
	s_nop 0
	;;#ASMEND
.LBB23_30:
	s_or_b64 exec, exec, s[22:23]
	s_cmp_lt_i32 s16, 1
	s_cbranch_scc1 .LBB23_17
.LBB23_31:
	s_load_dword s0, s[4:5], 0x94
	s_waitcnt lgkmcnt(0)
	s_cmp_lg_u32 s0, 1
	s_cbranch_scc1 .LBB23_17
; %bb.32:
	s_lshl_b32 s0, s16, 1
	s_add_i32 s0, s0, 2
	v_cmp_gt_u32_e32 vcc, s16, v1
	s_and_b32 s22, s0, -4
	v_mov_b32_e32 v10, 0
	v_lshlrev_b32_e32 v1, 4, v0
	v_mov_b32_e32 v6, 0
	v_mov_b32_e32 v7, 0
	;; [unrolled: 1-line block ×8, first 2 shown]
	s_barrier
	s_and_saveexec_b64 s[0:1], vcc
	s_cbranch_execz .LBB23_34
; %bb.33:
	s_mul_hi_i32 s5, s18, s6
	s_mul_i32 s4, s18, s6
	s_and_b32 s21, s21, 0xffff
	s_lshl_b64 s[4:5], s[4:5], 1
	s_add_u32 s8, s30, s4
	s_mov_b32 s23, 0x20000
	s_addc_u32 s4, s31, s5
	s_and_b32 s9, s4, 0xffff
	s_mov_b32 s10, s22
	s_mov_b32 s11, s23
	buffer_load_dwordx4 v[6:9], v1, s[8:11], 0 offen glc slc
	buffer_load_dwordx4 v[2:5], v1, s[20:23], 0 offen
.LBB23_34:
	s_or_b64 exec, exec, s[0:1]
	v_mov_b32_e32 v11, 0
	v_mov_b32_e32 v16, 0
	;; [unrolled: 1-line block ×7, first 2 shown]
	s_and_saveexec_b64 s[0:1], vcc
	s_cbranch_execz .LBB23_36
; %bb.35:
	s_waitcnt vmcnt(1)
	v_cvt_f32_f16_sdwa v11, v6 dst_sel:DWORD dst_unused:UNUSED_PAD src0_sel:WORD_1
	v_cvt_f32_f16_e32 v10, v6
	v_cvt_f32_f16_sdwa v17, v7 dst_sel:DWORD dst_unused:UNUSED_PAD src0_sel:WORD_1
	v_cvt_f32_f16_e32 v16, v7
	;; [unrolled: 2-line block ×4, first 2 shown]
.LBB23_36:
	s_or_b64 exec, exec, s[0:1]
	s_waitcnt vmcnt(1)
	v_mul_f32_e32 v6, v11, v11
	v_fmac_f32_e32 v6, v10, v10
	v_fmac_f32_e32 v6, v16, v16
	;; [unrolled: 1-line block ×7, first 2 shown]
	s_nop 1
	v_mov_b32_dpp v7, v6 quad_perm:[1,0,3,2] row_mask:0xf bank_mask:0xf
	v_add_f32_e32 v6, v6, v7
	s_nop 1
	v_mov_b32_dpp v7, v6 quad_perm:[2,3,0,1] row_mask:0xf bank_mask:0xf
	v_add_f32_e32 v6, v6, v7
	s_nop 1
	v_mov_b32_dpp v7, v6 row_half_mirror row_mask:0xf bank_mask:0xf
	v_add_f32_e32 v6, v6, v7
	s_nop 1
	v_mov_b32_dpp v7, v6 row_mirror row_mask:0xf bank_mask:0xf
	v_add_f32_e32 v6, v6, v7
	s_nop 1
	v_mov_b32_dpp v7, v6 row_bcast:15 row_mask:0xf bank_mask:0xf
	v_add_f32_e32 v6, v6, v7
	s_nop 1
	v_mov_b32_dpp v7, v6 row_bcast:31 row_mask:0xf bank_mask:0xf
	s_and_saveexec_b64 s[0:1], s[2:3]
	s_cbranch_execz .LBB23_38
; %bb.37:
	v_lshrrev_b32_e32 v0, 4, v0
	v_add_f32_e32 v6, v6, v7
	v_and_b32_e32 v0, 60, v0
	ds_write_b32 v0, v6 offset:8
.LBB23_38:
	s_or_b64 exec, exec, s[0:1]
	s_waitcnt lgkmcnt(0)
	s_barrier
	ds_read_b32 v0, v18 offset:8
	s_waitcnt lgkmcnt(0)
	s_nop 0
	v_mov_b32_dpp v6, v0 quad_perm:[1,0,3,2] row_mask:0xf bank_mask:0xf
	s_and_saveexec_b64 s[0:1], vcc
	s_cbranch_execz .LBB23_17
; %bb.39:
	v_cvt_f32_u32_e32 v7, s16
	v_add_f32_e32 v0, v0, v6
	s_mov_b32 s23, 0x20000
	v_div_scale_f32 v6, s[0:1], v7, v7, v0
	v_rcp_f32_e32 v8, v6
	v_div_scale_f32 v9, vcc, v0, v7, v0
	s_mov_b32 s0, 0x800000
	v_fma_f32 v18, -v6, v8, 1.0
	v_fmac_f32_e32 v8, v18, v8
	v_mul_f32_e32 v18, v9, v8
	v_fma_f32 v19, -v6, v18, v9
	v_fmac_f32_e32 v18, v19, v8
	v_fma_f32 v6, -v6, v18, v9
	v_div_fmas_f32 v6, v6, v8, v18
	v_div_fixup_f32 v0, v6, v7, v0
	v_add_f32_e32 v0, s13, v0
	v_mul_f32_e32 v6, 0x4b800000, v0
	v_cmp_gt_f32_e32 vcc, s0, v0
	v_cndmask_b32_e32 v0, v0, v6, vcc
	v_rsq_f32_e32 v0, v0
	s_waitcnt vmcnt(0)
	v_cvt_f32_f16_sdwa v19, v5 dst_sel:DWORD dst_unused:UNUSED_PAD src0_sel:WORD_1
	v_cvt_f32_f16_e32 v18, v5
	s_mul_hi_i32 s1, s28, s6
	v_mul_f32_e32 v6, 0x45800000, v0
	v_cndmask_b32_e32 v6, v0, v6, vcc
	v_mov_b32_e32 v7, v6
	;;#ASMSTART
	v_pk_mul_f32 v[8:9], v[10:11], v[6:7]
	;;#ASMEND
	;;#ASMSTART
	v_pk_mul_f32 v[10:11], v[16:17], v[6:7]
	;;#ASMEND
	;; [unrolled: 3-line block ×4, first 2 shown]
	v_cvt_f32_f16_sdwa v13, v2 dst_sel:DWORD dst_unused:UNUSED_PAD src0_sel:WORD_1
	v_cvt_f32_f16_e32 v12, v2
	v_cvt_f32_f16_sdwa v17, v3 dst_sel:DWORD dst_unused:UNUSED_PAD src0_sel:WORD_1
	v_cvt_f32_f16_e32 v16, v3
	;; [unrolled: 2-line block ×3, first 2 shown]
	;;#ASMSTART
	v_pk_mul_f32 v[4:5], v[8:9], v[12:13]
	;;#ASMEND
	;;#ASMSTART
	v_pk_mul_f32 v[8:9], v[10:11], v[16:17]
	;;#ASMEND
	;; [unrolled: 3-line block ×4, first 2 shown]
	s_mul_i32 s0, s28, s6
	v_cvt_f16_f32_e32 v0, v4
	v_cvt_f16_f32_e32 v4, v5
	;; [unrolled: 1-line block ×8, first 2 shown]
	s_lshl_b64 s[0:1], s[0:1], 1
	s_add_u32 s20, s34, s0
	s_addc_u32 s0, s35, s1
	s_and_b32 s21, s0, 0xffff
	v_pack_b32_f16 v2, v0, v4
	v_pack_b32_f16 v3, v5, v8
	;; [unrolled: 1-line block ×4, first 2 shown]
	buffer_store_dwordx4 v[2:5], v1, s[20:23], 0 offen
	;;#ASMSTART
	s_nop 0
	;;#ASMEND
	s_endpgm
	.section	.rodata,"a",@progbits
	.p2align	6, 0x0
	.amdhsa_kernel _ZN5aiter35fused_qk_rmsnorm_group_quant_kernelIDF16_DB8_Li128ELi8ELi1ELb1ELb0ELb0ELb0ELb1ELb1EEEvPT0_PvPT_S6_S6_PKS5_S8_S8_S8_S8_ffiiiiiiiiiiiii
		.amdhsa_group_segment_fixed_size 24
		.amdhsa_private_segment_fixed_size 0
		.amdhsa_kernarg_size 400
		.amdhsa_user_sgpr_count 6
		.amdhsa_user_sgpr_private_segment_buffer 1
		.amdhsa_user_sgpr_dispatch_ptr 0
		.amdhsa_user_sgpr_queue_ptr 0
		.amdhsa_user_sgpr_kernarg_segment_ptr 1
		.amdhsa_user_sgpr_dispatch_id 0
		.amdhsa_user_sgpr_flat_scratch_init 0
		.amdhsa_user_sgpr_kernarg_preload_length 0
		.amdhsa_user_sgpr_kernarg_preload_offset 0
		.amdhsa_user_sgpr_private_segment_size 0
		.amdhsa_uses_dynamic_stack 0
		.amdhsa_system_sgpr_private_segment_wavefront_offset 0
		.amdhsa_system_sgpr_workgroup_id_x 1
		.amdhsa_system_sgpr_workgroup_id_y 1
		.amdhsa_system_sgpr_workgroup_id_z 0
		.amdhsa_system_sgpr_workgroup_info 0
		.amdhsa_system_vgpr_workitem_id 0
		.amdhsa_next_free_vgpr 34
		.amdhsa_next_free_sgpr 40
		.amdhsa_accum_offset 36
		.amdhsa_reserve_vcc 1
		.amdhsa_reserve_flat_scratch 0
		.amdhsa_float_round_mode_32 0
		.amdhsa_float_round_mode_16_64 0
		.amdhsa_float_denorm_mode_32 3
		.amdhsa_float_denorm_mode_16_64 3
		.amdhsa_dx10_clamp 1
		.amdhsa_ieee_mode 1
		.amdhsa_fp16_overflow 0
		.amdhsa_tg_split 0
		.amdhsa_exception_fp_ieee_invalid_op 0
		.amdhsa_exception_fp_denorm_src 0
		.amdhsa_exception_fp_ieee_div_zero 0
		.amdhsa_exception_fp_ieee_overflow 0
		.amdhsa_exception_fp_ieee_underflow 0
		.amdhsa_exception_fp_ieee_inexact 0
		.amdhsa_exception_int_div_zero 0
	.end_amdhsa_kernel
	.section	.text._ZN5aiter35fused_qk_rmsnorm_group_quant_kernelIDF16_DB8_Li128ELi8ELi1ELb1ELb0ELb0ELb0ELb1ELb1EEEvPT0_PvPT_S6_S6_PKS5_S8_S8_S8_S8_ffiiiiiiiiiiiii,"axG",@progbits,_ZN5aiter35fused_qk_rmsnorm_group_quant_kernelIDF16_DB8_Li128ELi8ELi1ELb1ELb0ELb0ELb0ELb1ELb1EEEvPT0_PvPT_S6_S6_PKS5_S8_S8_S8_S8_ffiiiiiiiiiiiii,comdat
.Lfunc_end23:
	.size	_ZN5aiter35fused_qk_rmsnorm_group_quant_kernelIDF16_DB8_Li128ELi8ELi1ELb1ELb0ELb0ELb0ELb1ELb1EEEvPT0_PvPT_S6_S6_PKS5_S8_S8_S8_S8_ffiiiiiiiiiiiii, .Lfunc_end23-_ZN5aiter35fused_qk_rmsnorm_group_quant_kernelIDF16_DB8_Li128ELi8ELi1ELb1ELb0ELb0ELb0ELb1ELb1EEEvPT0_PvPT_S6_S6_PKS5_S8_S8_S8_S8_ffiiiiiiiiiiiii
                                        ; -- End function
	.section	.AMDGPU.csdata,"",@progbits
; Kernel info:
; codeLenInByte = 2932
; NumSgprs: 44
; NumVgprs: 34
; NumAgprs: 0
; TotalNumVgprs: 34
; ScratchSize: 0
; MemoryBound: 0
; FloatMode: 240
; IeeeMode: 1
; LDSByteSize: 24 bytes/workgroup (compile time only)
; SGPRBlocks: 5
; VGPRBlocks: 4
; NumSGPRsForWavesPerEU: 44
; NumVGPRsForWavesPerEU: 34
; AccumOffset: 36
; Occupancy: 8
; WaveLimiterHint : 0
; COMPUTE_PGM_RSRC2:SCRATCH_EN: 0
; COMPUTE_PGM_RSRC2:USER_SGPR: 6
; COMPUTE_PGM_RSRC2:TRAP_HANDLER: 0
; COMPUTE_PGM_RSRC2:TGID_X_EN: 1
; COMPUTE_PGM_RSRC2:TGID_Y_EN: 1
; COMPUTE_PGM_RSRC2:TGID_Z_EN: 0
; COMPUTE_PGM_RSRC2:TIDIG_COMP_CNT: 0
; COMPUTE_PGM_RSRC3_GFX90A:ACCUM_OFFSET: 8
; COMPUTE_PGM_RSRC3_GFX90A:TG_SPLIT: 0
	.section	.text._ZN5aiter35fused_qk_rmsnorm_group_quant_kernelItDB8_Li128ELi8ELi1ELb1ELb0ELb0ELb0ELb1ELb1EEEvPT0_PvPT_S6_S6_PKS5_S8_S8_S8_S8_ffiiiiiiiiiiiii,"axG",@progbits,_ZN5aiter35fused_qk_rmsnorm_group_quant_kernelItDB8_Li128ELi8ELi1ELb1ELb0ELb0ELb0ELb1ELb1EEEvPT0_PvPT_S6_S6_PKS5_S8_S8_S8_S8_ffiiiiiiiiiiiii,comdat
	.protected	_ZN5aiter35fused_qk_rmsnorm_group_quant_kernelItDB8_Li128ELi8ELi1ELb1ELb0ELb0ELb0ELb1ELb1EEEvPT0_PvPT_S6_S6_PKS5_S8_S8_S8_S8_ffiiiiiiiiiiiii ; -- Begin function _ZN5aiter35fused_qk_rmsnorm_group_quant_kernelItDB8_Li128ELi8ELi1ELb1ELb0ELb0ELb0ELb1ELb1EEEvPT0_PvPT_S6_S6_PKS5_S8_S8_S8_S8_ffiiiiiiiiiiiii
	.globl	_ZN5aiter35fused_qk_rmsnorm_group_quant_kernelItDB8_Li128ELi8ELi1ELb1ELb0ELb0ELb0ELb1ELb1EEEvPT0_PvPT_S6_S6_PKS5_S8_S8_S8_S8_ffiiiiiiiiiiiii
	.p2align	8
	.type	_ZN5aiter35fused_qk_rmsnorm_group_quant_kernelItDB8_Li128ELi8ELi1ELb1ELb0ELb0ELb0ELb1ELb1EEEvPT0_PvPT_S6_S6_PKS5_S8_S8_S8_S8_ffiiiiiiiiiiiii,@function
_ZN5aiter35fused_qk_rmsnorm_group_quant_kernelItDB8_Li128ELi8ELi1ELb1ELb0ELb0ELb0ELb1ELb1EEEvPT0_PvPT_S6_S6_PKS5_S8_S8_S8_S8_ffiiiiiiiiiiiii: ; @_ZN5aiter35fused_qk_rmsnorm_group_quant_kernelItDB8_Li128ELi8ELi1ELb1ELb0ELb0ELb0ELb1ELb1EEEvPT0_PvPT_S6_S6_PKS5_S8_S8_S8_S8_ffiiiiiiiiiiiii
; %bb.0:
	s_load_dwordx8 s[12:19], s[4:5], 0x50
	s_waitcnt lgkmcnt(0)
	s_cmp_ge_i32 s6, s14
	s_cbranch_scc1 .LBB24_17
; %bb.1:
	s_cmp_lg_u32 s7, 0
	s_cselect_b64 s[22:23], -1, 0
	s_cmp_eq_u32 s7, 0
	s_cselect_b64 s[8:9], -1, 0
	s_and_b64 s[0:1], s[8:9], exec
	s_load_dwordx2 s[10:11], s[4:5], 0x70
	s_load_dwordx2 s[20:21], s[4:5], 0x48
	;; [unrolled: 1-line block ×3, first 2 shown]
	s_cselect_b32 s7, s15, s16
	s_add_i32 s0, s7, 1
	s_lshr_b32 s1, s0, 31
	s_add_i32 s0, s0, s1
	s_lshl_b32 s0, s0, 1
	v_lshlrev_b32_e32 v1, 3, v0
	s_and_b32 s26, s0, -4
	v_cmp_gt_i32_e64 s[0:1], s7, v1
	v_mov_b32_e32 v10, 0
	v_mov_b32_e32 v11, 0
	;; [unrolled: 1-line block ×8, first 2 shown]
	s_and_saveexec_b64 s[2:3], s[0:1]
	s_cbranch_execz .LBB24_3
; %bb.2:
	s_load_dwordx2 s[24:25], s[4:5], 0x28
	s_load_dwordx2 s[28:29], s[4:5], 0x40
	s_and_b64 s[34:35], s[8:9], exec
	s_cselect_b32 s14, s17, s18
	v_lshlrev_b32_e32 v2, 4, v0
	s_waitcnt lgkmcnt(0)
	s_cselect_b32 s17, s25, s31
	s_cselect_b32 s27, s24, s30
	s_mul_hi_i32 s25, s14, s6
	s_mul_i32 s24, s14, s6
	s_lshl_b64 s[24:25], s[24:25], 1
	s_add_u32 s36, s27, s24
	s_addc_u32 s14, s17, s25
	s_and_b64 s[24:25], s[8:9], exec
	s_mov_b32 s27, 0x20000
	s_cselect_b32 s24, s28, s20
	s_cselect_b32 s17, s29, s21
	s_and_b32 s37, s14, 0xffff
	s_mov_b32 s38, s26
	s_mov_b32 s39, s27
	s_and_b32 s25, s17, 0xffff
	buffer_load_dwordx4 v[14:17], v2, s[36:39], 0 offen glc slc
	buffer_load_dwordx4 v[10:13], v2, s[24:27], 0 offen
.LBB24_3:
	s_or_b64 exec, exec, s[2:3]
	s_load_dwordx2 s[28:29], s[4:5], 0x80
	s_and_b64 vcc, exec, s[22:23]
	s_cbranch_vccz .LBB24_7
; %bb.4:
	s_mov_b32 s36, 0
	s_mov_b32 s37, s36
	s_mov_b32 s38, s36
	s_mov_b32 s39, s36
	s_mov_b32 s40, s36
	s_mov_b32 s41, s36
	s_mov_b32 s42, s36
	s_mov_b32 s43, s36
	v_pk_mov_b32 v[2:3], s[36:37], s[36:37] op_sel:[0,1]
	v_pk_mov_b32 v[4:5], s[38:39], s[38:39] op_sel:[0,1]
	;; [unrolled: 1-line block ×4, first 2 shown]
	s_and_saveexec_b64 s[2:3], s[0:1]
	s_cbranch_execz .LBB24_6
; %bb.5:
	s_waitcnt vmcnt(1)
	v_cvt_f32_u32_sdwa v3, v14 dst_sel:DWORD dst_unused:UNUSED_PAD src0_sel:WORD_1
	v_cvt_f32_u32_sdwa v2, v14 dst_sel:DWORD dst_unused:UNUSED_PAD src0_sel:WORD_0
	v_cvt_f32_u32_sdwa v5, v15 dst_sel:DWORD dst_unused:UNUSED_PAD src0_sel:WORD_1
	v_cvt_f32_u32_sdwa v4, v15 dst_sel:DWORD dst_unused:UNUSED_PAD src0_sel:WORD_0
	;; [unrolled: 2-line block ×4, first 2 shown]
.LBB24_6:
	s_or_b64 exec, exec, s[2:3]
	s_cbranch_execz .LBB24_8
	s_branch .LBB24_11
.LBB24_7:
                                        ; implicit-def: $vgpr2_vgpr3_vgpr4_vgpr5_vgpr6_vgpr7_vgpr8_vgpr9
.LBB24_8:
	s_mov_b32 s36, 0
	s_mov_b32 s37, s36
	;; [unrolled: 1-line block ×8, first 2 shown]
	v_pk_mov_b32 v[2:3], s[36:37], s[36:37] op_sel:[0,1]
	v_pk_mov_b32 v[4:5], s[38:39], s[38:39] op_sel:[0,1]
	;; [unrolled: 1-line block ×4, first 2 shown]
	s_and_saveexec_b64 s[2:3], s[0:1]
	s_cbranch_execz .LBB24_10
; %bb.9:
	s_load_dwordx2 s[24:25], s[4:5], 0x38
	s_mul_hi_i32 s35, s19, s6
	s_mul_i32 s34, s19, s6
	s_lshl_b64 s[34:35], s[34:35], 1
	s_mov_b32 s27, 0x20000
	s_waitcnt lgkmcnt(0)
	s_add_u32 s24, s24, s34
	s_addc_u32 s14, s25, s35
	s_and_b32 s25, s14, 0xffff
	v_lshlrev_b32_e32 v26, 4, v0
	buffer_load_dwordx4 v[2:5], v26, s[24:27], 0 offen glc slc
	s_load_dwordx2 s[24:25], s[4:5], 0x20
	s_waitcnt vmcnt(2)
	v_cvt_f32_u32_sdwa v7, v14 dst_sel:DWORD dst_unused:UNUSED_PAD src0_sel:WORD_1
	v_cvt_f32_u32_sdwa v6, v14 dst_sel:DWORD dst_unused:UNUSED_PAD src0_sel:WORD_0
	v_cvt_f32_u32_sdwa v9, v15 dst_sel:DWORD dst_unused:UNUSED_PAD src0_sel:WORD_1
	v_cvt_f32_u32_sdwa v8, v15 dst_sel:DWORD dst_unused:UNUSED_PAD src0_sel:WORD_0
	;; [unrolled: 2-line block ×4, first 2 shown]
	s_mul_hi_i32 s35, s29, s6
	s_mul_i32 s34, s29, s6
	s_lshl_b64 s[34:35], s[34:35], 1
	s_waitcnt lgkmcnt(0)
	s_add_u32 s24, s24, s34
	s_mov_b32 s14, 0x7060302
	s_addc_u32 s17, s25, s35
	s_and_b32 s25, s17, 0xffff
	s_waitcnt vmcnt(0)
	v_cvt_f32_u32_sdwa v17, v2 dst_sel:DWORD dst_unused:UNUSED_PAD src0_sel:WORD_1
	v_cvt_f32_u32_sdwa v16, v2 dst_sel:DWORD dst_unused:UNUSED_PAD src0_sel:WORD_0
	v_cvt_f32_u32_sdwa v21, v3 dst_sel:DWORD dst_unused:UNUSED_PAD src0_sel:WORD_1
	v_cvt_f32_u32_sdwa v20, v3 dst_sel:DWORD dst_unused:UNUSED_PAD src0_sel:WORD_0
	;; [unrolled: 2-line block ×4, first 2 shown]
	v_pk_add_f32 v[2:3], v[6:7], v[16:17]
	v_pk_add_f32 v[4:5], v[8:9], v[20:21]
	;; [unrolled: 1-line block ×4, first 2 shown]
	v_perm_b32 v17, v9, v8, s14
	v_perm_b32 v16, v7, v6, s14
	;; [unrolled: 1-line block ×4, first 2 shown]
	buffer_store_dwordx4 v[14:17], v26, s[24:27], 0 offen glc slc
	;;#ASMSTART
	s_nop 0
	;;#ASMEND
.LBB24_10:
	s_or_b64 exec, exec, s[2:3]
.LBB24_11:
	s_waitcnt vmcnt(1)
	v_mul_f32_e32 v14, v3, v3
	v_fmac_f32_e32 v14, v2, v2
	v_fmac_f32_e32 v14, v4, v4
	;; [unrolled: 1-line block ×7, first 2 shown]
	v_and_b32_e32 v16, 63, v0
	v_cmp_eq_u32_e64 s[2:3], 63, v16
	v_mov_b32_dpp v15, v14 quad_perm:[1,0,3,2] row_mask:0xf bank_mask:0xf
	v_add_f32_e32 v14, v14, v15
	s_nop 1
	v_mov_b32_dpp v15, v14 quad_perm:[2,3,0,1] row_mask:0xf bank_mask:0xf
	v_add_f32_e32 v14, v14, v15
	s_nop 1
	v_mov_b32_dpp v15, v14 row_half_mirror row_mask:0xf bank_mask:0xf
	v_add_f32_e32 v14, v14, v15
	s_nop 1
	v_mov_b32_dpp v15, v14 row_mirror row_mask:0xf bank_mask:0xf
	v_add_f32_e32 v14, v14, v15
	s_nop 1
	v_mov_b32_dpp v15, v14 row_bcast:15 row_mask:0xf bank_mask:0xf
	v_add_f32_e32 v14, v14, v15
	s_nop 1
	v_mov_b32_dpp v15, v14 row_bcast:31 row_mask:0xf bank_mask:0xf
	s_and_saveexec_b64 s[24:25], s[2:3]
	s_cbranch_execz .LBB24_13
; %bb.12:
	v_add_f32_e32 v14, v14, v15
	v_lshrrev_b32_e32 v15, 4, v0
	v_and_b32_e32 v15, 60, v15
	ds_write_b32 v15, v14 offset:16
.LBB24_13:
	s_or_b64 exec, exec, s[24:25]
	v_and_b32_e32 v14, 1, v0
	v_lshlrev_b32_e32 v14, 2, v14
	s_waitcnt lgkmcnt(0)
	s_barrier
	ds_read_b32 v15, v14 offset:16
	s_load_dwordx2 s[34:35], s[4:5], 0x18
	s_waitcnt lgkmcnt(0)
	v_mov_b32_dpp v16, v15 quad_perm:[1,0,3,2] row_mask:0xf bank_mask:0xf
	s_and_saveexec_b64 s[24:25], s[0:1]
	s_cbranch_execnz .LBB24_18
; %bb.14:
	s_or_b64 exec, exec, s[24:25]
	s_mov_b64 s[8:9], -1
	s_and_b64 vcc, exec, s[22:23]
	s_cbranch_vccnz .LBB24_19
.LBB24_15:
	s_andn2_b64 vcc, exec, s[8:9]
	s_cbranch_vccz .LBB24_22
.LBB24_16:
	s_cmp_lt_i32 s16, 1
	s_cbranch_scc0 .LBB24_31
.LBB24_17:
	s_endpgm
.LBB24_18:
	v_cvt_f32_u32_e32 v17, s7
	v_add_f32_e32 v15, v15, v16
	v_mov_b32_e32 v19, s13
	v_mov_b32_e32 v20, s12
	v_div_scale_f32 v16, s[36:37], v17, v17, v15
	v_rcp_f32_e32 v18, v16
	v_cndmask_b32_e64 v19, v19, v20, s[8:9]
	s_mov_b32 s7, 0x800000
	v_fma_f32 v20, -v16, v18, 1.0
	v_fmac_f32_e32 v18, v20, v18
	v_div_scale_f32 v20, vcc, v15, v17, v15
	v_mul_f32_e32 v21, v20, v18
	v_fma_f32 v22, -v16, v21, v20
	v_fmac_f32_e32 v21, v22, v18
	v_fma_f32 v16, -v16, v21, v20
	v_div_fmas_f32 v16, v16, v18, v21
	v_div_fixup_f32 v15, v16, v17, v15
	v_add_f32_e32 v15, v19, v15
	v_mul_f32_e32 v16, 0x4b800000, v15
	v_cmp_gt_f32_e32 vcc, s7, v15
	v_cndmask_b32_e32 v15, v15, v16, vcc
	v_rsq_f32_e32 v15, v15
	s_waitcnt vmcnt(0)
	v_cvt_f32_u32_sdwa v19, v11 dst_sel:DWORD dst_unused:UNUSED_PAD src0_sel:WORD_1
	v_cvt_f32_u32_sdwa v18, v11 dst_sel:DWORD dst_unused:UNUSED_PAD src0_sel:WORD_0
	v_cvt_f32_u32_sdwa v11, v12 dst_sel:DWORD dst_unused:UNUSED_PAD src0_sel:WORD_1
	v_mul_f32_e32 v16, 0x45800000, v15
	v_cndmask_b32_e32 v16, v15, v16, vcc
	v_mov_b32_e32 v17, v16
	;;#ASMSTART
	v_pk_mul_f32 v[2:3], v[2:3], v[16:17]
	;;#ASMEND
	;;#ASMSTART
	v_pk_mul_f32 v[4:5], v[4:5], v[16:17]
	;;#ASMEND
	;; [unrolled: 3-line block ×4, first 2 shown]
	v_cvt_f32_u32_sdwa v17, v10 dst_sel:DWORD dst_unused:UNUSED_PAD src0_sel:WORD_1
	v_cvt_f32_u32_sdwa v16, v10 dst_sel:DWORD dst_unused:UNUSED_PAD src0_sel:WORD_0
	v_cvt_f32_u32_sdwa v10, v12 dst_sel:DWORD dst_unused:UNUSED_PAD src0_sel:WORD_0
	v_cvt_f32_u32_sdwa v21, v13 dst_sel:DWORD dst_unused:UNUSED_PAD src0_sel:WORD_1
	v_cvt_f32_u32_sdwa v20, v13 dst_sel:DWORD dst_unused:UNUSED_PAD src0_sel:WORD_0
	;;#ASMSTART
	v_pk_mul_f32 v[2:3], v[2:3], v[16:17]
	;;#ASMEND
	;;#ASMSTART
	v_pk_mul_f32 v[4:5], v[4:5], v[18:19]
	;;#ASMEND
	;; [unrolled: 3-line block ×4, first 2 shown]
	s_or_b64 exec, exec, s[24:25]
	s_mov_b64 s[8:9], -1
	s_and_b64 vcc, exec, s[22:23]
	s_cbranch_vccz .LBB24_15
.LBB24_19:
	s_and_saveexec_b64 s[8:9], s[0:1]
	s_cbranch_execz .LBB24_21
; %bb.20:
	s_mul_hi_i32 s23, s28, s6
	s_mul_i32 s22, s28, s6
	s_lshl_b64 s[22:23], s[22:23], 1
	s_add_u32 s24, s34, s22
	s_addc_u32 s7, s35, s23
	s_and_b32 s25, s7, 0xffff
	s_mov_b32 s7, 0x7060302
	s_mov_b32 s27, 0x20000
	s_waitcnt vmcnt(0)
	v_perm_b32 v10, v3, v2, s7
	v_perm_b32 v11, v5, v4, s7
	;; [unrolled: 1-line block ×4, first 2 shown]
	v_lshlrev_b32_e32 v15, 4, v0
	buffer_store_dwordx4 v[10:13], v15, s[24:27], 0 offen
	;;#ASMSTART
	s_nop 0
	;;#ASMEND
.LBB24_21:
	s_or_b64 exec, exec, s[8:9]
	s_cbranch_execnz .LBB24_16
.LBB24_22:
	s_waitcnt vmcnt(0)
	v_mov_b32_e32 v10, 0
	s_and_saveexec_b64 s[8:9], s[0:1]
	s_cbranch_execz .LBB24_24
; %bb.23:
	v_and_b32_e32 v10, 0x7fffffff, v2
	v_and_b32_e32 v11, 0x7fffffff, v3
	v_mov_b32_e32 v12, 0x2edbe6ff
	;;#ASMSTART
	v_max3_f32 v10, v12, v10, v11

	;;#ASMEND
	v_and_b32_e32 v11, 0x7fffffff, v4
	v_and_b32_e32 v12, 0x7fffffff, v5
	;;#ASMSTART
	v_max3_f32 v10, v10, v11, v12

	;;#ASMEND
	v_and_b32_e32 v11, 0x7fffffff, v6
	v_and_b32_e32 v12, 0x7fffffff, v7
	;; [unrolled: 6-line block ×3, first 2 shown]
	;;#ASMSTART
	v_max3_f32 v10, v10, v11, v12

	;;#ASMEND
.LBB24_24:
	s_or_b64 exec, exec, s[8:9]
	s_nop 0
	v_mov_b32_dpp v11, v10 quad_perm:[1,0,3,2] row_mask:0xf bank_mask:0xf
	v_cmp_gt_f32_e32 vcc, v10, v11
	v_cndmask_b32_e32 v10, v11, v10, vcc
	s_nop 1
	v_mov_b32_dpp v11, v10 quad_perm:[2,3,0,1] row_mask:0xf bank_mask:0xf
	v_cmp_gt_f32_e32 vcc, v10, v11
	v_cndmask_b32_e32 v10, v11, v10, vcc
	s_nop 1
	v_mov_b32_dpp v11, v10 row_half_mirror row_mask:0xf bank_mask:0xf
	v_cmp_gt_f32_e32 vcc, v10, v11
	v_cndmask_b32_e32 v10, v11, v10, vcc
	s_nop 1
	v_mov_b32_dpp v11, v10 row_mirror row_mask:0xf bank_mask:0xf
	v_cmp_gt_f32_e32 vcc, v10, v11
	v_cndmask_b32_e32 v10, v11, v10, vcc
	s_nop 1
	v_mov_b32_dpp v11, v10 row_bcast:15 row_mask:0xf bank_mask:0xf
	v_cmp_gt_f32_e32 vcc, v10, v11
	v_cndmask_b32_e32 v10, v11, v10, vcc
	s_nop 1
	v_mov_b32_dpp v11, v10 row_bcast:31 row_mask:0xf bank_mask:0xf
	s_and_saveexec_b64 s[8:9], s[2:3]
	s_cbranch_execz .LBB24_26
; %bb.25:
	v_cmp_gt_f32_e32 vcc, v10, v11
	v_cndmask_b32_e32 v10, v11, v10, vcc
	v_lshrrev_b32_e32 v11, 4, v0
	v_and_b32_e32 v11, 60, v11
	ds_write_b32 v11, v10
.LBB24_26:
	s_or_b64 exec, exec, s[8:9]
	s_waitcnt lgkmcnt(0)
	s_barrier
	ds_read_b32 v10, v14
	s_waitcnt lgkmcnt(0)
	s_nop 0
	v_mov_b32_dpp v11, v10 quad_perm:[1,0,3,2] row_mask:0xf bank_mask:0xf
	v_cmp_gt_f32_e32 vcc, v10, v11
	v_cndmask_b32_e32 v10, v11, v10, vcc
	v_mul_f32_e32 v10, 0x3b124925, v10
	v_cmp_eq_u32_e32 vcc, 0, v0
	s_and_saveexec_b64 s[8:9], vcc
	s_cbranch_execz .LBB24_28
; %bb.27:
	s_load_dwordx2 s[22:23], s[4:5], 0x8
	s_mul_hi_i32 s25, s11, s6
	s_mul_i32 s24, s11, s6
	s_lshl_b64 s[24:25], s[24:25], 2
	v_mov_b32_e32 v11, 0
	s_waitcnt lgkmcnt(0)
	s_add_u32 s22, s22, s24
	s_addc_u32 s23, s23, s25
	global_store_dword v11, v10, s[22:23]
.LBB24_28:
	s_or_b64 exec, exec, s[8:9]
	;;#ASMSTART
	v_rcp_f32 v10, v10
	;;#ASMEND
	s_and_saveexec_b64 s[22:23], s[0:1]
	s_cbranch_execz .LBB24_30
; %bb.29:
	s_load_dwordx2 s[0:1], s[4:5], 0x0
	s_mul_i32 s8, s10, s6
	v_mov_b32_e32 v11, v10
	;;#ASMSTART
	v_pk_mul_f32 v[2:3], v[2:3], v[10:11]
	;;#ASMEND
	s_mul_hi_i32 s7, s10, s6
	s_waitcnt lgkmcnt(0)
	s_add_u32 s8, s0, s8
	v_mov_b32_e32 v12, 0xc3e00000
	v_mov_b32_e32 v13, 0x43e00000
	;;#ASMSTART
	v_med3_f32 v2, v2, v12, v13
v_med3_f32 v3, v3, v12, v13
v_cvt_pk_fp8_f32 v15, v2, v3
	;;#ASMEND
	s_addc_u32 s0, s1, s7
	;;#ASMSTART
	v_pk_mul_f32 v[2:3], v[4:5], v[10:11]
	;;#ASMEND
	s_and_b32 s9, s0, 0xffff
	;;#ASMSTART
	v_med3_f32 v2, v2, v12, v13
v_med3_f32 v3, v3, v12, v13
v_cvt_pk_fp8_f32 v4, v2, v3
	;;#ASMEND
	s_mov_b32 s0, 0x5040100
	v_perm_b32 v3, v4, v15, s0
	s_movk_i32 s0, 0xff
	v_and_b32_e32 v2, 0xffffff00, v4
	v_and_b32_sdwa v4, v3, s0 dst_sel:DWORD dst_unused:UNUSED_PAD src0_sel:WORD_1 src1_sel:DWORD
	s_mov_b32 s12, 0xffff
	v_or_b32_sdwa v2, v4, v2 dst_sel:WORD_1 dst_unused:UNUSED_PAD src0_sel:DWORD src1_sel:DWORD
	v_and_or_b32 v2, v3, s12, v2
	;;#ASMSTART
	v_pk_mul_f32 v[4:5], v[6:7], v[10:11]
	;;#ASMEND
	v_mov_b32_e32 v3, v5
	s_add_i32 s1, s15, 3
	;;#ASMSTART
	v_med3_f32 v4, v4, v12, v13
v_med3_f32 v3, v3, v12, v13
v_cvt_pk_fp8_f32 v6, v4, v3
	;;#ASMEND
	s_ashr_i32 s7, s1, 31
	;;#ASMSTART
	v_pk_mul_f32 v[4:5], v[8:9], v[10:11]
	;;#ASMEND
	v_mov_b32_e32 v3, v5
	s_lshr_b32 s7, s7, 30
	;;#ASMSTART
	v_med3_f32 v4, v4, v12, v13
v_med3_f32 v3, v3, v12, v13
v_cvt_pk_fp8_f32 v5, v4, v3
	;;#ASMEND
	s_add_i32 s1, s1, s7
	v_lshlrev_b32_e32 v3, 16, v5
	s_and_b32 s10, s1, -4
	s_mov_b32 s11, 0x20000
	v_and_or_b32 v3, v6, s12, v3
	buffer_store_dwordx2 v[2:3], v1, s[8:11], 0 offen
	;;#ASMSTART
	s_nop 0
	;;#ASMEND
.LBB24_30:
	s_or_b64 exec, exec, s[22:23]
	s_cmp_lt_i32 s16, 1
	s_cbranch_scc1 .LBB24_17
.LBB24_31:
	s_load_dword s0, s[4:5], 0x94
	s_waitcnt lgkmcnt(0)
	s_cmp_lg_u32 s0, 1
	s_cbranch_scc1 .LBB24_17
; %bb.32:
	s_lshl_b32 s0, s16, 1
	s_add_i32 s0, s0, 2
	v_cmp_gt_u32_e32 vcc, s16, v1
	s_and_b32 s22, s0, -4
	v_mov_b32_e32 v6, 0
	v_lshlrev_b32_e32 v1, 4, v0
	v_mov_b32_e32 v7, 0
	v_mov_b32_e32 v8, 0
	;; [unrolled: 1-line block ×7, first 2 shown]
	s_barrier
	s_and_saveexec_b64 s[0:1], vcc
	s_cbranch_execz .LBB24_34
; %bb.33:
	s_mul_hi_i32 s5, s18, s6
	s_mul_i32 s4, s18, s6
	s_and_b32 s21, s21, 0xffff
	s_lshl_b64 s[4:5], s[4:5], 1
	s_add_u32 s8, s30, s4
	s_mov_b32 s23, 0x20000
	s_addc_u32 s4, s31, s5
	s_and_b32 s9, s4, 0xffff
	s_mov_b32 s10, s22
	s_mov_b32 s11, s23
	buffer_load_dwordx4 v[6:9], v1, s[8:11], 0 offen glc slc
	buffer_load_dwordx4 v[2:5], v1, s[20:23], 0 offen
.LBB24_34:
	s_or_b64 exec, exec, s[0:1]
	s_waitcnt vmcnt(0)
	v_cvt_f32_u32_sdwa v13, v6 dst_sel:DWORD dst_unused:UNUSED_PAD src0_sel:WORD_1
	v_cvt_f32_u32_sdwa v12, v6 dst_sel:DWORD dst_unused:UNUSED_PAD src0_sel:WORD_0
	v_cvt_f32_u32_sdwa v6, v9 dst_sel:DWORD dst_unused:UNUSED_PAD src0_sel:WORD_1
	v_cvt_f32_u32_sdwa v9, v9 dst_sel:DWORD dst_unused:UNUSED_PAD src0_sel:WORD_0
	;; [unrolled: 2-line block ×4, first 2 shown]
	v_cndmask_b32_e32 v13, 0, v13, vcc
	v_cndmask_b32_e32 v7, 0, v6, vcc
	v_cndmask_b32_e32 v6, 0, v9, vcc
	v_cndmask_b32_e32 v9, 0, v15, vcc
	v_cndmask_b32_e32 v12, 0, v12, vcc
	v_mul_f32_e32 v15, v13, v13
	v_cndmask_b32_e32 v10, 0, v10, vcc
	v_fmac_f32_e32 v15, v12, v12
	v_cndmask_b32_e32 v11, 0, v11, vcc
	v_fmac_f32_e32 v15, v10, v10
	v_cndmask_b32_e32 v8, 0, v8, vcc
	v_fmac_f32_e32 v15, v11, v11
	v_fmac_f32_e32 v15, v8, v8
	v_fmac_f32_e32 v15, v9, v9
	;; [unrolled: 1-line block ×4, first 2 shown]
	s_nop 1
	v_mov_b32_dpp v16, v15 quad_perm:[1,0,3,2] row_mask:0xf bank_mask:0xf
	v_add_f32_e32 v15, v15, v16
	s_nop 1
	v_mov_b32_dpp v16, v15 quad_perm:[2,3,0,1] row_mask:0xf bank_mask:0xf
	v_add_f32_e32 v15, v15, v16
	s_nop 1
	v_mov_b32_dpp v16, v15 row_half_mirror row_mask:0xf bank_mask:0xf
	v_add_f32_e32 v15, v15, v16
	s_nop 1
	v_mov_b32_dpp v16, v15 row_mirror row_mask:0xf bank_mask:0xf
	v_add_f32_e32 v15, v15, v16
	s_nop 1
	v_mov_b32_dpp v16, v15 row_bcast:15 row_mask:0xf bank_mask:0xf
	v_add_f32_e32 v15, v15, v16
	s_nop 1
	v_mov_b32_dpp v16, v15 row_bcast:31 row_mask:0xf bank_mask:0xf
	s_and_saveexec_b64 s[0:1], s[2:3]
	s_cbranch_execz .LBB24_36
; %bb.35:
	v_lshrrev_b32_e32 v0, 4, v0
	v_add_f32_e32 v15, v15, v16
	v_and_b32_e32 v0, 60, v0
	ds_write_b32 v0, v15 offset:8
.LBB24_36:
	s_or_b64 exec, exec, s[0:1]
	s_waitcnt lgkmcnt(0)
	s_barrier
	ds_read_b32 v0, v14 offset:8
	s_waitcnt lgkmcnt(0)
	s_nop 0
	v_mov_b32_dpp v14, v0 quad_perm:[1,0,3,2] row_mask:0xf bank_mask:0xf
	s_and_saveexec_b64 s[0:1], vcc
	s_cbranch_execz .LBB24_17
; %bb.37:
	v_cvt_f32_u32_e32 v15, s16
	v_add_f32_e32 v0, v0, v14
	s_mov_b32 s23, 0x20000
	v_div_scale_f32 v14, s[0:1], v15, v15, v0
	v_rcp_f32_e32 v16, v14
	v_div_scale_f32 v17, vcc, v0, v15, v0
	s_mov_b32 s0, 0x800000
	v_fma_f32 v18, -v14, v16, 1.0
	v_fmac_f32_e32 v16, v18, v16
	v_mul_f32_e32 v18, v17, v16
	v_fma_f32 v19, -v14, v18, v17
	v_fmac_f32_e32 v18, v19, v16
	v_fma_f32 v14, -v14, v18, v17
	v_div_fmas_f32 v14, v14, v16, v18
	v_div_fixup_f32 v0, v14, v15, v0
	v_add_f32_e32 v0, s13, v0
	v_mul_f32_e32 v14, 0x4b800000, v0
	v_cmp_gt_f32_e32 vcc, s0, v0
	v_cndmask_b32_e32 v0, v0, v14, vcc
	v_rsq_f32_e32 v0, v0
	s_mul_hi_i32 s1, s28, s6
	s_mul_i32 s0, s28, s6
	s_lshl_b64 s[0:1], s[0:1], 1
	v_mul_f32_e32 v14, 0x45800000, v0
	v_cndmask_b32_e32 v14, v0, v14, vcc
	s_add_u32 s20, s34, s0
	v_mov_b32_e32 v15, v14
	s_addc_u32 s0, s35, s1
	;;#ASMSTART
	v_pk_mul_f32 v[12:13], v[12:13], v[14:15]
	;;#ASMEND
	;;#ASMSTART
	v_pk_mul_f32 v[10:11], v[10:11], v[14:15]
	;;#ASMEND
	;; [unrolled: 3-line block ×4, first 2 shown]
	v_cvt_f32_u32_sdwa v15, v2 dst_sel:DWORD dst_unused:UNUSED_PAD src0_sel:WORD_1
	v_cvt_f32_u32_sdwa v14, v2 dst_sel:DWORD dst_unused:UNUSED_PAD src0_sel:WORD_0
	v_cvt_f32_u32_sdwa v17, v3 dst_sel:DWORD dst_unused:UNUSED_PAD src0_sel:WORD_1
	v_cvt_f32_u32_sdwa v16, v3 dst_sel:DWORD dst_unused:UNUSED_PAD src0_sel:WORD_0
	;; [unrolled: 2-line block ×4, first 2 shown]
	;;#ASMSTART
	v_pk_mul_f32 v[4:5], v[12:13], v[14:15]
	;;#ASMEND
	s_and_b32 s21, s0, 0xffff
	s_mov_b32 s0, 0x7060302
	;;#ASMSTART
	v_pk_mul_f32 v[10:11], v[10:11], v[16:17]
	;;#ASMEND
	;;#ASMSTART
	v_pk_mul_f32 v[8:9], v[8:9], v[2:3]
	;;#ASMEND
	;;#ASMSTART
	v_pk_mul_f32 v[6:7], v[6:7], v[18:19]
	;;#ASMEND
	v_perm_b32 v2, v5, v4, s0
	v_perm_b32 v3, v11, v10, s0
	;; [unrolled: 1-line block ×4, first 2 shown]
	buffer_store_dwordx4 v[2:5], v1, s[20:23], 0 offen
	;;#ASMSTART
	s_nop 0
	;;#ASMEND
	s_endpgm
	.section	.rodata,"a",@progbits
	.p2align	6, 0x0
	.amdhsa_kernel _ZN5aiter35fused_qk_rmsnorm_group_quant_kernelItDB8_Li128ELi8ELi1ELb1ELb0ELb0ELb0ELb1ELb1EEEvPT0_PvPT_S6_S6_PKS5_S8_S8_S8_S8_ffiiiiiiiiiiiii
		.amdhsa_group_segment_fixed_size 24
		.amdhsa_private_segment_fixed_size 0
		.amdhsa_kernarg_size 400
		.amdhsa_user_sgpr_count 6
		.amdhsa_user_sgpr_private_segment_buffer 1
		.amdhsa_user_sgpr_dispatch_ptr 0
		.amdhsa_user_sgpr_queue_ptr 0
		.amdhsa_user_sgpr_kernarg_segment_ptr 1
		.amdhsa_user_sgpr_dispatch_id 0
		.amdhsa_user_sgpr_flat_scratch_init 0
		.amdhsa_user_sgpr_kernarg_preload_length 0
		.amdhsa_user_sgpr_kernarg_preload_offset 0
		.amdhsa_user_sgpr_private_segment_size 0
		.amdhsa_uses_dynamic_stack 0
		.amdhsa_system_sgpr_private_segment_wavefront_offset 0
		.amdhsa_system_sgpr_workgroup_id_x 1
		.amdhsa_system_sgpr_workgroup_id_y 1
		.amdhsa_system_sgpr_workgroup_id_z 0
		.amdhsa_system_sgpr_workgroup_info 0
		.amdhsa_system_vgpr_workitem_id 0
		.amdhsa_next_free_vgpr 27
		.amdhsa_next_free_sgpr 44
		.amdhsa_accum_offset 28
		.amdhsa_reserve_vcc 1
		.amdhsa_reserve_flat_scratch 0
		.amdhsa_float_round_mode_32 0
		.amdhsa_float_round_mode_16_64 0
		.amdhsa_float_denorm_mode_32 3
		.amdhsa_float_denorm_mode_16_64 3
		.amdhsa_dx10_clamp 1
		.amdhsa_ieee_mode 1
		.amdhsa_fp16_overflow 0
		.amdhsa_tg_split 0
		.amdhsa_exception_fp_ieee_invalid_op 0
		.amdhsa_exception_fp_denorm_src 0
		.amdhsa_exception_fp_ieee_div_zero 0
		.amdhsa_exception_fp_ieee_overflow 0
		.amdhsa_exception_fp_ieee_underflow 0
		.amdhsa_exception_fp_ieee_inexact 0
		.amdhsa_exception_int_div_zero 0
	.end_amdhsa_kernel
	.section	.text._ZN5aiter35fused_qk_rmsnorm_group_quant_kernelItDB8_Li128ELi8ELi1ELb1ELb0ELb0ELb0ELb1ELb1EEEvPT0_PvPT_S6_S6_PKS5_S8_S8_S8_S8_ffiiiiiiiiiiiii,"axG",@progbits,_ZN5aiter35fused_qk_rmsnorm_group_quant_kernelItDB8_Li128ELi8ELi1ELb1ELb0ELb0ELb0ELb1ELb1EEEvPT0_PvPT_S6_S6_PKS5_S8_S8_S8_S8_ffiiiiiiiiiiiii,comdat
.Lfunc_end24:
	.size	_ZN5aiter35fused_qk_rmsnorm_group_quant_kernelItDB8_Li128ELi8ELi1ELb1ELb0ELb0ELb0ELb1ELb1EEEvPT0_PvPT_S6_S6_PKS5_S8_S8_S8_S8_ffiiiiiiiiiiiii, .Lfunc_end24-_ZN5aiter35fused_qk_rmsnorm_group_quant_kernelItDB8_Li128ELi8ELi1ELb1ELb0ELb0ELb0ELb1ELb1EEEvPT0_PvPT_S6_S6_PKS5_S8_S8_S8_S8_ffiiiiiiiiiiiii
                                        ; -- End function
	.section	.AMDGPU.csdata,"",@progbits
; Kernel info:
; codeLenInByte = 3016
; NumSgprs: 48
; NumVgprs: 27
; NumAgprs: 0
; TotalNumVgprs: 27
; ScratchSize: 0
; MemoryBound: 0
; FloatMode: 240
; IeeeMode: 1
; LDSByteSize: 24 bytes/workgroup (compile time only)
; SGPRBlocks: 5
; VGPRBlocks: 3
; NumSGPRsForWavesPerEU: 48
; NumVGPRsForWavesPerEU: 27
; AccumOffset: 28
; Occupancy: 8
; WaveLimiterHint : 0
; COMPUTE_PGM_RSRC2:SCRATCH_EN: 0
; COMPUTE_PGM_RSRC2:USER_SGPR: 6
; COMPUTE_PGM_RSRC2:TRAP_HANDLER: 0
; COMPUTE_PGM_RSRC2:TGID_X_EN: 1
; COMPUTE_PGM_RSRC2:TGID_Y_EN: 1
; COMPUTE_PGM_RSRC2:TGID_Z_EN: 0
; COMPUTE_PGM_RSRC2:TIDIG_COMP_CNT: 0
; COMPUTE_PGM_RSRC3_GFX90A:ACCUM_OFFSET: 6
; COMPUTE_PGM_RSRC3_GFX90A:TG_SPLIT: 0
	.section	.text._ZN5aiter35fused_qk_rmsnorm_group_quant_kernelIDF16_DB8_Li128ELi8ELi1ELb0ELb1ELb1ELb0ELb1ELb1EEEvPT0_PvPT_S6_S6_PKS5_S8_S8_S8_S8_ffiiiiiiiiiiiii,"axG",@progbits,_ZN5aiter35fused_qk_rmsnorm_group_quant_kernelIDF16_DB8_Li128ELi8ELi1ELb0ELb1ELb1ELb0ELb1ELb1EEEvPT0_PvPT_S6_S6_PKS5_S8_S8_S8_S8_ffiiiiiiiiiiiii,comdat
	.protected	_ZN5aiter35fused_qk_rmsnorm_group_quant_kernelIDF16_DB8_Li128ELi8ELi1ELb0ELb1ELb1ELb0ELb1ELb1EEEvPT0_PvPT_S6_S6_PKS5_S8_S8_S8_S8_ffiiiiiiiiiiiii ; -- Begin function _ZN5aiter35fused_qk_rmsnorm_group_quant_kernelIDF16_DB8_Li128ELi8ELi1ELb0ELb1ELb1ELb0ELb1ELb1EEEvPT0_PvPT_S6_S6_PKS5_S8_S8_S8_S8_ffiiiiiiiiiiiii
	.globl	_ZN5aiter35fused_qk_rmsnorm_group_quant_kernelIDF16_DB8_Li128ELi8ELi1ELb0ELb1ELb1ELb0ELb1ELb1EEEvPT0_PvPT_S6_S6_PKS5_S8_S8_S8_S8_ffiiiiiiiiiiiii
	.p2align	8
	.type	_ZN5aiter35fused_qk_rmsnorm_group_quant_kernelIDF16_DB8_Li128ELi8ELi1ELb0ELb1ELb1ELb0ELb1ELb1EEEvPT0_PvPT_S6_S6_PKS5_S8_S8_S8_S8_ffiiiiiiiiiiiii,@function
_ZN5aiter35fused_qk_rmsnorm_group_quant_kernelIDF16_DB8_Li128ELi8ELi1ELb0ELb1ELb1ELb0ELb1ELb1EEEvPT0_PvPT_S6_S6_PKS5_S8_S8_S8_S8_ffiiiiiiiiiiiii: ; @_ZN5aiter35fused_qk_rmsnorm_group_quant_kernelIDF16_DB8_Li128ELi8ELi1ELb0ELb1ELb1ELb0ELb1ELb1EEEvPT0_PvPT_S6_S6_PKS5_S8_S8_S8_S8_ffiiiiiiiiiiiii
; %bb.0:
	s_load_dwordx4 s[12:15], s[4:5], 0x50
	s_waitcnt lgkmcnt(0)
	s_cmp_ge_i32 s6, s14
	s_cbranch_scc1 .LBB25_12
; %bb.1:
	s_load_dwordx2 s[8:9], s[4:5], 0x48
	s_load_dwordx2 s[26:27], s[4:5], 0x30
	s_load_dwordx4 s[16:19], s[4:5], 0x60
	s_cmp_lg_u32 s7, 0
	s_cselect_b64 s[10:11], -1, 0
	s_cmp_eq_u32 s7, 0
	s_cselect_b64 vcc, -1, 0
	s_and_b64 s[0:1], vcc, exec
	s_waitcnt lgkmcnt(0)
	s_cselect_b32 s7, s15, s16
	s_add_i32 s0, s7, 1
	s_lshr_b32 s1, s0, 31
	s_add_i32 s0, s0, s1
	s_lshl_b32 s0, s0, 1
	v_lshlrev_b32_e32 v1, 3, v0
	s_and_b32 s22, s0, -4
	v_cmp_gt_i32_e64 s[2:3], s7, v1
	v_mov_b32_e32 v10, 0
	v_mov_b32_e32 v2, 0
	;; [unrolled: 1-line block ×9, first 2 shown]
	s_and_saveexec_b64 s[0:1], s[2:3]
	s_cbranch_execz .LBB25_3
; %bb.2:
	s_load_dwordx2 s[20:21], s[4:5], 0x28
	s_load_dwordx2 s[24:25], s[4:5], 0x40
	s_and_b64 s[28:29], vcc, exec
	s_cselect_b32 s14, s17, s18
	s_mov_b32 s23, 0x20000
	s_waitcnt lgkmcnt(0)
	s_cselect_b32 s17, s21, s27
	s_cselect_b32 s19, s20, s26
	s_mul_hi_i32 s21, s14, s6
	s_mul_i32 s20, s14, s6
	s_lshl_b64 s[20:21], s[20:21], 1
	s_add_u32 s28, s19, s20
	s_addc_u32 s14, s17, s21
	s_and_b64 s[20:21], vcc, exec
	s_cselect_b32 s20, s24, s8
	s_cselect_b32 s17, s25, s9
	v_lshlrev_b32_e32 v11, 4, v0
	s_and_b32 s29, s14, 0xffff
	s_mov_b32 s30, s22
	s_mov_b32 s31, s23
	s_and_b32 s21, s17, 0xffff
	buffer_load_dwordx4 v[6:9], v11, s[28:31], 0 offen glc slc
	buffer_load_dwordx4 v[2:5], v11, s[20:23], 0 offen
.LBB25_3:
	s_or_b64 exec, exec, s[0:1]
	v_mov_b32_e32 v11, 0
	v_mov_b32_e32 v16, 0
	;; [unrolled: 1-line block ×7, first 2 shown]
	s_and_saveexec_b64 s[0:1], s[2:3]
	s_cbranch_execz .LBB25_5
; %bb.4:
	s_waitcnt vmcnt(1)
	v_cvt_f32_f16_sdwa v11, v6 dst_sel:DWORD dst_unused:UNUSED_PAD src0_sel:WORD_1
	v_cvt_f32_f16_e32 v10, v6
	v_cvt_f32_f16_sdwa v17, v7 dst_sel:DWORD dst_unused:UNUSED_PAD src0_sel:WORD_1
	v_cvt_f32_f16_e32 v16, v7
	;; [unrolled: 2-line block ×4, first 2 shown]
.LBB25_5:
	s_or_b64 exec, exec, s[0:1]
	s_waitcnt vmcnt(1)
	v_mul_f32_e32 v6, v11, v11
	v_fmac_f32_e32 v6, v10, v10
	v_fmac_f32_e32 v6, v16, v16
	;; [unrolled: 1-line block ×7, first 2 shown]
	v_and_b32_e32 v8, 63, v0
	v_cmp_eq_u32_e64 s[0:1], 63, v8
	v_mov_b32_dpp v7, v6 quad_perm:[1,0,3,2] row_mask:0xf bank_mask:0xf
	v_add_f32_e32 v6, v6, v7
	s_nop 1
	v_mov_b32_dpp v7, v6 quad_perm:[2,3,0,1] row_mask:0xf bank_mask:0xf
	v_add_f32_e32 v6, v6, v7
	s_nop 1
	v_mov_b32_dpp v7, v6 row_half_mirror row_mask:0xf bank_mask:0xf
	v_add_f32_e32 v6, v6, v7
	s_nop 1
	v_mov_b32_dpp v7, v6 row_mirror row_mask:0xf bank_mask:0xf
	v_add_f32_e32 v6, v6, v7
	s_nop 1
	v_mov_b32_dpp v7, v6 row_bcast:15 row_mask:0xf bank_mask:0xf
	v_add_f32_e32 v6, v6, v7
	s_nop 1
	v_mov_b32_dpp v7, v6 row_bcast:31 row_mask:0xf bank_mask:0xf
	s_and_saveexec_b64 s[20:21], s[0:1]
	s_cbranch_execz .LBB25_7
; %bb.6:
	v_add_f32_e32 v6, v6, v7
	v_lshrrev_b32_e32 v7, 4, v0
	v_and_b32_e32 v7, 60, v7
	ds_write_b32 v7, v6 offset:16
.LBB25_7:
	s_or_b64 exec, exec, s[20:21]
	v_and_b32_e32 v6, 1, v0
	v_lshlrev_b32_e32 v18, 2, v6
	s_waitcnt lgkmcnt(0)
	s_barrier
	ds_read_b32 v6, v18 offset:16
	s_load_dwordx2 s[24:25], s[4:5], 0x18
	s_waitcnt lgkmcnt(0)
	v_mov_b32_dpp v7, v6 quad_perm:[1,0,3,2] row_mask:0xf bank_mask:0xf
	s_and_saveexec_b64 s[20:21], s[2:3]
	s_cbranch_execz .LBB25_9
; %bb.8:
	v_cvt_f32_u32_e32 v8, s7
	v_add_f32_e32 v6, v6, v7
	v_mov_b32_e32 v19, s13
	v_mov_b32_e32 v20, s12
	v_div_scale_f32 v7, s[28:29], v8, v8, v6
	v_rcp_f32_e32 v9, v7
	v_cndmask_b32_e32 v19, v19, v20, vcc
	s_mov_b32 s7, 0x800000
	v_fma_f32 v20, -v7, v9, 1.0
	v_fmac_f32_e32 v9, v20, v9
	v_div_scale_f32 v20, vcc, v6, v8, v6
	v_mul_f32_e32 v21, v20, v9
	v_fma_f32 v22, -v7, v21, v20
	v_fmac_f32_e32 v21, v22, v9
	v_fma_f32 v7, -v7, v21, v20
	v_div_fmas_f32 v7, v7, v9, v21
	v_div_fixup_f32 v6, v7, v8, v6
	v_add_f32_e32 v6, v19, v6
	v_mul_f32_e32 v7, 0x4b800000, v6
	v_cmp_gt_f32_e32 vcc, s7, v6
	v_cndmask_b32_e32 v6, v6, v7, vcc
	v_rsq_f32_e32 v6, v6
	s_waitcnt vmcnt(0)
	v_cvt_f32_f16_sdwa v21, v3 dst_sel:DWORD dst_unused:UNUSED_PAD src0_sel:WORD_1
	v_cvt_f32_f16_e32 v20, v3
	v_mul_f32_e32 v7, 0x45800000, v6
	v_cndmask_b32_e32 v6, v6, v7, vcc
	v_mov_b32_e32 v7, v6
	;;#ASMSTART
	v_pk_mul_f32 v[8:9], v[10:11], v[6:7]
	;;#ASMEND
	v_cvt_f32_f16_sdwa v11, v2 dst_sel:DWORD dst_unused:UNUSED_PAD src0_sel:WORD_1
	v_cvt_f32_f16_e32 v10, v2
	;;#ASMSTART
	v_pk_mul_f32 v[16:17], v[16:17], v[6:7]
	;;#ASMEND
	;;#ASMSTART
	v_pk_mul_f32 v[14:15], v[14:15], v[6:7]
	;;#ASMEND
	;; [unrolled: 3-line block ×3, first 2 shown]
	v_pk_add_f32 v[6:7], v[10:11], 1.0 op_sel_hi:[1,0]
	;;#ASMSTART
	v_pk_mul_f32 v[10:11], v[8:9], v[6:7]
	;;#ASMEND
	v_cvt_f32_f16_sdwa v9, v4 dst_sel:DWORD dst_unused:UNUSED_PAD src0_sel:WORD_1
	v_cvt_f32_f16_e32 v8, v4
	v_cvt_f32_f16_sdwa v13, v5 dst_sel:DWORD dst_unused:UNUSED_PAD src0_sel:WORD_1
	v_cvt_f32_f16_e32 v12, v5
	v_pk_add_f32 v[6:7], v[20:21], 1.0 op_sel_hi:[1,0]
	v_pk_add_f32 v[4:5], v[8:9], 1.0 op_sel_hi:[1,0]
	;;#ASMSTART
	v_pk_mul_f32 v[16:17], v[16:17], v[6:7]
	;;#ASMEND
	;;#ASMSTART
	v_pk_mul_f32 v[14:15], v[14:15], v[4:5]
	;;#ASMEND
	v_pk_add_f32 v[4:5], v[12:13], 1.0 op_sel_hi:[1,0]
	;;#ASMSTART
	v_pk_mul_f32 v[12:13], v[2:3], v[4:5]
	;;#ASMEND
.LBB25_9:
	s_or_b64 exec, exec, s[20:21]
	s_load_dwordx2 s[28:29], s[4:5], 0x7c
	s_mov_b64 s[20:21], -1
	s_and_b64 vcc, exec, s[10:11]
	s_cbranch_vccnz .LBB25_13
; %bb.10:
	s_andn2_b64 vcc, exec, s[20:21]
	s_cbranch_vccz .LBB25_16
.LBB25_11:
	s_cmp_lt_i32 s16, 1
	s_cbranch_scc0 .LBB25_27
.LBB25_12:
	s_endpgm
.LBB25_13:
	s_and_saveexec_b64 s[10:11], s[2:3]
	s_cbranch_execz .LBB25_15
; %bb.14:
	s_waitcnt lgkmcnt(0)
	s_mul_hi_i32 s21, s29, s6
	s_mul_i32 s20, s29, s6
	s_waitcnt vmcnt(0)
	v_cvt_f16_f32_e32 v2, v10
	v_cvt_f16_f32_e32 v3, v16
	;; [unrolled: 1-line block ×8, first 2 shown]
	s_lshl_b64 s[20:21], s[20:21], 1
	s_add_u32 s20, s24, s20
	s_addc_u32 s7, s25, s21
	s_and_b32 s21, s7, 0xffff
	s_mov_b32 s23, 0x20000
	v_pack_b32_f16 v5, v5, v6
	v_pack_b32_f16 v4, v4, v7
	;; [unrolled: 1-line block ×4, first 2 shown]
	v_lshlrev_b32_e32 v6, 4, v0
	buffer_store_dwordx4 v[2:5], v6, s[20:23], 0 offen
	;;#ASMSTART
	s_nop 0
	;;#ASMEND
.LBB25_15:
	s_or_b64 exec, exec, s[10:11]
	s_cbranch_execnz .LBB25_11
.LBB25_16:
	s_waitcnt vmcnt(0)
	v_mov_b32_e32 v2, 0
	s_and_saveexec_b64 s[10:11], s[2:3]
	s_cbranch_execz .LBB25_18
; %bb.17:
	s_load_dwordx2 s[20:21], s[4:5], 0x10
	s_waitcnt lgkmcnt(0)
	s_mul_hi_i32 s31, s28, s6
	s_mul_i32 s30, s28, s6
	v_cvt_f16_f32_e32 v2, v10
	v_cvt_f16_f32_e32 v3, v16
	;; [unrolled: 1-line block ×8, first 2 shown]
	s_lshl_b64 s[30:31], s[30:31], 1
	s_add_u32 s20, s20, s30
	s_addc_u32 s7, s21, s31
	s_mov_b32 s23, 0x20000
	s_and_b32 s21, s7, 0xffff
	v_pack_b32_f16 v5, v5, v6
	v_pack_b32_f16 v4, v4, v7
	;; [unrolled: 1-line block ×4, first 2 shown]
	v_lshlrev_b32_e32 v6, 4, v0
	buffer_store_dwordx4 v[2:5], v6, s[20:23], 0 offen
	;;#ASMSTART
	s_nop 0
	;;#ASMEND
	s_nop 0
	v_mov_b32_e32 v2, 0x2edbe6ff
.LBB25_18:
	s_or_b64 exec, exec, s[10:11]
	s_and_saveexec_b64 s[10:11], s[2:3]
	s_cbranch_execz .LBB25_20
; %bb.19:
	v_and_b32_e32 v3, 0x7fffffff, v10
	v_and_b32_e32 v4, 0x7fffffff, v11
	;;#ASMSTART
	v_max3_f32 v2, v2, v3, v4

	;;#ASMEND
	v_and_b32_e32 v3, 0x7fffffff, v16
	v_and_b32_e32 v4, 0x7fffffff, v17
	;;#ASMSTART
	v_max3_f32 v2, v2, v3, v4

	;;#ASMEND
	;; [unrolled: 6-line block ×4, first 2 shown]
.LBB25_20:
	s_or_b64 exec, exec, s[10:11]
	s_nop 0
	v_mov_b32_dpp v3, v2 quad_perm:[1,0,3,2] row_mask:0xf bank_mask:0xf
	v_cmp_gt_f32_e32 vcc, v2, v3
	v_cndmask_b32_e32 v2, v3, v2, vcc
	s_nop 1
	v_mov_b32_dpp v3, v2 quad_perm:[2,3,0,1] row_mask:0xf bank_mask:0xf
	v_cmp_gt_f32_e32 vcc, v2, v3
	v_cndmask_b32_e32 v2, v3, v2, vcc
	s_nop 1
	v_mov_b32_dpp v3, v2 row_half_mirror row_mask:0xf bank_mask:0xf
	v_cmp_gt_f32_e32 vcc, v2, v3
	v_cndmask_b32_e32 v2, v3, v2, vcc
	s_nop 1
	v_mov_b32_dpp v3, v2 row_mirror row_mask:0xf bank_mask:0xf
	v_cmp_gt_f32_e32 vcc, v2, v3
	v_cndmask_b32_e32 v2, v3, v2, vcc
	s_nop 1
	v_mov_b32_dpp v3, v2 row_bcast:15 row_mask:0xf bank_mask:0xf
	v_cmp_gt_f32_e32 vcc, v2, v3
	v_cndmask_b32_e32 v2, v3, v2, vcc
	s_nop 1
	v_mov_b32_dpp v3, v2 row_bcast:31 row_mask:0xf bank_mask:0xf
	s_and_saveexec_b64 s[10:11], s[0:1]
	s_cbranch_execz .LBB25_22
; %bb.21:
	v_cmp_gt_f32_e32 vcc, v2, v3
	v_cndmask_b32_e32 v2, v3, v2, vcc
	v_lshrrev_b32_e32 v3, 4, v0
	v_and_b32_e32 v3, 60, v3
	ds_write_b32 v3, v2
.LBB25_22:
	s_or_b64 exec, exec, s[10:11]
	s_waitcnt lgkmcnt(0)
	s_barrier
	ds_read_b32 v2, v18
	s_load_dwordx2 s[20:21], s[4:5], 0x70
	s_waitcnt lgkmcnt(0)
	v_mov_b32_dpp v3, v2 quad_perm:[1,0,3,2] row_mask:0xf bank_mask:0xf
	v_cmp_gt_f32_e32 vcc, v2, v3
	v_cndmask_b32_e32 v2, v3, v2, vcc
	v_mul_f32_e32 v2, 0x3b124925, v2
	v_cmp_eq_u32_e32 vcc, 0, v0
	s_and_saveexec_b64 s[10:11], vcc
	s_cbranch_execz .LBB25_24
; %bb.23:
	s_load_dwordx2 s[22:23], s[4:5], 0x8
	s_mul_hi_i32 s31, s21, s6
	s_mul_i32 s30, s21, s6
	s_lshl_b64 s[30:31], s[30:31], 2
	v_mov_b32_e32 v3, 0
	s_waitcnt lgkmcnt(0)
	s_add_u32 s22, s22, s30
	s_addc_u32 s23, s23, s31
	global_store_dword v3, v2, s[22:23]
.LBB25_24:
	s_or_b64 exec, exec, s[10:11]
	;;#ASMSTART
	v_rcp_f32 v2, v2
	;;#ASMEND
	s_and_saveexec_b64 s[10:11], s[2:3]
	s_cbranch_execz .LBB25_26
; %bb.25:
	s_load_dwordx2 s[2:3], s[4:5], 0x0
	s_mul_i32 s12, s20, s6
	v_mov_b32_e32 v3, v2
	;;#ASMSTART
	v_pk_mul_f32 v[4:5], v[10:11], v[2:3]
	;;#ASMEND
	s_mul_hi_i32 s7, s20, s6
	s_waitcnt lgkmcnt(0)
	s_add_u32 s20, s2, s12
	v_mov_b32_e32 v8, 0xc3e00000
	v_mov_b32_e32 v9, 0x43e00000
	;;#ASMSTART
	v_med3_f32 v4, v4, v8, v9
v_med3_f32 v5, v5, v8, v9
v_cvt_pk_fp8_f32 v6, v4, v5
	;;#ASMEND
	s_addc_u32 s2, s3, s7
	;;#ASMSTART
	v_pk_mul_f32 v[4:5], v[16:17], v[2:3]
	;;#ASMEND
	s_and_b32 s21, s2, 0xffff
	;;#ASMSTART
	v_med3_f32 v4, v4, v8, v9
v_med3_f32 v5, v5, v8, v9
v_cvt_pk_fp8_f32 v7, v4, v5
	;;#ASMEND
	s_mov_b32 s2, 0x5040100
	v_perm_b32 v5, v7, v6, s2
	s_movk_i32 s2, 0xff
	v_and_b32_e32 v4, 0xffffff00, v7
	v_and_b32_sdwa v6, v5, s2 dst_sel:DWORD dst_unused:UNUSED_PAD src0_sel:WORD_1 src1_sel:DWORD
	s_mov_b32 s14, 0xffff
	v_or_b32_sdwa v4, v6, v4 dst_sel:WORD_1 dst_unused:UNUSED_PAD src0_sel:DWORD src1_sel:DWORD
	s_add_i32 s3, s15, 3
	v_and_or_b32 v4, v5, s14, v4
	;;#ASMSTART
	v_pk_mul_f32 v[6:7], v[14:15], v[2:3]
	;;#ASMEND
	v_mov_b32_e32 v5, v7
	s_ashr_i32 s7, s3, 31
	;;#ASMSTART
	v_med3_f32 v6, v6, v8, v9
v_med3_f32 v5, v5, v8, v9
v_cvt_pk_fp8_f32 v7, v6, v5
	;;#ASMEND
	;;#ASMSTART
	v_pk_mul_f32 v[2:3], v[12:13], v[2:3]
	;;#ASMEND
	s_lshr_b32 s7, s7, 30
	;;#ASMSTART
	v_med3_f32 v2, v2, v8, v9
v_med3_f32 v3, v3, v8, v9
v_cvt_pk_fp8_f32 v5, v2, v3
	;;#ASMEND
	s_add_i32 s3, s3, s7
	v_lshlrev_b32_e32 v2, 16, v5
	s_and_b32 s22, s3, -4
	s_mov_b32 s23, 0x20000
	v_and_or_b32 v5, v7, s14, v2
	buffer_store_dwordx2 v[4:5], v1, s[20:23], 0 offen
	;;#ASMSTART
	s_nop 0
	;;#ASMEND
.LBB25_26:
	s_or_b64 exec, exec, s[10:11]
	s_cmp_lt_i32 s16, 1
	s_cbranch_scc1 .LBB25_12
.LBB25_27:
	s_load_dword s2, s[4:5], 0x94
	s_waitcnt lgkmcnt(0)
	s_cmp_lg_u32 s2, 1
	s_cbranch_scc1 .LBB25_12
; %bb.28:
	s_lshl_b32 s2, s16, 1
	s_add_i32 s2, s2, 2
	v_cmp_gt_u32_e32 vcc, s16, v1
	s_and_b32 s10, s2, -4
	v_mov_b32_e32 v10, 0
	v_lshlrev_b32_e32 v1, 4, v0
	v_mov_b32_e32 v6, 0
	v_mov_b32_e32 v7, 0
	;; [unrolled: 1-line block ×4, first 2 shown]
	s_waitcnt vmcnt(0)
	v_mov_b32_e32 v2, 0
	v_mov_b32_e32 v3, 0
	v_mov_b32_e32 v4, 0
	v_mov_b32_e32 v5, 0
	s_barrier
	s_and_saveexec_b64 s[2:3], vcc
	s_cbranch_execz .LBB25_30
; %bb.29:
	s_mul_hi_i32 s5, s18, s6
	s_mul_i32 s4, s18, s6
	s_and_b32 s9, s9, 0xffff
	s_lshl_b64 s[4:5], s[4:5], 1
	s_add_u32 s20, s26, s4
	s_mov_b32 s11, 0x20000
	s_addc_u32 s4, s27, s5
	s_and_b32 s21, s4, 0xffff
	s_mov_b32 s22, s10
	s_mov_b32 s23, s11
	buffer_load_dwordx4 v[6:9], v1, s[20:23], 0 offen glc slc
	buffer_load_dwordx4 v[2:5], v1, s[8:11], 0 offen
.LBB25_30:
	s_or_b64 exec, exec, s[2:3]
	v_mov_b32_e32 v11, 0
	v_mov_b32_e32 v16, 0
	;; [unrolled: 1-line block ×7, first 2 shown]
	s_and_saveexec_b64 s[2:3], vcc
	s_cbranch_execz .LBB25_32
; %bb.31:
	s_waitcnt vmcnt(1)
	v_cvt_f32_f16_sdwa v11, v6 dst_sel:DWORD dst_unused:UNUSED_PAD src0_sel:WORD_1
	v_cvt_f32_f16_e32 v10, v6
	v_cvt_f32_f16_sdwa v17, v7 dst_sel:DWORD dst_unused:UNUSED_PAD src0_sel:WORD_1
	v_cvt_f32_f16_e32 v16, v7
	;; [unrolled: 2-line block ×4, first 2 shown]
.LBB25_32:
	s_or_b64 exec, exec, s[2:3]
	s_waitcnt vmcnt(1)
	v_mul_f32_e32 v6, v11, v11
	v_fmac_f32_e32 v6, v10, v10
	v_fmac_f32_e32 v6, v16, v16
	;; [unrolled: 1-line block ×7, first 2 shown]
	s_nop 1
	v_mov_b32_dpp v7, v6 quad_perm:[1,0,3,2] row_mask:0xf bank_mask:0xf
	v_add_f32_e32 v6, v6, v7
	s_nop 1
	v_mov_b32_dpp v7, v6 quad_perm:[2,3,0,1] row_mask:0xf bank_mask:0xf
	v_add_f32_e32 v6, v6, v7
	s_nop 1
	v_mov_b32_dpp v7, v6 row_half_mirror row_mask:0xf bank_mask:0xf
	v_add_f32_e32 v6, v6, v7
	s_nop 1
	v_mov_b32_dpp v7, v6 row_mirror row_mask:0xf bank_mask:0xf
	v_add_f32_e32 v6, v6, v7
	s_nop 1
	v_mov_b32_dpp v7, v6 row_bcast:15 row_mask:0xf bank_mask:0xf
	v_add_f32_e32 v6, v6, v7
	s_nop 1
	v_mov_b32_dpp v7, v6 row_bcast:31 row_mask:0xf bank_mask:0xf
	s_and_saveexec_b64 s[2:3], s[0:1]
	s_cbranch_execz .LBB25_34
; %bb.33:
	v_lshrrev_b32_e32 v0, 4, v0
	v_add_f32_e32 v6, v6, v7
	v_and_b32_e32 v0, 60, v0
	ds_write_b32 v0, v6 offset:8
.LBB25_34:
	s_or_b64 exec, exec, s[2:3]
	s_waitcnt lgkmcnt(0)
	s_barrier
	ds_read_b32 v0, v18 offset:8
	s_waitcnt lgkmcnt(0)
	s_nop 0
	v_mov_b32_dpp v6, v0 quad_perm:[1,0,3,2] row_mask:0xf bank_mask:0xf
	s_and_saveexec_b64 s[0:1], vcc
	s_cbranch_execz .LBB25_12
; %bb.35:
	v_cvt_f32_u32_e32 v7, s16
	v_add_f32_e32 v0, v0, v6
	s_mov_b32 s11, 0x20000
	v_div_scale_f32 v6, s[0:1], v7, v7, v0
	v_rcp_f32_e32 v8, v6
	v_div_scale_f32 v9, vcc, v0, v7, v0
	s_mov_b32 s0, 0x800000
	v_fma_f32 v18, -v6, v8, 1.0
	v_fmac_f32_e32 v8, v18, v8
	v_mul_f32_e32 v18, v9, v8
	v_fma_f32 v19, -v6, v18, v9
	v_fmac_f32_e32 v18, v19, v8
	v_fma_f32 v6, -v6, v18, v9
	v_div_fmas_f32 v6, v6, v8, v18
	v_div_fixup_f32 v0, v6, v7, v0
	v_add_f32_e32 v0, s13, v0
	v_mul_f32_e32 v6, 0x4b800000, v0
	v_cmp_gt_f32_e32 vcc, s0, v0
	v_cndmask_b32_e32 v0, v0, v6, vcc
	v_rsq_f32_e32 v0, v0
	s_waitcnt vmcnt(0)
	v_cvt_f32_f16_sdwa v19, v3 dst_sel:DWORD dst_unused:UNUSED_PAD src0_sel:WORD_1
	v_cvt_f32_f16_e32 v18, v3
	s_mul_hi_i32 s1, s29, s6
	v_mul_f32_e32 v6, 0x45800000, v0
	v_cndmask_b32_e32 v6, v0, v6, vcc
	v_mov_b32_e32 v7, v6
	;;#ASMSTART
	v_pk_mul_f32 v[8:9], v[10:11], v[6:7]
	;;#ASMEND
	;;#ASMSTART
	v_pk_mul_f32 v[10:11], v[16:17], v[6:7]
	;;#ASMEND
	v_cvt_f32_f16_sdwa v17, v2 dst_sel:DWORD dst_unused:UNUSED_PAD src0_sel:WORD_1
	v_cvt_f32_f16_e32 v16, v2
	;;#ASMSTART
	v_pk_mul_f32 v[14:15], v[14:15], v[6:7]
	;;#ASMEND
	;;#ASMSTART
	v_pk_mul_f32 v[2:3], v[12:13], v[6:7]
	;;#ASMEND
	v_cvt_f32_f16_sdwa v13, v4 dst_sel:DWORD dst_unused:UNUSED_PAD src0_sel:WORD_1
	v_cvt_f32_f16_e32 v12, v4
	v_pk_add_f32 v[6:7], v[16:17], 1.0 op_sel_hi:[1,0]
	v_cvt_f32_f16_sdwa v17, v5 dst_sel:DWORD dst_unused:UNUSED_PAD src0_sel:WORD_1
	v_cvt_f32_f16_e32 v16, v5
	;;#ASMSTART
	v_pk_mul_f32 v[6:7], v[8:9], v[6:7]
	;;#ASMEND
	v_pk_add_f32 v[8:9], v[18:19], 1.0 op_sel_hi:[1,0]
	;;#ASMSTART
	v_pk_mul_f32 v[4:5], v[10:11], v[8:9]
	;;#ASMEND
	v_pk_add_f32 v[8:9], v[12:13], 1.0 op_sel_hi:[1,0]
	;; [unrolled: 4-line block ×3, first 2 shown]
	;;#ASMSTART
	v_pk_mul_f32 v[2:3], v[2:3], v[10:11]
	;;#ASMEND
	s_mul_i32 s0, s29, s6
	v_cvt_f16_f32_e32 v0, v6
	v_cvt_f16_f32_e32 v6, v7
	;; [unrolled: 1-line block ×8, first 2 shown]
	s_lshl_b64 s[0:1], s[0:1], 1
	s_add_u32 s8, s24, s0
	s_addc_u32 s0, s25, s1
	s_and_b32 s9, s0, 0xffff
	v_pack_b32_f16 v2, v0, v6
	v_pack_b32_f16 v3, v4, v5
	;; [unrolled: 1-line block ×4, first 2 shown]
	buffer_store_dwordx4 v[2:5], v1, s[8:11], 0 offen
	;;#ASMSTART
	s_nop 0
	;;#ASMEND
	s_endpgm
	.section	.rodata,"a",@progbits
	.p2align	6, 0x0
	.amdhsa_kernel _ZN5aiter35fused_qk_rmsnorm_group_quant_kernelIDF16_DB8_Li128ELi8ELi1ELb0ELb1ELb1ELb0ELb1ELb1EEEvPT0_PvPT_S6_S6_PKS5_S8_S8_S8_S8_ffiiiiiiiiiiiii
		.amdhsa_group_segment_fixed_size 24
		.amdhsa_private_segment_fixed_size 0
		.amdhsa_kernarg_size 400
		.amdhsa_user_sgpr_count 6
		.amdhsa_user_sgpr_private_segment_buffer 1
		.amdhsa_user_sgpr_dispatch_ptr 0
		.amdhsa_user_sgpr_queue_ptr 0
		.amdhsa_user_sgpr_kernarg_segment_ptr 1
		.amdhsa_user_sgpr_dispatch_id 0
		.amdhsa_user_sgpr_flat_scratch_init 0
		.amdhsa_user_sgpr_kernarg_preload_length 0
		.amdhsa_user_sgpr_kernarg_preload_offset 0
		.amdhsa_user_sgpr_private_segment_size 0
		.amdhsa_uses_dynamic_stack 0
		.amdhsa_system_sgpr_private_segment_wavefront_offset 0
		.amdhsa_system_sgpr_workgroup_id_x 1
		.amdhsa_system_sgpr_workgroup_id_y 1
		.amdhsa_system_sgpr_workgroup_id_z 0
		.amdhsa_system_sgpr_workgroup_info 0
		.amdhsa_system_vgpr_workitem_id 0
		.amdhsa_next_free_vgpr 23
		.amdhsa_next_free_sgpr 32
		.amdhsa_accum_offset 24
		.amdhsa_reserve_vcc 1
		.amdhsa_reserve_flat_scratch 0
		.amdhsa_float_round_mode_32 0
		.amdhsa_float_round_mode_16_64 0
		.amdhsa_float_denorm_mode_32 3
		.amdhsa_float_denorm_mode_16_64 3
		.amdhsa_dx10_clamp 1
		.amdhsa_ieee_mode 1
		.amdhsa_fp16_overflow 0
		.amdhsa_tg_split 0
		.amdhsa_exception_fp_ieee_invalid_op 0
		.amdhsa_exception_fp_denorm_src 0
		.amdhsa_exception_fp_ieee_div_zero 0
		.amdhsa_exception_fp_ieee_overflow 0
		.amdhsa_exception_fp_ieee_underflow 0
		.amdhsa_exception_fp_ieee_inexact 0
		.amdhsa_exception_int_div_zero 0
	.end_amdhsa_kernel
	.section	.text._ZN5aiter35fused_qk_rmsnorm_group_quant_kernelIDF16_DB8_Li128ELi8ELi1ELb0ELb1ELb1ELb0ELb1ELb1EEEvPT0_PvPT_S6_S6_PKS5_S8_S8_S8_S8_ffiiiiiiiiiiiii,"axG",@progbits,_ZN5aiter35fused_qk_rmsnorm_group_quant_kernelIDF16_DB8_Li128ELi8ELi1ELb0ELb1ELb1ELb0ELb1ELb1EEEvPT0_PvPT_S6_S6_PKS5_S8_S8_S8_S8_ffiiiiiiiiiiiii,comdat
.Lfunc_end25:
	.size	_ZN5aiter35fused_qk_rmsnorm_group_quant_kernelIDF16_DB8_Li128ELi8ELi1ELb0ELb1ELb1ELb0ELb1ELb1EEEvPT0_PvPT_S6_S6_PKS5_S8_S8_S8_S8_ffiiiiiiiiiiiii, .Lfunc_end25-_ZN5aiter35fused_qk_rmsnorm_group_quant_kernelIDF16_DB8_Li128ELi8ELi1ELb0ELb1ELb1ELb0ELb1ELb1EEEvPT0_PvPT_S6_S6_PKS5_S8_S8_S8_S8_ffiiiiiiiiiiiii
                                        ; -- End function
	.section	.AMDGPU.csdata,"",@progbits
; Kernel info:
; codeLenInByte = 2776
; NumSgprs: 36
; NumVgprs: 23
; NumAgprs: 0
; TotalNumVgprs: 23
; ScratchSize: 0
; MemoryBound: 0
; FloatMode: 240
; IeeeMode: 1
; LDSByteSize: 24 bytes/workgroup (compile time only)
; SGPRBlocks: 4
; VGPRBlocks: 2
; NumSGPRsForWavesPerEU: 36
; NumVGPRsForWavesPerEU: 23
; AccumOffset: 24
; Occupancy: 8
; WaveLimiterHint : 0
; COMPUTE_PGM_RSRC2:SCRATCH_EN: 0
; COMPUTE_PGM_RSRC2:USER_SGPR: 6
; COMPUTE_PGM_RSRC2:TRAP_HANDLER: 0
; COMPUTE_PGM_RSRC2:TGID_X_EN: 1
; COMPUTE_PGM_RSRC2:TGID_Y_EN: 1
; COMPUTE_PGM_RSRC2:TGID_Z_EN: 0
; COMPUTE_PGM_RSRC2:TIDIG_COMP_CNT: 0
; COMPUTE_PGM_RSRC3_GFX90A:ACCUM_OFFSET: 5
; COMPUTE_PGM_RSRC3_GFX90A:TG_SPLIT: 0
	.section	.text._ZN5aiter35fused_qk_rmsnorm_group_quant_kernelItDB8_Li128ELi8ELi1ELb0ELb1ELb1ELb0ELb1ELb1EEEvPT0_PvPT_S6_S6_PKS5_S8_S8_S8_S8_ffiiiiiiiiiiiii,"axG",@progbits,_ZN5aiter35fused_qk_rmsnorm_group_quant_kernelItDB8_Li128ELi8ELi1ELb0ELb1ELb1ELb0ELb1ELb1EEEvPT0_PvPT_S6_S6_PKS5_S8_S8_S8_S8_ffiiiiiiiiiiiii,comdat
	.protected	_ZN5aiter35fused_qk_rmsnorm_group_quant_kernelItDB8_Li128ELi8ELi1ELb0ELb1ELb1ELb0ELb1ELb1EEEvPT0_PvPT_S6_S6_PKS5_S8_S8_S8_S8_ffiiiiiiiiiiiii ; -- Begin function _ZN5aiter35fused_qk_rmsnorm_group_quant_kernelItDB8_Li128ELi8ELi1ELb0ELb1ELb1ELb0ELb1ELb1EEEvPT0_PvPT_S6_S6_PKS5_S8_S8_S8_S8_ffiiiiiiiiiiiii
	.globl	_ZN5aiter35fused_qk_rmsnorm_group_quant_kernelItDB8_Li128ELi8ELi1ELb0ELb1ELb1ELb0ELb1ELb1EEEvPT0_PvPT_S6_S6_PKS5_S8_S8_S8_S8_ffiiiiiiiiiiiii
	.p2align	8
	.type	_ZN5aiter35fused_qk_rmsnorm_group_quant_kernelItDB8_Li128ELi8ELi1ELb0ELb1ELb1ELb0ELb1ELb1EEEvPT0_PvPT_S6_S6_PKS5_S8_S8_S8_S8_ffiiiiiiiiiiiii,@function
_ZN5aiter35fused_qk_rmsnorm_group_quant_kernelItDB8_Li128ELi8ELi1ELb0ELb1ELb1ELb0ELb1ELb1EEEvPT0_PvPT_S6_S6_PKS5_S8_S8_S8_S8_ffiiiiiiiiiiiii: ; @_ZN5aiter35fused_qk_rmsnorm_group_quant_kernelItDB8_Li128ELi8ELi1ELb0ELb1ELb1ELb0ELb1ELb1EEEvPT0_PvPT_S6_S6_PKS5_S8_S8_S8_S8_ffiiiiiiiiiiiii
; %bb.0:
	s_load_dwordx4 s[12:15], s[4:5], 0x50
	s_waitcnt lgkmcnt(0)
	s_cmp_ge_i32 s6, s14
	s_cbranch_scc1 .LBB26_10
; %bb.1:
	s_load_dwordx2 s[8:9], s[4:5], 0x48
	s_load_dwordx2 s[26:27], s[4:5], 0x30
	s_load_dwordx4 s[16:19], s[4:5], 0x60
	s_cmp_lg_u32 s7, 0
	s_cselect_b64 s[10:11], -1, 0
	s_cmp_eq_u32 s7, 0
	s_cselect_b64 vcc, -1, 0
	s_and_b64 s[0:1], vcc, exec
	s_waitcnt lgkmcnt(0)
	s_cselect_b32 s7, s15, s16
	s_add_i32 s0, s7, 1
	s_lshr_b32 s1, s0, 31
	s_add_i32 s0, s0, s1
	s_lshl_b32 s0, s0, 1
	v_lshlrev_b32_e32 v1, 3, v0
	s_and_b32 s22, s0, -4
	v_cmp_gt_i32_e64 s[2:3], s7, v1
	v_mov_b32_e32 v2, 0
	v_mov_b32_e32 v3, 0
	;; [unrolled: 1-line block ×8, first 2 shown]
	s_and_saveexec_b64 s[0:1], s[2:3]
	s_cbranch_execz .LBB26_3
; %bb.2:
	s_load_dwordx2 s[20:21], s[4:5], 0x28
	s_load_dwordx2 s[24:25], s[4:5], 0x40
	s_and_b64 s[28:29], vcc, exec
	s_cselect_b32 s14, s17, s18
	s_mov_b32 s23, 0x20000
	s_waitcnt lgkmcnt(0)
	s_cselect_b32 s17, s21, s27
	s_cselect_b32 s19, s20, s26
	s_mul_hi_i32 s21, s14, s6
	s_mul_i32 s20, s14, s6
	s_lshl_b64 s[20:21], s[20:21], 1
	s_add_u32 s28, s19, s20
	s_addc_u32 s14, s17, s21
	s_and_b64 s[20:21], vcc, exec
	s_cselect_b32 s20, s24, s8
	s_cselect_b32 s17, s25, s9
	v_lshlrev_b32_e32 v10, 4, v0
	s_and_b32 s29, s14, 0xffff
	s_mov_b32 s30, s22
	s_mov_b32 s31, s23
	s_and_b32 s21, s17, 0xffff
	buffer_load_dwordx4 v[6:9], v10, s[28:31], 0 offen glc slc
	buffer_load_dwordx4 v[2:5], v10, s[20:23], 0 offen
.LBB26_3:
	s_or_b64 exec, exec, s[0:1]
	s_waitcnt vmcnt(1)
	v_cvt_f32_u32_sdwa v13, v6 dst_sel:DWORD dst_unused:UNUSED_PAD src0_sel:WORD_1
	v_cvt_f32_u32_sdwa v12, v6 dst_sel:DWORD dst_unused:UNUSED_PAD src0_sel:WORD_0
	v_cvt_f32_u32_sdwa v6, v9 dst_sel:DWORD dst_unused:UNUSED_PAD src0_sel:WORD_1
	v_cvt_f32_u32_sdwa v9, v9 dst_sel:DWORD dst_unused:UNUSED_PAD src0_sel:WORD_0
	;; [unrolled: 2-line block ×4, first 2 shown]
	v_cndmask_b32_e64 v13, 0, v13, s[2:3]
	v_cndmask_b32_e64 v7, 0, v6, s[2:3]
	;; [unrolled: 1-line block ×5, first 2 shown]
	v_mul_f32_e32 v14, v13, v13
	v_cndmask_b32_e64 v10, 0, v10, s[2:3]
	v_fmac_f32_e32 v14, v12, v12
	v_cndmask_b32_e64 v11, 0, v11, s[2:3]
	v_fmac_f32_e32 v14, v10, v10
	;; [unrolled: 2-line block ×3, first 2 shown]
	v_fmac_f32_e32 v14, v8, v8
	v_fmac_f32_e32 v14, v9, v9
	;; [unrolled: 1-line block ×4, first 2 shown]
	v_and_b32_e32 v16, 63, v0
	v_cmp_eq_u32_e64 s[0:1], 63, v16
	v_mov_b32_dpp v15, v14 quad_perm:[1,0,3,2] row_mask:0xf bank_mask:0xf
	v_add_f32_e32 v14, v14, v15
	s_nop 1
	v_mov_b32_dpp v15, v14 quad_perm:[2,3,0,1] row_mask:0xf bank_mask:0xf
	v_add_f32_e32 v14, v14, v15
	s_nop 1
	v_mov_b32_dpp v15, v14 row_half_mirror row_mask:0xf bank_mask:0xf
	v_add_f32_e32 v14, v14, v15
	s_nop 1
	v_mov_b32_dpp v15, v14 row_mirror row_mask:0xf bank_mask:0xf
	v_add_f32_e32 v14, v14, v15
	s_nop 1
	v_mov_b32_dpp v15, v14 row_bcast:15 row_mask:0xf bank_mask:0xf
	v_add_f32_e32 v14, v14, v15
	s_nop 1
	v_mov_b32_dpp v15, v14 row_bcast:31 row_mask:0xf bank_mask:0xf
	s_and_saveexec_b64 s[20:21], s[0:1]
	s_cbranch_execz .LBB26_5
; %bb.4:
	v_add_f32_e32 v14, v14, v15
	v_lshrrev_b32_e32 v15, 4, v0
	v_and_b32_e32 v15, 60, v15
	ds_write_b32 v15, v14 offset:16
.LBB26_5:
	s_or_b64 exec, exec, s[20:21]
	v_and_b32_e32 v14, 1, v0
	v_lshlrev_b32_e32 v14, 2, v14
	s_waitcnt lgkmcnt(0)
	s_barrier
	ds_read_b32 v15, v14 offset:16
	s_load_dwordx2 s[24:25], s[4:5], 0x18
	s_waitcnt lgkmcnt(0)
	v_mov_b32_dpp v16, v15 quad_perm:[1,0,3,2] row_mask:0xf bank_mask:0xf
	s_and_saveexec_b64 s[20:21], s[2:3]
	s_cbranch_execz .LBB26_7
; %bb.6:
	v_cvt_f32_u32_e32 v17, s7
	v_add_f32_e32 v15, v15, v16
	v_mov_b32_e32 v19, s13
	v_mov_b32_e32 v20, s12
	v_div_scale_f32 v16, s[28:29], v17, v17, v15
	v_rcp_f32_e32 v18, v16
	v_cndmask_b32_e32 v19, v19, v20, vcc
	s_mov_b32 s7, 0x800000
	v_fma_f32 v20, -v16, v18, 1.0
	v_fmac_f32_e32 v18, v20, v18
	v_div_scale_f32 v20, vcc, v15, v17, v15
	v_mul_f32_e32 v21, v20, v18
	v_fma_f32 v22, -v16, v21, v20
	v_fmac_f32_e32 v21, v22, v18
	v_fma_f32 v16, -v16, v21, v20
	v_div_fmas_f32 v16, v16, v18, v21
	v_div_fixup_f32 v15, v16, v17, v15
	v_add_f32_e32 v15, v19, v15
	v_mul_f32_e32 v16, 0x4b800000, v15
	v_cmp_gt_f32_e32 vcc, s7, v15
	v_cndmask_b32_e32 v15, v15, v16, vcc
	v_rsq_f32_e32 v15, v15
	s_waitcnt vmcnt(0)
	v_cvt_f32_u32_sdwa v19, v2 dst_sel:DWORD dst_unused:UNUSED_PAD src0_sel:WORD_1
	v_cvt_f32_u32_sdwa v18, v2 dst_sel:DWORD dst_unused:UNUSED_PAD src0_sel:WORD_0
	v_cvt_f32_u32_sdwa v21, v3 dst_sel:DWORD dst_unused:UNUSED_PAD src0_sel:WORD_1
	v_mul_f32_e32 v16, 0x45800000, v15
	v_cndmask_b32_e32 v16, v15, v16, vcc
	v_mov_b32_e32 v17, v16
	;;#ASMSTART
	v_pk_mul_f32 v[12:13], v[12:13], v[16:17]
	;;#ASMEND
	;;#ASMSTART
	v_pk_mul_f32 v[10:11], v[10:11], v[16:17]
	;;#ASMEND
	;; [unrolled: 3-line block ×3, first 2 shown]
	v_cvt_f32_u32_sdwa v20, v3 dst_sel:DWORD dst_unused:UNUSED_PAD src0_sel:WORD_0
	;;#ASMSTART
	v_pk_mul_f32 v[2:3], v[6:7], v[16:17]
	;;#ASMEND
	v_cvt_f32_u32_sdwa v17, v4 dst_sel:DWORD dst_unused:UNUSED_PAD src0_sel:WORD_1
	v_cvt_f32_u32_sdwa v16, v4 dst_sel:DWORD dst_unused:UNUSED_PAD src0_sel:WORD_0
	v_pk_add_f32 v[6:7], v[18:19], 1.0 op_sel_hi:[1,0]
	v_cvt_f32_u32_sdwa v19, v5 dst_sel:DWORD dst_unused:UNUSED_PAD src0_sel:WORD_1
	v_cvt_f32_u32_sdwa v18, v5 dst_sel:DWORD dst_unused:UNUSED_PAD src0_sel:WORD_0
	;;#ASMSTART
	v_pk_mul_f32 v[12:13], v[12:13], v[6:7]
	;;#ASMEND
	v_pk_add_f32 v[6:7], v[20:21], 1.0 op_sel_hi:[1,0]
	v_pk_add_f32 v[4:5], v[16:17], 1.0 op_sel_hi:[1,0]
	;;#ASMSTART
	v_pk_mul_f32 v[10:11], v[10:11], v[6:7]
	;;#ASMEND
	;;#ASMSTART
	v_pk_mul_f32 v[8:9], v[8:9], v[4:5]
	;;#ASMEND
	v_pk_add_f32 v[4:5], v[18:19], 1.0 op_sel_hi:[1,0]
	;;#ASMSTART
	v_pk_mul_f32 v[6:7], v[2:3], v[4:5]
	;;#ASMEND
.LBB26_7:
	s_or_b64 exec, exec, s[20:21]
	s_load_dwordx2 s[28:29], s[4:5], 0x7c
	s_mov_b64 s[20:21], -1
	s_and_b64 vcc, exec, s[10:11]
	s_cbranch_vccnz .LBB26_11
; %bb.8:
	s_andn2_b64 vcc, exec, s[20:21]
	s_cbranch_vccz .LBB26_14
.LBB26_9:
	s_cmp_lt_i32 s16, 1
	s_cbranch_scc0 .LBB26_25
.LBB26_10:
	s_endpgm
.LBB26_11:
	s_and_saveexec_b64 s[10:11], s[2:3]
	s_cbranch_execz .LBB26_13
; %bb.12:
	s_waitcnt lgkmcnt(0)
	s_mul_hi_i32 s21, s29, s6
	s_mul_i32 s20, s29, s6
	s_lshl_b64 s[20:21], s[20:21], 1
	s_add_u32 s20, s24, s20
	s_addc_u32 s7, s25, s21
	s_and_b32 s21, s7, 0xffff
	s_mov_b32 s7, 0x7060302
	s_mov_b32 s23, 0x20000
	s_waitcnt vmcnt(0)
	v_perm_b32 v2, v13, v12, s7
	v_perm_b32 v3, v11, v10, s7
	;; [unrolled: 1-line block ×4, first 2 shown]
	v_lshlrev_b32_e32 v15, 4, v0
	buffer_store_dwordx4 v[2:5], v15, s[20:23], 0 offen
	;;#ASMSTART
	s_nop 0
	;;#ASMEND
.LBB26_13:
	s_or_b64 exec, exec, s[10:11]
	s_cbranch_execnz .LBB26_9
.LBB26_14:
	s_waitcnt vmcnt(0)
	v_mov_b32_e32 v2, 0
	s_and_saveexec_b64 s[10:11], s[2:3]
	s_cbranch_execz .LBB26_16
; %bb.15:
	s_load_dwordx2 s[20:21], s[4:5], 0x10
	s_waitcnt lgkmcnt(0)
	s_mul_hi_i32 s31, s28, s6
	s_mul_i32 s30, s28, s6
	s_lshl_b64 s[30:31], s[30:31], 1
	s_mov_b32 s23, 0x20000
	s_add_u32 s20, s20, s30
	s_addc_u32 s7, s21, s31
	s_and_b32 s21, s7, 0xffff
	s_mov_b32 s7, 0x7060302
	v_perm_b32 v2, v13, v12, s7
	v_perm_b32 v3, v11, v10, s7
	v_perm_b32 v4, v9, v8, s7
	v_perm_b32 v5, v7, v6, s7
	v_lshlrev_b32_e32 v15, 4, v0
	buffer_store_dwordx4 v[2:5], v15, s[20:23], 0 offen
	;;#ASMSTART
	s_nop 0
	;;#ASMEND
	s_nop 0
	v_mov_b32_e32 v2, 0x2edbe6ff
.LBB26_16:
	s_or_b64 exec, exec, s[10:11]
	s_and_saveexec_b64 s[10:11], s[2:3]
	s_cbranch_execz .LBB26_18
; %bb.17:
	v_and_b32_e32 v3, 0x7fffffff, v12
	v_and_b32_e32 v4, 0x7fffffff, v13
	;;#ASMSTART
	v_max3_f32 v2, v2, v3, v4

	;;#ASMEND
	v_and_b32_e32 v3, 0x7fffffff, v10
	v_and_b32_e32 v4, 0x7fffffff, v11
	;;#ASMSTART
	v_max3_f32 v2, v2, v3, v4

	;;#ASMEND
	;; [unrolled: 6-line block ×4, first 2 shown]
.LBB26_18:
	s_or_b64 exec, exec, s[10:11]
	s_nop 0
	v_mov_b32_dpp v3, v2 quad_perm:[1,0,3,2] row_mask:0xf bank_mask:0xf
	v_cmp_gt_f32_e32 vcc, v2, v3
	v_cndmask_b32_e32 v2, v3, v2, vcc
	s_nop 1
	v_mov_b32_dpp v3, v2 quad_perm:[2,3,0,1] row_mask:0xf bank_mask:0xf
	v_cmp_gt_f32_e32 vcc, v2, v3
	v_cndmask_b32_e32 v2, v3, v2, vcc
	s_nop 1
	v_mov_b32_dpp v3, v2 row_half_mirror row_mask:0xf bank_mask:0xf
	v_cmp_gt_f32_e32 vcc, v2, v3
	v_cndmask_b32_e32 v2, v3, v2, vcc
	s_nop 1
	v_mov_b32_dpp v3, v2 row_mirror row_mask:0xf bank_mask:0xf
	v_cmp_gt_f32_e32 vcc, v2, v3
	v_cndmask_b32_e32 v2, v3, v2, vcc
	s_nop 1
	v_mov_b32_dpp v3, v2 row_bcast:15 row_mask:0xf bank_mask:0xf
	v_cmp_gt_f32_e32 vcc, v2, v3
	v_cndmask_b32_e32 v2, v3, v2, vcc
	s_nop 1
	v_mov_b32_dpp v3, v2 row_bcast:31 row_mask:0xf bank_mask:0xf
	s_and_saveexec_b64 s[10:11], s[0:1]
	s_cbranch_execz .LBB26_20
; %bb.19:
	v_cmp_gt_f32_e32 vcc, v2, v3
	v_cndmask_b32_e32 v2, v3, v2, vcc
	v_lshrrev_b32_e32 v3, 4, v0
	v_and_b32_e32 v3, 60, v3
	ds_write_b32 v3, v2
.LBB26_20:
	s_or_b64 exec, exec, s[10:11]
	s_waitcnt lgkmcnt(0)
	s_barrier
	ds_read_b32 v2, v14
	s_load_dwordx2 s[20:21], s[4:5], 0x70
	s_waitcnt lgkmcnt(0)
	v_mov_b32_dpp v3, v2 quad_perm:[1,0,3,2] row_mask:0xf bank_mask:0xf
	v_cmp_gt_f32_e32 vcc, v2, v3
	v_cndmask_b32_e32 v2, v3, v2, vcc
	v_mul_f32_e32 v2, 0x3b124925, v2
	v_cmp_eq_u32_e32 vcc, 0, v0
	s_and_saveexec_b64 s[10:11], vcc
	s_cbranch_execz .LBB26_22
; %bb.21:
	s_load_dwordx2 s[22:23], s[4:5], 0x8
	s_mul_hi_i32 s31, s21, s6
	s_mul_i32 s30, s21, s6
	s_lshl_b64 s[30:31], s[30:31], 2
	v_mov_b32_e32 v3, 0
	s_waitcnt lgkmcnt(0)
	s_add_u32 s22, s22, s30
	s_addc_u32 s23, s23, s31
	global_store_dword v3, v2, s[22:23]
.LBB26_22:
	s_or_b64 exec, exec, s[10:11]
	;;#ASMSTART
	v_rcp_f32 v2, v2
	;;#ASMEND
	s_and_saveexec_b64 s[10:11], s[2:3]
	s_cbranch_execz .LBB26_24
; %bb.23:
	s_load_dwordx2 s[2:3], s[4:5], 0x0
	s_mul_i32 s12, s20, s6
	v_mov_b32_e32 v3, v2
	;;#ASMSTART
	v_pk_mul_f32 v[4:5], v[12:13], v[2:3]
	;;#ASMEND
	s_mul_hi_i32 s7, s20, s6
	s_waitcnt lgkmcnt(0)
	s_add_u32 s20, s2, s12
	v_mov_b32_e32 v12, 0xc3e00000
	v_mov_b32_e32 v13, 0x43e00000
	;;#ASMSTART
	v_med3_f32 v4, v4, v12, v13
v_med3_f32 v5, v5, v12, v13
v_cvt_pk_fp8_f32 v15, v4, v5
	;;#ASMEND
	s_addc_u32 s2, s3, s7
	;;#ASMSTART
	v_pk_mul_f32 v[4:5], v[10:11], v[2:3]
	;;#ASMEND
	s_and_b32 s21, s2, 0xffff
	;;#ASMSTART
	v_med3_f32 v4, v4, v12, v13
v_med3_f32 v5, v5, v12, v13
v_cvt_pk_fp8_f32 v10, v4, v5
	;;#ASMEND
	s_mov_b32 s2, 0x5040100
	v_perm_b32 v5, v10, v15, s2
	s_movk_i32 s2, 0xff
	v_and_b32_e32 v4, 0xffffff00, v10
	v_and_b32_sdwa v10, v5, s2 dst_sel:DWORD dst_unused:UNUSED_PAD src0_sel:WORD_1 src1_sel:DWORD
	s_mov_b32 s14, 0xffff
	v_or_b32_sdwa v4, v10, v4 dst_sel:WORD_1 dst_unused:UNUSED_PAD src0_sel:DWORD src1_sel:DWORD
	s_add_i32 s3, s15, 3
	v_and_or_b32 v4, v5, s14, v4
	;;#ASMSTART
	v_pk_mul_f32 v[8:9], v[8:9], v[2:3]
	;;#ASMEND
	v_mov_b32_e32 v5, v8
	s_ashr_i32 s7, s3, 31
	;;#ASMSTART
	v_med3_f32 v5, v5, v12, v13
v_med3_f32 v9, v9, v12, v13
v_cvt_pk_fp8_f32 v8, v5, v9
	;;#ASMEND
	;;#ASMSTART
	v_pk_mul_f32 v[2:3], v[6:7], v[2:3]
	;;#ASMEND
	s_lshr_b32 s7, s7, 30
	;;#ASMSTART
	v_med3_f32 v2, v2, v12, v13
v_med3_f32 v3, v3, v12, v13
v_cvt_pk_fp8_f32 v5, v2, v3
	;;#ASMEND
	s_add_i32 s3, s3, s7
	v_lshlrev_b32_e32 v2, 16, v5
	s_and_b32 s22, s3, -4
	s_mov_b32 s23, 0x20000
	v_and_or_b32 v5, v8, s14, v2
	buffer_store_dwordx2 v[4:5], v1, s[20:23], 0 offen
	;;#ASMSTART
	s_nop 0
	;;#ASMEND
.LBB26_24:
	s_or_b64 exec, exec, s[10:11]
	s_cmp_lt_i32 s16, 1
	s_cbranch_scc1 .LBB26_10
.LBB26_25:
	s_load_dword s2, s[4:5], 0x94
	s_waitcnt lgkmcnt(0)
	s_cmp_lg_u32 s2, 1
	s_cbranch_scc1 .LBB26_10
; %bb.26:
	s_lshl_b32 s2, s16, 1
	s_add_i32 s2, s2, 2
	v_cmp_gt_u32_e32 vcc, s16, v1
	s_and_b32 s10, s2, -4
	v_mov_b32_e32 v6, 0
	v_lshlrev_b32_e32 v1, 4, v0
	v_mov_b32_e32 v7, 0
	v_mov_b32_e32 v8, 0
	v_mov_b32_e32 v9, 0
	s_waitcnt vmcnt(0)
	v_mov_b32_e32 v2, 0
	v_mov_b32_e32 v3, 0
	;; [unrolled: 1-line block ×4, first 2 shown]
	s_barrier
	s_and_saveexec_b64 s[2:3], vcc
	s_cbranch_execz .LBB26_28
; %bb.27:
	s_mul_hi_i32 s5, s18, s6
	s_mul_i32 s4, s18, s6
	s_and_b32 s9, s9, 0xffff
	s_lshl_b64 s[4:5], s[4:5], 1
	s_add_u32 s20, s26, s4
	s_mov_b32 s11, 0x20000
	s_addc_u32 s4, s27, s5
	s_and_b32 s21, s4, 0xffff
	s_mov_b32 s22, s10
	s_mov_b32 s23, s11
	buffer_load_dwordx4 v[6:9], v1, s[20:23], 0 offen glc slc
	buffer_load_dwordx4 v[2:5], v1, s[8:11], 0 offen
.LBB26_28:
	s_or_b64 exec, exec, s[2:3]
	s_waitcnt vmcnt(1)
	v_cvt_f32_u32_sdwa v13, v6 dst_sel:DWORD dst_unused:UNUSED_PAD src0_sel:WORD_1
	v_cvt_f32_u32_sdwa v12, v6 dst_sel:DWORD dst_unused:UNUSED_PAD src0_sel:WORD_0
	v_cvt_f32_u32_sdwa v6, v9 dst_sel:DWORD dst_unused:UNUSED_PAD src0_sel:WORD_1
	v_cvt_f32_u32_sdwa v9, v9 dst_sel:DWORD dst_unused:UNUSED_PAD src0_sel:WORD_0
	;; [unrolled: 2-line block ×4, first 2 shown]
	v_cndmask_b32_e32 v13, 0, v13, vcc
	v_cndmask_b32_e32 v7, 0, v6, vcc
	;; [unrolled: 1-line block ×5, first 2 shown]
	v_mul_f32_e32 v15, v13, v13
	v_cndmask_b32_e32 v10, 0, v10, vcc
	v_fmac_f32_e32 v15, v12, v12
	v_cndmask_b32_e32 v11, 0, v11, vcc
	v_fmac_f32_e32 v15, v10, v10
	;; [unrolled: 2-line block ×3, first 2 shown]
	v_fmac_f32_e32 v15, v8, v8
	v_fmac_f32_e32 v15, v9, v9
	v_fmac_f32_e32 v15, v6, v6
	v_fmac_f32_e32 v15, v7, v7
	s_nop 1
	v_mov_b32_dpp v16, v15 quad_perm:[1,0,3,2] row_mask:0xf bank_mask:0xf
	v_add_f32_e32 v15, v15, v16
	s_nop 1
	v_mov_b32_dpp v16, v15 quad_perm:[2,3,0,1] row_mask:0xf bank_mask:0xf
	v_add_f32_e32 v15, v15, v16
	s_nop 1
	v_mov_b32_dpp v16, v15 row_half_mirror row_mask:0xf bank_mask:0xf
	v_add_f32_e32 v15, v15, v16
	s_nop 1
	v_mov_b32_dpp v16, v15 row_mirror row_mask:0xf bank_mask:0xf
	v_add_f32_e32 v15, v15, v16
	s_nop 1
	v_mov_b32_dpp v16, v15 row_bcast:15 row_mask:0xf bank_mask:0xf
	v_add_f32_e32 v15, v15, v16
	s_nop 1
	v_mov_b32_dpp v16, v15 row_bcast:31 row_mask:0xf bank_mask:0xf
	s_and_saveexec_b64 s[2:3], s[0:1]
	s_cbranch_execz .LBB26_30
; %bb.29:
	v_lshrrev_b32_e32 v0, 4, v0
	v_add_f32_e32 v15, v15, v16
	v_and_b32_e32 v0, 60, v0
	ds_write_b32 v0, v15 offset:8
.LBB26_30:
	s_or_b64 exec, exec, s[2:3]
	s_waitcnt lgkmcnt(0)
	s_barrier
	ds_read_b32 v0, v14 offset:8
	s_waitcnt lgkmcnt(0)
	s_nop 0
	v_mov_b32_dpp v14, v0 quad_perm:[1,0,3,2] row_mask:0xf bank_mask:0xf
	s_and_saveexec_b64 s[0:1], vcc
	s_cbranch_execz .LBB26_10
; %bb.31:
	v_cvt_f32_u32_e32 v15, s16
	v_add_f32_e32 v0, v0, v14
	s_mov_b32 s11, 0x20000
	v_div_scale_f32 v14, s[0:1], v15, v15, v0
	v_rcp_f32_e32 v16, v14
	v_div_scale_f32 v17, vcc, v0, v15, v0
	s_mov_b32 s0, 0x800000
	v_fma_f32 v18, -v14, v16, 1.0
	v_fmac_f32_e32 v16, v18, v16
	v_mul_f32_e32 v18, v17, v16
	v_fma_f32 v19, -v14, v18, v17
	v_fmac_f32_e32 v18, v19, v16
	v_fma_f32 v14, -v14, v18, v17
	v_div_fmas_f32 v14, v14, v16, v18
	v_div_fixup_f32 v0, v14, v15, v0
	v_add_f32_e32 v0, s13, v0
	v_mul_f32_e32 v14, 0x4b800000, v0
	v_cmp_gt_f32_e32 vcc, s0, v0
	v_cndmask_b32_e32 v0, v0, v14, vcc
	v_rsq_f32_e32 v0, v0
	s_waitcnt vmcnt(0)
	v_cvt_f32_u32_sdwa v17, v2 dst_sel:DWORD dst_unused:UNUSED_PAD src0_sel:WORD_1
	v_cvt_f32_u32_sdwa v16, v2 dst_sel:DWORD dst_unused:UNUSED_PAD src0_sel:WORD_0
	v_cvt_f32_u32_sdwa v19, v3 dst_sel:DWORD dst_unused:UNUSED_PAD src0_sel:WORD_1
	v_mul_f32_e32 v14, 0x45800000, v0
	v_cndmask_b32_e32 v14, v0, v14, vcc
	v_mov_b32_e32 v15, v14
	;;#ASMSTART
	v_pk_mul_f32 v[12:13], v[12:13], v[14:15]
	;;#ASMEND
	;;#ASMSTART
	v_pk_mul_f32 v[10:11], v[10:11], v[14:15]
	;;#ASMEND
	;; [unrolled: 3-line block ×3, first 2 shown]
	v_cvt_f32_u32_sdwa v18, v3 dst_sel:DWORD dst_unused:UNUSED_PAD src0_sel:WORD_0
	;;#ASMSTART
	v_pk_mul_f32 v[2:3], v[6:7], v[14:15]
	;;#ASMEND
	v_cvt_f32_u32_sdwa v15, v4 dst_sel:DWORD dst_unused:UNUSED_PAD src0_sel:WORD_1
	v_cvt_f32_u32_sdwa v14, v4 dst_sel:DWORD dst_unused:UNUSED_PAD src0_sel:WORD_0
	v_pk_add_f32 v[6:7], v[16:17], 1.0 op_sel_hi:[1,0]
	v_cvt_f32_u32_sdwa v17, v5 dst_sel:DWORD dst_unused:UNUSED_PAD src0_sel:WORD_1
	v_cvt_f32_u32_sdwa v16, v5 dst_sel:DWORD dst_unused:UNUSED_PAD src0_sel:WORD_0
	s_mul_hi_i32 s1, s29, s6
	s_mul_i32 s0, s29, s6
	s_lshl_b64 s[0:1], s[0:1], 1
	s_add_u32 s8, s24, s0
	;;#ASMSTART
	v_pk_mul_f32 v[6:7], v[12:13], v[6:7]
	;;#ASMEND
	v_pk_add_f32 v[12:13], v[18:19], 1.0 op_sel_hi:[1,0]
	;;#ASMSTART
	v_pk_mul_f32 v[4:5], v[10:11], v[12:13]
	;;#ASMEND
	v_pk_add_f32 v[10:11], v[14:15], 1.0 op_sel_hi:[1,0]
	s_addc_u32 s0, s25, s1
	;;#ASMSTART
	v_pk_mul_f32 v[8:9], v[8:9], v[10:11]
	;;#ASMEND
	v_pk_add_f32 v[10:11], v[16:17], 1.0 op_sel_hi:[1,0]
	s_and_b32 s9, s0, 0xffff
	s_mov_b32 s0, 0x7060302
	;;#ASMSTART
	v_pk_mul_f32 v[10:11], v[2:3], v[10:11]
	;;#ASMEND
	v_perm_b32 v2, v7, v6, s0
	v_perm_b32 v3, v5, v4, s0
	;; [unrolled: 1-line block ×4, first 2 shown]
	buffer_store_dwordx4 v[2:5], v1, s[8:11], 0 offen
	;;#ASMSTART
	s_nop 0
	;;#ASMEND
	s_endpgm
	.section	.rodata,"a",@progbits
	.p2align	6, 0x0
	.amdhsa_kernel _ZN5aiter35fused_qk_rmsnorm_group_quant_kernelItDB8_Li128ELi8ELi1ELb0ELb1ELb1ELb0ELb1ELb1EEEvPT0_PvPT_S6_S6_PKS5_S8_S8_S8_S8_ffiiiiiiiiiiiii
		.amdhsa_group_segment_fixed_size 24
		.amdhsa_private_segment_fixed_size 0
		.amdhsa_kernarg_size 400
		.amdhsa_user_sgpr_count 6
		.amdhsa_user_sgpr_private_segment_buffer 1
		.amdhsa_user_sgpr_dispatch_ptr 0
		.amdhsa_user_sgpr_queue_ptr 0
		.amdhsa_user_sgpr_kernarg_segment_ptr 1
		.amdhsa_user_sgpr_dispatch_id 0
		.amdhsa_user_sgpr_flat_scratch_init 0
		.amdhsa_user_sgpr_kernarg_preload_length 0
		.amdhsa_user_sgpr_kernarg_preload_offset 0
		.amdhsa_user_sgpr_private_segment_size 0
		.amdhsa_uses_dynamic_stack 0
		.amdhsa_system_sgpr_private_segment_wavefront_offset 0
		.amdhsa_system_sgpr_workgroup_id_x 1
		.amdhsa_system_sgpr_workgroup_id_y 1
		.amdhsa_system_sgpr_workgroup_id_z 0
		.amdhsa_system_sgpr_workgroup_info 0
		.amdhsa_system_vgpr_workitem_id 0
		.amdhsa_next_free_vgpr 23
		.amdhsa_next_free_sgpr 32
		.amdhsa_accum_offset 24
		.amdhsa_reserve_vcc 1
		.amdhsa_reserve_flat_scratch 0
		.amdhsa_float_round_mode_32 0
		.amdhsa_float_round_mode_16_64 0
		.amdhsa_float_denorm_mode_32 3
		.amdhsa_float_denorm_mode_16_64 3
		.amdhsa_dx10_clamp 1
		.amdhsa_ieee_mode 1
		.amdhsa_fp16_overflow 0
		.amdhsa_tg_split 0
		.amdhsa_exception_fp_ieee_invalid_op 0
		.amdhsa_exception_fp_denorm_src 0
		.amdhsa_exception_fp_ieee_div_zero 0
		.amdhsa_exception_fp_ieee_overflow 0
		.amdhsa_exception_fp_ieee_underflow 0
		.amdhsa_exception_fp_ieee_inexact 0
		.amdhsa_exception_int_div_zero 0
	.end_amdhsa_kernel
	.section	.text._ZN5aiter35fused_qk_rmsnorm_group_quant_kernelItDB8_Li128ELi8ELi1ELb0ELb1ELb1ELb0ELb1ELb1EEEvPT0_PvPT_S6_S6_PKS5_S8_S8_S8_S8_ffiiiiiiiiiiiii,"axG",@progbits,_ZN5aiter35fused_qk_rmsnorm_group_quant_kernelItDB8_Li128ELi8ELi1ELb0ELb1ELb1ELb0ELb1ELb1EEEvPT0_PvPT_S6_S6_PKS5_S8_S8_S8_S8_ffiiiiiiiiiiiii,comdat
.Lfunc_end26:
	.size	_ZN5aiter35fused_qk_rmsnorm_group_quant_kernelItDB8_Li128ELi8ELi1ELb0ELb1ELb1ELb0ELb1ELb1EEEvPT0_PvPT_S6_S6_PKS5_S8_S8_S8_S8_ffiiiiiiiiiiiii, .Lfunc_end26-_ZN5aiter35fused_qk_rmsnorm_group_quant_kernelItDB8_Li128ELi8ELi1ELb0ELb1ELb1ELb0ELb1ELb1EEEvPT0_PvPT_S6_S6_PKS5_S8_S8_S8_S8_ffiiiiiiiiiiiii
                                        ; -- End function
	.section	.AMDGPU.csdata,"",@progbits
; Kernel info:
; codeLenInByte = 2768
; NumSgprs: 36
; NumVgprs: 23
; NumAgprs: 0
; TotalNumVgprs: 23
; ScratchSize: 0
; MemoryBound: 0
; FloatMode: 240
; IeeeMode: 1
; LDSByteSize: 24 bytes/workgroup (compile time only)
; SGPRBlocks: 4
; VGPRBlocks: 2
; NumSGPRsForWavesPerEU: 36
; NumVGPRsForWavesPerEU: 23
; AccumOffset: 24
; Occupancy: 8
; WaveLimiterHint : 0
; COMPUTE_PGM_RSRC2:SCRATCH_EN: 0
; COMPUTE_PGM_RSRC2:USER_SGPR: 6
; COMPUTE_PGM_RSRC2:TRAP_HANDLER: 0
; COMPUTE_PGM_RSRC2:TGID_X_EN: 1
; COMPUTE_PGM_RSRC2:TGID_Y_EN: 1
; COMPUTE_PGM_RSRC2:TGID_Z_EN: 0
; COMPUTE_PGM_RSRC2:TIDIG_COMP_CNT: 0
; COMPUTE_PGM_RSRC3_GFX90A:ACCUM_OFFSET: 5
; COMPUTE_PGM_RSRC3_GFX90A:TG_SPLIT: 0
	.section	.text._ZN5aiter35fused_qk_rmsnorm_group_quant_kernelIDF16_DB8_Li128ELi8ELi1ELb0ELb1ELb0ELb0ELb1ELb1EEEvPT0_PvPT_S6_S6_PKS5_S8_S8_S8_S8_ffiiiiiiiiiiiii,"axG",@progbits,_ZN5aiter35fused_qk_rmsnorm_group_quant_kernelIDF16_DB8_Li128ELi8ELi1ELb0ELb1ELb0ELb0ELb1ELb1EEEvPT0_PvPT_S6_S6_PKS5_S8_S8_S8_S8_ffiiiiiiiiiiiii,comdat
	.protected	_ZN5aiter35fused_qk_rmsnorm_group_quant_kernelIDF16_DB8_Li128ELi8ELi1ELb0ELb1ELb0ELb0ELb1ELb1EEEvPT0_PvPT_S6_S6_PKS5_S8_S8_S8_S8_ffiiiiiiiiiiiii ; -- Begin function _ZN5aiter35fused_qk_rmsnorm_group_quant_kernelIDF16_DB8_Li128ELi8ELi1ELb0ELb1ELb0ELb0ELb1ELb1EEEvPT0_PvPT_S6_S6_PKS5_S8_S8_S8_S8_ffiiiiiiiiiiiii
	.globl	_ZN5aiter35fused_qk_rmsnorm_group_quant_kernelIDF16_DB8_Li128ELi8ELi1ELb0ELb1ELb0ELb0ELb1ELb1EEEvPT0_PvPT_S6_S6_PKS5_S8_S8_S8_S8_ffiiiiiiiiiiiii
	.p2align	8
	.type	_ZN5aiter35fused_qk_rmsnorm_group_quant_kernelIDF16_DB8_Li128ELi8ELi1ELb0ELb1ELb0ELb0ELb1ELb1EEEvPT0_PvPT_S6_S6_PKS5_S8_S8_S8_S8_ffiiiiiiiiiiiii,@function
_ZN5aiter35fused_qk_rmsnorm_group_quant_kernelIDF16_DB8_Li128ELi8ELi1ELb0ELb1ELb0ELb0ELb1ELb1EEEvPT0_PvPT_S6_S6_PKS5_S8_S8_S8_S8_ffiiiiiiiiiiiii: ; @_ZN5aiter35fused_qk_rmsnorm_group_quant_kernelIDF16_DB8_Li128ELi8ELi1ELb0ELb1ELb0ELb0ELb1ELb1EEEvPT0_PvPT_S6_S6_PKS5_S8_S8_S8_S8_ffiiiiiiiiiiiii
; %bb.0:
	s_load_dwordx4 s[12:15], s[4:5], 0x50
	s_waitcnt lgkmcnt(0)
	s_cmp_ge_i32 s6, s14
	s_cbranch_scc1 .LBB27_12
; %bb.1:
	s_load_dwordx2 s[8:9], s[4:5], 0x48
	s_load_dwordx2 s[26:27], s[4:5], 0x30
	s_load_dwordx4 s[16:19], s[4:5], 0x60
	s_cmp_lg_u32 s7, 0
	s_cselect_b64 s[10:11], -1, 0
	s_cmp_eq_u32 s7, 0
	s_cselect_b64 vcc, -1, 0
	s_and_b64 s[0:1], vcc, exec
	s_waitcnt lgkmcnt(0)
	s_cselect_b32 s7, s15, s16
	s_add_i32 s0, s7, 1
	s_lshr_b32 s1, s0, 31
	s_add_i32 s0, s0, s1
	s_lshl_b32 s0, s0, 1
	v_lshlrev_b32_e32 v1, 3, v0
	s_and_b32 s22, s0, -4
	v_cmp_gt_i32_e64 s[2:3], s7, v1
	v_mov_b32_e32 v10, 0
	v_mov_b32_e32 v2, 0
	;; [unrolled: 1-line block ×9, first 2 shown]
	s_and_saveexec_b64 s[0:1], s[2:3]
	s_cbranch_execz .LBB27_3
; %bb.2:
	s_load_dwordx2 s[20:21], s[4:5], 0x28
	s_load_dwordx2 s[24:25], s[4:5], 0x40
	s_and_b64 s[28:29], vcc, exec
	s_cselect_b32 s14, s17, s18
	s_mov_b32 s23, 0x20000
	s_waitcnt lgkmcnt(0)
	s_cselect_b32 s17, s21, s27
	s_cselect_b32 s19, s20, s26
	s_mul_hi_i32 s21, s14, s6
	s_mul_i32 s20, s14, s6
	s_lshl_b64 s[20:21], s[20:21], 1
	s_add_u32 s28, s19, s20
	s_addc_u32 s14, s17, s21
	s_and_b64 s[20:21], vcc, exec
	s_cselect_b32 s20, s24, s8
	s_cselect_b32 s17, s25, s9
	v_lshlrev_b32_e32 v11, 4, v0
	s_and_b32 s29, s14, 0xffff
	s_mov_b32 s30, s22
	s_mov_b32 s31, s23
	s_and_b32 s21, s17, 0xffff
	buffer_load_dwordx4 v[6:9], v11, s[28:31], 0 offen glc slc
	buffer_load_dwordx4 v[2:5], v11, s[20:23], 0 offen
.LBB27_3:
	s_or_b64 exec, exec, s[0:1]
	v_mov_b32_e32 v11, 0
	v_mov_b32_e32 v16, 0
	;; [unrolled: 1-line block ×7, first 2 shown]
	s_and_saveexec_b64 s[0:1], s[2:3]
	s_cbranch_execz .LBB27_5
; %bb.4:
	s_waitcnt vmcnt(1)
	v_cvt_f32_f16_sdwa v11, v6 dst_sel:DWORD dst_unused:UNUSED_PAD src0_sel:WORD_1
	v_cvt_f32_f16_e32 v10, v6
	v_cvt_f32_f16_sdwa v17, v7 dst_sel:DWORD dst_unused:UNUSED_PAD src0_sel:WORD_1
	v_cvt_f32_f16_e32 v16, v7
	;; [unrolled: 2-line block ×4, first 2 shown]
.LBB27_5:
	s_or_b64 exec, exec, s[0:1]
	s_waitcnt vmcnt(1)
	v_mul_f32_e32 v6, v11, v11
	v_fmac_f32_e32 v6, v10, v10
	v_fmac_f32_e32 v6, v16, v16
	;; [unrolled: 1-line block ×7, first 2 shown]
	v_and_b32_e32 v8, 63, v0
	v_cmp_eq_u32_e64 s[0:1], 63, v8
	v_mov_b32_dpp v7, v6 quad_perm:[1,0,3,2] row_mask:0xf bank_mask:0xf
	v_add_f32_e32 v6, v6, v7
	s_nop 1
	v_mov_b32_dpp v7, v6 quad_perm:[2,3,0,1] row_mask:0xf bank_mask:0xf
	v_add_f32_e32 v6, v6, v7
	s_nop 1
	v_mov_b32_dpp v7, v6 row_half_mirror row_mask:0xf bank_mask:0xf
	v_add_f32_e32 v6, v6, v7
	s_nop 1
	v_mov_b32_dpp v7, v6 row_mirror row_mask:0xf bank_mask:0xf
	v_add_f32_e32 v6, v6, v7
	s_nop 1
	v_mov_b32_dpp v7, v6 row_bcast:15 row_mask:0xf bank_mask:0xf
	v_add_f32_e32 v6, v6, v7
	s_nop 1
	v_mov_b32_dpp v7, v6 row_bcast:31 row_mask:0xf bank_mask:0xf
	s_and_saveexec_b64 s[20:21], s[0:1]
	s_cbranch_execz .LBB27_7
; %bb.6:
	v_add_f32_e32 v6, v6, v7
	v_lshrrev_b32_e32 v7, 4, v0
	v_and_b32_e32 v7, 60, v7
	ds_write_b32 v7, v6 offset:16
.LBB27_7:
	s_or_b64 exec, exec, s[20:21]
	v_and_b32_e32 v6, 1, v0
	v_lshlrev_b32_e32 v18, 2, v6
	s_waitcnt lgkmcnt(0)
	s_barrier
	ds_read_b32 v6, v18 offset:16
	s_load_dwordx2 s[24:25], s[4:5], 0x18
	s_waitcnt lgkmcnt(0)
	v_mov_b32_dpp v7, v6 quad_perm:[1,0,3,2] row_mask:0xf bank_mask:0xf
	s_and_saveexec_b64 s[20:21], s[2:3]
	s_cbranch_execz .LBB27_9
; %bb.8:
	v_cvt_f32_u32_e32 v8, s7
	v_add_f32_e32 v6, v6, v7
	v_mov_b32_e32 v19, s13
	v_mov_b32_e32 v20, s12
	v_div_scale_f32 v7, s[28:29], v8, v8, v6
	v_rcp_f32_e32 v9, v7
	v_cndmask_b32_e32 v19, v19, v20, vcc
	s_mov_b32 s7, 0x800000
	v_fma_f32 v20, -v7, v9, 1.0
	v_fmac_f32_e32 v9, v20, v9
	v_div_scale_f32 v20, vcc, v6, v8, v6
	v_mul_f32_e32 v21, v20, v9
	v_fma_f32 v22, -v7, v21, v20
	v_fmac_f32_e32 v21, v22, v9
	v_fma_f32 v7, -v7, v21, v20
	v_div_fmas_f32 v7, v7, v9, v21
	v_div_fixup_f32 v6, v7, v8, v6
	v_add_f32_e32 v6, v19, v6
	v_mul_f32_e32 v7, 0x4b800000, v6
	v_cmp_gt_f32_e32 vcc, s7, v6
	v_cndmask_b32_e32 v6, v6, v7, vcc
	v_rsq_f32_e32 v6, v6
	s_waitcnt vmcnt(0)
	v_cvt_f32_f16_sdwa v21, v5 dst_sel:DWORD dst_unused:UNUSED_PAD src0_sel:WORD_1
	v_cvt_f32_f16_e32 v20, v5
	v_mul_f32_e32 v7, 0x45800000, v6
	v_cndmask_b32_e32 v6, v6, v7, vcc
	v_mov_b32_e32 v7, v6
	;;#ASMSTART
	v_pk_mul_f32 v[8:9], v[10:11], v[6:7]
	;;#ASMEND
	;;#ASMSTART
	v_pk_mul_f32 v[16:17], v[16:17], v[6:7]
	;;#ASMEND
	;; [unrolled: 3-line block ×4, first 2 shown]
	v_cvt_f32_f16_sdwa v11, v2 dst_sel:DWORD dst_unused:UNUSED_PAD src0_sel:WORD_1
	v_cvt_f32_f16_e32 v10, v2
	v_cvt_f32_f16_sdwa v13, v3 dst_sel:DWORD dst_unused:UNUSED_PAD src0_sel:WORD_1
	v_cvt_f32_f16_e32 v12, v3
	;; [unrolled: 2-line block ×3, first 2 shown]
	;;#ASMSTART
	v_pk_mul_f32 v[10:11], v[8:9], v[10:11]
	;;#ASMEND
	;;#ASMSTART
	v_pk_mul_f32 v[16:17], v[16:17], v[12:13]
	;;#ASMEND
	;; [unrolled: 3-line block ×4, first 2 shown]
.LBB27_9:
	s_or_b64 exec, exec, s[20:21]
	s_load_dwordx2 s[28:29], s[4:5], 0x7c
	s_mov_b64 s[20:21], -1
	s_and_b64 vcc, exec, s[10:11]
	s_cbranch_vccnz .LBB27_13
; %bb.10:
	s_andn2_b64 vcc, exec, s[20:21]
	s_cbranch_vccz .LBB27_16
.LBB27_11:
	s_cmp_lt_i32 s16, 1
	s_cbranch_scc0 .LBB27_27
.LBB27_12:
	s_endpgm
.LBB27_13:
	s_and_saveexec_b64 s[10:11], s[2:3]
	s_cbranch_execz .LBB27_15
; %bb.14:
	s_waitcnt lgkmcnt(0)
	s_mul_hi_i32 s21, s29, s6
	s_mul_i32 s20, s29, s6
	s_waitcnt vmcnt(0)
	v_cvt_f16_f32_e32 v2, v10
	v_cvt_f16_f32_e32 v3, v16
	;; [unrolled: 1-line block ×8, first 2 shown]
	s_lshl_b64 s[20:21], s[20:21], 1
	s_add_u32 s20, s24, s20
	s_addc_u32 s7, s25, s21
	s_and_b32 s21, s7, 0xffff
	s_mov_b32 s23, 0x20000
	v_pack_b32_f16 v5, v5, v6
	v_pack_b32_f16 v4, v4, v7
	;; [unrolled: 1-line block ×4, first 2 shown]
	v_lshlrev_b32_e32 v6, 4, v0
	buffer_store_dwordx4 v[2:5], v6, s[20:23], 0 offen
	;;#ASMSTART
	s_nop 0
	;;#ASMEND
.LBB27_15:
	s_or_b64 exec, exec, s[10:11]
	s_cbranch_execnz .LBB27_11
.LBB27_16:
	s_waitcnt vmcnt(0)
	v_mov_b32_e32 v2, 0
	s_and_saveexec_b64 s[10:11], s[2:3]
	s_cbranch_execz .LBB27_18
; %bb.17:
	s_load_dwordx2 s[20:21], s[4:5], 0x10
	s_waitcnt lgkmcnt(0)
	s_mul_hi_i32 s31, s28, s6
	s_mul_i32 s30, s28, s6
	v_cvt_f16_f32_e32 v2, v10
	v_cvt_f16_f32_e32 v3, v16
	;; [unrolled: 1-line block ×8, first 2 shown]
	s_lshl_b64 s[30:31], s[30:31], 1
	s_add_u32 s20, s20, s30
	s_addc_u32 s7, s21, s31
	s_mov_b32 s23, 0x20000
	s_and_b32 s21, s7, 0xffff
	v_pack_b32_f16 v5, v5, v6
	v_pack_b32_f16 v4, v4, v7
	;; [unrolled: 1-line block ×4, first 2 shown]
	v_lshlrev_b32_e32 v6, 4, v0
	buffer_store_dwordx4 v[2:5], v6, s[20:23], 0 offen
	;;#ASMSTART
	s_nop 0
	;;#ASMEND
	s_nop 0
	v_mov_b32_e32 v2, 0x2edbe6ff
.LBB27_18:
	s_or_b64 exec, exec, s[10:11]
	s_and_saveexec_b64 s[10:11], s[2:3]
	s_cbranch_execz .LBB27_20
; %bb.19:
	v_and_b32_e32 v3, 0x7fffffff, v10
	v_and_b32_e32 v4, 0x7fffffff, v11
	;;#ASMSTART
	v_max3_f32 v2, v2, v3, v4

	;;#ASMEND
	v_and_b32_e32 v3, 0x7fffffff, v16
	v_and_b32_e32 v4, 0x7fffffff, v17
	;;#ASMSTART
	v_max3_f32 v2, v2, v3, v4

	;;#ASMEND
	;; [unrolled: 6-line block ×4, first 2 shown]
.LBB27_20:
	s_or_b64 exec, exec, s[10:11]
	s_nop 0
	v_mov_b32_dpp v3, v2 quad_perm:[1,0,3,2] row_mask:0xf bank_mask:0xf
	v_cmp_gt_f32_e32 vcc, v2, v3
	v_cndmask_b32_e32 v2, v3, v2, vcc
	s_nop 1
	v_mov_b32_dpp v3, v2 quad_perm:[2,3,0,1] row_mask:0xf bank_mask:0xf
	v_cmp_gt_f32_e32 vcc, v2, v3
	v_cndmask_b32_e32 v2, v3, v2, vcc
	s_nop 1
	v_mov_b32_dpp v3, v2 row_half_mirror row_mask:0xf bank_mask:0xf
	v_cmp_gt_f32_e32 vcc, v2, v3
	v_cndmask_b32_e32 v2, v3, v2, vcc
	s_nop 1
	v_mov_b32_dpp v3, v2 row_mirror row_mask:0xf bank_mask:0xf
	v_cmp_gt_f32_e32 vcc, v2, v3
	v_cndmask_b32_e32 v2, v3, v2, vcc
	s_nop 1
	v_mov_b32_dpp v3, v2 row_bcast:15 row_mask:0xf bank_mask:0xf
	v_cmp_gt_f32_e32 vcc, v2, v3
	v_cndmask_b32_e32 v2, v3, v2, vcc
	s_nop 1
	v_mov_b32_dpp v3, v2 row_bcast:31 row_mask:0xf bank_mask:0xf
	s_and_saveexec_b64 s[10:11], s[0:1]
	s_cbranch_execz .LBB27_22
; %bb.21:
	v_cmp_gt_f32_e32 vcc, v2, v3
	v_cndmask_b32_e32 v2, v3, v2, vcc
	v_lshrrev_b32_e32 v3, 4, v0
	v_and_b32_e32 v3, 60, v3
	ds_write_b32 v3, v2
.LBB27_22:
	s_or_b64 exec, exec, s[10:11]
	s_waitcnt lgkmcnt(0)
	s_barrier
	ds_read_b32 v2, v18
	s_load_dwordx2 s[20:21], s[4:5], 0x70
	s_waitcnt lgkmcnt(0)
	v_mov_b32_dpp v3, v2 quad_perm:[1,0,3,2] row_mask:0xf bank_mask:0xf
	v_cmp_gt_f32_e32 vcc, v2, v3
	v_cndmask_b32_e32 v2, v3, v2, vcc
	v_mul_f32_e32 v2, 0x3b124925, v2
	v_cmp_eq_u32_e32 vcc, 0, v0
	s_and_saveexec_b64 s[10:11], vcc
	s_cbranch_execz .LBB27_24
; %bb.23:
	s_load_dwordx2 s[22:23], s[4:5], 0x8
	s_mul_hi_i32 s31, s21, s6
	s_mul_i32 s30, s21, s6
	s_lshl_b64 s[30:31], s[30:31], 2
	v_mov_b32_e32 v3, 0
	s_waitcnt lgkmcnt(0)
	s_add_u32 s22, s22, s30
	s_addc_u32 s23, s23, s31
	global_store_dword v3, v2, s[22:23]
.LBB27_24:
	s_or_b64 exec, exec, s[10:11]
	;;#ASMSTART
	v_rcp_f32 v2, v2
	;;#ASMEND
	s_and_saveexec_b64 s[10:11], s[2:3]
	s_cbranch_execz .LBB27_26
; %bb.25:
	s_load_dwordx2 s[2:3], s[4:5], 0x0
	s_mul_i32 s12, s20, s6
	v_mov_b32_e32 v3, v2
	;;#ASMSTART
	v_pk_mul_f32 v[4:5], v[10:11], v[2:3]
	;;#ASMEND
	s_mul_hi_i32 s7, s20, s6
	s_waitcnt lgkmcnt(0)
	s_add_u32 s20, s2, s12
	v_mov_b32_e32 v8, 0xc3e00000
	v_mov_b32_e32 v9, 0x43e00000
	;;#ASMSTART
	v_med3_f32 v4, v4, v8, v9
v_med3_f32 v5, v5, v8, v9
v_cvt_pk_fp8_f32 v6, v4, v5
	;;#ASMEND
	s_addc_u32 s2, s3, s7
	;;#ASMSTART
	v_pk_mul_f32 v[4:5], v[16:17], v[2:3]
	;;#ASMEND
	s_and_b32 s21, s2, 0xffff
	;;#ASMSTART
	v_med3_f32 v4, v4, v8, v9
v_med3_f32 v5, v5, v8, v9
v_cvt_pk_fp8_f32 v7, v4, v5
	;;#ASMEND
	s_mov_b32 s2, 0x5040100
	v_perm_b32 v5, v7, v6, s2
	s_movk_i32 s2, 0xff
	v_and_b32_e32 v4, 0xffffff00, v7
	v_and_b32_sdwa v6, v5, s2 dst_sel:DWORD dst_unused:UNUSED_PAD src0_sel:WORD_1 src1_sel:DWORD
	s_mov_b32 s14, 0xffff
	v_or_b32_sdwa v4, v6, v4 dst_sel:WORD_1 dst_unused:UNUSED_PAD src0_sel:DWORD src1_sel:DWORD
	s_add_i32 s3, s15, 3
	v_and_or_b32 v4, v5, s14, v4
	;;#ASMSTART
	v_pk_mul_f32 v[6:7], v[14:15], v[2:3]
	;;#ASMEND
	v_mov_b32_e32 v5, v7
	s_ashr_i32 s7, s3, 31
	;;#ASMSTART
	v_med3_f32 v6, v6, v8, v9
v_med3_f32 v5, v5, v8, v9
v_cvt_pk_fp8_f32 v7, v6, v5
	;;#ASMEND
	;;#ASMSTART
	v_pk_mul_f32 v[2:3], v[12:13], v[2:3]
	;;#ASMEND
	s_lshr_b32 s7, s7, 30
	;;#ASMSTART
	v_med3_f32 v2, v2, v8, v9
v_med3_f32 v3, v3, v8, v9
v_cvt_pk_fp8_f32 v5, v2, v3
	;;#ASMEND
	s_add_i32 s3, s3, s7
	v_lshlrev_b32_e32 v2, 16, v5
	s_and_b32 s22, s3, -4
	s_mov_b32 s23, 0x20000
	v_and_or_b32 v5, v7, s14, v2
	buffer_store_dwordx2 v[4:5], v1, s[20:23], 0 offen
	;;#ASMSTART
	s_nop 0
	;;#ASMEND
.LBB27_26:
	s_or_b64 exec, exec, s[10:11]
	s_cmp_lt_i32 s16, 1
	s_cbranch_scc1 .LBB27_12
.LBB27_27:
	s_load_dword s2, s[4:5], 0x94
	s_waitcnt lgkmcnt(0)
	s_cmp_lg_u32 s2, 1
	s_cbranch_scc1 .LBB27_12
; %bb.28:
	s_lshl_b32 s2, s16, 1
	s_add_i32 s2, s2, 2
	v_cmp_gt_u32_e32 vcc, s16, v1
	s_and_b32 s10, s2, -4
	v_mov_b32_e32 v10, 0
	v_lshlrev_b32_e32 v1, 4, v0
	v_mov_b32_e32 v6, 0
	v_mov_b32_e32 v7, 0
	;; [unrolled: 1-line block ×4, first 2 shown]
	s_waitcnt vmcnt(0)
	v_mov_b32_e32 v2, 0
	v_mov_b32_e32 v3, 0
	;; [unrolled: 1-line block ×4, first 2 shown]
	s_barrier
	s_and_saveexec_b64 s[2:3], vcc
	s_cbranch_execz .LBB27_30
; %bb.29:
	s_mul_hi_i32 s5, s18, s6
	s_mul_i32 s4, s18, s6
	s_and_b32 s9, s9, 0xffff
	s_lshl_b64 s[4:5], s[4:5], 1
	s_add_u32 s20, s26, s4
	s_mov_b32 s11, 0x20000
	s_addc_u32 s4, s27, s5
	s_and_b32 s21, s4, 0xffff
	s_mov_b32 s22, s10
	s_mov_b32 s23, s11
	buffer_load_dwordx4 v[6:9], v1, s[20:23], 0 offen glc slc
	buffer_load_dwordx4 v[2:5], v1, s[8:11], 0 offen
.LBB27_30:
	s_or_b64 exec, exec, s[2:3]
	v_mov_b32_e32 v11, 0
	v_mov_b32_e32 v16, 0
	;; [unrolled: 1-line block ×7, first 2 shown]
	s_and_saveexec_b64 s[2:3], vcc
	s_cbranch_execz .LBB27_32
; %bb.31:
	s_waitcnt vmcnt(1)
	v_cvt_f32_f16_sdwa v11, v6 dst_sel:DWORD dst_unused:UNUSED_PAD src0_sel:WORD_1
	v_cvt_f32_f16_e32 v10, v6
	v_cvt_f32_f16_sdwa v17, v7 dst_sel:DWORD dst_unused:UNUSED_PAD src0_sel:WORD_1
	v_cvt_f32_f16_e32 v16, v7
	;; [unrolled: 2-line block ×4, first 2 shown]
.LBB27_32:
	s_or_b64 exec, exec, s[2:3]
	s_waitcnt vmcnt(1)
	v_mul_f32_e32 v6, v11, v11
	v_fmac_f32_e32 v6, v10, v10
	v_fmac_f32_e32 v6, v16, v16
	;; [unrolled: 1-line block ×7, first 2 shown]
	s_nop 1
	v_mov_b32_dpp v7, v6 quad_perm:[1,0,3,2] row_mask:0xf bank_mask:0xf
	v_add_f32_e32 v6, v6, v7
	s_nop 1
	v_mov_b32_dpp v7, v6 quad_perm:[2,3,0,1] row_mask:0xf bank_mask:0xf
	v_add_f32_e32 v6, v6, v7
	s_nop 1
	v_mov_b32_dpp v7, v6 row_half_mirror row_mask:0xf bank_mask:0xf
	v_add_f32_e32 v6, v6, v7
	s_nop 1
	v_mov_b32_dpp v7, v6 row_mirror row_mask:0xf bank_mask:0xf
	v_add_f32_e32 v6, v6, v7
	s_nop 1
	v_mov_b32_dpp v7, v6 row_bcast:15 row_mask:0xf bank_mask:0xf
	v_add_f32_e32 v6, v6, v7
	s_nop 1
	v_mov_b32_dpp v7, v6 row_bcast:31 row_mask:0xf bank_mask:0xf
	s_and_saveexec_b64 s[2:3], s[0:1]
	s_cbranch_execz .LBB27_34
; %bb.33:
	v_lshrrev_b32_e32 v0, 4, v0
	v_add_f32_e32 v6, v6, v7
	v_and_b32_e32 v0, 60, v0
	ds_write_b32 v0, v6 offset:8
.LBB27_34:
	s_or_b64 exec, exec, s[2:3]
	s_waitcnt lgkmcnt(0)
	s_barrier
	ds_read_b32 v0, v18 offset:8
	s_waitcnt lgkmcnt(0)
	s_nop 0
	v_mov_b32_dpp v6, v0 quad_perm:[1,0,3,2] row_mask:0xf bank_mask:0xf
	s_and_saveexec_b64 s[0:1], vcc
	s_cbranch_execz .LBB27_12
; %bb.35:
	v_cvt_f32_u32_e32 v7, s16
	v_add_f32_e32 v0, v0, v6
	s_mov_b32 s11, 0x20000
	v_div_scale_f32 v6, s[0:1], v7, v7, v0
	v_rcp_f32_e32 v8, v6
	v_div_scale_f32 v9, vcc, v0, v7, v0
	s_mov_b32 s0, 0x800000
	v_fma_f32 v18, -v6, v8, 1.0
	v_fmac_f32_e32 v8, v18, v8
	v_mul_f32_e32 v18, v9, v8
	v_fma_f32 v19, -v6, v18, v9
	v_fmac_f32_e32 v18, v19, v8
	v_fma_f32 v6, -v6, v18, v9
	v_div_fmas_f32 v6, v6, v8, v18
	v_div_fixup_f32 v0, v6, v7, v0
	v_add_f32_e32 v0, s13, v0
	v_mul_f32_e32 v6, 0x4b800000, v0
	v_cmp_gt_f32_e32 vcc, s0, v0
	v_cndmask_b32_e32 v0, v0, v6, vcc
	v_rsq_f32_e32 v0, v0
	s_waitcnt vmcnt(0)
	v_cvt_f32_f16_sdwa v19, v5 dst_sel:DWORD dst_unused:UNUSED_PAD src0_sel:WORD_1
	v_cvt_f32_f16_e32 v18, v5
	s_mul_hi_i32 s1, s29, s6
	v_mul_f32_e32 v6, 0x45800000, v0
	v_cndmask_b32_e32 v6, v0, v6, vcc
	v_mov_b32_e32 v7, v6
	;;#ASMSTART
	v_pk_mul_f32 v[8:9], v[10:11], v[6:7]
	;;#ASMEND
	;;#ASMSTART
	v_pk_mul_f32 v[10:11], v[16:17], v[6:7]
	;;#ASMEND
	;; [unrolled: 3-line block ×4, first 2 shown]
	v_cvt_f32_f16_sdwa v13, v2 dst_sel:DWORD dst_unused:UNUSED_PAD src0_sel:WORD_1
	v_cvt_f32_f16_e32 v12, v2
	v_cvt_f32_f16_sdwa v17, v3 dst_sel:DWORD dst_unused:UNUSED_PAD src0_sel:WORD_1
	v_cvt_f32_f16_e32 v16, v3
	;; [unrolled: 2-line block ×3, first 2 shown]
	;;#ASMSTART
	v_pk_mul_f32 v[4:5], v[8:9], v[12:13]
	;;#ASMEND
	;;#ASMSTART
	v_pk_mul_f32 v[8:9], v[10:11], v[16:17]
	;;#ASMEND
	;;#ASMSTART
	v_pk_mul_f32 v[2:3], v[14:15], v[2:3]
	;;#ASMEND
	;;#ASMSTART
	v_pk_mul_f32 v[6:7], v[6:7], v[18:19]
	;;#ASMEND
	s_mul_i32 s0, s29, s6
	v_cvt_f16_f32_e32 v0, v4
	v_cvt_f16_f32_e32 v4, v5
	;; [unrolled: 1-line block ×8, first 2 shown]
	s_lshl_b64 s[0:1], s[0:1], 1
	s_add_u32 s8, s24, s0
	s_addc_u32 s0, s25, s1
	s_and_b32 s9, s0, 0xffff
	v_pack_b32_f16 v2, v0, v4
	v_pack_b32_f16 v3, v5, v8
	;; [unrolled: 1-line block ×4, first 2 shown]
	buffer_store_dwordx4 v[2:5], v1, s[8:11], 0 offen
	;;#ASMSTART
	s_nop 0
	;;#ASMEND
	s_endpgm
	.section	.rodata,"a",@progbits
	.p2align	6, 0x0
	.amdhsa_kernel _ZN5aiter35fused_qk_rmsnorm_group_quant_kernelIDF16_DB8_Li128ELi8ELi1ELb0ELb1ELb0ELb0ELb1ELb1EEEvPT0_PvPT_S6_S6_PKS5_S8_S8_S8_S8_ffiiiiiiiiiiiii
		.amdhsa_group_segment_fixed_size 24
		.amdhsa_private_segment_fixed_size 0
		.amdhsa_kernarg_size 400
		.amdhsa_user_sgpr_count 6
		.amdhsa_user_sgpr_private_segment_buffer 1
		.amdhsa_user_sgpr_dispatch_ptr 0
		.amdhsa_user_sgpr_queue_ptr 0
		.amdhsa_user_sgpr_kernarg_segment_ptr 1
		.amdhsa_user_sgpr_dispatch_id 0
		.amdhsa_user_sgpr_flat_scratch_init 0
		.amdhsa_user_sgpr_kernarg_preload_length 0
		.amdhsa_user_sgpr_kernarg_preload_offset 0
		.amdhsa_user_sgpr_private_segment_size 0
		.amdhsa_uses_dynamic_stack 0
		.amdhsa_system_sgpr_private_segment_wavefront_offset 0
		.amdhsa_system_sgpr_workgroup_id_x 1
		.amdhsa_system_sgpr_workgroup_id_y 1
		.amdhsa_system_sgpr_workgroup_id_z 0
		.amdhsa_system_sgpr_workgroup_info 0
		.amdhsa_system_vgpr_workitem_id 0
		.amdhsa_next_free_vgpr 23
		.amdhsa_next_free_sgpr 32
		.amdhsa_accum_offset 24
		.amdhsa_reserve_vcc 1
		.amdhsa_reserve_flat_scratch 0
		.amdhsa_float_round_mode_32 0
		.amdhsa_float_round_mode_16_64 0
		.amdhsa_float_denorm_mode_32 3
		.amdhsa_float_denorm_mode_16_64 3
		.amdhsa_dx10_clamp 1
		.amdhsa_ieee_mode 1
		.amdhsa_fp16_overflow 0
		.amdhsa_tg_split 0
		.amdhsa_exception_fp_ieee_invalid_op 0
		.amdhsa_exception_fp_denorm_src 0
		.amdhsa_exception_fp_ieee_div_zero 0
		.amdhsa_exception_fp_ieee_overflow 0
		.amdhsa_exception_fp_ieee_underflow 0
		.amdhsa_exception_fp_ieee_inexact 0
		.amdhsa_exception_int_div_zero 0
	.end_amdhsa_kernel
	.section	.text._ZN5aiter35fused_qk_rmsnorm_group_quant_kernelIDF16_DB8_Li128ELi8ELi1ELb0ELb1ELb0ELb0ELb1ELb1EEEvPT0_PvPT_S6_S6_PKS5_S8_S8_S8_S8_ffiiiiiiiiiiiii,"axG",@progbits,_ZN5aiter35fused_qk_rmsnorm_group_quant_kernelIDF16_DB8_Li128ELi8ELi1ELb0ELb1ELb0ELb0ELb1ELb1EEEvPT0_PvPT_S6_S6_PKS5_S8_S8_S8_S8_ffiiiiiiiiiiiii,comdat
.Lfunc_end27:
	.size	_ZN5aiter35fused_qk_rmsnorm_group_quant_kernelIDF16_DB8_Li128ELi8ELi1ELb0ELb1ELb0ELb0ELb1ELb1EEEvPT0_PvPT_S6_S6_PKS5_S8_S8_S8_S8_ffiiiiiiiiiiiii, .Lfunc_end27-_ZN5aiter35fused_qk_rmsnorm_group_quant_kernelIDF16_DB8_Li128ELi8ELi1ELb0ELb1ELb0ELb0ELb1ELb1EEEvPT0_PvPT_S6_S6_PKS5_S8_S8_S8_S8_ffiiiiiiiiiiiii
                                        ; -- End function
	.section	.AMDGPU.csdata,"",@progbits
; Kernel info:
; codeLenInByte = 2712
; NumSgprs: 36
; NumVgprs: 23
; NumAgprs: 0
; TotalNumVgprs: 23
; ScratchSize: 0
; MemoryBound: 0
; FloatMode: 240
; IeeeMode: 1
; LDSByteSize: 24 bytes/workgroup (compile time only)
; SGPRBlocks: 4
; VGPRBlocks: 2
; NumSGPRsForWavesPerEU: 36
; NumVGPRsForWavesPerEU: 23
; AccumOffset: 24
; Occupancy: 8
; WaveLimiterHint : 0
; COMPUTE_PGM_RSRC2:SCRATCH_EN: 0
; COMPUTE_PGM_RSRC2:USER_SGPR: 6
; COMPUTE_PGM_RSRC2:TRAP_HANDLER: 0
; COMPUTE_PGM_RSRC2:TGID_X_EN: 1
; COMPUTE_PGM_RSRC2:TGID_Y_EN: 1
; COMPUTE_PGM_RSRC2:TGID_Z_EN: 0
; COMPUTE_PGM_RSRC2:TIDIG_COMP_CNT: 0
; COMPUTE_PGM_RSRC3_GFX90A:ACCUM_OFFSET: 5
; COMPUTE_PGM_RSRC3_GFX90A:TG_SPLIT: 0
	.section	.text._ZN5aiter35fused_qk_rmsnorm_group_quant_kernelItDB8_Li128ELi8ELi1ELb0ELb1ELb0ELb0ELb1ELb1EEEvPT0_PvPT_S6_S6_PKS5_S8_S8_S8_S8_ffiiiiiiiiiiiii,"axG",@progbits,_ZN5aiter35fused_qk_rmsnorm_group_quant_kernelItDB8_Li128ELi8ELi1ELb0ELb1ELb0ELb0ELb1ELb1EEEvPT0_PvPT_S6_S6_PKS5_S8_S8_S8_S8_ffiiiiiiiiiiiii,comdat
	.protected	_ZN5aiter35fused_qk_rmsnorm_group_quant_kernelItDB8_Li128ELi8ELi1ELb0ELb1ELb0ELb0ELb1ELb1EEEvPT0_PvPT_S6_S6_PKS5_S8_S8_S8_S8_ffiiiiiiiiiiiii ; -- Begin function _ZN5aiter35fused_qk_rmsnorm_group_quant_kernelItDB8_Li128ELi8ELi1ELb0ELb1ELb0ELb0ELb1ELb1EEEvPT0_PvPT_S6_S6_PKS5_S8_S8_S8_S8_ffiiiiiiiiiiiii
	.globl	_ZN5aiter35fused_qk_rmsnorm_group_quant_kernelItDB8_Li128ELi8ELi1ELb0ELb1ELb0ELb0ELb1ELb1EEEvPT0_PvPT_S6_S6_PKS5_S8_S8_S8_S8_ffiiiiiiiiiiiii
	.p2align	8
	.type	_ZN5aiter35fused_qk_rmsnorm_group_quant_kernelItDB8_Li128ELi8ELi1ELb0ELb1ELb0ELb0ELb1ELb1EEEvPT0_PvPT_S6_S6_PKS5_S8_S8_S8_S8_ffiiiiiiiiiiiii,@function
_ZN5aiter35fused_qk_rmsnorm_group_quant_kernelItDB8_Li128ELi8ELi1ELb0ELb1ELb0ELb0ELb1ELb1EEEvPT0_PvPT_S6_S6_PKS5_S8_S8_S8_S8_ffiiiiiiiiiiiii: ; @_ZN5aiter35fused_qk_rmsnorm_group_quant_kernelItDB8_Li128ELi8ELi1ELb0ELb1ELb0ELb0ELb1ELb1EEEvPT0_PvPT_S6_S6_PKS5_S8_S8_S8_S8_ffiiiiiiiiiiiii
; %bb.0:
	s_load_dwordx4 s[12:15], s[4:5], 0x50
	s_waitcnt lgkmcnt(0)
	s_cmp_ge_i32 s6, s14
	s_cbranch_scc1 .LBB28_10
; %bb.1:
	s_load_dwordx2 s[8:9], s[4:5], 0x48
	s_load_dwordx2 s[26:27], s[4:5], 0x30
	s_load_dwordx4 s[16:19], s[4:5], 0x60
	s_cmp_lg_u32 s7, 0
	s_cselect_b64 s[10:11], -1, 0
	s_cmp_eq_u32 s7, 0
	s_cselect_b64 vcc, -1, 0
	s_and_b64 s[0:1], vcc, exec
	s_waitcnt lgkmcnt(0)
	s_cselect_b32 s7, s15, s16
	s_add_i32 s0, s7, 1
	s_lshr_b32 s1, s0, 31
	s_add_i32 s0, s0, s1
	s_lshl_b32 s0, s0, 1
	v_lshlrev_b32_e32 v1, 3, v0
	s_and_b32 s22, s0, -4
	v_cmp_gt_i32_e64 s[2:3], s7, v1
	v_mov_b32_e32 v2, 0
	v_mov_b32_e32 v3, 0
	;; [unrolled: 1-line block ×8, first 2 shown]
	s_and_saveexec_b64 s[0:1], s[2:3]
	s_cbranch_execz .LBB28_3
; %bb.2:
	s_load_dwordx2 s[20:21], s[4:5], 0x28
	s_load_dwordx2 s[24:25], s[4:5], 0x40
	s_and_b64 s[28:29], vcc, exec
	s_cselect_b32 s14, s17, s18
	s_mov_b32 s23, 0x20000
	s_waitcnt lgkmcnt(0)
	s_cselect_b32 s17, s21, s27
	s_cselect_b32 s19, s20, s26
	s_mul_hi_i32 s21, s14, s6
	s_mul_i32 s20, s14, s6
	s_lshl_b64 s[20:21], s[20:21], 1
	s_add_u32 s28, s19, s20
	s_addc_u32 s14, s17, s21
	s_and_b64 s[20:21], vcc, exec
	s_cselect_b32 s20, s24, s8
	s_cselect_b32 s17, s25, s9
	v_lshlrev_b32_e32 v10, 4, v0
	s_and_b32 s29, s14, 0xffff
	s_mov_b32 s30, s22
	s_mov_b32 s31, s23
	s_and_b32 s21, s17, 0xffff
	buffer_load_dwordx4 v[6:9], v10, s[28:31], 0 offen glc slc
	buffer_load_dwordx4 v[2:5], v10, s[20:23], 0 offen
.LBB28_3:
	s_or_b64 exec, exec, s[0:1]
	s_waitcnt vmcnt(1)
	v_cvt_f32_u32_sdwa v13, v6 dst_sel:DWORD dst_unused:UNUSED_PAD src0_sel:WORD_1
	v_cvt_f32_u32_sdwa v12, v6 dst_sel:DWORD dst_unused:UNUSED_PAD src0_sel:WORD_0
	v_cvt_f32_u32_sdwa v6, v9 dst_sel:DWORD dst_unused:UNUSED_PAD src0_sel:WORD_1
	v_cvt_f32_u32_sdwa v9, v9 dst_sel:DWORD dst_unused:UNUSED_PAD src0_sel:WORD_0
	;; [unrolled: 2-line block ×4, first 2 shown]
	v_cndmask_b32_e64 v13, 0, v13, s[2:3]
	v_cndmask_b32_e64 v7, 0, v6, s[2:3]
	;; [unrolled: 1-line block ×5, first 2 shown]
	v_mul_f32_e32 v14, v13, v13
	v_cndmask_b32_e64 v10, 0, v10, s[2:3]
	v_fmac_f32_e32 v14, v12, v12
	v_cndmask_b32_e64 v11, 0, v11, s[2:3]
	v_fmac_f32_e32 v14, v10, v10
	;; [unrolled: 2-line block ×3, first 2 shown]
	v_fmac_f32_e32 v14, v8, v8
	v_fmac_f32_e32 v14, v9, v9
	;; [unrolled: 1-line block ×4, first 2 shown]
	v_and_b32_e32 v16, 63, v0
	v_cmp_eq_u32_e64 s[0:1], 63, v16
	v_mov_b32_dpp v15, v14 quad_perm:[1,0,3,2] row_mask:0xf bank_mask:0xf
	v_add_f32_e32 v14, v14, v15
	s_nop 1
	v_mov_b32_dpp v15, v14 quad_perm:[2,3,0,1] row_mask:0xf bank_mask:0xf
	v_add_f32_e32 v14, v14, v15
	s_nop 1
	v_mov_b32_dpp v15, v14 row_half_mirror row_mask:0xf bank_mask:0xf
	v_add_f32_e32 v14, v14, v15
	s_nop 1
	v_mov_b32_dpp v15, v14 row_mirror row_mask:0xf bank_mask:0xf
	v_add_f32_e32 v14, v14, v15
	s_nop 1
	v_mov_b32_dpp v15, v14 row_bcast:15 row_mask:0xf bank_mask:0xf
	v_add_f32_e32 v14, v14, v15
	s_nop 1
	v_mov_b32_dpp v15, v14 row_bcast:31 row_mask:0xf bank_mask:0xf
	s_and_saveexec_b64 s[20:21], s[0:1]
	s_cbranch_execz .LBB28_5
; %bb.4:
	v_add_f32_e32 v14, v14, v15
	v_lshrrev_b32_e32 v15, 4, v0
	v_and_b32_e32 v15, 60, v15
	ds_write_b32 v15, v14 offset:16
.LBB28_5:
	s_or_b64 exec, exec, s[20:21]
	v_and_b32_e32 v14, 1, v0
	v_lshlrev_b32_e32 v14, 2, v14
	s_waitcnt lgkmcnt(0)
	s_barrier
	ds_read_b32 v15, v14 offset:16
	s_load_dwordx2 s[24:25], s[4:5], 0x18
	s_waitcnt lgkmcnt(0)
	v_mov_b32_dpp v16, v15 quad_perm:[1,0,3,2] row_mask:0xf bank_mask:0xf
	s_and_saveexec_b64 s[20:21], s[2:3]
	s_cbranch_execz .LBB28_7
; %bb.6:
	v_cvt_f32_u32_e32 v17, s7
	v_add_f32_e32 v15, v15, v16
	v_mov_b32_e32 v19, s13
	v_mov_b32_e32 v20, s12
	v_div_scale_f32 v16, s[28:29], v17, v17, v15
	v_rcp_f32_e32 v18, v16
	v_cndmask_b32_e32 v19, v19, v20, vcc
	s_mov_b32 s7, 0x800000
	v_fma_f32 v20, -v16, v18, 1.0
	v_fmac_f32_e32 v18, v20, v18
	v_div_scale_f32 v20, vcc, v15, v17, v15
	v_mul_f32_e32 v21, v20, v18
	v_fma_f32 v22, -v16, v21, v20
	v_fmac_f32_e32 v21, v22, v18
	v_fma_f32 v16, -v16, v21, v20
	v_div_fmas_f32 v16, v16, v18, v21
	v_div_fixup_f32 v15, v16, v17, v15
	v_add_f32_e32 v15, v19, v15
	v_mul_f32_e32 v16, 0x4b800000, v15
	v_cmp_gt_f32_e32 vcc, s7, v15
	v_cndmask_b32_e32 v15, v15, v16, vcc
	v_rsq_f32_e32 v15, v15
	s_waitcnt vmcnt(0)
	v_cvt_f32_u32_sdwa v19, v3 dst_sel:DWORD dst_unused:UNUSED_PAD src0_sel:WORD_1
	v_cvt_f32_u32_sdwa v18, v3 dst_sel:DWORD dst_unused:UNUSED_PAD src0_sel:WORD_0
	v_cvt_f32_u32_sdwa v3, v4 dst_sel:DWORD dst_unused:UNUSED_PAD src0_sel:WORD_1
	v_mul_f32_e32 v16, 0x45800000, v15
	v_cndmask_b32_e32 v16, v15, v16, vcc
	v_mov_b32_e32 v17, v16
	;;#ASMSTART
	v_pk_mul_f32 v[12:13], v[12:13], v[16:17]
	;;#ASMEND
	;;#ASMSTART
	v_pk_mul_f32 v[10:11], v[10:11], v[16:17]
	;;#ASMEND
	;; [unrolled: 3-line block ×4, first 2 shown]
	v_cvt_f32_u32_sdwa v17, v2 dst_sel:DWORD dst_unused:UNUSED_PAD src0_sel:WORD_1
	v_cvt_f32_u32_sdwa v16, v2 dst_sel:DWORD dst_unused:UNUSED_PAD src0_sel:WORD_0
	v_cvt_f32_u32_sdwa v2, v4 dst_sel:DWORD dst_unused:UNUSED_PAD src0_sel:WORD_0
	v_cvt_f32_u32_sdwa v21, v5 dst_sel:DWORD dst_unused:UNUSED_PAD src0_sel:WORD_1
	v_cvt_f32_u32_sdwa v20, v5 dst_sel:DWORD dst_unused:UNUSED_PAD src0_sel:WORD_0
	;;#ASMSTART
	v_pk_mul_f32 v[12:13], v[12:13], v[16:17]
	;;#ASMEND
	;;#ASMSTART
	v_pk_mul_f32 v[10:11], v[10:11], v[18:19]
	;;#ASMEND
	;; [unrolled: 3-line block ×4, first 2 shown]
.LBB28_7:
	s_or_b64 exec, exec, s[20:21]
	s_load_dwordx2 s[28:29], s[4:5], 0x7c
	s_mov_b64 s[20:21], -1
	s_and_b64 vcc, exec, s[10:11]
	s_cbranch_vccnz .LBB28_11
; %bb.8:
	s_andn2_b64 vcc, exec, s[20:21]
	s_cbranch_vccz .LBB28_14
.LBB28_9:
	s_cmp_lt_i32 s16, 1
	s_cbranch_scc0 .LBB28_25
.LBB28_10:
	s_endpgm
.LBB28_11:
	s_and_saveexec_b64 s[10:11], s[2:3]
	s_cbranch_execz .LBB28_13
; %bb.12:
	s_waitcnt lgkmcnt(0)
	s_mul_hi_i32 s21, s29, s6
	s_mul_i32 s20, s29, s6
	s_lshl_b64 s[20:21], s[20:21], 1
	s_add_u32 s20, s24, s20
	s_addc_u32 s7, s25, s21
	s_and_b32 s21, s7, 0xffff
	s_mov_b32 s7, 0x7060302
	s_mov_b32 s23, 0x20000
	s_waitcnt vmcnt(0)
	v_perm_b32 v2, v13, v12, s7
	v_perm_b32 v3, v11, v10, s7
	v_perm_b32 v4, v9, v8, s7
	v_perm_b32 v5, v7, v6, s7
	v_lshlrev_b32_e32 v15, 4, v0
	buffer_store_dwordx4 v[2:5], v15, s[20:23], 0 offen
	;;#ASMSTART
	s_nop 0
	;;#ASMEND
.LBB28_13:
	s_or_b64 exec, exec, s[10:11]
	s_cbranch_execnz .LBB28_9
.LBB28_14:
	s_waitcnt vmcnt(0)
	v_mov_b32_e32 v2, 0
	s_and_saveexec_b64 s[10:11], s[2:3]
	s_cbranch_execz .LBB28_16
; %bb.15:
	s_load_dwordx2 s[20:21], s[4:5], 0x10
	s_waitcnt lgkmcnt(0)
	s_mul_hi_i32 s31, s28, s6
	s_mul_i32 s30, s28, s6
	s_lshl_b64 s[30:31], s[30:31], 1
	s_mov_b32 s23, 0x20000
	s_add_u32 s20, s20, s30
	s_addc_u32 s7, s21, s31
	s_and_b32 s21, s7, 0xffff
	s_mov_b32 s7, 0x7060302
	v_perm_b32 v2, v13, v12, s7
	v_perm_b32 v3, v11, v10, s7
	;; [unrolled: 1-line block ×4, first 2 shown]
	v_lshlrev_b32_e32 v15, 4, v0
	buffer_store_dwordx4 v[2:5], v15, s[20:23], 0 offen
	;;#ASMSTART
	s_nop 0
	;;#ASMEND
	s_nop 0
	v_mov_b32_e32 v2, 0x2edbe6ff
.LBB28_16:
	s_or_b64 exec, exec, s[10:11]
	s_and_saveexec_b64 s[10:11], s[2:3]
	s_cbranch_execz .LBB28_18
; %bb.17:
	v_and_b32_e32 v3, 0x7fffffff, v12
	v_and_b32_e32 v4, 0x7fffffff, v13
	;;#ASMSTART
	v_max3_f32 v2, v2, v3, v4

	;;#ASMEND
	v_and_b32_e32 v3, 0x7fffffff, v10
	v_and_b32_e32 v4, 0x7fffffff, v11
	;;#ASMSTART
	v_max3_f32 v2, v2, v3, v4

	;;#ASMEND
	;; [unrolled: 6-line block ×4, first 2 shown]
.LBB28_18:
	s_or_b64 exec, exec, s[10:11]
	s_nop 0
	v_mov_b32_dpp v3, v2 quad_perm:[1,0,3,2] row_mask:0xf bank_mask:0xf
	v_cmp_gt_f32_e32 vcc, v2, v3
	v_cndmask_b32_e32 v2, v3, v2, vcc
	s_nop 1
	v_mov_b32_dpp v3, v2 quad_perm:[2,3,0,1] row_mask:0xf bank_mask:0xf
	v_cmp_gt_f32_e32 vcc, v2, v3
	v_cndmask_b32_e32 v2, v3, v2, vcc
	s_nop 1
	v_mov_b32_dpp v3, v2 row_half_mirror row_mask:0xf bank_mask:0xf
	v_cmp_gt_f32_e32 vcc, v2, v3
	v_cndmask_b32_e32 v2, v3, v2, vcc
	s_nop 1
	v_mov_b32_dpp v3, v2 row_mirror row_mask:0xf bank_mask:0xf
	v_cmp_gt_f32_e32 vcc, v2, v3
	v_cndmask_b32_e32 v2, v3, v2, vcc
	s_nop 1
	v_mov_b32_dpp v3, v2 row_bcast:15 row_mask:0xf bank_mask:0xf
	v_cmp_gt_f32_e32 vcc, v2, v3
	v_cndmask_b32_e32 v2, v3, v2, vcc
	s_nop 1
	v_mov_b32_dpp v3, v2 row_bcast:31 row_mask:0xf bank_mask:0xf
	s_and_saveexec_b64 s[10:11], s[0:1]
	s_cbranch_execz .LBB28_20
; %bb.19:
	v_cmp_gt_f32_e32 vcc, v2, v3
	v_cndmask_b32_e32 v2, v3, v2, vcc
	v_lshrrev_b32_e32 v3, 4, v0
	v_and_b32_e32 v3, 60, v3
	ds_write_b32 v3, v2
.LBB28_20:
	s_or_b64 exec, exec, s[10:11]
	s_waitcnt lgkmcnt(0)
	s_barrier
	ds_read_b32 v2, v14
	s_load_dwordx2 s[20:21], s[4:5], 0x70
	s_waitcnt lgkmcnt(0)
	v_mov_b32_dpp v3, v2 quad_perm:[1,0,3,2] row_mask:0xf bank_mask:0xf
	v_cmp_gt_f32_e32 vcc, v2, v3
	v_cndmask_b32_e32 v2, v3, v2, vcc
	v_mul_f32_e32 v2, 0x3b124925, v2
	v_cmp_eq_u32_e32 vcc, 0, v0
	s_and_saveexec_b64 s[10:11], vcc
	s_cbranch_execz .LBB28_22
; %bb.21:
	s_load_dwordx2 s[22:23], s[4:5], 0x8
	s_mul_hi_i32 s31, s21, s6
	s_mul_i32 s30, s21, s6
	s_lshl_b64 s[30:31], s[30:31], 2
	v_mov_b32_e32 v3, 0
	s_waitcnt lgkmcnt(0)
	s_add_u32 s22, s22, s30
	s_addc_u32 s23, s23, s31
	global_store_dword v3, v2, s[22:23]
.LBB28_22:
	s_or_b64 exec, exec, s[10:11]
	;;#ASMSTART
	v_rcp_f32 v2, v2
	;;#ASMEND
	s_and_saveexec_b64 s[10:11], s[2:3]
	s_cbranch_execz .LBB28_24
; %bb.23:
	s_load_dwordx2 s[2:3], s[4:5], 0x0
	s_mul_i32 s12, s20, s6
	v_mov_b32_e32 v3, v2
	;;#ASMSTART
	v_pk_mul_f32 v[4:5], v[12:13], v[2:3]
	;;#ASMEND
	s_mul_hi_i32 s7, s20, s6
	s_waitcnt lgkmcnt(0)
	s_add_u32 s20, s2, s12
	v_mov_b32_e32 v12, 0xc3e00000
	v_mov_b32_e32 v13, 0x43e00000
	;;#ASMSTART
	v_med3_f32 v4, v4, v12, v13
v_med3_f32 v5, v5, v12, v13
v_cvt_pk_fp8_f32 v15, v4, v5
	;;#ASMEND
	s_addc_u32 s2, s3, s7
	;;#ASMSTART
	v_pk_mul_f32 v[4:5], v[10:11], v[2:3]
	;;#ASMEND
	s_and_b32 s21, s2, 0xffff
	;;#ASMSTART
	v_med3_f32 v4, v4, v12, v13
v_med3_f32 v5, v5, v12, v13
v_cvt_pk_fp8_f32 v10, v4, v5
	;;#ASMEND
	s_mov_b32 s2, 0x5040100
	v_perm_b32 v5, v10, v15, s2
	s_movk_i32 s2, 0xff
	v_and_b32_e32 v4, 0xffffff00, v10
	v_and_b32_sdwa v10, v5, s2 dst_sel:DWORD dst_unused:UNUSED_PAD src0_sel:WORD_1 src1_sel:DWORD
	s_mov_b32 s14, 0xffff
	v_or_b32_sdwa v4, v10, v4 dst_sel:WORD_1 dst_unused:UNUSED_PAD src0_sel:DWORD src1_sel:DWORD
	s_add_i32 s3, s15, 3
	v_and_or_b32 v4, v5, s14, v4
	;;#ASMSTART
	v_pk_mul_f32 v[8:9], v[8:9], v[2:3]
	;;#ASMEND
	v_mov_b32_e32 v5, v8
	s_ashr_i32 s7, s3, 31
	;;#ASMSTART
	v_med3_f32 v5, v5, v12, v13
v_med3_f32 v9, v9, v12, v13
v_cvt_pk_fp8_f32 v8, v5, v9
	;;#ASMEND
	;;#ASMSTART
	v_pk_mul_f32 v[2:3], v[6:7], v[2:3]
	;;#ASMEND
	s_lshr_b32 s7, s7, 30
	;;#ASMSTART
	v_med3_f32 v2, v2, v12, v13
v_med3_f32 v3, v3, v12, v13
v_cvt_pk_fp8_f32 v5, v2, v3
	;;#ASMEND
	s_add_i32 s3, s3, s7
	v_lshlrev_b32_e32 v2, 16, v5
	s_and_b32 s22, s3, -4
	s_mov_b32 s23, 0x20000
	v_and_or_b32 v5, v8, s14, v2
	buffer_store_dwordx2 v[4:5], v1, s[20:23], 0 offen
	;;#ASMSTART
	s_nop 0
	;;#ASMEND
.LBB28_24:
	s_or_b64 exec, exec, s[10:11]
	s_cmp_lt_i32 s16, 1
	s_cbranch_scc1 .LBB28_10
.LBB28_25:
	s_load_dword s2, s[4:5], 0x94
	s_waitcnt lgkmcnt(0)
	s_cmp_lg_u32 s2, 1
	s_cbranch_scc1 .LBB28_10
; %bb.26:
	s_lshl_b32 s2, s16, 1
	s_add_i32 s2, s2, 2
	v_cmp_gt_u32_e32 vcc, s16, v1
	s_and_b32 s10, s2, -4
	v_mov_b32_e32 v6, 0
	v_lshlrev_b32_e32 v1, 4, v0
	v_mov_b32_e32 v7, 0
	v_mov_b32_e32 v8, 0
	;; [unrolled: 1-line block ×3, first 2 shown]
	s_waitcnt vmcnt(0)
	v_mov_b32_e32 v2, 0
	v_mov_b32_e32 v3, 0
	;; [unrolled: 1-line block ×4, first 2 shown]
	s_barrier
	s_and_saveexec_b64 s[2:3], vcc
	s_cbranch_execz .LBB28_28
; %bb.27:
	s_mul_hi_i32 s5, s18, s6
	s_mul_i32 s4, s18, s6
	s_and_b32 s9, s9, 0xffff
	s_lshl_b64 s[4:5], s[4:5], 1
	s_add_u32 s20, s26, s4
	s_mov_b32 s11, 0x20000
	s_addc_u32 s4, s27, s5
	s_and_b32 s21, s4, 0xffff
	s_mov_b32 s22, s10
	s_mov_b32 s23, s11
	buffer_load_dwordx4 v[6:9], v1, s[20:23], 0 offen glc slc
	buffer_load_dwordx4 v[2:5], v1, s[8:11], 0 offen
.LBB28_28:
	s_or_b64 exec, exec, s[2:3]
	s_waitcnt vmcnt(1)
	v_cvt_f32_u32_sdwa v13, v6 dst_sel:DWORD dst_unused:UNUSED_PAD src0_sel:WORD_1
	v_cvt_f32_u32_sdwa v12, v6 dst_sel:DWORD dst_unused:UNUSED_PAD src0_sel:WORD_0
	v_cvt_f32_u32_sdwa v6, v9 dst_sel:DWORD dst_unused:UNUSED_PAD src0_sel:WORD_1
	v_cvt_f32_u32_sdwa v9, v9 dst_sel:DWORD dst_unused:UNUSED_PAD src0_sel:WORD_0
	;; [unrolled: 2-line block ×4, first 2 shown]
	v_cndmask_b32_e32 v13, 0, v13, vcc
	v_cndmask_b32_e32 v7, 0, v6, vcc
	;; [unrolled: 1-line block ×5, first 2 shown]
	v_mul_f32_e32 v15, v13, v13
	v_cndmask_b32_e32 v10, 0, v10, vcc
	v_fmac_f32_e32 v15, v12, v12
	v_cndmask_b32_e32 v11, 0, v11, vcc
	v_fmac_f32_e32 v15, v10, v10
	;; [unrolled: 2-line block ×3, first 2 shown]
	v_fmac_f32_e32 v15, v8, v8
	v_fmac_f32_e32 v15, v9, v9
	;; [unrolled: 1-line block ×4, first 2 shown]
	s_nop 1
	v_mov_b32_dpp v16, v15 quad_perm:[1,0,3,2] row_mask:0xf bank_mask:0xf
	v_add_f32_e32 v15, v15, v16
	s_nop 1
	v_mov_b32_dpp v16, v15 quad_perm:[2,3,0,1] row_mask:0xf bank_mask:0xf
	v_add_f32_e32 v15, v15, v16
	s_nop 1
	v_mov_b32_dpp v16, v15 row_half_mirror row_mask:0xf bank_mask:0xf
	v_add_f32_e32 v15, v15, v16
	s_nop 1
	v_mov_b32_dpp v16, v15 row_mirror row_mask:0xf bank_mask:0xf
	v_add_f32_e32 v15, v15, v16
	s_nop 1
	v_mov_b32_dpp v16, v15 row_bcast:15 row_mask:0xf bank_mask:0xf
	v_add_f32_e32 v15, v15, v16
	s_nop 1
	v_mov_b32_dpp v16, v15 row_bcast:31 row_mask:0xf bank_mask:0xf
	s_and_saveexec_b64 s[2:3], s[0:1]
	s_cbranch_execz .LBB28_30
; %bb.29:
	v_lshrrev_b32_e32 v0, 4, v0
	v_add_f32_e32 v15, v15, v16
	v_and_b32_e32 v0, 60, v0
	ds_write_b32 v0, v15 offset:8
.LBB28_30:
	s_or_b64 exec, exec, s[2:3]
	s_waitcnt lgkmcnt(0)
	s_barrier
	ds_read_b32 v0, v14 offset:8
	s_waitcnt lgkmcnt(0)
	s_nop 0
	v_mov_b32_dpp v14, v0 quad_perm:[1,0,3,2] row_mask:0xf bank_mask:0xf
	s_and_saveexec_b64 s[0:1], vcc
	s_cbranch_execz .LBB28_10
; %bb.31:
	v_cvt_f32_u32_e32 v15, s16
	v_add_f32_e32 v0, v0, v14
	s_mov_b32 s11, 0x20000
	v_div_scale_f32 v14, s[0:1], v15, v15, v0
	v_rcp_f32_e32 v16, v14
	v_div_scale_f32 v17, vcc, v0, v15, v0
	s_mov_b32 s0, 0x800000
	v_fma_f32 v18, -v14, v16, 1.0
	v_fmac_f32_e32 v16, v18, v16
	v_mul_f32_e32 v18, v17, v16
	v_fma_f32 v19, -v14, v18, v17
	v_fmac_f32_e32 v18, v19, v16
	v_fma_f32 v14, -v14, v18, v17
	v_div_fmas_f32 v14, v14, v16, v18
	v_div_fixup_f32 v0, v14, v15, v0
	v_add_f32_e32 v0, s13, v0
	v_mul_f32_e32 v14, 0x4b800000, v0
	v_cmp_gt_f32_e32 vcc, s0, v0
	v_cndmask_b32_e32 v0, v0, v14, vcc
	v_rsq_f32_e32 v0, v0
	s_mul_hi_i32 s1, s29, s6
	s_mul_i32 s0, s29, s6
	s_lshl_b64 s[0:1], s[0:1], 1
	v_mul_f32_e32 v14, 0x45800000, v0
	v_cndmask_b32_e32 v14, v0, v14, vcc
	s_add_u32 s8, s24, s0
	v_mov_b32_e32 v15, v14
	s_addc_u32 s0, s25, s1
	;;#ASMSTART
	v_pk_mul_f32 v[12:13], v[12:13], v[14:15]
	;;#ASMEND
	;;#ASMSTART
	v_pk_mul_f32 v[10:11], v[10:11], v[14:15]
	;;#ASMEND
	;; [unrolled: 3-line block ×4, first 2 shown]
	s_waitcnt vmcnt(0)
	v_cvt_f32_u32_sdwa v15, v2 dst_sel:DWORD dst_unused:UNUSED_PAD src0_sel:WORD_1
	v_cvt_f32_u32_sdwa v14, v2 dst_sel:DWORD dst_unused:UNUSED_PAD src0_sel:WORD_0
	v_cvt_f32_u32_sdwa v17, v3 dst_sel:DWORD dst_unused:UNUSED_PAD src0_sel:WORD_1
	v_cvt_f32_u32_sdwa v16, v3 dst_sel:DWORD dst_unused:UNUSED_PAD src0_sel:WORD_0
	;; [unrolled: 2-line block ×4, first 2 shown]
	;;#ASMSTART
	v_pk_mul_f32 v[4:5], v[12:13], v[14:15]
	;;#ASMEND
	s_and_b32 s9, s0, 0xffff
	s_mov_b32 s0, 0x7060302
	;;#ASMSTART
	v_pk_mul_f32 v[10:11], v[10:11], v[16:17]
	;;#ASMEND
	;;#ASMSTART
	v_pk_mul_f32 v[8:9], v[8:9], v[2:3]
	;;#ASMEND
	;; [unrolled: 3-line block ×3, first 2 shown]
	v_perm_b32 v2, v5, v4, s0
	v_perm_b32 v3, v11, v10, s0
	;; [unrolled: 1-line block ×4, first 2 shown]
	buffer_store_dwordx4 v[2:5], v1, s[8:11], 0 offen
	;;#ASMSTART
	s_nop 0
	;;#ASMEND
	s_endpgm
	.section	.rodata,"a",@progbits
	.p2align	6, 0x0
	.amdhsa_kernel _ZN5aiter35fused_qk_rmsnorm_group_quant_kernelItDB8_Li128ELi8ELi1ELb0ELb1ELb0ELb0ELb1ELb1EEEvPT0_PvPT_S6_S6_PKS5_S8_S8_S8_S8_ffiiiiiiiiiiiii
		.amdhsa_group_segment_fixed_size 24
		.amdhsa_private_segment_fixed_size 0
		.amdhsa_kernarg_size 400
		.amdhsa_user_sgpr_count 6
		.amdhsa_user_sgpr_private_segment_buffer 1
		.amdhsa_user_sgpr_dispatch_ptr 0
		.amdhsa_user_sgpr_queue_ptr 0
		.amdhsa_user_sgpr_kernarg_segment_ptr 1
		.amdhsa_user_sgpr_dispatch_id 0
		.amdhsa_user_sgpr_flat_scratch_init 0
		.amdhsa_user_sgpr_kernarg_preload_length 0
		.amdhsa_user_sgpr_kernarg_preload_offset 0
		.amdhsa_user_sgpr_private_segment_size 0
		.amdhsa_uses_dynamic_stack 0
		.amdhsa_system_sgpr_private_segment_wavefront_offset 0
		.amdhsa_system_sgpr_workgroup_id_x 1
		.amdhsa_system_sgpr_workgroup_id_y 1
		.amdhsa_system_sgpr_workgroup_id_z 0
		.amdhsa_system_sgpr_workgroup_info 0
		.amdhsa_system_vgpr_workitem_id 0
		.amdhsa_next_free_vgpr 23
		.amdhsa_next_free_sgpr 32
		.amdhsa_accum_offset 24
		.amdhsa_reserve_vcc 1
		.amdhsa_reserve_flat_scratch 0
		.amdhsa_float_round_mode_32 0
		.amdhsa_float_round_mode_16_64 0
		.amdhsa_float_denorm_mode_32 3
		.amdhsa_float_denorm_mode_16_64 3
		.amdhsa_dx10_clamp 1
		.amdhsa_ieee_mode 1
		.amdhsa_fp16_overflow 0
		.amdhsa_tg_split 0
		.amdhsa_exception_fp_ieee_invalid_op 0
		.amdhsa_exception_fp_denorm_src 0
		.amdhsa_exception_fp_ieee_div_zero 0
		.amdhsa_exception_fp_ieee_overflow 0
		.amdhsa_exception_fp_ieee_underflow 0
		.amdhsa_exception_fp_ieee_inexact 0
		.amdhsa_exception_int_div_zero 0
	.end_amdhsa_kernel
	.section	.text._ZN5aiter35fused_qk_rmsnorm_group_quant_kernelItDB8_Li128ELi8ELi1ELb0ELb1ELb0ELb0ELb1ELb1EEEvPT0_PvPT_S6_S6_PKS5_S8_S8_S8_S8_ffiiiiiiiiiiiii,"axG",@progbits,_ZN5aiter35fused_qk_rmsnorm_group_quant_kernelItDB8_Li128ELi8ELi1ELb0ELb1ELb0ELb0ELb1ELb1EEEvPT0_PvPT_S6_S6_PKS5_S8_S8_S8_S8_ffiiiiiiiiiiiii,comdat
.Lfunc_end28:
	.size	_ZN5aiter35fused_qk_rmsnorm_group_quant_kernelItDB8_Li128ELi8ELi1ELb0ELb1ELb0ELb0ELb1ELb1EEEvPT0_PvPT_S6_S6_PKS5_S8_S8_S8_S8_ffiiiiiiiiiiiii, .Lfunc_end28-_ZN5aiter35fused_qk_rmsnorm_group_quant_kernelItDB8_Li128ELi8ELi1ELb0ELb1ELb0ELb0ELb1ELb1EEEvPT0_PvPT_S6_S6_PKS5_S8_S8_S8_S8_ffiiiiiiiiiiiii
                                        ; -- End function
	.section	.AMDGPU.csdata,"",@progbits
; Kernel info:
; codeLenInByte = 2704
; NumSgprs: 36
; NumVgprs: 23
; NumAgprs: 0
; TotalNumVgprs: 23
; ScratchSize: 0
; MemoryBound: 0
; FloatMode: 240
; IeeeMode: 1
; LDSByteSize: 24 bytes/workgroup (compile time only)
; SGPRBlocks: 4
; VGPRBlocks: 2
; NumSGPRsForWavesPerEU: 36
; NumVGPRsForWavesPerEU: 23
; AccumOffset: 24
; Occupancy: 8
; WaveLimiterHint : 0
; COMPUTE_PGM_RSRC2:SCRATCH_EN: 0
; COMPUTE_PGM_RSRC2:USER_SGPR: 6
; COMPUTE_PGM_RSRC2:TRAP_HANDLER: 0
; COMPUTE_PGM_RSRC2:TGID_X_EN: 1
; COMPUTE_PGM_RSRC2:TGID_Y_EN: 1
; COMPUTE_PGM_RSRC2:TGID_Z_EN: 0
; COMPUTE_PGM_RSRC2:TIDIG_COMP_CNT: 0
; COMPUTE_PGM_RSRC3_GFX90A:ACCUM_OFFSET: 5
; COMPUTE_PGM_RSRC3_GFX90A:TG_SPLIT: 0
	.section	.text._ZN5aiter35fused_qk_rmsnorm_group_quant_kernelIDF16_DB8_Li128ELi8ELi1ELb0ELb0ELb1ELb0ELb1ELb1EEEvPT0_PvPT_S6_S6_PKS5_S8_S8_S8_S8_ffiiiiiiiiiiiii,"axG",@progbits,_ZN5aiter35fused_qk_rmsnorm_group_quant_kernelIDF16_DB8_Li128ELi8ELi1ELb0ELb0ELb1ELb0ELb1ELb1EEEvPT0_PvPT_S6_S6_PKS5_S8_S8_S8_S8_ffiiiiiiiiiiiii,comdat
	.protected	_ZN5aiter35fused_qk_rmsnorm_group_quant_kernelIDF16_DB8_Li128ELi8ELi1ELb0ELb0ELb1ELb0ELb1ELb1EEEvPT0_PvPT_S6_S6_PKS5_S8_S8_S8_S8_ffiiiiiiiiiiiii ; -- Begin function _ZN5aiter35fused_qk_rmsnorm_group_quant_kernelIDF16_DB8_Li128ELi8ELi1ELb0ELb0ELb1ELb0ELb1ELb1EEEvPT0_PvPT_S6_S6_PKS5_S8_S8_S8_S8_ffiiiiiiiiiiiii
	.globl	_ZN5aiter35fused_qk_rmsnorm_group_quant_kernelIDF16_DB8_Li128ELi8ELi1ELb0ELb0ELb1ELb0ELb1ELb1EEEvPT0_PvPT_S6_S6_PKS5_S8_S8_S8_S8_ffiiiiiiiiiiiii
	.p2align	8
	.type	_ZN5aiter35fused_qk_rmsnorm_group_quant_kernelIDF16_DB8_Li128ELi8ELi1ELb0ELb0ELb1ELb0ELb1ELb1EEEvPT0_PvPT_S6_S6_PKS5_S8_S8_S8_S8_ffiiiiiiiiiiiii,@function
_ZN5aiter35fused_qk_rmsnorm_group_quant_kernelIDF16_DB8_Li128ELi8ELi1ELb0ELb0ELb1ELb0ELb1ELb1EEEvPT0_PvPT_S6_S6_PKS5_S8_S8_S8_S8_ffiiiiiiiiiiiii: ; @_ZN5aiter35fused_qk_rmsnorm_group_quant_kernelIDF16_DB8_Li128ELi8ELi1ELb0ELb0ELb1ELb0ELb1ELb1EEEvPT0_PvPT_S6_S6_PKS5_S8_S8_S8_S8_ffiiiiiiiiiiiii
; %bb.0:
	s_load_dwordx4 s[12:15], s[4:5], 0x50
	s_waitcnt lgkmcnt(0)
	s_cmp_ge_i32 s6, s14
	s_cbranch_scc1 .LBB29_12
; %bb.1:
	s_load_dwordx2 s[8:9], s[4:5], 0x48
	s_load_dwordx2 s[26:27], s[4:5], 0x30
	s_load_dwordx4 s[16:19], s[4:5], 0x60
	s_cmp_lg_u32 s7, 0
	s_cselect_b64 s[10:11], -1, 0
	s_cmp_eq_u32 s7, 0
	s_cselect_b64 vcc, -1, 0
	s_and_b64 s[0:1], vcc, exec
	s_waitcnt lgkmcnt(0)
	s_cselect_b32 s7, s15, s16
	s_add_i32 s0, s7, 1
	s_lshr_b32 s1, s0, 31
	s_add_i32 s0, s0, s1
	s_lshl_b32 s0, s0, 1
	v_lshlrev_b32_e32 v1, 3, v0
	s_and_b32 s22, s0, -4
	v_cmp_gt_i32_e64 s[2:3], s7, v1
	v_mov_b32_e32 v10, 0
	v_mov_b32_e32 v2, 0
	;; [unrolled: 1-line block ×9, first 2 shown]
	s_and_saveexec_b64 s[0:1], s[2:3]
	s_cbranch_execz .LBB29_3
; %bb.2:
	s_load_dwordx2 s[20:21], s[4:5], 0x28
	s_load_dwordx2 s[24:25], s[4:5], 0x40
	s_and_b64 s[28:29], vcc, exec
	s_cselect_b32 s14, s17, s18
	s_mov_b32 s23, 0x20000
	s_waitcnt lgkmcnt(0)
	s_cselect_b32 s17, s21, s27
	s_cselect_b32 s19, s20, s26
	s_mul_hi_i32 s21, s14, s6
	s_mul_i32 s20, s14, s6
	s_lshl_b64 s[20:21], s[20:21], 1
	s_add_u32 s28, s19, s20
	s_addc_u32 s14, s17, s21
	s_and_b64 s[20:21], vcc, exec
	s_cselect_b32 s20, s24, s8
	s_cselect_b32 s17, s25, s9
	v_lshlrev_b32_e32 v11, 4, v0
	s_and_b32 s29, s14, 0xffff
	s_mov_b32 s30, s22
	s_mov_b32 s31, s23
	s_and_b32 s21, s17, 0xffff
	buffer_load_dwordx4 v[6:9], v11, s[28:31], 0 offen glc slc
	buffer_load_dwordx4 v[2:5], v11, s[20:23], 0 offen
.LBB29_3:
	s_or_b64 exec, exec, s[0:1]
	v_mov_b32_e32 v11, 0
	v_mov_b32_e32 v16, 0
	;; [unrolled: 1-line block ×7, first 2 shown]
	s_and_saveexec_b64 s[0:1], s[2:3]
	s_cbranch_execz .LBB29_5
; %bb.4:
	s_waitcnt vmcnt(1)
	v_cvt_f32_f16_sdwa v11, v6 dst_sel:DWORD dst_unused:UNUSED_PAD src0_sel:WORD_1
	v_cvt_f32_f16_e32 v10, v6
	v_cvt_f32_f16_sdwa v17, v7 dst_sel:DWORD dst_unused:UNUSED_PAD src0_sel:WORD_1
	v_cvt_f32_f16_e32 v16, v7
	;; [unrolled: 2-line block ×4, first 2 shown]
.LBB29_5:
	s_or_b64 exec, exec, s[0:1]
	s_waitcnt vmcnt(1)
	v_mul_f32_e32 v6, v11, v11
	v_fmac_f32_e32 v6, v10, v10
	v_fmac_f32_e32 v6, v16, v16
	;; [unrolled: 1-line block ×7, first 2 shown]
	v_and_b32_e32 v8, 63, v0
	v_cmp_eq_u32_e64 s[0:1], 63, v8
	v_mov_b32_dpp v7, v6 quad_perm:[1,0,3,2] row_mask:0xf bank_mask:0xf
	v_add_f32_e32 v6, v6, v7
	s_nop 1
	v_mov_b32_dpp v7, v6 quad_perm:[2,3,0,1] row_mask:0xf bank_mask:0xf
	v_add_f32_e32 v6, v6, v7
	s_nop 1
	v_mov_b32_dpp v7, v6 row_half_mirror row_mask:0xf bank_mask:0xf
	v_add_f32_e32 v6, v6, v7
	s_nop 1
	v_mov_b32_dpp v7, v6 row_mirror row_mask:0xf bank_mask:0xf
	v_add_f32_e32 v6, v6, v7
	s_nop 1
	v_mov_b32_dpp v7, v6 row_bcast:15 row_mask:0xf bank_mask:0xf
	v_add_f32_e32 v6, v6, v7
	s_nop 1
	v_mov_b32_dpp v7, v6 row_bcast:31 row_mask:0xf bank_mask:0xf
	s_and_saveexec_b64 s[20:21], s[0:1]
	s_cbranch_execz .LBB29_7
; %bb.6:
	v_add_f32_e32 v6, v6, v7
	v_lshrrev_b32_e32 v7, 4, v0
	v_and_b32_e32 v7, 60, v7
	ds_write_b32 v7, v6 offset:16
.LBB29_7:
	s_or_b64 exec, exec, s[20:21]
	v_and_b32_e32 v6, 1, v0
	v_lshlrev_b32_e32 v18, 2, v6
	s_waitcnt lgkmcnt(0)
	s_barrier
	ds_read_b32 v6, v18 offset:16
	s_load_dwordx2 s[24:25], s[4:5], 0x18
	s_waitcnt lgkmcnt(0)
	v_mov_b32_dpp v7, v6 quad_perm:[1,0,3,2] row_mask:0xf bank_mask:0xf
	s_and_saveexec_b64 s[20:21], s[2:3]
	s_cbranch_execz .LBB29_9
; %bb.8:
	v_cvt_f32_u32_e32 v8, s7
	v_add_f32_e32 v6, v6, v7
	v_mov_b32_e32 v19, s13
	v_mov_b32_e32 v20, s12
	v_div_scale_f32 v7, s[28:29], v8, v8, v6
	v_rcp_f32_e32 v9, v7
	v_cndmask_b32_e32 v19, v19, v20, vcc
	s_mov_b32 s7, 0x800000
	v_fma_f32 v20, -v7, v9, 1.0
	v_fmac_f32_e32 v9, v20, v9
	v_div_scale_f32 v20, vcc, v6, v8, v6
	v_mul_f32_e32 v21, v20, v9
	v_fma_f32 v22, -v7, v21, v20
	v_fmac_f32_e32 v21, v22, v9
	v_fma_f32 v7, -v7, v21, v20
	v_div_fmas_f32 v7, v7, v9, v21
	v_div_fixup_f32 v6, v7, v8, v6
	v_add_f32_e32 v6, v19, v6
	v_mul_f32_e32 v7, 0x4b800000, v6
	v_cmp_gt_f32_e32 vcc, s7, v6
	v_cndmask_b32_e32 v6, v6, v7, vcc
	v_rsq_f32_e32 v6, v6
	s_waitcnt vmcnt(0)
	v_cvt_f32_f16_sdwa v21, v3 dst_sel:DWORD dst_unused:UNUSED_PAD src0_sel:WORD_1
	v_cvt_f32_f16_e32 v20, v3
	v_mul_f32_e32 v7, 0x45800000, v6
	v_cndmask_b32_e32 v6, v6, v7, vcc
	v_mov_b32_e32 v7, v6
	;;#ASMSTART
	v_pk_mul_f32 v[8:9], v[10:11], v[6:7]
	;;#ASMEND
	v_cvt_f32_f16_sdwa v11, v2 dst_sel:DWORD dst_unused:UNUSED_PAD src0_sel:WORD_1
	v_cvt_f32_f16_e32 v10, v2
	;;#ASMSTART
	v_pk_mul_f32 v[16:17], v[16:17], v[6:7]
	;;#ASMEND
	;;#ASMSTART
	v_pk_mul_f32 v[14:15], v[14:15], v[6:7]
	;;#ASMEND
	;; [unrolled: 3-line block ×3, first 2 shown]
	v_pk_add_f32 v[6:7], v[10:11], 1.0 op_sel_hi:[1,0]
	;;#ASMSTART
	v_pk_mul_f32 v[10:11], v[8:9], v[6:7]
	;;#ASMEND
	v_cvt_f32_f16_sdwa v9, v4 dst_sel:DWORD dst_unused:UNUSED_PAD src0_sel:WORD_1
	v_cvt_f32_f16_e32 v8, v4
	v_cvt_f32_f16_sdwa v13, v5 dst_sel:DWORD dst_unused:UNUSED_PAD src0_sel:WORD_1
	v_cvt_f32_f16_e32 v12, v5
	v_pk_add_f32 v[6:7], v[20:21], 1.0 op_sel_hi:[1,0]
	v_pk_add_f32 v[4:5], v[8:9], 1.0 op_sel_hi:[1,0]
	;;#ASMSTART
	v_pk_mul_f32 v[16:17], v[16:17], v[6:7]
	;;#ASMEND
	;;#ASMSTART
	v_pk_mul_f32 v[14:15], v[14:15], v[4:5]
	;;#ASMEND
	v_pk_add_f32 v[4:5], v[12:13], 1.0 op_sel_hi:[1,0]
	;;#ASMSTART
	v_pk_mul_f32 v[12:13], v[2:3], v[4:5]
	;;#ASMEND
.LBB29_9:
	s_or_b64 exec, exec, s[20:21]
	s_load_dword s7, s[4:5], 0x80
	s_mov_b64 s[20:21], -1
	s_and_b64 vcc, exec, s[10:11]
	s_cbranch_vccnz .LBB29_13
; %bb.10:
	s_andn2_b64 vcc, exec, s[20:21]
	s_cbranch_vccz .LBB29_16
.LBB29_11:
	s_cmp_lt_i32 s16, 1
	s_cbranch_scc0 .LBB29_25
.LBB29_12:
	s_endpgm
.LBB29_13:
	s_and_saveexec_b64 s[10:11], s[2:3]
	s_cbranch_execz .LBB29_15
; %bb.14:
	s_waitcnt lgkmcnt(0)
	s_mul_hi_i32 s21, s7, s6
	s_mul_i32 s20, s7, s6
	s_waitcnt vmcnt(0)
	v_cvt_f16_f32_e32 v2, v10
	v_cvt_f16_f32_e32 v3, v16
	;; [unrolled: 1-line block ×8, first 2 shown]
	s_lshl_b64 s[20:21], s[20:21], 1
	s_add_u32 s20, s24, s20
	s_addc_u32 s12, s25, s21
	s_and_b32 s21, s12, 0xffff
	s_mov_b32 s23, 0x20000
	v_pack_b32_f16 v5, v5, v6
	v_pack_b32_f16 v4, v4, v7
	;; [unrolled: 1-line block ×4, first 2 shown]
	v_lshlrev_b32_e32 v6, 4, v0
	buffer_store_dwordx4 v[2:5], v6, s[20:23], 0 offen
	;;#ASMSTART
	s_nop 0
	;;#ASMEND
.LBB29_15:
	s_or_b64 exec, exec, s[10:11]
	s_cbranch_execnz .LBB29_11
.LBB29_16:
	s_waitcnt vmcnt(0)
	v_mov_b32_e32 v2, 0
	s_and_saveexec_b64 s[10:11], s[2:3]
	s_cbranch_execz .LBB29_18
; %bb.17:
	v_and_b32_e32 v2, 0x7fffffff, v10
	v_and_b32_e32 v3, 0x7fffffff, v11
	v_mov_b32_e32 v4, 0x2edbe6ff
	;;#ASMSTART
	v_max3_f32 v2, v4, v2, v3

	;;#ASMEND
	v_and_b32_e32 v3, 0x7fffffff, v16
	v_and_b32_e32 v4, 0x7fffffff, v17
	;;#ASMSTART
	v_max3_f32 v2, v2, v3, v4

	;;#ASMEND
	v_and_b32_e32 v3, 0x7fffffff, v14
	v_and_b32_e32 v4, 0x7fffffff, v15
	;; [unrolled: 6-line block ×3, first 2 shown]
	;;#ASMSTART
	v_max3_f32 v2, v2, v3, v4

	;;#ASMEND
.LBB29_18:
	s_or_b64 exec, exec, s[10:11]
	s_nop 0
	v_mov_b32_dpp v3, v2 quad_perm:[1,0,3,2] row_mask:0xf bank_mask:0xf
	v_cmp_gt_f32_e32 vcc, v2, v3
	v_cndmask_b32_e32 v2, v3, v2, vcc
	s_nop 1
	v_mov_b32_dpp v3, v2 quad_perm:[2,3,0,1] row_mask:0xf bank_mask:0xf
	v_cmp_gt_f32_e32 vcc, v2, v3
	v_cndmask_b32_e32 v2, v3, v2, vcc
	s_nop 1
	v_mov_b32_dpp v3, v2 row_half_mirror row_mask:0xf bank_mask:0xf
	v_cmp_gt_f32_e32 vcc, v2, v3
	v_cndmask_b32_e32 v2, v3, v2, vcc
	s_nop 1
	v_mov_b32_dpp v3, v2 row_mirror row_mask:0xf bank_mask:0xf
	v_cmp_gt_f32_e32 vcc, v2, v3
	v_cndmask_b32_e32 v2, v3, v2, vcc
	s_nop 1
	v_mov_b32_dpp v3, v2 row_bcast:15 row_mask:0xf bank_mask:0xf
	v_cmp_gt_f32_e32 vcc, v2, v3
	v_cndmask_b32_e32 v2, v3, v2, vcc
	s_nop 1
	v_mov_b32_dpp v3, v2 row_bcast:31 row_mask:0xf bank_mask:0xf
	s_and_saveexec_b64 s[10:11], s[0:1]
	s_cbranch_execz .LBB29_20
; %bb.19:
	v_cmp_gt_f32_e32 vcc, v2, v3
	v_cndmask_b32_e32 v2, v3, v2, vcc
	v_lshrrev_b32_e32 v3, 4, v0
	v_and_b32_e32 v3, 60, v3
	ds_write_b32 v3, v2
.LBB29_20:
	s_or_b64 exec, exec, s[10:11]
	s_waitcnt lgkmcnt(0)
	s_barrier
	ds_read_b32 v2, v18
	s_load_dwordx2 s[20:21], s[4:5], 0x70
	s_waitcnt lgkmcnt(0)
	v_mov_b32_dpp v3, v2 quad_perm:[1,0,3,2] row_mask:0xf bank_mask:0xf
	v_cmp_gt_f32_e32 vcc, v2, v3
	v_cndmask_b32_e32 v2, v3, v2, vcc
	v_mul_f32_e32 v2, 0x3b124925, v2
	v_cmp_eq_u32_e32 vcc, 0, v0
	s_and_saveexec_b64 s[10:11], vcc
	s_cbranch_execz .LBB29_22
; %bb.21:
	s_load_dwordx2 s[22:23], s[4:5], 0x8
	s_mul_hi_i32 s29, s21, s6
	s_mul_i32 s28, s21, s6
	s_lshl_b64 s[28:29], s[28:29], 2
	v_mov_b32_e32 v3, 0
	s_waitcnt lgkmcnt(0)
	s_add_u32 s22, s22, s28
	s_addc_u32 s23, s23, s29
	global_store_dword v3, v2, s[22:23]
.LBB29_22:
	s_or_b64 exec, exec, s[10:11]
	;;#ASMSTART
	v_rcp_f32 v2, v2
	;;#ASMEND
	s_and_saveexec_b64 s[10:11], s[2:3]
	s_cbranch_execz .LBB29_24
; %bb.23:
	s_load_dwordx2 s[2:3], s[4:5], 0x0
	s_mul_i32 s14, s20, s6
	v_mov_b32_e32 v3, v2
	;;#ASMSTART
	v_pk_mul_f32 v[4:5], v[10:11], v[2:3]
	;;#ASMEND
	s_mul_hi_i32 s12, s20, s6
	s_waitcnt lgkmcnt(0)
	s_add_u32 s20, s2, s14
	v_mov_b32_e32 v8, 0xc3e00000
	v_mov_b32_e32 v9, 0x43e00000
	;;#ASMSTART
	v_med3_f32 v4, v4, v8, v9
v_med3_f32 v5, v5, v8, v9
v_cvt_pk_fp8_f32 v6, v4, v5
	;;#ASMEND
	s_addc_u32 s2, s3, s12
	;;#ASMSTART
	v_pk_mul_f32 v[4:5], v[16:17], v[2:3]
	;;#ASMEND
	s_and_b32 s21, s2, 0xffff
	;;#ASMSTART
	v_med3_f32 v4, v4, v8, v9
v_med3_f32 v5, v5, v8, v9
v_cvt_pk_fp8_f32 v7, v4, v5
	;;#ASMEND
	s_mov_b32 s2, 0x5040100
	v_perm_b32 v5, v7, v6, s2
	s_movk_i32 s2, 0xff
	v_and_b32_e32 v4, 0xffffff00, v7
	v_and_b32_sdwa v6, v5, s2 dst_sel:DWORD dst_unused:UNUSED_PAD src0_sel:WORD_1 src1_sel:DWORD
	s_mov_b32 s17, 0xffff
	v_or_b32_sdwa v4, v6, v4 dst_sel:WORD_1 dst_unused:UNUSED_PAD src0_sel:DWORD src1_sel:DWORD
	s_add_i32 s3, s15, 3
	v_and_or_b32 v4, v5, s17, v4
	;;#ASMSTART
	v_pk_mul_f32 v[6:7], v[14:15], v[2:3]
	;;#ASMEND
	v_mov_b32_e32 v5, v7
	s_ashr_i32 s12, s3, 31
	;;#ASMSTART
	v_med3_f32 v6, v6, v8, v9
v_med3_f32 v5, v5, v8, v9
v_cvt_pk_fp8_f32 v7, v6, v5
	;;#ASMEND
	;;#ASMSTART
	v_pk_mul_f32 v[2:3], v[12:13], v[2:3]
	;;#ASMEND
	s_lshr_b32 s12, s12, 30
	;;#ASMSTART
	v_med3_f32 v2, v2, v8, v9
v_med3_f32 v3, v3, v8, v9
v_cvt_pk_fp8_f32 v5, v2, v3
	;;#ASMEND
	s_add_i32 s3, s3, s12
	v_lshlrev_b32_e32 v2, 16, v5
	s_and_b32 s22, s3, -4
	s_mov_b32 s23, 0x20000
	v_and_or_b32 v5, v7, s17, v2
	buffer_store_dwordx2 v[4:5], v1, s[20:23], 0 offen
	;;#ASMSTART
	s_nop 0
	;;#ASMEND
.LBB29_24:
	s_or_b64 exec, exec, s[10:11]
	s_cmp_lt_i32 s16, 1
	s_cbranch_scc1 .LBB29_12
.LBB29_25:
	s_load_dword s2, s[4:5], 0x94
	s_waitcnt lgkmcnt(0)
	s_cmp_lg_u32 s2, 1
	s_cbranch_scc1 .LBB29_12
; %bb.26:
	s_lshl_b32 s2, s16, 1
	s_add_i32 s2, s2, 2
	v_cmp_gt_u32_e32 vcc, s16, v1
	s_and_b32 s10, s2, -4
	v_mov_b32_e32 v10, 0
	v_lshlrev_b32_e32 v1, 4, v0
	v_mov_b32_e32 v6, 0
	v_mov_b32_e32 v7, 0
	;; [unrolled: 1-line block ×4, first 2 shown]
	s_waitcnt vmcnt(0)
	v_mov_b32_e32 v2, 0
	v_mov_b32_e32 v3, 0
	;; [unrolled: 1-line block ×4, first 2 shown]
	s_barrier
	s_and_saveexec_b64 s[2:3], vcc
	s_cbranch_execz .LBB29_28
; %bb.27:
	s_mul_hi_i32 s5, s18, s6
	s_mul_i32 s4, s18, s6
	s_and_b32 s9, s9, 0xffff
	s_lshl_b64 s[4:5], s[4:5], 1
	s_add_u32 s20, s26, s4
	s_mov_b32 s11, 0x20000
	s_addc_u32 s4, s27, s5
	s_and_b32 s21, s4, 0xffff
	s_mov_b32 s22, s10
	s_mov_b32 s23, s11
	buffer_load_dwordx4 v[6:9], v1, s[20:23], 0 offen glc slc
	buffer_load_dwordx4 v[2:5], v1, s[8:11], 0 offen
.LBB29_28:
	s_or_b64 exec, exec, s[2:3]
	v_mov_b32_e32 v11, 0
	v_mov_b32_e32 v16, 0
	;; [unrolled: 1-line block ×7, first 2 shown]
	s_and_saveexec_b64 s[2:3], vcc
	s_cbranch_execz .LBB29_30
; %bb.29:
	s_waitcnt vmcnt(1)
	v_cvt_f32_f16_sdwa v11, v6 dst_sel:DWORD dst_unused:UNUSED_PAD src0_sel:WORD_1
	v_cvt_f32_f16_e32 v10, v6
	v_cvt_f32_f16_sdwa v17, v7 dst_sel:DWORD dst_unused:UNUSED_PAD src0_sel:WORD_1
	v_cvt_f32_f16_e32 v16, v7
	;; [unrolled: 2-line block ×4, first 2 shown]
.LBB29_30:
	s_or_b64 exec, exec, s[2:3]
	s_waitcnt vmcnt(1)
	v_mul_f32_e32 v6, v11, v11
	v_fmac_f32_e32 v6, v10, v10
	v_fmac_f32_e32 v6, v16, v16
	;; [unrolled: 1-line block ×7, first 2 shown]
	s_nop 1
	v_mov_b32_dpp v7, v6 quad_perm:[1,0,3,2] row_mask:0xf bank_mask:0xf
	v_add_f32_e32 v6, v6, v7
	s_nop 1
	v_mov_b32_dpp v7, v6 quad_perm:[2,3,0,1] row_mask:0xf bank_mask:0xf
	v_add_f32_e32 v6, v6, v7
	s_nop 1
	v_mov_b32_dpp v7, v6 row_half_mirror row_mask:0xf bank_mask:0xf
	v_add_f32_e32 v6, v6, v7
	s_nop 1
	v_mov_b32_dpp v7, v6 row_mirror row_mask:0xf bank_mask:0xf
	v_add_f32_e32 v6, v6, v7
	s_nop 1
	v_mov_b32_dpp v7, v6 row_bcast:15 row_mask:0xf bank_mask:0xf
	v_add_f32_e32 v6, v6, v7
	s_nop 1
	v_mov_b32_dpp v7, v6 row_bcast:31 row_mask:0xf bank_mask:0xf
	s_and_saveexec_b64 s[2:3], s[0:1]
	s_cbranch_execz .LBB29_32
; %bb.31:
	v_lshrrev_b32_e32 v0, 4, v0
	v_add_f32_e32 v6, v6, v7
	v_and_b32_e32 v0, 60, v0
	ds_write_b32 v0, v6 offset:8
.LBB29_32:
	s_or_b64 exec, exec, s[2:3]
	s_waitcnt lgkmcnt(0)
	s_barrier
	ds_read_b32 v0, v18 offset:8
	s_waitcnt lgkmcnt(0)
	s_nop 0
	v_mov_b32_dpp v6, v0 quad_perm:[1,0,3,2] row_mask:0xf bank_mask:0xf
	s_and_saveexec_b64 s[0:1], vcc
	s_cbranch_execz .LBB29_12
; %bb.33:
	v_cvt_f32_u32_e32 v7, s16
	v_add_f32_e32 v0, v0, v6
	s_mov_b32 s11, 0x20000
	v_div_scale_f32 v6, s[0:1], v7, v7, v0
	v_rcp_f32_e32 v8, v6
	v_div_scale_f32 v9, vcc, v0, v7, v0
	s_mov_b32 s0, 0x800000
	v_fma_f32 v18, -v6, v8, 1.0
	v_fmac_f32_e32 v8, v18, v8
	v_mul_f32_e32 v18, v9, v8
	v_fma_f32 v19, -v6, v18, v9
	v_fmac_f32_e32 v18, v19, v8
	v_fma_f32 v6, -v6, v18, v9
	v_div_fmas_f32 v6, v6, v8, v18
	v_div_fixup_f32 v0, v6, v7, v0
	v_add_f32_e32 v0, s13, v0
	v_mul_f32_e32 v6, 0x4b800000, v0
	v_cmp_gt_f32_e32 vcc, s0, v0
	v_cndmask_b32_e32 v0, v0, v6, vcc
	v_rsq_f32_e32 v0, v0
	s_waitcnt vmcnt(0)
	v_cvt_f32_f16_sdwa v19, v3 dst_sel:DWORD dst_unused:UNUSED_PAD src0_sel:WORD_1
	v_cvt_f32_f16_e32 v18, v3
	s_mul_hi_i32 s1, s7, s6
	v_mul_f32_e32 v6, 0x45800000, v0
	v_cndmask_b32_e32 v6, v0, v6, vcc
	v_mov_b32_e32 v7, v6
	;;#ASMSTART
	v_pk_mul_f32 v[8:9], v[10:11], v[6:7]
	;;#ASMEND
	;;#ASMSTART
	v_pk_mul_f32 v[10:11], v[16:17], v[6:7]
	;;#ASMEND
	v_cvt_f32_f16_sdwa v17, v2 dst_sel:DWORD dst_unused:UNUSED_PAD src0_sel:WORD_1
	v_cvt_f32_f16_e32 v16, v2
	;;#ASMSTART
	v_pk_mul_f32 v[14:15], v[14:15], v[6:7]
	;;#ASMEND
	;;#ASMSTART
	v_pk_mul_f32 v[2:3], v[12:13], v[6:7]
	;;#ASMEND
	v_cvt_f32_f16_sdwa v13, v4 dst_sel:DWORD dst_unused:UNUSED_PAD src0_sel:WORD_1
	v_cvt_f32_f16_e32 v12, v4
	v_pk_add_f32 v[6:7], v[16:17], 1.0 op_sel_hi:[1,0]
	v_cvt_f32_f16_sdwa v17, v5 dst_sel:DWORD dst_unused:UNUSED_PAD src0_sel:WORD_1
	v_cvt_f32_f16_e32 v16, v5
	;;#ASMSTART
	v_pk_mul_f32 v[6:7], v[8:9], v[6:7]
	;;#ASMEND
	v_pk_add_f32 v[8:9], v[18:19], 1.0 op_sel_hi:[1,0]
	;;#ASMSTART
	v_pk_mul_f32 v[4:5], v[10:11], v[8:9]
	;;#ASMEND
	v_pk_add_f32 v[8:9], v[12:13], 1.0 op_sel_hi:[1,0]
	;; [unrolled: 4-line block ×3, first 2 shown]
	;;#ASMSTART
	v_pk_mul_f32 v[2:3], v[2:3], v[10:11]
	;;#ASMEND
	s_mul_i32 s0, s7, s6
	v_cvt_f16_f32_e32 v0, v6
	v_cvt_f16_f32_e32 v6, v7
	;; [unrolled: 1-line block ×8, first 2 shown]
	s_lshl_b64 s[0:1], s[0:1], 1
	s_add_u32 s8, s24, s0
	s_addc_u32 s0, s25, s1
	s_and_b32 s9, s0, 0xffff
	v_pack_b32_f16 v2, v0, v6
	v_pack_b32_f16 v3, v4, v5
	;; [unrolled: 1-line block ×4, first 2 shown]
	buffer_store_dwordx4 v[2:5], v1, s[8:11], 0 offen
	;;#ASMSTART
	s_nop 0
	;;#ASMEND
	s_endpgm
	.section	.rodata,"a",@progbits
	.p2align	6, 0x0
	.amdhsa_kernel _ZN5aiter35fused_qk_rmsnorm_group_quant_kernelIDF16_DB8_Li128ELi8ELi1ELb0ELb0ELb1ELb0ELb1ELb1EEEvPT0_PvPT_S6_S6_PKS5_S8_S8_S8_S8_ffiiiiiiiiiiiii
		.amdhsa_group_segment_fixed_size 24
		.amdhsa_private_segment_fixed_size 0
		.amdhsa_kernarg_size 400
		.amdhsa_user_sgpr_count 6
		.amdhsa_user_sgpr_private_segment_buffer 1
		.amdhsa_user_sgpr_dispatch_ptr 0
		.amdhsa_user_sgpr_queue_ptr 0
		.amdhsa_user_sgpr_kernarg_segment_ptr 1
		.amdhsa_user_sgpr_dispatch_id 0
		.amdhsa_user_sgpr_flat_scratch_init 0
		.amdhsa_user_sgpr_kernarg_preload_length 0
		.amdhsa_user_sgpr_kernarg_preload_offset 0
		.amdhsa_user_sgpr_private_segment_size 0
		.amdhsa_uses_dynamic_stack 0
		.amdhsa_system_sgpr_private_segment_wavefront_offset 0
		.amdhsa_system_sgpr_workgroup_id_x 1
		.amdhsa_system_sgpr_workgroup_id_y 1
		.amdhsa_system_sgpr_workgroup_id_z 0
		.amdhsa_system_sgpr_workgroup_info 0
		.amdhsa_system_vgpr_workitem_id 0
		.amdhsa_next_free_vgpr 23
		.amdhsa_next_free_sgpr 32
		.amdhsa_accum_offset 24
		.amdhsa_reserve_vcc 1
		.amdhsa_reserve_flat_scratch 0
		.amdhsa_float_round_mode_32 0
		.amdhsa_float_round_mode_16_64 0
		.amdhsa_float_denorm_mode_32 3
		.amdhsa_float_denorm_mode_16_64 3
		.amdhsa_dx10_clamp 1
		.amdhsa_ieee_mode 1
		.amdhsa_fp16_overflow 0
		.amdhsa_tg_split 0
		.amdhsa_exception_fp_ieee_invalid_op 0
		.amdhsa_exception_fp_denorm_src 0
		.amdhsa_exception_fp_ieee_div_zero 0
		.amdhsa_exception_fp_ieee_overflow 0
		.amdhsa_exception_fp_ieee_underflow 0
		.amdhsa_exception_fp_ieee_inexact 0
		.amdhsa_exception_int_div_zero 0
	.end_amdhsa_kernel
	.section	.text._ZN5aiter35fused_qk_rmsnorm_group_quant_kernelIDF16_DB8_Li128ELi8ELi1ELb0ELb0ELb1ELb0ELb1ELb1EEEvPT0_PvPT_S6_S6_PKS5_S8_S8_S8_S8_ffiiiiiiiiiiiii,"axG",@progbits,_ZN5aiter35fused_qk_rmsnorm_group_quant_kernelIDF16_DB8_Li128ELi8ELi1ELb0ELb0ELb1ELb0ELb1ELb1EEEvPT0_PvPT_S6_S6_PKS5_S8_S8_S8_S8_ffiiiiiiiiiiiii,comdat
.Lfunc_end29:
	.size	_ZN5aiter35fused_qk_rmsnorm_group_quant_kernelIDF16_DB8_Li128ELi8ELi1ELb0ELb0ELb1ELb0ELb1ELb1EEEvPT0_PvPT_S6_S6_PKS5_S8_S8_S8_S8_ffiiiiiiiiiiiii, .Lfunc_end29-_ZN5aiter35fused_qk_rmsnorm_group_quant_kernelIDF16_DB8_Li128ELi8ELi1ELb0ELb0ELb1ELb0ELb1ELb1EEEvPT0_PvPT_S6_S6_PKS5_S8_S8_S8_S8_ffiiiiiiiiiiiii
                                        ; -- End function
	.section	.AMDGPU.csdata,"",@progbits
; Kernel info:
; codeLenInByte = 2628
; NumSgprs: 36
; NumVgprs: 23
; NumAgprs: 0
; TotalNumVgprs: 23
; ScratchSize: 0
; MemoryBound: 0
; FloatMode: 240
; IeeeMode: 1
; LDSByteSize: 24 bytes/workgroup (compile time only)
; SGPRBlocks: 4
; VGPRBlocks: 2
; NumSGPRsForWavesPerEU: 36
; NumVGPRsForWavesPerEU: 23
; AccumOffset: 24
; Occupancy: 8
; WaveLimiterHint : 0
; COMPUTE_PGM_RSRC2:SCRATCH_EN: 0
; COMPUTE_PGM_RSRC2:USER_SGPR: 6
; COMPUTE_PGM_RSRC2:TRAP_HANDLER: 0
; COMPUTE_PGM_RSRC2:TGID_X_EN: 1
; COMPUTE_PGM_RSRC2:TGID_Y_EN: 1
; COMPUTE_PGM_RSRC2:TGID_Z_EN: 0
; COMPUTE_PGM_RSRC2:TIDIG_COMP_CNT: 0
; COMPUTE_PGM_RSRC3_GFX90A:ACCUM_OFFSET: 5
; COMPUTE_PGM_RSRC3_GFX90A:TG_SPLIT: 0
	.section	.text._ZN5aiter35fused_qk_rmsnorm_group_quant_kernelItDB8_Li128ELi8ELi1ELb0ELb0ELb1ELb0ELb1ELb1EEEvPT0_PvPT_S6_S6_PKS5_S8_S8_S8_S8_ffiiiiiiiiiiiii,"axG",@progbits,_ZN5aiter35fused_qk_rmsnorm_group_quant_kernelItDB8_Li128ELi8ELi1ELb0ELb0ELb1ELb0ELb1ELb1EEEvPT0_PvPT_S6_S6_PKS5_S8_S8_S8_S8_ffiiiiiiiiiiiii,comdat
	.protected	_ZN5aiter35fused_qk_rmsnorm_group_quant_kernelItDB8_Li128ELi8ELi1ELb0ELb0ELb1ELb0ELb1ELb1EEEvPT0_PvPT_S6_S6_PKS5_S8_S8_S8_S8_ffiiiiiiiiiiiii ; -- Begin function _ZN5aiter35fused_qk_rmsnorm_group_quant_kernelItDB8_Li128ELi8ELi1ELb0ELb0ELb1ELb0ELb1ELb1EEEvPT0_PvPT_S6_S6_PKS5_S8_S8_S8_S8_ffiiiiiiiiiiiii
	.globl	_ZN5aiter35fused_qk_rmsnorm_group_quant_kernelItDB8_Li128ELi8ELi1ELb0ELb0ELb1ELb0ELb1ELb1EEEvPT0_PvPT_S6_S6_PKS5_S8_S8_S8_S8_ffiiiiiiiiiiiii
	.p2align	8
	.type	_ZN5aiter35fused_qk_rmsnorm_group_quant_kernelItDB8_Li128ELi8ELi1ELb0ELb0ELb1ELb0ELb1ELb1EEEvPT0_PvPT_S6_S6_PKS5_S8_S8_S8_S8_ffiiiiiiiiiiiii,@function
_ZN5aiter35fused_qk_rmsnorm_group_quant_kernelItDB8_Li128ELi8ELi1ELb0ELb0ELb1ELb0ELb1ELb1EEEvPT0_PvPT_S6_S6_PKS5_S8_S8_S8_S8_ffiiiiiiiiiiiii: ; @_ZN5aiter35fused_qk_rmsnorm_group_quant_kernelItDB8_Li128ELi8ELi1ELb0ELb0ELb1ELb0ELb1ELb1EEEvPT0_PvPT_S6_S6_PKS5_S8_S8_S8_S8_ffiiiiiiiiiiiii
; %bb.0:
	s_load_dwordx4 s[12:15], s[4:5], 0x50
	s_waitcnt lgkmcnt(0)
	s_cmp_ge_i32 s6, s14
	s_cbranch_scc1 .LBB30_10
; %bb.1:
	s_load_dwordx2 s[8:9], s[4:5], 0x48
	s_load_dwordx2 s[26:27], s[4:5], 0x30
	s_load_dwordx4 s[16:19], s[4:5], 0x60
	s_cmp_lg_u32 s7, 0
	s_cselect_b64 s[10:11], -1, 0
	s_cmp_eq_u32 s7, 0
	s_cselect_b64 vcc, -1, 0
	s_and_b64 s[0:1], vcc, exec
	s_waitcnt lgkmcnt(0)
	s_cselect_b32 s7, s15, s16
	s_add_i32 s0, s7, 1
	s_lshr_b32 s1, s0, 31
	s_add_i32 s0, s0, s1
	s_lshl_b32 s0, s0, 1
	v_lshlrev_b32_e32 v1, 3, v0
	s_and_b32 s22, s0, -4
	v_cmp_gt_i32_e64 s[2:3], s7, v1
	v_mov_b32_e32 v2, 0
	v_mov_b32_e32 v3, 0
	;; [unrolled: 1-line block ×8, first 2 shown]
	s_and_saveexec_b64 s[0:1], s[2:3]
	s_cbranch_execz .LBB30_3
; %bb.2:
	s_load_dwordx2 s[20:21], s[4:5], 0x28
	s_load_dwordx2 s[24:25], s[4:5], 0x40
	s_and_b64 s[28:29], vcc, exec
	s_cselect_b32 s14, s17, s18
	s_mov_b32 s23, 0x20000
	s_waitcnt lgkmcnt(0)
	s_cselect_b32 s17, s21, s27
	s_cselect_b32 s19, s20, s26
	s_mul_hi_i32 s21, s14, s6
	s_mul_i32 s20, s14, s6
	s_lshl_b64 s[20:21], s[20:21], 1
	s_add_u32 s28, s19, s20
	s_addc_u32 s14, s17, s21
	s_and_b64 s[20:21], vcc, exec
	s_cselect_b32 s20, s24, s8
	s_cselect_b32 s17, s25, s9
	v_lshlrev_b32_e32 v10, 4, v0
	s_and_b32 s29, s14, 0xffff
	s_mov_b32 s30, s22
	s_mov_b32 s31, s23
	s_and_b32 s21, s17, 0xffff
	buffer_load_dwordx4 v[6:9], v10, s[28:31], 0 offen glc slc
	buffer_load_dwordx4 v[2:5], v10, s[20:23], 0 offen
.LBB30_3:
	s_or_b64 exec, exec, s[0:1]
	s_waitcnt vmcnt(1)
	v_cvt_f32_u32_sdwa v13, v6 dst_sel:DWORD dst_unused:UNUSED_PAD src0_sel:WORD_1
	v_cvt_f32_u32_sdwa v12, v6 dst_sel:DWORD dst_unused:UNUSED_PAD src0_sel:WORD_0
	v_cvt_f32_u32_sdwa v6, v9 dst_sel:DWORD dst_unused:UNUSED_PAD src0_sel:WORD_1
	v_cvt_f32_u32_sdwa v9, v9 dst_sel:DWORD dst_unused:UNUSED_PAD src0_sel:WORD_0
	;; [unrolled: 2-line block ×4, first 2 shown]
	v_cndmask_b32_e64 v13, 0, v13, s[2:3]
	v_cndmask_b32_e64 v7, 0, v6, s[2:3]
	;; [unrolled: 1-line block ×5, first 2 shown]
	v_mul_f32_e32 v14, v13, v13
	v_cndmask_b32_e64 v10, 0, v10, s[2:3]
	v_fmac_f32_e32 v14, v12, v12
	v_cndmask_b32_e64 v11, 0, v11, s[2:3]
	v_fmac_f32_e32 v14, v10, v10
	;; [unrolled: 2-line block ×3, first 2 shown]
	v_fmac_f32_e32 v14, v8, v8
	v_fmac_f32_e32 v14, v9, v9
	;; [unrolled: 1-line block ×4, first 2 shown]
	v_and_b32_e32 v16, 63, v0
	v_cmp_eq_u32_e64 s[0:1], 63, v16
	v_mov_b32_dpp v15, v14 quad_perm:[1,0,3,2] row_mask:0xf bank_mask:0xf
	v_add_f32_e32 v14, v14, v15
	s_nop 1
	v_mov_b32_dpp v15, v14 quad_perm:[2,3,0,1] row_mask:0xf bank_mask:0xf
	v_add_f32_e32 v14, v14, v15
	s_nop 1
	v_mov_b32_dpp v15, v14 row_half_mirror row_mask:0xf bank_mask:0xf
	v_add_f32_e32 v14, v14, v15
	s_nop 1
	v_mov_b32_dpp v15, v14 row_mirror row_mask:0xf bank_mask:0xf
	v_add_f32_e32 v14, v14, v15
	s_nop 1
	v_mov_b32_dpp v15, v14 row_bcast:15 row_mask:0xf bank_mask:0xf
	v_add_f32_e32 v14, v14, v15
	s_nop 1
	v_mov_b32_dpp v15, v14 row_bcast:31 row_mask:0xf bank_mask:0xf
	s_and_saveexec_b64 s[20:21], s[0:1]
	s_cbranch_execz .LBB30_5
; %bb.4:
	v_add_f32_e32 v14, v14, v15
	v_lshrrev_b32_e32 v15, 4, v0
	v_and_b32_e32 v15, 60, v15
	ds_write_b32 v15, v14 offset:16
.LBB30_5:
	s_or_b64 exec, exec, s[20:21]
	v_and_b32_e32 v14, 1, v0
	v_lshlrev_b32_e32 v14, 2, v14
	s_waitcnt lgkmcnt(0)
	s_barrier
	ds_read_b32 v15, v14 offset:16
	s_load_dwordx2 s[24:25], s[4:5], 0x18
	s_waitcnt lgkmcnt(0)
	v_mov_b32_dpp v16, v15 quad_perm:[1,0,3,2] row_mask:0xf bank_mask:0xf
	s_and_saveexec_b64 s[20:21], s[2:3]
	s_cbranch_execz .LBB30_7
; %bb.6:
	v_cvt_f32_u32_e32 v17, s7
	v_add_f32_e32 v15, v15, v16
	v_mov_b32_e32 v19, s13
	v_mov_b32_e32 v20, s12
	v_div_scale_f32 v16, s[28:29], v17, v17, v15
	v_rcp_f32_e32 v18, v16
	v_cndmask_b32_e32 v19, v19, v20, vcc
	s_mov_b32 s7, 0x800000
	v_fma_f32 v20, -v16, v18, 1.0
	v_fmac_f32_e32 v18, v20, v18
	v_div_scale_f32 v20, vcc, v15, v17, v15
	v_mul_f32_e32 v21, v20, v18
	v_fma_f32 v22, -v16, v21, v20
	v_fmac_f32_e32 v21, v22, v18
	v_fma_f32 v16, -v16, v21, v20
	v_div_fmas_f32 v16, v16, v18, v21
	v_div_fixup_f32 v15, v16, v17, v15
	v_add_f32_e32 v15, v19, v15
	v_mul_f32_e32 v16, 0x4b800000, v15
	v_cmp_gt_f32_e32 vcc, s7, v15
	v_cndmask_b32_e32 v15, v15, v16, vcc
	v_rsq_f32_e32 v15, v15
	s_waitcnt vmcnt(0)
	v_cvt_f32_u32_sdwa v19, v2 dst_sel:DWORD dst_unused:UNUSED_PAD src0_sel:WORD_1
	v_cvt_f32_u32_sdwa v18, v2 dst_sel:DWORD dst_unused:UNUSED_PAD src0_sel:WORD_0
	v_cvt_f32_u32_sdwa v21, v3 dst_sel:DWORD dst_unused:UNUSED_PAD src0_sel:WORD_1
	v_mul_f32_e32 v16, 0x45800000, v15
	v_cndmask_b32_e32 v16, v15, v16, vcc
	v_mov_b32_e32 v17, v16
	;;#ASMSTART
	v_pk_mul_f32 v[12:13], v[12:13], v[16:17]
	;;#ASMEND
	;;#ASMSTART
	v_pk_mul_f32 v[10:11], v[10:11], v[16:17]
	;;#ASMEND
	;; [unrolled: 3-line block ×3, first 2 shown]
	v_cvt_f32_u32_sdwa v20, v3 dst_sel:DWORD dst_unused:UNUSED_PAD src0_sel:WORD_0
	;;#ASMSTART
	v_pk_mul_f32 v[2:3], v[6:7], v[16:17]
	;;#ASMEND
	v_cvt_f32_u32_sdwa v17, v4 dst_sel:DWORD dst_unused:UNUSED_PAD src0_sel:WORD_1
	v_cvt_f32_u32_sdwa v16, v4 dst_sel:DWORD dst_unused:UNUSED_PAD src0_sel:WORD_0
	v_pk_add_f32 v[6:7], v[18:19], 1.0 op_sel_hi:[1,0]
	v_cvt_f32_u32_sdwa v19, v5 dst_sel:DWORD dst_unused:UNUSED_PAD src0_sel:WORD_1
	v_cvt_f32_u32_sdwa v18, v5 dst_sel:DWORD dst_unused:UNUSED_PAD src0_sel:WORD_0
	;;#ASMSTART
	v_pk_mul_f32 v[12:13], v[12:13], v[6:7]
	;;#ASMEND
	v_pk_add_f32 v[6:7], v[20:21], 1.0 op_sel_hi:[1,0]
	v_pk_add_f32 v[4:5], v[16:17], 1.0 op_sel_hi:[1,0]
	;;#ASMSTART
	v_pk_mul_f32 v[10:11], v[10:11], v[6:7]
	;;#ASMEND
	;;#ASMSTART
	v_pk_mul_f32 v[8:9], v[8:9], v[4:5]
	;;#ASMEND
	v_pk_add_f32 v[4:5], v[18:19], 1.0 op_sel_hi:[1,0]
	;;#ASMSTART
	v_pk_mul_f32 v[6:7], v[2:3], v[4:5]
	;;#ASMEND
.LBB30_7:
	s_or_b64 exec, exec, s[20:21]
	s_load_dword s7, s[4:5], 0x80
	s_mov_b64 s[20:21], -1
	s_and_b64 vcc, exec, s[10:11]
	s_cbranch_vccnz .LBB30_11
; %bb.8:
	s_andn2_b64 vcc, exec, s[20:21]
	s_cbranch_vccz .LBB30_14
.LBB30_9:
	s_cmp_lt_i32 s16, 1
	s_cbranch_scc0 .LBB30_23
.LBB30_10:
	s_endpgm
.LBB30_11:
	s_and_saveexec_b64 s[10:11], s[2:3]
	s_cbranch_execz .LBB30_13
; %bb.12:
	s_waitcnt lgkmcnt(0)
	s_mul_hi_i32 s21, s7, s6
	s_mul_i32 s20, s7, s6
	s_lshl_b64 s[20:21], s[20:21], 1
	s_add_u32 s20, s24, s20
	s_addc_u32 s12, s25, s21
	s_and_b32 s21, s12, 0xffff
	s_mov_b32 s12, 0x7060302
	s_mov_b32 s23, 0x20000
	s_waitcnt vmcnt(0)
	v_perm_b32 v2, v13, v12, s12
	v_perm_b32 v3, v11, v10, s12
	;; [unrolled: 1-line block ×4, first 2 shown]
	v_lshlrev_b32_e32 v15, 4, v0
	buffer_store_dwordx4 v[2:5], v15, s[20:23], 0 offen
	;;#ASMSTART
	s_nop 0
	;;#ASMEND
.LBB30_13:
	s_or_b64 exec, exec, s[10:11]
	s_cbranch_execnz .LBB30_9
.LBB30_14:
	s_waitcnt vmcnt(0)
	v_mov_b32_e32 v2, 0
	s_and_saveexec_b64 s[10:11], s[2:3]
	s_cbranch_execz .LBB30_16
; %bb.15:
	v_and_b32_e32 v2, 0x7fffffff, v12
	v_and_b32_e32 v3, 0x7fffffff, v13
	v_mov_b32_e32 v4, 0x2edbe6ff
	;;#ASMSTART
	v_max3_f32 v2, v4, v2, v3

	;;#ASMEND
	v_and_b32_e32 v3, 0x7fffffff, v10
	v_and_b32_e32 v4, 0x7fffffff, v11
	;;#ASMSTART
	v_max3_f32 v2, v2, v3, v4

	;;#ASMEND
	v_and_b32_e32 v3, 0x7fffffff, v8
	v_and_b32_e32 v4, 0x7fffffff, v9
	;; [unrolled: 6-line block ×3, first 2 shown]
	;;#ASMSTART
	v_max3_f32 v2, v2, v3, v4

	;;#ASMEND
.LBB30_16:
	s_or_b64 exec, exec, s[10:11]
	s_nop 0
	v_mov_b32_dpp v3, v2 quad_perm:[1,0,3,2] row_mask:0xf bank_mask:0xf
	v_cmp_gt_f32_e32 vcc, v2, v3
	v_cndmask_b32_e32 v2, v3, v2, vcc
	s_nop 1
	v_mov_b32_dpp v3, v2 quad_perm:[2,3,0,1] row_mask:0xf bank_mask:0xf
	v_cmp_gt_f32_e32 vcc, v2, v3
	v_cndmask_b32_e32 v2, v3, v2, vcc
	s_nop 1
	v_mov_b32_dpp v3, v2 row_half_mirror row_mask:0xf bank_mask:0xf
	v_cmp_gt_f32_e32 vcc, v2, v3
	v_cndmask_b32_e32 v2, v3, v2, vcc
	s_nop 1
	v_mov_b32_dpp v3, v2 row_mirror row_mask:0xf bank_mask:0xf
	v_cmp_gt_f32_e32 vcc, v2, v3
	v_cndmask_b32_e32 v2, v3, v2, vcc
	s_nop 1
	v_mov_b32_dpp v3, v2 row_bcast:15 row_mask:0xf bank_mask:0xf
	v_cmp_gt_f32_e32 vcc, v2, v3
	v_cndmask_b32_e32 v2, v3, v2, vcc
	s_nop 1
	v_mov_b32_dpp v3, v2 row_bcast:31 row_mask:0xf bank_mask:0xf
	s_and_saveexec_b64 s[10:11], s[0:1]
	s_cbranch_execz .LBB30_18
; %bb.17:
	v_cmp_gt_f32_e32 vcc, v2, v3
	v_cndmask_b32_e32 v2, v3, v2, vcc
	v_lshrrev_b32_e32 v3, 4, v0
	v_and_b32_e32 v3, 60, v3
	ds_write_b32 v3, v2
.LBB30_18:
	s_or_b64 exec, exec, s[10:11]
	s_waitcnt lgkmcnt(0)
	s_barrier
	ds_read_b32 v2, v14
	s_load_dwordx2 s[20:21], s[4:5], 0x70
	s_waitcnt lgkmcnt(0)
	v_mov_b32_dpp v3, v2 quad_perm:[1,0,3,2] row_mask:0xf bank_mask:0xf
	v_cmp_gt_f32_e32 vcc, v2, v3
	v_cndmask_b32_e32 v2, v3, v2, vcc
	v_mul_f32_e32 v2, 0x3b124925, v2
	v_cmp_eq_u32_e32 vcc, 0, v0
	s_and_saveexec_b64 s[10:11], vcc
	s_cbranch_execz .LBB30_20
; %bb.19:
	s_load_dwordx2 s[22:23], s[4:5], 0x8
	s_mul_hi_i32 s29, s21, s6
	s_mul_i32 s28, s21, s6
	s_lshl_b64 s[28:29], s[28:29], 2
	v_mov_b32_e32 v3, 0
	s_waitcnt lgkmcnt(0)
	s_add_u32 s22, s22, s28
	s_addc_u32 s23, s23, s29
	global_store_dword v3, v2, s[22:23]
.LBB30_20:
	s_or_b64 exec, exec, s[10:11]
	;;#ASMSTART
	v_rcp_f32 v2, v2
	;;#ASMEND
	s_and_saveexec_b64 s[10:11], s[2:3]
	s_cbranch_execz .LBB30_22
; %bb.21:
	s_load_dwordx2 s[2:3], s[4:5], 0x0
	s_mul_i32 s14, s20, s6
	v_mov_b32_e32 v3, v2
	;;#ASMSTART
	v_pk_mul_f32 v[4:5], v[12:13], v[2:3]
	;;#ASMEND
	s_mul_hi_i32 s12, s20, s6
	s_waitcnt lgkmcnt(0)
	s_add_u32 s20, s2, s14
	v_mov_b32_e32 v12, 0xc3e00000
	v_mov_b32_e32 v13, 0x43e00000
	;;#ASMSTART
	v_med3_f32 v4, v4, v12, v13
v_med3_f32 v5, v5, v12, v13
v_cvt_pk_fp8_f32 v15, v4, v5
	;;#ASMEND
	s_addc_u32 s2, s3, s12
	;;#ASMSTART
	v_pk_mul_f32 v[4:5], v[10:11], v[2:3]
	;;#ASMEND
	s_and_b32 s21, s2, 0xffff
	;;#ASMSTART
	v_med3_f32 v4, v4, v12, v13
v_med3_f32 v5, v5, v12, v13
v_cvt_pk_fp8_f32 v10, v4, v5
	;;#ASMEND
	s_mov_b32 s2, 0x5040100
	v_perm_b32 v5, v10, v15, s2
	s_movk_i32 s2, 0xff
	v_and_b32_e32 v4, 0xffffff00, v10
	v_and_b32_sdwa v10, v5, s2 dst_sel:DWORD dst_unused:UNUSED_PAD src0_sel:WORD_1 src1_sel:DWORD
	s_mov_b32 s17, 0xffff
	v_or_b32_sdwa v4, v10, v4 dst_sel:WORD_1 dst_unused:UNUSED_PAD src0_sel:DWORD src1_sel:DWORD
	s_add_i32 s3, s15, 3
	v_and_or_b32 v4, v5, s17, v4
	;;#ASMSTART
	v_pk_mul_f32 v[8:9], v[8:9], v[2:3]
	;;#ASMEND
	v_mov_b32_e32 v5, v9
	s_ashr_i32 s12, s3, 31
	;;#ASMSTART
	v_med3_f32 v8, v8, v12, v13
v_med3_f32 v5, v5, v12, v13
v_cvt_pk_fp8_f32 v9, v8, v5
	;;#ASMEND
	;;#ASMSTART
	v_pk_mul_f32 v[2:3], v[6:7], v[2:3]
	;;#ASMEND
	s_lshr_b32 s12, s12, 30
	;;#ASMSTART
	v_med3_f32 v2, v2, v12, v13
v_med3_f32 v3, v3, v12, v13
v_cvt_pk_fp8_f32 v5, v2, v3
	;;#ASMEND
	s_add_i32 s3, s3, s12
	v_lshlrev_b32_e32 v2, 16, v5
	s_and_b32 s22, s3, -4
	s_mov_b32 s23, 0x20000
	v_and_or_b32 v5, v9, s17, v2
	buffer_store_dwordx2 v[4:5], v1, s[20:23], 0 offen
	;;#ASMSTART
	s_nop 0
	;;#ASMEND
.LBB30_22:
	s_or_b64 exec, exec, s[10:11]
	s_cmp_lt_i32 s16, 1
	s_cbranch_scc1 .LBB30_10
.LBB30_23:
	s_load_dword s2, s[4:5], 0x94
	s_waitcnt lgkmcnt(0)
	s_cmp_lg_u32 s2, 1
	s_cbranch_scc1 .LBB30_10
; %bb.24:
	s_lshl_b32 s2, s16, 1
	s_add_i32 s2, s2, 2
	v_cmp_gt_u32_e32 vcc, s16, v1
	s_and_b32 s10, s2, -4
	v_mov_b32_e32 v6, 0
	v_lshlrev_b32_e32 v1, 4, v0
	v_mov_b32_e32 v7, 0
	v_mov_b32_e32 v8, 0
	;; [unrolled: 1-line block ×3, first 2 shown]
	s_waitcnt vmcnt(0)
	v_mov_b32_e32 v2, 0
	v_mov_b32_e32 v3, 0
	;; [unrolled: 1-line block ×4, first 2 shown]
	s_barrier
	s_and_saveexec_b64 s[2:3], vcc
	s_cbranch_execz .LBB30_26
; %bb.25:
	s_mul_hi_i32 s5, s18, s6
	s_mul_i32 s4, s18, s6
	s_and_b32 s9, s9, 0xffff
	s_lshl_b64 s[4:5], s[4:5], 1
	s_add_u32 s20, s26, s4
	s_mov_b32 s11, 0x20000
	s_addc_u32 s4, s27, s5
	s_and_b32 s21, s4, 0xffff
	s_mov_b32 s22, s10
	s_mov_b32 s23, s11
	buffer_load_dwordx4 v[6:9], v1, s[20:23], 0 offen glc slc
	buffer_load_dwordx4 v[2:5], v1, s[8:11], 0 offen
.LBB30_26:
	s_or_b64 exec, exec, s[2:3]
	s_waitcnt vmcnt(1)
	v_cvt_f32_u32_sdwa v13, v6 dst_sel:DWORD dst_unused:UNUSED_PAD src0_sel:WORD_1
	v_cvt_f32_u32_sdwa v12, v6 dst_sel:DWORD dst_unused:UNUSED_PAD src0_sel:WORD_0
	v_cvt_f32_u32_sdwa v6, v9 dst_sel:DWORD dst_unused:UNUSED_PAD src0_sel:WORD_1
	v_cvt_f32_u32_sdwa v9, v9 dst_sel:DWORD dst_unused:UNUSED_PAD src0_sel:WORD_0
	;; [unrolled: 2-line block ×4, first 2 shown]
	v_cndmask_b32_e32 v13, 0, v13, vcc
	v_cndmask_b32_e32 v7, 0, v6, vcc
	;; [unrolled: 1-line block ×5, first 2 shown]
	v_mul_f32_e32 v15, v13, v13
	v_cndmask_b32_e32 v10, 0, v10, vcc
	v_fmac_f32_e32 v15, v12, v12
	v_cndmask_b32_e32 v11, 0, v11, vcc
	v_fmac_f32_e32 v15, v10, v10
	;; [unrolled: 2-line block ×3, first 2 shown]
	v_fmac_f32_e32 v15, v8, v8
	v_fmac_f32_e32 v15, v9, v9
	;; [unrolled: 1-line block ×4, first 2 shown]
	s_nop 1
	v_mov_b32_dpp v16, v15 quad_perm:[1,0,3,2] row_mask:0xf bank_mask:0xf
	v_add_f32_e32 v15, v15, v16
	s_nop 1
	v_mov_b32_dpp v16, v15 quad_perm:[2,3,0,1] row_mask:0xf bank_mask:0xf
	v_add_f32_e32 v15, v15, v16
	s_nop 1
	v_mov_b32_dpp v16, v15 row_half_mirror row_mask:0xf bank_mask:0xf
	v_add_f32_e32 v15, v15, v16
	s_nop 1
	v_mov_b32_dpp v16, v15 row_mirror row_mask:0xf bank_mask:0xf
	v_add_f32_e32 v15, v15, v16
	s_nop 1
	v_mov_b32_dpp v16, v15 row_bcast:15 row_mask:0xf bank_mask:0xf
	v_add_f32_e32 v15, v15, v16
	s_nop 1
	v_mov_b32_dpp v16, v15 row_bcast:31 row_mask:0xf bank_mask:0xf
	s_and_saveexec_b64 s[2:3], s[0:1]
	s_cbranch_execz .LBB30_28
; %bb.27:
	v_lshrrev_b32_e32 v0, 4, v0
	v_add_f32_e32 v15, v15, v16
	v_and_b32_e32 v0, 60, v0
	ds_write_b32 v0, v15 offset:8
.LBB30_28:
	s_or_b64 exec, exec, s[2:3]
	s_waitcnt lgkmcnt(0)
	s_barrier
	ds_read_b32 v0, v14 offset:8
	s_waitcnt lgkmcnt(0)
	s_nop 0
	v_mov_b32_dpp v14, v0 quad_perm:[1,0,3,2] row_mask:0xf bank_mask:0xf
	s_and_saveexec_b64 s[0:1], vcc
	s_cbranch_execz .LBB30_10
; %bb.29:
	v_cvt_f32_u32_e32 v15, s16
	v_add_f32_e32 v0, v0, v14
	s_mov_b32 s11, 0x20000
	v_div_scale_f32 v14, s[0:1], v15, v15, v0
	v_rcp_f32_e32 v16, v14
	v_div_scale_f32 v17, vcc, v0, v15, v0
	s_mov_b32 s0, 0x800000
	v_fma_f32 v18, -v14, v16, 1.0
	v_fmac_f32_e32 v16, v18, v16
	v_mul_f32_e32 v18, v17, v16
	v_fma_f32 v19, -v14, v18, v17
	v_fmac_f32_e32 v18, v19, v16
	v_fma_f32 v14, -v14, v18, v17
	v_div_fmas_f32 v14, v14, v16, v18
	v_div_fixup_f32 v0, v14, v15, v0
	v_add_f32_e32 v0, s13, v0
	v_mul_f32_e32 v14, 0x4b800000, v0
	v_cmp_gt_f32_e32 vcc, s0, v0
	v_cndmask_b32_e32 v0, v0, v14, vcc
	v_rsq_f32_e32 v0, v0
	s_waitcnt vmcnt(0)
	v_cvt_f32_u32_sdwa v17, v2 dst_sel:DWORD dst_unused:UNUSED_PAD src0_sel:WORD_1
	v_cvt_f32_u32_sdwa v16, v2 dst_sel:DWORD dst_unused:UNUSED_PAD src0_sel:WORD_0
	v_cvt_f32_u32_sdwa v19, v3 dst_sel:DWORD dst_unused:UNUSED_PAD src0_sel:WORD_1
	v_mul_f32_e32 v14, 0x45800000, v0
	v_cndmask_b32_e32 v14, v0, v14, vcc
	v_mov_b32_e32 v15, v14
	;;#ASMSTART
	v_pk_mul_f32 v[12:13], v[12:13], v[14:15]
	;;#ASMEND
	;;#ASMSTART
	v_pk_mul_f32 v[10:11], v[10:11], v[14:15]
	;;#ASMEND
	;; [unrolled: 3-line block ×3, first 2 shown]
	v_cvt_f32_u32_sdwa v18, v3 dst_sel:DWORD dst_unused:UNUSED_PAD src0_sel:WORD_0
	;;#ASMSTART
	v_pk_mul_f32 v[2:3], v[6:7], v[14:15]
	;;#ASMEND
	v_cvt_f32_u32_sdwa v15, v4 dst_sel:DWORD dst_unused:UNUSED_PAD src0_sel:WORD_1
	v_cvt_f32_u32_sdwa v14, v4 dst_sel:DWORD dst_unused:UNUSED_PAD src0_sel:WORD_0
	v_pk_add_f32 v[6:7], v[16:17], 1.0 op_sel_hi:[1,0]
	v_cvt_f32_u32_sdwa v17, v5 dst_sel:DWORD dst_unused:UNUSED_PAD src0_sel:WORD_1
	v_cvt_f32_u32_sdwa v16, v5 dst_sel:DWORD dst_unused:UNUSED_PAD src0_sel:WORD_0
	s_mul_hi_i32 s1, s7, s6
	s_mul_i32 s0, s7, s6
	s_lshl_b64 s[0:1], s[0:1], 1
	s_add_u32 s8, s24, s0
	;;#ASMSTART
	v_pk_mul_f32 v[6:7], v[12:13], v[6:7]
	;;#ASMEND
	v_pk_add_f32 v[12:13], v[18:19], 1.0 op_sel_hi:[1,0]
	;;#ASMSTART
	v_pk_mul_f32 v[4:5], v[10:11], v[12:13]
	;;#ASMEND
	v_pk_add_f32 v[10:11], v[14:15], 1.0 op_sel_hi:[1,0]
	s_addc_u32 s0, s25, s1
	;;#ASMSTART
	v_pk_mul_f32 v[8:9], v[8:9], v[10:11]
	;;#ASMEND
	v_pk_add_f32 v[10:11], v[16:17], 1.0 op_sel_hi:[1,0]
	s_and_b32 s9, s0, 0xffff
	s_mov_b32 s0, 0x7060302
	;;#ASMSTART
	v_pk_mul_f32 v[10:11], v[2:3], v[10:11]
	;;#ASMEND
	v_perm_b32 v2, v7, v6, s0
	v_perm_b32 v3, v5, v4, s0
	;; [unrolled: 1-line block ×4, first 2 shown]
	buffer_store_dwordx4 v[2:5], v1, s[8:11], 0 offen
	;;#ASMSTART
	s_nop 0
	;;#ASMEND
	s_endpgm
	.section	.rodata,"a",@progbits
	.p2align	6, 0x0
	.amdhsa_kernel _ZN5aiter35fused_qk_rmsnorm_group_quant_kernelItDB8_Li128ELi8ELi1ELb0ELb0ELb1ELb0ELb1ELb1EEEvPT0_PvPT_S6_S6_PKS5_S8_S8_S8_S8_ffiiiiiiiiiiiii
		.amdhsa_group_segment_fixed_size 24
		.amdhsa_private_segment_fixed_size 0
		.amdhsa_kernarg_size 400
		.amdhsa_user_sgpr_count 6
		.amdhsa_user_sgpr_private_segment_buffer 1
		.amdhsa_user_sgpr_dispatch_ptr 0
		.amdhsa_user_sgpr_queue_ptr 0
		.amdhsa_user_sgpr_kernarg_segment_ptr 1
		.amdhsa_user_sgpr_dispatch_id 0
		.amdhsa_user_sgpr_flat_scratch_init 0
		.amdhsa_user_sgpr_kernarg_preload_length 0
		.amdhsa_user_sgpr_kernarg_preload_offset 0
		.amdhsa_user_sgpr_private_segment_size 0
		.amdhsa_uses_dynamic_stack 0
		.amdhsa_system_sgpr_private_segment_wavefront_offset 0
		.amdhsa_system_sgpr_workgroup_id_x 1
		.amdhsa_system_sgpr_workgroup_id_y 1
		.amdhsa_system_sgpr_workgroup_id_z 0
		.amdhsa_system_sgpr_workgroup_info 0
		.amdhsa_system_vgpr_workitem_id 0
		.amdhsa_next_free_vgpr 23
		.amdhsa_next_free_sgpr 32
		.amdhsa_accum_offset 24
		.amdhsa_reserve_vcc 1
		.amdhsa_reserve_flat_scratch 0
		.amdhsa_float_round_mode_32 0
		.amdhsa_float_round_mode_16_64 0
		.amdhsa_float_denorm_mode_32 3
		.amdhsa_float_denorm_mode_16_64 3
		.amdhsa_dx10_clamp 1
		.amdhsa_ieee_mode 1
		.amdhsa_fp16_overflow 0
		.amdhsa_tg_split 0
		.amdhsa_exception_fp_ieee_invalid_op 0
		.amdhsa_exception_fp_denorm_src 0
		.amdhsa_exception_fp_ieee_div_zero 0
		.amdhsa_exception_fp_ieee_overflow 0
		.amdhsa_exception_fp_ieee_underflow 0
		.amdhsa_exception_fp_ieee_inexact 0
		.amdhsa_exception_int_div_zero 0
	.end_amdhsa_kernel
	.section	.text._ZN5aiter35fused_qk_rmsnorm_group_quant_kernelItDB8_Li128ELi8ELi1ELb0ELb0ELb1ELb0ELb1ELb1EEEvPT0_PvPT_S6_S6_PKS5_S8_S8_S8_S8_ffiiiiiiiiiiiii,"axG",@progbits,_ZN5aiter35fused_qk_rmsnorm_group_quant_kernelItDB8_Li128ELi8ELi1ELb0ELb0ELb1ELb0ELb1ELb1EEEvPT0_PvPT_S6_S6_PKS5_S8_S8_S8_S8_ffiiiiiiiiiiiii,comdat
.Lfunc_end30:
	.size	_ZN5aiter35fused_qk_rmsnorm_group_quant_kernelItDB8_Li128ELi8ELi1ELb0ELb0ELb1ELb0ELb1ELb1EEEvPT0_PvPT_S6_S6_PKS5_S8_S8_S8_S8_ffiiiiiiiiiiiii, .Lfunc_end30-_ZN5aiter35fused_qk_rmsnorm_group_quant_kernelItDB8_Li128ELi8ELi1ELb0ELb0ELb1ELb0ELb1ELb1EEEvPT0_PvPT_S6_S6_PKS5_S8_S8_S8_S8_ffiiiiiiiiiiiii
                                        ; -- End function
	.section	.AMDGPU.csdata,"",@progbits
; Kernel info:
; codeLenInByte = 2644
; NumSgprs: 36
; NumVgprs: 23
; NumAgprs: 0
; TotalNumVgprs: 23
; ScratchSize: 0
; MemoryBound: 0
; FloatMode: 240
; IeeeMode: 1
; LDSByteSize: 24 bytes/workgroup (compile time only)
; SGPRBlocks: 4
; VGPRBlocks: 2
; NumSGPRsForWavesPerEU: 36
; NumVGPRsForWavesPerEU: 23
; AccumOffset: 24
; Occupancy: 8
; WaveLimiterHint : 0
; COMPUTE_PGM_RSRC2:SCRATCH_EN: 0
; COMPUTE_PGM_RSRC2:USER_SGPR: 6
; COMPUTE_PGM_RSRC2:TRAP_HANDLER: 0
; COMPUTE_PGM_RSRC2:TGID_X_EN: 1
; COMPUTE_PGM_RSRC2:TGID_Y_EN: 1
; COMPUTE_PGM_RSRC2:TGID_Z_EN: 0
; COMPUTE_PGM_RSRC2:TIDIG_COMP_CNT: 0
; COMPUTE_PGM_RSRC3_GFX90A:ACCUM_OFFSET: 5
; COMPUTE_PGM_RSRC3_GFX90A:TG_SPLIT: 0
	.section	.text._ZN5aiter35fused_qk_rmsnorm_group_quant_kernelIDF16_DB8_Li128ELi8ELi1ELb0ELb0ELb0ELb0ELb1ELb1EEEvPT0_PvPT_S6_S6_PKS5_S8_S8_S8_S8_ffiiiiiiiiiiiii,"axG",@progbits,_ZN5aiter35fused_qk_rmsnorm_group_quant_kernelIDF16_DB8_Li128ELi8ELi1ELb0ELb0ELb0ELb0ELb1ELb1EEEvPT0_PvPT_S6_S6_PKS5_S8_S8_S8_S8_ffiiiiiiiiiiiii,comdat
	.protected	_ZN5aiter35fused_qk_rmsnorm_group_quant_kernelIDF16_DB8_Li128ELi8ELi1ELb0ELb0ELb0ELb0ELb1ELb1EEEvPT0_PvPT_S6_S6_PKS5_S8_S8_S8_S8_ffiiiiiiiiiiiii ; -- Begin function _ZN5aiter35fused_qk_rmsnorm_group_quant_kernelIDF16_DB8_Li128ELi8ELi1ELb0ELb0ELb0ELb0ELb1ELb1EEEvPT0_PvPT_S6_S6_PKS5_S8_S8_S8_S8_ffiiiiiiiiiiiii
	.globl	_ZN5aiter35fused_qk_rmsnorm_group_quant_kernelIDF16_DB8_Li128ELi8ELi1ELb0ELb0ELb0ELb0ELb1ELb1EEEvPT0_PvPT_S6_S6_PKS5_S8_S8_S8_S8_ffiiiiiiiiiiiii
	.p2align	8
	.type	_ZN5aiter35fused_qk_rmsnorm_group_quant_kernelIDF16_DB8_Li128ELi8ELi1ELb0ELb0ELb0ELb0ELb1ELb1EEEvPT0_PvPT_S6_S6_PKS5_S8_S8_S8_S8_ffiiiiiiiiiiiii,@function
_ZN5aiter35fused_qk_rmsnorm_group_quant_kernelIDF16_DB8_Li128ELi8ELi1ELb0ELb0ELb0ELb0ELb1ELb1EEEvPT0_PvPT_S6_S6_PKS5_S8_S8_S8_S8_ffiiiiiiiiiiiii: ; @_ZN5aiter35fused_qk_rmsnorm_group_quant_kernelIDF16_DB8_Li128ELi8ELi1ELb0ELb0ELb0ELb0ELb1ELb1EEEvPT0_PvPT_S6_S6_PKS5_S8_S8_S8_S8_ffiiiiiiiiiiiii
; %bb.0:
	s_load_dwordx4 s[12:15], s[4:5], 0x50
	s_waitcnt lgkmcnt(0)
	s_cmp_ge_i32 s6, s14
	s_cbranch_scc1 .LBB31_12
; %bb.1:
	s_load_dwordx2 s[8:9], s[4:5], 0x48
	s_load_dwordx2 s[26:27], s[4:5], 0x30
	s_load_dwordx4 s[16:19], s[4:5], 0x60
	s_cmp_lg_u32 s7, 0
	s_cselect_b64 s[10:11], -1, 0
	s_cmp_eq_u32 s7, 0
	s_cselect_b64 vcc, -1, 0
	s_and_b64 s[0:1], vcc, exec
	s_waitcnt lgkmcnt(0)
	s_cselect_b32 s7, s15, s16
	s_add_i32 s0, s7, 1
	s_lshr_b32 s1, s0, 31
	s_add_i32 s0, s0, s1
	s_lshl_b32 s0, s0, 1
	v_lshlrev_b32_e32 v1, 3, v0
	s_and_b32 s22, s0, -4
	v_cmp_gt_i32_e64 s[2:3], s7, v1
	v_mov_b32_e32 v10, 0
	v_mov_b32_e32 v2, 0
	;; [unrolled: 1-line block ×9, first 2 shown]
	s_and_saveexec_b64 s[0:1], s[2:3]
	s_cbranch_execz .LBB31_3
; %bb.2:
	s_load_dwordx2 s[20:21], s[4:5], 0x28
	s_load_dwordx2 s[24:25], s[4:5], 0x40
	s_and_b64 s[28:29], vcc, exec
	s_cselect_b32 s14, s17, s18
	s_mov_b32 s23, 0x20000
	s_waitcnt lgkmcnt(0)
	s_cselect_b32 s17, s21, s27
	s_cselect_b32 s19, s20, s26
	s_mul_hi_i32 s21, s14, s6
	s_mul_i32 s20, s14, s6
	s_lshl_b64 s[20:21], s[20:21], 1
	s_add_u32 s28, s19, s20
	s_addc_u32 s14, s17, s21
	s_and_b64 s[20:21], vcc, exec
	s_cselect_b32 s20, s24, s8
	s_cselect_b32 s17, s25, s9
	v_lshlrev_b32_e32 v11, 4, v0
	s_and_b32 s29, s14, 0xffff
	s_mov_b32 s30, s22
	s_mov_b32 s31, s23
	s_and_b32 s21, s17, 0xffff
	buffer_load_dwordx4 v[6:9], v11, s[28:31], 0 offen glc slc
	buffer_load_dwordx4 v[2:5], v11, s[20:23], 0 offen
.LBB31_3:
	s_or_b64 exec, exec, s[0:1]
	v_mov_b32_e32 v11, 0
	v_mov_b32_e32 v16, 0
	;; [unrolled: 1-line block ×7, first 2 shown]
	s_and_saveexec_b64 s[0:1], s[2:3]
	s_cbranch_execz .LBB31_5
; %bb.4:
	s_waitcnt vmcnt(1)
	v_cvt_f32_f16_sdwa v11, v6 dst_sel:DWORD dst_unused:UNUSED_PAD src0_sel:WORD_1
	v_cvt_f32_f16_e32 v10, v6
	v_cvt_f32_f16_sdwa v17, v7 dst_sel:DWORD dst_unused:UNUSED_PAD src0_sel:WORD_1
	v_cvt_f32_f16_e32 v16, v7
	;; [unrolled: 2-line block ×4, first 2 shown]
.LBB31_5:
	s_or_b64 exec, exec, s[0:1]
	s_waitcnt vmcnt(1)
	v_mul_f32_e32 v6, v11, v11
	v_fmac_f32_e32 v6, v10, v10
	v_fmac_f32_e32 v6, v16, v16
	;; [unrolled: 1-line block ×7, first 2 shown]
	v_and_b32_e32 v8, 63, v0
	v_cmp_eq_u32_e64 s[0:1], 63, v8
	v_mov_b32_dpp v7, v6 quad_perm:[1,0,3,2] row_mask:0xf bank_mask:0xf
	v_add_f32_e32 v6, v6, v7
	s_nop 1
	v_mov_b32_dpp v7, v6 quad_perm:[2,3,0,1] row_mask:0xf bank_mask:0xf
	v_add_f32_e32 v6, v6, v7
	s_nop 1
	v_mov_b32_dpp v7, v6 row_half_mirror row_mask:0xf bank_mask:0xf
	v_add_f32_e32 v6, v6, v7
	s_nop 1
	v_mov_b32_dpp v7, v6 row_mirror row_mask:0xf bank_mask:0xf
	v_add_f32_e32 v6, v6, v7
	s_nop 1
	v_mov_b32_dpp v7, v6 row_bcast:15 row_mask:0xf bank_mask:0xf
	v_add_f32_e32 v6, v6, v7
	s_nop 1
	v_mov_b32_dpp v7, v6 row_bcast:31 row_mask:0xf bank_mask:0xf
	s_and_saveexec_b64 s[20:21], s[0:1]
	s_cbranch_execz .LBB31_7
; %bb.6:
	v_add_f32_e32 v6, v6, v7
	v_lshrrev_b32_e32 v7, 4, v0
	v_and_b32_e32 v7, 60, v7
	ds_write_b32 v7, v6 offset:16
.LBB31_7:
	s_or_b64 exec, exec, s[20:21]
	v_and_b32_e32 v6, 1, v0
	v_lshlrev_b32_e32 v18, 2, v6
	s_waitcnt lgkmcnt(0)
	s_barrier
	ds_read_b32 v6, v18 offset:16
	s_load_dwordx2 s[24:25], s[4:5], 0x18
	s_waitcnt lgkmcnt(0)
	v_mov_b32_dpp v7, v6 quad_perm:[1,0,3,2] row_mask:0xf bank_mask:0xf
	s_and_saveexec_b64 s[20:21], s[2:3]
	s_cbranch_execz .LBB31_9
; %bb.8:
	v_cvt_f32_u32_e32 v8, s7
	v_add_f32_e32 v6, v6, v7
	v_mov_b32_e32 v19, s13
	v_mov_b32_e32 v20, s12
	v_div_scale_f32 v7, s[28:29], v8, v8, v6
	v_rcp_f32_e32 v9, v7
	v_cndmask_b32_e32 v19, v19, v20, vcc
	s_mov_b32 s7, 0x800000
	v_fma_f32 v20, -v7, v9, 1.0
	v_fmac_f32_e32 v9, v20, v9
	v_div_scale_f32 v20, vcc, v6, v8, v6
	v_mul_f32_e32 v21, v20, v9
	v_fma_f32 v22, -v7, v21, v20
	v_fmac_f32_e32 v21, v22, v9
	v_fma_f32 v7, -v7, v21, v20
	v_div_fmas_f32 v7, v7, v9, v21
	v_div_fixup_f32 v6, v7, v8, v6
	v_add_f32_e32 v6, v19, v6
	v_mul_f32_e32 v7, 0x4b800000, v6
	v_cmp_gt_f32_e32 vcc, s7, v6
	v_cndmask_b32_e32 v6, v6, v7, vcc
	v_rsq_f32_e32 v6, v6
	s_waitcnt vmcnt(0)
	v_cvt_f32_f16_sdwa v21, v5 dst_sel:DWORD dst_unused:UNUSED_PAD src0_sel:WORD_1
	v_cvt_f32_f16_e32 v20, v5
	v_mul_f32_e32 v7, 0x45800000, v6
	v_cndmask_b32_e32 v6, v6, v7, vcc
	v_mov_b32_e32 v7, v6
	;;#ASMSTART
	v_pk_mul_f32 v[8:9], v[10:11], v[6:7]
	;;#ASMEND
	;;#ASMSTART
	v_pk_mul_f32 v[16:17], v[16:17], v[6:7]
	;;#ASMEND
	;; [unrolled: 3-line block ×4, first 2 shown]
	v_cvt_f32_f16_sdwa v11, v2 dst_sel:DWORD dst_unused:UNUSED_PAD src0_sel:WORD_1
	v_cvt_f32_f16_e32 v10, v2
	v_cvt_f32_f16_sdwa v13, v3 dst_sel:DWORD dst_unused:UNUSED_PAD src0_sel:WORD_1
	v_cvt_f32_f16_e32 v12, v3
	;; [unrolled: 2-line block ×3, first 2 shown]
	;;#ASMSTART
	v_pk_mul_f32 v[10:11], v[8:9], v[10:11]
	;;#ASMEND
	;;#ASMSTART
	v_pk_mul_f32 v[16:17], v[16:17], v[12:13]
	;;#ASMEND
	;;#ASMSTART
	v_pk_mul_f32 v[14:15], v[14:15], v[2:3]
	;;#ASMEND
	;;#ASMSTART
	v_pk_mul_f32 v[12:13], v[6:7], v[20:21]
	;;#ASMEND
.LBB31_9:
	s_or_b64 exec, exec, s[20:21]
	s_load_dword s7, s[4:5], 0x80
	s_mov_b64 s[20:21], -1
	s_and_b64 vcc, exec, s[10:11]
	s_cbranch_vccnz .LBB31_13
; %bb.10:
	s_andn2_b64 vcc, exec, s[20:21]
	s_cbranch_vccz .LBB31_16
.LBB31_11:
	s_cmp_lt_i32 s16, 1
	s_cbranch_scc0 .LBB31_25
.LBB31_12:
	s_endpgm
.LBB31_13:
	s_and_saveexec_b64 s[10:11], s[2:3]
	s_cbranch_execz .LBB31_15
; %bb.14:
	s_waitcnt lgkmcnt(0)
	s_mul_hi_i32 s21, s7, s6
	s_mul_i32 s20, s7, s6
	s_waitcnt vmcnt(0)
	v_cvt_f16_f32_e32 v2, v10
	v_cvt_f16_f32_e32 v3, v16
	;; [unrolled: 1-line block ×8, first 2 shown]
	s_lshl_b64 s[20:21], s[20:21], 1
	s_add_u32 s20, s24, s20
	s_addc_u32 s12, s25, s21
	s_and_b32 s21, s12, 0xffff
	s_mov_b32 s23, 0x20000
	v_pack_b32_f16 v5, v5, v6
	v_pack_b32_f16 v4, v4, v7
	;; [unrolled: 1-line block ×4, first 2 shown]
	v_lshlrev_b32_e32 v6, 4, v0
	buffer_store_dwordx4 v[2:5], v6, s[20:23], 0 offen
	;;#ASMSTART
	s_nop 0
	;;#ASMEND
.LBB31_15:
	s_or_b64 exec, exec, s[10:11]
	s_cbranch_execnz .LBB31_11
.LBB31_16:
	s_waitcnt vmcnt(0)
	v_mov_b32_e32 v2, 0
	s_and_saveexec_b64 s[10:11], s[2:3]
	s_cbranch_execz .LBB31_18
; %bb.17:
	v_and_b32_e32 v2, 0x7fffffff, v10
	v_and_b32_e32 v3, 0x7fffffff, v11
	v_mov_b32_e32 v4, 0x2edbe6ff
	;;#ASMSTART
	v_max3_f32 v2, v4, v2, v3

	;;#ASMEND
	v_and_b32_e32 v3, 0x7fffffff, v16
	v_and_b32_e32 v4, 0x7fffffff, v17
	;;#ASMSTART
	v_max3_f32 v2, v2, v3, v4

	;;#ASMEND
	v_and_b32_e32 v3, 0x7fffffff, v14
	v_and_b32_e32 v4, 0x7fffffff, v15
	;; [unrolled: 6-line block ×3, first 2 shown]
	;;#ASMSTART
	v_max3_f32 v2, v2, v3, v4

	;;#ASMEND
.LBB31_18:
	s_or_b64 exec, exec, s[10:11]
	s_nop 0
	v_mov_b32_dpp v3, v2 quad_perm:[1,0,3,2] row_mask:0xf bank_mask:0xf
	v_cmp_gt_f32_e32 vcc, v2, v3
	v_cndmask_b32_e32 v2, v3, v2, vcc
	s_nop 1
	v_mov_b32_dpp v3, v2 quad_perm:[2,3,0,1] row_mask:0xf bank_mask:0xf
	v_cmp_gt_f32_e32 vcc, v2, v3
	v_cndmask_b32_e32 v2, v3, v2, vcc
	s_nop 1
	v_mov_b32_dpp v3, v2 row_half_mirror row_mask:0xf bank_mask:0xf
	v_cmp_gt_f32_e32 vcc, v2, v3
	v_cndmask_b32_e32 v2, v3, v2, vcc
	s_nop 1
	v_mov_b32_dpp v3, v2 row_mirror row_mask:0xf bank_mask:0xf
	v_cmp_gt_f32_e32 vcc, v2, v3
	v_cndmask_b32_e32 v2, v3, v2, vcc
	s_nop 1
	v_mov_b32_dpp v3, v2 row_bcast:15 row_mask:0xf bank_mask:0xf
	v_cmp_gt_f32_e32 vcc, v2, v3
	v_cndmask_b32_e32 v2, v3, v2, vcc
	s_nop 1
	v_mov_b32_dpp v3, v2 row_bcast:31 row_mask:0xf bank_mask:0xf
	s_and_saveexec_b64 s[10:11], s[0:1]
	s_cbranch_execz .LBB31_20
; %bb.19:
	v_cmp_gt_f32_e32 vcc, v2, v3
	v_cndmask_b32_e32 v2, v3, v2, vcc
	v_lshrrev_b32_e32 v3, 4, v0
	v_and_b32_e32 v3, 60, v3
	ds_write_b32 v3, v2
.LBB31_20:
	s_or_b64 exec, exec, s[10:11]
	s_waitcnt lgkmcnt(0)
	s_barrier
	ds_read_b32 v2, v18
	s_load_dwordx2 s[20:21], s[4:5], 0x70
	s_waitcnt lgkmcnt(0)
	v_mov_b32_dpp v3, v2 quad_perm:[1,0,3,2] row_mask:0xf bank_mask:0xf
	v_cmp_gt_f32_e32 vcc, v2, v3
	v_cndmask_b32_e32 v2, v3, v2, vcc
	v_mul_f32_e32 v2, 0x3b124925, v2
	v_cmp_eq_u32_e32 vcc, 0, v0
	s_and_saveexec_b64 s[10:11], vcc
	s_cbranch_execz .LBB31_22
; %bb.21:
	s_load_dwordx2 s[22:23], s[4:5], 0x8
	s_mul_hi_i32 s29, s21, s6
	s_mul_i32 s28, s21, s6
	s_lshl_b64 s[28:29], s[28:29], 2
	v_mov_b32_e32 v3, 0
	s_waitcnt lgkmcnt(0)
	s_add_u32 s22, s22, s28
	s_addc_u32 s23, s23, s29
	global_store_dword v3, v2, s[22:23]
.LBB31_22:
	s_or_b64 exec, exec, s[10:11]
	;;#ASMSTART
	v_rcp_f32 v2, v2
	;;#ASMEND
	s_and_saveexec_b64 s[10:11], s[2:3]
	s_cbranch_execz .LBB31_24
; %bb.23:
	s_load_dwordx2 s[2:3], s[4:5], 0x0
	s_mul_i32 s14, s20, s6
	v_mov_b32_e32 v3, v2
	;;#ASMSTART
	v_pk_mul_f32 v[4:5], v[10:11], v[2:3]
	;;#ASMEND
	s_mul_hi_i32 s12, s20, s6
	s_waitcnt lgkmcnt(0)
	s_add_u32 s20, s2, s14
	v_mov_b32_e32 v8, 0xc3e00000
	v_mov_b32_e32 v9, 0x43e00000
	;;#ASMSTART
	v_med3_f32 v4, v4, v8, v9
v_med3_f32 v5, v5, v8, v9
v_cvt_pk_fp8_f32 v6, v4, v5
	;;#ASMEND
	s_addc_u32 s2, s3, s12
	;;#ASMSTART
	v_pk_mul_f32 v[4:5], v[16:17], v[2:3]
	;;#ASMEND
	s_and_b32 s21, s2, 0xffff
	;;#ASMSTART
	v_med3_f32 v4, v4, v8, v9
v_med3_f32 v5, v5, v8, v9
v_cvt_pk_fp8_f32 v7, v4, v5
	;;#ASMEND
	s_mov_b32 s2, 0x5040100
	v_perm_b32 v5, v7, v6, s2
	s_movk_i32 s2, 0xff
	v_and_b32_e32 v4, 0xffffff00, v7
	v_and_b32_sdwa v6, v5, s2 dst_sel:DWORD dst_unused:UNUSED_PAD src0_sel:WORD_1 src1_sel:DWORD
	s_mov_b32 s17, 0xffff
	v_or_b32_sdwa v4, v6, v4 dst_sel:WORD_1 dst_unused:UNUSED_PAD src0_sel:DWORD src1_sel:DWORD
	s_add_i32 s3, s15, 3
	v_and_or_b32 v4, v5, s17, v4
	;;#ASMSTART
	v_pk_mul_f32 v[6:7], v[14:15], v[2:3]
	;;#ASMEND
	v_mov_b32_e32 v5, v7
	s_ashr_i32 s12, s3, 31
	;;#ASMSTART
	v_med3_f32 v6, v6, v8, v9
v_med3_f32 v5, v5, v8, v9
v_cvt_pk_fp8_f32 v7, v6, v5
	;;#ASMEND
	;;#ASMSTART
	v_pk_mul_f32 v[2:3], v[12:13], v[2:3]
	;;#ASMEND
	s_lshr_b32 s12, s12, 30
	;;#ASMSTART
	v_med3_f32 v2, v2, v8, v9
v_med3_f32 v3, v3, v8, v9
v_cvt_pk_fp8_f32 v5, v2, v3
	;;#ASMEND
	s_add_i32 s3, s3, s12
	v_lshlrev_b32_e32 v2, 16, v5
	s_and_b32 s22, s3, -4
	s_mov_b32 s23, 0x20000
	v_and_or_b32 v5, v7, s17, v2
	buffer_store_dwordx2 v[4:5], v1, s[20:23], 0 offen
	;;#ASMSTART
	s_nop 0
	;;#ASMEND
.LBB31_24:
	s_or_b64 exec, exec, s[10:11]
	s_cmp_lt_i32 s16, 1
	s_cbranch_scc1 .LBB31_12
.LBB31_25:
	s_load_dword s2, s[4:5], 0x94
	s_waitcnt lgkmcnt(0)
	s_cmp_lg_u32 s2, 1
	s_cbranch_scc1 .LBB31_12
; %bb.26:
	s_lshl_b32 s2, s16, 1
	s_add_i32 s2, s2, 2
	v_cmp_gt_u32_e32 vcc, s16, v1
	s_and_b32 s10, s2, -4
	v_mov_b32_e32 v10, 0
	v_lshlrev_b32_e32 v1, 4, v0
	v_mov_b32_e32 v6, 0
	v_mov_b32_e32 v7, 0
	;; [unrolled: 1-line block ×4, first 2 shown]
	s_waitcnt vmcnt(0)
	v_mov_b32_e32 v2, 0
	v_mov_b32_e32 v3, 0
	;; [unrolled: 1-line block ×4, first 2 shown]
	s_barrier
	s_and_saveexec_b64 s[2:3], vcc
	s_cbranch_execz .LBB31_28
; %bb.27:
	s_mul_hi_i32 s5, s18, s6
	s_mul_i32 s4, s18, s6
	s_and_b32 s9, s9, 0xffff
	s_lshl_b64 s[4:5], s[4:5], 1
	s_add_u32 s20, s26, s4
	s_mov_b32 s11, 0x20000
	s_addc_u32 s4, s27, s5
	s_and_b32 s21, s4, 0xffff
	s_mov_b32 s22, s10
	s_mov_b32 s23, s11
	buffer_load_dwordx4 v[6:9], v1, s[20:23], 0 offen glc slc
	buffer_load_dwordx4 v[2:5], v1, s[8:11], 0 offen
.LBB31_28:
	s_or_b64 exec, exec, s[2:3]
	v_mov_b32_e32 v11, 0
	v_mov_b32_e32 v16, 0
	;; [unrolled: 1-line block ×7, first 2 shown]
	s_and_saveexec_b64 s[2:3], vcc
	s_cbranch_execz .LBB31_30
; %bb.29:
	s_waitcnt vmcnt(1)
	v_cvt_f32_f16_sdwa v11, v6 dst_sel:DWORD dst_unused:UNUSED_PAD src0_sel:WORD_1
	v_cvt_f32_f16_e32 v10, v6
	v_cvt_f32_f16_sdwa v17, v7 dst_sel:DWORD dst_unused:UNUSED_PAD src0_sel:WORD_1
	v_cvt_f32_f16_e32 v16, v7
	;; [unrolled: 2-line block ×4, first 2 shown]
.LBB31_30:
	s_or_b64 exec, exec, s[2:3]
	s_waitcnt vmcnt(1)
	v_mul_f32_e32 v6, v11, v11
	v_fmac_f32_e32 v6, v10, v10
	v_fmac_f32_e32 v6, v16, v16
	;; [unrolled: 1-line block ×7, first 2 shown]
	s_nop 1
	v_mov_b32_dpp v7, v6 quad_perm:[1,0,3,2] row_mask:0xf bank_mask:0xf
	v_add_f32_e32 v6, v6, v7
	s_nop 1
	v_mov_b32_dpp v7, v6 quad_perm:[2,3,0,1] row_mask:0xf bank_mask:0xf
	v_add_f32_e32 v6, v6, v7
	s_nop 1
	v_mov_b32_dpp v7, v6 row_half_mirror row_mask:0xf bank_mask:0xf
	v_add_f32_e32 v6, v6, v7
	s_nop 1
	v_mov_b32_dpp v7, v6 row_mirror row_mask:0xf bank_mask:0xf
	v_add_f32_e32 v6, v6, v7
	s_nop 1
	v_mov_b32_dpp v7, v6 row_bcast:15 row_mask:0xf bank_mask:0xf
	v_add_f32_e32 v6, v6, v7
	s_nop 1
	v_mov_b32_dpp v7, v6 row_bcast:31 row_mask:0xf bank_mask:0xf
	s_and_saveexec_b64 s[2:3], s[0:1]
	s_cbranch_execz .LBB31_32
; %bb.31:
	v_lshrrev_b32_e32 v0, 4, v0
	v_add_f32_e32 v6, v6, v7
	v_and_b32_e32 v0, 60, v0
	ds_write_b32 v0, v6 offset:8
.LBB31_32:
	s_or_b64 exec, exec, s[2:3]
	s_waitcnt lgkmcnt(0)
	s_barrier
	ds_read_b32 v0, v18 offset:8
	s_waitcnt lgkmcnt(0)
	s_nop 0
	v_mov_b32_dpp v6, v0 quad_perm:[1,0,3,2] row_mask:0xf bank_mask:0xf
	s_and_saveexec_b64 s[0:1], vcc
	s_cbranch_execz .LBB31_12
; %bb.33:
	v_cvt_f32_u32_e32 v7, s16
	v_add_f32_e32 v0, v0, v6
	s_mov_b32 s11, 0x20000
	v_div_scale_f32 v6, s[0:1], v7, v7, v0
	v_rcp_f32_e32 v8, v6
	v_div_scale_f32 v9, vcc, v0, v7, v0
	s_mov_b32 s0, 0x800000
	v_fma_f32 v18, -v6, v8, 1.0
	v_fmac_f32_e32 v8, v18, v8
	v_mul_f32_e32 v18, v9, v8
	v_fma_f32 v19, -v6, v18, v9
	v_fmac_f32_e32 v18, v19, v8
	v_fma_f32 v6, -v6, v18, v9
	v_div_fmas_f32 v6, v6, v8, v18
	v_div_fixup_f32 v0, v6, v7, v0
	v_add_f32_e32 v0, s13, v0
	v_mul_f32_e32 v6, 0x4b800000, v0
	v_cmp_gt_f32_e32 vcc, s0, v0
	v_cndmask_b32_e32 v0, v0, v6, vcc
	v_rsq_f32_e32 v0, v0
	s_waitcnt vmcnt(0)
	v_cvt_f32_f16_sdwa v19, v5 dst_sel:DWORD dst_unused:UNUSED_PAD src0_sel:WORD_1
	v_cvt_f32_f16_e32 v18, v5
	s_mul_hi_i32 s1, s7, s6
	v_mul_f32_e32 v6, 0x45800000, v0
	v_cndmask_b32_e32 v6, v0, v6, vcc
	v_mov_b32_e32 v7, v6
	;;#ASMSTART
	v_pk_mul_f32 v[8:9], v[10:11], v[6:7]
	;;#ASMEND
	;;#ASMSTART
	v_pk_mul_f32 v[10:11], v[16:17], v[6:7]
	;;#ASMEND
	;; [unrolled: 3-line block ×4, first 2 shown]
	v_cvt_f32_f16_sdwa v13, v2 dst_sel:DWORD dst_unused:UNUSED_PAD src0_sel:WORD_1
	v_cvt_f32_f16_e32 v12, v2
	v_cvt_f32_f16_sdwa v17, v3 dst_sel:DWORD dst_unused:UNUSED_PAD src0_sel:WORD_1
	v_cvt_f32_f16_e32 v16, v3
	;; [unrolled: 2-line block ×3, first 2 shown]
	;;#ASMSTART
	v_pk_mul_f32 v[4:5], v[8:9], v[12:13]
	;;#ASMEND
	;;#ASMSTART
	v_pk_mul_f32 v[8:9], v[10:11], v[16:17]
	;;#ASMEND
	;; [unrolled: 3-line block ×4, first 2 shown]
	s_mul_i32 s0, s7, s6
	v_cvt_f16_f32_e32 v0, v4
	v_cvt_f16_f32_e32 v4, v5
	;; [unrolled: 1-line block ×8, first 2 shown]
	s_lshl_b64 s[0:1], s[0:1], 1
	s_add_u32 s8, s24, s0
	s_addc_u32 s0, s25, s1
	s_and_b32 s9, s0, 0xffff
	v_pack_b32_f16 v2, v0, v4
	v_pack_b32_f16 v3, v5, v8
	;; [unrolled: 1-line block ×4, first 2 shown]
	buffer_store_dwordx4 v[2:5], v1, s[8:11], 0 offen
	;;#ASMSTART
	s_nop 0
	;;#ASMEND
	s_endpgm
	.section	.rodata,"a",@progbits
	.p2align	6, 0x0
	.amdhsa_kernel _ZN5aiter35fused_qk_rmsnorm_group_quant_kernelIDF16_DB8_Li128ELi8ELi1ELb0ELb0ELb0ELb0ELb1ELb1EEEvPT0_PvPT_S6_S6_PKS5_S8_S8_S8_S8_ffiiiiiiiiiiiii
		.amdhsa_group_segment_fixed_size 24
		.amdhsa_private_segment_fixed_size 0
		.amdhsa_kernarg_size 400
		.amdhsa_user_sgpr_count 6
		.amdhsa_user_sgpr_private_segment_buffer 1
		.amdhsa_user_sgpr_dispatch_ptr 0
		.amdhsa_user_sgpr_queue_ptr 0
		.amdhsa_user_sgpr_kernarg_segment_ptr 1
		.amdhsa_user_sgpr_dispatch_id 0
		.amdhsa_user_sgpr_flat_scratch_init 0
		.amdhsa_user_sgpr_kernarg_preload_length 0
		.amdhsa_user_sgpr_kernarg_preload_offset 0
		.amdhsa_user_sgpr_private_segment_size 0
		.amdhsa_uses_dynamic_stack 0
		.amdhsa_system_sgpr_private_segment_wavefront_offset 0
		.amdhsa_system_sgpr_workgroup_id_x 1
		.amdhsa_system_sgpr_workgroup_id_y 1
		.amdhsa_system_sgpr_workgroup_id_z 0
		.amdhsa_system_sgpr_workgroup_info 0
		.amdhsa_system_vgpr_workitem_id 0
		.amdhsa_next_free_vgpr 23
		.amdhsa_next_free_sgpr 32
		.amdhsa_accum_offset 24
		.amdhsa_reserve_vcc 1
		.amdhsa_reserve_flat_scratch 0
		.amdhsa_float_round_mode_32 0
		.amdhsa_float_round_mode_16_64 0
		.amdhsa_float_denorm_mode_32 3
		.amdhsa_float_denorm_mode_16_64 3
		.amdhsa_dx10_clamp 1
		.amdhsa_ieee_mode 1
		.amdhsa_fp16_overflow 0
		.amdhsa_tg_split 0
		.amdhsa_exception_fp_ieee_invalid_op 0
		.amdhsa_exception_fp_denorm_src 0
		.amdhsa_exception_fp_ieee_div_zero 0
		.amdhsa_exception_fp_ieee_overflow 0
		.amdhsa_exception_fp_ieee_underflow 0
		.amdhsa_exception_fp_ieee_inexact 0
		.amdhsa_exception_int_div_zero 0
	.end_amdhsa_kernel
	.section	.text._ZN5aiter35fused_qk_rmsnorm_group_quant_kernelIDF16_DB8_Li128ELi8ELi1ELb0ELb0ELb0ELb0ELb1ELb1EEEvPT0_PvPT_S6_S6_PKS5_S8_S8_S8_S8_ffiiiiiiiiiiiii,"axG",@progbits,_ZN5aiter35fused_qk_rmsnorm_group_quant_kernelIDF16_DB8_Li128ELi8ELi1ELb0ELb0ELb0ELb0ELb1ELb1EEEvPT0_PvPT_S6_S6_PKS5_S8_S8_S8_S8_ffiiiiiiiiiiiii,comdat
.Lfunc_end31:
	.size	_ZN5aiter35fused_qk_rmsnorm_group_quant_kernelIDF16_DB8_Li128ELi8ELi1ELb0ELb0ELb0ELb0ELb1ELb1EEEvPT0_PvPT_S6_S6_PKS5_S8_S8_S8_S8_ffiiiiiiiiiiiii, .Lfunc_end31-_ZN5aiter35fused_qk_rmsnorm_group_quant_kernelIDF16_DB8_Li128ELi8ELi1ELb0ELb0ELb0ELb0ELb1ELb1EEEvPT0_PvPT_S6_S6_PKS5_S8_S8_S8_S8_ffiiiiiiiiiiiii
                                        ; -- End function
	.section	.AMDGPU.csdata,"",@progbits
; Kernel info:
; codeLenInByte = 2564
; NumSgprs: 36
; NumVgprs: 23
; NumAgprs: 0
; TotalNumVgprs: 23
; ScratchSize: 0
; MemoryBound: 0
; FloatMode: 240
; IeeeMode: 1
; LDSByteSize: 24 bytes/workgroup (compile time only)
; SGPRBlocks: 4
; VGPRBlocks: 2
; NumSGPRsForWavesPerEU: 36
; NumVGPRsForWavesPerEU: 23
; AccumOffset: 24
; Occupancy: 8
; WaveLimiterHint : 0
; COMPUTE_PGM_RSRC2:SCRATCH_EN: 0
; COMPUTE_PGM_RSRC2:USER_SGPR: 6
; COMPUTE_PGM_RSRC2:TRAP_HANDLER: 0
; COMPUTE_PGM_RSRC2:TGID_X_EN: 1
; COMPUTE_PGM_RSRC2:TGID_Y_EN: 1
; COMPUTE_PGM_RSRC2:TGID_Z_EN: 0
; COMPUTE_PGM_RSRC2:TIDIG_COMP_CNT: 0
; COMPUTE_PGM_RSRC3_GFX90A:ACCUM_OFFSET: 5
; COMPUTE_PGM_RSRC3_GFX90A:TG_SPLIT: 0
	.section	.text._ZN5aiter35fused_qk_rmsnorm_group_quant_kernelItDB8_Li128ELi8ELi1ELb0ELb0ELb0ELb0ELb1ELb1EEEvPT0_PvPT_S6_S6_PKS5_S8_S8_S8_S8_ffiiiiiiiiiiiii,"axG",@progbits,_ZN5aiter35fused_qk_rmsnorm_group_quant_kernelItDB8_Li128ELi8ELi1ELb0ELb0ELb0ELb0ELb1ELb1EEEvPT0_PvPT_S6_S6_PKS5_S8_S8_S8_S8_ffiiiiiiiiiiiii,comdat
	.protected	_ZN5aiter35fused_qk_rmsnorm_group_quant_kernelItDB8_Li128ELi8ELi1ELb0ELb0ELb0ELb0ELb1ELb1EEEvPT0_PvPT_S6_S6_PKS5_S8_S8_S8_S8_ffiiiiiiiiiiiii ; -- Begin function _ZN5aiter35fused_qk_rmsnorm_group_quant_kernelItDB8_Li128ELi8ELi1ELb0ELb0ELb0ELb0ELb1ELb1EEEvPT0_PvPT_S6_S6_PKS5_S8_S8_S8_S8_ffiiiiiiiiiiiii
	.globl	_ZN5aiter35fused_qk_rmsnorm_group_quant_kernelItDB8_Li128ELi8ELi1ELb0ELb0ELb0ELb0ELb1ELb1EEEvPT0_PvPT_S6_S6_PKS5_S8_S8_S8_S8_ffiiiiiiiiiiiii
	.p2align	8
	.type	_ZN5aiter35fused_qk_rmsnorm_group_quant_kernelItDB8_Li128ELi8ELi1ELb0ELb0ELb0ELb0ELb1ELb1EEEvPT0_PvPT_S6_S6_PKS5_S8_S8_S8_S8_ffiiiiiiiiiiiii,@function
_ZN5aiter35fused_qk_rmsnorm_group_quant_kernelItDB8_Li128ELi8ELi1ELb0ELb0ELb0ELb0ELb1ELb1EEEvPT0_PvPT_S6_S6_PKS5_S8_S8_S8_S8_ffiiiiiiiiiiiii: ; @_ZN5aiter35fused_qk_rmsnorm_group_quant_kernelItDB8_Li128ELi8ELi1ELb0ELb0ELb0ELb0ELb1ELb1EEEvPT0_PvPT_S6_S6_PKS5_S8_S8_S8_S8_ffiiiiiiiiiiiii
; %bb.0:
	s_load_dwordx4 s[12:15], s[4:5], 0x50
	s_waitcnt lgkmcnt(0)
	s_cmp_ge_i32 s6, s14
	s_cbranch_scc1 .LBB32_10
; %bb.1:
	s_load_dwordx2 s[8:9], s[4:5], 0x48
	s_load_dwordx2 s[26:27], s[4:5], 0x30
	s_load_dwordx4 s[16:19], s[4:5], 0x60
	s_cmp_lg_u32 s7, 0
	s_cselect_b64 s[10:11], -1, 0
	s_cmp_eq_u32 s7, 0
	s_cselect_b64 vcc, -1, 0
	s_and_b64 s[0:1], vcc, exec
	s_waitcnt lgkmcnt(0)
	s_cselect_b32 s7, s15, s16
	s_add_i32 s0, s7, 1
	s_lshr_b32 s1, s0, 31
	s_add_i32 s0, s0, s1
	s_lshl_b32 s0, s0, 1
	v_lshlrev_b32_e32 v1, 3, v0
	s_and_b32 s22, s0, -4
	v_cmp_gt_i32_e64 s[2:3], s7, v1
	v_mov_b32_e32 v2, 0
	v_mov_b32_e32 v3, 0
	;; [unrolled: 1-line block ×8, first 2 shown]
	s_and_saveexec_b64 s[0:1], s[2:3]
	s_cbranch_execz .LBB32_3
; %bb.2:
	s_load_dwordx2 s[20:21], s[4:5], 0x28
	s_load_dwordx2 s[24:25], s[4:5], 0x40
	s_and_b64 s[28:29], vcc, exec
	s_cselect_b32 s14, s17, s18
	s_mov_b32 s23, 0x20000
	s_waitcnt lgkmcnt(0)
	s_cselect_b32 s17, s21, s27
	s_cselect_b32 s19, s20, s26
	s_mul_hi_i32 s21, s14, s6
	s_mul_i32 s20, s14, s6
	s_lshl_b64 s[20:21], s[20:21], 1
	s_add_u32 s28, s19, s20
	s_addc_u32 s14, s17, s21
	s_and_b64 s[20:21], vcc, exec
	s_cselect_b32 s20, s24, s8
	s_cselect_b32 s17, s25, s9
	v_lshlrev_b32_e32 v10, 4, v0
	s_and_b32 s29, s14, 0xffff
	s_mov_b32 s30, s22
	s_mov_b32 s31, s23
	s_and_b32 s21, s17, 0xffff
	buffer_load_dwordx4 v[6:9], v10, s[28:31], 0 offen glc slc
	buffer_load_dwordx4 v[2:5], v10, s[20:23], 0 offen
.LBB32_3:
	s_or_b64 exec, exec, s[0:1]
	s_waitcnt vmcnt(1)
	v_cvt_f32_u32_sdwa v13, v6 dst_sel:DWORD dst_unused:UNUSED_PAD src0_sel:WORD_1
	v_cvt_f32_u32_sdwa v12, v6 dst_sel:DWORD dst_unused:UNUSED_PAD src0_sel:WORD_0
	v_cvt_f32_u32_sdwa v6, v9 dst_sel:DWORD dst_unused:UNUSED_PAD src0_sel:WORD_1
	v_cvt_f32_u32_sdwa v9, v9 dst_sel:DWORD dst_unused:UNUSED_PAD src0_sel:WORD_0
	;; [unrolled: 2-line block ×4, first 2 shown]
	v_cndmask_b32_e64 v13, 0, v13, s[2:3]
	v_cndmask_b32_e64 v7, 0, v6, s[2:3]
	;; [unrolled: 1-line block ×5, first 2 shown]
	v_mul_f32_e32 v14, v13, v13
	v_cndmask_b32_e64 v10, 0, v10, s[2:3]
	v_fmac_f32_e32 v14, v12, v12
	v_cndmask_b32_e64 v11, 0, v11, s[2:3]
	v_fmac_f32_e32 v14, v10, v10
	;; [unrolled: 2-line block ×3, first 2 shown]
	v_fmac_f32_e32 v14, v8, v8
	v_fmac_f32_e32 v14, v9, v9
	;; [unrolled: 1-line block ×4, first 2 shown]
	v_and_b32_e32 v16, 63, v0
	v_cmp_eq_u32_e64 s[0:1], 63, v16
	v_mov_b32_dpp v15, v14 quad_perm:[1,0,3,2] row_mask:0xf bank_mask:0xf
	v_add_f32_e32 v14, v14, v15
	s_nop 1
	v_mov_b32_dpp v15, v14 quad_perm:[2,3,0,1] row_mask:0xf bank_mask:0xf
	v_add_f32_e32 v14, v14, v15
	s_nop 1
	v_mov_b32_dpp v15, v14 row_half_mirror row_mask:0xf bank_mask:0xf
	v_add_f32_e32 v14, v14, v15
	s_nop 1
	v_mov_b32_dpp v15, v14 row_mirror row_mask:0xf bank_mask:0xf
	v_add_f32_e32 v14, v14, v15
	s_nop 1
	v_mov_b32_dpp v15, v14 row_bcast:15 row_mask:0xf bank_mask:0xf
	v_add_f32_e32 v14, v14, v15
	s_nop 1
	v_mov_b32_dpp v15, v14 row_bcast:31 row_mask:0xf bank_mask:0xf
	s_and_saveexec_b64 s[20:21], s[0:1]
	s_cbranch_execz .LBB32_5
; %bb.4:
	v_add_f32_e32 v14, v14, v15
	v_lshrrev_b32_e32 v15, 4, v0
	v_and_b32_e32 v15, 60, v15
	ds_write_b32 v15, v14 offset:16
.LBB32_5:
	s_or_b64 exec, exec, s[20:21]
	v_and_b32_e32 v14, 1, v0
	v_lshlrev_b32_e32 v14, 2, v14
	s_waitcnt lgkmcnt(0)
	s_barrier
	ds_read_b32 v15, v14 offset:16
	s_load_dwordx2 s[24:25], s[4:5], 0x18
	s_waitcnt lgkmcnt(0)
	v_mov_b32_dpp v16, v15 quad_perm:[1,0,3,2] row_mask:0xf bank_mask:0xf
	s_and_saveexec_b64 s[20:21], s[2:3]
	s_cbranch_execz .LBB32_7
; %bb.6:
	v_cvt_f32_u32_e32 v17, s7
	v_add_f32_e32 v15, v15, v16
	v_mov_b32_e32 v19, s13
	v_mov_b32_e32 v20, s12
	v_div_scale_f32 v16, s[28:29], v17, v17, v15
	v_rcp_f32_e32 v18, v16
	v_cndmask_b32_e32 v19, v19, v20, vcc
	s_mov_b32 s7, 0x800000
	v_fma_f32 v20, -v16, v18, 1.0
	v_fmac_f32_e32 v18, v20, v18
	v_div_scale_f32 v20, vcc, v15, v17, v15
	v_mul_f32_e32 v21, v20, v18
	v_fma_f32 v22, -v16, v21, v20
	v_fmac_f32_e32 v21, v22, v18
	v_fma_f32 v16, -v16, v21, v20
	v_div_fmas_f32 v16, v16, v18, v21
	v_div_fixup_f32 v15, v16, v17, v15
	v_add_f32_e32 v15, v19, v15
	v_mul_f32_e32 v16, 0x4b800000, v15
	v_cmp_gt_f32_e32 vcc, s7, v15
	v_cndmask_b32_e32 v15, v15, v16, vcc
	v_rsq_f32_e32 v15, v15
	s_waitcnt vmcnt(0)
	v_cvt_f32_u32_sdwa v19, v3 dst_sel:DWORD dst_unused:UNUSED_PAD src0_sel:WORD_1
	v_cvt_f32_u32_sdwa v18, v3 dst_sel:DWORD dst_unused:UNUSED_PAD src0_sel:WORD_0
	v_cvt_f32_u32_sdwa v3, v4 dst_sel:DWORD dst_unused:UNUSED_PAD src0_sel:WORD_1
	v_mul_f32_e32 v16, 0x45800000, v15
	v_cndmask_b32_e32 v16, v15, v16, vcc
	v_mov_b32_e32 v17, v16
	;;#ASMSTART
	v_pk_mul_f32 v[12:13], v[12:13], v[16:17]
	;;#ASMEND
	;;#ASMSTART
	v_pk_mul_f32 v[10:11], v[10:11], v[16:17]
	;;#ASMEND
	;; [unrolled: 3-line block ×4, first 2 shown]
	v_cvt_f32_u32_sdwa v17, v2 dst_sel:DWORD dst_unused:UNUSED_PAD src0_sel:WORD_1
	v_cvt_f32_u32_sdwa v16, v2 dst_sel:DWORD dst_unused:UNUSED_PAD src0_sel:WORD_0
	v_cvt_f32_u32_sdwa v2, v4 dst_sel:DWORD dst_unused:UNUSED_PAD src0_sel:WORD_0
	v_cvt_f32_u32_sdwa v21, v5 dst_sel:DWORD dst_unused:UNUSED_PAD src0_sel:WORD_1
	v_cvt_f32_u32_sdwa v20, v5 dst_sel:DWORD dst_unused:UNUSED_PAD src0_sel:WORD_0
	;;#ASMSTART
	v_pk_mul_f32 v[12:13], v[12:13], v[16:17]
	;;#ASMEND
	;;#ASMSTART
	v_pk_mul_f32 v[10:11], v[10:11], v[18:19]
	;;#ASMEND
	;; [unrolled: 3-line block ×4, first 2 shown]
.LBB32_7:
	s_or_b64 exec, exec, s[20:21]
	s_load_dword s7, s[4:5], 0x80
	s_mov_b64 s[20:21], -1
	s_and_b64 vcc, exec, s[10:11]
	s_cbranch_vccnz .LBB32_11
; %bb.8:
	s_andn2_b64 vcc, exec, s[20:21]
	s_cbranch_vccz .LBB32_14
.LBB32_9:
	s_cmp_lt_i32 s16, 1
	s_cbranch_scc0 .LBB32_23
.LBB32_10:
	s_endpgm
.LBB32_11:
	s_and_saveexec_b64 s[10:11], s[2:3]
	s_cbranch_execz .LBB32_13
; %bb.12:
	s_waitcnt lgkmcnt(0)
	s_mul_hi_i32 s21, s7, s6
	s_mul_i32 s20, s7, s6
	s_lshl_b64 s[20:21], s[20:21], 1
	s_add_u32 s20, s24, s20
	s_addc_u32 s12, s25, s21
	s_and_b32 s21, s12, 0xffff
	s_mov_b32 s12, 0x7060302
	s_mov_b32 s23, 0x20000
	s_waitcnt vmcnt(0)
	v_perm_b32 v2, v13, v12, s12
	v_perm_b32 v3, v11, v10, s12
	;; [unrolled: 1-line block ×4, first 2 shown]
	v_lshlrev_b32_e32 v15, 4, v0
	buffer_store_dwordx4 v[2:5], v15, s[20:23], 0 offen
	;;#ASMSTART
	s_nop 0
	;;#ASMEND
.LBB32_13:
	s_or_b64 exec, exec, s[10:11]
	s_cbranch_execnz .LBB32_9
.LBB32_14:
	s_waitcnt vmcnt(0)
	v_mov_b32_e32 v2, 0
	s_and_saveexec_b64 s[10:11], s[2:3]
	s_cbranch_execz .LBB32_16
; %bb.15:
	v_and_b32_e32 v2, 0x7fffffff, v12
	v_and_b32_e32 v3, 0x7fffffff, v13
	v_mov_b32_e32 v4, 0x2edbe6ff
	;;#ASMSTART
	v_max3_f32 v2, v4, v2, v3

	;;#ASMEND
	v_and_b32_e32 v3, 0x7fffffff, v10
	v_and_b32_e32 v4, 0x7fffffff, v11
	;;#ASMSTART
	v_max3_f32 v2, v2, v3, v4

	;;#ASMEND
	v_and_b32_e32 v3, 0x7fffffff, v8
	v_and_b32_e32 v4, 0x7fffffff, v9
	;;#ASMSTART
	v_max3_f32 v2, v2, v3, v4

	;;#ASMEND
	v_and_b32_e32 v3, 0x7fffffff, v6
	v_and_b32_e32 v4, 0x7fffffff, v7
	;;#ASMSTART
	v_max3_f32 v2, v2, v3, v4

	;;#ASMEND
.LBB32_16:
	s_or_b64 exec, exec, s[10:11]
	s_nop 0
	v_mov_b32_dpp v3, v2 quad_perm:[1,0,3,2] row_mask:0xf bank_mask:0xf
	v_cmp_gt_f32_e32 vcc, v2, v3
	v_cndmask_b32_e32 v2, v3, v2, vcc
	s_nop 1
	v_mov_b32_dpp v3, v2 quad_perm:[2,3,0,1] row_mask:0xf bank_mask:0xf
	v_cmp_gt_f32_e32 vcc, v2, v3
	v_cndmask_b32_e32 v2, v3, v2, vcc
	s_nop 1
	v_mov_b32_dpp v3, v2 row_half_mirror row_mask:0xf bank_mask:0xf
	v_cmp_gt_f32_e32 vcc, v2, v3
	v_cndmask_b32_e32 v2, v3, v2, vcc
	s_nop 1
	v_mov_b32_dpp v3, v2 row_mirror row_mask:0xf bank_mask:0xf
	v_cmp_gt_f32_e32 vcc, v2, v3
	v_cndmask_b32_e32 v2, v3, v2, vcc
	s_nop 1
	v_mov_b32_dpp v3, v2 row_bcast:15 row_mask:0xf bank_mask:0xf
	v_cmp_gt_f32_e32 vcc, v2, v3
	v_cndmask_b32_e32 v2, v3, v2, vcc
	s_nop 1
	v_mov_b32_dpp v3, v2 row_bcast:31 row_mask:0xf bank_mask:0xf
	s_and_saveexec_b64 s[10:11], s[0:1]
	s_cbranch_execz .LBB32_18
; %bb.17:
	v_cmp_gt_f32_e32 vcc, v2, v3
	v_cndmask_b32_e32 v2, v3, v2, vcc
	v_lshrrev_b32_e32 v3, 4, v0
	v_and_b32_e32 v3, 60, v3
	ds_write_b32 v3, v2
.LBB32_18:
	s_or_b64 exec, exec, s[10:11]
	s_waitcnt lgkmcnt(0)
	s_barrier
	ds_read_b32 v2, v14
	s_load_dwordx2 s[20:21], s[4:5], 0x70
	s_waitcnt lgkmcnt(0)
	v_mov_b32_dpp v3, v2 quad_perm:[1,0,3,2] row_mask:0xf bank_mask:0xf
	v_cmp_gt_f32_e32 vcc, v2, v3
	v_cndmask_b32_e32 v2, v3, v2, vcc
	v_mul_f32_e32 v2, 0x3b124925, v2
	v_cmp_eq_u32_e32 vcc, 0, v0
	s_and_saveexec_b64 s[10:11], vcc
	s_cbranch_execz .LBB32_20
; %bb.19:
	s_load_dwordx2 s[22:23], s[4:5], 0x8
	s_mul_hi_i32 s29, s21, s6
	s_mul_i32 s28, s21, s6
	s_lshl_b64 s[28:29], s[28:29], 2
	v_mov_b32_e32 v3, 0
	s_waitcnt lgkmcnt(0)
	s_add_u32 s22, s22, s28
	s_addc_u32 s23, s23, s29
	global_store_dword v3, v2, s[22:23]
.LBB32_20:
	s_or_b64 exec, exec, s[10:11]
	;;#ASMSTART
	v_rcp_f32 v2, v2
	;;#ASMEND
	s_and_saveexec_b64 s[10:11], s[2:3]
	s_cbranch_execz .LBB32_22
; %bb.21:
	s_load_dwordx2 s[2:3], s[4:5], 0x0
	s_mul_i32 s14, s20, s6
	v_mov_b32_e32 v3, v2
	;;#ASMSTART
	v_pk_mul_f32 v[4:5], v[12:13], v[2:3]
	;;#ASMEND
	s_mul_hi_i32 s12, s20, s6
	s_waitcnt lgkmcnt(0)
	s_add_u32 s20, s2, s14
	v_mov_b32_e32 v12, 0xc3e00000
	v_mov_b32_e32 v13, 0x43e00000
	;;#ASMSTART
	v_med3_f32 v4, v4, v12, v13
v_med3_f32 v5, v5, v12, v13
v_cvt_pk_fp8_f32 v15, v4, v5
	;;#ASMEND
	s_addc_u32 s2, s3, s12
	;;#ASMSTART
	v_pk_mul_f32 v[4:5], v[10:11], v[2:3]
	;;#ASMEND
	s_and_b32 s21, s2, 0xffff
	;;#ASMSTART
	v_med3_f32 v4, v4, v12, v13
v_med3_f32 v5, v5, v12, v13
v_cvt_pk_fp8_f32 v10, v4, v5
	;;#ASMEND
	s_mov_b32 s2, 0x5040100
	v_perm_b32 v5, v10, v15, s2
	s_movk_i32 s2, 0xff
	v_and_b32_e32 v4, 0xffffff00, v10
	v_and_b32_sdwa v10, v5, s2 dst_sel:DWORD dst_unused:UNUSED_PAD src0_sel:WORD_1 src1_sel:DWORD
	s_mov_b32 s17, 0xffff
	v_or_b32_sdwa v4, v10, v4 dst_sel:WORD_1 dst_unused:UNUSED_PAD src0_sel:DWORD src1_sel:DWORD
	s_add_i32 s3, s15, 3
	v_and_or_b32 v4, v5, s17, v4
	;;#ASMSTART
	v_pk_mul_f32 v[8:9], v[8:9], v[2:3]
	;;#ASMEND
	v_mov_b32_e32 v5, v9
	s_ashr_i32 s12, s3, 31
	;;#ASMSTART
	v_med3_f32 v8, v8, v12, v13
v_med3_f32 v5, v5, v12, v13
v_cvt_pk_fp8_f32 v9, v8, v5
	;;#ASMEND
	;;#ASMSTART
	v_pk_mul_f32 v[2:3], v[6:7], v[2:3]
	;;#ASMEND
	s_lshr_b32 s12, s12, 30
	;;#ASMSTART
	v_med3_f32 v2, v2, v12, v13
v_med3_f32 v3, v3, v12, v13
v_cvt_pk_fp8_f32 v5, v2, v3
	;;#ASMEND
	s_add_i32 s3, s3, s12
	v_lshlrev_b32_e32 v2, 16, v5
	s_and_b32 s22, s3, -4
	s_mov_b32 s23, 0x20000
	v_and_or_b32 v5, v9, s17, v2
	buffer_store_dwordx2 v[4:5], v1, s[20:23], 0 offen
	;;#ASMSTART
	s_nop 0
	;;#ASMEND
.LBB32_22:
	s_or_b64 exec, exec, s[10:11]
	s_cmp_lt_i32 s16, 1
	s_cbranch_scc1 .LBB32_10
.LBB32_23:
	s_load_dword s2, s[4:5], 0x94
	s_waitcnt lgkmcnt(0)
	s_cmp_lg_u32 s2, 1
	s_cbranch_scc1 .LBB32_10
; %bb.24:
	s_lshl_b32 s2, s16, 1
	s_add_i32 s2, s2, 2
	v_cmp_gt_u32_e32 vcc, s16, v1
	s_and_b32 s10, s2, -4
	v_mov_b32_e32 v6, 0
	v_lshlrev_b32_e32 v1, 4, v0
	v_mov_b32_e32 v7, 0
	v_mov_b32_e32 v8, 0
	;; [unrolled: 1-line block ×3, first 2 shown]
	s_waitcnt vmcnt(0)
	v_mov_b32_e32 v2, 0
	v_mov_b32_e32 v3, 0
	;; [unrolled: 1-line block ×4, first 2 shown]
	s_barrier
	s_and_saveexec_b64 s[2:3], vcc
	s_cbranch_execz .LBB32_26
; %bb.25:
	s_mul_hi_i32 s5, s18, s6
	s_mul_i32 s4, s18, s6
	s_and_b32 s9, s9, 0xffff
	s_lshl_b64 s[4:5], s[4:5], 1
	s_add_u32 s20, s26, s4
	s_mov_b32 s11, 0x20000
	s_addc_u32 s4, s27, s5
	s_and_b32 s21, s4, 0xffff
	s_mov_b32 s22, s10
	s_mov_b32 s23, s11
	buffer_load_dwordx4 v[6:9], v1, s[20:23], 0 offen glc slc
	buffer_load_dwordx4 v[2:5], v1, s[8:11], 0 offen
.LBB32_26:
	s_or_b64 exec, exec, s[2:3]
	s_waitcnt vmcnt(1)
	v_cvt_f32_u32_sdwa v13, v6 dst_sel:DWORD dst_unused:UNUSED_PAD src0_sel:WORD_1
	v_cvt_f32_u32_sdwa v12, v6 dst_sel:DWORD dst_unused:UNUSED_PAD src0_sel:WORD_0
	v_cvt_f32_u32_sdwa v6, v9 dst_sel:DWORD dst_unused:UNUSED_PAD src0_sel:WORD_1
	v_cvt_f32_u32_sdwa v9, v9 dst_sel:DWORD dst_unused:UNUSED_PAD src0_sel:WORD_0
	;; [unrolled: 2-line block ×4, first 2 shown]
	v_cndmask_b32_e32 v13, 0, v13, vcc
	v_cndmask_b32_e32 v7, 0, v6, vcc
	;; [unrolled: 1-line block ×5, first 2 shown]
	v_mul_f32_e32 v15, v13, v13
	v_cndmask_b32_e32 v10, 0, v10, vcc
	v_fmac_f32_e32 v15, v12, v12
	v_cndmask_b32_e32 v11, 0, v11, vcc
	v_fmac_f32_e32 v15, v10, v10
	;; [unrolled: 2-line block ×3, first 2 shown]
	v_fmac_f32_e32 v15, v8, v8
	v_fmac_f32_e32 v15, v9, v9
	;; [unrolled: 1-line block ×4, first 2 shown]
	s_nop 1
	v_mov_b32_dpp v16, v15 quad_perm:[1,0,3,2] row_mask:0xf bank_mask:0xf
	v_add_f32_e32 v15, v15, v16
	s_nop 1
	v_mov_b32_dpp v16, v15 quad_perm:[2,3,0,1] row_mask:0xf bank_mask:0xf
	v_add_f32_e32 v15, v15, v16
	s_nop 1
	v_mov_b32_dpp v16, v15 row_half_mirror row_mask:0xf bank_mask:0xf
	v_add_f32_e32 v15, v15, v16
	s_nop 1
	v_mov_b32_dpp v16, v15 row_mirror row_mask:0xf bank_mask:0xf
	v_add_f32_e32 v15, v15, v16
	s_nop 1
	v_mov_b32_dpp v16, v15 row_bcast:15 row_mask:0xf bank_mask:0xf
	v_add_f32_e32 v15, v15, v16
	s_nop 1
	v_mov_b32_dpp v16, v15 row_bcast:31 row_mask:0xf bank_mask:0xf
	s_and_saveexec_b64 s[2:3], s[0:1]
	s_cbranch_execz .LBB32_28
; %bb.27:
	v_lshrrev_b32_e32 v0, 4, v0
	v_add_f32_e32 v15, v15, v16
	v_and_b32_e32 v0, 60, v0
	ds_write_b32 v0, v15 offset:8
.LBB32_28:
	s_or_b64 exec, exec, s[2:3]
	s_waitcnt lgkmcnt(0)
	s_barrier
	ds_read_b32 v0, v14 offset:8
	s_waitcnt lgkmcnt(0)
	s_nop 0
	v_mov_b32_dpp v14, v0 quad_perm:[1,0,3,2] row_mask:0xf bank_mask:0xf
	s_and_saveexec_b64 s[0:1], vcc
	s_cbranch_execz .LBB32_10
; %bb.29:
	v_cvt_f32_u32_e32 v15, s16
	v_add_f32_e32 v0, v0, v14
	s_mov_b32 s11, 0x20000
	v_div_scale_f32 v14, s[0:1], v15, v15, v0
	v_rcp_f32_e32 v16, v14
	v_div_scale_f32 v17, vcc, v0, v15, v0
	s_mov_b32 s0, 0x800000
	v_fma_f32 v18, -v14, v16, 1.0
	v_fmac_f32_e32 v16, v18, v16
	v_mul_f32_e32 v18, v17, v16
	v_fma_f32 v19, -v14, v18, v17
	v_fmac_f32_e32 v18, v19, v16
	v_fma_f32 v14, -v14, v18, v17
	v_div_fmas_f32 v14, v14, v16, v18
	v_div_fixup_f32 v0, v14, v15, v0
	v_add_f32_e32 v0, s13, v0
	v_mul_f32_e32 v14, 0x4b800000, v0
	v_cmp_gt_f32_e32 vcc, s0, v0
	v_cndmask_b32_e32 v0, v0, v14, vcc
	v_rsq_f32_e32 v0, v0
	s_mul_hi_i32 s1, s7, s6
	s_mul_i32 s0, s7, s6
	s_lshl_b64 s[0:1], s[0:1], 1
	v_mul_f32_e32 v14, 0x45800000, v0
	v_cndmask_b32_e32 v14, v0, v14, vcc
	s_add_u32 s8, s24, s0
	v_mov_b32_e32 v15, v14
	s_addc_u32 s0, s25, s1
	;;#ASMSTART
	v_pk_mul_f32 v[12:13], v[12:13], v[14:15]
	;;#ASMEND
	;;#ASMSTART
	v_pk_mul_f32 v[10:11], v[10:11], v[14:15]
	;;#ASMEND
	;; [unrolled: 3-line block ×4, first 2 shown]
	s_waitcnt vmcnt(0)
	v_cvt_f32_u32_sdwa v15, v2 dst_sel:DWORD dst_unused:UNUSED_PAD src0_sel:WORD_1
	v_cvt_f32_u32_sdwa v14, v2 dst_sel:DWORD dst_unused:UNUSED_PAD src0_sel:WORD_0
	v_cvt_f32_u32_sdwa v17, v3 dst_sel:DWORD dst_unused:UNUSED_PAD src0_sel:WORD_1
	v_cvt_f32_u32_sdwa v16, v3 dst_sel:DWORD dst_unused:UNUSED_PAD src0_sel:WORD_0
	;; [unrolled: 2-line block ×4, first 2 shown]
	;;#ASMSTART
	v_pk_mul_f32 v[4:5], v[12:13], v[14:15]
	;;#ASMEND
	s_and_b32 s9, s0, 0xffff
	s_mov_b32 s0, 0x7060302
	;;#ASMSTART
	v_pk_mul_f32 v[10:11], v[10:11], v[16:17]
	;;#ASMEND
	;;#ASMSTART
	v_pk_mul_f32 v[8:9], v[8:9], v[2:3]
	;;#ASMEND
	;; [unrolled: 3-line block ×3, first 2 shown]
	v_perm_b32 v2, v5, v4, s0
	v_perm_b32 v3, v11, v10, s0
	;; [unrolled: 1-line block ×4, first 2 shown]
	buffer_store_dwordx4 v[2:5], v1, s[8:11], 0 offen
	;;#ASMSTART
	s_nop 0
	;;#ASMEND
	s_endpgm
	.section	.rodata,"a",@progbits
	.p2align	6, 0x0
	.amdhsa_kernel _ZN5aiter35fused_qk_rmsnorm_group_quant_kernelItDB8_Li128ELi8ELi1ELb0ELb0ELb0ELb0ELb1ELb1EEEvPT0_PvPT_S6_S6_PKS5_S8_S8_S8_S8_ffiiiiiiiiiiiii
		.amdhsa_group_segment_fixed_size 24
		.amdhsa_private_segment_fixed_size 0
		.amdhsa_kernarg_size 400
		.amdhsa_user_sgpr_count 6
		.amdhsa_user_sgpr_private_segment_buffer 1
		.amdhsa_user_sgpr_dispatch_ptr 0
		.amdhsa_user_sgpr_queue_ptr 0
		.amdhsa_user_sgpr_kernarg_segment_ptr 1
		.amdhsa_user_sgpr_dispatch_id 0
		.amdhsa_user_sgpr_flat_scratch_init 0
		.amdhsa_user_sgpr_kernarg_preload_length 0
		.amdhsa_user_sgpr_kernarg_preload_offset 0
		.amdhsa_user_sgpr_private_segment_size 0
		.amdhsa_uses_dynamic_stack 0
		.amdhsa_system_sgpr_private_segment_wavefront_offset 0
		.amdhsa_system_sgpr_workgroup_id_x 1
		.amdhsa_system_sgpr_workgroup_id_y 1
		.amdhsa_system_sgpr_workgroup_id_z 0
		.amdhsa_system_sgpr_workgroup_info 0
		.amdhsa_system_vgpr_workitem_id 0
		.amdhsa_next_free_vgpr 23
		.amdhsa_next_free_sgpr 32
		.amdhsa_accum_offset 24
		.amdhsa_reserve_vcc 1
		.amdhsa_reserve_flat_scratch 0
		.amdhsa_float_round_mode_32 0
		.amdhsa_float_round_mode_16_64 0
		.amdhsa_float_denorm_mode_32 3
		.amdhsa_float_denorm_mode_16_64 3
		.amdhsa_dx10_clamp 1
		.amdhsa_ieee_mode 1
		.amdhsa_fp16_overflow 0
		.amdhsa_tg_split 0
		.amdhsa_exception_fp_ieee_invalid_op 0
		.amdhsa_exception_fp_denorm_src 0
		.amdhsa_exception_fp_ieee_div_zero 0
		.amdhsa_exception_fp_ieee_overflow 0
		.amdhsa_exception_fp_ieee_underflow 0
		.amdhsa_exception_fp_ieee_inexact 0
		.amdhsa_exception_int_div_zero 0
	.end_amdhsa_kernel
	.section	.text._ZN5aiter35fused_qk_rmsnorm_group_quant_kernelItDB8_Li128ELi8ELi1ELb0ELb0ELb0ELb0ELb1ELb1EEEvPT0_PvPT_S6_S6_PKS5_S8_S8_S8_S8_ffiiiiiiiiiiiii,"axG",@progbits,_ZN5aiter35fused_qk_rmsnorm_group_quant_kernelItDB8_Li128ELi8ELi1ELb0ELb0ELb0ELb0ELb1ELb1EEEvPT0_PvPT_S6_S6_PKS5_S8_S8_S8_S8_ffiiiiiiiiiiiii,comdat
.Lfunc_end32:
	.size	_ZN5aiter35fused_qk_rmsnorm_group_quant_kernelItDB8_Li128ELi8ELi1ELb0ELb0ELb0ELb0ELb1ELb1EEEvPT0_PvPT_S6_S6_PKS5_S8_S8_S8_S8_ffiiiiiiiiiiiii, .Lfunc_end32-_ZN5aiter35fused_qk_rmsnorm_group_quant_kernelItDB8_Li128ELi8ELi1ELb0ELb0ELb0ELb0ELb1ELb1EEEvPT0_PvPT_S6_S6_PKS5_S8_S8_S8_S8_ffiiiiiiiiiiiii
                                        ; -- End function
	.section	.AMDGPU.csdata,"",@progbits
; Kernel info:
; codeLenInByte = 2580
; NumSgprs: 36
; NumVgprs: 23
; NumAgprs: 0
; TotalNumVgprs: 23
; ScratchSize: 0
; MemoryBound: 0
; FloatMode: 240
; IeeeMode: 1
; LDSByteSize: 24 bytes/workgroup (compile time only)
; SGPRBlocks: 4
; VGPRBlocks: 2
; NumSGPRsForWavesPerEU: 36
; NumVGPRsForWavesPerEU: 23
; AccumOffset: 24
; Occupancy: 8
; WaveLimiterHint : 0
; COMPUTE_PGM_RSRC2:SCRATCH_EN: 0
; COMPUTE_PGM_RSRC2:USER_SGPR: 6
; COMPUTE_PGM_RSRC2:TRAP_HANDLER: 0
; COMPUTE_PGM_RSRC2:TGID_X_EN: 1
; COMPUTE_PGM_RSRC2:TGID_Y_EN: 1
; COMPUTE_PGM_RSRC2:TGID_Z_EN: 0
; COMPUTE_PGM_RSRC2:TIDIG_COMP_CNT: 0
; COMPUTE_PGM_RSRC3_GFX90A:ACCUM_OFFSET: 5
; COMPUTE_PGM_RSRC3_GFX90A:TG_SPLIT: 0
	.section	.text._ZN5aiter35fused_qk_rmsnorm_group_quant_kernelIDF16_DB8_Li256ELi8ELi1ELb1ELb1ELb1ELb0ELb1ELb1EEEvPT0_PvPT_S6_S6_PKS5_S8_S8_S8_S8_ffiiiiiiiiiiiii,"axG",@progbits,_ZN5aiter35fused_qk_rmsnorm_group_quant_kernelIDF16_DB8_Li256ELi8ELi1ELb1ELb1ELb1ELb0ELb1ELb1EEEvPT0_PvPT_S6_S6_PKS5_S8_S8_S8_S8_ffiiiiiiiiiiiii,comdat
	.protected	_ZN5aiter35fused_qk_rmsnorm_group_quant_kernelIDF16_DB8_Li256ELi8ELi1ELb1ELb1ELb1ELb0ELb1ELb1EEEvPT0_PvPT_S6_S6_PKS5_S8_S8_S8_S8_ffiiiiiiiiiiiii ; -- Begin function _ZN5aiter35fused_qk_rmsnorm_group_quant_kernelIDF16_DB8_Li256ELi8ELi1ELb1ELb1ELb1ELb0ELb1ELb1EEEvPT0_PvPT_S6_S6_PKS5_S8_S8_S8_S8_ffiiiiiiiiiiiii
	.globl	_ZN5aiter35fused_qk_rmsnorm_group_quant_kernelIDF16_DB8_Li256ELi8ELi1ELb1ELb1ELb1ELb0ELb1ELb1EEEvPT0_PvPT_S6_S6_PKS5_S8_S8_S8_S8_ffiiiiiiiiiiiii
	.p2align	8
	.type	_ZN5aiter35fused_qk_rmsnorm_group_quant_kernelIDF16_DB8_Li256ELi8ELi1ELb1ELb1ELb1ELb0ELb1ELb1EEEvPT0_PvPT_S6_S6_PKS5_S8_S8_S8_S8_ffiiiiiiiiiiiii,@function
_ZN5aiter35fused_qk_rmsnorm_group_quant_kernelIDF16_DB8_Li256ELi8ELi1ELb1ELb1ELb1ELb0ELb1ELb1EEEvPT0_PvPT_S6_S6_PKS5_S8_S8_S8_S8_ffiiiiiiiiiiiii: ; @_ZN5aiter35fused_qk_rmsnorm_group_quant_kernelIDF16_DB8_Li256ELi8ELi1ELb1ELb1ELb1ELb0ELb1ELb1EEEvPT0_PvPT_S6_S6_PKS5_S8_S8_S8_S8_ffiiiiiiiiiiiii
; %bb.0:
	s_load_dwordx8 s[12:19], s[4:5], 0x50
	s_waitcnt lgkmcnt(0)
	s_cmp_ge_i32 s6, s14
	s_cbranch_scc1 .LBB33_17
; %bb.1:
	s_cmp_lg_u32 s7, 0
	s_cselect_b64 s[22:23], -1, 0
	s_cmp_eq_u32 s7, 0
	s_cselect_b64 s[8:9], -1, 0
	s_and_b64 s[0:1], s[8:9], exec
	s_load_dwordx2 s[10:11], s[4:5], 0x70
	s_load_dwordx2 s[20:21], s[4:5], 0x48
	;; [unrolled: 1-line block ×3, first 2 shown]
	s_cselect_b32 s7, s15, s16
	s_add_i32 s0, s7, 1
	s_lshr_b32 s1, s0, 31
	s_add_i32 s0, s0, s1
	s_lshl_b32 s0, s0, 1
	v_lshlrev_b32_e32 v1, 3, v0
	s_and_b32 s30, s0, -4
	v_cmp_gt_i32_e64 s[0:1], s7, v1
	v_mov_b32_e32 v20, 0
	v_mov_b32_e32 v21, 0
	;; [unrolled: 1-line block ×8, first 2 shown]
	s_and_saveexec_b64 s[2:3], s[0:1]
	s_cbranch_execz .LBB33_3
; %bb.2:
	s_load_dwordx2 s[24:25], s[4:5], 0x28
	s_load_dwordx2 s[26:27], s[4:5], 0x40
	s_and_b64 s[28:29], s[8:9], exec
	s_cselect_b32 s14, s17, s18
	s_mov_b32 s31, 0x20000
	s_waitcnt lgkmcnt(0)
	s_cselect_b32 s17, s25, s35
	s_cselect_b32 s28, s24, s34
	s_mul_hi_i32 s25, s14, s6
	s_mul_i32 s24, s14, s6
	s_lshl_b64 s[24:25], s[24:25], 1
	s_add_u32 s24, s28, s24
	s_addc_u32 s14, s17, s25
	s_and_b64 s[28:29], s[8:9], exec
	s_cselect_b32 s28, s26, s20
	s_cselect_b32 s17, s27, s21
	v_lshlrev_b32_e32 v2, 4, v0
	s_and_b32 s25, s14, 0xffff
	s_mov_b32 s26, s30
	s_mov_b32 s27, s31
	s_and_b32 s29, s17, 0xffff
	buffer_load_dwordx4 v[24:27], v2, s[24:27], 0 offen glc slc
	buffer_load_dwordx4 v[20:23], v2, s[28:31], 0 offen
.LBB33_3:
	s_or_b64 exec, exec, s[2:3]
	s_load_dwordx4 s[24:27], s[4:5], 0x7c
	s_and_b64 vcc, exec, s[22:23]
	s_cbranch_vccz .LBB33_7
; %bb.4:
	v_mov_b32_e32 v29, 0
	v_mov_b32_e32 v28, 0
	;; [unrolled: 1-line block ×8, first 2 shown]
	s_and_saveexec_b64 s[2:3], s[0:1]
	s_cbranch_execz .LBB33_6
; %bb.5:
	s_waitcnt vmcnt(1)
	v_cvt_f32_f16_sdwa v11, v24 dst_sel:DWORD dst_unused:UNUSED_PAD src0_sel:WORD_1
	v_cvt_f32_f16_e32 v10, v24
	v_cvt_f32_f16_sdwa v15, v25 dst_sel:DWORD dst_unused:UNUSED_PAD src0_sel:WORD_1
	v_cvt_f32_f16_e32 v14, v25
	v_cvt_f32_f16_sdwa v7, v26 dst_sel:DWORD dst_unused:UNUSED_PAD src0_sel:WORD_1
	v_cvt_f32_f16_e32 v6, v26
	v_cvt_f32_f16_sdwa v29, v27 dst_sel:DWORD dst_unused:UNUSED_PAD src0_sel:WORD_1
	v_cvt_f32_f16_e32 v28, v27
.LBB33_6:
	s_or_b64 exec, exec, s[2:3]
	s_cbranch_execz .LBB33_8
	s_branch .LBB33_11
.LBB33_7:
                                        ; implicit-def: $vgpr10_vgpr11_vgpr12_vgpr13_vgpr14_vgpr15_vgpr16_vgpr17
                                        ; implicit-def: $vgpr29
                                        ; implicit-def: $vgpr12_vgpr13_vgpr14_vgpr15_vgpr16_vgpr17_vgpr18_vgpr19
                                        ; implicit-def: $vgpr2_vgpr3_vgpr4_vgpr5_vgpr6_vgpr7_vgpr8_vgpr9
.LBB33_8:
	v_mov_b32_e32 v29, 0
	v_mov_b32_e32 v28, 0
	;; [unrolled: 1-line block ×8, first 2 shown]
	s_and_saveexec_b64 s[2:3], s[0:1]
	s_cbranch_execz .LBB33_10
; %bb.9:
	s_load_dwordx2 s[28:29], s[4:5], 0x38
	s_mul_hi_i32 s37, s19, s6
	s_mul_i32 s36, s19, s6
	s_lshl_b64 s[36:37], s[36:37], 1
	s_mov_b32 s31, 0x20000
	s_waitcnt lgkmcnt(0)
	s_add_u32 s28, s28, s36
	s_addc_u32 s14, s29, s37
	s_and_b32 s29, s14, 0xffff
	v_lshlrev_b32_e32 v30, 4, v0
	buffer_load_dwordx4 v[2:5], v30, s[28:31], 0 offen glc slc
	s_waitcnt vmcnt(2)
	v_cvt_f32_f16_sdwa v7, v24 dst_sel:DWORD dst_unused:UNUSED_PAD src0_sel:WORD_1
	v_cvt_f32_f16_e32 v6, v24
	v_cvt_f32_f16_sdwa v9, v25 dst_sel:DWORD dst_unused:UNUSED_PAD src0_sel:WORD_1
	v_cvt_f32_f16_e32 v8, v25
	;; [unrolled: 2-line block ×4, first 2 shown]
	s_load_dwordx2 s[28:29], s[4:5], 0x20
	s_mul_hi_i32 s27, s26, s6
	s_mul_i32 s26, s26, s6
	s_lshl_b64 s[26:27], s[26:27], 1
	s_waitcnt lgkmcnt(0)
	s_add_u32 s28, s28, s26
	s_addc_u32 s14, s29, s27
	s_and_b32 s29, s14, 0xffff
	s_waitcnt vmcnt(0)
	v_cvt_f32_f16_e32 v10, v2
	v_cvt_f32_f16_sdwa v11, v2 dst_sel:DWORD dst_unused:UNUSED_PAD src0_sel:WORD_1
	v_cvt_f32_f16_e32 v2, v3
	v_cvt_f32_f16_sdwa v3, v3 dst_sel:DWORD dst_unused:UNUSED_PAD src0_sel:WORD_1
	v_cvt_f32_f16_e32 v18, v4
	v_cvt_f32_f16_sdwa v19, v4 dst_sel:DWORD dst_unused:UNUSED_PAD src0_sel:WORD_1
	v_cvt_f32_f16_e32 v4, v5
	v_cvt_f32_f16_sdwa v5, v5 dst_sel:DWORD dst_unused:UNUSED_PAD src0_sel:WORD_1
	v_pk_add_f32 v[10:11], v[6:7], v[10:11]
	v_pk_add_f32 v[14:15], v[8:9], v[2:3]
	;; [unrolled: 1-line block ×4, first 2 shown]
	v_cvt_f16_f32_e32 v2, v11
	v_cvt_f16_f32_e32 v3, v15
	;; [unrolled: 1-line block ×8, first 2 shown]
	v_pack_b32_f16 v5, v8, v5
	v_pack_b32_f16 v4, v9, v4
	;; [unrolled: 1-line block ×4, first 2 shown]
	buffer_store_dwordx4 v[2:5], v30, s[28:31], 0 offen glc slc
	;;#ASMSTART
	s_nop 0
	;;#ASMEND
.LBB33_10:
	s_or_b64 exec, exec, s[2:3]
.LBB33_11:
	v_mul_f32_e32 v2, v11, v11
	v_fmac_f32_e32 v2, v10, v10
	v_fmac_f32_e32 v2, v14, v14
	;; [unrolled: 1-line block ×7, first 2 shown]
	v_and_b32_e32 v4, 63, v0
	v_cmp_eq_u32_e64 s[2:3], 63, v4
	v_mov_b32_dpp v3, v2 quad_perm:[1,0,3,2] row_mask:0xf bank_mask:0xf
	v_add_f32_e32 v2, v2, v3
	s_nop 1
	v_mov_b32_dpp v3, v2 quad_perm:[2,3,0,1] row_mask:0xf bank_mask:0xf
	v_add_f32_e32 v2, v2, v3
	s_nop 1
	v_mov_b32_dpp v3, v2 row_half_mirror row_mask:0xf bank_mask:0xf
	v_add_f32_e32 v2, v2, v3
	s_nop 1
	v_mov_b32_dpp v3, v2 row_mirror row_mask:0xf bank_mask:0xf
	v_add_f32_e32 v2, v2, v3
	s_nop 1
	v_mov_b32_dpp v3, v2 row_bcast:15 row_mask:0xf bank_mask:0xf
	v_add_f32_e32 v2, v2, v3
	s_nop 1
	v_mov_b32_dpp v3, v2 row_bcast:31 row_mask:0xf bank_mask:0xf
	s_waitcnt lgkmcnt(0)
	s_and_saveexec_b64 s[26:27], s[2:3]
	s_cbranch_execz .LBB33_13
; %bb.12:
	v_add_f32_e32 v2, v2, v3
	v_lshrrev_b32_e32 v3, 4, v0
	v_and_b32_e32 v3, 60, v3
	ds_write_b32 v3, v2 offset:32
.LBB33_13:
	s_or_b64 exec, exec, s[26:27]
	v_and_b32_e32 v2, 3, v0
	v_lshlrev_b32_e32 v18, 2, v2
	s_waitcnt lgkmcnt(0)
	s_barrier
	ds_read_b32 v2, v18 offset:32
	s_load_dwordx2 s[26:27], s[4:5], 0x18
	s_waitcnt lgkmcnt(0)
	v_mov_b32_dpp v3, v2 quad_perm:[1,0,3,2] row_mask:0xf bank_mask:0xf
	v_add_f32_e32 v2, v2, v3
	s_nop 1
	v_mov_b32_dpp v3, v2 quad_perm:[2,3,0,1] row_mask:0xf bank_mask:0xf
	s_and_saveexec_b64 s[28:29], s[0:1]
	s_cbranch_execnz .LBB33_18
; %bb.14:
	s_or_b64 exec, exec, s[28:29]
	s_mov_b64 s[8:9], -1
	s_and_b64 vcc, exec, s[22:23]
	s_cbranch_vccnz .LBB33_19
.LBB33_15:
	s_andn2_b64 vcc, exec, s[8:9]
	s_cbranch_vccz .LBB33_22
.LBB33_16:
	s_cmp_lt_i32 s16, 1
	s_cbranch_scc0 .LBB33_33
.LBB33_17:
	s_endpgm
.LBB33_18:
	v_cvt_f32_u32_e32 v4, s7
	v_add_f32_e32 v2, v2, v3
	v_mov_b32_e32 v8, s13
	v_mov_b32_e32 v9, s12
	v_div_scale_f32 v3, s[36:37], v4, v4, v2
	v_rcp_f32_e32 v5, v3
	v_cndmask_b32_e64 v8, v8, v9, s[8:9]
	s_mov_b32 s7, 0x800000
	s_waitcnt vmcnt(0)
	v_cvt_f32_f16_sdwa v17, v23 dst_sel:DWORD dst_unused:UNUSED_PAD src0_sel:WORD_1
	v_fma_f32 v9, -v3, v5, 1.0
	v_fmac_f32_e32 v5, v9, v5
	v_div_scale_f32 v9, vcc, v2, v4, v2
	v_mul_f32_e32 v12, v9, v5
	v_fma_f32 v13, -v3, v12, v9
	v_fmac_f32_e32 v12, v13, v5
	v_fma_f32 v3, -v3, v12, v9
	v_div_fmas_f32 v3, v3, v5, v12
	v_div_fixup_f32 v2, v3, v4, v2
	v_add_f32_e32 v2, v8, v2
	v_mul_f32_e32 v3, 0x4b800000, v2
	v_cmp_gt_f32_e32 vcc, s7, v2
	v_cndmask_b32_e32 v2, v2, v3, vcc
	v_rsq_f32_e32 v2, v2
	v_cvt_f32_f16_sdwa v13, v21 dst_sel:DWORD dst_unused:UNUSED_PAD src0_sel:WORD_1
	v_cvt_f32_f16_e32 v12, v21
	v_cvt_f32_f16_e32 v16, v23
	v_mul_f32_e32 v3, 0x45800000, v2
	v_cndmask_b32_e32 v2, v2, v3, vcc
	v_mov_b32_e32 v3, v2
	;;#ASMSTART
	v_pk_mul_f32 v[4:5], v[10:11], v[2:3]
	;;#ASMEND
	v_cvt_f32_f16_sdwa v11, v20 dst_sel:DWORD dst_unused:UNUSED_PAD src0_sel:WORD_1
	v_cvt_f32_f16_e32 v10, v20
	;;#ASMSTART
	v_pk_mul_f32 v[8:9], v[14:15], v[2:3]
	;;#ASMEND
	;;#ASMSTART
	v_pk_mul_f32 v[6:7], v[6:7], v[2:3]
	;;#ASMEND
	;; [unrolled: 3-line block ×3, first 2 shown]
	v_pk_add_f32 v[10:11], v[10:11], 1.0 op_sel_hi:[1,0]
	;;#ASMSTART
	v_pk_mul_f32 v[10:11], v[4:5], v[10:11]
	;;#ASMEND
	v_pk_add_f32 v[4:5], v[12:13], 1.0 op_sel_hi:[1,0]
	v_cvt_f32_f16_sdwa v13, v22 dst_sel:DWORD dst_unused:UNUSED_PAD src0_sel:WORD_1
	v_cvt_f32_f16_e32 v12, v22
	;;#ASMSTART
	v_pk_mul_f32 v[14:15], v[8:9], v[4:5]
	;;#ASMEND
	v_pk_add_f32 v[4:5], v[12:13], 1.0 op_sel_hi:[1,0]
	;;#ASMSTART
	v_pk_mul_f32 v[6:7], v[6:7], v[4:5]
	;;#ASMEND
	v_pk_add_f32 v[4:5], v[16:17], 1.0 op_sel_hi:[1,0]
	;;#ASMSTART
	v_pk_mul_f32 v[28:29], v[2:3], v[4:5]
	;;#ASMEND
	s_or_b64 exec, exec, s[28:29]
	s_mov_b64 s[8:9], -1
	s_and_b64 vcc, exec, s[22:23]
	s_cbranch_vccz .LBB33_15
.LBB33_19:
	s_and_saveexec_b64 s[8:9], s[0:1]
	s_cbranch_execz .LBB33_21
; %bb.20:
	s_mul_hi_i32 s23, s25, s6
	s_mul_i32 s22, s25, s6
	v_cvt_f16_f32_e32 v2, v10
	v_cvt_f16_f32_e32 v3, v14
	;; [unrolled: 1-line block ×8, first 2 shown]
	s_lshl_b64 s[22:23], s[22:23], 1
	s_add_u32 s28, s26, s22
	s_addc_u32 s7, s27, s23
	s_and_b32 s29, s7, 0xffff
	s_mov_b32 s31, 0x20000
	v_pack_b32_f16 v5, v5, v8
	v_pack_b32_f16 v4, v4, v9
	;; [unrolled: 1-line block ×4, first 2 shown]
	v_lshlrev_b32_e32 v8, 4, v0
	buffer_store_dwordx4 v[2:5], v8, s[28:31], 0 offen
	;;#ASMSTART
	s_nop 0
	;;#ASMEND
.LBB33_21:
	s_or_b64 exec, exec, s[8:9]
	s_cbranch_execnz .LBB33_16
.LBB33_22:
	v_mov_b32_e32 v2, 0
	s_and_saveexec_b64 s[8:9], s[0:1]
	s_cbranch_execz .LBB33_24
; %bb.23:
	s_load_dwordx2 s[22:23], s[4:5], 0x10
	s_mul_hi_i32 s29, s24, s6
	s_mul_i32 s28, s24, s6
	v_cvt_f16_f32_e32 v2, v10
	v_cvt_f16_f32_e32 v3, v14
	;; [unrolled: 1-line block ×8, first 2 shown]
	s_lshl_b64 s[28:29], s[28:29], 1
	s_waitcnt lgkmcnt(0)
	s_add_u32 s28, s22, s28
	s_addc_u32 s7, s23, s29
	s_mov_b32 s31, 0x20000
	s_and_b32 s29, s7, 0xffff
	v_pack_b32_f16 v5, v5, v8
	v_pack_b32_f16 v4, v4, v9
	;; [unrolled: 1-line block ×4, first 2 shown]
	v_lshlrev_b32_e32 v8, 4, v0
	buffer_store_dwordx4 v[2:5], v8, s[28:31], 0 offen
	;;#ASMSTART
	s_nop 0
	;;#ASMEND
	s_nop 0
	v_mov_b32_e32 v2, 0x2edbe6ff
.LBB33_24:
	s_or_b64 exec, exec, s[8:9]
	s_and_saveexec_b64 s[8:9], s[0:1]
	s_cbranch_execz .LBB33_26
; %bb.25:
	v_and_b32_e32 v3, 0x7fffffff, v10
	v_and_b32_e32 v4, 0x7fffffff, v11
	;;#ASMSTART
	v_max3_f32 v2, v2, v3, v4

	;;#ASMEND
	v_and_b32_e32 v3, 0x7fffffff, v14
	v_and_b32_e32 v4, 0x7fffffff, v15
	;;#ASMSTART
	v_max3_f32 v2, v2, v3, v4

	;;#ASMEND
	v_and_b32_e32 v3, 0x7fffffff, v6
	v_and_b32_e32 v4, 0x7fffffff, v7
	;;#ASMSTART
	v_max3_f32 v2, v2, v3, v4

	;;#ASMEND
	v_and_b32_e32 v3, 0x7fffffff, v28
	v_and_b32_e32 v4, 0x7fffffff, v29
	;;#ASMSTART
	v_max3_f32 v2, v2, v3, v4

	;;#ASMEND
.LBB33_26:
	s_or_b64 exec, exec, s[8:9]
	s_nop 0
	v_mov_b32_dpp v3, v2 quad_perm:[1,0,3,2] row_mask:0xf bank_mask:0xf
	v_cmp_gt_f32_e32 vcc, v2, v3
	v_cndmask_b32_e32 v2, v3, v2, vcc
	s_nop 1
	v_mov_b32_dpp v3, v2 quad_perm:[2,3,0,1] row_mask:0xf bank_mask:0xf
	v_cmp_gt_f32_e32 vcc, v2, v3
	v_cndmask_b32_e32 v2, v3, v2, vcc
	s_nop 1
	v_mov_b32_dpp v3, v2 row_half_mirror row_mask:0xf bank_mask:0xf
	v_cmp_gt_f32_e32 vcc, v2, v3
	v_cndmask_b32_e32 v2, v3, v2, vcc
	s_nop 1
	v_mov_b32_dpp v3, v2 row_mirror row_mask:0xf bank_mask:0xf
	v_cmp_gt_f32_e32 vcc, v2, v3
	v_cndmask_b32_e32 v2, v3, v2, vcc
	s_nop 1
	v_mov_b32_dpp v3, v2 row_bcast:15 row_mask:0xf bank_mask:0xf
	v_cmp_gt_f32_e32 vcc, v2, v3
	v_cndmask_b32_e32 v2, v3, v2, vcc
	s_nop 1
	v_mov_b32_dpp v3, v2 row_bcast:31 row_mask:0xf bank_mask:0xf
	s_and_saveexec_b64 s[8:9], s[2:3]
	s_cbranch_execz .LBB33_28
; %bb.27:
	v_cmp_gt_f32_e32 vcc, v2, v3
	v_cndmask_b32_e32 v2, v3, v2, vcc
	v_lshrrev_b32_e32 v3, 4, v0
	v_and_b32_e32 v3, 60, v3
	ds_write_b32 v3, v2
.LBB33_28:
	s_or_b64 exec, exec, s[8:9]
	s_waitcnt lgkmcnt(0)
	s_barrier
	ds_read_b32 v2, v18
	s_waitcnt lgkmcnt(0)
	s_nop 0
	v_mov_b32_dpp v3, v2 quad_perm:[1,0,3,2] row_mask:0xf bank_mask:0xf
	v_cmp_gt_f32_e32 vcc, v2, v3
	v_cndmask_b32_e32 v2, v3, v2, vcc
	s_nop 1
	v_mov_b32_dpp v3, v2 quad_perm:[2,3,0,1] row_mask:0xf bank_mask:0xf
	v_cmp_gt_f32_e32 vcc, v2, v3
	v_cndmask_b32_e32 v2, v3, v2, vcc
	v_mul_f32_e32 v2, 0x3b124925, v2
	v_cmp_eq_u32_e32 vcc, 0, v0
	s_and_saveexec_b64 s[8:9], vcc
	s_cbranch_execz .LBB33_30
; %bb.29:
	s_load_dwordx2 s[22:23], s[4:5], 0x8
	s_mul_hi_i32 s29, s11, s6
	s_mul_i32 s28, s11, s6
	s_lshl_b64 s[28:29], s[28:29], 2
	v_mov_b32_e32 v3, 0
	s_waitcnt lgkmcnt(0)
	s_add_u32 s22, s22, s28
	s_addc_u32 s23, s23, s29
	global_store_dword v3, v2, s[22:23]
.LBB33_30:
	s_or_b64 exec, exec, s[8:9]
	;;#ASMSTART
	v_rcp_f32 v2, v2
	;;#ASMEND
	s_and_saveexec_b64 s[22:23], s[0:1]
	s_cbranch_execz .LBB33_32
; %bb.31:
	s_load_dwordx2 s[0:1], s[4:5], 0x0
	s_mul_i32 s8, s10, s6
	v_mov_b32_e32 v3, v2
	;;#ASMSTART
	v_pk_mul_f32 v[4:5], v[10:11], v[2:3]
	;;#ASMEND
	s_mul_hi_i32 s7, s10, s6
	s_waitcnt lgkmcnt(0)
	s_add_u32 s8, s0, s8
	v_mov_b32_e32 v8, 0xc3e00000
	v_mov_b32_e32 v9, 0x43e00000
	;;#ASMSTART
	v_med3_f32 v4, v4, v8, v9
v_med3_f32 v5, v5, v8, v9
v_cvt_pk_fp8_f32 v10, v4, v5
	;;#ASMEND
	s_addc_u32 s0, s1, s7
	;;#ASMSTART
	v_pk_mul_f32 v[4:5], v[14:15], v[2:3]
	;;#ASMEND
	s_and_b32 s9, s0, 0xffff
	;;#ASMSTART
	v_med3_f32 v4, v4, v8, v9
v_med3_f32 v5, v5, v8, v9
v_cvt_pk_fp8_f32 v11, v4, v5
	;;#ASMEND
	s_mov_b32 s0, 0x5040100
	v_perm_b32 v5, v11, v10, s0
	s_movk_i32 s0, 0xff
	v_and_b32_e32 v4, 0xffffff00, v11
	v_and_b32_sdwa v10, v5, s0 dst_sel:DWORD dst_unused:UNUSED_PAD src0_sel:WORD_1 src1_sel:DWORD
	s_mov_b32 s12, 0xffff
	v_or_b32_sdwa v4, v10, v4 dst_sel:WORD_1 dst_unused:UNUSED_PAD src0_sel:DWORD src1_sel:DWORD
	s_add_i32 s1, s15, 3
	v_and_or_b32 v4, v5, s12, v4
	;;#ASMSTART
	v_pk_mul_f32 v[6:7], v[6:7], v[2:3]
	;;#ASMEND
	v_mov_b32_e32 v5, v6
	s_ashr_i32 s7, s1, 31
	;;#ASMSTART
	v_med3_f32 v5, v5, v8, v9
v_med3_f32 v7, v7, v8, v9
v_cvt_pk_fp8_f32 v6, v5, v7
	;;#ASMEND
	;;#ASMSTART
	v_pk_mul_f32 v[2:3], v[28:29], v[2:3]
	;;#ASMEND
	s_lshr_b32 s7, s7, 30
	;;#ASMSTART
	v_med3_f32 v2, v2, v8, v9
v_med3_f32 v3, v3, v8, v9
v_cvt_pk_fp8_f32 v5, v2, v3
	;;#ASMEND
	s_add_i32 s1, s1, s7
	v_lshlrev_b32_e32 v2, 16, v5
	s_and_b32 s10, s1, -4
	s_mov_b32 s11, 0x20000
	v_and_or_b32 v5, v6, s12, v2
	buffer_store_dwordx2 v[4:5], v1, s[8:11], 0 offen
	;;#ASMSTART
	s_nop 0
	;;#ASMEND
.LBB33_32:
	s_or_b64 exec, exec, s[22:23]
	s_cmp_lt_i32 s16, 1
	s_cbranch_scc1 .LBB33_17
.LBB33_33:
	s_load_dword s0, s[4:5], 0x94
	s_waitcnt lgkmcnt(0)
	s_cmp_lg_u32 s0, 1
	s_cbranch_scc1 .LBB33_17
; %bb.34:
	s_lshl_b32 s0, s16, 1
	s_add_i32 s0, s0, 2
	v_cmp_gt_u32_e32 vcc, s16, v1
	s_and_b32 s22, s0, -4
	v_mov_b32_e32 v10, 0
	v_lshlrev_b32_e32 v1, 4, v0
	v_mov_b32_e32 v6, 0
	v_mov_b32_e32 v7, 0
	v_mov_b32_e32 v8, 0
	v_mov_b32_e32 v9, 0
	v_mov_b32_e32 v2, 0
	v_mov_b32_e32 v3, 0
	v_mov_b32_e32 v4, 0
	v_mov_b32_e32 v5, 0
	s_barrier
	s_and_saveexec_b64 s[0:1], vcc
	s_cbranch_execz .LBB33_36
; %bb.35:
	s_mul_hi_i32 s5, s18, s6
	s_mul_i32 s4, s18, s6
	s_and_b32 s21, s21, 0xffff
	s_lshl_b64 s[4:5], s[4:5], 1
	s_add_u32 s8, s34, s4
	s_mov_b32 s23, 0x20000
	s_addc_u32 s4, s35, s5
	s_and_b32 s9, s4, 0xffff
	s_mov_b32 s10, s22
	s_mov_b32 s11, s23
	buffer_load_dwordx4 v[6:9], v1, s[8:11], 0 offen glc slc
	buffer_load_dwordx4 v[2:5], v1, s[20:23], 0 offen
.LBB33_36:
	s_or_b64 exec, exec, s[0:1]
	v_mov_b32_e32 v11, 0
	v_mov_b32_e32 v16, 0
	;; [unrolled: 1-line block ×7, first 2 shown]
	s_and_saveexec_b64 s[0:1], vcc
	s_cbranch_execz .LBB33_38
; %bb.37:
	s_waitcnt vmcnt(1)
	v_cvt_f32_f16_sdwa v11, v6 dst_sel:DWORD dst_unused:UNUSED_PAD src0_sel:WORD_1
	v_cvt_f32_f16_e32 v10, v6
	v_cvt_f32_f16_sdwa v17, v7 dst_sel:DWORD dst_unused:UNUSED_PAD src0_sel:WORD_1
	v_cvt_f32_f16_e32 v16, v7
	;; [unrolled: 2-line block ×4, first 2 shown]
.LBB33_38:
	s_or_b64 exec, exec, s[0:1]
	s_waitcnt vmcnt(1)
	v_mul_f32_e32 v6, v11, v11
	v_fmac_f32_e32 v6, v10, v10
	v_fmac_f32_e32 v6, v16, v16
	;; [unrolled: 1-line block ×7, first 2 shown]
	s_nop 1
	v_mov_b32_dpp v7, v6 quad_perm:[1,0,3,2] row_mask:0xf bank_mask:0xf
	v_add_f32_e32 v6, v6, v7
	s_nop 1
	v_mov_b32_dpp v7, v6 quad_perm:[2,3,0,1] row_mask:0xf bank_mask:0xf
	v_add_f32_e32 v6, v6, v7
	s_nop 1
	v_mov_b32_dpp v7, v6 row_half_mirror row_mask:0xf bank_mask:0xf
	v_add_f32_e32 v6, v6, v7
	s_nop 1
	v_mov_b32_dpp v7, v6 row_mirror row_mask:0xf bank_mask:0xf
	v_add_f32_e32 v6, v6, v7
	s_nop 1
	v_mov_b32_dpp v7, v6 row_bcast:15 row_mask:0xf bank_mask:0xf
	v_add_f32_e32 v6, v6, v7
	s_nop 1
	v_mov_b32_dpp v7, v6 row_bcast:31 row_mask:0xf bank_mask:0xf
	s_and_saveexec_b64 s[0:1], s[2:3]
	s_cbranch_execz .LBB33_40
; %bb.39:
	v_lshrrev_b32_e32 v0, 4, v0
	v_add_f32_e32 v6, v6, v7
	v_and_b32_e32 v0, 60, v0
	ds_write_b32 v0, v6 offset:16
.LBB33_40:
	s_or_b64 exec, exec, s[0:1]
	s_waitcnt lgkmcnt(0)
	s_barrier
	ds_read_b32 v0, v18 offset:16
	s_waitcnt lgkmcnt(0)
	s_nop 0
	v_mov_b32_dpp v6, v0 quad_perm:[1,0,3,2] row_mask:0xf bank_mask:0xf
	v_add_f32_e32 v0, v0, v6
	s_nop 1
	v_mov_b32_dpp v6, v0 quad_perm:[2,3,0,1] row_mask:0xf bank_mask:0xf
	s_and_saveexec_b64 s[0:1], vcc
	s_cbranch_execz .LBB33_17
; %bb.41:
	v_cvt_f32_u32_e32 v7, s16
	v_add_f32_e32 v0, v0, v6
	s_mov_b32 s23, 0x20000
	v_div_scale_f32 v6, s[0:1], v7, v7, v0
	v_rcp_f32_e32 v8, v6
	v_div_scale_f32 v9, vcc, v0, v7, v0
	s_mov_b32 s0, 0x800000
	v_fma_f32 v18, -v6, v8, 1.0
	v_fmac_f32_e32 v8, v18, v8
	v_mul_f32_e32 v18, v9, v8
	v_fma_f32 v19, -v6, v18, v9
	v_fmac_f32_e32 v18, v19, v8
	v_fma_f32 v6, -v6, v18, v9
	v_div_fmas_f32 v6, v6, v8, v18
	v_div_fixup_f32 v0, v6, v7, v0
	v_add_f32_e32 v0, s13, v0
	v_mul_f32_e32 v6, 0x4b800000, v0
	v_cmp_gt_f32_e32 vcc, s0, v0
	v_cndmask_b32_e32 v0, v0, v6, vcc
	v_rsq_f32_e32 v0, v0
	s_waitcnt vmcnt(0)
	v_cvt_f32_f16_sdwa v19, v3 dst_sel:DWORD dst_unused:UNUSED_PAD src0_sel:WORD_1
	v_cvt_f32_f16_e32 v18, v3
	s_mul_hi_i32 s1, s25, s6
	v_mul_f32_e32 v6, 0x45800000, v0
	v_cndmask_b32_e32 v6, v0, v6, vcc
	v_mov_b32_e32 v7, v6
	;;#ASMSTART
	v_pk_mul_f32 v[8:9], v[10:11], v[6:7]
	;;#ASMEND
	;;#ASMSTART
	v_pk_mul_f32 v[10:11], v[16:17], v[6:7]
	;;#ASMEND
	v_cvt_f32_f16_sdwa v17, v2 dst_sel:DWORD dst_unused:UNUSED_PAD src0_sel:WORD_1
	v_cvt_f32_f16_e32 v16, v2
	;;#ASMSTART
	v_pk_mul_f32 v[14:15], v[14:15], v[6:7]
	;;#ASMEND
	;;#ASMSTART
	v_pk_mul_f32 v[2:3], v[12:13], v[6:7]
	;;#ASMEND
	v_cvt_f32_f16_sdwa v13, v4 dst_sel:DWORD dst_unused:UNUSED_PAD src0_sel:WORD_1
	v_cvt_f32_f16_e32 v12, v4
	v_pk_add_f32 v[6:7], v[16:17], 1.0 op_sel_hi:[1,0]
	v_cvt_f32_f16_sdwa v17, v5 dst_sel:DWORD dst_unused:UNUSED_PAD src0_sel:WORD_1
	v_cvt_f32_f16_e32 v16, v5
	;;#ASMSTART
	v_pk_mul_f32 v[6:7], v[8:9], v[6:7]
	;;#ASMEND
	v_pk_add_f32 v[8:9], v[18:19], 1.0 op_sel_hi:[1,0]
	;;#ASMSTART
	v_pk_mul_f32 v[4:5], v[10:11], v[8:9]
	;;#ASMEND
	v_pk_add_f32 v[8:9], v[12:13], 1.0 op_sel_hi:[1,0]
	;; [unrolled: 4-line block ×3, first 2 shown]
	;;#ASMSTART
	v_pk_mul_f32 v[2:3], v[2:3], v[10:11]
	;;#ASMEND
	s_mul_i32 s0, s25, s6
	v_cvt_f16_f32_e32 v0, v6
	v_cvt_f16_f32_e32 v6, v7
	;; [unrolled: 1-line block ×8, first 2 shown]
	s_lshl_b64 s[0:1], s[0:1], 1
	s_add_u32 s20, s26, s0
	s_addc_u32 s0, s27, s1
	s_and_b32 s21, s0, 0xffff
	v_pack_b32_f16 v2, v0, v6
	v_pack_b32_f16 v3, v4, v5
	;; [unrolled: 1-line block ×4, first 2 shown]
	buffer_store_dwordx4 v[2:5], v1, s[20:23], 0 offen
	;;#ASMSTART
	s_nop 0
	;;#ASMEND
	s_endpgm
	.section	.rodata,"a",@progbits
	.p2align	6, 0x0
	.amdhsa_kernel _ZN5aiter35fused_qk_rmsnorm_group_quant_kernelIDF16_DB8_Li256ELi8ELi1ELb1ELb1ELb1ELb0ELb1ELb1EEEvPT0_PvPT_S6_S6_PKS5_S8_S8_S8_S8_ffiiiiiiiiiiiii
		.amdhsa_group_segment_fixed_size 48
		.amdhsa_private_segment_fixed_size 0
		.amdhsa_kernarg_size 400
		.amdhsa_user_sgpr_count 6
		.amdhsa_user_sgpr_private_segment_buffer 1
		.amdhsa_user_sgpr_dispatch_ptr 0
		.amdhsa_user_sgpr_queue_ptr 0
		.amdhsa_user_sgpr_kernarg_segment_ptr 1
		.amdhsa_user_sgpr_dispatch_id 0
		.amdhsa_user_sgpr_flat_scratch_init 0
		.amdhsa_user_sgpr_kernarg_preload_length 0
		.amdhsa_user_sgpr_kernarg_preload_offset 0
		.amdhsa_user_sgpr_private_segment_size 0
		.amdhsa_uses_dynamic_stack 0
		.amdhsa_system_sgpr_private_segment_wavefront_offset 0
		.amdhsa_system_sgpr_workgroup_id_x 1
		.amdhsa_system_sgpr_workgroup_id_y 1
		.amdhsa_system_sgpr_workgroup_id_z 0
		.amdhsa_system_sgpr_workgroup_info 0
		.amdhsa_system_vgpr_workitem_id 0
		.amdhsa_next_free_vgpr 31
		.amdhsa_next_free_sgpr 38
		.amdhsa_accum_offset 32
		.amdhsa_reserve_vcc 1
		.amdhsa_reserve_flat_scratch 0
		.amdhsa_float_round_mode_32 0
		.amdhsa_float_round_mode_16_64 0
		.amdhsa_float_denorm_mode_32 3
		.amdhsa_float_denorm_mode_16_64 3
		.amdhsa_dx10_clamp 1
		.amdhsa_ieee_mode 1
		.amdhsa_fp16_overflow 0
		.amdhsa_tg_split 0
		.amdhsa_exception_fp_ieee_invalid_op 0
		.amdhsa_exception_fp_denorm_src 0
		.amdhsa_exception_fp_ieee_div_zero 0
		.amdhsa_exception_fp_ieee_overflow 0
		.amdhsa_exception_fp_ieee_underflow 0
		.amdhsa_exception_fp_ieee_inexact 0
		.amdhsa_exception_int_div_zero 0
	.end_amdhsa_kernel
	.section	.text._ZN5aiter35fused_qk_rmsnorm_group_quant_kernelIDF16_DB8_Li256ELi8ELi1ELb1ELb1ELb1ELb0ELb1ELb1EEEvPT0_PvPT_S6_S6_PKS5_S8_S8_S8_S8_ffiiiiiiiiiiiii,"axG",@progbits,_ZN5aiter35fused_qk_rmsnorm_group_quant_kernelIDF16_DB8_Li256ELi8ELi1ELb1ELb1ELb1ELb0ELb1ELb1EEEvPT0_PvPT_S6_S6_PKS5_S8_S8_S8_S8_ffiiiiiiiiiiiii,comdat
.Lfunc_end33:
	.size	_ZN5aiter35fused_qk_rmsnorm_group_quant_kernelIDF16_DB8_Li256ELi8ELi1ELb1ELb1ELb1ELb0ELb1ELb1EEEvPT0_PvPT_S6_S6_PKS5_S8_S8_S8_S8_ffiiiiiiiiiiiii, .Lfunc_end33-_ZN5aiter35fused_qk_rmsnorm_group_quant_kernelIDF16_DB8_Li256ELi8ELi1ELb1ELb1ELb1ELb0ELb1ELb1EEEvPT0_PvPT_S6_S6_PKS5_S8_S8_S8_S8_ffiiiiiiiiiiiii
                                        ; -- End function
	.section	.AMDGPU.csdata,"",@progbits
; Kernel info:
; codeLenInByte = 3200
; NumSgprs: 42
; NumVgprs: 31
; NumAgprs: 0
; TotalNumVgprs: 31
; ScratchSize: 0
; MemoryBound: 0
; FloatMode: 240
; IeeeMode: 1
; LDSByteSize: 48 bytes/workgroup (compile time only)
; SGPRBlocks: 5
; VGPRBlocks: 3
; NumSGPRsForWavesPerEU: 42
; NumVGPRsForWavesPerEU: 31
; AccumOffset: 32
; Occupancy: 8
; WaveLimiterHint : 0
; COMPUTE_PGM_RSRC2:SCRATCH_EN: 0
; COMPUTE_PGM_RSRC2:USER_SGPR: 6
; COMPUTE_PGM_RSRC2:TRAP_HANDLER: 0
; COMPUTE_PGM_RSRC2:TGID_X_EN: 1
; COMPUTE_PGM_RSRC2:TGID_Y_EN: 1
; COMPUTE_PGM_RSRC2:TGID_Z_EN: 0
; COMPUTE_PGM_RSRC2:TIDIG_COMP_CNT: 0
; COMPUTE_PGM_RSRC3_GFX90A:ACCUM_OFFSET: 7
; COMPUTE_PGM_RSRC3_GFX90A:TG_SPLIT: 0
	.section	.text._ZN5aiter35fused_qk_rmsnorm_group_quant_kernelItDB8_Li256ELi8ELi1ELb1ELb1ELb1ELb0ELb1ELb1EEEvPT0_PvPT_S6_S6_PKS5_S8_S8_S8_S8_ffiiiiiiiiiiiii,"axG",@progbits,_ZN5aiter35fused_qk_rmsnorm_group_quant_kernelItDB8_Li256ELi8ELi1ELb1ELb1ELb1ELb0ELb1ELb1EEEvPT0_PvPT_S6_S6_PKS5_S8_S8_S8_S8_ffiiiiiiiiiiiii,comdat
	.protected	_ZN5aiter35fused_qk_rmsnorm_group_quant_kernelItDB8_Li256ELi8ELi1ELb1ELb1ELb1ELb0ELb1ELb1EEEvPT0_PvPT_S6_S6_PKS5_S8_S8_S8_S8_ffiiiiiiiiiiiii ; -- Begin function _ZN5aiter35fused_qk_rmsnorm_group_quant_kernelItDB8_Li256ELi8ELi1ELb1ELb1ELb1ELb0ELb1ELb1EEEvPT0_PvPT_S6_S6_PKS5_S8_S8_S8_S8_ffiiiiiiiiiiiii
	.globl	_ZN5aiter35fused_qk_rmsnorm_group_quant_kernelItDB8_Li256ELi8ELi1ELb1ELb1ELb1ELb0ELb1ELb1EEEvPT0_PvPT_S6_S6_PKS5_S8_S8_S8_S8_ffiiiiiiiiiiiii
	.p2align	8
	.type	_ZN5aiter35fused_qk_rmsnorm_group_quant_kernelItDB8_Li256ELi8ELi1ELb1ELb1ELb1ELb0ELb1ELb1EEEvPT0_PvPT_S6_S6_PKS5_S8_S8_S8_S8_ffiiiiiiiiiiiii,@function
_ZN5aiter35fused_qk_rmsnorm_group_quant_kernelItDB8_Li256ELi8ELi1ELb1ELb1ELb1ELb0ELb1ELb1EEEvPT0_PvPT_S6_S6_PKS5_S8_S8_S8_S8_ffiiiiiiiiiiiii: ; @_ZN5aiter35fused_qk_rmsnorm_group_quant_kernelItDB8_Li256ELi8ELi1ELb1ELb1ELb1ELb0ELb1ELb1EEEvPT0_PvPT_S6_S6_PKS5_S8_S8_S8_S8_ffiiiiiiiiiiiii
; %bb.0:
	s_load_dwordx8 s[12:19], s[4:5], 0x50
	s_waitcnt lgkmcnt(0)
	s_cmp_ge_i32 s6, s14
	s_cbranch_scc1 .LBB34_17
; %bb.1:
	s_cmp_lg_u32 s7, 0
	s_cselect_b64 s[22:23], -1, 0
	s_cmp_eq_u32 s7, 0
	s_cselect_b64 s[8:9], -1, 0
	s_and_b64 s[0:1], s[8:9], exec
	s_load_dwordx2 s[10:11], s[4:5], 0x70
	s_load_dwordx2 s[20:21], s[4:5], 0x48
	;; [unrolled: 1-line block ×3, first 2 shown]
	s_cselect_b32 s7, s15, s16
	s_add_i32 s0, s7, 1
	s_lshr_b32 s1, s0, 31
	s_add_i32 s0, s0, s1
	s_lshl_b32 s0, s0, 1
	v_lshlrev_b32_e32 v1, 3, v0
	s_and_b32 s30, s0, -4
	v_cmp_gt_i32_e64 s[0:1], s7, v1
	v_mov_b32_e32 v10, 0
	v_mov_b32_e32 v11, 0
	;; [unrolled: 1-line block ×8, first 2 shown]
	s_and_saveexec_b64 s[2:3], s[0:1]
	s_cbranch_execz .LBB34_3
; %bb.2:
	s_load_dwordx2 s[24:25], s[4:5], 0x28
	s_load_dwordx2 s[26:27], s[4:5], 0x40
	s_and_b64 s[28:29], s[8:9], exec
	s_cselect_b32 s14, s17, s18
	s_mov_b32 s31, 0x20000
	s_waitcnt lgkmcnt(0)
	s_cselect_b32 s17, s25, s35
	s_cselect_b32 s28, s24, s34
	s_mul_hi_i32 s25, s14, s6
	s_mul_i32 s24, s14, s6
	s_lshl_b64 s[24:25], s[24:25], 1
	s_add_u32 s24, s28, s24
	s_addc_u32 s14, s17, s25
	s_and_b64 s[28:29], s[8:9], exec
	s_cselect_b32 s28, s26, s20
	s_cselect_b32 s17, s27, s21
	v_lshlrev_b32_e32 v2, 4, v0
	s_and_b32 s25, s14, 0xffff
	s_mov_b32 s26, s30
	s_mov_b32 s27, s31
	s_and_b32 s29, s17, 0xffff
	buffer_load_dwordx4 v[14:17], v2, s[24:27], 0 offen glc slc
	buffer_load_dwordx4 v[10:13], v2, s[28:31], 0 offen
.LBB34_3:
	s_or_b64 exec, exec, s[2:3]
	s_load_dwordx4 s[24:27], s[4:5], 0x7c
	s_and_b64 vcc, exec, s[22:23]
	s_cbranch_vccz .LBB34_7
; %bb.4:
	s_mov_b32 s36, 0
	s_mov_b32 s37, s36
	;; [unrolled: 1-line block ×8, first 2 shown]
	v_pk_mov_b32 v[2:3], s[36:37], s[36:37] op_sel:[0,1]
	v_pk_mov_b32 v[4:5], s[38:39], s[38:39] op_sel:[0,1]
	;; [unrolled: 1-line block ×4, first 2 shown]
	s_and_saveexec_b64 s[2:3], s[0:1]
	s_cbranch_execz .LBB34_6
; %bb.5:
	s_waitcnt vmcnt(1)
	v_cvt_f32_u32_sdwa v3, v14 dst_sel:DWORD dst_unused:UNUSED_PAD src0_sel:WORD_1
	v_cvt_f32_u32_sdwa v2, v14 dst_sel:DWORD dst_unused:UNUSED_PAD src0_sel:WORD_0
	v_cvt_f32_u32_sdwa v5, v15 dst_sel:DWORD dst_unused:UNUSED_PAD src0_sel:WORD_1
	v_cvt_f32_u32_sdwa v4, v15 dst_sel:DWORD dst_unused:UNUSED_PAD src0_sel:WORD_0
	;; [unrolled: 2-line block ×4, first 2 shown]
.LBB34_6:
	s_or_b64 exec, exec, s[2:3]
	s_cbranch_execz .LBB34_8
	s_branch .LBB34_11
.LBB34_7:
                                        ; implicit-def: $vgpr2_vgpr3_vgpr4_vgpr5_vgpr6_vgpr7_vgpr8_vgpr9
.LBB34_8:
	s_mov_b32 s36, 0
	s_mov_b32 s37, s36
	;; [unrolled: 1-line block ×8, first 2 shown]
	v_pk_mov_b32 v[2:3], s[36:37], s[36:37] op_sel:[0,1]
	v_pk_mov_b32 v[4:5], s[38:39], s[38:39] op_sel:[0,1]
	;; [unrolled: 1-line block ×4, first 2 shown]
	s_and_saveexec_b64 s[2:3], s[0:1]
	s_cbranch_execz .LBB34_10
; %bb.9:
	s_load_dwordx2 s[28:29], s[4:5], 0x38
	s_mul_hi_i32 s37, s19, s6
	s_mul_i32 s36, s19, s6
	s_lshl_b64 s[36:37], s[36:37], 1
	s_mov_b32 s31, 0x20000
	s_waitcnt lgkmcnt(0)
	s_add_u32 s28, s28, s36
	s_addc_u32 s14, s29, s37
	s_and_b32 s29, s14, 0xffff
	v_lshlrev_b32_e32 v26, 4, v0
	buffer_load_dwordx4 v[2:5], v26, s[28:31], 0 offen glc slc
	s_load_dwordx2 s[28:29], s[4:5], 0x20
	s_waitcnt vmcnt(2)
	v_cvt_f32_u32_sdwa v7, v14 dst_sel:DWORD dst_unused:UNUSED_PAD src0_sel:WORD_1
	v_cvt_f32_u32_sdwa v6, v14 dst_sel:DWORD dst_unused:UNUSED_PAD src0_sel:WORD_0
	v_cvt_f32_u32_sdwa v9, v15 dst_sel:DWORD dst_unused:UNUSED_PAD src0_sel:WORD_1
	v_cvt_f32_u32_sdwa v8, v15 dst_sel:DWORD dst_unused:UNUSED_PAD src0_sel:WORD_0
	v_cvt_f32_u32_sdwa v15, v16 dst_sel:DWORD dst_unused:UNUSED_PAD src0_sel:WORD_1
	v_cvt_f32_u32_sdwa v14, v16 dst_sel:DWORD dst_unused:UNUSED_PAD src0_sel:WORD_0
	v_cvt_f32_u32_sdwa v19, v17 dst_sel:DWORD dst_unused:UNUSED_PAD src0_sel:WORD_1
	v_cvt_f32_u32_sdwa v18, v17 dst_sel:DWORD dst_unused:UNUSED_PAD src0_sel:WORD_0
	s_mul_hi_i32 s27, s26, s6
	s_mul_i32 s26, s26, s6
	s_lshl_b64 s[26:27], s[26:27], 1
	s_waitcnt lgkmcnt(0)
	s_add_u32 s28, s28, s26
	s_mov_b32 s14, 0x7060302
	s_addc_u32 s17, s29, s27
	s_and_b32 s29, s17, 0xffff
	s_waitcnt vmcnt(0)
	v_cvt_f32_u32_sdwa v17, v2 dst_sel:DWORD dst_unused:UNUSED_PAD src0_sel:WORD_1
	v_cvt_f32_u32_sdwa v16, v2 dst_sel:DWORD dst_unused:UNUSED_PAD src0_sel:WORD_0
	v_cvt_f32_u32_sdwa v21, v3 dst_sel:DWORD dst_unused:UNUSED_PAD src0_sel:WORD_1
	v_cvt_f32_u32_sdwa v20, v3 dst_sel:DWORD dst_unused:UNUSED_PAD src0_sel:WORD_0
	;; [unrolled: 2-line block ×4, first 2 shown]
	v_pk_add_f32 v[2:3], v[6:7], v[16:17]
	v_pk_add_f32 v[4:5], v[8:9], v[20:21]
	;; [unrolled: 1-line block ×4, first 2 shown]
	v_perm_b32 v17, v9, v8, s14
	v_perm_b32 v16, v7, v6, s14
	v_perm_b32 v15, v5, v4, s14
	v_perm_b32 v14, v3, v2, s14
	buffer_store_dwordx4 v[14:17], v26, s[28:31], 0 offen glc slc
	;;#ASMSTART
	s_nop 0
	;;#ASMEND
.LBB34_10:
	s_or_b64 exec, exec, s[2:3]
.LBB34_11:
	s_waitcnt vmcnt(1)
	v_mul_f32_e32 v14, v3, v3
	v_fmac_f32_e32 v14, v2, v2
	v_fmac_f32_e32 v14, v4, v4
	;; [unrolled: 1-line block ×7, first 2 shown]
	v_and_b32_e32 v16, 63, v0
	v_cmp_eq_u32_e64 s[2:3], 63, v16
	v_mov_b32_dpp v15, v14 quad_perm:[1,0,3,2] row_mask:0xf bank_mask:0xf
	v_add_f32_e32 v14, v14, v15
	s_nop 1
	v_mov_b32_dpp v15, v14 quad_perm:[2,3,0,1] row_mask:0xf bank_mask:0xf
	v_add_f32_e32 v14, v14, v15
	s_nop 1
	v_mov_b32_dpp v15, v14 row_half_mirror row_mask:0xf bank_mask:0xf
	v_add_f32_e32 v14, v14, v15
	s_nop 1
	v_mov_b32_dpp v15, v14 row_mirror row_mask:0xf bank_mask:0xf
	v_add_f32_e32 v14, v14, v15
	s_nop 1
	v_mov_b32_dpp v15, v14 row_bcast:15 row_mask:0xf bank_mask:0xf
	v_add_f32_e32 v14, v14, v15
	s_nop 1
	v_mov_b32_dpp v15, v14 row_bcast:31 row_mask:0xf bank_mask:0xf
	s_waitcnt lgkmcnt(0)
	s_and_saveexec_b64 s[26:27], s[2:3]
	s_cbranch_execz .LBB34_13
; %bb.12:
	v_add_f32_e32 v14, v14, v15
	v_lshrrev_b32_e32 v15, 4, v0
	v_and_b32_e32 v15, 60, v15
	ds_write_b32 v15, v14 offset:32
.LBB34_13:
	s_or_b64 exec, exec, s[26:27]
	v_and_b32_e32 v14, 3, v0
	v_lshlrev_b32_e32 v14, 2, v14
	s_waitcnt lgkmcnt(0)
	s_barrier
	ds_read_b32 v15, v14 offset:32
	s_load_dwordx2 s[26:27], s[4:5], 0x18
	s_waitcnt lgkmcnt(0)
	v_mov_b32_dpp v16, v15 quad_perm:[1,0,3,2] row_mask:0xf bank_mask:0xf
	v_add_f32_e32 v15, v15, v16
	s_nop 1
	v_mov_b32_dpp v16, v15 quad_perm:[2,3,0,1] row_mask:0xf bank_mask:0xf
	s_and_saveexec_b64 s[28:29], s[0:1]
	s_cbranch_execnz .LBB34_18
; %bb.14:
	s_or_b64 exec, exec, s[28:29]
	s_mov_b64 s[8:9], -1
	s_and_b64 vcc, exec, s[22:23]
	s_cbranch_vccnz .LBB34_19
.LBB34_15:
	s_andn2_b64 vcc, exec, s[8:9]
	s_cbranch_vccz .LBB34_22
.LBB34_16:
	s_cmp_lt_i32 s16, 1
	s_cbranch_scc0 .LBB34_33
.LBB34_17:
	s_endpgm
.LBB34_18:
	v_cvt_f32_u32_e32 v17, s7
	v_add_f32_e32 v15, v15, v16
	v_mov_b32_e32 v19, s13
	v_mov_b32_e32 v20, s12
	v_div_scale_f32 v16, s[36:37], v17, v17, v15
	v_rcp_f32_e32 v18, v16
	v_cndmask_b32_e64 v19, v19, v20, s[8:9]
	s_mov_b32 s7, 0x800000
	v_fma_f32 v20, -v16, v18, 1.0
	v_fmac_f32_e32 v18, v20, v18
	v_div_scale_f32 v20, vcc, v15, v17, v15
	v_mul_f32_e32 v21, v20, v18
	v_fma_f32 v22, -v16, v21, v20
	v_fmac_f32_e32 v21, v22, v18
	v_fma_f32 v16, -v16, v21, v20
	v_div_fmas_f32 v16, v16, v18, v21
	v_div_fixup_f32 v15, v16, v17, v15
	v_add_f32_e32 v15, v19, v15
	v_mul_f32_e32 v16, 0x4b800000, v15
	v_cmp_gt_f32_e32 vcc, s7, v15
	v_cndmask_b32_e32 v15, v15, v16, vcc
	v_rsq_f32_e32 v15, v15
	s_waitcnt vmcnt(0)
	v_cvt_f32_u32_sdwa v19, v10 dst_sel:DWORD dst_unused:UNUSED_PAD src0_sel:WORD_1
	v_cvt_f32_u32_sdwa v18, v10 dst_sel:DWORD dst_unused:UNUSED_PAD src0_sel:WORD_0
	v_cvt_f32_u32_sdwa v21, v11 dst_sel:DWORD dst_unused:UNUSED_PAD src0_sel:WORD_1
	v_mul_f32_e32 v16, 0x45800000, v15
	v_cndmask_b32_e32 v16, v15, v16, vcc
	v_mov_b32_e32 v17, v16
	v_cvt_f32_u32_sdwa v20, v11 dst_sel:DWORD dst_unused:UNUSED_PAD src0_sel:WORD_0
	;;#ASMSTART
	v_pk_mul_f32 v[2:3], v[2:3], v[16:17]
	;;#ASMEND
	;;#ASMSTART
	v_pk_mul_f32 v[4:5], v[4:5], v[16:17]
	;;#ASMEND
	;; [unrolled: 3-line block ×4, first 2 shown]
	v_cvt_f32_u32_sdwa v17, v12 dst_sel:DWORD dst_unused:UNUSED_PAD src0_sel:WORD_1
	v_cvt_f32_u32_sdwa v16, v12 dst_sel:DWORD dst_unused:UNUSED_PAD src0_sel:WORD_0
	v_pk_add_f32 v[10:11], v[18:19], 1.0 op_sel_hi:[1,0]
	v_cvt_f32_u32_sdwa v19, v13 dst_sel:DWORD dst_unused:UNUSED_PAD src0_sel:WORD_1
	v_cvt_f32_u32_sdwa v18, v13 dst_sel:DWORD dst_unused:UNUSED_PAD src0_sel:WORD_0
	;;#ASMSTART
	v_pk_mul_f32 v[2:3], v[2:3], v[10:11]
	;;#ASMEND
	v_pk_add_f32 v[10:11], v[20:21], 1.0 op_sel_hi:[1,0]
	;;#ASMSTART
	v_pk_mul_f32 v[4:5], v[4:5], v[10:11]
	;;#ASMEND
	v_pk_add_f32 v[10:11], v[16:17], 1.0 op_sel_hi:[1,0]
	;; [unrolled: 4-line block ×3, first 2 shown]
	;;#ASMSTART
	v_pk_mul_f32 v[8:9], v[8:9], v[10:11]
	;;#ASMEND
	s_or_b64 exec, exec, s[28:29]
	s_mov_b64 s[8:9], -1
	s_and_b64 vcc, exec, s[22:23]
	s_cbranch_vccz .LBB34_15
.LBB34_19:
	s_and_saveexec_b64 s[8:9], s[0:1]
	s_cbranch_execz .LBB34_21
; %bb.20:
	s_mul_hi_i32 s23, s25, s6
	s_mul_i32 s22, s25, s6
	s_lshl_b64 s[22:23], s[22:23], 1
	s_add_u32 s28, s26, s22
	s_addc_u32 s7, s27, s23
	s_and_b32 s29, s7, 0xffff
	s_mov_b32 s7, 0x7060302
	s_mov_b32 s31, 0x20000
	s_waitcnt vmcnt(0)
	v_perm_b32 v10, v3, v2, s7
	v_perm_b32 v11, v5, v4, s7
	;; [unrolled: 1-line block ×4, first 2 shown]
	v_lshlrev_b32_e32 v15, 4, v0
	buffer_store_dwordx4 v[10:13], v15, s[28:31], 0 offen
	;;#ASMSTART
	s_nop 0
	;;#ASMEND
.LBB34_21:
	s_or_b64 exec, exec, s[8:9]
	s_cbranch_execnz .LBB34_16
.LBB34_22:
	s_waitcnt vmcnt(0)
	v_mov_b32_e32 v10, 0
	s_and_saveexec_b64 s[8:9], s[0:1]
	s_cbranch_execz .LBB34_24
; %bb.23:
	s_load_dwordx2 s[22:23], s[4:5], 0x10
	s_mul_hi_i32 s29, s24, s6
	s_mul_i32 s28, s24, s6
	s_lshl_b64 s[28:29], s[28:29], 1
	s_mov_b32 s31, 0x20000
	s_waitcnt lgkmcnt(0)
	s_add_u32 s28, s22, s28
	s_addc_u32 s7, s23, s29
	s_and_b32 s29, s7, 0xffff
	s_mov_b32 s7, 0x7060302
	v_perm_b32 v10, v3, v2, s7
	v_perm_b32 v11, v5, v4, s7
	;; [unrolled: 1-line block ×4, first 2 shown]
	v_lshlrev_b32_e32 v15, 4, v0
	buffer_store_dwordx4 v[10:13], v15, s[28:31], 0 offen
	;;#ASMSTART
	s_nop 0
	;;#ASMEND
	s_nop 0
	v_mov_b32_e32 v10, 0x2edbe6ff
.LBB34_24:
	s_or_b64 exec, exec, s[8:9]
	s_and_saveexec_b64 s[8:9], s[0:1]
	s_cbranch_execz .LBB34_26
; %bb.25:
	v_and_b32_e32 v11, 0x7fffffff, v2
	v_and_b32_e32 v12, 0x7fffffff, v3
	;;#ASMSTART
	v_max3_f32 v10, v10, v11, v12

	;;#ASMEND
	v_and_b32_e32 v11, 0x7fffffff, v4
	v_and_b32_e32 v12, 0x7fffffff, v5
	;;#ASMSTART
	v_max3_f32 v10, v10, v11, v12

	;;#ASMEND
	;; [unrolled: 6-line block ×4, first 2 shown]
.LBB34_26:
	s_or_b64 exec, exec, s[8:9]
	s_nop 0
	v_mov_b32_dpp v11, v10 quad_perm:[1,0,3,2] row_mask:0xf bank_mask:0xf
	v_cmp_gt_f32_e32 vcc, v10, v11
	v_cndmask_b32_e32 v10, v11, v10, vcc
	s_nop 1
	v_mov_b32_dpp v11, v10 quad_perm:[2,3,0,1] row_mask:0xf bank_mask:0xf
	v_cmp_gt_f32_e32 vcc, v10, v11
	v_cndmask_b32_e32 v10, v11, v10, vcc
	s_nop 1
	v_mov_b32_dpp v11, v10 row_half_mirror row_mask:0xf bank_mask:0xf
	v_cmp_gt_f32_e32 vcc, v10, v11
	v_cndmask_b32_e32 v10, v11, v10, vcc
	s_nop 1
	v_mov_b32_dpp v11, v10 row_mirror row_mask:0xf bank_mask:0xf
	v_cmp_gt_f32_e32 vcc, v10, v11
	v_cndmask_b32_e32 v10, v11, v10, vcc
	s_nop 1
	v_mov_b32_dpp v11, v10 row_bcast:15 row_mask:0xf bank_mask:0xf
	v_cmp_gt_f32_e32 vcc, v10, v11
	v_cndmask_b32_e32 v10, v11, v10, vcc
	s_nop 1
	v_mov_b32_dpp v11, v10 row_bcast:31 row_mask:0xf bank_mask:0xf
	s_and_saveexec_b64 s[8:9], s[2:3]
	s_cbranch_execz .LBB34_28
; %bb.27:
	v_cmp_gt_f32_e32 vcc, v10, v11
	v_cndmask_b32_e32 v10, v11, v10, vcc
	v_lshrrev_b32_e32 v11, 4, v0
	v_and_b32_e32 v11, 60, v11
	ds_write_b32 v11, v10
.LBB34_28:
	s_or_b64 exec, exec, s[8:9]
	s_waitcnt lgkmcnt(0)
	s_barrier
	ds_read_b32 v10, v14
	s_waitcnt lgkmcnt(0)
	s_nop 0
	v_mov_b32_dpp v11, v10 quad_perm:[1,0,3,2] row_mask:0xf bank_mask:0xf
	v_cmp_gt_f32_e32 vcc, v10, v11
	v_cndmask_b32_e32 v10, v11, v10, vcc
	s_nop 1
	v_mov_b32_dpp v11, v10 quad_perm:[2,3,0,1] row_mask:0xf bank_mask:0xf
	v_cmp_gt_f32_e32 vcc, v10, v11
	v_cndmask_b32_e32 v10, v11, v10, vcc
	v_mul_f32_e32 v10, 0x3b124925, v10
	v_cmp_eq_u32_e32 vcc, 0, v0
	s_and_saveexec_b64 s[8:9], vcc
	s_cbranch_execz .LBB34_30
; %bb.29:
	s_load_dwordx2 s[22:23], s[4:5], 0x8
	s_mul_hi_i32 s29, s11, s6
	s_mul_i32 s28, s11, s6
	s_lshl_b64 s[28:29], s[28:29], 2
	v_mov_b32_e32 v11, 0
	s_waitcnt lgkmcnt(0)
	s_add_u32 s22, s22, s28
	s_addc_u32 s23, s23, s29
	global_store_dword v11, v10, s[22:23]
.LBB34_30:
	s_or_b64 exec, exec, s[8:9]
	;;#ASMSTART
	v_rcp_f32 v10, v10
	;;#ASMEND
	s_and_saveexec_b64 s[22:23], s[0:1]
	s_cbranch_execz .LBB34_32
; %bb.31:
	s_load_dwordx2 s[0:1], s[4:5], 0x0
	s_mul_i32 s8, s10, s6
	v_mov_b32_e32 v11, v10
	;;#ASMSTART
	v_pk_mul_f32 v[2:3], v[2:3], v[10:11]
	;;#ASMEND
	s_mul_hi_i32 s7, s10, s6
	s_waitcnt lgkmcnt(0)
	s_add_u32 s8, s0, s8
	v_mov_b32_e32 v12, 0xc3e00000
	v_mov_b32_e32 v13, 0x43e00000
	;;#ASMSTART
	v_med3_f32 v2, v2, v12, v13
v_med3_f32 v3, v3, v12, v13
v_cvt_pk_fp8_f32 v15, v2, v3
	;;#ASMEND
	s_addc_u32 s0, s1, s7
	;;#ASMSTART
	v_pk_mul_f32 v[2:3], v[4:5], v[10:11]
	;;#ASMEND
	s_and_b32 s9, s0, 0xffff
	;;#ASMSTART
	v_med3_f32 v2, v2, v12, v13
v_med3_f32 v3, v3, v12, v13
v_cvt_pk_fp8_f32 v4, v2, v3
	;;#ASMEND
	s_mov_b32 s0, 0x5040100
	v_perm_b32 v3, v4, v15, s0
	s_movk_i32 s0, 0xff
	v_and_b32_e32 v2, 0xffffff00, v4
	v_and_b32_sdwa v4, v3, s0 dst_sel:DWORD dst_unused:UNUSED_PAD src0_sel:WORD_1 src1_sel:DWORD
	s_mov_b32 s12, 0xffff
	v_or_b32_sdwa v2, v4, v2 dst_sel:WORD_1 dst_unused:UNUSED_PAD src0_sel:DWORD src1_sel:DWORD
	v_and_or_b32 v2, v3, s12, v2
	;;#ASMSTART
	v_pk_mul_f32 v[4:5], v[6:7], v[10:11]
	;;#ASMEND
	v_mov_b32_e32 v3, v5
	s_add_i32 s1, s15, 3
	;;#ASMSTART
	v_med3_f32 v4, v4, v12, v13
v_med3_f32 v3, v3, v12, v13
v_cvt_pk_fp8_f32 v6, v4, v3
	;;#ASMEND
	s_ashr_i32 s7, s1, 31
	;;#ASMSTART
	v_pk_mul_f32 v[4:5], v[8:9], v[10:11]
	;;#ASMEND
	v_mov_b32_e32 v3, v5
	s_lshr_b32 s7, s7, 30
	;;#ASMSTART
	v_med3_f32 v4, v4, v12, v13
v_med3_f32 v3, v3, v12, v13
v_cvt_pk_fp8_f32 v5, v4, v3
	;;#ASMEND
	s_add_i32 s1, s1, s7
	v_lshlrev_b32_e32 v3, 16, v5
	s_and_b32 s10, s1, -4
	s_mov_b32 s11, 0x20000
	v_and_or_b32 v3, v6, s12, v3
	buffer_store_dwordx2 v[2:3], v1, s[8:11], 0 offen
	;;#ASMSTART
	s_nop 0
	;;#ASMEND
.LBB34_32:
	s_or_b64 exec, exec, s[22:23]
	s_cmp_lt_i32 s16, 1
	s_cbranch_scc1 .LBB34_17
.LBB34_33:
	s_load_dword s0, s[4:5], 0x94
	s_waitcnt lgkmcnt(0)
	s_cmp_lg_u32 s0, 1
	s_cbranch_scc1 .LBB34_17
; %bb.34:
	s_lshl_b32 s0, s16, 1
	s_add_i32 s0, s0, 2
	v_cmp_gt_u32_e32 vcc, s16, v1
	s_and_b32 s22, s0, -4
	v_mov_b32_e32 v6, 0
	v_lshlrev_b32_e32 v1, 4, v0
	v_mov_b32_e32 v7, 0
	v_mov_b32_e32 v8, 0
	;; [unrolled: 1-line block ×7, first 2 shown]
	s_barrier
	s_and_saveexec_b64 s[0:1], vcc
	s_cbranch_execz .LBB34_36
; %bb.35:
	s_mul_hi_i32 s5, s18, s6
	s_mul_i32 s4, s18, s6
	s_and_b32 s21, s21, 0xffff
	s_lshl_b64 s[4:5], s[4:5], 1
	s_add_u32 s8, s34, s4
	s_mov_b32 s23, 0x20000
	s_addc_u32 s4, s35, s5
	s_and_b32 s9, s4, 0xffff
	s_mov_b32 s10, s22
	s_mov_b32 s11, s23
	buffer_load_dwordx4 v[6:9], v1, s[8:11], 0 offen glc slc
	buffer_load_dwordx4 v[2:5], v1, s[20:23], 0 offen
.LBB34_36:
	s_or_b64 exec, exec, s[0:1]
	s_waitcnt vmcnt(0)
	v_cvt_f32_u32_sdwa v13, v6 dst_sel:DWORD dst_unused:UNUSED_PAD src0_sel:WORD_1
	v_cvt_f32_u32_sdwa v12, v6 dst_sel:DWORD dst_unused:UNUSED_PAD src0_sel:WORD_0
	v_cvt_f32_u32_sdwa v6, v9 dst_sel:DWORD dst_unused:UNUSED_PAD src0_sel:WORD_1
	v_cvt_f32_u32_sdwa v9, v9 dst_sel:DWORD dst_unused:UNUSED_PAD src0_sel:WORD_0
	v_cvt_f32_u32_sdwa v15, v8 dst_sel:DWORD dst_unused:UNUSED_PAD src0_sel:WORD_1
	v_cvt_f32_u32_sdwa v10, v7 dst_sel:DWORD dst_unused:UNUSED_PAD src0_sel:WORD_0
	v_cvt_f32_u32_sdwa v11, v7 dst_sel:DWORD dst_unused:UNUSED_PAD src0_sel:WORD_1
	v_cvt_f32_u32_sdwa v8, v8 dst_sel:DWORD dst_unused:UNUSED_PAD src0_sel:WORD_0
	v_cndmask_b32_e32 v13, 0, v13, vcc
	v_cndmask_b32_e32 v7, 0, v6, vcc
	;; [unrolled: 1-line block ×5, first 2 shown]
	v_mul_f32_e32 v15, v13, v13
	v_cndmask_b32_e32 v10, 0, v10, vcc
	v_fmac_f32_e32 v15, v12, v12
	v_cndmask_b32_e32 v11, 0, v11, vcc
	v_fmac_f32_e32 v15, v10, v10
	;; [unrolled: 2-line block ×3, first 2 shown]
	v_fmac_f32_e32 v15, v8, v8
	v_fmac_f32_e32 v15, v9, v9
	;; [unrolled: 1-line block ×4, first 2 shown]
	s_nop 1
	v_mov_b32_dpp v16, v15 quad_perm:[1,0,3,2] row_mask:0xf bank_mask:0xf
	v_add_f32_e32 v15, v15, v16
	s_nop 1
	v_mov_b32_dpp v16, v15 quad_perm:[2,3,0,1] row_mask:0xf bank_mask:0xf
	v_add_f32_e32 v15, v15, v16
	s_nop 1
	v_mov_b32_dpp v16, v15 row_half_mirror row_mask:0xf bank_mask:0xf
	v_add_f32_e32 v15, v15, v16
	s_nop 1
	v_mov_b32_dpp v16, v15 row_mirror row_mask:0xf bank_mask:0xf
	v_add_f32_e32 v15, v15, v16
	s_nop 1
	v_mov_b32_dpp v16, v15 row_bcast:15 row_mask:0xf bank_mask:0xf
	v_add_f32_e32 v15, v15, v16
	s_nop 1
	v_mov_b32_dpp v16, v15 row_bcast:31 row_mask:0xf bank_mask:0xf
	s_and_saveexec_b64 s[0:1], s[2:3]
	s_cbranch_execz .LBB34_38
; %bb.37:
	v_lshrrev_b32_e32 v0, 4, v0
	v_add_f32_e32 v15, v15, v16
	v_and_b32_e32 v0, 60, v0
	ds_write_b32 v0, v15 offset:16
.LBB34_38:
	s_or_b64 exec, exec, s[0:1]
	s_waitcnt lgkmcnt(0)
	s_barrier
	ds_read_b32 v0, v14 offset:16
	s_waitcnt lgkmcnt(0)
	s_nop 0
	v_mov_b32_dpp v14, v0 quad_perm:[1,0,3,2] row_mask:0xf bank_mask:0xf
	v_add_f32_e32 v0, v0, v14
	s_nop 1
	v_mov_b32_dpp v14, v0 quad_perm:[2,3,0,1] row_mask:0xf bank_mask:0xf
	s_and_saveexec_b64 s[0:1], vcc
	s_cbranch_execz .LBB34_17
; %bb.39:
	v_cvt_f32_u32_e32 v15, s16
	v_add_f32_e32 v0, v0, v14
	s_mov_b32 s23, 0x20000
	v_div_scale_f32 v14, s[0:1], v15, v15, v0
	v_rcp_f32_e32 v16, v14
	v_div_scale_f32 v17, vcc, v0, v15, v0
	s_mov_b32 s0, 0x800000
	v_fma_f32 v18, -v14, v16, 1.0
	v_fmac_f32_e32 v16, v18, v16
	v_mul_f32_e32 v18, v17, v16
	v_fma_f32 v19, -v14, v18, v17
	v_fmac_f32_e32 v18, v19, v16
	v_fma_f32 v14, -v14, v18, v17
	v_div_fmas_f32 v14, v14, v16, v18
	v_div_fixup_f32 v0, v14, v15, v0
	v_add_f32_e32 v0, s13, v0
	v_mul_f32_e32 v14, 0x4b800000, v0
	v_cmp_gt_f32_e32 vcc, s0, v0
	v_cndmask_b32_e32 v0, v0, v14, vcc
	v_rsq_f32_e32 v0, v0
	v_cvt_f32_u32_sdwa v17, v2 dst_sel:DWORD dst_unused:UNUSED_PAD src0_sel:WORD_1
	v_cvt_f32_u32_sdwa v16, v2 dst_sel:DWORD dst_unused:UNUSED_PAD src0_sel:WORD_0
	v_cvt_f32_u32_sdwa v19, v3 dst_sel:DWORD dst_unused:UNUSED_PAD src0_sel:WORD_1
	v_mul_f32_e32 v14, 0x45800000, v0
	v_cndmask_b32_e32 v14, v0, v14, vcc
	v_mov_b32_e32 v15, v14
	;;#ASMSTART
	v_pk_mul_f32 v[12:13], v[12:13], v[14:15]
	;;#ASMEND
	;;#ASMSTART
	v_pk_mul_f32 v[10:11], v[10:11], v[14:15]
	;;#ASMEND
	;; [unrolled: 3-line block ×3, first 2 shown]
	v_cvt_f32_u32_sdwa v18, v3 dst_sel:DWORD dst_unused:UNUSED_PAD src0_sel:WORD_0
	;;#ASMSTART
	v_pk_mul_f32 v[2:3], v[6:7], v[14:15]
	;;#ASMEND
	v_cvt_f32_u32_sdwa v15, v4 dst_sel:DWORD dst_unused:UNUSED_PAD src0_sel:WORD_1
	v_cvt_f32_u32_sdwa v14, v4 dst_sel:DWORD dst_unused:UNUSED_PAD src0_sel:WORD_0
	v_pk_add_f32 v[6:7], v[16:17], 1.0 op_sel_hi:[1,0]
	v_cvt_f32_u32_sdwa v17, v5 dst_sel:DWORD dst_unused:UNUSED_PAD src0_sel:WORD_1
	v_cvt_f32_u32_sdwa v16, v5 dst_sel:DWORD dst_unused:UNUSED_PAD src0_sel:WORD_0
	s_mul_hi_i32 s1, s25, s6
	s_mul_i32 s0, s25, s6
	s_lshl_b64 s[0:1], s[0:1], 1
	s_add_u32 s20, s26, s0
	;;#ASMSTART
	v_pk_mul_f32 v[6:7], v[12:13], v[6:7]
	;;#ASMEND
	v_pk_add_f32 v[12:13], v[18:19], 1.0 op_sel_hi:[1,0]
	;;#ASMSTART
	v_pk_mul_f32 v[4:5], v[10:11], v[12:13]
	;;#ASMEND
	v_pk_add_f32 v[10:11], v[14:15], 1.0 op_sel_hi:[1,0]
	s_addc_u32 s0, s27, s1
	;;#ASMSTART
	v_pk_mul_f32 v[8:9], v[8:9], v[10:11]
	;;#ASMEND
	v_pk_add_f32 v[10:11], v[16:17], 1.0 op_sel_hi:[1,0]
	s_and_b32 s21, s0, 0xffff
	s_mov_b32 s0, 0x7060302
	;;#ASMSTART
	v_pk_mul_f32 v[10:11], v[2:3], v[10:11]
	;;#ASMEND
	v_perm_b32 v2, v7, v6, s0
	v_perm_b32 v3, v5, v4, s0
	;; [unrolled: 1-line block ×4, first 2 shown]
	buffer_store_dwordx4 v[2:5], v1, s[20:23], 0 offen
	;;#ASMSTART
	s_nop 0
	;;#ASMEND
	s_endpgm
	.section	.rodata,"a",@progbits
	.p2align	6, 0x0
	.amdhsa_kernel _ZN5aiter35fused_qk_rmsnorm_group_quant_kernelItDB8_Li256ELi8ELi1ELb1ELb1ELb1ELb0ELb1ELb1EEEvPT0_PvPT_S6_S6_PKS5_S8_S8_S8_S8_ffiiiiiiiiiiiii
		.amdhsa_group_segment_fixed_size 48
		.amdhsa_private_segment_fixed_size 0
		.amdhsa_kernarg_size 400
		.amdhsa_user_sgpr_count 6
		.amdhsa_user_sgpr_private_segment_buffer 1
		.amdhsa_user_sgpr_dispatch_ptr 0
		.amdhsa_user_sgpr_queue_ptr 0
		.amdhsa_user_sgpr_kernarg_segment_ptr 1
		.amdhsa_user_sgpr_dispatch_id 0
		.amdhsa_user_sgpr_flat_scratch_init 0
		.amdhsa_user_sgpr_kernarg_preload_length 0
		.amdhsa_user_sgpr_kernarg_preload_offset 0
		.amdhsa_user_sgpr_private_segment_size 0
		.amdhsa_uses_dynamic_stack 0
		.amdhsa_system_sgpr_private_segment_wavefront_offset 0
		.amdhsa_system_sgpr_workgroup_id_x 1
		.amdhsa_system_sgpr_workgroup_id_y 1
		.amdhsa_system_sgpr_workgroup_id_z 0
		.amdhsa_system_sgpr_workgroup_info 0
		.amdhsa_system_vgpr_workitem_id 0
		.amdhsa_next_free_vgpr 27
		.amdhsa_next_free_sgpr 44
		.amdhsa_accum_offset 28
		.amdhsa_reserve_vcc 1
		.amdhsa_reserve_flat_scratch 0
		.amdhsa_float_round_mode_32 0
		.amdhsa_float_round_mode_16_64 0
		.amdhsa_float_denorm_mode_32 3
		.amdhsa_float_denorm_mode_16_64 3
		.amdhsa_dx10_clamp 1
		.amdhsa_ieee_mode 1
		.amdhsa_fp16_overflow 0
		.amdhsa_tg_split 0
		.amdhsa_exception_fp_ieee_invalid_op 0
		.amdhsa_exception_fp_denorm_src 0
		.amdhsa_exception_fp_ieee_div_zero 0
		.amdhsa_exception_fp_ieee_overflow 0
		.amdhsa_exception_fp_ieee_underflow 0
		.amdhsa_exception_fp_ieee_inexact 0
		.amdhsa_exception_int_div_zero 0
	.end_amdhsa_kernel
	.section	.text._ZN5aiter35fused_qk_rmsnorm_group_quant_kernelItDB8_Li256ELi8ELi1ELb1ELb1ELb1ELb0ELb1ELb1EEEvPT0_PvPT_S6_S6_PKS5_S8_S8_S8_S8_ffiiiiiiiiiiiii,"axG",@progbits,_ZN5aiter35fused_qk_rmsnorm_group_quant_kernelItDB8_Li256ELi8ELi1ELb1ELb1ELb1ELb0ELb1ELb1EEEvPT0_PvPT_S6_S6_PKS5_S8_S8_S8_S8_ffiiiiiiiiiiiii,comdat
.Lfunc_end34:
	.size	_ZN5aiter35fused_qk_rmsnorm_group_quant_kernelItDB8_Li256ELi8ELi1ELb1ELb1ELb1ELb0ELb1ELb1EEEvPT0_PvPT_S6_S6_PKS5_S8_S8_S8_S8_ffiiiiiiiiiiiii, .Lfunc_end34-_ZN5aiter35fused_qk_rmsnorm_group_quant_kernelItDB8_Li256ELi8ELi1ELb1ELb1ELb1ELb0ELb1ELb1EEEvPT0_PvPT_S6_S6_PKS5_S8_S8_S8_S8_ffiiiiiiiiiiiii
                                        ; -- End function
	.section	.AMDGPU.csdata,"",@progbits
; Kernel info:
; codeLenInByte = 3260
; NumSgprs: 48
; NumVgprs: 27
; NumAgprs: 0
; TotalNumVgprs: 27
; ScratchSize: 0
; MemoryBound: 0
; FloatMode: 240
; IeeeMode: 1
; LDSByteSize: 48 bytes/workgroup (compile time only)
; SGPRBlocks: 5
; VGPRBlocks: 3
; NumSGPRsForWavesPerEU: 48
; NumVGPRsForWavesPerEU: 27
; AccumOffset: 28
; Occupancy: 8
; WaveLimiterHint : 0
; COMPUTE_PGM_RSRC2:SCRATCH_EN: 0
; COMPUTE_PGM_RSRC2:USER_SGPR: 6
; COMPUTE_PGM_RSRC2:TRAP_HANDLER: 0
; COMPUTE_PGM_RSRC2:TGID_X_EN: 1
; COMPUTE_PGM_RSRC2:TGID_Y_EN: 1
; COMPUTE_PGM_RSRC2:TGID_Z_EN: 0
; COMPUTE_PGM_RSRC2:TIDIG_COMP_CNT: 0
; COMPUTE_PGM_RSRC3_GFX90A:ACCUM_OFFSET: 6
; COMPUTE_PGM_RSRC3_GFX90A:TG_SPLIT: 0
	.section	.text._ZN5aiter35fused_qk_rmsnorm_group_quant_kernelIDF16_DB8_Li256ELi8ELi1ELb1ELb1ELb0ELb0ELb1ELb1EEEvPT0_PvPT_S6_S6_PKS5_S8_S8_S8_S8_ffiiiiiiiiiiiii,"axG",@progbits,_ZN5aiter35fused_qk_rmsnorm_group_quant_kernelIDF16_DB8_Li256ELi8ELi1ELb1ELb1ELb0ELb0ELb1ELb1EEEvPT0_PvPT_S6_S6_PKS5_S8_S8_S8_S8_ffiiiiiiiiiiiii,comdat
	.protected	_ZN5aiter35fused_qk_rmsnorm_group_quant_kernelIDF16_DB8_Li256ELi8ELi1ELb1ELb1ELb0ELb0ELb1ELb1EEEvPT0_PvPT_S6_S6_PKS5_S8_S8_S8_S8_ffiiiiiiiiiiiii ; -- Begin function _ZN5aiter35fused_qk_rmsnorm_group_quant_kernelIDF16_DB8_Li256ELi8ELi1ELb1ELb1ELb0ELb0ELb1ELb1EEEvPT0_PvPT_S6_S6_PKS5_S8_S8_S8_S8_ffiiiiiiiiiiiii
	.globl	_ZN5aiter35fused_qk_rmsnorm_group_quant_kernelIDF16_DB8_Li256ELi8ELi1ELb1ELb1ELb0ELb0ELb1ELb1EEEvPT0_PvPT_S6_S6_PKS5_S8_S8_S8_S8_ffiiiiiiiiiiiii
	.p2align	8
	.type	_ZN5aiter35fused_qk_rmsnorm_group_quant_kernelIDF16_DB8_Li256ELi8ELi1ELb1ELb1ELb0ELb0ELb1ELb1EEEvPT0_PvPT_S6_S6_PKS5_S8_S8_S8_S8_ffiiiiiiiiiiiii,@function
_ZN5aiter35fused_qk_rmsnorm_group_quant_kernelIDF16_DB8_Li256ELi8ELi1ELb1ELb1ELb0ELb0ELb1ELb1EEEvPT0_PvPT_S6_S6_PKS5_S8_S8_S8_S8_ffiiiiiiiiiiiii: ; @_ZN5aiter35fused_qk_rmsnorm_group_quant_kernelIDF16_DB8_Li256ELi8ELi1ELb1ELb1ELb0ELb0ELb1ELb1EEEvPT0_PvPT_S6_S6_PKS5_S8_S8_S8_S8_ffiiiiiiiiiiiii
; %bb.0:
	s_load_dwordx8 s[12:19], s[4:5], 0x50
	s_waitcnt lgkmcnt(0)
	s_cmp_ge_i32 s6, s14
	s_cbranch_scc1 .LBB35_17
; %bb.1:
	s_cmp_lg_u32 s7, 0
	s_cselect_b64 s[22:23], -1, 0
	s_cmp_eq_u32 s7, 0
	s_cselect_b64 s[8:9], -1, 0
	s_and_b64 s[0:1], s[8:9], exec
	s_load_dwordx2 s[10:11], s[4:5], 0x70
	s_load_dwordx2 s[20:21], s[4:5], 0x48
	;; [unrolled: 1-line block ×3, first 2 shown]
	s_cselect_b32 s7, s15, s16
	s_add_i32 s0, s7, 1
	s_lshr_b32 s1, s0, 31
	s_add_i32 s0, s0, s1
	s_lshl_b32 s0, s0, 1
	v_lshlrev_b32_e32 v1, 3, v0
	s_and_b32 s30, s0, -4
	v_cmp_gt_i32_e64 s[0:1], s7, v1
	v_mov_b32_e32 v24, 0
	v_mov_b32_e32 v25, 0
	;; [unrolled: 1-line block ×8, first 2 shown]
	s_and_saveexec_b64 s[2:3], s[0:1]
	s_cbranch_execz .LBB35_3
; %bb.2:
	s_load_dwordx2 s[24:25], s[4:5], 0x28
	s_load_dwordx2 s[26:27], s[4:5], 0x40
	s_and_b64 s[28:29], s[8:9], exec
	s_cselect_b32 s14, s17, s18
	s_mov_b32 s31, 0x20000
	s_waitcnt lgkmcnt(0)
	s_cselect_b32 s17, s25, s35
	s_cselect_b32 s28, s24, s34
	s_mul_hi_i32 s25, s14, s6
	s_mul_i32 s24, s14, s6
	s_lshl_b64 s[24:25], s[24:25], 1
	s_add_u32 s24, s28, s24
	s_addc_u32 s14, s17, s25
	s_and_b64 s[28:29], s[8:9], exec
	s_cselect_b32 s28, s26, s20
	s_cselect_b32 s17, s27, s21
	v_lshlrev_b32_e32 v2, 4, v0
	s_and_b32 s25, s14, 0xffff
	s_mov_b32 s26, s30
	s_mov_b32 s27, s31
	s_and_b32 s29, s17, 0xffff
	buffer_load_dwordx4 v[28:31], v2, s[24:27], 0 offen glc slc
	buffer_load_dwordx4 v[24:27], v2, s[28:31], 0 offen
.LBB35_3:
	s_or_b64 exec, exec, s[2:3]
	s_load_dwordx4 s[24:27], s[4:5], 0x7c
	s_and_b64 vcc, exec, s[22:23]
	s_cbranch_vccz .LBB35_7
; %bb.4:
	v_mov_b32_e32 v33, 0
	v_mov_b32_e32 v32, 0
	;; [unrolled: 1-line block ×8, first 2 shown]
	s_and_saveexec_b64 s[2:3], s[0:1]
	s_cbranch_execz .LBB35_6
; %bb.5:
	s_waitcnt vmcnt(1)
	v_cvt_f32_f16_sdwa v17, v28 dst_sel:DWORD dst_unused:UNUSED_PAD src0_sel:WORD_1
	v_cvt_f32_f16_e32 v16, v28
	v_cvt_f32_f16_sdwa v11, v29 dst_sel:DWORD dst_unused:UNUSED_PAD src0_sel:WORD_1
	v_cvt_f32_f16_e32 v10, v29
	;; [unrolled: 2-line block ×4, first 2 shown]
.LBB35_6:
	s_or_b64 exec, exec, s[2:3]
	s_cbranch_execz .LBB35_8
	s_branch .LBB35_11
.LBB35_7:
                                        ; implicit-def: $vgpr8_vgpr9_vgpr10_vgpr11_vgpr12_vgpr13_vgpr14_vgpr15
                                        ; implicit-def: $vgpr33
                                        ; implicit-def: $vgpr16_vgpr17_vgpr18_vgpr19_vgpr20_vgpr21_vgpr22_vgpr23
                                        ; implicit-def: $vgpr2_vgpr3_vgpr4_vgpr5_vgpr6_vgpr7_vgpr8_vgpr9
.LBB35_8:
	v_mov_b32_e32 v33, 0
	v_mov_b32_e32 v32, 0
	;; [unrolled: 1-line block ×8, first 2 shown]
	s_and_saveexec_b64 s[2:3], s[0:1]
	s_cbranch_execz .LBB35_10
; %bb.9:
	s_load_dwordx2 s[28:29], s[4:5], 0x38
	s_mul_hi_i32 s37, s19, s6
	s_mul_i32 s36, s19, s6
	s_lshl_b64 s[36:37], s[36:37], 1
	s_mov_b32 s31, 0x20000
	s_waitcnt lgkmcnt(0)
	s_add_u32 s28, s28, s36
	s_addc_u32 s14, s29, s37
	s_and_b32 s29, s14, 0xffff
	v_lshlrev_b32_e32 v20, 4, v0
	buffer_load_dwordx4 v[2:5], v20, s[28:31], 0 offen glc slc
	s_waitcnt vmcnt(2)
	v_cvt_f32_f16_sdwa v7, v28 dst_sel:DWORD dst_unused:UNUSED_PAD src0_sel:WORD_1
	v_cvt_f32_f16_e32 v6, v28
	v_cvt_f32_f16_sdwa v9, v29 dst_sel:DWORD dst_unused:UNUSED_PAD src0_sel:WORD_1
	v_cvt_f32_f16_e32 v8, v29
	;; [unrolled: 2-line block ×4, first 2 shown]
	s_load_dwordx2 s[28:29], s[4:5], 0x20
	s_mul_hi_i32 s27, s26, s6
	s_mul_i32 s26, s26, s6
	s_lshl_b64 s[26:27], s[26:27], 1
	s_waitcnt lgkmcnt(0)
	s_add_u32 s28, s28, s26
	s_addc_u32 s14, s29, s27
	s_and_b32 s29, s14, 0xffff
	s_waitcnt vmcnt(0)
	v_cvt_f32_f16_e32 v10, v2
	v_cvt_f32_f16_sdwa v11, v2 dst_sel:DWORD dst_unused:UNUSED_PAD src0_sel:WORD_1
	v_cvt_f32_f16_e32 v2, v3
	v_cvt_f32_f16_sdwa v3, v3 dst_sel:DWORD dst_unused:UNUSED_PAD src0_sel:WORD_1
	;; [unrolled: 2-line block ×4, first 2 shown]
	v_pk_add_f32 v[16:17], v[6:7], v[10:11]
	v_pk_add_f32 v[10:11], v[8:9], v[2:3]
	;; [unrolled: 1-line block ×4, first 2 shown]
	v_cvt_f16_f32_e32 v2, v17
	v_cvt_f16_f32_e32 v3, v11
	;; [unrolled: 1-line block ×8, first 2 shown]
	v_pack_b32_f16 v5, v8, v5
	v_pack_b32_f16 v4, v9, v4
	;; [unrolled: 1-line block ×4, first 2 shown]
	buffer_store_dwordx4 v[2:5], v20, s[28:31], 0 offen glc slc
	;;#ASMSTART
	s_nop 0
	;;#ASMEND
.LBB35_10:
	s_or_b64 exec, exec, s[2:3]
.LBB35_11:
	v_mul_f32_e32 v2, v17, v17
	v_fmac_f32_e32 v2, v16, v16
	v_fmac_f32_e32 v2, v10, v10
	;; [unrolled: 1-line block ×7, first 2 shown]
	v_and_b32_e32 v4, 63, v0
	v_cmp_eq_u32_e64 s[2:3], 63, v4
	v_mov_b32_dpp v3, v2 quad_perm:[1,0,3,2] row_mask:0xf bank_mask:0xf
	v_add_f32_e32 v2, v2, v3
	s_nop 1
	v_mov_b32_dpp v3, v2 quad_perm:[2,3,0,1] row_mask:0xf bank_mask:0xf
	v_add_f32_e32 v2, v2, v3
	s_nop 1
	v_mov_b32_dpp v3, v2 row_half_mirror row_mask:0xf bank_mask:0xf
	v_add_f32_e32 v2, v2, v3
	s_nop 1
	v_mov_b32_dpp v3, v2 row_mirror row_mask:0xf bank_mask:0xf
	v_add_f32_e32 v2, v2, v3
	s_nop 1
	v_mov_b32_dpp v3, v2 row_bcast:15 row_mask:0xf bank_mask:0xf
	v_add_f32_e32 v2, v2, v3
	s_nop 1
	v_mov_b32_dpp v3, v2 row_bcast:31 row_mask:0xf bank_mask:0xf
	s_waitcnt lgkmcnt(0)
	s_and_saveexec_b64 s[26:27], s[2:3]
	s_cbranch_execz .LBB35_13
; %bb.12:
	v_add_f32_e32 v2, v2, v3
	v_lshrrev_b32_e32 v3, 4, v0
	v_and_b32_e32 v3, 60, v3
	ds_write_b32 v3, v2 offset:32
.LBB35_13:
	s_or_b64 exec, exec, s[26:27]
	v_and_b32_e32 v2, 3, v0
	v_lshlrev_b32_e32 v18, 2, v2
	s_waitcnt lgkmcnt(0)
	s_barrier
	ds_read_b32 v2, v18 offset:32
	s_load_dwordx2 s[26:27], s[4:5], 0x18
	s_waitcnt lgkmcnt(0)
	v_mov_b32_dpp v3, v2 quad_perm:[1,0,3,2] row_mask:0xf bank_mask:0xf
	v_add_f32_e32 v2, v2, v3
	s_nop 1
	v_mov_b32_dpp v3, v2 quad_perm:[2,3,0,1] row_mask:0xf bank_mask:0xf
	s_and_saveexec_b64 s[28:29], s[0:1]
	s_cbranch_execnz .LBB35_18
; %bb.14:
	s_or_b64 exec, exec, s[28:29]
	s_mov_b64 s[8:9], -1
	s_and_b64 vcc, exec, s[22:23]
	s_cbranch_vccnz .LBB35_19
.LBB35_15:
	s_andn2_b64 vcc, exec, s[8:9]
	s_cbranch_vccz .LBB35_22
.LBB35_16:
	s_cmp_lt_i32 s16, 1
	s_cbranch_scc0 .LBB35_33
.LBB35_17:
	s_endpgm
.LBB35_18:
	v_cvt_f32_u32_e32 v4, s7
	v_add_f32_e32 v2, v2, v3
	v_mov_b32_e32 v8, s13
	v_mov_b32_e32 v9, s12
	v_div_scale_f32 v3, s[36:37], v4, v4, v2
	v_rcp_f32_e32 v5, v3
	v_cndmask_b32_e64 v8, v8, v9, s[8:9]
	s_mov_b32 s7, 0x800000
	s_waitcnt vmcnt(0)
	v_cvt_f32_f16_sdwa v15, v26 dst_sel:DWORD dst_unused:UNUSED_PAD src0_sel:WORD_1
	v_fma_f32 v9, -v3, v5, 1.0
	v_fmac_f32_e32 v5, v9, v5
	v_div_scale_f32 v9, vcc, v2, v4, v2
	v_mul_f32_e32 v12, v9, v5
	v_fma_f32 v13, -v3, v12, v9
	v_fmac_f32_e32 v12, v13, v5
	v_fma_f32 v3, -v3, v12, v9
	v_div_fmas_f32 v3, v3, v5, v12
	v_div_fixup_f32 v2, v3, v4, v2
	v_add_f32_e32 v2, v8, v2
	v_mul_f32_e32 v3, 0x4b800000, v2
	v_cmp_gt_f32_e32 vcc, s7, v2
	v_cndmask_b32_e32 v2, v2, v3, vcc
	v_rsq_f32_e32 v2, v2
	v_cvt_f32_f16_sdwa v13, v25 dst_sel:DWORD dst_unused:UNUSED_PAD src0_sel:WORD_1
	v_cvt_f32_f16_e32 v12, v25
	v_cvt_f32_f16_e32 v14, v26
	v_mul_f32_e32 v3, 0x45800000, v2
	v_cndmask_b32_e32 v2, v2, v3, vcc
	v_mov_b32_e32 v3, v2
	;;#ASMSTART
	v_pk_mul_f32 v[4:5], v[16:17], v[2:3]
	;;#ASMEND
	;;#ASMSTART
	v_pk_mul_f32 v[8:9], v[10:11], v[2:3]
	;;#ASMEND
	;; [unrolled: 3-line block ×3, first 2 shown]
	v_cvt_f32_f16_sdwa v11, v24 dst_sel:DWORD dst_unused:UNUSED_PAD src0_sel:WORD_1
	v_cvt_f32_f16_e32 v10, v24
	;;#ASMSTART
	v_pk_mul_f32 v[2:3], v[32:33], v[2:3]
	;;#ASMEND
	v_cvt_f32_f16_sdwa v21, v27 dst_sel:DWORD dst_unused:UNUSED_PAD src0_sel:WORD_1
	v_cvt_f32_f16_e32 v20, v27
	;;#ASMSTART
	v_pk_mul_f32 v[16:17], v[4:5], v[10:11]
	;;#ASMEND
	;;#ASMSTART
	v_pk_mul_f32 v[10:11], v[8:9], v[12:13]
	;;#ASMEND
	;; [unrolled: 3-line block ×4, first 2 shown]
	s_or_b64 exec, exec, s[28:29]
	s_mov_b64 s[8:9], -1
	s_and_b64 vcc, exec, s[22:23]
	s_cbranch_vccz .LBB35_15
.LBB35_19:
	s_and_saveexec_b64 s[8:9], s[0:1]
	s_cbranch_execz .LBB35_21
; %bb.20:
	s_mul_hi_i32 s23, s25, s6
	s_mul_i32 s22, s25, s6
	v_cvt_f16_f32_e32 v2, v16
	v_cvt_f16_f32_e32 v3, v10
	;; [unrolled: 1-line block ×8, first 2 shown]
	s_lshl_b64 s[22:23], s[22:23], 1
	s_add_u32 s28, s26, s22
	s_addc_u32 s7, s27, s23
	s_and_b32 s29, s7, 0xffff
	s_mov_b32 s31, 0x20000
	v_pack_b32_f16 v5, v5, v8
	v_pack_b32_f16 v4, v4, v9
	;; [unrolled: 1-line block ×4, first 2 shown]
	v_lshlrev_b32_e32 v8, 4, v0
	buffer_store_dwordx4 v[2:5], v8, s[28:31], 0 offen
	;;#ASMSTART
	s_nop 0
	;;#ASMEND
.LBB35_21:
	s_or_b64 exec, exec, s[8:9]
	s_cbranch_execnz .LBB35_16
.LBB35_22:
	v_mov_b32_e32 v2, 0
	s_and_saveexec_b64 s[8:9], s[0:1]
	s_cbranch_execz .LBB35_24
; %bb.23:
	s_load_dwordx2 s[22:23], s[4:5], 0x10
	s_mul_hi_i32 s29, s24, s6
	s_mul_i32 s28, s24, s6
	v_cvt_f16_f32_e32 v2, v16
	v_cvt_f16_f32_e32 v3, v10
	;; [unrolled: 1-line block ×8, first 2 shown]
	s_lshl_b64 s[28:29], s[28:29], 1
	s_waitcnt lgkmcnt(0)
	s_add_u32 s28, s22, s28
	s_addc_u32 s7, s23, s29
	s_mov_b32 s31, 0x20000
	s_and_b32 s29, s7, 0xffff
	v_pack_b32_f16 v5, v5, v8
	v_pack_b32_f16 v4, v4, v9
	;; [unrolled: 1-line block ×4, first 2 shown]
	v_lshlrev_b32_e32 v8, 4, v0
	buffer_store_dwordx4 v[2:5], v8, s[28:31], 0 offen
	;;#ASMSTART
	s_nop 0
	;;#ASMEND
	s_nop 0
	v_mov_b32_e32 v2, 0x2edbe6ff
.LBB35_24:
	s_or_b64 exec, exec, s[8:9]
	s_and_saveexec_b64 s[8:9], s[0:1]
	s_cbranch_execz .LBB35_26
; %bb.25:
	v_and_b32_e32 v3, 0x7fffffff, v16
	v_and_b32_e32 v4, 0x7fffffff, v17
	;;#ASMSTART
	v_max3_f32 v2, v2, v3, v4

	;;#ASMEND
	v_and_b32_e32 v3, 0x7fffffff, v10
	v_and_b32_e32 v4, 0x7fffffff, v11
	;;#ASMSTART
	v_max3_f32 v2, v2, v3, v4

	;;#ASMEND
	;; [unrolled: 6-line block ×4, first 2 shown]
.LBB35_26:
	s_or_b64 exec, exec, s[8:9]
	s_nop 0
	v_mov_b32_dpp v3, v2 quad_perm:[1,0,3,2] row_mask:0xf bank_mask:0xf
	v_cmp_gt_f32_e32 vcc, v2, v3
	v_cndmask_b32_e32 v2, v3, v2, vcc
	s_nop 1
	v_mov_b32_dpp v3, v2 quad_perm:[2,3,0,1] row_mask:0xf bank_mask:0xf
	v_cmp_gt_f32_e32 vcc, v2, v3
	v_cndmask_b32_e32 v2, v3, v2, vcc
	s_nop 1
	v_mov_b32_dpp v3, v2 row_half_mirror row_mask:0xf bank_mask:0xf
	v_cmp_gt_f32_e32 vcc, v2, v3
	v_cndmask_b32_e32 v2, v3, v2, vcc
	s_nop 1
	v_mov_b32_dpp v3, v2 row_mirror row_mask:0xf bank_mask:0xf
	v_cmp_gt_f32_e32 vcc, v2, v3
	v_cndmask_b32_e32 v2, v3, v2, vcc
	s_nop 1
	v_mov_b32_dpp v3, v2 row_bcast:15 row_mask:0xf bank_mask:0xf
	v_cmp_gt_f32_e32 vcc, v2, v3
	v_cndmask_b32_e32 v2, v3, v2, vcc
	s_nop 1
	v_mov_b32_dpp v3, v2 row_bcast:31 row_mask:0xf bank_mask:0xf
	s_and_saveexec_b64 s[8:9], s[2:3]
	s_cbranch_execz .LBB35_28
; %bb.27:
	v_cmp_gt_f32_e32 vcc, v2, v3
	v_cndmask_b32_e32 v2, v3, v2, vcc
	v_lshrrev_b32_e32 v3, 4, v0
	v_and_b32_e32 v3, 60, v3
	ds_write_b32 v3, v2
.LBB35_28:
	s_or_b64 exec, exec, s[8:9]
	s_waitcnt lgkmcnt(0)
	s_barrier
	ds_read_b32 v2, v18
	s_waitcnt lgkmcnt(0)
	s_nop 0
	v_mov_b32_dpp v3, v2 quad_perm:[1,0,3,2] row_mask:0xf bank_mask:0xf
	v_cmp_gt_f32_e32 vcc, v2, v3
	v_cndmask_b32_e32 v2, v3, v2, vcc
	s_nop 1
	v_mov_b32_dpp v3, v2 quad_perm:[2,3,0,1] row_mask:0xf bank_mask:0xf
	v_cmp_gt_f32_e32 vcc, v2, v3
	v_cndmask_b32_e32 v2, v3, v2, vcc
	v_mul_f32_e32 v2, 0x3b124925, v2
	v_cmp_eq_u32_e32 vcc, 0, v0
	s_and_saveexec_b64 s[8:9], vcc
	s_cbranch_execz .LBB35_30
; %bb.29:
	s_load_dwordx2 s[22:23], s[4:5], 0x8
	s_mul_hi_i32 s29, s11, s6
	s_mul_i32 s28, s11, s6
	s_lshl_b64 s[28:29], s[28:29], 2
	v_mov_b32_e32 v3, 0
	s_waitcnt lgkmcnt(0)
	s_add_u32 s22, s22, s28
	s_addc_u32 s23, s23, s29
	global_store_dword v3, v2, s[22:23]
.LBB35_30:
	s_or_b64 exec, exec, s[8:9]
	;;#ASMSTART
	v_rcp_f32 v2, v2
	;;#ASMEND
	s_and_saveexec_b64 s[22:23], s[0:1]
	s_cbranch_execz .LBB35_32
; %bb.31:
	s_load_dwordx2 s[0:1], s[4:5], 0x0
	s_mul_i32 s8, s10, s6
	v_mov_b32_e32 v3, v2
	;;#ASMSTART
	v_pk_mul_f32 v[4:5], v[16:17], v[2:3]
	;;#ASMEND
	s_mul_hi_i32 s7, s10, s6
	s_waitcnt lgkmcnt(0)
	s_add_u32 s8, s0, s8
	v_mov_b32_e32 v8, 0xc3e00000
	v_mov_b32_e32 v9, 0x43e00000
	;;#ASMSTART
	v_med3_f32 v4, v4, v8, v9
v_med3_f32 v5, v5, v8, v9
v_cvt_pk_fp8_f32 v12, v4, v5
	;;#ASMEND
	s_addc_u32 s0, s1, s7
	;;#ASMSTART
	v_pk_mul_f32 v[4:5], v[10:11], v[2:3]
	;;#ASMEND
	s_and_b32 s9, s0, 0xffff
	;;#ASMSTART
	v_med3_f32 v4, v4, v8, v9
v_med3_f32 v5, v5, v8, v9
v_cvt_pk_fp8_f32 v10, v4, v5
	;;#ASMEND
	s_mov_b32 s0, 0x5040100
	v_perm_b32 v5, v10, v12, s0
	s_movk_i32 s0, 0xff
	v_and_b32_e32 v4, 0xffffff00, v10
	v_and_b32_sdwa v10, v5, s0 dst_sel:DWORD dst_unused:UNUSED_PAD src0_sel:WORD_1 src1_sel:DWORD
	s_mov_b32 s12, 0xffff
	v_or_b32_sdwa v4, v10, v4 dst_sel:WORD_1 dst_unused:UNUSED_PAD src0_sel:DWORD src1_sel:DWORD
	s_add_i32 s1, s15, 3
	v_and_or_b32 v4, v5, s12, v4
	;;#ASMSTART
	v_pk_mul_f32 v[6:7], v[6:7], v[2:3]
	;;#ASMEND
	v_mov_b32_e32 v5, v6
	s_ashr_i32 s7, s1, 31
	;;#ASMSTART
	v_med3_f32 v5, v5, v8, v9
v_med3_f32 v7, v7, v8, v9
v_cvt_pk_fp8_f32 v6, v5, v7
	;;#ASMEND
	;;#ASMSTART
	v_pk_mul_f32 v[2:3], v[32:33], v[2:3]
	;;#ASMEND
	s_lshr_b32 s7, s7, 30
	;;#ASMSTART
	v_med3_f32 v2, v2, v8, v9
v_med3_f32 v3, v3, v8, v9
v_cvt_pk_fp8_f32 v5, v2, v3
	;;#ASMEND
	s_add_i32 s1, s1, s7
	v_lshlrev_b32_e32 v2, 16, v5
	s_and_b32 s10, s1, -4
	s_mov_b32 s11, 0x20000
	v_and_or_b32 v5, v6, s12, v2
	buffer_store_dwordx2 v[4:5], v1, s[8:11], 0 offen
	;;#ASMSTART
	s_nop 0
	;;#ASMEND
.LBB35_32:
	s_or_b64 exec, exec, s[22:23]
	s_cmp_lt_i32 s16, 1
	s_cbranch_scc1 .LBB35_17
.LBB35_33:
	s_load_dword s0, s[4:5], 0x94
	s_waitcnt lgkmcnt(0)
	s_cmp_lg_u32 s0, 1
	s_cbranch_scc1 .LBB35_17
; %bb.34:
	s_lshl_b32 s0, s16, 1
	s_add_i32 s0, s0, 2
	v_cmp_gt_u32_e32 vcc, s16, v1
	s_and_b32 s22, s0, -4
	v_mov_b32_e32 v10, 0
	v_lshlrev_b32_e32 v1, 4, v0
	v_mov_b32_e32 v6, 0
	v_mov_b32_e32 v7, 0
	;; [unrolled: 1-line block ×8, first 2 shown]
	s_barrier
	s_and_saveexec_b64 s[0:1], vcc
	s_cbranch_execz .LBB35_36
; %bb.35:
	s_mul_hi_i32 s5, s18, s6
	s_mul_i32 s4, s18, s6
	s_and_b32 s21, s21, 0xffff
	s_lshl_b64 s[4:5], s[4:5], 1
	s_add_u32 s8, s34, s4
	s_mov_b32 s23, 0x20000
	s_addc_u32 s4, s35, s5
	s_and_b32 s9, s4, 0xffff
	s_mov_b32 s10, s22
	s_mov_b32 s11, s23
	buffer_load_dwordx4 v[6:9], v1, s[8:11], 0 offen glc slc
	buffer_load_dwordx4 v[2:5], v1, s[20:23], 0 offen
.LBB35_36:
	s_or_b64 exec, exec, s[0:1]
	v_mov_b32_e32 v11, 0
	v_mov_b32_e32 v16, 0
	;; [unrolled: 1-line block ×7, first 2 shown]
	s_and_saveexec_b64 s[0:1], vcc
	s_cbranch_execz .LBB35_38
; %bb.37:
	s_waitcnt vmcnt(1)
	v_cvt_f32_f16_sdwa v11, v6 dst_sel:DWORD dst_unused:UNUSED_PAD src0_sel:WORD_1
	v_cvt_f32_f16_e32 v10, v6
	v_cvt_f32_f16_sdwa v17, v7 dst_sel:DWORD dst_unused:UNUSED_PAD src0_sel:WORD_1
	v_cvt_f32_f16_e32 v16, v7
	;; [unrolled: 2-line block ×4, first 2 shown]
.LBB35_38:
	s_or_b64 exec, exec, s[0:1]
	s_waitcnt vmcnt(1)
	v_mul_f32_e32 v6, v11, v11
	v_fmac_f32_e32 v6, v10, v10
	v_fmac_f32_e32 v6, v16, v16
	;; [unrolled: 1-line block ×7, first 2 shown]
	s_nop 1
	v_mov_b32_dpp v7, v6 quad_perm:[1,0,3,2] row_mask:0xf bank_mask:0xf
	v_add_f32_e32 v6, v6, v7
	s_nop 1
	v_mov_b32_dpp v7, v6 quad_perm:[2,3,0,1] row_mask:0xf bank_mask:0xf
	v_add_f32_e32 v6, v6, v7
	s_nop 1
	v_mov_b32_dpp v7, v6 row_half_mirror row_mask:0xf bank_mask:0xf
	v_add_f32_e32 v6, v6, v7
	s_nop 1
	v_mov_b32_dpp v7, v6 row_mirror row_mask:0xf bank_mask:0xf
	v_add_f32_e32 v6, v6, v7
	s_nop 1
	v_mov_b32_dpp v7, v6 row_bcast:15 row_mask:0xf bank_mask:0xf
	v_add_f32_e32 v6, v6, v7
	s_nop 1
	v_mov_b32_dpp v7, v6 row_bcast:31 row_mask:0xf bank_mask:0xf
	s_and_saveexec_b64 s[0:1], s[2:3]
	s_cbranch_execz .LBB35_40
; %bb.39:
	v_lshrrev_b32_e32 v0, 4, v0
	v_add_f32_e32 v6, v6, v7
	v_and_b32_e32 v0, 60, v0
	ds_write_b32 v0, v6 offset:16
.LBB35_40:
	s_or_b64 exec, exec, s[0:1]
	s_waitcnt lgkmcnt(0)
	s_barrier
	ds_read_b32 v0, v18 offset:16
	s_waitcnt lgkmcnt(0)
	s_nop 0
	v_mov_b32_dpp v6, v0 quad_perm:[1,0,3,2] row_mask:0xf bank_mask:0xf
	v_add_f32_e32 v0, v0, v6
	s_nop 1
	v_mov_b32_dpp v6, v0 quad_perm:[2,3,0,1] row_mask:0xf bank_mask:0xf
	s_and_saveexec_b64 s[0:1], vcc
	s_cbranch_execz .LBB35_17
; %bb.41:
	v_cvt_f32_u32_e32 v7, s16
	v_add_f32_e32 v0, v0, v6
	s_mov_b32 s23, 0x20000
	v_div_scale_f32 v6, s[0:1], v7, v7, v0
	v_rcp_f32_e32 v8, v6
	v_div_scale_f32 v9, vcc, v0, v7, v0
	s_mov_b32 s0, 0x800000
	v_fma_f32 v18, -v6, v8, 1.0
	v_fmac_f32_e32 v8, v18, v8
	v_mul_f32_e32 v18, v9, v8
	v_fma_f32 v19, -v6, v18, v9
	v_fmac_f32_e32 v18, v19, v8
	v_fma_f32 v6, -v6, v18, v9
	v_div_fmas_f32 v6, v6, v8, v18
	v_div_fixup_f32 v0, v6, v7, v0
	v_add_f32_e32 v0, s13, v0
	v_mul_f32_e32 v6, 0x4b800000, v0
	v_cmp_gt_f32_e32 vcc, s0, v0
	v_cndmask_b32_e32 v0, v0, v6, vcc
	v_rsq_f32_e32 v0, v0
	s_waitcnt vmcnt(0)
	v_cvt_f32_f16_sdwa v19, v5 dst_sel:DWORD dst_unused:UNUSED_PAD src0_sel:WORD_1
	v_cvt_f32_f16_e32 v18, v5
	s_mul_hi_i32 s1, s25, s6
	v_mul_f32_e32 v6, 0x45800000, v0
	v_cndmask_b32_e32 v6, v0, v6, vcc
	v_mov_b32_e32 v7, v6
	;;#ASMSTART
	v_pk_mul_f32 v[8:9], v[10:11], v[6:7]
	;;#ASMEND
	;;#ASMSTART
	v_pk_mul_f32 v[10:11], v[16:17], v[6:7]
	;;#ASMEND
	;; [unrolled: 3-line block ×4, first 2 shown]
	v_cvt_f32_f16_sdwa v13, v2 dst_sel:DWORD dst_unused:UNUSED_PAD src0_sel:WORD_1
	v_cvt_f32_f16_e32 v12, v2
	v_cvt_f32_f16_sdwa v17, v3 dst_sel:DWORD dst_unused:UNUSED_PAD src0_sel:WORD_1
	v_cvt_f32_f16_e32 v16, v3
	;; [unrolled: 2-line block ×3, first 2 shown]
	;;#ASMSTART
	v_pk_mul_f32 v[4:5], v[8:9], v[12:13]
	;;#ASMEND
	;;#ASMSTART
	v_pk_mul_f32 v[8:9], v[10:11], v[16:17]
	;;#ASMEND
	;; [unrolled: 3-line block ×4, first 2 shown]
	s_mul_i32 s0, s25, s6
	v_cvt_f16_f32_e32 v0, v4
	v_cvt_f16_f32_e32 v4, v5
	;; [unrolled: 1-line block ×8, first 2 shown]
	s_lshl_b64 s[0:1], s[0:1], 1
	s_add_u32 s20, s26, s0
	s_addc_u32 s0, s27, s1
	s_and_b32 s21, s0, 0xffff
	v_pack_b32_f16 v2, v0, v4
	v_pack_b32_f16 v3, v5, v8
	;; [unrolled: 1-line block ×4, first 2 shown]
	buffer_store_dwordx4 v[2:5], v1, s[20:23], 0 offen
	;;#ASMSTART
	s_nop 0
	;;#ASMEND
	s_endpgm
	.section	.rodata,"a",@progbits
	.p2align	6, 0x0
	.amdhsa_kernel _ZN5aiter35fused_qk_rmsnorm_group_quant_kernelIDF16_DB8_Li256ELi8ELi1ELb1ELb1ELb0ELb0ELb1ELb1EEEvPT0_PvPT_S6_S6_PKS5_S8_S8_S8_S8_ffiiiiiiiiiiiii
		.amdhsa_group_segment_fixed_size 48
		.amdhsa_private_segment_fixed_size 0
		.amdhsa_kernarg_size 400
		.amdhsa_user_sgpr_count 6
		.amdhsa_user_sgpr_private_segment_buffer 1
		.amdhsa_user_sgpr_dispatch_ptr 0
		.amdhsa_user_sgpr_queue_ptr 0
		.amdhsa_user_sgpr_kernarg_segment_ptr 1
		.amdhsa_user_sgpr_dispatch_id 0
		.amdhsa_user_sgpr_flat_scratch_init 0
		.amdhsa_user_sgpr_kernarg_preload_length 0
		.amdhsa_user_sgpr_kernarg_preload_offset 0
		.amdhsa_user_sgpr_private_segment_size 0
		.amdhsa_uses_dynamic_stack 0
		.amdhsa_system_sgpr_private_segment_wavefront_offset 0
		.amdhsa_system_sgpr_workgroup_id_x 1
		.amdhsa_system_sgpr_workgroup_id_y 1
		.amdhsa_system_sgpr_workgroup_id_z 0
		.amdhsa_system_sgpr_workgroup_info 0
		.amdhsa_system_vgpr_workitem_id 0
		.amdhsa_next_free_vgpr 34
		.amdhsa_next_free_sgpr 38
		.amdhsa_accum_offset 36
		.amdhsa_reserve_vcc 1
		.amdhsa_reserve_flat_scratch 0
		.amdhsa_float_round_mode_32 0
		.amdhsa_float_round_mode_16_64 0
		.amdhsa_float_denorm_mode_32 3
		.amdhsa_float_denorm_mode_16_64 3
		.amdhsa_dx10_clamp 1
		.amdhsa_ieee_mode 1
		.amdhsa_fp16_overflow 0
		.amdhsa_tg_split 0
		.amdhsa_exception_fp_ieee_invalid_op 0
		.amdhsa_exception_fp_denorm_src 0
		.amdhsa_exception_fp_ieee_div_zero 0
		.amdhsa_exception_fp_ieee_overflow 0
		.amdhsa_exception_fp_ieee_underflow 0
		.amdhsa_exception_fp_ieee_inexact 0
		.amdhsa_exception_int_div_zero 0
	.end_amdhsa_kernel
	.section	.text._ZN5aiter35fused_qk_rmsnorm_group_quant_kernelIDF16_DB8_Li256ELi8ELi1ELb1ELb1ELb0ELb0ELb1ELb1EEEvPT0_PvPT_S6_S6_PKS5_S8_S8_S8_S8_ffiiiiiiiiiiiii,"axG",@progbits,_ZN5aiter35fused_qk_rmsnorm_group_quant_kernelIDF16_DB8_Li256ELi8ELi1ELb1ELb1ELb0ELb0ELb1ELb1EEEvPT0_PvPT_S6_S6_PKS5_S8_S8_S8_S8_ffiiiiiiiiiiiii,comdat
.Lfunc_end35:
	.size	_ZN5aiter35fused_qk_rmsnorm_group_quant_kernelIDF16_DB8_Li256ELi8ELi1ELb1ELb1ELb0ELb0ELb1ELb1EEEvPT0_PvPT_S6_S6_PKS5_S8_S8_S8_S8_ffiiiiiiiiiiiii, .Lfunc_end35-_ZN5aiter35fused_qk_rmsnorm_group_quant_kernelIDF16_DB8_Li256ELi8ELi1ELb1ELb1ELb0ELb0ELb1ELb1EEEvPT0_PvPT_S6_S6_PKS5_S8_S8_S8_S8_ffiiiiiiiiiiiii
                                        ; -- End function
	.section	.AMDGPU.csdata,"",@progbits
; Kernel info:
; codeLenInByte = 3136
; NumSgprs: 42
; NumVgprs: 34
; NumAgprs: 0
; TotalNumVgprs: 34
; ScratchSize: 0
; MemoryBound: 0
; FloatMode: 240
; IeeeMode: 1
; LDSByteSize: 48 bytes/workgroup (compile time only)
; SGPRBlocks: 5
; VGPRBlocks: 4
; NumSGPRsForWavesPerEU: 42
; NumVGPRsForWavesPerEU: 34
; AccumOffset: 36
; Occupancy: 8
; WaveLimiterHint : 0
; COMPUTE_PGM_RSRC2:SCRATCH_EN: 0
; COMPUTE_PGM_RSRC2:USER_SGPR: 6
; COMPUTE_PGM_RSRC2:TRAP_HANDLER: 0
; COMPUTE_PGM_RSRC2:TGID_X_EN: 1
; COMPUTE_PGM_RSRC2:TGID_Y_EN: 1
; COMPUTE_PGM_RSRC2:TGID_Z_EN: 0
; COMPUTE_PGM_RSRC2:TIDIG_COMP_CNT: 0
; COMPUTE_PGM_RSRC3_GFX90A:ACCUM_OFFSET: 8
; COMPUTE_PGM_RSRC3_GFX90A:TG_SPLIT: 0
	.section	.text._ZN5aiter35fused_qk_rmsnorm_group_quant_kernelItDB8_Li256ELi8ELi1ELb1ELb1ELb0ELb0ELb1ELb1EEEvPT0_PvPT_S6_S6_PKS5_S8_S8_S8_S8_ffiiiiiiiiiiiii,"axG",@progbits,_ZN5aiter35fused_qk_rmsnorm_group_quant_kernelItDB8_Li256ELi8ELi1ELb1ELb1ELb0ELb0ELb1ELb1EEEvPT0_PvPT_S6_S6_PKS5_S8_S8_S8_S8_ffiiiiiiiiiiiii,comdat
	.protected	_ZN5aiter35fused_qk_rmsnorm_group_quant_kernelItDB8_Li256ELi8ELi1ELb1ELb1ELb0ELb0ELb1ELb1EEEvPT0_PvPT_S6_S6_PKS5_S8_S8_S8_S8_ffiiiiiiiiiiiii ; -- Begin function _ZN5aiter35fused_qk_rmsnorm_group_quant_kernelItDB8_Li256ELi8ELi1ELb1ELb1ELb0ELb0ELb1ELb1EEEvPT0_PvPT_S6_S6_PKS5_S8_S8_S8_S8_ffiiiiiiiiiiiii
	.globl	_ZN5aiter35fused_qk_rmsnorm_group_quant_kernelItDB8_Li256ELi8ELi1ELb1ELb1ELb0ELb0ELb1ELb1EEEvPT0_PvPT_S6_S6_PKS5_S8_S8_S8_S8_ffiiiiiiiiiiiii
	.p2align	8
	.type	_ZN5aiter35fused_qk_rmsnorm_group_quant_kernelItDB8_Li256ELi8ELi1ELb1ELb1ELb0ELb0ELb1ELb1EEEvPT0_PvPT_S6_S6_PKS5_S8_S8_S8_S8_ffiiiiiiiiiiiii,@function
_ZN5aiter35fused_qk_rmsnorm_group_quant_kernelItDB8_Li256ELi8ELi1ELb1ELb1ELb0ELb0ELb1ELb1EEEvPT0_PvPT_S6_S6_PKS5_S8_S8_S8_S8_ffiiiiiiiiiiiii: ; @_ZN5aiter35fused_qk_rmsnorm_group_quant_kernelItDB8_Li256ELi8ELi1ELb1ELb1ELb0ELb0ELb1ELb1EEEvPT0_PvPT_S6_S6_PKS5_S8_S8_S8_S8_ffiiiiiiiiiiiii
; %bb.0:
	s_load_dwordx8 s[12:19], s[4:5], 0x50
	s_waitcnt lgkmcnt(0)
	s_cmp_ge_i32 s6, s14
	s_cbranch_scc1 .LBB36_17
; %bb.1:
	s_cmp_lg_u32 s7, 0
	s_cselect_b64 s[22:23], -1, 0
	s_cmp_eq_u32 s7, 0
	s_cselect_b64 s[8:9], -1, 0
	s_and_b64 s[0:1], s[8:9], exec
	s_load_dwordx2 s[10:11], s[4:5], 0x70
	s_load_dwordx2 s[20:21], s[4:5], 0x48
	;; [unrolled: 1-line block ×3, first 2 shown]
	s_cselect_b32 s7, s15, s16
	s_add_i32 s0, s7, 1
	s_lshr_b32 s1, s0, 31
	s_add_i32 s0, s0, s1
	s_lshl_b32 s0, s0, 1
	v_lshlrev_b32_e32 v1, 3, v0
	s_and_b32 s30, s0, -4
	v_cmp_gt_i32_e64 s[0:1], s7, v1
	v_mov_b32_e32 v10, 0
	v_mov_b32_e32 v11, 0
	;; [unrolled: 1-line block ×8, first 2 shown]
	s_and_saveexec_b64 s[2:3], s[0:1]
	s_cbranch_execz .LBB36_3
; %bb.2:
	s_load_dwordx2 s[24:25], s[4:5], 0x28
	s_load_dwordx2 s[26:27], s[4:5], 0x40
	s_and_b64 s[28:29], s[8:9], exec
	s_cselect_b32 s14, s17, s18
	s_mov_b32 s31, 0x20000
	s_waitcnt lgkmcnt(0)
	s_cselect_b32 s17, s25, s35
	s_cselect_b32 s28, s24, s34
	s_mul_hi_i32 s25, s14, s6
	s_mul_i32 s24, s14, s6
	s_lshl_b64 s[24:25], s[24:25], 1
	s_add_u32 s24, s28, s24
	s_addc_u32 s14, s17, s25
	s_and_b64 s[28:29], s[8:9], exec
	s_cselect_b32 s28, s26, s20
	s_cselect_b32 s17, s27, s21
	v_lshlrev_b32_e32 v2, 4, v0
	s_and_b32 s25, s14, 0xffff
	s_mov_b32 s26, s30
	s_mov_b32 s27, s31
	s_and_b32 s29, s17, 0xffff
	buffer_load_dwordx4 v[14:17], v2, s[24:27], 0 offen glc slc
	buffer_load_dwordx4 v[10:13], v2, s[28:31], 0 offen
.LBB36_3:
	s_or_b64 exec, exec, s[2:3]
	s_load_dwordx4 s[24:27], s[4:5], 0x7c
	s_and_b64 vcc, exec, s[22:23]
	s_cbranch_vccz .LBB36_7
; %bb.4:
	s_mov_b32 s36, 0
	s_mov_b32 s37, s36
	s_mov_b32 s38, s36
	s_mov_b32 s39, s36
	s_mov_b32 s40, s36
	s_mov_b32 s41, s36
	s_mov_b32 s42, s36
	s_mov_b32 s43, s36
	v_pk_mov_b32 v[2:3], s[36:37], s[36:37] op_sel:[0,1]
	v_pk_mov_b32 v[4:5], s[38:39], s[38:39] op_sel:[0,1]
	;; [unrolled: 1-line block ×4, first 2 shown]
	s_and_saveexec_b64 s[2:3], s[0:1]
	s_cbranch_execz .LBB36_6
; %bb.5:
	s_waitcnt vmcnt(1)
	v_cvt_f32_u32_sdwa v3, v14 dst_sel:DWORD dst_unused:UNUSED_PAD src0_sel:WORD_1
	v_cvt_f32_u32_sdwa v2, v14 dst_sel:DWORD dst_unused:UNUSED_PAD src0_sel:WORD_0
	v_cvt_f32_u32_sdwa v5, v15 dst_sel:DWORD dst_unused:UNUSED_PAD src0_sel:WORD_1
	v_cvt_f32_u32_sdwa v4, v15 dst_sel:DWORD dst_unused:UNUSED_PAD src0_sel:WORD_0
	;; [unrolled: 2-line block ×4, first 2 shown]
.LBB36_6:
	s_or_b64 exec, exec, s[2:3]
	s_cbranch_execz .LBB36_8
	s_branch .LBB36_11
.LBB36_7:
                                        ; implicit-def: $vgpr2_vgpr3_vgpr4_vgpr5_vgpr6_vgpr7_vgpr8_vgpr9
.LBB36_8:
	s_mov_b32 s36, 0
	s_mov_b32 s37, s36
	;; [unrolled: 1-line block ×8, first 2 shown]
	v_pk_mov_b32 v[2:3], s[36:37], s[36:37] op_sel:[0,1]
	v_pk_mov_b32 v[4:5], s[38:39], s[38:39] op_sel:[0,1]
	;; [unrolled: 1-line block ×4, first 2 shown]
	s_and_saveexec_b64 s[2:3], s[0:1]
	s_cbranch_execz .LBB36_10
; %bb.9:
	s_load_dwordx2 s[28:29], s[4:5], 0x38
	s_mul_hi_i32 s37, s19, s6
	s_mul_i32 s36, s19, s6
	s_lshl_b64 s[36:37], s[36:37], 1
	s_mov_b32 s31, 0x20000
	s_waitcnt lgkmcnt(0)
	s_add_u32 s28, s28, s36
	s_addc_u32 s14, s29, s37
	s_and_b32 s29, s14, 0xffff
	v_lshlrev_b32_e32 v26, 4, v0
	buffer_load_dwordx4 v[2:5], v26, s[28:31], 0 offen glc slc
	s_load_dwordx2 s[28:29], s[4:5], 0x20
	s_waitcnt vmcnt(2)
	v_cvt_f32_u32_sdwa v7, v14 dst_sel:DWORD dst_unused:UNUSED_PAD src0_sel:WORD_1
	v_cvt_f32_u32_sdwa v6, v14 dst_sel:DWORD dst_unused:UNUSED_PAD src0_sel:WORD_0
	v_cvt_f32_u32_sdwa v9, v15 dst_sel:DWORD dst_unused:UNUSED_PAD src0_sel:WORD_1
	v_cvt_f32_u32_sdwa v8, v15 dst_sel:DWORD dst_unused:UNUSED_PAD src0_sel:WORD_0
	;; [unrolled: 2-line block ×4, first 2 shown]
	s_mul_hi_i32 s27, s26, s6
	s_mul_i32 s26, s26, s6
	s_lshl_b64 s[26:27], s[26:27], 1
	s_waitcnt lgkmcnt(0)
	s_add_u32 s28, s28, s26
	s_mov_b32 s14, 0x7060302
	s_addc_u32 s17, s29, s27
	s_and_b32 s29, s17, 0xffff
	s_waitcnt vmcnt(0)
	v_cvt_f32_u32_sdwa v17, v2 dst_sel:DWORD dst_unused:UNUSED_PAD src0_sel:WORD_1
	v_cvt_f32_u32_sdwa v16, v2 dst_sel:DWORD dst_unused:UNUSED_PAD src0_sel:WORD_0
	v_cvt_f32_u32_sdwa v21, v3 dst_sel:DWORD dst_unused:UNUSED_PAD src0_sel:WORD_1
	v_cvt_f32_u32_sdwa v20, v3 dst_sel:DWORD dst_unused:UNUSED_PAD src0_sel:WORD_0
	;; [unrolled: 2-line block ×4, first 2 shown]
	v_pk_add_f32 v[2:3], v[6:7], v[16:17]
	v_pk_add_f32 v[4:5], v[8:9], v[20:21]
	;; [unrolled: 1-line block ×4, first 2 shown]
	v_perm_b32 v17, v9, v8, s14
	v_perm_b32 v16, v7, v6, s14
	;; [unrolled: 1-line block ×4, first 2 shown]
	buffer_store_dwordx4 v[14:17], v26, s[28:31], 0 offen glc slc
	;;#ASMSTART
	s_nop 0
	;;#ASMEND
.LBB36_10:
	s_or_b64 exec, exec, s[2:3]
.LBB36_11:
	s_waitcnt vmcnt(1)
	v_mul_f32_e32 v14, v3, v3
	v_fmac_f32_e32 v14, v2, v2
	v_fmac_f32_e32 v14, v4, v4
	;; [unrolled: 1-line block ×7, first 2 shown]
	v_and_b32_e32 v16, 63, v0
	v_cmp_eq_u32_e64 s[2:3], 63, v16
	v_mov_b32_dpp v15, v14 quad_perm:[1,0,3,2] row_mask:0xf bank_mask:0xf
	v_add_f32_e32 v14, v14, v15
	s_nop 1
	v_mov_b32_dpp v15, v14 quad_perm:[2,3,0,1] row_mask:0xf bank_mask:0xf
	v_add_f32_e32 v14, v14, v15
	s_nop 1
	v_mov_b32_dpp v15, v14 row_half_mirror row_mask:0xf bank_mask:0xf
	v_add_f32_e32 v14, v14, v15
	s_nop 1
	v_mov_b32_dpp v15, v14 row_mirror row_mask:0xf bank_mask:0xf
	v_add_f32_e32 v14, v14, v15
	s_nop 1
	v_mov_b32_dpp v15, v14 row_bcast:15 row_mask:0xf bank_mask:0xf
	v_add_f32_e32 v14, v14, v15
	s_nop 1
	v_mov_b32_dpp v15, v14 row_bcast:31 row_mask:0xf bank_mask:0xf
	s_waitcnt lgkmcnt(0)
	s_and_saveexec_b64 s[26:27], s[2:3]
	s_cbranch_execz .LBB36_13
; %bb.12:
	v_add_f32_e32 v14, v14, v15
	v_lshrrev_b32_e32 v15, 4, v0
	v_and_b32_e32 v15, 60, v15
	ds_write_b32 v15, v14 offset:32
.LBB36_13:
	s_or_b64 exec, exec, s[26:27]
	v_and_b32_e32 v14, 3, v0
	v_lshlrev_b32_e32 v14, 2, v14
	s_waitcnt lgkmcnt(0)
	s_barrier
	ds_read_b32 v15, v14 offset:32
	s_load_dwordx2 s[26:27], s[4:5], 0x18
	s_waitcnt lgkmcnt(0)
	v_mov_b32_dpp v16, v15 quad_perm:[1,0,3,2] row_mask:0xf bank_mask:0xf
	v_add_f32_e32 v15, v15, v16
	s_nop 1
	v_mov_b32_dpp v16, v15 quad_perm:[2,3,0,1] row_mask:0xf bank_mask:0xf
	s_and_saveexec_b64 s[28:29], s[0:1]
	s_cbranch_execnz .LBB36_18
; %bb.14:
	s_or_b64 exec, exec, s[28:29]
	s_mov_b64 s[8:9], -1
	s_and_b64 vcc, exec, s[22:23]
	s_cbranch_vccnz .LBB36_19
.LBB36_15:
	s_andn2_b64 vcc, exec, s[8:9]
	s_cbranch_vccz .LBB36_22
.LBB36_16:
	s_cmp_lt_i32 s16, 1
	s_cbranch_scc0 .LBB36_33
.LBB36_17:
	s_endpgm
.LBB36_18:
	v_cvt_f32_u32_e32 v17, s7
	v_add_f32_e32 v15, v15, v16
	v_mov_b32_e32 v19, s13
	v_mov_b32_e32 v20, s12
	v_div_scale_f32 v16, s[36:37], v17, v17, v15
	v_rcp_f32_e32 v18, v16
	v_cndmask_b32_e64 v19, v19, v20, s[8:9]
	s_mov_b32 s7, 0x800000
	v_fma_f32 v20, -v16, v18, 1.0
	v_fmac_f32_e32 v18, v20, v18
	v_div_scale_f32 v20, vcc, v15, v17, v15
	v_mul_f32_e32 v21, v20, v18
	v_fma_f32 v22, -v16, v21, v20
	v_fmac_f32_e32 v21, v22, v18
	v_fma_f32 v16, -v16, v21, v20
	v_div_fmas_f32 v16, v16, v18, v21
	v_div_fixup_f32 v15, v16, v17, v15
	v_add_f32_e32 v15, v19, v15
	v_mul_f32_e32 v16, 0x4b800000, v15
	v_cmp_gt_f32_e32 vcc, s7, v15
	v_cndmask_b32_e32 v15, v15, v16, vcc
	v_rsq_f32_e32 v15, v15
	s_waitcnt vmcnt(0)
	v_cvt_f32_u32_sdwa v19, v11 dst_sel:DWORD dst_unused:UNUSED_PAD src0_sel:WORD_1
	v_cvt_f32_u32_sdwa v18, v11 dst_sel:DWORD dst_unused:UNUSED_PAD src0_sel:WORD_0
	v_cvt_f32_u32_sdwa v11, v12 dst_sel:DWORD dst_unused:UNUSED_PAD src0_sel:WORD_1
	v_mul_f32_e32 v16, 0x45800000, v15
	v_cndmask_b32_e32 v16, v15, v16, vcc
	v_mov_b32_e32 v17, v16
	;;#ASMSTART
	v_pk_mul_f32 v[2:3], v[2:3], v[16:17]
	;;#ASMEND
	;;#ASMSTART
	v_pk_mul_f32 v[4:5], v[4:5], v[16:17]
	;;#ASMEND
	;; [unrolled: 3-line block ×4, first 2 shown]
	v_cvt_f32_u32_sdwa v17, v10 dst_sel:DWORD dst_unused:UNUSED_PAD src0_sel:WORD_1
	v_cvt_f32_u32_sdwa v16, v10 dst_sel:DWORD dst_unused:UNUSED_PAD src0_sel:WORD_0
	v_cvt_f32_u32_sdwa v10, v12 dst_sel:DWORD dst_unused:UNUSED_PAD src0_sel:WORD_0
	v_cvt_f32_u32_sdwa v21, v13 dst_sel:DWORD dst_unused:UNUSED_PAD src0_sel:WORD_1
	v_cvt_f32_u32_sdwa v20, v13 dst_sel:DWORD dst_unused:UNUSED_PAD src0_sel:WORD_0
	;;#ASMSTART
	v_pk_mul_f32 v[2:3], v[2:3], v[16:17]
	;;#ASMEND
	;;#ASMSTART
	v_pk_mul_f32 v[4:5], v[4:5], v[18:19]
	;;#ASMEND
	;; [unrolled: 3-line block ×4, first 2 shown]
	s_or_b64 exec, exec, s[28:29]
	s_mov_b64 s[8:9], -1
	s_and_b64 vcc, exec, s[22:23]
	s_cbranch_vccz .LBB36_15
.LBB36_19:
	s_and_saveexec_b64 s[8:9], s[0:1]
	s_cbranch_execz .LBB36_21
; %bb.20:
	s_mul_hi_i32 s23, s25, s6
	s_mul_i32 s22, s25, s6
	s_lshl_b64 s[22:23], s[22:23], 1
	s_add_u32 s28, s26, s22
	s_addc_u32 s7, s27, s23
	s_and_b32 s29, s7, 0xffff
	s_mov_b32 s7, 0x7060302
	s_mov_b32 s31, 0x20000
	s_waitcnt vmcnt(0)
	v_perm_b32 v10, v3, v2, s7
	v_perm_b32 v11, v5, v4, s7
	v_perm_b32 v12, v7, v6, s7
	v_perm_b32 v13, v9, v8, s7
	v_lshlrev_b32_e32 v15, 4, v0
	buffer_store_dwordx4 v[10:13], v15, s[28:31], 0 offen
	;;#ASMSTART
	s_nop 0
	;;#ASMEND
.LBB36_21:
	s_or_b64 exec, exec, s[8:9]
	s_cbranch_execnz .LBB36_16
.LBB36_22:
	s_waitcnt vmcnt(0)
	v_mov_b32_e32 v10, 0
	s_and_saveexec_b64 s[8:9], s[0:1]
	s_cbranch_execz .LBB36_24
; %bb.23:
	s_load_dwordx2 s[22:23], s[4:5], 0x10
	s_mul_hi_i32 s29, s24, s6
	s_mul_i32 s28, s24, s6
	s_lshl_b64 s[28:29], s[28:29], 1
	s_mov_b32 s31, 0x20000
	s_waitcnt lgkmcnt(0)
	s_add_u32 s28, s22, s28
	s_addc_u32 s7, s23, s29
	s_and_b32 s29, s7, 0xffff
	s_mov_b32 s7, 0x7060302
	v_perm_b32 v10, v3, v2, s7
	v_perm_b32 v11, v5, v4, s7
	;; [unrolled: 1-line block ×4, first 2 shown]
	v_lshlrev_b32_e32 v15, 4, v0
	buffer_store_dwordx4 v[10:13], v15, s[28:31], 0 offen
	;;#ASMSTART
	s_nop 0
	;;#ASMEND
	s_nop 0
	v_mov_b32_e32 v10, 0x2edbe6ff
.LBB36_24:
	s_or_b64 exec, exec, s[8:9]
	s_and_saveexec_b64 s[8:9], s[0:1]
	s_cbranch_execz .LBB36_26
; %bb.25:
	v_and_b32_e32 v11, 0x7fffffff, v2
	v_and_b32_e32 v12, 0x7fffffff, v3
	;;#ASMSTART
	v_max3_f32 v10, v10, v11, v12

	;;#ASMEND
	v_and_b32_e32 v11, 0x7fffffff, v4
	v_and_b32_e32 v12, 0x7fffffff, v5
	;;#ASMSTART
	v_max3_f32 v10, v10, v11, v12

	;;#ASMEND
	;; [unrolled: 6-line block ×4, first 2 shown]
.LBB36_26:
	s_or_b64 exec, exec, s[8:9]
	s_nop 0
	v_mov_b32_dpp v11, v10 quad_perm:[1,0,3,2] row_mask:0xf bank_mask:0xf
	v_cmp_gt_f32_e32 vcc, v10, v11
	v_cndmask_b32_e32 v10, v11, v10, vcc
	s_nop 1
	v_mov_b32_dpp v11, v10 quad_perm:[2,3,0,1] row_mask:0xf bank_mask:0xf
	v_cmp_gt_f32_e32 vcc, v10, v11
	v_cndmask_b32_e32 v10, v11, v10, vcc
	s_nop 1
	v_mov_b32_dpp v11, v10 row_half_mirror row_mask:0xf bank_mask:0xf
	v_cmp_gt_f32_e32 vcc, v10, v11
	v_cndmask_b32_e32 v10, v11, v10, vcc
	s_nop 1
	v_mov_b32_dpp v11, v10 row_mirror row_mask:0xf bank_mask:0xf
	v_cmp_gt_f32_e32 vcc, v10, v11
	v_cndmask_b32_e32 v10, v11, v10, vcc
	s_nop 1
	v_mov_b32_dpp v11, v10 row_bcast:15 row_mask:0xf bank_mask:0xf
	v_cmp_gt_f32_e32 vcc, v10, v11
	v_cndmask_b32_e32 v10, v11, v10, vcc
	s_nop 1
	v_mov_b32_dpp v11, v10 row_bcast:31 row_mask:0xf bank_mask:0xf
	s_and_saveexec_b64 s[8:9], s[2:3]
	s_cbranch_execz .LBB36_28
; %bb.27:
	v_cmp_gt_f32_e32 vcc, v10, v11
	v_cndmask_b32_e32 v10, v11, v10, vcc
	v_lshrrev_b32_e32 v11, 4, v0
	v_and_b32_e32 v11, 60, v11
	ds_write_b32 v11, v10
.LBB36_28:
	s_or_b64 exec, exec, s[8:9]
	s_waitcnt lgkmcnt(0)
	s_barrier
	ds_read_b32 v10, v14
	s_waitcnt lgkmcnt(0)
	s_nop 0
	v_mov_b32_dpp v11, v10 quad_perm:[1,0,3,2] row_mask:0xf bank_mask:0xf
	v_cmp_gt_f32_e32 vcc, v10, v11
	v_cndmask_b32_e32 v10, v11, v10, vcc
	s_nop 1
	v_mov_b32_dpp v11, v10 quad_perm:[2,3,0,1] row_mask:0xf bank_mask:0xf
	v_cmp_gt_f32_e32 vcc, v10, v11
	v_cndmask_b32_e32 v10, v11, v10, vcc
	v_mul_f32_e32 v10, 0x3b124925, v10
	v_cmp_eq_u32_e32 vcc, 0, v0
	s_and_saveexec_b64 s[8:9], vcc
	s_cbranch_execz .LBB36_30
; %bb.29:
	s_load_dwordx2 s[22:23], s[4:5], 0x8
	s_mul_hi_i32 s29, s11, s6
	s_mul_i32 s28, s11, s6
	s_lshl_b64 s[28:29], s[28:29], 2
	v_mov_b32_e32 v11, 0
	s_waitcnt lgkmcnt(0)
	s_add_u32 s22, s22, s28
	s_addc_u32 s23, s23, s29
	global_store_dword v11, v10, s[22:23]
.LBB36_30:
	s_or_b64 exec, exec, s[8:9]
	;;#ASMSTART
	v_rcp_f32 v10, v10
	;;#ASMEND
	s_and_saveexec_b64 s[22:23], s[0:1]
	s_cbranch_execz .LBB36_32
; %bb.31:
	s_load_dwordx2 s[0:1], s[4:5], 0x0
	s_mul_i32 s8, s10, s6
	v_mov_b32_e32 v11, v10
	;;#ASMSTART
	v_pk_mul_f32 v[2:3], v[2:3], v[10:11]
	;;#ASMEND
	s_mul_hi_i32 s7, s10, s6
	s_waitcnt lgkmcnt(0)
	s_add_u32 s8, s0, s8
	v_mov_b32_e32 v12, 0xc3e00000
	v_mov_b32_e32 v13, 0x43e00000
	;;#ASMSTART
	v_med3_f32 v2, v2, v12, v13
v_med3_f32 v3, v3, v12, v13
v_cvt_pk_fp8_f32 v15, v2, v3
	;;#ASMEND
	s_addc_u32 s0, s1, s7
	;;#ASMSTART
	v_pk_mul_f32 v[2:3], v[4:5], v[10:11]
	;;#ASMEND
	s_and_b32 s9, s0, 0xffff
	;;#ASMSTART
	v_med3_f32 v2, v2, v12, v13
v_med3_f32 v3, v3, v12, v13
v_cvt_pk_fp8_f32 v4, v2, v3
	;;#ASMEND
	s_mov_b32 s0, 0x5040100
	v_perm_b32 v3, v4, v15, s0
	s_movk_i32 s0, 0xff
	v_and_b32_e32 v2, 0xffffff00, v4
	v_and_b32_sdwa v4, v3, s0 dst_sel:DWORD dst_unused:UNUSED_PAD src0_sel:WORD_1 src1_sel:DWORD
	s_mov_b32 s12, 0xffff
	v_or_b32_sdwa v2, v4, v2 dst_sel:WORD_1 dst_unused:UNUSED_PAD src0_sel:DWORD src1_sel:DWORD
	v_and_or_b32 v2, v3, s12, v2
	;;#ASMSTART
	v_pk_mul_f32 v[4:5], v[6:7], v[10:11]
	;;#ASMEND
	v_mov_b32_e32 v3, v5
	s_add_i32 s1, s15, 3
	;;#ASMSTART
	v_med3_f32 v4, v4, v12, v13
v_med3_f32 v3, v3, v12, v13
v_cvt_pk_fp8_f32 v6, v4, v3
	;;#ASMEND
	s_ashr_i32 s7, s1, 31
	;;#ASMSTART
	v_pk_mul_f32 v[4:5], v[8:9], v[10:11]
	;;#ASMEND
	v_mov_b32_e32 v3, v5
	s_lshr_b32 s7, s7, 30
	;;#ASMSTART
	v_med3_f32 v4, v4, v12, v13
v_med3_f32 v3, v3, v12, v13
v_cvt_pk_fp8_f32 v5, v4, v3
	;;#ASMEND
	s_add_i32 s1, s1, s7
	v_lshlrev_b32_e32 v3, 16, v5
	s_and_b32 s10, s1, -4
	s_mov_b32 s11, 0x20000
	v_and_or_b32 v3, v6, s12, v3
	buffer_store_dwordx2 v[2:3], v1, s[8:11], 0 offen
	;;#ASMSTART
	s_nop 0
	;;#ASMEND
.LBB36_32:
	s_or_b64 exec, exec, s[22:23]
	s_cmp_lt_i32 s16, 1
	s_cbranch_scc1 .LBB36_17
.LBB36_33:
	s_load_dword s0, s[4:5], 0x94
	s_waitcnt lgkmcnt(0)
	s_cmp_lg_u32 s0, 1
	s_cbranch_scc1 .LBB36_17
; %bb.34:
	s_lshl_b32 s0, s16, 1
	s_add_i32 s0, s0, 2
	v_cmp_gt_u32_e32 vcc, s16, v1
	s_and_b32 s22, s0, -4
	v_mov_b32_e32 v6, 0
	v_lshlrev_b32_e32 v1, 4, v0
	v_mov_b32_e32 v7, 0
	v_mov_b32_e32 v8, 0
	;; [unrolled: 1-line block ×7, first 2 shown]
	s_barrier
	s_and_saveexec_b64 s[0:1], vcc
	s_cbranch_execz .LBB36_36
; %bb.35:
	s_mul_hi_i32 s5, s18, s6
	s_mul_i32 s4, s18, s6
	s_and_b32 s21, s21, 0xffff
	s_lshl_b64 s[4:5], s[4:5], 1
	s_add_u32 s8, s34, s4
	s_mov_b32 s23, 0x20000
	s_addc_u32 s4, s35, s5
	s_and_b32 s9, s4, 0xffff
	s_mov_b32 s10, s22
	s_mov_b32 s11, s23
	buffer_load_dwordx4 v[6:9], v1, s[8:11], 0 offen glc slc
	buffer_load_dwordx4 v[2:5], v1, s[20:23], 0 offen
.LBB36_36:
	s_or_b64 exec, exec, s[0:1]
	s_waitcnt vmcnt(0)
	v_cvt_f32_u32_sdwa v13, v6 dst_sel:DWORD dst_unused:UNUSED_PAD src0_sel:WORD_1
	v_cvt_f32_u32_sdwa v12, v6 dst_sel:DWORD dst_unused:UNUSED_PAD src0_sel:WORD_0
	v_cvt_f32_u32_sdwa v6, v9 dst_sel:DWORD dst_unused:UNUSED_PAD src0_sel:WORD_1
	v_cvt_f32_u32_sdwa v9, v9 dst_sel:DWORD dst_unused:UNUSED_PAD src0_sel:WORD_0
	;; [unrolled: 2-line block ×4, first 2 shown]
	v_cndmask_b32_e32 v13, 0, v13, vcc
	v_cndmask_b32_e32 v7, 0, v6, vcc
	;; [unrolled: 1-line block ×5, first 2 shown]
	v_mul_f32_e32 v15, v13, v13
	v_cndmask_b32_e32 v10, 0, v10, vcc
	v_fmac_f32_e32 v15, v12, v12
	v_cndmask_b32_e32 v11, 0, v11, vcc
	v_fmac_f32_e32 v15, v10, v10
	;; [unrolled: 2-line block ×3, first 2 shown]
	v_fmac_f32_e32 v15, v8, v8
	v_fmac_f32_e32 v15, v9, v9
	;; [unrolled: 1-line block ×4, first 2 shown]
	s_nop 1
	v_mov_b32_dpp v16, v15 quad_perm:[1,0,3,2] row_mask:0xf bank_mask:0xf
	v_add_f32_e32 v15, v15, v16
	s_nop 1
	v_mov_b32_dpp v16, v15 quad_perm:[2,3,0,1] row_mask:0xf bank_mask:0xf
	v_add_f32_e32 v15, v15, v16
	s_nop 1
	v_mov_b32_dpp v16, v15 row_half_mirror row_mask:0xf bank_mask:0xf
	v_add_f32_e32 v15, v15, v16
	s_nop 1
	v_mov_b32_dpp v16, v15 row_mirror row_mask:0xf bank_mask:0xf
	v_add_f32_e32 v15, v15, v16
	s_nop 1
	v_mov_b32_dpp v16, v15 row_bcast:15 row_mask:0xf bank_mask:0xf
	v_add_f32_e32 v15, v15, v16
	s_nop 1
	v_mov_b32_dpp v16, v15 row_bcast:31 row_mask:0xf bank_mask:0xf
	s_and_saveexec_b64 s[0:1], s[2:3]
	s_cbranch_execz .LBB36_38
; %bb.37:
	v_lshrrev_b32_e32 v0, 4, v0
	v_add_f32_e32 v15, v15, v16
	v_and_b32_e32 v0, 60, v0
	ds_write_b32 v0, v15 offset:16
.LBB36_38:
	s_or_b64 exec, exec, s[0:1]
	s_waitcnt lgkmcnt(0)
	s_barrier
	ds_read_b32 v0, v14 offset:16
	s_waitcnt lgkmcnt(0)
	s_nop 0
	v_mov_b32_dpp v14, v0 quad_perm:[1,0,3,2] row_mask:0xf bank_mask:0xf
	v_add_f32_e32 v0, v0, v14
	s_nop 1
	v_mov_b32_dpp v14, v0 quad_perm:[2,3,0,1] row_mask:0xf bank_mask:0xf
	s_and_saveexec_b64 s[0:1], vcc
	s_cbranch_execz .LBB36_17
; %bb.39:
	v_cvt_f32_u32_e32 v15, s16
	v_add_f32_e32 v0, v0, v14
	s_mov_b32 s23, 0x20000
	v_div_scale_f32 v14, s[0:1], v15, v15, v0
	v_rcp_f32_e32 v16, v14
	v_div_scale_f32 v17, vcc, v0, v15, v0
	s_mov_b32 s0, 0x800000
	v_fma_f32 v18, -v14, v16, 1.0
	v_fmac_f32_e32 v16, v18, v16
	v_mul_f32_e32 v18, v17, v16
	v_fma_f32 v19, -v14, v18, v17
	v_fmac_f32_e32 v18, v19, v16
	v_fma_f32 v14, -v14, v18, v17
	v_div_fmas_f32 v14, v14, v16, v18
	v_div_fixup_f32 v0, v14, v15, v0
	v_add_f32_e32 v0, s13, v0
	v_mul_f32_e32 v14, 0x4b800000, v0
	v_cmp_gt_f32_e32 vcc, s0, v0
	v_cndmask_b32_e32 v0, v0, v14, vcc
	v_rsq_f32_e32 v0, v0
	s_mul_hi_i32 s1, s25, s6
	s_mul_i32 s0, s25, s6
	s_lshl_b64 s[0:1], s[0:1], 1
	v_mul_f32_e32 v14, 0x45800000, v0
	v_cndmask_b32_e32 v14, v0, v14, vcc
	s_add_u32 s20, s26, s0
	v_mov_b32_e32 v15, v14
	s_addc_u32 s0, s27, s1
	;;#ASMSTART
	v_pk_mul_f32 v[12:13], v[12:13], v[14:15]
	;;#ASMEND
	;;#ASMSTART
	v_pk_mul_f32 v[10:11], v[10:11], v[14:15]
	;;#ASMEND
	;; [unrolled: 3-line block ×4, first 2 shown]
	v_cvt_f32_u32_sdwa v15, v2 dst_sel:DWORD dst_unused:UNUSED_PAD src0_sel:WORD_1
	v_cvt_f32_u32_sdwa v14, v2 dst_sel:DWORD dst_unused:UNUSED_PAD src0_sel:WORD_0
	v_cvt_f32_u32_sdwa v17, v3 dst_sel:DWORD dst_unused:UNUSED_PAD src0_sel:WORD_1
	v_cvt_f32_u32_sdwa v16, v3 dst_sel:DWORD dst_unused:UNUSED_PAD src0_sel:WORD_0
	;; [unrolled: 2-line block ×4, first 2 shown]
	;;#ASMSTART
	v_pk_mul_f32 v[4:5], v[12:13], v[14:15]
	;;#ASMEND
	s_and_b32 s21, s0, 0xffff
	s_mov_b32 s0, 0x7060302
	;;#ASMSTART
	v_pk_mul_f32 v[10:11], v[10:11], v[16:17]
	;;#ASMEND
	;;#ASMSTART
	v_pk_mul_f32 v[8:9], v[8:9], v[2:3]
	;;#ASMEND
	;; [unrolled: 3-line block ×3, first 2 shown]
	v_perm_b32 v2, v5, v4, s0
	v_perm_b32 v3, v11, v10, s0
	;; [unrolled: 1-line block ×4, first 2 shown]
	buffer_store_dwordx4 v[2:5], v1, s[20:23], 0 offen
	;;#ASMSTART
	s_nop 0
	;;#ASMEND
	s_endpgm
	.section	.rodata,"a",@progbits
	.p2align	6, 0x0
	.amdhsa_kernel _ZN5aiter35fused_qk_rmsnorm_group_quant_kernelItDB8_Li256ELi8ELi1ELb1ELb1ELb0ELb0ELb1ELb1EEEvPT0_PvPT_S6_S6_PKS5_S8_S8_S8_S8_ffiiiiiiiiiiiii
		.amdhsa_group_segment_fixed_size 48
		.amdhsa_private_segment_fixed_size 0
		.amdhsa_kernarg_size 400
		.amdhsa_user_sgpr_count 6
		.amdhsa_user_sgpr_private_segment_buffer 1
		.amdhsa_user_sgpr_dispatch_ptr 0
		.amdhsa_user_sgpr_queue_ptr 0
		.amdhsa_user_sgpr_kernarg_segment_ptr 1
		.amdhsa_user_sgpr_dispatch_id 0
		.amdhsa_user_sgpr_flat_scratch_init 0
		.amdhsa_user_sgpr_kernarg_preload_length 0
		.amdhsa_user_sgpr_kernarg_preload_offset 0
		.amdhsa_user_sgpr_private_segment_size 0
		.amdhsa_uses_dynamic_stack 0
		.amdhsa_system_sgpr_private_segment_wavefront_offset 0
		.amdhsa_system_sgpr_workgroup_id_x 1
		.amdhsa_system_sgpr_workgroup_id_y 1
		.amdhsa_system_sgpr_workgroup_id_z 0
		.amdhsa_system_sgpr_workgroup_info 0
		.amdhsa_system_vgpr_workitem_id 0
		.amdhsa_next_free_vgpr 27
		.amdhsa_next_free_sgpr 44
		.amdhsa_accum_offset 28
		.amdhsa_reserve_vcc 1
		.amdhsa_reserve_flat_scratch 0
		.amdhsa_float_round_mode_32 0
		.amdhsa_float_round_mode_16_64 0
		.amdhsa_float_denorm_mode_32 3
		.amdhsa_float_denorm_mode_16_64 3
		.amdhsa_dx10_clamp 1
		.amdhsa_ieee_mode 1
		.amdhsa_fp16_overflow 0
		.amdhsa_tg_split 0
		.amdhsa_exception_fp_ieee_invalid_op 0
		.amdhsa_exception_fp_denorm_src 0
		.amdhsa_exception_fp_ieee_div_zero 0
		.amdhsa_exception_fp_ieee_overflow 0
		.amdhsa_exception_fp_ieee_underflow 0
		.amdhsa_exception_fp_ieee_inexact 0
		.amdhsa_exception_int_div_zero 0
	.end_amdhsa_kernel
	.section	.text._ZN5aiter35fused_qk_rmsnorm_group_quant_kernelItDB8_Li256ELi8ELi1ELb1ELb1ELb0ELb0ELb1ELb1EEEvPT0_PvPT_S6_S6_PKS5_S8_S8_S8_S8_ffiiiiiiiiiiiii,"axG",@progbits,_ZN5aiter35fused_qk_rmsnorm_group_quant_kernelItDB8_Li256ELi8ELi1ELb1ELb1ELb0ELb0ELb1ELb1EEEvPT0_PvPT_S6_S6_PKS5_S8_S8_S8_S8_ffiiiiiiiiiiiii,comdat
.Lfunc_end36:
	.size	_ZN5aiter35fused_qk_rmsnorm_group_quant_kernelItDB8_Li256ELi8ELi1ELb1ELb1ELb0ELb0ELb1ELb1EEEvPT0_PvPT_S6_S6_PKS5_S8_S8_S8_S8_ffiiiiiiiiiiiii, .Lfunc_end36-_ZN5aiter35fused_qk_rmsnorm_group_quant_kernelItDB8_Li256ELi8ELi1ELb1ELb1ELb0ELb0ELb1ELb1EEEvPT0_PvPT_S6_S6_PKS5_S8_S8_S8_S8_ffiiiiiiiiiiiii
                                        ; -- End function
	.section	.AMDGPU.csdata,"",@progbits
; Kernel info:
; codeLenInByte = 3196
; NumSgprs: 48
; NumVgprs: 27
; NumAgprs: 0
; TotalNumVgprs: 27
; ScratchSize: 0
; MemoryBound: 0
; FloatMode: 240
; IeeeMode: 1
; LDSByteSize: 48 bytes/workgroup (compile time only)
; SGPRBlocks: 5
; VGPRBlocks: 3
; NumSGPRsForWavesPerEU: 48
; NumVGPRsForWavesPerEU: 27
; AccumOffset: 28
; Occupancy: 8
; WaveLimiterHint : 0
; COMPUTE_PGM_RSRC2:SCRATCH_EN: 0
; COMPUTE_PGM_RSRC2:USER_SGPR: 6
; COMPUTE_PGM_RSRC2:TRAP_HANDLER: 0
; COMPUTE_PGM_RSRC2:TGID_X_EN: 1
; COMPUTE_PGM_RSRC2:TGID_Y_EN: 1
; COMPUTE_PGM_RSRC2:TGID_Z_EN: 0
; COMPUTE_PGM_RSRC2:TIDIG_COMP_CNT: 0
; COMPUTE_PGM_RSRC3_GFX90A:ACCUM_OFFSET: 6
; COMPUTE_PGM_RSRC3_GFX90A:TG_SPLIT: 0
	.section	.text._ZN5aiter35fused_qk_rmsnorm_group_quant_kernelIDF16_DB8_Li256ELi8ELi1ELb1ELb0ELb1ELb0ELb1ELb1EEEvPT0_PvPT_S6_S6_PKS5_S8_S8_S8_S8_ffiiiiiiiiiiiii,"axG",@progbits,_ZN5aiter35fused_qk_rmsnorm_group_quant_kernelIDF16_DB8_Li256ELi8ELi1ELb1ELb0ELb1ELb0ELb1ELb1EEEvPT0_PvPT_S6_S6_PKS5_S8_S8_S8_S8_ffiiiiiiiiiiiii,comdat
	.protected	_ZN5aiter35fused_qk_rmsnorm_group_quant_kernelIDF16_DB8_Li256ELi8ELi1ELb1ELb0ELb1ELb0ELb1ELb1EEEvPT0_PvPT_S6_S6_PKS5_S8_S8_S8_S8_ffiiiiiiiiiiiii ; -- Begin function _ZN5aiter35fused_qk_rmsnorm_group_quant_kernelIDF16_DB8_Li256ELi8ELi1ELb1ELb0ELb1ELb0ELb1ELb1EEEvPT0_PvPT_S6_S6_PKS5_S8_S8_S8_S8_ffiiiiiiiiiiiii
	.globl	_ZN5aiter35fused_qk_rmsnorm_group_quant_kernelIDF16_DB8_Li256ELi8ELi1ELb1ELb0ELb1ELb0ELb1ELb1EEEvPT0_PvPT_S6_S6_PKS5_S8_S8_S8_S8_ffiiiiiiiiiiiii
	.p2align	8
	.type	_ZN5aiter35fused_qk_rmsnorm_group_quant_kernelIDF16_DB8_Li256ELi8ELi1ELb1ELb0ELb1ELb0ELb1ELb1EEEvPT0_PvPT_S6_S6_PKS5_S8_S8_S8_S8_ffiiiiiiiiiiiii,@function
_ZN5aiter35fused_qk_rmsnorm_group_quant_kernelIDF16_DB8_Li256ELi8ELi1ELb1ELb0ELb1ELb0ELb1ELb1EEEvPT0_PvPT_S6_S6_PKS5_S8_S8_S8_S8_ffiiiiiiiiiiiii: ; @_ZN5aiter35fused_qk_rmsnorm_group_quant_kernelIDF16_DB8_Li256ELi8ELi1ELb1ELb0ELb1ELb0ELb1ELb1EEEvPT0_PvPT_S6_S6_PKS5_S8_S8_S8_S8_ffiiiiiiiiiiiii
; %bb.0:
	s_load_dwordx8 s[12:19], s[4:5], 0x50
	s_waitcnt lgkmcnt(0)
	s_cmp_ge_i32 s6, s14
	s_cbranch_scc1 .LBB37_17
; %bb.1:
	s_cmp_lg_u32 s7, 0
	s_cselect_b64 s[22:23], -1, 0
	s_cmp_eq_u32 s7, 0
	s_cselect_b64 s[8:9], -1, 0
	s_and_b64 s[0:1], s[8:9], exec
	s_load_dwordx2 s[10:11], s[4:5], 0x70
	s_load_dwordx2 s[20:21], s[4:5], 0x48
	;; [unrolled: 1-line block ×3, first 2 shown]
	s_cselect_b32 s7, s15, s16
	s_add_i32 s0, s7, 1
	s_lshr_b32 s1, s0, 31
	s_add_i32 s0, s0, s1
	s_lshl_b32 s0, s0, 1
	v_lshlrev_b32_e32 v1, 3, v0
	s_and_b32 s26, s0, -4
	v_cmp_gt_i32_e64 s[0:1], s7, v1
	v_mov_b32_e32 v20, 0
	v_mov_b32_e32 v21, 0
	;; [unrolled: 1-line block ×8, first 2 shown]
	s_and_saveexec_b64 s[2:3], s[0:1]
	s_cbranch_execz .LBB37_3
; %bb.2:
	s_load_dwordx2 s[24:25], s[4:5], 0x28
	s_load_dwordx2 s[28:29], s[4:5], 0x40
	s_and_b64 s[34:35], s[8:9], exec
	s_cselect_b32 s14, s17, s18
	v_lshlrev_b32_e32 v2, 4, v0
	s_waitcnt lgkmcnt(0)
	s_cselect_b32 s17, s25, s31
	s_cselect_b32 s27, s24, s30
	s_mul_hi_i32 s25, s14, s6
	s_mul_i32 s24, s14, s6
	s_lshl_b64 s[24:25], s[24:25], 1
	s_add_u32 s36, s27, s24
	s_addc_u32 s14, s17, s25
	s_and_b64 s[24:25], s[8:9], exec
	s_mov_b32 s27, 0x20000
	s_cselect_b32 s24, s28, s20
	s_cselect_b32 s17, s29, s21
	s_and_b32 s37, s14, 0xffff
	s_mov_b32 s38, s26
	s_mov_b32 s39, s27
	s_and_b32 s25, s17, 0xffff
	buffer_load_dwordx4 v[24:27], v2, s[36:39], 0 offen glc slc
	buffer_load_dwordx4 v[20:23], v2, s[24:27], 0 offen
.LBB37_3:
	s_or_b64 exec, exec, s[2:3]
	s_load_dwordx2 s[28:29], s[4:5], 0x80
	s_and_b64 vcc, exec, s[22:23]
	s_cbranch_vccz .LBB37_7
; %bb.4:
	v_mov_b32_e32 v29, 0
	v_mov_b32_e32 v28, 0
	;; [unrolled: 1-line block ×8, first 2 shown]
	s_and_saveexec_b64 s[2:3], s[0:1]
	s_cbranch_execz .LBB37_6
; %bb.5:
	s_waitcnt vmcnt(1)
	v_cvt_f32_f16_sdwa v11, v24 dst_sel:DWORD dst_unused:UNUSED_PAD src0_sel:WORD_1
	v_cvt_f32_f16_e32 v10, v24
	v_cvt_f32_f16_sdwa v15, v25 dst_sel:DWORD dst_unused:UNUSED_PAD src0_sel:WORD_1
	v_cvt_f32_f16_e32 v14, v25
	;; [unrolled: 2-line block ×4, first 2 shown]
.LBB37_6:
	s_or_b64 exec, exec, s[2:3]
	s_cbranch_execz .LBB37_8
	s_branch .LBB37_11
.LBB37_7:
                                        ; implicit-def: $vgpr10_vgpr11_vgpr12_vgpr13_vgpr14_vgpr15_vgpr16_vgpr17
                                        ; implicit-def: $vgpr29
                                        ; implicit-def: $vgpr12_vgpr13_vgpr14_vgpr15_vgpr16_vgpr17_vgpr18_vgpr19
                                        ; implicit-def: $vgpr2_vgpr3_vgpr4_vgpr5_vgpr6_vgpr7_vgpr8_vgpr9
.LBB37_8:
	v_mov_b32_e32 v29, 0
	v_mov_b32_e32 v28, 0
	;; [unrolled: 1-line block ×8, first 2 shown]
	s_and_saveexec_b64 s[2:3], s[0:1]
	s_cbranch_execz .LBB37_10
; %bb.9:
	s_load_dwordx2 s[24:25], s[4:5], 0x38
	s_mul_hi_i32 s35, s19, s6
	s_mul_i32 s34, s19, s6
	s_lshl_b64 s[34:35], s[34:35], 1
	s_mov_b32 s27, 0x20000
	s_waitcnt lgkmcnt(0)
	s_add_u32 s24, s24, s34
	s_addc_u32 s14, s25, s35
	s_and_b32 s25, s14, 0xffff
	v_lshlrev_b32_e32 v30, 4, v0
	buffer_load_dwordx4 v[2:5], v30, s[24:27], 0 offen glc slc
	s_waitcnt vmcnt(2)
	v_cvt_f32_f16_sdwa v7, v24 dst_sel:DWORD dst_unused:UNUSED_PAD src0_sel:WORD_1
	v_cvt_f32_f16_e32 v6, v24
	v_cvt_f32_f16_sdwa v9, v25 dst_sel:DWORD dst_unused:UNUSED_PAD src0_sel:WORD_1
	v_cvt_f32_f16_e32 v8, v25
	;; [unrolled: 2-line block ×4, first 2 shown]
	s_load_dwordx2 s[24:25], s[4:5], 0x20
	s_mul_hi_i32 s35, s29, s6
	s_mul_i32 s34, s29, s6
	s_lshl_b64 s[34:35], s[34:35], 1
	s_waitcnt lgkmcnt(0)
	s_add_u32 s24, s24, s34
	s_addc_u32 s14, s25, s35
	s_and_b32 s25, s14, 0xffff
	s_waitcnt vmcnt(0)
	v_cvt_f32_f16_e32 v10, v2
	v_cvt_f32_f16_sdwa v11, v2 dst_sel:DWORD dst_unused:UNUSED_PAD src0_sel:WORD_1
	v_cvt_f32_f16_e32 v2, v3
	v_cvt_f32_f16_sdwa v3, v3 dst_sel:DWORD dst_unused:UNUSED_PAD src0_sel:WORD_1
	v_cvt_f32_f16_e32 v18, v4
	v_cvt_f32_f16_sdwa v19, v4 dst_sel:DWORD dst_unused:UNUSED_PAD src0_sel:WORD_1
	v_cvt_f32_f16_e32 v4, v5
	v_cvt_f32_f16_sdwa v5, v5 dst_sel:DWORD dst_unused:UNUSED_PAD src0_sel:WORD_1
	v_pk_add_f32 v[10:11], v[6:7], v[10:11]
	v_pk_add_f32 v[14:15], v[8:9], v[2:3]
	;; [unrolled: 1-line block ×4, first 2 shown]
	v_cvt_f16_f32_e32 v2, v11
	v_cvt_f16_f32_e32 v3, v15
	;; [unrolled: 1-line block ×8, first 2 shown]
	v_pack_b32_f16 v5, v8, v5
	v_pack_b32_f16 v4, v9, v4
	;; [unrolled: 1-line block ×4, first 2 shown]
	buffer_store_dwordx4 v[2:5], v30, s[24:27], 0 offen glc slc
	;;#ASMSTART
	s_nop 0
	;;#ASMEND
.LBB37_10:
	s_or_b64 exec, exec, s[2:3]
.LBB37_11:
	v_mul_f32_e32 v2, v11, v11
	v_fmac_f32_e32 v2, v10, v10
	v_fmac_f32_e32 v2, v14, v14
	;; [unrolled: 1-line block ×7, first 2 shown]
	v_and_b32_e32 v4, 63, v0
	v_cmp_eq_u32_e64 s[2:3], 63, v4
	v_mov_b32_dpp v3, v2 quad_perm:[1,0,3,2] row_mask:0xf bank_mask:0xf
	v_add_f32_e32 v2, v2, v3
	s_nop 1
	v_mov_b32_dpp v3, v2 quad_perm:[2,3,0,1] row_mask:0xf bank_mask:0xf
	v_add_f32_e32 v2, v2, v3
	s_nop 1
	v_mov_b32_dpp v3, v2 row_half_mirror row_mask:0xf bank_mask:0xf
	v_add_f32_e32 v2, v2, v3
	s_nop 1
	v_mov_b32_dpp v3, v2 row_mirror row_mask:0xf bank_mask:0xf
	v_add_f32_e32 v2, v2, v3
	s_nop 1
	v_mov_b32_dpp v3, v2 row_bcast:15 row_mask:0xf bank_mask:0xf
	v_add_f32_e32 v2, v2, v3
	s_nop 1
	v_mov_b32_dpp v3, v2 row_bcast:31 row_mask:0xf bank_mask:0xf
	s_and_saveexec_b64 s[24:25], s[2:3]
	s_cbranch_execz .LBB37_13
; %bb.12:
	v_add_f32_e32 v2, v2, v3
	v_lshrrev_b32_e32 v3, 4, v0
	v_and_b32_e32 v3, 60, v3
	ds_write_b32 v3, v2 offset:32
.LBB37_13:
	s_or_b64 exec, exec, s[24:25]
	v_and_b32_e32 v2, 3, v0
	v_lshlrev_b32_e32 v18, 2, v2
	s_waitcnt lgkmcnt(0)
	s_barrier
	ds_read_b32 v2, v18 offset:32
	s_load_dwordx2 s[34:35], s[4:5], 0x18
	s_waitcnt lgkmcnt(0)
	v_mov_b32_dpp v3, v2 quad_perm:[1,0,3,2] row_mask:0xf bank_mask:0xf
	v_add_f32_e32 v2, v2, v3
	s_nop 1
	v_mov_b32_dpp v3, v2 quad_perm:[2,3,0,1] row_mask:0xf bank_mask:0xf
	s_and_saveexec_b64 s[24:25], s[0:1]
	s_cbranch_execnz .LBB37_18
; %bb.14:
	s_or_b64 exec, exec, s[24:25]
	s_mov_b64 s[8:9], -1
	s_and_b64 vcc, exec, s[22:23]
	s_cbranch_vccnz .LBB37_19
.LBB37_15:
	s_andn2_b64 vcc, exec, s[8:9]
	s_cbranch_vccz .LBB37_22
.LBB37_16:
	s_cmp_lt_i32 s16, 1
	s_cbranch_scc0 .LBB37_31
.LBB37_17:
	s_endpgm
.LBB37_18:
	v_cvt_f32_u32_e32 v4, s7
	v_add_f32_e32 v2, v2, v3
	v_mov_b32_e32 v8, s13
	v_mov_b32_e32 v9, s12
	v_div_scale_f32 v3, s[36:37], v4, v4, v2
	v_rcp_f32_e32 v5, v3
	v_cndmask_b32_e64 v8, v8, v9, s[8:9]
	s_mov_b32 s7, 0x800000
	s_waitcnt vmcnt(0)
	v_cvt_f32_f16_sdwa v17, v23 dst_sel:DWORD dst_unused:UNUSED_PAD src0_sel:WORD_1
	v_fma_f32 v9, -v3, v5, 1.0
	v_fmac_f32_e32 v5, v9, v5
	v_div_scale_f32 v9, vcc, v2, v4, v2
	v_mul_f32_e32 v12, v9, v5
	v_fma_f32 v13, -v3, v12, v9
	v_fmac_f32_e32 v12, v13, v5
	v_fma_f32 v3, -v3, v12, v9
	v_div_fmas_f32 v3, v3, v5, v12
	v_div_fixup_f32 v2, v3, v4, v2
	v_add_f32_e32 v2, v8, v2
	v_mul_f32_e32 v3, 0x4b800000, v2
	v_cmp_gt_f32_e32 vcc, s7, v2
	v_cndmask_b32_e32 v2, v2, v3, vcc
	v_rsq_f32_e32 v2, v2
	v_cvt_f32_f16_sdwa v13, v21 dst_sel:DWORD dst_unused:UNUSED_PAD src0_sel:WORD_1
	v_cvt_f32_f16_e32 v12, v21
	v_cvt_f32_f16_e32 v16, v23
	v_mul_f32_e32 v3, 0x45800000, v2
	v_cndmask_b32_e32 v2, v2, v3, vcc
	v_mov_b32_e32 v3, v2
	;;#ASMSTART
	v_pk_mul_f32 v[4:5], v[10:11], v[2:3]
	;;#ASMEND
	v_cvt_f32_f16_sdwa v11, v20 dst_sel:DWORD dst_unused:UNUSED_PAD src0_sel:WORD_1
	v_cvt_f32_f16_e32 v10, v20
	;;#ASMSTART
	v_pk_mul_f32 v[8:9], v[14:15], v[2:3]
	;;#ASMEND
	;;#ASMSTART
	v_pk_mul_f32 v[6:7], v[6:7], v[2:3]
	;;#ASMEND
	;; [unrolled: 3-line block ×3, first 2 shown]
	v_pk_add_f32 v[10:11], v[10:11], 1.0 op_sel_hi:[1,0]
	;;#ASMSTART
	v_pk_mul_f32 v[10:11], v[4:5], v[10:11]
	;;#ASMEND
	v_pk_add_f32 v[4:5], v[12:13], 1.0 op_sel_hi:[1,0]
	v_cvt_f32_f16_sdwa v13, v22 dst_sel:DWORD dst_unused:UNUSED_PAD src0_sel:WORD_1
	v_cvt_f32_f16_e32 v12, v22
	;;#ASMSTART
	v_pk_mul_f32 v[14:15], v[8:9], v[4:5]
	;;#ASMEND
	v_pk_add_f32 v[4:5], v[12:13], 1.0 op_sel_hi:[1,0]
	;;#ASMSTART
	v_pk_mul_f32 v[6:7], v[6:7], v[4:5]
	;;#ASMEND
	v_pk_add_f32 v[4:5], v[16:17], 1.0 op_sel_hi:[1,0]
	;;#ASMSTART
	v_pk_mul_f32 v[28:29], v[2:3], v[4:5]
	;;#ASMEND
	s_or_b64 exec, exec, s[24:25]
	s_mov_b64 s[8:9], -1
	s_and_b64 vcc, exec, s[22:23]
	s_cbranch_vccz .LBB37_15
.LBB37_19:
	s_and_saveexec_b64 s[8:9], s[0:1]
	s_cbranch_execz .LBB37_21
; %bb.20:
	s_mul_hi_i32 s23, s28, s6
	s_mul_i32 s22, s28, s6
	v_cvt_f16_f32_e32 v2, v10
	v_cvt_f16_f32_e32 v3, v14
	;; [unrolled: 1-line block ×8, first 2 shown]
	s_lshl_b64 s[22:23], s[22:23], 1
	s_add_u32 s24, s34, s22
	s_addc_u32 s7, s35, s23
	s_and_b32 s25, s7, 0xffff
	s_mov_b32 s27, 0x20000
	v_pack_b32_f16 v5, v5, v8
	v_pack_b32_f16 v4, v4, v9
	;; [unrolled: 1-line block ×4, first 2 shown]
	v_lshlrev_b32_e32 v8, 4, v0
	buffer_store_dwordx4 v[2:5], v8, s[24:27], 0 offen
	;;#ASMSTART
	s_nop 0
	;;#ASMEND
.LBB37_21:
	s_or_b64 exec, exec, s[8:9]
	s_cbranch_execnz .LBB37_16
.LBB37_22:
	v_mov_b32_e32 v2, 0
	s_and_saveexec_b64 s[8:9], s[0:1]
	s_cbranch_execz .LBB37_24
; %bb.23:
	v_and_b32_e32 v2, 0x7fffffff, v10
	v_and_b32_e32 v3, 0x7fffffff, v11
	v_mov_b32_e32 v4, 0x2edbe6ff
	;;#ASMSTART
	v_max3_f32 v2, v4, v2, v3

	;;#ASMEND
	v_and_b32_e32 v3, 0x7fffffff, v14
	v_and_b32_e32 v4, 0x7fffffff, v15
	;;#ASMSTART
	v_max3_f32 v2, v2, v3, v4

	;;#ASMEND
	v_and_b32_e32 v3, 0x7fffffff, v6
	v_and_b32_e32 v4, 0x7fffffff, v7
	;; [unrolled: 6-line block ×3, first 2 shown]
	;;#ASMSTART
	v_max3_f32 v2, v2, v3, v4

	;;#ASMEND
.LBB37_24:
	s_or_b64 exec, exec, s[8:9]
	s_nop 0
	v_mov_b32_dpp v3, v2 quad_perm:[1,0,3,2] row_mask:0xf bank_mask:0xf
	v_cmp_gt_f32_e32 vcc, v2, v3
	v_cndmask_b32_e32 v2, v3, v2, vcc
	s_nop 1
	v_mov_b32_dpp v3, v2 quad_perm:[2,3,0,1] row_mask:0xf bank_mask:0xf
	v_cmp_gt_f32_e32 vcc, v2, v3
	v_cndmask_b32_e32 v2, v3, v2, vcc
	s_nop 1
	v_mov_b32_dpp v3, v2 row_half_mirror row_mask:0xf bank_mask:0xf
	v_cmp_gt_f32_e32 vcc, v2, v3
	v_cndmask_b32_e32 v2, v3, v2, vcc
	s_nop 1
	v_mov_b32_dpp v3, v2 row_mirror row_mask:0xf bank_mask:0xf
	v_cmp_gt_f32_e32 vcc, v2, v3
	v_cndmask_b32_e32 v2, v3, v2, vcc
	s_nop 1
	v_mov_b32_dpp v3, v2 row_bcast:15 row_mask:0xf bank_mask:0xf
	v_cmp_gt_f32_e32 vcc, v2, v3
	v_cndmask_b32_e32 v2, v3, v2, vcc
	s_nop 1
	v_mov_b32_dpp v3, v2 row_bcast:31 row_mask:0xf bank_mask:0xf
	s_and_saveexec_b64 s[8:9], s[2:3]
	s_cbranch_execz .LBB37_26
; %bb.25:
	v_cmp_gt_f32_e32 vcc, v2, v3
	v_cndmask_b32_e32 v2, v3, v2, vcc
	v_lshrrev_b32_e32 v3, 4, v0
	v_and_b32_e32 v3, 60, v3
	ds_write_b32 v3, v2
.LBB37_26:
	s_or_b64 exec, exec, s[8:9]
	s_waitcnt lgkmcnt(0)
	s_barrier
	ds_read_b32 v2, v18
	s_waitcnt lgkmcnt(0)
	s_nop 0
	v_mov_b32_dpp v3, v2 quad_perm:[1,0,3,2] row_mask:0xf bank_mask:0xf
	v_cmp_gt_f32_e32 vcc, v2, v3
	v_cndmask_b32_e32 v2, v3, v2, vcc
	s_nop 1
	v_mov_b32_dpp v3, v2 quad_perm:[2,3,0,1] row_mask:0xf bank_mask:0xf
	v_cmp_gt_f32_e32 vcc, v2, v3
	v_cndmask_b32_e32 v2, v3, v2, vcc
	v_mul_f32_e32 v2, 0x3b124925, v2
	v_cmp_eq_u32_e32 vcc, 0, v0
	s_and_saveexec_b64 s[8:9], vcc
	s_cbranch_execz .LBB37_28
; %bb.27:
	s_load_dwordx2 s[22:23], s[4:5], 0x8
	s_mul_hi_i32 s25, s11, s6
	s_mul_i32 s24, s11, s6
	s_lshl_b64 s[24:25], s[24:25], 2
	v_mov_b32_e32 v3, 0
	s_waitcnt lgkmcnt(0)
	s_add_u32 s22, s22, s24
	s_addc_u32 s23, s23, s25
	global_store_dword v3, v2, s[22:23]
.LBB37_28:
	s_or_b64 exec, exec, s[8:9]
	;;#ASMSTART
	v_rcp_f32 v2, v2
	;;#ASMEND
	s_and_saveexec_b64 s[22:23], s[0:1]
	s_cbranch_execz .LBB37_30
; %bb.29:
	s_load_dwordx2 s[0:1], s[4:5], 0x0
	s_mul_i32 s8, s10, s6
	v_mov_b32_e32 v3, v2
	;;#ASMSTART
	v_pk_mul_f32 v[4:5], v[10:11], v[2:3]
	;;#ASMEND
	s_mul_hi_i32 s7, s10, s6
	s_waitcnt lgkmcnt(0)
	s_add_u32 s8, s0, s8
	v_mov_b32_e32 v8, 0xc3e00000
	v_mov_b32_e32 v9, 0x43e00000
	;;#ASMSTART
	v_med3_f32 v4, v4, v8, v9
v_med3_f32 v5, v5, v8, v9
v_cvt_pk_fp8_f32 v10, v4, v5
	;;#ASMEND
	s_addc_u32 s0, s1, s7
	;;#ASMSTART
	v_pk_mul_f32 v[4:5], v[14:15], v[2:3]
	;;#ASMEND
	s_and_b32 s9, s0, 0xffff
	;;#ASMSTART
	v_med3_f32 v4, v4, v8, v9
v_med3_f32 v5, v5, v8, v9
v_cvt_pk_fp8_f32 v11, v4, v5
	;;#ASMEND
	s_mov_b32 s0, 0x5040100
	v_perm_b32 v5, v11, v10, s0
	s_movk_i32 s0, 0xff
	v_and_b32_e32 v4, 0xffffff00, v11
	v_and_b32_sdwa v10, v5, s0 dst_sel:DWORD dst_unused:UNUSED_PAD src0_sel:WORD_1 src1_sel:DWORD
	s_mov_b32 s12, 0xffff
	v_or_b32_sdwa v4, v10, v4 dst_sel:WORD_1 dst_unused:UNUSED_PAD src0_sel:DWORD src1_sel:DWORD
	s_add_i32 s1, s15, 3
	v_and_or_b32 v4, v5, s12, v4
	;;#ASMSTART
	v_pk_mul_f32 v[6:7], v[6:7], v[2:3]
	;;#ASMEND
	v_mov_b32_e32 v5, v6
	s_ashr_i32 s7, s1, 31
	;;#ASMSTART
	v_med3_f32 v5, v5, v8, v9
v_med3_f32 v7, v7, v8, v9
v_cvt_pk_fp8_f32 v6, v5, v7
	;;#ASMEND
	;;#ASMSTART
	v_pk_mul_f32 v[2:3], v[28:29], v[2:3]
	;;#ASMEND
	s_lshr_b32 s7, s7, 30
	;;#ASMSTART
	v_med3_f32 v2, v2, v8, v9
v_med3_f32 v3, v3, v8, v9
v_cvt_pk_fp8_f32 v5, v2, v3
	;;#ASMEND
	s_add_i32 s1, s1, s7
	v_lshlrev_b32_e32 v2, 16, v5
	s_and_b32 s10, s1, -4
	s_mov_b32 s11, 0x20000
	v_and_or_b32 v5, v6, s12, v2
	buffer_store_dwordx2 v[4:5], v1, s[8:11], 0 offen
	;;#ASMSTART
	s_nop 0
	;;#ASMEND
.LBB37_30:
	s_or_b64 exec, exec, s[22:23]
	s_cmp_lt_i32 s16, 1
	s_cbranch_scc1 .LBB37_17
.LBB37_31:
	s_load_dword s0, s[4:5], 0x94
	s_waitcnt lgkmcnt(0)
	s_cmp_lg_u32 s0, 1
	s_cbranch_scc1 .LBB37_17
; %bb.32:
	s_lshl_b32 s0, s16, 1
	s_add_i32 s0, s0, 2
	v_cmp_gt_u32_e32 vcc, s16, v1
	s_and_b32 s22, s0, -4
	v_mov_b32_e32 v10, 0
	v_lshlrev_b32_e32 v1, 4, v0
	v_mov_b32_e32 v6, 0
	v_mov_b32_e32 v7, 0
	v_mov_b32_e32 v8, 0
	v_mov_b32_e32 v9, 0
	v_mov_b32_e32 v2, 0
	v_mov_b32_e32 v3, 0
	v_mov_b32_e32 v4, 0
	v_mov_b32_e32 v5, 0
	s_barrier
	s_and_saveexec_b64 s[0:1], vcc
	s_cbranch_execz .LBB37_34
; %bb.33:
	s_mul_hi_i32 s5, s18, s6
	s_mul_i32 s4, s18, s6
	s_and_b32 s21, s21, 0xffff
	s_lshl_b64 s[4:5], s[4:5], 1
	s_add_u32 s8, s30, s4
	s_mov_b32 s23, 0x20000
	s_addc_u32 s4, s31, s5
	s_and_b32 s9, s4, 0xffff
	s_mov_b32 s10, s22
	s_mov_b32 s11, s23
	buffer_load_dwordx4 v[6:9], v1, s[8:11], 0 offen glc slc
	buffer_load_dwordx4 v[2:5], v1, s[20:23], 0 offen
.LBB37_34:
	s_or_b64 exec, exec, s[0:1]
	v_mov_b32_e32 v11, 0
	v_mov_b32_e32 v16, 0
	;; [unrolled: 1-line block ×7, first 2 shown]
	s_and_saveexec_b64 s[0:1], vcc
	s_cbranch_execz .LBB37_36
; %bb.35:
	s_waitcnt vmcnt(1)
	v_cvt_f32_f16_sdwa v11, v6 dst_sel:DWORD dst_unused:UNUSED_PAD src0_sel:WORD_1
	v_cvt_f32_f16_e32 v10, v6
	v_cvt_f32_f16_sdwa v17, v7 dst_sel:DWORD dst_unused:UNUSED_PAD src0_sel:WORD_1
	v_cvt_f32_f16_e32 v16, v7
	;; [unrolled: 2-line block ×4, first 2 shown]
.LBB37_36:
	s_or_b64 exec, exec, s[0:1]
	s_waitcnt vmcnt(1)
	v_mul_f32_e32 v6, v11, v11
	v_fmac_f32_e32 v6, v10, v10
	v_fmac_f32_e32 v6, v16, v16
	;; [unrolled: 1-line block ×7, first 2 shown]
	s_nop 1
	v_mov_b32_dpp v7, v6 quad_perm:[1,0,3,2] row_mask:0xf bank_mask:0xf
	v_add_f32_e32 v6, v6, v7
	s_nop 1
	v_mov_b32_dpp v7, v6 quad_perm:[2,3,0,1] row_mask:0xf bank_mask:0xf
	v_add_f32_e32 v6, v6, v7
	s_nop 1
	v_mov_b32_dpp v7, v6 row_half_mirror row_mask:0xf bank_mask:0xf
	v_add_f32_e32 v6, v6, v7
	s_nop 1
	v_mov_b32_dpp v7, v6 row_mirror row_mask:0xf bank_mask:0xf
	v_add_f32_e32 v6, v6, v7
	s_nop 1
	v_mov_b32_dpp v7, v6 row_bcast:15 row_mask:0xf bank_mask:0xf
	v_add_f32_e32 v6, v6, v7
	s_nop 1
	v_mov_b32_dpp v7, v6 row_bcast:31 row_mask:0xf bank_mask:0xf
	s_and_saveexec_b64 s[0:1], s[2:3]
	s_cbranch_execz .LBB37_38
; %bb.37:
	v_lshrrev_b32_e32 v0, 4, v0
	v_add_f32_e32 v6, v6, v7
	v_and_b32_e32 v0, 60, v0
	ds_write_b32 v0, v6 offset:16
.LBB37_38:
	s_or_b64 exec, exec, s[0:1]
	s_waitcnt lgkmcnt(0)
	s_barrier
	ds_read_b32 v0, v18 offset:16
	s_waitcnt lgkmcnt(0)
	s_nop 0
	v_mov_b32_dpp v6, v0 quad_perm:[1,0,3,2] row_mask:0xf bank_mask:0xf
	v_add_f32_e32 v0, v0, v6
	s_nop 1
	v_mov_b32_dpp v6, v0 quad_perm:[2,3,0,1] row_mask:0xf bank_mask:0xf
	s_and_saveexec_b64 s[0:1], vcc
	s_cbranch_execz .LBB37_17
; %bb.39:
	v_cvt_f32_u32_e32 v7, s16
	v_add_f32_e32 v0, v0, v6
	s_mov_b32 s23, 0x20000
	v_div_scale_f32 v6, s[0:1], v7, v7, v0
	v_rcp_f32_e32 v8, v6
	v_div_scale_f32 v9, vcc, v0, v7, v0
	s_mov_b32 s0, 0x800000
	v_fma_f32 v18, -v6, v8, 1.0
	v_fmac_f32_e32 v8, v18, v8
	v_mul_f32_e32 v18, v9, v8
	v_fma_f32 v19, -v6, v18, v9
	v_fmac_f32_e32 v18, v19, v8
	v_fma_f32 v6, -v6, v18, v9
	v_div_fmas_f32 v6, v6, v8, v18
	v_div_fixup_f32 v0, v6, v7, v0
	v_add_f32_e32 v0, s13, v0
	v_mul_f32_e32 v6, 0x4b800000, v0
	v_cmp_gt_f32_e32 vcc, s0, v0
	v_cndmask_b32_e32 v0, v0, v6, vcc
	v_rsq_f32_e32 v0, v0
	s_waitcnt vmcnt(0)
	v_cvt_f32_f16_sdwa v19, v3 dst_sel:DWORD dst_unused:UNUSED_PAD src0_sel:WORD_1
	v_cvt_f32_f16_e32 v18, v3
	s_mul_hi_i32 s1, s28, s6
	v_mul_f32_e32 v6, 0x45800000, v0
	v_cndmask_b32_e32 v6, v0, v6, vcc
	v_mov_b32_e32 v7, v6
	;;#ASMSTART
	v_pk_mul_f32 v[8:9], v[10:11], v[6:7]
	;;#ASMEND
	;;#ASMSTART
	v_pk_mul_f32 v[10:11], v[16:17], v[6:7]
	;;#ASMEND
	v_cvt_f32_f16_sdwa v17, v2 dst_sel:DWORD dst_unused:UNUSED_PAD src0_sel:WORD_1
	v_cvt_f32_f16_e32 v16, v2
	;;#ASMSTART
	v_pk_mul_f32 v[14:15], v[14:15], v[6:7]
	;;#ASMEND
	;;#ASMSTART
	v_pk_mul_f32 v[2:3], v[12:13], v[6:7]
	;;#ASMEND
	v_cvt_f32_f16_sdwa v13, v4 dst_sel:DWORD dst_unused:UNUSED_PAD src0_sel:WORD_1
	v_cvt_f32_f16_e32 v12, v4
	v_pk_add_f32 v[6:7], v[16:17], 1.0 op_sel_hi:[1,0]
	v_cvt_f32_f16_sdwa v17, v5 dst_sel:DWORD dst_unused:UNUSED_PAD src0_sel:WORD_1
	v_cvt_f32_f16_e32 v16, v5
	;;#ASMSTART
	v_pk_mul_f32 v[6:7], v[8:9], v[6:7]
	;;#ASMEND
	v_pk_add_f32 v[8:9], v[18:19], 1.0 op_sel_hi:[1,0]
	;;#ASMSTART
	v_pk_mul_f32 v[4:5], v[10:11], v[8:9]
	;;#ASMEND
	v_pk_add_f32 v[8:9], v[12:13], 1.0 op_sel_hi:[1,0]
	;; [unrolled: 4-line block ×3, first 2 shown]
	;;#ASMSTART
	v_pk_mul_f32 v[2:3], v[2:3], v[10:11]
	;;#ASMEND
	s_mul_i32 s0, s28, s6
	v_cvt_f16_f32_e32 v0, v6
	v_cvt_f16_f32_e32 v6, v7
	;; [unrolled: 1-line block ×8, first 2 shown]
	s_lshl_b64 s[0:1], s[0:1], 1
	s_add_u32 s20, s34, s0
	s_addc_u32 s0, s35, s1
	s_and_b32 s21, s0, 0xffff
	v_pack_b32_f16 v2, v0, v6
	v_pack_b32_f16 v3, v4, v5
	;; [unrolled: 1-line block ×4, first 2 shown]
	buffer_store_dwordx4 v[2:5], v1, s[20:23], 0 offen
	;;#ASMSTART
	s_nop 0
	;;#ASMEND
	s_endpgm
	.section	.rodata,"a",@progbits
	.p2align	6, 0x0
	.amdhsa_kernel _ZN5aiter35fused_qk_rmsnorm_group_quant_kernelIDF16_DB8_Li256ELi8ELi1ELb1ELb0ELb1ELb0ELb1ELb1EEEvPT0_PvPT_S6_S6_PKS5_S8_S8_S8_S8_ffiiiiiiiiiiiii
		.amdhsa_group_segment_fixed_size 48
		.amdhsa_private_segment_fixed_size 0
		.amdhsa_kernarg_size 400
		.amdhsa_user_sgpr_count 6
		.amdhsa_user_sgpr_private_segment_buffer 1
		.amdhsa_user_sgpr_dispatch_ptr 0
		.amdhsa_user_sgpr_queue_ptr 0
		.amdhsa_user_sgpr_kernarg_segment_ptr 1
		.amdhsa_user_sgpr_dispatch_id 0
		.amdhsa_user_sgpr_flat_scratch_init 0
		.amdhsa_user_sgpr_kernarg_preload_length 0
		.amdhsa_user_sgpr_kernarg_preload_offset 0
		.amdhsa_user_sgpr_private_segment_size 0
		.amdhsa_uses_dynamic_stack 0
		.amdhsa_system_sgpr_private_segment_wavefront_offset 0
		.amdhsa_system_sgpr_workgroup_id_x 1
		.amdhsa_system_sgpr_workgroup_id_y 1
		.amdhsa_system_sgpr_workgroup_id_z 0
		.amdhsa_system_sgpr_workgroup_info 0
		.amdhsa_system_vgpr_workitem_id 0
		.amdhsa_next_free_vgpr 31
		.amdhsa_next_free_sgpr 40
		.amdhsa_accum_offset 32
		.amdhsa_reserve_vcc 1
		.amdhsa_reserve_flat_scratch 0
		.amdhsa_float_round_mode_32 0
		.amdhsa_float_round_mode_16_64 0
		.amdhsa_float_denorm_mode_32 3
		.amdhsa_float_denorm_mode_16_64 3
		.amdhsa_dx10_clamp 1
		.amdhsa_ieee_mode 1
		.amdhsa_fp16_overflow 0
		.amdhsa_tg_split 0
		.amdhsa_exception_fp_ieee_invalid_op 0
		.amdhsa_exception_fp_denorm_src 0
		.amdhsa_exception_fp_ieee_div_zero 0
		.amdhsa_exception_fp_ieee_overflow 0
		.amdhsa_exception_fp_ieee_underflow 0
		.amdhsa_exception_fp_ieee_inexact 0
		.amdhsa_exception_int_div_zero 0
	.end_amdhsa_kernel
	.section	.text._ZN5aiter35fused_qk_rmsnorm_group_quant_kernelIDF16_DB8_Li256ELi8ELi1ELb1ELb0ELb1ELb0ELb1ELb1EEEvPT0_PvPT_S6_S6_PKS5_S8_S8_S8_S8_ffiiiiiiiiiiiii,"axG",@progbits,_ZN5aiter35fused_qk_rmsnorm_group_quant_kernelIDF16_DB8_Li256ELi8ELi1ELb1ELb0ELb1ELb0ELb1ELb1EEEvPT0_PvPT_S6_S6_PKS5_S8_S8_S8_S8_ffiiiiiiiiiiiii,comdat
.Lfunc_end37:
	.size	_ZN5aiter35fused_qk_rmsnorm_group_quant_kernelIDF16_DB8_Li256ELi8ELi1ELb1ELb0ELb1ELb0ELb1ELb1EEEvPT0_PvPT_S6_S6_PKS5_S8_S8_S8_S8_ffiiiiiiiiiiiii, .Lfunc_end37-_ZN5aiter35fused_qk_rmsnorm_group_quant_kernelIDF16_DB8_Li256ELi8ELi1ELb1ELb0ELb1ELb0ELb1ELb1EEEvPT0_PvPT_S6_S6_PKS5_S8_S8_S8_S8_ffiiiiiiiiiiiii
                                        ; -- End function
	.section	.AMDGPU.csdata,"",@progbits
; Kernel info:
; codeLenInByte = 3048
; NumSgprs: 44
; NumVgprs: 31
; NumAgprs: 0
; TotalNumVgprs: 31
; ScratchSize: 0
; MemoryBound: 0
; FloatMode: 240
; IeeeMode: 1
; LDSByteSize: 48 bytes/workgroup (compile time only)
; SGPRBlocks: 5
; VGPRBlocks: 3
; NumSGPRsForWavesPerEU: 44
; NumVGPRsForWavesPerEU: 31
; AccumOffset: 32
; Occupancy: 8
; WaveLimiterHint : 0
; COMPUTE_PGM_RSRC2:SCRATCH_EN: 0
; COMPUTE_PGM_RSRC2:USER_SGPR: 6
; COMPUTE_PGM_RSRC2:TRAP_HANDLER: 0
; COMPUTE_PGM_RSRC2:TGID_X_EN: 1
; COMPUTE_PGM_RSRC2:TGID_Y_EN: 1
; COMPUTE_PGM_RSRC2:TGID_Z_EN: 0
; COMPUTE_PGM_RSRC2:TIDIG_COMP_CNT: 0
; COMPUTE_PGM_RSRC3_GFX90A:ACCUM_OFFSET: 7
; COMPUTE_PGM_RSRC3_GFX90A:TG_SPLIT: 0
	.section	.text._ZN5aiter35fused_qk_rmsnorm_group_quant_kernelItDB8_Li256ELi8ELi1ELb1ELb0ELb1ELb0ELb1ELb1EEEvPT0_PvPT_S6_S6_PKS5_S8_S8_S8_S8_ffiiiiiiiiiiiii,"axG",@progbits,_ZN5aiter35fused_qk_rmsnorm_group_quant_kernelItDB8_Li256ELi8ELi1ELb1ELb0ELb1ELb0ELb1ELb1EEEvPT0_PvPT_S6_S6_PKS5_S8_S8_S8_S8_ffiiiiiiiiiiiii,comdat
	.protected	_ZN5aiter35fused_qk_rmsnorm_group_quant_kernelItDB8_Li256ELi8ELi1ELb1ELb0ELb1ELb0ELb1ELb1EEEvPT0_PvPT_S6_S6_PKS5_S8_S8_S8_S8_ffiiiiiiiiiiiii ; -- Begin function _ZN5aiter35fused_qk_rmsnorm_group_quant_kernelItDB8_Li256ELi8ELi1ELb1ELb0ELb1ELb0ELb1ELb1EEEvPT0_PvPT_S6_S6_PKS5_S8_S8_S8_S8_ffiiiiiiiiiiiii
	.globl	_ZN5aiter35fused_qk_rmsnorm_group_quant_kernelItDB8_Li256ELi8ELi1ELb1ELb0ELb1ELb0ELb1ELb1EEEvPT0_PvPT_S6_S6_PKS5_S8_S8_S8_S8_ffiiiiiiiiiiiii
	.p2align	8
	.type	_ZN5aiter35fused_qk_rmsnorm_group_quant_kernelItDB8_Li256ELi8ELi1ELb1ELb0ELb1ELb0ELb1ELb1EEEvPT0_PvPT_S6_S6_PKS5_S8_S8_S8_S8_ffiiiiiiiiiiiii,@function
_ZN5aiter35fused_qk_rmsnorm_group_quant_kernelItDB8_Li256ELi8ELi1ELb1ELb0ELb1ELb0ELb1ELb1EEEvPT0_PvPT_S6_S6_PKS5_S8_S8_S8_S8_ffiiiiiiiiiiiii: ; @_ZN5aiter35fused_qk_rmsnorm_group_quant_kernelItDB8_Li256ELi8ELi1ELb1ELb0ELb1ELb0ELb1ELb1EEEvPT0_PvPT_S6_S6_PKS5_S8_S8_S8_S8_ffiiiiiiiiiiiii
; %bb.0:
	s_load_dwordx8 s[12:19], s[4:5], 0x50
	s_waitcnt lgkmcnt(0)
	s_cmp_ge_i32 s6, s14
	s_cbranch_scc1 .LBB38_17
; %bb.1:
	s_cmp_lg_u32 s7, 0
	s_cselect_b64 s[22:23], -1, 0
	s_cmp_eq_u32 s7, 0
	s_cselect_b64 s[8:9], -1, 0
	s_and_b64 s[0:1], s[8:9], exec
	s_load_dwordx2 s[10:11], s[4:5], 0x70
	s_load_dwordx2 s[20:21], s[4:5], 0x48
	;; [unrolled: 1-line block ×3, first 2 shown]
	s_cselect_b32 s7, s15, s16
	s_add_i32 s0, s7, 1
	s_lshr_b32 s1, s0, 31
	s_add_i32 s0, s0, s1
	s_lshl_b32 s0, s0, 1
	v_lshlrev_b32_e32 v1, 3, v0
	s_and_b32 s26, s0, -4
	v_cmp_gt_i32_e64 s[0:1], s7, v1
	v_mov_b32_e32 v10, 0
	v_mov_b32_e32 v11, 0
	;; [unrolled: 1-line block ×8, first 2 shown]
	s_and_saveexec_b64 s[2:3], s[0:1]
	s_cbranch_execz .LBB38_3
; %bb.2:
	s_load_dwordx2 s[24:25], s[4:5], 0x28
	s_load_dwordx2 s[28:29], s[4:5], 0x40
	s_and_b64 s[34:35], s[8:9], exec
	s_cselect_b32 s14, s17, s18
	v_lshlrev_b32_e32 v2, 4, v0
	s_waitcnt lgkmcnt(0)
	s_cselect_b32 s17, s25, s31
	s_cselect_b32 s27, s24, s30
	s_mul_hi_i32 s25, s14, s6
	s_mul_i32 s24, s14, s6
	s_lshl_b64 s[24:25], s[24:25], 1
	s_add_u32 s36, s27, s24
	s_addc_u32 s14, s17, s25
	s_and_b64 s[24:25], s[8:9], exec
	s_mov_b32 s27, 0x20000
	s_cselect_b32 s24, s28, s20
	s_cselect_b32 s17, s29, s21
	s_and_b32 s37, s14, 0xffff
	s_mov_b32 s38, s26
	s_mov_b32 s39, s27
	s_and_b32 s25, s17, 0xffff
	buffer_load_dwordx4 v[14:17], v2, s[36:39], 0 offen glc slc
	buffer_load_dwordx4 v[10:13], v2, s[24:27], 0 offen
.LBB38_3:
	s_or_b64 exec, exec, s[2:3]
	s_load_dwordx2 s[28:29], s[4:5], 0x80
	s_and_b64 vcc, exec, s[22:23]
	s_cbranch_vccz .LBB38_7
; %bb.4:
	s_mov_b32 s36, 0
	s_mov_b32 s37, s36
	;; [unrolled: 1-line block ×8, first 2 shown]
	v_pk_mov_b32 v[2:3], s[36:37], s[36:37] op_sel:[0,1]
	v_pk_mov_b32 v[4:5], s[38:39], s[38:39] op_sel:[0,1]
	;; [unrolled: 1-line block ×4, first 2 shown]
	s_and_saveexec_b64 s[2:3], s[0:1]
	s_cbranch_execz .LBB38_6
; %bb.5:
	s_waitcnt vmcnt(1)
	v_cvt_f32_u32_sdwa v3, v14 dst_sel:DWORD dst_unused:UNUSED_PAD src0_sel:WORD_1
	v_cvt_f32_u32_sdwa v2, v14 dst_sel:DWORD dst_unused:UNUSED_PAD src0_sel:WORD_0
	v_cvt_f32_u32_sdwa v5, v15 dst_sel:DWORD dst_unused:UNUSED_PAD src0_sel:WORD_1
	v_cvt_f32_u32_sdwa v4, v15 dst_sel:DWORD dst_unused:UNUSED_PAD src0_sel:WORD_0
	;; [unrolled: 2-line block ×4, first 2 shown]
.LBB38_6:
	s_or_b64 exec, exec, s[2:3]
	s_cbranch_execz .LBB38_8
	s_branch .LBB38_11
.LBB38_7:
                                        ; implicit-def: $vgpr2_vgpr3_vgpr4_vgpr5_vgpr6_vgpr7_vgpr8_vgpr9
.LBB38_8:
	s_mov_b32 s36, 0
	s_mov_b32 s37, s36
	s_mov_b32 s38, s36
	s_mov_b32 s39, s36
	s_mov_b32 s40, s36
	s_mov_b32 s41, s36
	s_mov_b32 s42, s36
	s_mov_b32 s43, s36
	v_pk_mov_b32 v[2:3], s[36:37], s[36:37] op_sel:[0,1]
	v_pk_mov_b32 v[4:5], s[38:39], s[38:39] op_sel:[0,1]
	;; [unrolled: 1-line block ×4, first 2 shown]
	s_and_saveexec_b64 s[2:3], s[0:1]
	s_cbranch_execz .LBB38_10
; %bb.9:
	s_load_dwordx2 s[24:25], s[4:5], 0x38
	s_mul_hi_i32 s35, s19, s6
	s_mul_i32 s34, s19, s6
	s_lshl_b64 s[34:35], s[34:35], 1
	s_mov_b32 s27, 0x20000
	s_waitcnt lgkmcnt(0)
	s_add_u32 s24, s24, s34
	s_addc_u32 s14, s25, s35
	s_and_b32 s25, s14, 0xffff
	v_lshlrev_b32_e32 v26, 4, v0
	buffer_load_dwordx4 v[2:5], v26, s[24:27], 0 offen glc slc
	s_load_dwordx2 s[24:25], s[4:5], 0x20
	s_waitcnt vmcnt(2)
	v_cvt_f32_u32_sdwa v7, v14 dst_sel:DWORD dst_unused:UNUSED_PAD src0_sel:WORD_1
	v_cvt_f32_u32_sdwa v6, v14 dst_sel:DWORD dst_unused:UNUSED_PAD src0_sel:WORD_0
	v_cvt_f32_u32_sdwa v9, v15 dst_sel:DWORD dst_unused:UNUSED_PAD src0_sel:WORD_1
	v_cvt_f32_u32_sdwa v8, v15 dst_sel:DWORD dst_unused:UNUSED_PAD src0_sel:WORD_0
	;; [unrolled: 2-line block ×4, first 2 shown]
	s_mul_hi_i32 s35, s29, s6
	s_mul_i32 s34, s29, s6
	s_lshl_b64 s[34:35], s[34:35], 1
	s_waitcnt lgkmcnt(0)
	s_add_u32 s24, s24, s34
	s_mov_b32 s14, 0x7060302
	s_addc_u32 s17, s25, s35
	s_and_b32 s25, s17, 0xffff
	s_waitcnt vmcnt(0)
	v_cvt_f32_u32_sdwa v17, v2 dst_sel:DWORD dst_unused:UNUSED_PAD src0_sel:WORD_1
	v_cvt_f32_u32_sdwa v16, v2 dst_sel:DWORD dst_unused:UNUSED_PAD src0_sel:WORD_0
	v_cvt_f32_u32_sdwa v21, v3 dst_sel:DWORD dst_unused:UNUSED_PAD src0_sel:WORD_1
	v_cvt_f32_u32_sdwa v20, v3 dst_sel:DWORD dst_unused:UNUSED_PAD src0_sel:WORD_0
	;; [unrolled: 2-line block ×4, first 2 shown]
	v_pk_add_f32 v[2:3], v[6:7], v[16:17]
	v_pk_add_f32 v[4:5], v[8:9], v[20:21]
	;; [unrolled: 1-line block ×4, first 2 shown]
	v_perm_b32 v17, v9, v8, s14
	v_perm_b32 v16, v7, v6, s14
	;; [unrolled: 1-line block ×4, first 2 shown]
	buffer_store_dwordx4 v[14:17], v26, s[24:27], 0 offen glc slc
	;;#ASMSTART
	s_nop 0
	;;#ASMEND
.LBB38_10:
	s_or_b64 exec, exec, s[2:3]
.LBB38_11:
	s_waitcnt vmcnt(1)
	v_mul_f32_e32 v14, v3, v3
	v_fmac_f32_e32 v14, v2, v2
	v_fmac_f32_e32 v14, v4, v4
	;; [unrolled: 1-line block ×7, first 2 shown]
	v_and_b32_e32 v16, 63, v0
	v_cmp_eq_u32_e64 s[2:3], 63, v16
	v_mov_b32_dpp v15, v14 quad_perm:[1,0,3,2] row_mask:0xf bank_mask:0xf
	v_add_f32_e32 v14, v14, v15
	s_nop 1
	v_mov_b32_dpp v15, v14 quad_perm:[2,3,0,1] row_mask:0xf bank_mask:0xf
	v_add_f32_e32 v14, v14, v15
	s_nop 1
	v_mov_b32_dpp v15, v14 row_half_mirror row_mask:0xf bank_mask:0xf
	v_add_f32_e32 v14, v14, v15
	s_nop 1
	v_mov_b32_dpp v15, v14 row_mirror row_mask:0xf bank_mask:0xf
	v_add_f32_e32 v14, v14, v15
	s_nop 1
	v_mov_b32_dpp v15, v14 row_bcast:15 row_mask:0xf bank_mask:0xf
	v_add_f32_e32 v14, v14, v15
	s_nop 1
	v_mov_b32_dpp v15, v14 row_bcast:31 row_mask:0xf bank_mask:0xf
	s_and_saveexec_b64 s[24:25], s[2:3]
	s_cbranch_execz .LBB38_13
; %bb.12:
	v_add_f32_e32 v14, v14, v15
	v_lshrrev_b32_e32 v15, 4, v0
	v_and_b32_e32 v15, 60, v15
	ds_write_b32 v15, v14 offset:32
.LBB38_13:
	s_or_b64 exec, exec, s[24:25]
	v_and_b32_e32 v14, 3, v0
	v_lshlrev_b32_e32 v14, 2, v14
	s_waitcnt lgkmcnt(0)
	s_barrier
	ds_read_b32 v15, v14 offset:32
	s_load_dwordx2 s[34:35], s[4:5], 0x18
	s_waitcnt lgkmcnt(0)
	v_mov_b32_dpp v16, v15 quad_perm:[1,0,3,2] row_mask:0xf bank_mask:0xf
	v_add_f32_e32 v15, v15, v16
	s_nop 1
	v_mov_b32_dpp v16, v15 quad_perm:[2,3,0,1] row_mask:0xf bank_mask:0xf
	s_and_saveexec_b64 s[24:25], s[0:1]
	s_cbranch_execnz .LBB38_18
; %bb.14:
	s_or_b64 exec, exec, s[24:25]
	s_mov_b64 s[8:9], -1
	s_and_b64 vcc, exec, s[22:23]
	s_cbranch_vccnz .LBB38_19
.LBB38_15:
	s_andn2_b64 vcc, exec, s[8:9]
	s_cbranch_vccz .LBB38_22
.LBB38_16:
	s_cmp_lt_i32 s16, 1
	s_cbranch_scc0 .LBB38_31
.LBB38_17:
	s_endpgm
.LBB38_18:
	v_cvt_f32_u32_e32 v17, s7
	v_add_f32_e32 v15, v15, v16
	v_mov_b32_e32 v19, s13
	v_mov_b32_e32 v20, s12
	v_div_scale_f32 v16, s[36:37], v17, v17, v15
	v_rcp_f32_e32 v18, v16
	v_cndmask_b32_e64 v19, v19, v20, s[8:9]
	s_mov_b32 s7, 0x800000
	v_fma_f32 v20, -v16, v18, 1.0
	v_fmac_f32_e32 v18, v20, v18
	v_div_scale_f32 v20, vcc, v15, v17, v15
	v_mul_f32_e32 v21, v20, v18
	v_fma_f32 v22, -v16, v21, v20
	v_fmac_f32_e32 v21, v22, v18
	v_fma_f32 v16, -v16, v21, v20
	v_div_fmas_f32 v16, v16, v18, v21
	v_div_fixup_f32 v15, v16, v17, v15
	v_add_f32_e32 v15, v19, v15
	v_mul_f32_e32 v16, 0x4b800000, v15
	v_cmp_gt_f32_e32 vcc, s7, v15
	v_cndmask_b32_e32 v15, v15, v16, vcc
	v_rsq_f32_e32 v15, v15
	s_waitcnt vmcnt(0)
	v_cvt_f32_u32_sdwa v19, v10 dst_sel:DWORD dst_unused:UNUSED_PAD src0_sel:WORD_1
	v_cvt_f32_u32_sdwa v18, v10 dst_sel:DWORD dst_unused:UNUSED_PAD src0_sel:WORD_0
	v_cvt_f32_u32_sdwa v21, v11 dst_sel:DWORD dst_unused:UNUSED_PAD src0_sel:WORD_1
	v_mul_f32_e32 v16, 0x45800000, v15
	v_cndmask_b32_e32 v16, v15, v16, vcc
	v_mov_b32_e32 v17, v16
	v_cvt_f32_u32_sdwa v20, v11 dst_sel:DWORD dst_unused:UNUSED_PAD src0_sel:WORD_0
	;;#ASMSTART
	v_pk_mul_f32 v[2:3], v[2:3], v[16:17]
	;;#ASMEND
	;;#ASMSTART
	v_pk_mul_f32 v[4:5], v[4:5], v[16:17]
	;;#ASMEND
	;; [unrolled: 3-line block ×4, first 2 shown]
	v_cvt_f32_u32_sdwa v17, v12 dst_sel:DWORD dst_unused:UNUSED_PAD src0_sel:WORD_1
	v_cvt_f32_u32_sdwa v16, v12 dst_sel:DWORD dst_unused:UNUSED_PAD src0_sel:WORD_0
	v_pk_add_f32 v[10:11], v[18:19], 1.0 op_sel_hi:[1,0]
	v_cvt_f32_u32_sdwa v19, v13 dst_sel:DWORD dst_unused:UNUSED_PAD src0_sel:WORD_1
	v_cvt_f32_u32_sdwa v18, v13 dst_sel:DWORD dst_unused:UNUSED_PAD src0_sel:WORD_0
	;;#ASMSTART
	v_pk_mul_f32 v[2:3], v[2:3], v[10:11]
	;;#ASMEND
	v_pk_add_f32 v[10:11], v[20:21], 1.0 op_sel_hi:[1,0]
	;;#ASMSTART
	v_pk_mul_f32 v[4:5], v[4:5], v[10:11]
	;;#ASMEND
	v_pk_add_f32 v[10:11], v[16:17], 1.0 op_sel_hi:[1,0]
	;; [unrolled: 4-line block ×3, first 2 shown]
	;;#ASMSTART
	v_pk_mul_f32 v[8:9], v[8:9], v[10:11]
	;;#ASMEND
	s_or_b64 exec, exec, s[24:25]
	s_mov_b64 s[8:9], -1
	s_and_b64 vcc, exec, s[22:23]
	s_cbranch_vccz .LBB38_15
.LBB38_19:
	s_and_saveexec_b64 s[8:9], s[0:1]
	s_cbranch_execz .LBB38_21
; %bb.20:
	s_mul_hi_i32 s23, s28, s6
	s_mul_i32 s22, s28, s6
	s_lshl_b64 s[22:23], s[22:23], 1
	s_add_u32 s24, s34, s22
	s_addc_u32 s7, s35, s23
	s_and_b32 s25, s7, 0xffff
	s_mov_b32 s7, 0x7060302
	s_mov_b32 s27, 0x20000
	s_waitcnt vmcnt(0)
	v_perm_b32 v10, v3, v2, s7
	v_perm_b32 v11, v5, v4, s7
	;; [unrolled: 1-line block ×4, first 2 shown]
	v_lshlrev_b32_e32 v15, 4, v0
	buffer_store_dwordx4 v[10:13], v15, s[24:27], 0 offen
	;;#ASMSTART
	s_nop 0
	;;#ASMEND
.LBB38_21:
	s_or_b64 exec, exec, s[8:9]
	s_cbranch_execnz .LBB38_16
.LBB38_22:
	s_waitcnt vmcnt(0)
	v_mov_b32_e32 v10, 0
	s_and_saveexec_b64 s[8:9], s[0:1]
	s_cbranch_execz .LBB38_24
; %bb.23:
	v_and_b32_e32 v10, 0x7fffffff, v2
	v_and_b32_e32 v11, 0x7fffffff, v3
	v_mov_b32_e32 v12, 0x2edbe6ff
	;;#ASMSTART
	v_max3_f32 v10, v12, v10, v11

	;;#ASMEND
	v_and_b32_e32 v11, 0x7fffffff, v4
	v_and_b32_e32 v12, 0x7fffffff, v5
	;;#ASMSTART
	v_max3_f32 v10, v10, v11, v12

	;;#ASMEND
	v_and_b32_e32 v11, 0x7fffffff, v6
	v_and_b32_e32 v12, 0x7fffffff, v7
	;; [unrolled: 6-line block ×3, first 2 shown]
	;;#ASMSTART
	v_max3_f32 v10, v10, v11, v12

	;;#ASMEND
.LBB38_24:
	s_or_b64 exec, exec, s[8:9]
	s_nop 0
	v_mov_b32_dpp v11, v10 quad_perm:[1,0,3,2] row_mask:0xf bank_mask:0xf
	v_cmp_gt_f32_e32 vcc, v10, v11
	v_cndmask_b32_e32 v10, v11, v10, vcc
	s_nop 1
	v_mov_b32_dpp v11, v10 quad_perm:[2,3,0,1] row_mask:0xf bank_mask:0xf
	v_cmp_gt_f32_e32 vcc, v10, v11
	v_cndmask_b32_e32 v10, v11, v10, vcc
	s_nop 1
	v_mov_b32_dpp v11, v10 row_half_mirror row_mask:0xf bank_mask:0xf
	v_cmp_gt_f32_e32 vcc, v10, v11
	v_cndmask_b32_e32 v10, v11, v10, vcc
	s_nop 1
	v_mov_b32_dpp v11, v10 row_mirror row_mask:0xf bank_mask:0xf
	v_cmp_gt_f32_e32 vcc, v10, v11
	v_cndmask_b32_e32 v10, v11, v10, vcc
	s_nop 1
	v_mov_b32_dpp v11, v10 row_bcast:15 row_mask:0xf bank_mask:0xf
	v_cmp_gt_f32_e32 vcc, v10, v11
	v_cndmask_b32_e32 v10, v11, v10, vcc
	s_nop 1
	v_mov_b32_dpp v11, v10 row_bcast:31 row_mask:0xf bank_mask:0xf
	s_and_saveexec_b64 s[8:9], s[2:3]
	s_cbranch_execz .LBB38_26
; %bb.25:
	v_cmp_gt_f32_e32 vcc, v10, v11
	v_cndmask_b32_e32 v10, v11, v10, vcc
	v_lshrrev_b32_e32 v11, 4, v0
	v_and_b32_e32 v11, 60, v11
	ds_write_b32 v11, v10
.LBB38_26:
	s_or_b64 exec, exec, s[8:9]
	s_waitcnt lgkmcnt(0)
	s_barrier
	ds_read_b32 v10, v14
	s_waitcnt lgkmcnt(0)
	s_nop 0
	v_mov_b32_dpp v11, v10 quad_perm:[1,0,3,2] row_mask:0xf bank_mask:0xf
	v_cmp_gt_f32_e32 vcc, v10, v11
	v_cndmask_b32_e32 v10, v11, v10, vcc
	s_nop 1
	v_mov_b32_dpp v11, v10 quad_perm:[2,3,0,1] row_mask:0xf bank_mask:0xf
	v_cmp_gt_f32_e32 vcc, v10, v11
	v_cndmask_b32_e32 v10, v11, v10, vcc
	v_mul_f32_e32 v10, 0x3b124925, v10
	v_cmp_eq_u32_e32 vcc, 0, v0
	s_and_saveexec_b64 s[8:9], vcc
	s_cbranch_execz .LBB38_28
; %bb.27:
	s_load_dwordx2 s[22:23], s[4:5], 0x8
	s_mul_hi_i32 s25, s11, s6
	s_mul_i32 s24, s11, s6
	s_lshl_b64 s[24:25], s[24:25], 2
	v_mov_b32_e32 v11, 0
	s_waitcnt lgkmcnt(0)
	s_add_u32 s22, s22, s24
	s_addc_u32 s23, s23, s25
	global_store_dword v11, v10, s[22:23]
.LBB38_28:
	s_or_b64 exec, exec, s[8:9]
	;;#ASMSTART
	v_rcp_f32 v10, v10
	;;#ASMEND
	s_and_saveexec_b64 s[22:23], s[0:1]
	s_cbranch_execz .LBB38_30
; %bb.29:
	s_load_dwordx2 s[0:1], s[4:5], 0x0
	s_mul_i32 s8, s10, s6
	v_mov_b32_e32 v11, v10
	;;#ASMSTART
	v_pk_mul_f32 v[2:3], v[2:3], v[10:11]
	;;#ASMEND
	s_mul_hi_i32 s7, s10, s6
	s_waitcnt lgkmcnt(0)
	s_add_u32 s8, s0, s8
	v_mov_b32_e32 v12, 0xc3e00000
	v_mov_b32_e32 v13, 0x43e00000
	;;#ASMSTART
	v_med3_f32 v2, v2, v12, v13
v_med3_f32 v3, v3, v12, v13
v_cvt_pk_fp8_f32 v15, v2, v3
	;;#ASMEND
	s_addc_u32 s0, s1, s7
	;;#ASMSTART
	v_pk_mul_f32 v[2:3], v[4:5], v[10:11]
	;;#ASMEND
	s_and_b32 s9, s0, 0xffff
	;;#ASMSTART
	v_med3_f32 v2, v2, v12, v13
v_med3_f32 v3, v3, v12, v13
v_cvt_pk_fp8_f32 v4, v2, v3
	;;#ASMEND
	s_mov_b32 s0, 0x5040100
	v_perm_b32 v3, v4, v15, s0
	s_movk_i32 s0, 0xff
	v_and_b32_e32 v2, 0xffffff00, v4
	v_and_b32_sdwa v4, v3, s0 dst_sel:DWORD dst_unused:UNUSED_PAD src0_sel:WORD_1 src1_sel:DWORD
	s_mov_b32 s12, 0xffff
	v_or_b32_sdwa v2, v4, v2 dst_sel:WORD_1 dst_unused:UNUSED_PAD src0_sel:DWORD src1_sel:DWORD
	v_and_or_b32 v2, v3, s12, v2
	;;#ASMSTART
	v_pk_mul_f32 v[4:5], v[6:7], v[10:11]
	;;#ASMEND
	v_mov_b32_e32 v3, v4
	s_add_i32 s1, s15, 3
	;;#ASMSTART
	v_med3_f32 v3, v3, v12, v13
v_med3_f32 v5, v5, v12, v13
v_cvt_pk_fp8_f32 v6, v3, v5
	;;#ASMEND
	s_ashr_i32 s7, s1, 31
	;;#ASMSTART
	v_pk_mul_f32 v[4:5], v[8:9], v[10:11]
	;;#ASMEND
	v_mov_b32_e32 v3, v5
	s_lshr_b32 s7, s7, 30
	;;#ASMSTART
	v_med3_f32 v4, v4, v12, v13
v_med3_f32 v3, v3, v12, v13
v_cvt_pk_fp8_f32 v5, v4, v3
	;;#ASMEND
	s_add_i32 s1, s1, s7
	v_lshlrev_b32_e32 v3, 16, v5
	s_and_b32 s10, s1, -4
	s_mov_b32 s11, 0x20000
	v_and_or_b32 v3, v6, s12, v3
	buffer_store_dwordx2 v[2:3], v1, s[8:11], 0 offen
	;;#ASMSTART
	s_nop 0
	;;#ASMEND
.LBB38_30:
	s_or_b64 exec, exec, s[22:23]
	s_cmp_lt_i32 s16, 1
	s_cbranch_scc1 .LBB38_17
.LBB38_31:
	s_load_dword s0, s[4:5], 0x94
	s_waitcnt lgkmcnt(0)
	s_cmp_lg_u32 s0, 1
	s_cbranch_scc1 .LBB38_17
; %bb.32:
	s_lshl_b32 s0, s16, 1
	s_add_i32 s0, s0, 2
	v_cmp_gt_u32_e32 vcc, s16, v1
	s_and_b32 s22, s0, -4
	v_mov_b32_e32 v6, 0
	v_lshlrev_b32_e32 v1, 4, v0
	v_mov_b32_e32 v7, 0
	v_mov_b32_e32 v8, 0
	;; [unrolled: 1-line block ×7, first 2 shown]
	s_barrier
	s_and_saveexec_b64 s[0:1], vcc
	s_cbranch_execz .LBB38_34
; %bb.33:
	s_mul_hi_i32 s5, s18, s6
	s_mul_i32 s4, s18, s6
	s_and_b32 s21, s21, 0xffff
	s_lshl_b64 s[4:5], s[4:5], 1
	s_add_u32 s8, s30, s4
	s_mov_b32 s23, 0x20000
	s_addc_u32 s4, s31, s5
	s_and_b32 s9, s4, 0xffff
	s_mov_b32 s10, s22
	s_mov_b32 s11, s23
	buffer_load_dwordx4 v[6:9], v1, s[8:11], 0 offen glc slc
	buffer_load_dwordx4 v[2:5], v1, s[20:23], 0 offen
.LBB38_34:
	s_or_b64 exec, exec, s[0:1]
	s_waitcnt vmcnt(0)
	v_cvt_f32_u32_sdwa v13, v6 dst_sel:DWORD dst_unused:UNUSED_PAD src0_sel:WORD_1
	v_cvt_f32_u32_sdwa v12, v6 dst_sel:DWORD dst_unused:UNUSED_PAD src0_sel:WORD_0
	v_cvt_f32_u32_sdwa v6, v9 dst_sel:DWORD dst_unused:UNUSED_PAD src0_sel:WORD_1
	v_cvt_f32_u32_sdwa v9, v9 dst_sel:DWORD dst_unused:UNUSED_PAD src0_sel:WORD_0
	;; [unrolled: 2-line block ×4, first 2 shown]
	v_cndmask_b32_e32 v13, 0, v13, vcc
	v_cndmask_b32_e32 v7, 0, v6, vcc
	;; [unrolled: 1-line block ×5, first 2 shown]
	v_mul_f32_e32 v15, v13, v13
	v_cndmask_b32_e32 v10, 0, v10, vcc
	v_fmac_f32_e32 v15, v12, v12
	v_cndmask_b32_e32 v11, 0, v11, vcc
	v_fmac_f32_e32 v15, v10, v10
	;; [unrolled: 2-line block ×3, first 2 shown]
	v_fmac_f32_e32 v15, v8, v8
	v_fmac_f32_e32 v15, v9, v9
	;; [unrolled: 1-line block ×4, first 2 shown]
	s_nop 1
	v_mov_b32_dpp v16, v15 quad_perm:[1,0,3,2] row_mask:0xf bank_mask:0xf
	v_add_f32_e32 v15, v15, v16
	s_nop 1
	v_mov_b32_dpp v16, v15 quad_perm:[2,3,0,1] row_mask:0xf bank_mask:0xf
	v_add_f32_e32 v15, v15, v16
	s_nop 1
	v_mov_b32_dpp v16, v15 row_half_mirror row_mask:0xf bank_mask:0xf
	v_add_f32_e32 v15, v15, v16
	s_nop 1
	v_mov_b32_dpp v16, v15 row_mirror row_mask:0xf bank_mask:0xf
	v_add_f32_e32 v15, v15, v16
	s_nop 1
	v_mov_b32_dpp v16, v15 row_bcast:15 row_mask:0xf bank_mask:0xf
	v_add_f32_e32 v15, v15, v16
	s_nop 1
	v_mov_b32_dpp v16, v15 row_bcast:31 row_mask:0xf bank_mask:0xf
	s_and_saveexec_b64 s[0:1], s[2:3]
	s_cbranch_execz .LBB38_36
; %bb.35:
	v_lshrrev_b32_e32 v0, 4, v0
	v_add_f32_e32 v15, v15, v16
	v_and_b32_e32 v0, 60, v0
	ds_write_b32 v0, v15 offset:16
.LBB38_36:
	s_or_b64 exec, exec, s[0:1]
	s_waitcnt lgkmcnt(0)
	s_barrier
	ds_read_b32 v0, v14 offset:16
	s_waitcnt lgkmcnt(0)
	s_nop 0
	v_mov_b32_dpp v14, v0 quad_perm:[1,0,3,2] row_mask:0xf bank_mask:0xf
	v_add_f32_e32 v0, v0, v14
	s_nop 1
	v_mov_b32_dpp v14, v0 quad_perm:[2,3,0,1] row_mask:0xf bank_mask:0xf
	s_and_saveexec_b64 s[0:1], vcc
	s_cbranch_execz .LBB38_17
; %bb.37:
	v_cvt_f32_u32_e32 v15, s16
	v_add_f32_e32 v0, v0, v14
	s_mov_b32 s23, 0x20000
	v_div_scale_f32 v14, s[0:1], v15, v15, v0
	v_rcp_f32_e32 v16, v14
	v_div_scale_f32 v17, vcc, v0, v15, v0
	s_mov_b32 s0, 0x800000
	v_fma_f32 v18, -v14, v16, 1.0
	v_fmac_f32_e32 v16, v18, v16
	v_mul_f32_e32 v18, v17, v16
	v_fma_f32 v19, -v14, v18, v17
	v_fmac_f32_e32 v18, v19, v16
	v_fma_f32 v14, -v14, v18, v17
	v_div_fmas_f32 v14, v14, v16, v18
	v_div_fixup_f32 v0, v14, v15, v0
	v_add_f32_e32 v0, s13, v0
	v_mul_f32_e32 v14, 0x4b800000, v0
	v_cmp_gt_f32_e32 vcc, s0, v0
	v_cndmask_b32_e32 v0, v0, v14, vcc
	v_rsq_f32_e32 v0, v0
	v_cvt_f32_u32_sdwa v17, v2 dst_sel:DWORD dst_unused:UNUSED_PAD src0_sel:WORD_1
	v_cvt_f32_u32_sdwa v16, v2 dst_sel:DWORD dst_unused:UNUSED_PAD src0_sel:WORD_0
	v_cvt_f32_u32_sdwa v19, v3 dst_sel:DWORD dst_unused:UNUSED_PAD src0_sel:WORD_1
	v_mul_f32_e32 v14, 0x45800000, v0
	v_cndmask_b32_e32 v14, v0, v14, vcc
	v_mov_b32_e32 v15, v14
	;;#ASMSTART
	v_pk_mul_f32 v[12:13], v[12:13], v[14:15]
	;;#ASMEND
	;;#ASMSTART
	v_pk_mul_f32 v[10:11], v[10:11], v[14:15]
	;;#ASMEND
	;; [unrolled: 3-line block ×3, first 2 shown]
	v_cvt_f32_u32_sdwa v18, v3 dst_sel:DWORD dst_unused:UNUSED_PAD src0_sel:WORD_0
	;;#ASMSTART
	v_pk_mul_f32 v[2:3], v[6:7], v[14:15]
	;;#ASMEND
	v_cvt_f32_u32_sdwa v15, v4 dst_sel:DWORD dst_unused:UNUSED_PAD src0_sel:WORD_1
	v_cvt_f32_u32_sdwa v14, v4 dst_sel:DWORD dst_unused:UNUSED_PAD src0_sel:WORD_0
	v_pk_add_f32 v[6:7], v[16:17], 1.0 op_sel_hi:[1,0]
	v_cvt_f32_u32_sdwa v17, v5 dst_sel:DWORD dst_unused:UNUSED_PAD src0_sel:WORD_1
	v_cvt_f32_u32_sdwa v16, v5 dst_sel:DWORD dst_unused:UNUSED_PAD src0_sel:WORD_0
	s_mul_hi_i32 s1, s28, s6
	s_mul_i32 s0, s28, s6
	s_lshl_b64 s[0:1], s[0:1], 1
	s_add_u32 s20, s34, s0
	;;#ASMSTART
	v_pk_mul_f32 v[6:7], v[12:13], v[6:7]
	;;#ASMEND
	v_pk_add_f32 v[12:13], v[18:19], 1.0 op_sel_hi:[1,0]
	;;#ASMSTART
	v_pk_mul_f32 v[4:5], v[10:11], v[12:13]
	;;#ASMEND
	v_pk_add_f32 v[10:11], v[14:15], 1.0 op_sel_hi:[1,0]
	s_addc_u32 s0, s35, s1
	;;#ASMSTART
	v_pk_mul_f32 v[8:9], v[8:9], v[10:11]
	;;#ASMEND
	v_pk_add_f32 v[10:11], v[16:17], 1.0 op_sel_hi:[1,0]
	s_and_b32 s21, s0, 0xffff
	s_mov_b32 s0, 0x7060302
	;;#ASMSTART
	v_pk_mul_f32 v[10:11], v[2:3], v[10:11]
	;;#ASMEND
	v_perm_b32 v2, v7, v6, s0
	v_perm_b32 v3, v5, v4, s0
	;; [unrolled: 1-line block ×4, first 2 shown]
	buffer_store_dwordx4 v[2:5], v1, s[20:23], 0 offen
	;;#ASMSTART
	s_nop 0
	;;#ASMEND
	s_endpgm
	.section	.rodata,"a",@progbits
	.p2align	6, 0x0
	.amdhsa_kernel _ZN5aiter35fused_qk_rmsnorm_group_quant_kernelItDB8_Li256ELi8ELi1ELb1ELb0ELb1ELb0ELb1ELb1EEEvPT0_PvPT_S6_S6_PKS5_S8_S8_S8_S8_ffiiiiiiiiiiiii
		.amdhsa_group_segment_fixed_size 48
		.amdhsa_private_segment_fixed_size 0
		.amdhsa_kernarg_size 400
		.amdhsa_user_sgpr_count 6
		.amdhsa_user_sgpr_private_segment_buffer 1
		.amdhsa_user_sgpr_dispatch_ptr 0
		.amdhsa_user_sgpr_queue_ptr 0
		.amdhsa_user_sgpr_kernarg_segment_ptr 1
		.amdhsa_user_sgpr_dispatch_id 0
		.amdhsa_user_sgpr_flat_scratch_init 0
		.amdhsa_user_sgpr_kernarg_preload_length 0
		.amdhsa_user_sgpr_kernarg_preload_offset 0
		.amdhsa_user_sgpr_private_segment_size 0
		.amdhsa_uses_dynamic_stack 0
		.amdhsa_system_sgpr_private_segment_wavefront_offset 0
		.amdhsa_system_sgpr_workgroup_id_x 1
		.amdhsa_system_sgpr_workgroup_id_y 1
		.amdhsa_system_sgpr_workgroup_id_z 0
		.amdhsa_system_sgpr_workgroup_info 0
		.amdhsa_system_vgpr_workitem_id 0
		.amdhsa_next_free_vgpr 27
		.amdhsa_next_free_sgpr 44
		.amdhsa_accum_offset 28
		.amdhsa_reserve_vcc 1
		.amdhsa_reserve_flat_scratch 0
		.amdhsa_float_round_mode_32 0
		.amdhsa_float_round_mode_16_64 0
		.amdhsa_float_denorm_mode_32 3
		.amdhsa_float_denorm_mode_16_64 3
		.amdhsa_dx10_clamp 1
		.amdhsa_ieee_mode 1
		.amdhsa_fp16_overflow 0
		.amdhsa_tg_split 0
		.amdhsa_exception_fp_ieee_invalid_op 0
		.amdhsa_exception_fp_denorm_src 0
		.amdhsa_exception_fp_ieee_div_zero 0
		.amdhsa_exception_fp_ieee_overflow 0
		.amdhsa_exception_fp_ieee_underflow 0
		.amdhsa_exception_fp_ieee_inexact 0
		.amdhsa_exception_int_div_zero 0
	.end_amdhsa_kernel
	.section	.text._ZN5aiter35fused_qk_rmsnorm_group_quant_kernelItDB8_Li256ELi8ELi1ELb1ELb0ELb1ELb0ELb1ELb1EEEvPT0_PvPT_S6_S6_PKS5_S8_S8_S8_S8_ffiiiiiiiiiiiii,"axG",@progbits,_ZN5aiter35fused_qk_rmsnorm_group_quant_kernelItDB8_Li256ELi8ELi1ELb1ELb0ELb1ELb0ELb1ELb1EEEvPT0_PvPT_S6_S6_PKS5_S8_S8_S8_S8_ffiiiiiiiiiiiii,comdat
.Lfunc_end38:
	.size	_ZN5aiter35fused_qk_rmsnorm_group_quant_kernelItDB8_Li256ELi8ELi1ELb1ELb0ELb1ELb0ELb1ELb1EEEvPT0_PvPT_S6_S6_PKS5_S8_S8_S8_S8_ffiiiiiiiiiiiii, .Lfunc_end38-_ZN5aiter35fused_qk_rmsnorm_group_quant_kernelItDB8_Li256ELi8ELi1ELb1ELb0ELb1ELb0ELb1ELb1EEEvPT0_PvPT_S6_S6_PKS5_S8_S8_S8_S8_ffiiiiiiiiiiiii
                                        ; -- End function
	.section	.AMDGPU.csdata,"",@progbits
; Kernel info:
; codeLenInByte = 3132
; NumSgprs: 48
; NumVgprs: 27
; NumAgprs: 0
; TotalNumVgprs: 27
; ScratchSize: 0
; MemoryBound: 0
; FloatMode: 240
; IeeeMode: 1
; LDSByteSize: 48 bytes/workgroup (compile time only)
; SGPRBlocks: 5
; VGPRBlocks: 3
; NumSGPRsForWavesPerEU: 48
; NumVGPRsForWavesPerEU: 27
; AccumOffset: 28
; Occupancy: 8
; WaveLimiterHint : 0
; COMPUTE_PGM_RSRC2:SCRATCH_EN: 0
; COMPUTE_PGM_RSRC2:USER_SGPR: 6
; COMPUTE_PGM_RSRC2:TRAP_HANDLER: 0
; COMPUTE_PGM_RSRC2:TGID_X_EN: 1
; COMPUTE_PGM_RSRC2:TGID_Y_EN: 1
; COMPUTE_PGM_RSRC2:TGID_Z_EN: 0
; COMPUTE_PGM_RSRC2:TIDIG_COMP_CNT: 0
; COMPUTE_PGM_RSRC3_GFX90A:ACCUM_OFFSET: 6
; COMPUTE_PGM_RSRC3_GFX90A:TG_SPLIT: 0
	.section	.text._ZN5aiter35fused_qk_rmsnorm_group_quant_kernelIDF16_DB8_Li256ELi8ELi1ELb1ELb0ELb0ELb0ELb1ELb1EEEvPT0_PvPT_S6_S6_PKS5_S8_S8_S8_S8_ffiiiiiiiiiiiii,"axG",@progbits,_ZN5aiter35fused_qk_rmsnorm_group_quant_kernelIDF16_DB8_Li256ELi8ELi1ELb1ELb0ELb0ELb0ELb1ELb1EEEvPT0_PvPT_S6_S6_PKS5_S8_S8_S8_S8_ffiiiiiiiiiiiii,comdat
	.protected	_ZN5aiter35fused_qk_rmsnorm_group_quant_kernelIDF16_DB8_Li256ELi8ELi1ELb1ELb0ELb0ELb0ELb1ELb1EEEvPT0_PvPT_S6_S6_PKS5_S8_S8_S8_S8_ffiiiiiiiiiiiii ; -- Begin function _ZN5aiter35fused_qk_rmsnorm_group_quant_kernelIDF16_DB8_Li256ELi8ELi1ELb1ELb0ELb0ELb0ELb1ELb1EEEvPT0_PvPT_S6_S6_PKS5_S8_S8_S8_S8_ffiiiiiiiiiiiii
	.globl	_ZN5aiter35fused_qk_rmsnorm_group_quant_kernelIDF16_DB8_Li256ELi8ELi1ELb1ELb0ELb0ELb0ELb1ELb1EEEvPT0_PvPT_S6_S6_PKS5_S8_S8_S8_S8_ffiiiiiiiiiiiii
	.p2align	8
	.type	_ZN5aiter35fused_qk_rmsnorm_group_quant_kernelIDF16_DB8_Li256ELi8ELi1ELb1ELb0ELb0ELb0ELb1ELb1EEEvPT0_PvPT_S6_S6_PKS5_S8_S8_S8_S8_ffiiiiiiiiiiiii,@function
_ZN5aiter35fused_qk_rmsnorm_group_quant_kernelIDF16_DB8_Li256ELi8ELi1ELb1ELb0ELb0ELb0ELb1ELb1EEEvPT0_PvPT_S6_S6_PKS5_S8_S8_S8_S8_ffiiiiiiiiiiiii: ; @_ZN5aiter35fused_qk_rmsnorm_group_quant_kernelIDF16_DB8_Li256ELi8ELi1ELb1ELb0ELb0ELb0ELb1ELb1EEEvPT0_PvPT_S6_S6_PKS5_S8_S8_S8_S8_ffiiiiiiiiiiiii
; %bb.0:
	s_load_dwordx8 s[12:19], s[4:5], 0x50
	s_waitcnt lgkmcnt(0)
	s_cmp_ge_i32 s6, s14
	s_cbranch_scc1 .LBB39_17
; %bb.1:
	s_cmp_lg_u32 s7, 0
	s_cselect_b64 s[22:23], -1, 0
	s_cmp_eq_u32 s7, 0
	s_cselect_b64 s[8:9], -1, 0
	s_and_b64 s[0:1], s[8:9], exec
	s_load_dwordx2 s[10:11], s[4:5], 0x70
	s_load_dwordx2 s[20:21], s[4:5], 0x48
	;; [unrolled: 1-line block ×3, first 2 shown]
	s_cselect_b32 s7, s15, s16
	s_add_i32 s0, s7, 1
	s_lshr_b32 s1, s0, 31
	s_add_i32 s0, s0, s1
	s_lshl_b32 s0, s0, 1
	v_lshlrev_b32_e32 v1, 3, v0
	s_and_b32 s26, s0, -4
	v_cmp_gt_i32_e64 s[0:1], s7, v1
	v_mov_b32_e32 v24, 0
	v_mov_b32_e32 v25, 0
	;; [unrolled: 1-line block ×8, first 2 shown]
	s_and_saveexec_b64 s[2:3], s[0:1]
	s_cbranch_execz .LBB39_3
; %bb.2:
	s_load_dwordx2 s[24:25], s[4:5], 0x28
	s_load_dwordx2 s[28:29], s[4:5], 0x40
	s_and_b64 s[34:35], s[8:9], exec
	s_cselect_b32 s14, s17, s18
	v_lshlrev_b32_e32 v2, 4, v0
	s_waitcnt lgkmcnt(0)
	s_cselect_b32 s17, s25, s31
	s_cselect_b32 s27, s24, s30
	s_mul_hi_i32 s25, s14, s6
	s_mul_i32 s24, s14, s6
	s_lshl_b64 s[24:25], s[24:25], 1
	s_add_u32 s36, s27, s24
	s_addc_u32 s14, s17, s25
	s_and_b64 s[24:25], s[8:9], exec
	s_mov_b32 s27, 0x20000
	s_cselect_b32 s24, s28, s20
	s_cselect_b32 s17, s29, s21
	s_and_b32 s37, s14, 0xffff
	s_mov_b32 s38, s26
	s_mov_b32 s39, s27
	s_and_b32 s25, s17, 0xffff
	buffer_load_dwordx4 v[28:31], v2, s[36:39], 0 offen glc slc
	buffer_load_dwordx4 v[24:27], v2, s[24:27], 0 offen
.LBB39_3:
	s_or_b64 exec, exec, s[2:3]
	s_load_dwordx2 s[28:29], s[4:5], 0x80
	s_and_b64 vcc, exec, s[22:23]
	s_cbranch_vccz .LBB39_7
; %bb.4:
	v_mov_b32_e32 v33, 0
	v_mov_b32_e32 v32, 0
	;; [unrolled: 1-line block ×8, first 2 shown]
	s_and_saveexec_b64 s[2:3], s[0:1]
	s_cbranch_execz .LBB39_6
; %bb.5:
	s_waitcnt vmcnt(1)
	v_cvt_f32_f16_sdwa v17, v28 dst_sel:DWORD dst_unused:UNUSED_PAD src0_sel:WORD_1
	v_cvt_f32_f16_e32 v16, v28
	v_cvt_f32_f16_sdwa v11, v29 dst_sel:DWORD dst_unused:UNUSED_PAD src0_sel:WORD_1
	v_cvt_f32_f16_e32 v10, v29
	;; [unrolled: 2-line block ×4, first 2 shown]
.LBB39_6:
	s_or_b64 exec, exec, s[2:3]
	s_cbranch_execz .LBB39_8
	s_branch .LBB39_11
.LBB39_7:
                                        ; implicit-def: $vgpr8_vgpr9_vgpr10_vgpr11_vgpr12_vgpr13_vgpr14_vgpr15
                                        ; implicit-def: $vgpr33
                                        ; implicit-def: $vgpr16_vgpr17_vgpr18_vgpr19_vgpr20_vgpr21_vgpr22_vgpr23
                                        ; implicit-def: $vgpr2_vgpr3_vgpr4_vgpr5_vgpr6_vgpr7_vgpr8_vgpr9
.LBB39_8:
	v_mov_b32_e32 v33, 0
	v_mov_b32_e32 v32, 0
	;; [unrolled: 1-line block ×8, first 2 shown]
	s_and_saveexec_b64 s[2:3], s[0:1]
	s_cbranch_execz .LBB39_10
; %bb.9:
	s_load_dwordx2 s[24:25], s[4:5], 0x38
	s_mul_hi_i32 s35, s19, s6
	s_mul_i32 s34, s19, s6
	s_lshl_b64 s[34:35], s[34:35], 1
	s_mov_b32 s27, 0x20000
	s_waitcnt lgkmcnt(0)
	s_add_u32 s24, s24, s34
	s_addc_u32 s14, s25, s35
	s_and_b32 s25, s14, 0xffff
	v_lshlrev_b32_e32 v20, 4, v0
	buffer_load_dwordx4 v[2:5], v20, s[24:27], 0 offen glc slc
	s_waitcnt vmcnt(2)
	v_cvt_f32_f16_sdwa v7, v28 dst_sel:DWORD dst_unused:UNUSED_PAD src0_sel:WORD_1
	v_cvt_f32_f16_e32 v6, v28
	v_cvt_f32_f16_sdwa v9, v29 dst_sel:DWORD dst_unused:UNUSED_PAD src0_sel:WORD_1
	v_cvt_f32_f16_e32 v8, v29
	;; [unrolled: 2-line block ×4, first 2 shown]
	s_load_dwordx2 s[24:25], s[4:5], 0x20
	s_mul_hi_i32 s35, s29, s6
	s_mul_i32 s34, s29, s6
	s_lshl_b64 s[34:35], s[34:35], 1
	s_waitcnt lgkmcnt(0)
	s_add_u32 s24, s24, s34
	s_addc_u32 s14, s25, s35
	s_and_b32 s25, s14, 0xffff
	s_waitcnt vmcnt(0)
	v_cvt_f32_f16_e32 v10, v2
	v_cvt_f32_f16_sdwa v11, v2 dst_sel:DWORD dst_unused:UNUSED_PAD src0_sel:WORD_1
	v_cvt_f32_f16_e32 v2, v3
	v_cvt_f32_f16_sdwa v3, v3 dst_sel:DWORD dst_unused:UNUSED_PAD src0_sel:WORD_1
	v_cvt_f32_f16_e32 v18, v4
	v_cvt_f32_f16_sdwa v19, v4 dst_sel:DWORD dst_unused:UNUSED_PAD src0_sel:WORD_1
	v_cvt_f32_f16_e32 v4, v5
	v_cvt_f32_f16_sdwa v5, v5 dst_sel:DWORD dst_unused:UNUSED_PAD src0_sel:WORD_1
	v_pk_add_f32 v[16:17], v[6:7], v[10:11]
	v_pk_add_f32 v[10:11], v[8:9], v[2:3]
	;; [unrolled: 1-line block ×4, first 2 shown]
	v_cvt_f16_f32_e32 v2, v17
	v_cvt_f16_f32_e32 v3, v11
	;; [unrolled: 1-line block ×8, first 2 shown]
	v_pack_b32_f16 v5, v8, v5
	v_pack_b32_f16 v4, v9, v4
	;; [unrolled: 1-line block ×4, first 2 shown]
	buffer_store_dwordx4 v[2:5], v20, s[24:27], 0 offen glc slc
	;;#ASMSTART
	s_nop 0
	;;#ASMEND
.LBB39_10:
	s_or_b64 exec, exec, s[2:3]
.LBB39_11:
	v_mul_f32_e32 v2, v17, v17
	v_fmac_f32_e32 v2, v16, v16
	v_fmac_f32_e32 v2, v10, v10
	;; [unrolled: 1-line block ×7, first 2 shown]
	v_and_b32_e32 v4, 63, v0
	v_cmp_eq_u32_e64 s[2:3], 63, v4
	v_mov_b32_dpp v3, v2 quad_perm:[1,0,3,2] row_mask:0xf bank_mask:0xf
	v_add_f32_e32 v2, v2, v3
	s_nop 1
	v_mov_b32_dpp v3, v2 quad_perm:[2,3,0,1] row_mask:0xf bank_mask:0xf
	v_add_f32_e32 v2, v2, v3
	s_nop 1
	v_mov_b32_dpp v3, v2 row_half_mirror row_mask:0xf bank_mask:0xf
	v_add_f32_e32 v2, v2, v3
	s_nop 1
	v_mov_b32_dpp v3, v2 row_mirror row_mask:0xf bank_mask:0xf
	v_add_f32_e32 v2, v2, v3
	s_nop 1
	v_mov_b32_dpp v3, v2 row_bcast:15 row_mask:0xf bank_mask:0xf
	v_add_f32_e32 v2, v2, v3
	s_nop 1
	v_mov_b32_dpp v3, v2 row_bcast:31 row_mask:0xf bank_mask:0xf
	s_and_saveexec_b64 s[24:25], s[2:3]
	s_cbranch_execz .LBB39_13
; %bb.12:
	v_add_f32_e32 v2, v2, v3
	v_lshrrev_b32_e32 v3, 4, v0
	v_and_b32_e32 v3, 60, v3
	ds_write_b32 v3, v2 offset:32
.LBB39_13:
	s_or_b64 exec, exec, s[24:25]
	v_and_b32_e32 v2, 3, v0
	v_lshlrev_b32_e32 v18, 2, v2
	s_waitcnt lgkmcnt(0)
	s_barrier
	ds_read_b32 v2, v18 offset:32
	s_load_dwordx2 s[34:35], s[4:5], 0x18
	s_waitcnt lgkmcnt(0)
	v_mov_b32_dpp v3, v2 quad_perm:[1,0,3,2] row_mask:0xf bank_mask:0xf
	v_add_f32_e32 v2, v2, v3
	s_nop 1
	v_mov_b32_dpp v3, v2 quad_perm:[2,3,0,1] row_mask:0xf bank_mask:0xf
	s_and_saveexec_b64 s[24:25], s[0:1]
	s_cbranch_execnz .LBB39_18
; %bb.14:
	s_or_b64 exec, exec, s[24:25]
	s_mov_b64 s[8:9], -1
	s_and_b64 vcc, exec, s[22:23]
	s_cbranch_vccnz .LBB39_19
.LBB39_15:
	s_andn2_b64 vcc, exec, s[8:9]
	s_cbranch_vccz .LBB39_22
.LBB39_16:
	s_cmp_lt_i32 s16, 1
	s_cbranch_scc0 .LBB39_31
.LBB39_17:
	s_endpgm
.LBB39_18:
	v_cvt_f32_u32_e32 v4, s7
	v_add_f32_e32 v2, v2, v3
	v_mov_b32_e32 v8, s13
	v_mov_b32_e32 v9, s12
	v_div_scale_f32 v3, s[36:37], v4, v4, v2
	v_rcp_f32_e32 v5, v3
	v_cndmask_b32_e64 v8, v8, v9, s[8:9]
	s_mov_b32 s7, 0x800000
	s_waitcnt vmcnt(0)
	v_cvt_f32_f16_sdwa v15, v26 dst_sel:DWORD dst_unused:UNUSED_PAD src0_sel:WORD_1
	v_fma_f32 v9, -v3, v5, 1.0
	v_fmac_f32_e32 v5, v9, v5
	v_div_scale_f32 v9, vcc, v2, v4, v2
	v_mul_f32_e32 v12, v9, v5
	v_fma_f32 v13, -v3, v12, v9
	v_fmac_f32_e32 v12, v13, v5
	v_fma_f32 v3, -v3, v12, v9
	v_div_fmas_f32 v3, v3, v5, v12
	v_div_fixup_f32 v2, v3, v4, v2
	v_add_f32_e32 v2, v8, v2
	v_mul_f32_e32 v3, 0x4b800000, v2
	v_cmp_gt_f32_e32 vcc, s7, v2
	v_cndmask_b32_e32 v2, v2, v3, vcc
	v_rsq_f32_e32 v2, v2
	v_cvt_f32_f16_sdwa v13, v25 dst_sel:DWORD dst_unused:UNUSED_PAD src0_sel:WORD_1
	v_cvt_f32_f16_e32 v12, v25
	v_cvt_f32_f16_e32 v14, v26
	v_mul_f32_e32 v3, 0x45800000, v2
	v_cndmask_b32_e32 v2, v2, v3, vcc
	v_mov_b32_e32 v3, v2
	;;#ASMSTART
	v_pk_mul_f32 v[4:5], v[16:17], v[2:3]
	;;#ASMEND
	;;#ASMSTART
	v_pk_mul_f32 v[8:9], v[10:11], v[2:3]
	;;#ASMEND
	;; [unrolled: 3-line block ×3, first 2 shown]
	v_cvt_f32_f16_sdwa v11, v24 dst_sel:DWORD dst_unused:UNUSED_PAD src0_sel:WORD_1
	v_cvt_f32_f16_e32 v10, v24
	;;#ASMSTART
	v_pk_mul_f32 v[2:3], v[32:33], v[2:3]
	;;#ASMEND
	v_cvt_f32_f16_sdwa v21, v27 dst_sel:DWORD dst_unused:UNUSED_PAD src0_sel:WORD_1
	v_cvt_f32_f16_e32 v20, v27
	;;#ASMSTART
	v_pk_mul_f32 v[16:17], v[4:5], v[10:11]
	;;#ASMEND
	;;#ASMSTART
	v_pk_mul_f32 v[10:11], v[8:9], v[12:13]
	;;#ASMEND
	;;#ASMSTART
	v_pk_mul_f32 v[6:7], v[6:7], v[14:15]
	;;#ASMEND
	;;#ASMSTART
	v_pk_mul_f32 v[32:33], v[2:3], v[20:21]
	;;#ASMEND
	s_or_b64 exec, exec, s[24:25]
	s_mov_b64 s[8:9], -1
	s_and_b64 vcc, exec, s[22:23]
	s_cbranch_vccz .LBB39_15
.LBB39_19:
	s_and_saveexec_b64 s[8:9], s[0:1]
	s_cbranch_execz .LBB39_21
; %bb.20:
	s_mul_hi_i32 s23, s28, s6
	s_mul_i32 s22, s28, s6
	v_cvt_f16_f32_e32 v2, v16
	v_cvt_f16_f32_e32 v3, v10
	;; [unrolled: 1-line block ×8, first 2 shown]
	s_lshl_b64 s[22:23], s[22:23], 1
	s_add_u32 s24, s34, s22
	s_addc_u32 s7, s35, s23
	s_and_b32 s25, s7, 0xffff
	s_mov_b32 s27, 0x20000
	v_pack_b32_f16 v5, v5, v8
	v_pack_b32_f16 v4, v4, v9
	;; [unrolled: 1-line block ×4, first 2 shown]
	v_lshlrev_b32_e32 v8, 4, v0
	buffer_store_dwordx4 v[2:5], v8, s[24:27], 0 offen
	;;#ASMSTART
	s_nop 0
	;;#ASMEND
.LBB39_21:
	s_or_b64 exec, exec, s[8:9]
	s_cbranch_execnz .LBB39_16
.LBB39_22:
	v_mov_b32_e32 v2, 0
	s_and_saveexec_b64 s[8:9], s[0:1]
	s_cbranch_execz .LBB39_24
; %bb.23:
	v_and_b32_e32 v2, 0x7fffffff, v16
	v_and_b32_e32 v3, 0x7fffffff, v17
	v_mov_b32_e32 v4, 0x2edbe6ff
	;;#ASMSTART
	v_max3_f32 v2, v4, v2, v3

	;;#ASMEND
	v_and_b32_e32 v3, 0x7fffffff, v10
	v_and_b32_e32 v4, 0x7fffffff, v11
	;;#ASMSTART
	v_max3_f32 v2, v2, v3, v4

	;;#ASMEND
	v_and_b32_e32 v3, 0x7fffffff, v6
	v_and_b32_e32 v4, 0x7fffffff, v7
	;; [unrolled: 6-line block ×3, first 2 shown]
	;;#ASMSTART
	v_max3_f32 v2, v2, v3, v4

	;;#ASMEND
.LBB39_24:
	s_or_b64 exec, exec, s[8:9]
	s_nop 0
	v_mov_b32_dpp v3, v2 quad_perm:[1,0,3,2] row_mask:0xf bank_mask:0xf
	v_cmp_gt_f32_e32 vcc, v2, v3
	v_cndmask_b32_e32 v2, v3, v2, vcc
	s_nop 1
	v_mov_b32_dpp v3, v2 quad_perm:[2,3,0,1] row_mask:0xf bank_mask:0xf
	v_cmp_gt_f32_e32 vcc, v2, v3
	v_cndmask_b32_e32 v2, v3, v2, vcc
	s_nop 1
	v_mov_b32_dpp v3, v2 row_half_mirror row_mask:0xf bank_mask:0xf
	v_cmp_gt_f32_e32 vcc, v2, v3
	v_cndmask_b32_e32 v2, v3, v2, vcc
	s_nop 1
	v_mov_b32_dpp v3, v2 row_mirror row_mask:0xf bank_mask:0xf
	v_cmp_gt_f32_e32 vcc, v2, v3
	v_cndmask_b32_e32 v2, v3, v2, vcc
	s_nop 1
	v_mov_b32_dpp v3, v2 row_bcast:15 row_mask:0xf bank_mask:0xf
	v_cmp_gt_f32_e32 vcc, v2, v3
	v_cndmask_b32_e32 v2, v3, v2, vcc
	s_nop 1
	v_mov_b32_dpp v3, v2 row_bcast:31 row_mask:0xf bank_mask:0xf
	s_and_saveexec_b64 s[8:9], s[2:3]
	s_cbranch_execz .LBB39_26
; %bb.25:
	v_cmp_gt_f32_e32 vcc, v2, v3
	v_cndmask_b32_e32 v2, v3, v2, vcc
	v_lshrrev_b32_e32 v3, 4, v0
	v_and_b32_e32 v3, 60, v3
	ds_write_b32 v3, v2
.LBB39_26:
	s_or_b64 exec, exec, s[8:9]
	s_waitcnt lgkmcnt(0)
	s_barrier
	ds_read_b32 v2, v18
	s_waitcnt lgkmcnt(0)
	s_nop 0
	v_mov_b32_dpp v3, v2 quad_perm:[1,0,3,2] row_mask:0xf bank_mask:0xf
	v_cmp_gt_f32_e32 vcc, v2, v3
	v_cndmask_b32_e32 v2, v3, v2, vcc
	s_nop 1
	v_mov_b32_dpp v3, v2 quad_perm:[2,3,0,1] row_mask:0xf bank_mask:0xf
	v_cmp_gt_f32_e32 vcc, v2, v3
	v_cndmask_b32_e32 v2, v3, v2, vcc
	v_mul_f32_e32 v2, 0x3b124925, v2
	v_cmp_eq_u32_e32 vcc, 0, v0
	s_and_saveexec_b64 s[8:9], vcc
	s_cbranch_execz .LBB39_28
; %bb.27:
	s_load_dwordx2 s[22:23], s[4:5], 0x8
	s_mul_hi_i32 s25, s11, s6
	s_mul_i32 s24, s11, s6
	s_lshl_b64 s[24:25], s[24:25], 2
	v_mov_b32_e32 v3, 0
	s_waitcnt lgkmcnt(0)
	s_add_u32 s22, s22, s24
	s_addc_u32 s23, s23, s25
	global_store_dword v3, v2, s[22:23]
.LBB39_28:
	s_or_b64 exec, exec, s[8:9]
	;;#ASMSTART
	v_rcp_f32 v2, v2
	;;#ASMEND
	s_and_saveexec_b64 s[22:23], s[0:1]
	s_cbranch_execz .LBB39_30
; %bb.29:
	s_load_dwordx2 s[0:1], s[4:5], 0x0
	s_mul_i32 s8, s10, s6
	v_mov_b32_e32 v3, v2
	;;#ASMSTART
	v_pk_mul_f32 v[4:5], v[16:17], v[2:3]
	;;#ASMEND
	s_mul_hi_i32 s7, s10, s6
	s_waitcnt lgkmcnt(0)
	s_add_u32 s8, s0, s8
	v_mov_b32_e32 v8, 0xc3e00000
	v_mov_b32_e32 v9, 0x43e00000
	;;#ASMSTART
	v_med3_f32 v4, v4, v8, v9
v_med3_f32 v5, v5, v8, v9
v_cvt_pk_fp8_f32 v12, v4, v5
	;;#ASMEND
	s_addc_u32 s0, s1, s7
	;;#ASMSTART
	v_pk_mul_f32 v[4:5], v[10:11], v[2:3]
	;;#ASMEND
	s_and_b32 s9, s0, 0xffff
	;;#ASMSTART
	v_med3_f32 v4, v4, v8, v9
v_med3_f32 v5, v5, v8, v9
v_cvt_pk_fp8_f32 v10, v4, v5
	;;#ASMEND
	s_mov_b32 s0, 0x5040100
	v_perm_b32 v5, v10, v12, s0
	s_movk_i32 s0, 0xff
	v_and_b32_e32 v4, 0xffffff00, v10
	v_and_b32_sdwa v10, v5, s0 dst_sel:DWORD dst_unused:UNUSED_PAD src0_sel:WORD_1 src1_sel:DWORD
	s_mov_b32 s12, 0xffff
	v_or_b32_sdwa v4, v10, v4 dst_sel:WORD_1 dst_unused:UNUSED_PAD src0_sel:DWORD src1_sel:DWORD
	s_add_i32 s1, s15, 3
	v_and_or_b32 v4, v5, s12, v4
	;;#ASMSTART
	v_pk_mul_f32 v[6:7], v[6:7], v[2:3]
	;;#ASMEND
	v_mov_b32_e32 v5, v6
	s_ashr_i32 s7, s1, 31
	;;#ASMSTART
	v_med3_f32 v5, v5, v8, v9
v_med3_f32 v7, v7, v8, v9
v_cvt_pk_fp8_f32 v6, v5, v7
	;;#ASMEND
	;;#ASMSTART
	v_pk_mul_f32 v[2:3], v[32:33], v[2:3]
	;;#ASMEND
	s_lshr_b32 s7, s7, 30
	;;#ASMSTART
	v_med3_f32 v2, v2, v8, v9
v_med3_f32 v3, v3, v8, v9
v_cvt_pk_fp8_f32 v5, v2, v3
	;;#ASMEND
	s_add_i32 s1, s1, s7
	v_lshlrev_b32_e32 v2, 16, v5
	s_and_b32 s10, s1, -4
	s_mov_b32 s11, 0x20000
	v_and_or_b32 v5, v6, s12, v2
	buffer_store_dwordx2 v[4:5], v1, s[8:11], 0 offen
	;;#ASMSTART
	s_nop 0
	;;#ASMEND
.LBB39_30:
	s_or_b64 exec, exec, s[22:23]
	s_cmp_lt_i32 s16, 1
	s_cbranch_scc1 .LBB39_17
.LBB39_31:
	s_load_dword s0, s[4:5], 0x94
	s_waitcnt lgkmcnt(0)
	s_cmp_lg_u32 s0, 1
	s_cbranch_scc1 .LBB39_17
; %bb.32:
	s_lshl_b32 s0, s16, 1
	s_add_i32 s0, s0, 2
	v_cmp_gt_u32_e32 vcc, s16, v1
	s_and_b32 s22, s0, -4
	v_mov_b32_e32 v10, 0
	v_lshlrev_b32_e32 v1, 4, v0
	v_mov_b32_e32 v6, 0
	v_mov_b32_e32 v7, 0
	;; [unrolled: 1-line block ×8, first 2 shown]
	s_barrier
	s_and_saveexec_b64 s[0:1], vcc
	s_cbranch_execz .LBB39_34
; %bb.33:
	s_mul_hi_i32 s5, s18, s6
	s_mul_i32 s4, s18, s6
	s_and_b32 s21, s21, 0xffff
	s_lshl_b64 s[4:5], s[4:5], 1
	s_add_u32 s8, s30, s4
	s_mov_b32 s23, 0x20000
	s_addc_u32 s4, s31, s5
	s_and_b32 s9, s4, 0xffff
	s_mov_b32 s10, s22
	s_mov_b32 s11, s23
	buffer_load_dwordx4 v[6:9], v1, s[8:11], 0 offen glc slc
	buffer_load_dwordx4 v[2:5], v1, s[20:23], 0 offen
.LBB39_34:
	s_or_b64 exec, exec, s[0:1]
	v_mov_b32_e32 v11, 0
	v_mov_b32_e32 v16, 0
	v_mov_b32_e32 v17, 0
	v_mov_b32_e32 v14, 0
	v_mov_b32_e32 v15, 0
	v_mov_b32_e32 v12, 0
	v_mov_b32_e32 v13, 0
	s_and_saveexec_b64 s[0:1], vcc
	s_cbranch_execz .LBB39_36
; %bb.35:
	s_waitcnt vmcnt(1)
	v_cvt_f32_f16_sdwa v11, v6 dst_sel:DWORD dst_unused:UNUSED_PAD src0_sel:WORD_1
	v_cvt_f32_f16_e32 v10, v6
	v_cvt_f32_f16_sdwa v17, v7 dst_sel:DWORD dst_unused:UNUSED_PAD src0_sel:WORD_1
	v_cvt_f32_f16_e32 v16, v7
	;; [unrolled: 2-line block ×4, first 2 shown]
.LBB39_36:
	s_or_b64 exec, exec, s[0:1]
	s_waitcnt vmcnt(1)
	v_mul_f32_e32 v6, v11, v11
	v_fmac_f32_e32 v6, v10, v10
	v_fmac_f32_e32 v6, v16, v16
	;; [unrolled: 1-line block ×7, first 2 shown]
	s_nop 1
	v_mov_b32_dpp v7, v6 quad_perm:[1,0,3,2] row_mask:0xf bank_mask:0xf
	v_add_f32_e32 v6, v6, v7
	s_nop 1
	v_mov_b32_dpp v7, v6 quad_perm:[2,3,0,1] row_mask:0xf bank_mask:0xf
	v_add_f32_e32 v6, v6, v7
	s_nop 1
	v_mov_b32_dpp v7, v6 row_half_mirror row_mask:0xf bank_mask:0xf
	v_add_f32_e32 v6, v6, v7
	s_nop 1
	v_mov_b32_dpp v7, v6 row_mirror row_mask:0xf bank_mask:0xf
	v_add_f32_e32 v6, v6, v7
	s_nop 1
	v_mov_b32_dpp v7, v6 row_bcast:15 row_mask:0xf bank_mask:0xf
	v_add_f32_e32 v6, v6, v7
	s_nop 1
	v_mov_b32_dpp v7, v6 row_bcast:31 row_mask:0xf bank_mask:0xf
	s_and_saveexec_b64 s[0:1], s[2:3]
	s_cbranch_execz .LBB39_38
; %bb.37:
	v_lshrrev_b32_e32 v0, 4, v0
	v_add_f32_e32 v6, v6, v7
	v_and_b32_e32 v0, 60, v0
	ds_write_b32 v0, v6 offset:16
.LBB39_38:
	s_or_b64 exec, exec, s[0:1]
	s_waitcnt lgkmcnt(0)
	s_barrier
	ds_read_b32 v0, v18 offset:16
	s_waitcnt lgkmcnt(0)
	s_nop 0
	v_mov_b32_dpp v6, v0 quad_perm:[1,0,3,2] row_mask:0xf bank_mask:0xf
	v_add_f32_e32 v0, v0, v6
	s_nop 1
	v_mov_b32_dpp v6, v0 quad_perm:[2,3,0,1] row_mask:0xf bank_mask:0xf
	s_and_saveexec_b64 s[0:1], vcc
	s_cbranch_execz .LBB39_17
; %bb.39:
	v_cvt_f32_u32_e32 v7, s16
	v_add_f32_e32 v0, v0, v6
	s_mov_b32 s23, 0x20000
	v_div_scale_f32 v6, s[0:1], v7, v7, v0
	v_rcp_f32_e32 v8, v6
	v_div_scale_f32 v9, vcc, v0, v7, v0
	s_mov_b32 s0, 0x800000
	v_fma_f32 v18, -v6, v8, 1.0
	v_fmac_f32_e32 v8, v18, v8
	v_mul_f32_e32 v18, v9, v8
	v_fma_f32 v19, -v6, v18, v9
	v_fmac_f32_e32 v18, v19, v8
	v_fma_f32 v6, -v6, v18, v9
	v_div_fmas_f32 v6, v6, v8, v18
	v_div_fixup_f32 v0, v6, v7, v0
	v_add_f32_e32 v0, s13, v0
	v_mul_f32_e32 v6, 0x4b800000, v0
	v_cmp_gt_f32_e32 vcc, s0, v0
	v_cndmask_b32_e32 v0, v0, v6, vcc
	v_rsq_f32_e32 v0, v0
	s_waitcnt vmcnt(0)
	v_cvt_f32_f16_sdwa v19, v5 dst_sel:DWORD dst_unused:UNUSED_PAD src0_sel:WORD_1
	v_cvt_f32_f16_e32 v18, v5
	s_mul_hi_i32 s1, s28, s6
	v_mul_f32_e32 v6, 0x45800000, v0
	v_cndmask_b32_e32 v6, v0, v6, vcc
	v_mov_b32_e32 v7, v6
	;;#ASMSTART
	v_pk_mul_f32 v[8:9], v[10:11], v[6:7]
	;;#ASMEND
	;;#ASMSTART
	v_pk_mul_f32 v[10:11], v[16:17], v[6:7]
	;;#ASMEND
	;; [unrolled: 3-line block ×4, first 2 shown]
	v_cvt_f32_f16_sdwa v13, v2 dst_sel:DWORD dst_unused:UNUSED_PAD src0_sel:WORD_1
	v_cvt_f32_f16_e32 v12, v2
	v_cvt_f32_f16_sdwa v17, v3 dst_sel:DWORD dst_unused:UNUSED_PAD src0_sel:WORD_1
	v_cvt_f32_f16_e32 v16, v3
	;; [unrolled: 2-line block ×3, first 2 shown]
	;;#ASMSTART
	v_pk_mul_f32 v[4:5], v[8:9], v[12:13]
	;;#ASMEND
	;;#ASMSTART
	v_pk_mul_f32 v[8:9], v[10:11], v[16:17]
	;;#ASMEND
	;; [unrolled: 3-line block ×4, first 2 shown]
	s_mul_i32 s0, s28, s6
	v_cvt_f16_f32_e32 v0, v4
	v_cvt_f16_f32_e32 v4, v5
	;; [unrolled: 1-line block ×8, first 2 shown]
	s_lshl_b64 s[0:1], s[0:1], 1
	s_add_u32 s20, s34, s0
	s_addc_u32 s0, s35, s1
	s_and_b32 s21, s0, 0xffff
	v_pack_b32_f16 v2, v0, v4
	v_pack_b32_f16 v3, v5, v8
	;; [unrolled: 1-line block ×4, first 2 shown]
	buffer_store_dwordx4 v[2:5], v1, s[20:23], 0 offen
	;;#ASMSTART
	s_nop 0
	;;#ASMEND
	s_endpgm
	.section	.rodata,"a",@progbits
	.p2align	6, 0x0
	.amdhsa_kernel _ZN5aiter35fused_qk_rmsnorm_group_quant_kernelIDF16_DB8_Li256ELi8ELi1ELb1ELb0ELb0ELb0ELb1ELb1EEEvPT0_PvPT_S6_S6_PKS5_S8_S8_S8_S8_ffiiiiiiiiiiiii
		.amdhsa_group_segment_fixed_size 48
		.amdhsa_private_segment_fixed_size 0
		.amdhsa_kernarg_size 400
		.amdhsa_user_sgpr_count 6
		.amdhsa_user_sgpr_private_segment_buffer 1
		.amdhsa_user_sgpr_dispatch_ptr 0
		.amdhsa_user_sgpr_queue_ptr 0
		.amdhsa_user_sgpr_kernarg_segment_ptr 1
		.amdhsa_user_sgpr_dispatch_id 0
		.amdhsa_user_sgpr_flat_scratch_init 0
		.amdhsa_user_sgpr_kernarg_preload_length 0
		.amdhsa_user_sgpr_kernarg_preload_offset 0
		.amdhsa_user_sgpr_private_segment_size 0
		.amdhsa_uses_dynamic_stack 0
		.amdhsa_system_sgpr_private_segment_wavefront_offset 0
		.amdhsa_system_sgpr_workgroup_id_x 1
		.amdhsa_system_sgpr_workgroup_id_y 1
		.amdhsa_system_sgpr_workgroup_id_z 0
		.amdhsa_system_sgpr_workgroup_info 0
		.amdhsa_system_vgpr_workitem_id 0
		.amdhsa_next_free_vgpr 34
		.amdhsa_next_free_sgpr 40
		.amdhsa_accum_offset 36
		.amdhsa_reserve_vcc 1
		.amdhsa_reserve_flat_scratch 0
		.amdhsa_float_round_mode_32 0
		.amdhsa_float_round_mode_16_64 0
		.amdhsa_float_denorm_mode_32 3
		.amdhsa_float_denorm_mode_16_64 3
		.amdhsa_dx10_clamp 1
		.amdhsa_ieee_mode 1
		.amdhsa_fp16_overflow 0
		.amdhsa_tg_split 0
		.amdhsa_exception_fp_ieee_invalid_op 0
		.amdhsa_exception_fp_denorm_src 0
		.amdhsa_exception_fp_ieee_div_zero 0
		.amdhsa_exception_fp_ieee_overflow 0
		.amdhsa_exception_fp_ieee_underflow 0
		.amdhsa_exception_fp_ieee_inexact 0
		.amdhsa_exception_int_div_zero 0
	.end_amdhsa_kernel
	.section	.text._ZN5aiter35fused_qk_rmsnorm_group_quant_kernelIDF16_DB8_Li256ELi8ELi1ELb1ELb0ELb0ELb0ELb1ELb1EEEvPT0_PvPT_S6_S6_PKS5_S8_S8_S8_S8_ffiiiiiiiiiiiii,"axG",@progbits,_ZN5aiter35fused_qk_rmsnorm_group_quant_kernelIDF16_DB8_Li256ELi8ELi1ELb1ELb0ELb0ELb0ELb1ELb1EEEvPT0_PvPT_S6_S6_PKS5_S8_S8_S8_S8_ffiiiiiiiiiiiii,comdat
.Lfunc_end39:
	.size	_ZN5aiter35fused_qk_rmsnorm_group_quant_kernelIDF16_DB8_Li256ELi8ELi1ELb1ELb0ELb0ELb0ELb1ELb1EEEvPT0_PvPT_S6_S6_PKS5_S8_S8_S8_S8_ffiiiiiiiiiiiii, .Lfunc_end39-_ZN5aiter35fused_qk_rmsnorm_group_quant_kernelIDF16_DB8_Li256ELi8ELi1ELb1ELb0ELb0ELb0ELb1ELb1EEEvPT0_PvPT_S6_S6_PKS5_S8_S8_S8_S8_ffiiiiiiiiiiiii
                                        ; -- End function
	.section	.AMDGPU.csdata,"",@progbits
; Kernel info:
; codeLenInByte = 2984
; NumSgprs: 44
; NumVgprs: 34
; NumAgprs: 0
; TotalNumVgprs: 34
; ScratchSize: 0
; MemoryBound: 0
; FloatMode: 240
; IeeeMode: 1
; LDSByteSize: 48 bytes/workgroup (compile time only)
; SGPRBlocks: 5
; VGPRBlocks: 4
; NumSGPRsForWavesPerEU: 44
; NumVGPRsForWavesPerEU: 34
; AccumOffset: 36
; Occupancy: 8
; WaveLimiterHint : 0
; COMPUTE_PGM_RSRC2:SCRATCH_EN: 0
; COMPUTE_PGM_RSRC2:USER_SGPR: 6
; COMPUTE_PGM_RSRC2:TRAP_HANDLER: 0
; COMPUTE_PGM_RSRC2:TGID_X_EN: 1
; COMPUTE_PGM_RSRC2:TGID_Y_EN: 1
; COMPUTE_PGM_RSRC2:TGID_Z_EN: 0
; COMPUTE_PGM_RSRC2:TIDIG_COMP_CNT: 0
; COMPUTE_PGM_RSRC3_GFX90A:ACCUM_OFFSET: 8
; COMPUTE_PGM_RSRC3_GFX90A:TG_SPLIT: 0
	.section	.text._ZN5aiter35fused_qk_rmsnorm_group_quant_kernelItDB8_Li256ELi8ELi1ELb1ELb0ELb0ELb0ELb1ELb1EEEvPT0_PvPT_S6_S6_PKS5_S8_S8_S8_S8_ffiiiiiiiiiiiii,"axG",@progbits,_ZN5aiter35fused_qk_rmsnorm_group_quant_kernelItDB8_Li256ELi8ELi1ELb1ELb0ELb0ELb0ELb1ELb1EEEvPT0_PvPT_S6_S6_PKS5_S8_S8_S8_S8_ffiiiiiiiiiiiii,comdat
	.protected	_ZN5aiter35fused_qk_rmsnorm_group_quant_kernelItDB8_Li256ELi8ELi1ELb1ELb0ELb0ELb0ELb1ELb1EEEvPT0_PvPT_S6_S6_PKS5_S8_S8_S8_S8_ffiiiiiiiiiiiii ; -- Begin function _ZN5aiter35fused_qk_rmsnorm_group_quant_kernelItDB8_Li256ELi8ELi1ELb1ELb0ELb0ELb0ELb1ELb1EEEvPT0_PvPT_S6_S6_PKS5_S8_S8_S8_S8_ffiiiiiiiiiiiii
	.globl	_ZN5aiter35fused_qk_rmsnorm_group_quant_kernelItDB8_Li256ELi8ELi1ELb1ELb0ELb0ELb0ELb1ELb1EEEvPT0_PvPT_S6_S6_PKS5_S8_S8_S8_S8_ffiiiiiiiiiiiii
	.p2align	8
	.type	_ZN5aiter35fused_qk_rmsnorm_group_quant_kernelItDB8_Li256ELi8ELi1ELb1ELb0ELb0ELb0ELb1ELb1EEEvPT0_PvPT_S6_S6_PKS5_S8_S8_S8_S8_ffiiiiiiiiiiiii,@function
_ZN5aiter35fused_qk_rmsnorm_group_quant_kernelItDB8_Li256ELi8ELi1ELb1ELb0ELb0ELb0ELb1ELb1EEEvPT0_PvPT_S6_S6_PKS5_S8_S8_S8_S8_ffiiiiiiiiiiiii: ; @_ZN5aiter35fused_qk_rmsnorm_group_quant_kernelItDB8_Li256ELi8ELi1ELb1ELb0ELb0ELb0ELb1ELb1EEEvPT0_PvPT_S6_S6_PKS5_S8_S8_S8_S8_ffiiiiiiiiiiiii
; %bb.0:
	s_load_dwordx8 s[12:19], s[4:5], 0x50
	s_waitcnt lgkmcnt(0)
	s_cmp_ge_i32 s6, s14
	s_cbranch_scc1 .LBB40_17
; %bb.1:
	s_cmp_lg_u32 s7, 0
	s_cselect_b64 s[22:23], -1, 0
	s_cmp_eq_u32 s7, 0
	s_cselect_b64 s[8:9], -1, 0
	s_and_b64 s[0:1], s[8:9], exec
	s_load_dwordx2 s[10:11], s[4:5], 0x70
	s_load_dwordx2 s[20:21], s[4:5], 0x48
	;; [unrolled: 1-line block ×3, first 2 shown]
	s_cselect_b32 s7, s15, s16
	s_add_i32 s0, s7, 1
	s_lshr_b32 s1, s0, 31
	s_add_i32 s0, s0, s1
	s_lshl_b32 s0, s0, 1
	v_lshlrev_b32_e32 v1, 3, v0
	s_and_b32 s26, s0, -4
	v_cmp_gt_i32_e64 s[0:1], s7, v1
	v_mov_b32_e32 v10, 0
	v_mov_b32_e32 v11, 0
	;; [unrolled: 1-line block ×8, first 2 shown]
	s_and_saveexec_b64 s[2:3], s[0:1]
	s_cbranch_execz .LBB40_3
; %bb.2:
	s_load_dwordx2 s[24:25], s[4:5], 0x28
	s_load_dwordx2 s[28:29], s[4:5], 0x40
	s_and_b64 s[34:35], s[8:9], exec
	s_cselect_b32 s14, s17, s18
	v_lshlrev_b32_e32 v2, 4, v0
	s_waitcnt lgkmcnt(0)
	s_cselect_b32 s17, s25, s31
	s_cselect_b32 s27, s24, s30
	s_mul_hi_i32 s25, s14, s6
	s_mul_i32 s24, s14, s6
	s_lshl_b64 s[24:25], s[24:25], 1
	s_add_u32 s36, s27, s24
	s_addc_u32 s14, s17, s25
	s_and_b64 s[24:25], s[8:9], exec
	s_mov_b32 s27, 0x20000
	s_cselect_b32 s24, s28, s20
	s_cselect_b32 s17, s29, s21
	s_and_b32 s37, s14, 0xffff
	s_mov_b32 s38, s26
	s_mov_b32 s39, s27
	s_and_b32 s25, s17, 0xffff
	buffer_load_dwordx4 v[14:17], v2, s[36:39], 0 offen glc slc
	buffer_load_dwordx4 v[10:13], v2, s[24:27], 0 offen
.LBB40_3:
	s_or_b64 exec, exec, s[2:3]
	s_load_dwordx2 s[28:29], s[4:5], 0x80
	s_and_b64 vcc, exec, s[22:23]
	s_cbranch_vccz .LBB40_7
; %bb.4:
	s_mov_b32 s36, 0
	s_mov_b32 s37, s36
	;; [unrolled: 1-line block ×8, first 2 shown]
	v_pk_mov_b32 v[2:3], s[36:37], s[36:37] op_sel:[0,1]
	v_pk_mov_b32 v[4:5], s[38:39], s[38:39] op_sel:[0,1]
	;; [unrolled: 1-line block ×4, first 2 shown]
	s_and_saveexec_b64 s[2:3], s[0:1]
	s_cbranch_execz .LBB40_6
; %bb.5:
	s_waitcnt vmcnt(1)
	v_cvt_f32_u32_sdwa v3, v14 dst_sel:DWORD dst_unused:UNUSED_PAD src0_sel:WORD_1
	v_cvt_f32_u32_sdwa v2, v14 dst_sel:DWORD dst_unused:UNUSED_PAD src0_sel:WORD_0
	v_cvt_f32_u32_sdwa v5, v15 dst_sel:DWORD dst_unused:UNUSED_PAD src0_sel:WORD_1
	v_cvt_f32_u32_sdwa v4, v15 dst_sel:DWORD dst_unused:UNUSED_PAD src0_sel:WORD_0
	;; [unrolled: 2-line block ×4, first 2 shown]
.LBB40_6:
	s_or_b64 exec, exec, s[2:3]
	s_cbranch_execz .LBB40_8
	s_branch .LBB40_11
.LBB40_7:
                                        ; implicit-def: $vgpr2_vgpr3_vgpr4_vgpr5_vgpr6_vgpr7_vgpr8_vgpr9
.LBB40_8:
	s_mov_b32 s36, 0
	s_mov_b32 s37, s36
	;; [unrolled: 1-line block ×8, first 2 shown]
	v_pk_mov_b32 v[2:3], s[36:37], s[36:37] op_sel:[0,1]
	v_pk_mov_b32 v[4:5], s[38:39], s[38:39] op_sel:[0,1]
	;; [unrolled: 1-line block ×4, first 2 shown]
	s_and_saveexec_b64 s[2:3], s[0:1]
	s_cbranch_execz .LBB40_10
; %bb.9:
	s_load_dwordx2 s[24:25], s[4:5], 0x38
	s_mul_hi_i32 s35, s19, s6
	s_mul_i32 s34, s19, s6
	s_lshl_b64 s[34:35], s[34:35], 1
	s_mov_b32 s27, 0x20000
	s_waitcnt lgkmcnt(0)
	s_add_u32 s24, s24, s34
	s_addc_u32 s14, s25, s35
	s_and_b32 s25, s14, 0xffff
	v_lshlrev_b32_e32 v26, 4, v0
	buffer_load_dwordx4 v[2:5], v26, s[24:27], 0 offen glc slc
	s_load_dwordx2 s[24:25], s[4:5], 0x20
	s_waitcnt vmcnt(2)
	v_cvt_f32_u32_sdwa v7, v14 dst_sel:DWORD dst_unused:UNUSED_PAD src0_sel:WORD_1
	v_cvt_f32_u32_sdwa v6, v14 dst_sel:DWORD dst_unused:UNUSED_PAD src0_sel:WORD_0
	v_cvt_f32_u32_sdwa v9, v15 dst_sel:DWORD dst_unused:UNUSED_PAD src0_sel:WORD_1
	v_cvt_f32_u32_sdwa v8, v15 dst_sel:DWORD dst_unused:UNUSED_PAD src0_sel:WORD_0
	;; [unrolled: 2-line block ×4, first 2 shown]
	s_mul_hi_i32 s35, s29, s6
	s_mul_i32 s34, s29, s6
	s_lshl_b64 s[34:35], s[34:35], 1
	s_waitcnt lgkmcnt(0)
	s_add_u32 s24, s24, s34
	s_mov_b32 s14, 0x7060302
	s_addc_u32 s17, s25, s35
	s_and_b32 s25, s17, 0xffff
	s_waitcnt vmcnt(0)
	v_cvt_f32_u32_sdwa v17, v2 dst_sel:DWORD dst_unused:UNUSED_PAD src0_sel:WORD_1
	v_cvt_f32_u32_sdwa v16, v2 dst_sel:DWORD dst_unused:UNUSED_PAD src0_sel:WORD_0
	v_cvt_f32_u32_sdwa v21, v3 dst_sel:DWORD dst_unused:UNUSED_PAD src0_sel:WORD_1
	v_cvt_f32_u32_sdwa v20, v3 dst_sel:DWORD dst_unused:UNUSED_PAD src0_sel:WORD_0
	;; [unrolled: 2-line block ×4, first 2 shown]
	v_pk_add_f32 v[2:3], v[6:7], v[16:17]
	v_pk_add_f32 v[4:5], v[8:9], v[20:21]
	;; [unrolled: 1-line block ×4, first 2 shown]
	v_perm_b32 v17, v9, v8, s14
	v_perm_b32 v16, v7, v6, s14
	;; [unrolled: 1-line block ×4, first 2 shown]
	buffer_store_dwordx4 v[14:17], v26, s[24:27], 0 offen glc slc
	;;#ASMSTART
	s_nop 0
	;;#ASMEND
.LBB40_10:
	s_or_b64 exec, exec, s[2:3]
.LBB40_11:
	s_waitcnt vmcnt(1)
	v_mul_f32_e32 v14, v3, v3
	v_fmac_f32_e32 v14, v2, v2
	v_fmac_f32_e32 v14, v4, v4
	;; [unrolled: 1-line block ×7, first 2 shown]
	v_and_b32_e32 v16, 63, v0
	v_cmp_eq_u32_e64 s[2:3], 63, v16
	v_mov_b32_dpp v15, v14 quad_perm:[1,0,3,2] row_mask:0xf bank_mask:0xf
	v_add_f32_e32 v14, v14, v15
	s_nop 1
	v_mov_b32_dpp v15, v14 quad_perm:[2,3,0,1] row_mask:0xf bank_mask:0xf
	v_add_f32_e32 v14, v14, v15
	s_nop 1
	v_mov_b32_dpp v15, v14 row_half_mirror row_mask:0xf bank_mask:0xf
	v_add_f32_e32 v14, v14, v15
	s_nop 1
	v_mov_b32_dpp v15, v14 row_mirror row_mask:0xf bank_mask:0xf
	v_add_f32_e32 v14, v14, v15
	s_nop 1
	v_mov_b32_dpp v15, v14 row_bcast:15 row_mask:0xf bank_mask:0xf
	v_add_f32_e32 v14, v14, v15
	s_nop 1
	v_mov_b32_dpp v15, v14 row_bcast:31 row_mask:0xf bank_mask:0xf
	s_and_saveexec_b64 s[24:25], s[2:3]
	s_cbranch_execz .LBB40_13
; %bb.12:
	v_add_f32_e32 v14, v14, v15
	v_lshrrev_b32_e32 v15, 4, v0
	v_and_b32_e32 v15, 60, v15
	ds_write_b32 v15, v14 offset:32
.LBB40_13:
	s_or_b64 exec, exec, s[24:25]
	v_and_b32_e32 v14, 3, v0
	v_lshlrev_b32_e32 v14, 2, v14
	s_waitcnt lgkmcnt(0)
	s_barrier
	ds_read_b32 v15, v14 offset:32
	s_load_dwordx2 s[34:35], s[4:5], 0x18
	s_waitcnt lgkmcnt(0)
	v_mov_b32_dpp v16, v15 quad_perm:[1,0,3,2] row_mask:0xf bank_mask:0xf
	v_add_f32_e32 v15, v15, v16
	s_nop 1
	v_mov_b32_dpp v16, v15 quad_perm:[2,3,0,1] row_mask:0xf bank_mask:0xf
	s_and_saveexec_b64 s[24:25], s[0:1]
	s_cbranch_execnz .LBB40_18
; %bb.14:
	s_or_b64 exec, exec, s[24:25]
	s_mov_b64 s[8:9], -1
	s_and_b64 vcc, exec, s[22:23]
	s_cbranch_vccnz .LBB40_19
.LBB40_15:
	s_andn2_b64 vcc, exec, s[8:9]
	s_cbranch_vccz .LBB40_22
.LBB40_16:
	s_cmp_lt_i32 s16, 1
	s_cbranch_scc0 .LBB40_31
.LBB40_17:
	s_endpgm
.LBB40_18:
	v_cvt_f32_u32_e32 v17, s7
	v_add_f32_e32 v15, v15, v16
	v_mov_b32_e32 v19, s13
	v_mov_b32_e32 v20, s12
	v_div_scale_f32 v16, s[36:37], v17, v17, v15
	v_rcp_f32_e32 v18, v16
	v_cndmask_b32_e64 v19, v19, v20, s[8:9]
	s_mov_b32 s7, 0x800000
	v_fma_f32 v20, -v16, v18, 1.0
	v_fmac_f32_e32 v18, v20, v18
	v_div_scale_f32 v20, vcc, v15, v17, v15
	v_mul_f32_e32 v21, v20, v18
	v_fma_f32 v22, -v16, v21, v20
	v_fmac_f32_e32 v21, v22, v18
	v_fma_f32 v16, -v16, v21, v20
	v_div_fmas_f32 v16, v16, v18, v21
	v_div_fixup_f32 v15, v16, v17, v15
	v_add_f32_e32 v15, v19, v15
	v_mul_f32_e32 v16, 0x4b800000, v15
	v_cmp_gt_f32_e32 vcc, s7, v15
	v_cndmask_b32_e32 v15, v15, v16, vcc
	v_rsq_f32_e32 v15, v15
	s_waitcnt vmcnt(0)
	v_cvt_f32_u32_sdwa v19, v11 dst_sel:DWORD dst_unused:UNUSED_PAD src0_sel:WORD_1
	v_cvt_f32_u32_sdwa v18, v11 dst_sel:DWORD dst_unused:UNUSED_PAD src0_sel:WORD_0
	v_cvt_f32_u32_sdwa v11, v12 dst_sel:DWORD dst_unused:UNUSED_PAD src0_sel:WORD_1
	v_mul_f32_e32 v16, 0x45800000, v15
	v_cndmask_b32_e32 v16, v15, v16, vcc
	v_mov_b32_e32 v17, v16
	;;#ASMSTART
	v_pk_mul_f32 v[2:3], v[2:3], v[16:17]
	;;#ASMEND
	;;#ASMSTART
	v_pk_mul_f32 v[4:5], v[4:5], v[16:17]
	;;#ASMEND
	;; [unrolled: 3-line block ×4, first 2 shown]
	v_cvt_f32_u32_sdwa v17, v10 dst_sel:DWORD dst_unused:UNUSED_PAD src0_sel:WORD_1
	v_cvt_f32_u32_sdwa v16, v10 dst_sel:DWORD dst_unused:UNUSED_PAD src0_sel:WORD_0
	v_cvt_f32_u32_sdwa v10, v12 dst_sel:DWORD dst_unused:UNUSED_PAD src0_sel:WORD_0
	v_cvt_f32_u32_sdwa v21, v13 dst_sel:DWORD dst_unused:UNUSED_PAD src0_sel:WORD_1
	v_cvt_f32_u32_sdwa v20, v13 dst_sel:DWORD dst_unused:UNUSED_PAD src0_sel:WORD_0
	;;#ASMSTART
	v_pk_mul_f32 v[2:3], v[2:3], v[16:17]
	;;#ASMEND
	;;#ASMSTART
	v_pk_mul_f32 v[4:5], v[4:5], v[18:19]
	;;#ASMEND
	;; [unrolled: 3-line block ×4, first 2 shown]
	s_or_b64 exec, exec, s[24:25]
	s_mov_b64 s[8:9], -1
	s_and_b64 vcc, exec, s[22:23]
	s_cbranch_vccz .LBB40_15
.LBB40_19:
	s_and_saveexec_b64 s[8:9], s[0:1]
	s_cbranch_execz .LBB40_21
; %bb.20:
	s_mul_hi_i32 s23, s28, s6
	s_mul_i32 s22, s28, s6
	s_lshl_b64 s[22:23], s[22:23], 1
	s_add_u32 s24, s34, s22
	s_addc_u32 s7, s35, s23
	s_and_b32 s25, s7, 0xffff
	s_mov_b32 s7, 0x7060302
	s_mov_b32 s27, 0x20000
	s_waitcnt vmcnt(0)
	v_perm_b32 v10, v3, v2, s7
	v_perm_b32 v11, v5, v4, s7
	;; [unrolled: 1-line block ×4, first 2 shown]
	v_lshlrev_b32_e32 v15, 4, v0
	buffer_store_dwordx4 v[10:13], v15, s[24:27], 0 offen
	;;#ASMSTART
	s_nop 0
	;;#ASMEND
.LBB40_21:
	s_or_b64 exec, exec, s[8:9]
	s_cbranch_execnz .LBB40_16
.LBB40_22:
	s_waitcnt vmcnt(0)
	v_mov_b32_e32 v10, 0
	s_and_saveexec_b64 s[8:9], s[0:1]
	s_cbranch_execz .LBB40_24
; %bb.23:
	v_and_b32_e32 v10, 0x7fffffff, v2
	v_and_b32_e32 v11, 0x7fffffff, v3
	v_mov_b32_e32 v12, 0x2edbe6ff
	;;#ASMSTART
	v_max3_f32 v10, v12, v10, v11

	;;#ASMEND
	v_and_b32_e32 v11, 0x7fffffff, v4
	v_and_b32_e32 v12, 0x7fffffff, v5
	;;#ASMSTART
	v_max3_f32 v10, v10, v11, v12

	;;#ASMEND
	v_and_b32_e32 v11, 0x7fffffff, v6
	v_and_b32_e32 v12, 0x7fffffff, v7
	;;#ASMSTART
	v_max3_f32 v10, v10, v11, v12

	;;#ASMEND
	v_and_b32_e32 v11, 0x7fffffff, v8
	v_and_b32_e32 v12, 0x7fffffff, v9
	;;#ASMSTART
	v_max3_f32 v10, v10, v11, v12

	;;#ASMEND
.LBB40_24:
	s_or_b64 exec, exec, s[8:9]
	s_nop 0
	v_mov_b32_dpp v11, v10 quad_perm:[1,0,3,2] row_mask:0xf bank_mask:0xf
	v_cmp_gt_f32_e32 vcc, v10, v11
	v_cndmask_b32_e32 v10, v11, v10, vcc
	s_nop 1
	v_mov_b32_dpp v11, v10 quad_perm:[2,3,0,1] row_mask:0xf bank_mask:0xf
	v_cmp_gt_f32_e32 vcc, v10, v11
	v_cndmask_b32_e32 v10, v11, v10, vcc
	s_nop 1
	v_mov_b32_dpp v11, v10 row_half_mirror row_mask:0xf bank_mask:0xf
	v_cmp_gt_f32_e32 vcc, v10, v11
	v_cndmask_b32_e32 v10, v11, v10, vcc
	s_nop 1
	v_mov_b32_dpp v11, v10 row_mirror row_mask:0xf bank_mask:0xf
	v_cmp_gt_f32_e32 vcc, v10, v11
	v_cndmask_b32_e32 v10, v11, v10, vcc
	s_nop 1
	v_mov_b32_dpp v11, v10 row_bcast:15 row_mask:0xf bank_mask:0xf
	v_cmp_gt_f32_e32 vcc, v10, v11
	v_cndmask_b32_e32 v10, v11, v10, vcc
	s_nop 1
	v_mov_b32_dpp v11, v10 row_bcast:31 row_mask:0xf bank_mask:0xf
	s_and_saveexec_b64 s[8:9], s[2:3]
	s_cbranch_execz .LBB40_26
; %bb.25:
	v_cmp_gt_f32_e32 vcc, v10, v11
	v_cndmask_b32_e32 v10, v11, v10, vcc
	v_lshrrev_b32_e32 v11, 4, v0
	v_and_b32_e32 v11, 60, v11
	ds_write_b32 v11, v10
.LBB40_26:
	s_or_b64 exec, exec, s[8:9]
	s_waitcnt lgkmcnt(0)
	s_barrier
	ds_read_b32 v10, v14
	s_waitcnt lgkmcnt(0)
	s_nop 0
	v_mov_b32_dpp v11, v10 quad_perm:[1,0,3,2] row_mask:0xf bank_mask:0xf
	v_cmp_gt_f32_e32 vcc, v10, v11
	v_cndmask_b32_e32 v10, v11, v10, vcc
	s_nop 1
	v_mov_b32_dpp v11, v10 quad_perm:[2,3,0,1] row_mask:0xf bank_mask:0xf
	v_cmp_gt_f32_e32 vcc, v10, v11
	v_cndmask_b32_e32 v10, v11, v10, vcc
	v_mul_f32_e32 v10, 0x3b124925, v10
	v_cmp_eq_u32_e32 vcc, 0, v0
	s_and_saveexec_b64 s[8:9], vcc
	s_cbranch_execz .LBB40_28
; %bb.27:
	s_load_dwordx2 s[22:23], s[4:5], 0x8
	s_mul_hi_i32 s25, s11, s6
	s_mul_i32 s24, s11, s6
	s_lshl_b64 s[24:25], s[24:25], 2
	v_mov_b32_e32 v11, 0
	s_waitcnt lgkmcnt(0)
	s_add_u32 s22, s22, s24
	s_addc_u32 s23, s23, s25
	global_store_dword v11, v10, s[22:23]
.LBB40_28:
	s_or_b64 exec, exec, s[8:9]
	;;#ASMSTART
	v_rcp_f32 v10, v10
	;;#ASMEND
	s_and_saveexec_b64 s[22:23], s[0:1]
	s_cbranch_execz .LBB40_30
; %bb.29:
	s_load_dwordx2 s[0:1], s[4:5], 0x0
	s_mul_i32 s8, s10, s6
	v_mov_b32_e32 v11, v10
	;;#ASMSTART
	v_pk_mul_f32 v[2:3], v[2:3], v[10:11]
	;;#ASMEND
	s_mul_hi_i32 s7, s10, s6
	s_waitcnt lgkmcnt(0)
	s_add_u32 s8, s0, s8
	v_mov_b32_e32 v12, 0xc3e00000
	v_mov_b32_e32 v13, 0x43e00000
	;;#ASMSTART
	v_med3_f32 v2, v2, v12, v13
v_med3_f32 v3, v3, v12, v13
v_cvt_pk_fp8_f32 v15, v2, v3
	;;#ASMEND
	s_addc_u32 s0, s1, s7
	;;#ASMSTART
	v_pk_mul_f32 v[2:3], v[4:5], v[10:11]
	;;#ASMEND
	s_and_b32 s9, s0, 0xffff
	;;#ASMSTART
	v_med3_f32 v2, v2, v12, v13
v_med3_f32 v3, v3, v12, v13
v_cvt_pk_fp8_f32 v4, v2, v3
	;;#ASMEND
	s_mov_b32 s0, 0x5040100
	v_perm_b32 v3, v4, v15, s0
	s_movk_i32 s0, 0xff
	v_and_b32_e32 v2, 0xffffff00, v4
	v_and_b32_sdwa v4, v3, s0 dst_sel:DWORD dst_unused:UNUSED_PAD src0_sel:WORD_1 src1_sel:DWORD
	s_mov_b32 s12, 0xffff
	v_or_b32_sdwa v2, v4, v2 dst_sel:WORD_1 dst_unused:UNUSED_PAD src0_sel:DWORD src1_sel:DWORD
	v_and_or_b32 v2, v3, s12, v2
	;;#ASMSTART
	v_pk_mul_f32 v[4:5], v[6:7], v[10:11]
	;;#ASMEND
	v_mov_b32_e32 v3, v4
	s_add_i32 s1, s15, 3
	;;#ASMSTART
	v_med3_f32 v3, v3, v12, v13
v_med3_f32 v5, v5, v12, v13
v_cvt_pk_fp8_f32 v6, v3, v5
	;;#ASMEND
	s_ashr_i32 s7, s1, 31
	;;#ASMSTART
	v_pk_mul_f32 v[4:5], v[8:9], v[10:11]
	;;#ASMEND
	v_mov_b32_e32 v3, v5
	s_lshr_b32 s7, s7, 30
	;;#ASMSTART
	v_med3_f32 v4, v4, v12, v13
v_med3_f32 v3, v3, v12, v13
v_cvt_pk_fp8_f32 v5, v4, v3
	;;#ASMEND
	s_add_i32 s1, s1, s7
	v_lshlrev_b32_e32 v3, 16, v5
	s_and_b32 s10, s1, -4
	s_mov_b32 s11, 0x20000
	v_and_or_b32 v3, v6, s12, v3
	buffer_store_dwordx2 v[2:3], v1, s[8:11], 0 offen
	;;#ASMSTART
	s_nop 0
	;;#ASMEND
.LBB40_30:
	s_or_b64 exec, exec, s[22:23]
	s_cmp_lt_i32 s16, 1
	s_cbranch_scc1 .LBB40_17
.LBB40_31:
	s_load_dword s0, s[4:5], 0x94
	s_waitcnt lgkmcnt(0)
	s_cmp_lg_u32 s0, 1
	s_cbranch_scc1 .LBB40_17
; %bb.32:
	s_lshl_b32 s0, s16, 1
	s_add_i32 s0, s0, 2
	v_cmp_gt_u32_e32 vcc, s16, v1
	s_and_b32 s22, s0, -4
	v_mov_b32_e32 v6, 0
	v_lshlrev_b32_e32 v1, 4, v0
	v_mov_b32_e32 v7, 0
	v_mov_b32_e32 v8, 0
	;; [unrolled: 1-line block ×7, first 2 shown]
	s_barrier
	s_and_saveexec_b64 s[0:1], vcc
	s_cbranch_execz .LBB40_34
; %bb.33:
	s_mul_hi_i32 s5, s18, s6
	s_mul_i32 s4, s18, s6
	s_and_b32 s21, s21, 0xffff
	s_lshl_b64 s[4:5], s[4:5], 1
	s_add_u32 s8, s30, s4
	s_mov_b32 s23, 0x20000
	s_addc_u32 s4, s31, s5
	s_and_b32 s9, s4, 0xffff
	s_mov_b32 s10, s22
	s_mov_b32 s11, s23
	buffer_load_dwordx4 v[6:9], v1, s[8:11], 0 offen glc slc
	buffer_load_dwordx4 v[2:5], v1, s[20:23], 0 offen
.LBB40_34:
	s_or_b64 exec, exec, s[0:1]
	s_waitcnt vmcnt(0)
	v_cvt_f32_u32_sdwa v13, v6 dst_sel:DWORD dst_unused:UNUSED_PAD src0_sel:WORD_1
	v_cvt_f32_u32_sdwa v12, v6 dst_sel:DWORD dst_unused:UNUSED_PAD src0_sel:WORD_0
	v_cvt_f32_u32_sdwa v6, v9 dst_sel:DWORD dst_unused:UNUSED_PAD src0_sel:WORD_1
	v_cvt_f32_u32_sdwa v9, v9 dst_sel:DWORD dst_unused:UNUSED_PAD src0_sel:WORD_0
	;; [unrolled: 2-line block ×4, first 2 shown]
	v_cndmask_b32_e32 v13, 0, v13, vcc
	v_cndmask_b32_e32 v7, 0, v6, vcc
	;; [unrolled: 1-line block ×5, first 2 shown]
	v_mul_f32_e32 v15, v13, v13
	v_cndmask_b32_e32 v10, 0, v10, vcc
	v_fmac_f32_e32 v15, v12, v12
	v_cndmask_b32_e32 v11, 0, v11, vcc
	v_fmac_f32_e32 v15, v10, v10
	;; [unrolled: 2-line block ×3, first 2 shown]
	v_fmac_f32_e32 v15, v8, v8
	v_fmac_f32_e32 v15, v9, v9
	;; [unrolled: 1-line block ×4, first 2 shown]
	s_nop 1
	v_mov_b32_dpp v16, v15 quad_perm:[1,0,3,2] row_mask:0xf bank_mask:0xf
	v_add_f32_e32 v15, v15, v16
	s_nop 1
	v_mov_b32_dpp v16, v15 quad_perm:[2,3,0,1] row_mask:0xf bank_mask:0xf
	v_add_f32_e32 v15, v15, v16
	s_nop 1
	v_mov_b32_dpp v16, v15 row_half_mirror row_mask:0xf bank_mask:0xf
	v_add_f32_e32 v15, v15, v16
	s_nop 1
	v_mov_b32_dpp v16, v15 row_mirror row_mask:0xf bank_mask:0xf
	v_add_f32_e32 v15, v15, v16
	s_nop 1
	v_mov_b32_dpp v16, v15 row_bcast:15 row_mask:0xf bank_mask:0xf
	v_add_f32_e32 v15, v15, v16
	s_nop 1
	v_mov_b32_dpp v16, v15 row_bcast:31 row_mask:0xf bank_mask:0xf
	s_and_saveexec_b64 s[0:1], s[2:3]
	s_cbranch_execz .LBB40_36
; %bb.35:
	v_lshrrev_b32_e32 v0, 4, v0
	v_add_f32_e32 v15, v15, v16
	v_and_b32_e32 v0, 60, v0
	ds_write_b32 v0, v15 offset:16
.LBB40_36:
	s_or_b64 exec, exec, s[0:1]
	s_waitcnt lgkmcnt(0)
	s_barrier
	ds_read_b32 v0, v14 offset:16
	s_waitcnt lgkmcnt(0)
	s_nop 0
	v_mov_b32_dpp v14, v0 quad_perm:[1,0,3,2] row_mask:0xf bank_mask:0xf
	v_add_f32_e32 v0, v0, v14
	s_nop 1
	v_mov_b32_dpp v14, v0 quad_perm:[2,3,0,1] row_mask:0xf bank_mask:0xf
	s_and_saveexec_b64 s[0:1], vcc
	s_cbranch_execz .LBB40_17
; %bb.37:
	v_cvt_f32_u32_e32 v15, s16
	v_add_f32_e32 v0, v0, v14
	s_mov_b32 s23, 0x20000
	v_div_scale_f32 v14, s[0:1], v15, v15, v0
	v_rcp_f32_e32 v16, v14
	v_div_scale_f32 v17, vcc, v0, v15, v0
	s_mov_b32 s0, 0x800000
	v_fma_f32 v18, -v14, v16, 1.0
	v_fmac_f32_e32 v16, v18, v16
	v_mul_f32_e32 v18, v17, v16
	v_fma_f32 v19, -v14, v18, v17
	v_fmac_f32_e32 v18, v19, v16
	v_fma_f32 v14, -v14, v18, v17
	v_div_fmas_f32 v14, v14, v16, v18
	v_div_fixup_f32 v0, v14, v15, v0
	v_add_f32_e32 v0, s13, v0
	v_mul_f32_e32 v14, 0x4b800000, v0
	v_cmp_gt_f32_e32 vcc, s0, v0
	v_cndmask_b32_e32 v0, v0, v14, vcc
	v_rsq_f32_e32 v0, v0
	s_mul_hi_i32 s1, s28, s6
	s_mul_i32 s0, s28, s6
	s_lshl_b64 s[0:1], s[0:1], 1
	v_mul_f32_e32 v14, 0x45800000, v0
	v_cndmask_b32_e32 v14, v0, v14, vcc
	s_add_u32 s20, s34, s0
	v_mov_b32_e32 v15, v14
	s_addc_u32 s0, s35, s1
	;;#ASMSTART
	v_pk_mul_f32 v[12:13], v[12:13], v[14:15]
	;;#ASMEND
	;;#ASMSTART
	v_pk_mul_f32 v[10:11], v[10:11], v[14:15]
	;;#ASMEND
	;; [unrolled: 3-line block ×4, first 2 shown]
	v_cvt_f32_u32_sdwa v15, v2 dst_sel:DWORD dst_unused:UNUSED_PAD src0_sel:WORD_1
	v_cvt_f32_u32_sdwa v14, v2 dst_sel:DWORD dst_unused:UNUSED_PAD src0_sel:WORD_0
	v_cvt_f32_u32_sdwa v17, v3 dst_sel:DWORD dst_unused:UNUSED_PAD src0_sel:WORD_1
	v_cvt_f32_u32_sdwa v16, v3 dst_sel:DWORD dst_unused:UNUSED_PAD src0_sel:WORD_0
	;; [unrolled: 2-line block ×4, first 2 shown]
	;;#ASMSTART
	v_pk_mul_f32 v[4:5], v[12:13], v[14:15]
	;;#ASMEND
	s_and_b32 s21, s0, 0xffff
	s_mov_b32 s0, 0x7060302
	;;#ASMSTART
	v_pk_mul_f32 v[10:11], v[10:11], v[16:17]
	;;#ASMEND
	;;#ASMSTART
	v_pk_mul_f32 v[8:9], v[8:9], v[2:3]
	;;#ASMEND
	;; [unrolled: 3-line block ×3, first 2 shown]
	v_perm_b32 v2, v5, v4, s0
	v_perm_b32 v3, v11, v10, s0
	;; [unrolled: 1-line block ×4, first 2 shown]
	buffer_store_dwordx4 v[2:5], v1, s[20:23], 0 offen
	;;#ASMSTART
	s_nop 0
	;;#ASMEND
	s_endpgm
	.section	.rodata,"a",@progbits
	.p2align	6, 0x0
	.amdhsa_kernel _ZN5aiter35fused_qk_rmsnorm_group_quant_kernelItDB8_Li256ELi8ELi1ELb1ELb0ELb0ELb0ELb1ELb1EEEvPT0_PvPT_S6_S6_PKS5_S8_S8_S8_S8_ffiiiiiiiiiiiii
		.amdhsa_group_segment_fixed_size 48
		.amdhsa_private_segment_fixed_size 0
		.amdhsa_kernarg_size 400
		.amdhsa_user_sgpr_count 6
		.amdhsa_user_sgpr_private_segment_buffer 1
		.amdhsa_user_sgpr_dispatch_ptr 0
		.amdhsa_user_sgpr_queue_ptr 0
		.amdhsa_user_sgpr_kernarg_segment_ptr 1
		.amdhsa_user_sgpr_dispatch_id 0
		.amdhsa_user_sgpr_flat_scratch_init 0
		.amdhsa_user_sgpr_kernarg_preload_length 0
		.amdhsa_user_sgpr_kernarg_preload_offset 0
		.amdhsa_user_sgpr_private_segment_size 0
		.amdhsa_uses_dynamic_stack 0
		.amdhsa_system_sgpr_private_segment_wavefront_offset 0
		.amdhsa_system_sgpr_workgroup_id_x 1
		.amdhsa_system_sgpr_workgroup_id_y 1
		.amdhsa_system_sgpr_workgroup_id_z 0
		.amdhsa_system_sgpr_workgroup_info 0
		.amdhsa_system_vgpr_workitem_id 0
		.amdhsa_next_free_vgpr 27
		.amdhsa_next_free_sgpr 44
		.amdhsa_accum_offset 28
		.amdhsa_reserve_vcc 1
		.amdhsa_reserve_flat_scratch 0
		.amdhsa_float_round_mode_32 0
		.amdhsa_float_round_mode_16_64 0
		.amdhsa_float_denorm_mode_32 3
		.amdhsa_float_denorm_mode_16_64 3
		.amdhsa_dx10_clamp 1
		.amdhsa_ieee_mode 1
		.amdhsa_fp16_overflow 0
		.amdhsa_tg_split 0
		.amdhsa_exception_fp_ieee_invalid_op 0
		.amdhsa_exception_fp_denorm_src 0
		.amdhsa_exception_fp_ieee_div_zero 0
		.amdhsa_exception_fp_ieee_overflow 0
		.amdhsa_exception_fp_ieee_underflow 0
		.amdhsa_exception_fp_ieee_inexact 0
		.amdhsa_exception_int_div_zero 0
	.end_amdhsa_kernel
	.section	.text._ZN5aiter35fused_qk_rmsnorm_group_quant_kernelItDB8_Li256ELi8ELi1ELb1ELb0ELb0ELb0ELb1ELb1EEEvPT0_PvPT_S6_S6_PKS5_S8_S8_S8_S8_ffiiiiiiiiiiiii,"axG",@progbits,_ZN5aiter35fused_qk_rmsnorm_group_quant_kernelItDB8_Li256ELi8ELi1ELb1ELb0ELb0ELb0ELb1ELb1EEEvPT0_PvPT_S6_S6_PKS5_S8_S8_S8_S8_ffiiiiiiiiiiiii,comdat
.Lfunc_end40:
	.size	_ZN5aiter35fused_qk_rmsnorm_group_quant_kernelItDB8_Li256ELi8ELi1ELb1ELb0ELb0ELb0ELb1ELb1EEEvPT0_PvPT_S6_S6_PKS5_S8_S8_S8_S8_ffiiiiiiiiiiiii, .Lfunc_end40-_ZN5aiter35fused_qk_rmsnorm_group_quant_kernelItDB8_Li256ELi8ELi1ELb1ELb0ELb0ELb0ELb1ELb1EEEvPT0_PvPT_S6_S6_PKS5_S8_S8_S8_S8_ffiiiiiiiiiiiii
                                        ; -- End function
	.section	.AMDGPU.csdata,"",@progbits
; Kernel info:
; codeLenInByte = 3068
; NumSgprs: 48
; NumVgprs: 27
; NumAgprs: 0
; TotalNumVgprs: 27
; ScratchSize: 0
; MemoryBound: 0
; FloatMode: 240
; IeeeMode: 1
; LDSByteSize: 48 bytes/workgroup (compile time only)
; SGPRBlocks: 5
; VGPRBlocks: 3
; NumSGPRsForWavesPerEU: 48
; NumVGPRsForWavesPerEU: 27
; AccumOffset: 28
; Occupancy: 8
; WaveLimiterHint : 0
; COMPUTE_PGM_RSRC2:SCRATCH_EN: 0
; COMPUTE_PGM_RSRC2:USER_SGPR: 6
; COMPUTE_PGM_RSRC2:TRAP_HANDLER: 0
; COMPUTE_PGM_RSRC2:TGID_X_EN: 1
; COMPUTE_PGM_RSRC2:TGID_Y_EN: 1
; COMPUTE_PGM_RSRC2:TGID_Z_EN: 0
; COMPUTE_PGM_RSRC2:TIDIG_COMP_CNT: 0
; COMPUTE_PGM_RSRC3_GFX90A:ACCUM_OFFSET: 6
; COMPUTE_PGM_RSRC3_GFX90A:TG_SPLIT: 0
	.section	.text._ZN5aiter35fused_qk_rmsnorm_group_quant_kernelIDF16_DB8_Li256ELi8ELi1ELb0ELb1ELb1ELb0ELb1ELb1EEEvPT0_PvPT_S6_S6_PKS5_S8_S8_S8_S8_ffiiiiiiiiiiiii,"axG",@progbits,_ZN5aiter35fused_qk_rmsnorm_group_quant_kernelIDF16_DB8_Li256ELi8ELi1ELb0ELb1ELb1ELb0ELb1ELb1EEEvPT0_PvPT_S6_S6_PKS5_S8_S8_S8_S8_ffiiiiiiiiiiiii,comdat
	.protected	_ZN5aiter35fused_qk_rmsnorm_group_quant_kernelIDF16_DB8_Li256ELi8ELi1ELb0ELb1ELb1ELb0ELb1ELb1EEEvPT0_PvPT_S6_S6_PKS5_S8_S8_S8_S8_ffiiiiiiiiiiiii ; -- Begin function _ZN5aiter35fused_qk_rmsnorm_group_quant_kernelIDF16_DB8_Li256ELi8ELi1ELb0ELb1ELb1ELb0ELb1ELb1EEEvPT0_PvPT_S6_S6_PKS5_S8_S8_S8_S8_ffiiiiiiiiiiiii
	.globl	_ZN5aiter35fused_qk_rmsnorm_group_quant_kernelIDF16_DB8_Li256ELi8ELi1ELb0ELb1ELb1ELb0ELb1ELb1EEEvPT0_PvPT_S6_S6_PKS5_S8_S8_S8_S8_ffiiiiiiiiiiiii
	.p2align	8
	.type	_ZN5aiter35fused_qk_rmsnorm_group_quant_kernelIDF16_DB8_Li256ELi8ELi1ELb0ELb1ELb1ELb0ELb1ELb1EEEvPT0_PvPT_S6_S6_PKS5_S8_S8_S8_S8_ffiiiiiiiiiiiii,@function
_ZN5aiter35fused_qk_rmsnorm_group_quant_kernelIDF16_DB8_Li256ELi8ELi1ELb0ELb1ELb1ELb0ELb1ELb1EEEvPT0_PvPT_S6_S6_PKS5_S8_S8_S8_S8_ffiiiiiiiiiiiii: ; @_ZN5aiter35fused_qk_rmsnorm_group_quant_kernelIDF16_DB8_Li256ELi8ELi1ELb0ELb1ELb1ELb0ELb1ELb1EEEvPT0_PvPT_S6_S6_PKS5_S8_S8_S8_S8_ffiiiiiiiiiiiii
; %bb.0:
	s_load_dwordx4 s[12:15], s[4:5], 0x50
	s_waitcnt lgkmcnt(0)
	s_cmp_ge_i32 s6, s14
	s_cbranch_scc1 .LBB41_12
; %bb.1:
	s_load_dwordx2 s[8:9], s[4:5], 0x48
	s_load_dwordx2 s[26:27], s[4:5], 0x30
	s_load_dwordx4 s[16:19], s[4:5], 0x60
	s_cmp_lg_u32 s7, 0
	s_cselect_b64 s[10:11], -1, 0
	s_cmp_eq_u32 s7, 0
	s_cselect_b64 vcc, -1, 0
	s_and_b64 s[0:1], vcc, exec
	s_waitcnt lgkmcnt(0)
	s_cselect_b32 s7, s15, s16
	s_add_i32 s0, s7, 1
	s_lshr_b32 s1, s0, 31
	s_add_i32 s0, s0, s1
	s_lshl_b32 s0, s0, 1
	v_lshlrev_b32_e32 v1, 3, v0
	s_and_b32 s22, s0, -4
	v_cmp_gt_i32_e64 s[2:3], s7, v1
	v_mov_b32_e32 v10, 0
	v_mov_b32_e32 v2, 0
	;; [unrolled: 1-line block ×9, first 2 shown]
	s_and_saveexec_b64 s[0:1], s[2:3]
	s_cbranch_execz .LBB41_3
; %bb.2:
	s_load_dwordx2 s[20:21], s[4:5], 0x28
	s_load_dwordx2 s[24:25], s[4:5], 0x40
	s_and_b64 s[28:29], vcc, exec
	s_cselect_b32 s14, s17, s18
	s_mov_b32 s23, 0x20000
	s_waitcnt lgkmcnt(0)
	s_cselect_b32 s17, s21, s27
	s_cselect_b32 s19, s20, s26
	s_mul_hi_i32 s21, s14, s6
	s_mul_i32 s20, s14, s6
	s_lshl_b64 s[20:21], s[20:21], 1
	s_add_u32 s28, s19, s20
	s_addc_u32 s14, s17, s21
	s_and_b64 s[20:21], vcc, exec
	s_cselect_b32 s20, s24, s8
	s_cselect_b32 s17, s25, s9
	v_lshlrev_b32_e32 v11, 4, v0
	s_and_b32 s29, s14, 0xffff
	s_mov_b32 s30, s22
	s_mov_b32 s31, s23
	s_and_b32 s21, s17, 0xffff
	buffer_load_dwordx4 v[6:9], v11, s[28:31], 0 offen glc slc
	buffer_load_dwordx4 v[2:5], v11, s[20:23], 0 offen
.LBB41_3:
	s_or_b64 exec, exec, s[0:1]
	v_mov_b32_e32 v11, 0
	v_mov_b32_e32 v16, 0
	v_mov_b32_e32 v17, 0
	v_mov_b32_e32 v14, 0
	v_mov_b32_e32 v15, 0
	v_mov_b32_e32 v12, 0
	v_mov_b32_e32 v13, 0
	s_and_saveexec_b64 s[0:1], s[2:3]
	s_cbranch_execz .LBB41_5
; %bb.4:
	s_waitcnt vmcnt(1)
	v_cvt_f32_f16_sdwa v11, v6 dst_sel:DWORD dst_unused:UNUSED_PAD src0_sel:WORD_1
	v_cvt_f32_f16_e32 v10, v6
	v_cvt_f32_f16_sdwa v17, v7 dst_sel:DWORD dst_unused:UNUSED_PAD src0_sel:WORD_1
	v_cvt_f32_f16_e32 v16, v7
	;; [unrolled: 2-line block ×4, first 2 shown]
.LBB41_5:
	s_or_b64 exec, exec, s[0:1]
	s_waitcnt vmcnt(1)
	v_mul_f32_e32 v6, v11, v11
	v_fmac_f32_e32 v6, v10, v10
	v_fmac_f32_e32 v6, v16, v16
	;; [unrolled: 1-line block ×7, first 2 shown]
	v_and_b32_e32 v8, 63, v0
	v_cmp_eq_u32_e64 s[0:1], 63, v8
	v_mov_b32_dpp v7, v6 quad_perm:[1,0,3,2] row_mask:0xf bank_mask:0xf
	v_add_f32_e32 v6, v6, v7
	s_nop 1
	v_mov_b32_dpp v7, v6 quad_perm:[2,3,0,1] row_mask:0xf bank_mask:0xf
	v_add_f32_e32 v6, v6, v7
	s_nop 1
	v_mov_b32_dpp v7, v6 row_half_mirror row_mask:0xf bank_mask:0xf
	v_add_f32_e32 v6, v6, v7
	s_nop 1
	v_mov_b32_dpp v7, v6 row_mirror row_mask:0xf bank_mask:0xf
	v_add_f32_e32 v6, v6, v7
	s_nop 1
	v_mov_b32_dpp v7, v6 row_bcast:15 row_mask:0xf bank_mask:0xf
	v_add_f32_e32 v6, v6, v7
	s_nop 1
	v_mov_b32_dpp v7, v6 row_bcast:31 row_mask:0xf bank_mask:0xf
	s_and_saveexec_b64 s[20:21], s[0:1]
	s_cbranch_execz .LBB41_7
; %bb.6:
	v_add_f32_e32 v6, v6, v7
	v_lshrrev_b32_e32 v7, 4, v0
	v_and_b32_e32 v7, 60, v7
	ds_write_b32 v7, v6 offset:32
.LBB41_7:
	s_or_b64 exec, exec, s[20:21]
	v_and_b32_e32 v6, 3, v0
	v_lshlrev_b32_e32 v18, 2, v6
	s_waitcnt lgkmcnt(0)
	s_barrier
	ds_read_b32 v6, v18 offset:32
	s_load_dwordx2 s[24:25], s[4:5], 0x18
	s_waitcnt lgkmcnt(0)
	v_mov_b32_dpp v7, v6 quad_perm:[1,0,3,2] row_mask:0xf bank_mask:0xf
	v_add_f32_e32 v6, v6, v7
	s_nop 1
	v_mov_b32_dpp v7, v6 quad_perm:[2,3,0,1] row_mask:0xf bank_mask:0xf
	s_and_saveexec_b64 s[20:21], s[2:3]
	s_cbranch_execz .LBB41_9
; %bb.8:
	v_cvt_f32_u32_e32 v8, s7
	v_add_f32_e32 v6, v6, v7
	v_mov_b32_e32 v19, s13
	v_mov_b32_e32 v20, s12
	v_div_scale_f32 v7, s[28:29], v8, v8, v6
	v_rcp_f32_e32 v9, v7
	v_cndmask_b32_e32 v19, v19, v20, vcc
	s_mov_b32 s7, 0x800000
	v_fma_f32 v20, -v7, v9, 1.0
	v_fmac_f32_e32 v9, v20, v9
	v_div_scale_f32 v20, vcc, v6, v8, v6
	v_mul_f32_e32 v21, v20, v9
	v_fma_f32 v22, -v7, v21, v20
	v_fmac_f32_e32 v21, v22, v9
	v_fma_f32 v7, -v7, v21, v20
	v_div_fmas_f32 v7, v7, v9, v21
	v_div_fixup_f32 v6, v7, v8, v6
	v_add_f32_e32 v6, v19, v6
	v_mul_f32_e32 v7, 0x4b800000, v6
	v_cmp_gt_f32_e32 vcc, s7, v6
	v_cndmask_b32_e32 v6, v6, v7, vcc
	v_rsq_f32_e32 v6, v6
	s_waitcnt vmcnt(0)
	v_cvt_f32_f16_sdwa v21, v3 dst_sel:DWORD dst_unused:UNUSED_PAD src0_sel:WORD_1
	v_cvt_f32_f16_e32 v20, v3
	v_mul_f32_e32 v7, 0x45800000, v6
	v_cndmask_b32_e32 v6, v6, v7, vcc
	v_mov_b32_e32 v7, v6
	;;#ASMSTART
	v_pk_mul_f32 v[8:9], v[10:11], v[6:7]
	;;#ASMEND
	v_cvt_f32_f16_sdwa v11, v2 dst_sel:DWORD dst_unused:UNUSED_PAD src0_sel:WORD_1
	v_cvt_f32_f16_e32 v10, v2
	;;#ASMSTART
	v_pk_mul_f32 v[16:17], v[16:17], v[6:7]
	;;#ASMEND
	;;#ASMSTART
	v_pk_mul_f32 v[14:15], v[14:15], v[6:7]
	;;#ASMEND
	;; [unrolled: 3-line block ×3, first 2 shown]
	v_pk_add_f32 v[6:7], v[10:11], 1.0 op_sel_hi:[1,0]
	;;#ASMSTART
	v_pk_mul_f32 v[10:11], v[8:9], v[6:7]
	;;#ASMEND
	v_cvt_f32_f16_sdwa v9, v4 dst_sel:DWORD dst_unused:UNUSED_PAD src0_sel:WORD_1
	v_cvt_f32_f16_e32 v8, v4
	v_cvt_f32_f16_sdwa v13, v5 dst_sel:DWORD dst_unused:UNUSED_PAD src0_sel:WORD_1
	v_cvt_f32_f16_e32 v12, v5
	v_pk_add_f32 v[6:7], v[20:21], 1.0 op_sel_hi:[1,0]
	v_pk_add_f32 v[4:5], v[8:9], 1.0 op_sel_hi:[1,0]
	;;#ASMSTART
	v_pk_mul_f32 v[16:17], v[16:17], v[6:7]
	;;#ASMEND
	;;#ASMSTART
	v_pk_mul_f32 v[14:15], v[14:15], v[4:5]
	;;#ASMEND
	v_pk_add_f32 v[4:5], v[12:13], 1.0 op_sel_hi:[1,0]
	;;#ASMSTART
	v_pk_mul_f32 v[12:13], v[2:3], v[4:5]
	;;#ASMEND
.LBB41_9:
	s_or_b64 exec, exec, s[20:21]
	s_load_dwordx2 s[28:29], s[4:5], 0x7c
	s_mov_b64 s[20:21], -1
	s_and_b64 vcc, exec, s[10:11]
	s_cbranch_vccnz .LBB41_13
; %bb.10:
	s_andn2_b64 vcc, exec, s[20:21]
	s_cbranch_vccz .LBB41_16
.LBB41_11:
	s_cmp_lt_i32 s16, 1
	s_cbranch_scc0 .LBB41_27
.LBB41_12:
	s_endpgm
.LBB41_13:
	s_and_saveexec_b64 s[10:11], s[2:3]
	s_cbranch_execz .LBB41_15
; %bb.14:
	s_waitcnt lgkmcnt(0)
	s_mul_hi_i32 s21, s29, s6
	s_mul_i32 s20, s29, s6
	s_waitcnt vmcnt(0)
	v_cvt_f16_f32_e32 v2, v10
	v_cvt_f16_f32_e32 v3, v16
	;; [unrolled: 1-line block ×8, first 2 shown]
	s_lshl_b64 s[20:21], s[20:21], 1
	s_add_u32 s20, s24, s20
	s_addc_u32 s7, s25, s21
	s_and_b32 s21, s7, 0xffff
	s_mov_b32 s23, 0x20000
	v_pack_b32_f16 v5, v5, v6
	v_pack_b32_f16 v4, v4, v7
	;; [unrolled: 1-line block ×4, first 2 shown]
	v_lshlrev_b32_e32 v6, 4, v0
	buffer_store_dwordx4 v[2:5], v6, s[20:23], 0 offen
	;;#ASMSTART
	s_nop 0
	;;#ASMEND
.LBB41_15:
	s_or_b64 exec, exec, s[10:11]
	s_cbranch_execnz .LBB41_11
.LBB41_16:
	s_waitcnt vmcnt(0)
	v_mov_b32_e32 v2, 0
	s_and_saveexec_b64 s[10:11], s[2:3]
	s_cbranch_execz .LBB41_18
; %bb.17:
	s_load_dwordx2 s[20:21], s[4:5], 0x10
	s_waitcnt lgkmcnt(0)
	s_mul_hi_i32 s31, s28, s6
	s_mul_i32 s30, s28, s6
	v_cvt_f16_f32_e32 v2, v10
	v_cvt_f16_f32_e32 v3, v16
	;; [unrolled: 1-line block ×8, first 2 shown]
	s_lshl_b64 s[30:31], s[30:31], 1
	s_add_u32 s20, s20, s30
	s_addc_u32 s7, s21, s31
	s_mov_b32 s23, 0x20000
	s_and_b32 s21, s7, 0xffff
	v_pack_b32_f16 v5, v5, v6
	v_pack_b32_f16 v4, v4, v7
	;; [unrolled: 1-line block ×4, first 2 shown]
	v_lshlrev_b32_e32 v6, 4, v0
	buffer_store_dwordx4 v[2:5], v6, s[20:23], 0 offen
	;;#ASMSTART
	s_nop 0
	;;#ASMEND
	s_nop 0
	v_mov_b32_e32 v2, 0x2edbe6ff
.LBB41_18:
	s_or_b64 exec, exec, s[10:11]
	s_and_saveexec_b64 s[10:11], s[2:3]
	s_cbranch_execz .LBB41_20
; %bb.19:
	v_and_b32_e32 v3, 0x7fffffff, v10
	v_and_b32_e32 v4, 0x7fffffff, v11
	;;#ASMSTART
	v_max3_f32 v2, v2, v3, v4

	;;#ASMEND
	v_and_b32_e32 v3, 0x7fffffff, v16
	v_and_b32_e32 v4, 0x7fffffff, v17
	;;#ASMSTART
	v_max3_f32 v2, v2, v3, v4

	;;#ASMEND
	;; [unrolled: 6-line block ×4, first 2 shown]
.LBB41_20:
	s_or_b64 exec, exec, s[10:11]
	s_nop 0
	v_mov_b32_dpp v3, v2 quad_perm:[1,0,3,2] row_mask:0xf bank_mask:0xf
	v_cmp_gt_f32_e32 vcc, v2, v3
	v_cndmask_b32_e32 v2, v3, v2, vcc
	s_nop 1
	v_mov_b32_dpp v3, v2 quad_perm:[2,3,0,1] row_mask:0xf bank_mask:0xf
	v_cmp_gt_f32_e32 vcc, v2, v3
	v_cndmask_b32_e32 v2, v3, v2, vcc
	s_nop 1
	v_mov_b32_dpp v3, v2 row_half_mirror row_mask:0xf bank_mask:0xf
	v_cmp_gt_f32_e32 vcc, v2, v3
	v_cndmask_b32_e32 v2, v3, v2, vcc
	s_nop 1
	v_mov_b32_dpp v3, v2 row_mirror row_mask:0xf bank_mask:0xf
	v_cmp_gt_f32_e32 vcc, v2, v3
	v_cndmask_b32_e32 v2, v3, v2, vcc
	s_nop 1
	v_mov_b32_dpp v3, v2 row_bcast:15 row_mask:0xf bank_mask:0xf
	v_cmp_gt_f32_e32 vcc, v2, v3
	v_cndmask_b32_e32 v2, v3, v2, vcc
	s_nop 1
	v_mov_b32_dpp v3, v2 row_bcast:31 row_mask:0xf bank_mask:0xf
	s_and_saveexec_b64 s[10:11], s[0:1]
	s_cbranch_execz .LBB41_22
; %bb.21:
	v_cmp_gt_f32_e32 vcc, v2, v3
	v_cndmask_b32_e32 v2, v3, v2, vcc
	v_lshrrev_b32_e32 v3, 4, v0
	v_and_b32_e32 v3, 60, v3
	ds_write_b32 v3, v2
.LBB41_22:
	s_or_b64 exec, exec, s[10:11]
	s_waitcnt lgkmcnt(0)
	s_barrier
	ds_read_b32 v2, v18
	s_load_dwordx2 s[20:21], s[4:5], 0x70
	s_waitcnt lgkmcnt(0)
	v_mov_b32_dpp v3, v2 quad_perm:[1,0,3,2] row_mask:0xf bank_mask:0xf
	v_cmp_gt_f32_e32 vcc, v2, v3
	v_cndmask_b32_e32 v2, v3, v2, vcc
	s_nop 1
	v_mov_b32_dpp v3, v2 quad_perm:[2,3,0,1] row_mask:0xf bank_mask:0xf
	v_cmp_gt_f32_e32 vcc, v2, v3
	v_cndmask_b32_e32 v2, v3, v2, vcc
	v_mul_f32_e32 v2, 0x3b124925, v2
	v_cmp_eq_u32_e32 vcc, 0, v0
	s_and_saveexec_b64 s[10:11], vcc
	s_cbranch_execz .LBB41_24
; %bb.23:
	s_load_dwordx2 s[22:23], s[4:5], 0x8
	s_mul_hi_i32 s31, s21, s6
	s_mul_i32 s30, s21, s6
	s_lshl_b64 s[30:31], s[30:31], 2
	v_mov_b32_e32 v3, 0
	s_waitcnt lgkmcnt(0)
	s_add_u32 s22, s22, s30
	s_addc_u32 s23, s23, s31
	global_store_dword v3, v2, s[22:23]
.LBB41_24:
	s_or_b64 exec, exec, s[10:11]
	;;#ASMSTART
	v_rcp_f32 v2, v2
	;;#ASMEND
	s_and_saveexec_b64 s[10:11], s[2:3]
	s_cbranch_execz .LBB41_26
; %bb.25:
	s_load_dwordx2 s[2:3], s[4:5], 0x0
	s_mul_i32 s12, s20, s6
	v_mov_b32_e32 v3, v2
	;;#ASMSTART
	v_pk_mul_f32 v[4:5], v[10:11], v[2:3]
	;;#ASMEND
	s_mul_hi_i32 s7, s20, s6
	s_waitcnt lgkmcnt(0)
	s_add_u32 s20, s2, s12
	v_mov_b32_e32 v8, 0xc3e00000
	v_mov_b32_e32 v9, 0x43e00000
	;;#ASMSTART
	v_med3_f32 v4, v4, v8, v9
v_med3_f32 v5, v5, v8, v9
v_cvt_pk_fp8_f32 v6, v4, v5
	;;#ASMEND
	s_addc_u32 s2, s3, s7
	;;#ASMSTART
	v_pk_mul_f32 v[4:5], v[16:17], v[2:3]
	;;#ASMEND
	s_and_b32 s21, s2, 0xffff
	;;#ASMSTART
	v_med3_f32 v4, v4, v8, v9
v_med3_f32 v5, v5, v8, v9
v_cvt_pk_fp8_f32 v7, v4, v5
	;;#ASMEND
	s_mov_b32 s2, 0x5040100
	v_perm_b32 v5, v7, v6, s2
	s_movk_i32 s2, 0xff
	v_and_b32_e32 v4, 0xffffff00, v7
	v_and_b32_sdwa v6, v5, s2 dst_sel:DWORD dst_unused:UNUSED_PAD src0_sel:WORD_1 src1_sel:DWORD
	s_mov_b32 s14, 0xffff
	v_or_b32_sdwa v4, v6, v4 dst_sel:WORD_1 dst_unused:UNUSED_PAD src0_sel:DWORD src1_sel:DWORD
	s_add_i32 s3, s15, 3
	v_and_or_b32 v4, v5, s14, v4
	;;#ASMSTART
	v_pk_mul_f32 v[6:7], v[14:15], v[2:3]
	;;#ASMEND
	v_mov_b32_e32 v5, v6
	s_ashr_i32 s7, s3, 31
	;;#ASMSTART
	v_med3_f32 v5, v5, v8, v9
v_med3_f32 v7, v7, v8, v9
v_cvt_pk_fp8_f32 v6, v5, v7
	;;#ASMEND
	;;#ASMSTART
	v_pk_mul_f32 v[2:3], v[12:13], v[2:3]
	;;#ASMEND
	s_lshr_b32 s7, s7, 30
	;;#ASMSTART
	v_med3_f32 v2, v2, v8, v9
v_med3_f32 v3, v3, v8, v9
v_cvt_pk_fp8_f32 v5, v2, v3
	;;#ASMEND
	s_add_i32 s3, s3, s7
	v_lshlrev_b32_e32 v2, 16, v5
	s_and_b32 s22, s3, -4
	s_mov_b32 s23, 0x20000
	v_and_or_b32 v5, v6, s14, v2
	buffer_store_dwordx2 v[4:5], v1, s[20:23], 0 offen
	;;#ASMSTART
	s_nop 0
	;;#ASMEND
.LBB41_26:
	s_or_b64 exec, exec, s[10:11]
	s_cmp_lt_i32 s16, 1
	s_cbranch_scc1 .LBB41_12
.LBB41_27:
	s_load_dword s2, s[4:5], 0x94
	s_waitcnt lgkmcnt(0)
	s_cmp_lg_u32 s2, 1
	s_cbranch_scc1 .LBB41_12
; %bb.28:
	s_lshl_b32 s2, s16, 1
	s_add_i32 s2, s2, 2
	v_cmp_gt_u32_e32 vcc, s16, v1
	s_and_b32 s10, s2, -4
	v_mov_b32_e32 v10, 0
	v_lshlrev_b32_e32 v1, 4, v0
	v_mov_b32_e32 v6, 0
	v_mov_b32_e32 v7, 0
	;; [unrolled: 1-line block ×4, first 2 shown]
	s_waitcnt vmcnt(0)
	v_mov_b32_e32 v2, 0
	v_mov_b32_e32 v3, 0
	;; [unrolled: 1-line block ×4, first 2 shown]
	s_barrier
	s_and_saveexec_b64 s[2:3], vcc
	s_cbranch_execz .LBB41_30
; %bb.29:
	s_mul_hi_i32 s5, s18, s6
	s_mul_i32 s4, s18, s6
	s_and_b32 s9, s9, 0xffff
	s_lshl_b64 s[4:5], s[4:5], 1
	s_add_u32 s20, s26, s4
	s_mov_b32 s11, 0x20000
	s_addc_u32 s4, s27, s5
	s_and_b32 s21, s4, 0xffff
	s_mov_b32 s22, s10
	s_mov_b32 s23, s11
	buffer_load_dwordx4 v[6:9], v1, s[20:23], 0 offen glc slc
	buffer_load_dwordx4 v[2:5], v1, s[8:11], 0 offen
.LBB41_30:
	s_or_b64 exec, exec, s[2:3]
	v_mov_b32_e32 v11, 0
	v_mov_b32_e32 v16, 0
	;; [unrolled: 1-line block ×7, first 2 shown]
	s_and_saveexec_b64 s[2:3], vcc
	s_cbranch_execz .LBB41_32
; %bb.31:
	s_waitcnt vmcnt(1)
	v_cvt_f32_f16_sdwa v11, v6 dst_sel:DWORD dst_unused:UNUSED_PAD src0_sel:WORD_1
	v_cvt_f32_f16_e32 v10, v6
	v_cvt_f32_f16_sdwa v17, v7 dst_sel:DWORD dst_unused:UNUSED_PAD src0_sel:WORD_1
	v_cvt_f32_f16_e32 v16, v7
	;; [unrolled: 2-line block ×4, first 2 shown]
.LBB41_32:
	s_or_b64 exec, exec, s[2:3]
	s_waitcnt vmcnt(1)
	v_mul_f32_e32 v6, v11, v11
	v_fmac_f32_e32 v6, v10, v10
	v_fmac_f32_e32 v6, v16, v16
	v_fmac_f32_e32 v6, v17, v17
	v_fmac_f32_e32 v6, v14, v14
	v_fmac_f32_e32 v6, v15, v15
	v_fmac_f32_e32 v6, v12, v12
	v_fmac_f32_e32 v6, v13, v13
	s_nop 1
	v_mov_b32_dpp v7, v6 quad_perm:[1,0,3,2] row_mask:0xf bank_mask:0xf
	v_add_f32_e32 v6, v6, v7
	s_nop 1
	v_mov_b32_dpp v7, v6 quad_perm:[2,3,0,1] row_mask:0xf bank_mask:0xf
	v_add_f32_e32 v6, v6, v7
	s_nop 1
	v_mov_b32_dpp v7, v6 row_half_mirror row_mask:0xf bank_mask:0xf
	v_add_f32_e32 v6, v6, v7
	s_nop 1
	v_mov_b32_dpp v7, v6 row_mirror row_mask:0xf bank_mask:0xf
	v_add_f32_e32 v6, v6, v7
	s_nop 1
	v_mov_b32_dpp v7, v6 row_bcast:15 row_mask:0xf bank_mask:0xf
	v_add_f32_e32 v6, v6, v7
	s_nop 1
	v_mov_b32_dpp v7, v6 row_bcast:31 row_mask:0xf bank_mask:0xf
	s_and_saveexec_b64 s[2:3], s[0:1]
	s_cbranch_execz .LBB41_34
; %bb.33:
	v_lshrrev_b32_e32 v0, 4, v0
	v_add_f32_e32 v6, v6, v7
	v_and_b32_e32 v0, 60, v0
	ds_write_b32 v0, v6 offset:16
.LBB41_34:
	s_or_b64 exec, exec, s[2:3]
	s_waitcnt lgkmcnt(0)
	s_barrier
	ds_read_b32 v0, v18 offset:16
	s_waitcnt lgkmcnt(0)
	s_nop 0
	v_mov_b32_dpp v6, v0 quad_perm:[1,0,3,2] row_mask:0xf bank_mask:0xf
	v_add_f32_e32 v0, v0, v6
	s_nop 1
	v_mov_b32_dpp v6, v0 quad_perm:[2,3,0,1] row_mask:0xf bank_mask:0xf
	s_and_saveexec_b64 s[0:1], vcc
	s_cbranch_execz .LBB41_12
; %bb.35:
	v_cvt_f32_u32_e32 v7, s16
	v_add_f32_e32 v0, v0, v6
	s_mov_b32 s11, 0x20000
	v_div_scale_f32 v6, s[0:1], v7, v7, v0
	v_rcp_f32_e32 v8, v6
	v_div_scale_f32 v9, vcc, v0, v7, v0
	s_mov_b32 s0, 0x800000
	v_fma_f32 v18, -v6, v8, 1.0
	v_fmac_f32_e32 v8, v18, v8
	v_mul_f32_e32 v18, v9, v8
	v_fma_f32 v19, -v6, v18, v9
	v_fmac_f32_e32 v18, v19, v8
	v_fma_f32 v6, -v6, v18, v9
	v_div_fmas_f32 v6, v6, v8, v18
	v_div_fixup_f32 v0, v6, v7, v0
	v_add_f32_e32 v0, s13, v0
	v_mul_f32_e32 v6, 0x4b800000, v0
	v_cmp_gt_f32_e32 vcc, s0, v0
	v_cndmask_b32_e32 v0, v0, v6, vcc
	v_rsq_f32_e32 v0, v0
	s_waitcnt vmcnt(0)
	v_cvt_f32_f16_sdwa v19, v3 dst_sel:DWORD dst_unused:UNUSED_PAD src0_sel:WORD_1
	v_cvt_f32_f16_e32 v18, v3
	s_mul_hi_i32 s1, s29, s6
	v_mul_f32_e32 v6, 0x45800000, v0
	v_cndmask_b32_e32 v6, v0, v6, vcc
	v_mov_b32_e32 v7, v6
	;;#ASMSTART
	v_pk_mul_f32 v[8:9], v[10:11], v[6:7]
	;;#ASMEND
	;;#ASMSTART
	v_pk_mul_f32 v[10:11], v[16:17], v[6:7]
	;;#ASMEND
	v_cvt_f32_f16_sdwa v17, v2 dst_sel:DWORD dst_unused:UNUSED_PAD src0_sel:WORD_1
	v_cvt_f32_f16_e32 v16, v2
	;;#ASMSTART
	v_pk_mul_f32 v[14:15], v[14:15], v[6:7]
	;;#ASMEND
	;;#ASMSTART
	v_pk_mul_f32 v[2:3], v[12:13], v[6:7]
	;;#ASMEND
	v_cvt_f32_f16_sdwa v13, v4 dst_sel:DWORD dst_unused:UNUSED_PAD src0_sel:WORD_1
	v_cvt_f32_f16_e32 v12, v4
	v_pk_add_f32 v[6:7], v[16:17], 1.0 op_sel_hi:[1,0]
	v_cvt_f32_f16_sdwa v17, v5 dst_sel:DWORD dst_unused:UNUSED_PAD src0_sel:WORD_1
	v_cvt_f32_f16_e32 v16, v5
	;;#ASMSTART
	v_pk_mul_f32 v[6:7], v[8:9], v[6:7]
	;;#ASMEND
	v_pk_add_f32 v[8:9], v[18:19], 1.0 op_sel_hi:[1,0]
	;;#ASMSTART
	v_pk_mul_f32 v[4:5], v[10:11], v[8:9]
	;;#ASMEND
	v_pk_add_f32 v[8:9], v[12:13], 1.0 op_sel_hi:[1,0]
	;; [unrolled: 4-line block ×3, first 2 shown]
	;;#ASMSTART
	v_pk_mul_f32 v[2:3], v[2:3], v[10:11]
	;;#ASMEND
	s_mul_i32 s0, s29, s6
	v_cvt_f16_f32_e32 v0, v6
	v_cvt_f16_f32_e32 v6, v7
	;; [unrolled: 1-line block ×8, first 2 shown]
	s_lshl_b64 s[0:1], s[0:1], 1
	s_add_u32 s8, s24, s0
	s_addc_u32 s0, s25, s1
	s_and_b32 s9, s0, 0xffff
	v_pack_b32_f16 v2, v0, v6
	v_pack_b32_f16 v3, v4, v5
	;; [unrolled: 1-line block ×4, first 2 shown]
	buffer_store_dwordx4 v[2:5], v1, s[8:11], 0 offen
	;;#ASMSTART
	s_nop 0
	;;#ASMEND
	s_endpgm
	.section	.rodata,"a",@progbits
	.p2align	6, 0x0
	.amdhsa_kernel _ZN5aiter35fused_qk_rmsnorm_group_quant_kernelIDF16_DB8_Li256ELi8ELi1ELb0ELb1ELb1ELb0ELb1ELb1EEEvPT0_PvPT_S6_S6_PKS5_S8_S8_S8_S8_ffiiiiiiiiiiiii
		.amdhsa_group_segment_fixed_size 48
		.amdhsa_private_segment_fixed_size 0
		.amdhsa_kernarg_size 400
		.amdhsa_user_sgpr_count 6
		.amdhsa_user_sgpr_private_segment_buffer 1
		.amdhsa_user_sgpr_dispatch_ptr 0
		.amdhsa_user_sgpr_queue_ptr 0
		.amdhsa_user_sgpr_kernarg_segment_ptr 1
		.amdhsa_user_sgpr_dispatch_id 0
		.amdhsa_user_sgpr_flat_scratch_init 0
		.amdhsa_user_sgpr_kernarg_preload_length 0
		.amdhsa_user_sgpr_kernarg_preload_offset 0
		.amdhsa_user_sgpr_private_segment_size 0
		.amdhsa_uses_dynamic_stack 0
		.amdhsa_system_sgpr_private_segment_wavefront_offset 0
		.amdhsa_system_sgpr_workgroup_id_x 1
		.amdhsa_system_sgpr_workgroup_id_y 1
		.amdhsa_system_sgpr_workgroup_id_z 0
		.amdhsa_system_sgpr_workgroup_info 0
		.amdhsa_system_vgpr_workitem_id 0
		.amdhsa_next_free_vgpr 23
		.amdhsa_next_free_sgpr 32
		.amdhsa_accum_offset 24
		.amdhsa_reserve_vcc 1
		.amdhsa_reserve_flat_scratch 0
		.amdhsa_float_round_mode_32 0
		.amdhsa_float_round_mode_16_64 0
		.amdhsa_float_denorm_mode_32 3
		.amdhsa_float_denorm_mode_16_64 3
		.amdhsa_dx10_clamp 1
		.amdhsa_ieee_mode 1
		.amdhsa_fp16_overflow 0
		.amdhsa_tg_split 0
		.amdhsa_exception_fp_ieee_invalid_op 0
		.amdhsa_exception_fp_denorm_src 0
		.amdhsa_exception_fp_ieee_div_zero 0
		.amdhsa_exception_fp_ieee_overflow 0
		.amdhsa_exception_fp_ieee_underflow 0
		.amdhsa_exception_fp_ieee_inexact 0
		.amdhsa_exception_int_div_zero 0
	.end_amdhsa_kernel
	.section	.text._ZN5aiter35fused_qk_rmsnorm_group_quant_kernelIDF16_DB8_Li256ELi8ELi1ELb0ELb1ELb1ELb0ELb1ELb1EEEvPT0_PvPT_S6_S6_PKS5_S8_S8_S8_S8_ffiiiiiiiiiiiii,"axG",@progbits,_ZN5aiter35fused_qk_rmsnorm_group_quant_kernelIDF16_DB8_Li256ELi8ELi1ELb0ELb1ELb1ELb0ELb1ELb1EEEvPT0_PvPT_S6_S6_PKS5_S8_S8_S8_S8_ffiiiiiiiiiiiii,comdat
.Lfunc_end41:
	.size	_ZN5aiter35fused_qk_rmsnorm_group_quant_kernelIDF16_DB8_Li256ELi8ELi1ELb0ELb1ELb1ELb0ELb1ELb1EEEvPT0_PvPT_S6_S6_PKS5_S8_S8_S8_S8_ffiiiiiiiiiiiii, .Lfunc_end41-_ZN5aiter35fused_qk_rmsnorm_group_quant_kernelIDF16_DB8_Li256ELi8ELi1ELb0ELb1ELb1ELb0ELb1ELb1EEEvPT0_PvPT_S6_S6_PKS5_S8_S8_S8_S8_ffiiiiiiiiiiiii
                                        ; -- End function
	.section	.AMDGPU.csdata,"",@progbits
; Kernel info:
; codeLenInByte = 2828
; NumSgprs: 36
; NumVgprs: 23
; NumAgprs: 0
; TotalNumVgprs: 23
; ScratchSize: 0
; MemoryBound: 0
; FloatMode: 240
; IeeeMode: 1
; LDSByteSize: 48 bytes/workgroup (compile time only)
; SGPRBlocks: 4
; VGPRBlocks: 2
; NumSGPRsForWavesPerEU: 36
; NumVGPRsForWavesPerEU: 23
; AccumOffset: 24
; Occupancy: 8
; WaveLimiterHint : 0
; COMPUTE_PGM_RSRC2:SCRATCH_EN: 0
; COMPUTE_PGM_RSRC2:USER_SGPR: 6
; COMPUTE_PGM_RSRC2:TRAP_HANDLER: 0
; COMPUTE_PGM_RSRC2:TGID_X_EN: 1
; COMPUTE_PGM_RSRC2:TGID_Y_EN: 1
; COMPUTE_PGM_RSRC2:TGID_Z_EN: 0
; COMPUTE_PGM_RSRC2:TIDIG_COMP_CNT: 0
; COMPUTE_PGM_RSRC3_GFX90A:ACCUM_OFFSET: 5
; COMPUTE_PGM_RSRC3_GFX90A:TG_SPLIT: 0
	.section	.text._ZN5aiter35fused_qk_rmsnorm_group_quant_kernelItDB8_Li256ELi8ELi1ELb0ELb1ELb1ELb0ELb1ELb1EEEvPT0_PvPT_S6_S6_PKS5_S8_S8_S8_S8_ffiiiiiiiiiiiii,"axG",@progbits,_ZN5aiter35fused_qk_rmsnorm_group_quant_kernelItDB8_Li256ELi8ELi1ELb0ELb1ELb1ELb0ELb1ELb1EEEvPT0_PvPT_S6_S6_PKS5_S8_S8_S8_S8_ffiiiiiiiiiiiii,comdat
	.protected	_ZN5aiter35fused_qk_rmsnorm_group_quant_kernelItDB8_Li256ELi8ELi1ELb0ELb1ELb1ELb0ELb1ELb1EEEvPT0_PvPT_S6_S6_PKS5_S8_S8_S8_S8_ffiiiiiiiiiiiii ; -- Begin function _ZN5aiter35fused_qk_rmsnorm_group_quant_kernelItDB8_Li256ELi8ELi1ELb0ELb1ELb1ELb0ELb1ELb1EEEvPT0_PvPT_S6_S6_PKS5_S8_S8_S8_S8_ffiiiiiiiiiiiii
	.globl	_ZN5aiter35fused_qk_rmsnorm_group_quant_kernelItDB8_Li256ELi8ELi1ELb0ELb1ELb1ELb0ELb1ELb1EEEvPT0_PvPT_S6_S6_PKS5_S8_S8_S8_S8_ffiiiiiiiiiiiii
	.p2align	8
	.type	_ZN5aiter35fused_qk_rmsnorm_group_quant_kernelItDB8_Li256ELi8ELi1ELb0ELb1ELb1ELb0ELb1ELb1EEEvPT0_PvPT_S6_S6_PKS5_S8_S8_S8_S8_ffiiiiiiiiiiiii,@function
_ZN5aiter35fused_qk_rmsnorm_group_quant_kernelItDB8_Li256ELi8ELi1ELb0ELb1ELb1ELb0ELb1ELb1EEEvPT0_PvPT_S6_S6_PKS5_S8_S8_S8_S8_ffiiiiiiiiiiiii: ; @_ZN5aiter35fused_qk_rmsnorm_group_quant_kernelItDB8_Li256ELi8ELi1ELb0ELb1ELb1ELb0ELb1ELb1EEEvPT0_PvPT_S6_S6_PKS5_S8_S8_S8_S8_ffiiiiiiiiiiiii
; %bb.0:
	s_load_dwordx4 s[12:15], s[4:5], 0x50
	s_waitcnt lgkmcnt(0)
	s_cmp_ge_i32 s6, s14
	s_cbranch_scc1 .LBB42_10
; %bb.1:
	s_load_dwordx2 s[8:9], s[4:5], 0x48
	s_load_dwordx2 s[26:27], s[4:5], 0x30
	s_load_dwordx4 s[16:19], s[4:5], 0x60
	s_cmp_lg_u32 s7, 0
	s_cselect_b64 s[10:11], -1, 0
	s_cmp_eq_u32 s7, 0
	s_cselect_b64 vcc, -1, 0
	s_and_b64 s[0:1], vcc, exec
	s_waitcnt lgkmcnt(0)
	s_cselect_b32 s7, s15, s16
	s_add_i32 s0, s7, 1
	s_lshr_b32 s1, s0, 31
	s_add_i32 s0, s0, s1
	s_lshl_b32 s0, s0, 1
	v_lshlrev_b32_e32 v1, 3, v0
	s_and_b32 s22, s0, -4
	v_cmp_gt_i32_e64 s[2:3], s7, v1
	v_mov_b32_e32 v2, 0
	v_mov_b32_e32 v3, 0
	;; [unrolled: 1-line block ×8, first 2 shown]
	s_and_saveexec_b64 s[0:1], s[2:3]
	s_cbranch_execz .LBB42_3
; %bb.2:
	s_load_dwordx2 s[20:21], s[4:5], 0x28
	s_load_dwordx2 s[24:25], s[4:5], 0x40
	s_and_b64 s[28:29], vcc, exec
	s_cselect_b32 s14, s17, s18
	s_mov_b32 s23, 0x20000
	s_waitcnt lgkmcnt(0)
	s_cselect_b32 s17, s21, s27
	s_cselect_b32 s19, s20, s26
	s_mul_hi_i32 s21, s14, s6
	s_mul_i32 s20, s14, s6
	s_lshl_b64 s[20:21], s[20:21], 1
	s_add_u32 s28, s19, s20
	s_addc_u32 s14, s17, s21
	s_and_b64 s[20:21], vcc, exec
	s_cselect_b32 s20, s24, s8
	s_cselect_b32 s17, s25, s9
	v_lshlrev_b32_e32 v10, 4, v0
	s_and_b32 s29, s14, 0xffff
	s_mov_b32 s30, s22
	s_mov_b32 s31, s23
	s_and_b32 s21, s17, 0xffff
	buffer_load_dwordx4 v[6:9], v10, s[28:31], 0 offen glc slc
	buffer_load_dwordx4 v[2:5], v10, s[20:23], 0 offen
.LBB42_3:
	s_or_b64 exec, exec, s[0:1]
	s_waitcnt vmcnt(1)
	v_cvt_f32_u32_sdwa v13, v6 dst_sel:DWORD dst_unused:UNUSED_PAD src0_sel:WORD_1
	v_cvt_f32_u32_sdwa v12, v6 dst_sel:DWORD dst_unused:UNUSED_PAD src0_sel:WORD_0
	v_cvt_f32_u32_sdwa v6, v9 dst_sel:DWORD dst_unused:UNUSED_PAD src0_sel:WORD_1
	v_cvt_f32_u32_sdwa v9, v9 dst_sel:DWORD dst_unused:UNUSED_PAD src0_sel:WORD_0
	;; [unrolled: 2-line block ×4, first 2 shown]
	v_cndmask_b32_e64 v13, 0, v13, s[2:3]
	v_cndmask_b32_e64 v7, 0, v6, s[2:3]
	;; [unrolled: 1-line block ×5, first 2 shown]
	v_mul_f32_e32 v14, v13, v13
	v_cndmask_b32_e64 v10, 0, v10, s[2:3]
	v_fmac_f32_e32 v14, v12, v12
	v_cndmask_b32_e64 v11, 0, v11, s[2:3]
	v_fmac_f32_e32 v14, v10, v10
	;; [unrolled: 2-line block ×3, first 2 shown]
	v_fmac_f32_e32 v14, v8, v8
	v_fmac_f32_e32 v14, v9, v9
	v_fmac_f32_e32 v14, v6, v6
	v_fmac_f32_e32 v14, v7, v7
	v_and_b32_e32 v16, 63, v0
	v_cmp_eq_u32_e64 s[0:1], 63, v16
	v_mov_b32_dpp v15, v14 quad_perm:[1,0,3,2] row_mask:0xf bank_mask:0xf
	v_add_f32_e32 v14, v14, v15
	s_nop 1
	v_mov_b32_dpp v15, v14 quad_perm:[2,3,0,1] row_mask:0xf bank_mask:0xf
	v_add_f32_e32 v14, v14, v15
	s_nop 1
	v_mov_b32_dpp v15, v14 row_half_mirror row_mask:0xf bank_mask:0xf
	v_add_f32_e32 v14, v14, v15
	s_nop 1
	v_mov_b32_dpp v15, v14 row_mirror row_mask:0xf bank_mask:0xf
	v_add_f32_e32 v14, v14, v15
	s_nop 1
	v_mov_b32_dpp v15, v14 row_bcast:15 row_mask:0xf bank_mask:0xf
	v_add_f32_e32 v14, v14, v15
	s_nop 1
	v_mov_b32_dpp v15, v14 row_bcast:31 row_mask:0xf bank_mask:0xf
	s_and_saveexec_b64 s[20:21], s[0:1]
	s_cbranch_execz .LBB42_5
; %bb.4:
	v_add_f32_e32 v14, v14, v15
	v_lshrrev_b32_e32 v15, 4, v0
	v_and_b32_e32 v15, 60, v15
	ds_write_b32 v15, v14 offset:32
.LBB42_5:
	s_or_b64 exec, exec, s[20:21]
	v_and_b32_e32 v14, 3, v0
	v_lshlrev_b32_e32 v14, 2, v14
	s_waitcnt lgkmcnt(0)
	s_barrier
	ds_read_b32 v15, v14 offset:32
	s_load_dwordx2 s[24:25], s[4:5], 0x18
	s_waitcnt lgkmcnt(0)
	v_mov_b32_dpp v16, v15 quad_perm:[1,0,3,2] row_mask:0xf bank_mask:0xf
	v_add_f32_e32 v15, v15, v16
	s_nop 1
	v_mov_b32_dpp v16, v15 quad_perm:[2,3,0,1] row_mask:0xf bank_mask:0xf
	s_and_saveexec_b64 s[20:21], s[2:3]
	s_cbranch_execz .LBB42_7
; %bb.6:
	v_cvt_f32_u32_e32 v17, s7
	v_add_f32_e32 v15, v15, v16
	v_mov_b32_e32 v19, s13
	v_mov_b32_e32 v20, s12
	v_div_scale_f32 v16, s[28:29], v17, v17, v15
	v_rcp_f32_e32 v18, v16
	v_cndmask_b32_e32 v19, v19, v20, vcc
	s_mov_b32 s7, 0x800000
	v_fma_f32 v20, -v16, v18, 1.0
	v_fmac_f32_e32 v18, v20, v18
	v_div_scale_f32 v20, vcc, v15, v17, v15
	v_mul_f32_e32 v21, v20, v18
	v_fma_f32 v22, -v16, v21, v20
	v_fmac_f32_e32 v21, v22, v18
	v_fma_f32 v16, -v16, v21, v20
	v_div_fmas_f32 v16, v16, v18, v21
	v_div_fixup_f32 v15, v16, v17, v15
	v_add_f32_e32 v15, v19, v15
	v_mul_f32_e32 v16, 0x4b800000, v15
	v_cmp_gt_f32_e32 vcc, s7, v15
	v_cndmask_b32_e32 v15, v15, v16, vcc
	v_rsq_f32_e32 v15, v15
	s_waitcnt vmcnt(0)
	v_cvt_f32_u32_sdwa v19, v2 dst_sel:DWORD dst_unused:UNUSED_PAD src0_sel:WORD_1
	v_cvt_f32_u32_sdwa v18, v2 dst_sel:DWORD dst_unused:UNUSED_PAD src0_sel:WORD_0
	v_cvt_f32_u32_sdwa v21, v3 dst_sel:DWORD dst_unused:UNUSED_PAD src0_sel:WORD_1
	v_mul_f32_e32 v16, 0x45800000, v15
	v_cndmask_b32_e32 v16, v15, v16, vcc
	v_mov_b32_e32 v17, v16
	;;#ASMSTART
	v_pk_mul_f32 v[12:13], v[12:13], v[16:17]
	;;#ASMEND
	;;#ASMSTART
	v_pk_mul_f32 v[10:11], v[10:11], v[16:17]
	;;#ASMEND
	;;#ASMSTART
	v_pk_mul_f32 v[8:9], v[8:9], v[16:17]
	;;#ASMEND
	v_cvt_f32_u32_sdwa v20, v3 dst_sel:DWORD dst_unused:UNUSED_PAD src0_sel:WORD_0
	;;#ASMSTART
	v_pk_mul_f32 v[2:3], v[6:7], v[16:17]
	;;#ASMEND
	v_cvt_f32_u32_sdwa v17, v4 dst_sel:DWORD dst_unused:UNUSED_PAD src0_sel:WORD_1
	v_cvt_f32_u32_sdwa v16, v4 dst_sel:DWORD dst_unused:UNUSED_PAD src0_sel:WORD_0
	v_pk_add_f32 v[6:7], v[18:19], 1.0 op_sel_hi:[1,0]
	v_cvt_f32_u32_sdwa v19, v5 dst_sel:DWORD dst_unused:UNUSED_PAD src0_sel:WORD_1
	v_cvt_f32_u32_sdwa v18, v5 dst_sel:DWORD dst_unused:UNUSED_PAD src0_sel:WORD_0
	;;#ASMSTART
	v_pk_mul_f32 v[12:13], v[12:13], v[6:7]
	;;#ASMEND
	v_pk_add_f32 v[6:7], v[20:21], 1.0 op_sel_hi:[1,0]
	v_pk_add_f32 v[4:5], v[16:17], 1.0 op_sel_hi:[1,0]
	;;#ASMSTART
	v_pk_mul_f32 v[10:11], v[10:11], v[6:7]
	;;#ASMEND
	;;#ASMSTART
	v_pk_mul_f32 v[8:9], v[8:9], v[4:5]
	;;#ASMEND
	v_pk_add_f32 v[4:5], v[18:19], 1.0 op_sel_hi:[1,0]
	;;#ASMSTART
	v_pk_mul_f32 v[6:7], v[2:3], v[4:5]
	;;#ASMEND
.LBB42_7:
	s_or_b64 exec, exec, s[20:21]
	s_load_dwordx2 s[28:29], s[4:5], 0x7c
	s_mov_b64 s[20:21], -1
	s_and_b64 vcc, exec, s[10:11]
	s_cbranch_vccnz .LBB42_11
; %bb.8:
	s_andn2_b64 vcc, exec, s[20:21]
	s_cbranch_vccz .LBB42_14
.LBB42_9:
	s_cmp_lt_i32 s16, 1
	s_cbranch_scc0 .LBB42_25
.LBB42_10:
	s_endpgm
.LBB42_11:
	s_and_saveexec_b64 s[10:11], s[2:3]
	s_cbranch_execz .LBB42_13
; %bb.12:
	s_waitcnt lgkmcnt(0)
	s_mul_hi_i32 s21, s29, s6
	s_mul_i32 s20, s29, s6
	s_lshl_b64 s[20:21], s[20:21], 1
	s_add_u32 s20, s24, s20
	s_addc_u32 s7, s25, s21
	s_and_b32 s21, s7, 0xffff
	s_mov_b32 s7, 0x7060302
	s_mov_b32 s23, 0x20000
	s_waitcnt vmcnt(0)
	v_perm_b32 v2, v13, v12, s7
	v_perm_b32 v3, v11, v10, s7
	;; [unrolled: 1-line block ×4, first 2 shown]
	v_lshlrev_b32_e32 v15, 4, v0
	buffer_store_dwordx4 v[2:5], v15, s[20:23], 0 offen
	;;#ASMSTART
	s_nop 0
	;;#ASMEND
.LBB42_13:
	s_or_b64 exec, exec, s[10:11]
	s_cbranch_execnz .LBB42_9
.LBB42_14:
	s_waitcnt vmcnt(0)
	v_mov_b32_e32 v2, 0
	s_and_saveexec_b64 s[10:11], s[2:3]
	s_cbranch_execz .LBB42_16
; %bb.15:
	s_load_dwordx2 s[20:21], s[4:5], 0x10
	s_waitcnt lgkmcnt(0)
	s_mul_hi_i32 s31, s28, s6
	s_mul_i32 s30, s28, s6
	s_lshl_b64 s[30:31], s[30:31], 1
	s_mov_b32 s23, 0x20000
	s_add_u32 s20, s20, s30
	s_addc_u32 s7, s21, s31
	s_and_b32 s21, s7, 0xffff
	s_mov_b32 s7, 0x7060302
	v_perm_b32 v2, v13, v12, s7
	v_perm_b32 v3, v11, v10, s7
	;; [unrolled: 1-line block ×4, first 2 shown]
	v_lshlrev_b32_e32 v15, 4, v0
	buffer_store_dwordx4 v[2:5], v15, s[20:23], 0 offen
	;;#ASMSTART
	s_nop 0
	;;#ASMEND
	s_nop 0
	v_mov_b32_e32 v2, 0x2edbe6ff
.LBB42_16:
	s_or_b64 exec, exec, s[10:11]
	s_and_saveexec_b64 s[10:11], s[2:3]
	s_cbranch_execz .LBB42_18
; %bb.17:
	v_and_b32_e32 v3, 0x7fffffff, v12
	v_and_b32_e32 v4, 0x7fffffff, v13
	;;#ASMSTART
	v_max3_f32 v2, v2, v3, v4

	;;#ASMEND
	v_and_b32_e32 v3, 0x7fffffff, v10
	v_and_b32_e32 v4, 0x7fffffff, v11
	;;#ASMSTART
	v_max3_f32 v2, v2, v3, v4

	;;#ASMEND
	;; [unrolled: 6-line block ×4, first 2 shown]
.LBB42_18:
	s_or_b64 exec, exec, s[10:11]
	s_nop 0
	v_mov_b32_dpp v3, v2 quad_perm:[1,0,3,2] row_mask:0xf bank_mask:0xf
	v_cmp_gt_f32_e32 vcc, v2, v3
	v_cndmask_b32_e32 v2, v3, v2, vcc
	s_nop 1
	v_mov_b32_dpp v3, v2 quad_perm:[2,3,0,1] row_mask:0xf bank_mask:0xf
	v_cmp_gt_f32_e32 vcc, v2, v3
	v_cndmask_b32_e32 v2, v3, v2, vcc
	s_nop 1
	v_mov_b32_dpp v3, v2 row_half_mirror row_mask:0xf bank_mask:0xf
	v_cmp_gt_f32_e32 vcc, v2, v3
	v_cndmask_b32_e32 v2, v3, v2, vcc
	s_nop 1
	v_mov_b32_dpp v3, v2 row_mirror row_mask:0xf bank_mask:0xf
	v_cmp_gt_f32_e32 vcc, v2, v3
	v_cndmask_b32_e32 v2, v3, v2, vcc
	s_nop 1
	v_mov_b32_dpp v3, v2 row_bcast:15 row_mask:0xf bank_mask:0xf
	v_cmp_gt_f32_e32 vcc, v2, v3
	v_cndmask_b32_e32 v2, v3, v2, vcc
	s_nop 1
	v_mov_b32_dpp v3, v2 row_bcast:31 row_mask:0xf bank_mask:0xf
	s_and_saveexec_b64 s[10:11], s[0:1]
	s_cbranch_execz .LBB42_20
; %bb.19:
	v_cmp_gt_f32_e32 vcc, v2, v3
	v_cndmask_b32_e32 v2, v3, v2, vcc
	v_lshrrev_b32_e32 v3, 4, v0
	v_and_b32_e32 v3, 60, v3
	ds_write_b32 v3, v2
.LBB42_20:
	s_or_b64 exec, exec, s[10:11]
	s_waitcnt lgkmcnt(0)
	s_barrier
	ds_read_b32 v2, v14
	s_load_dwordx2 s[20:21], s[4:5], 0x70
	s_waitcnt lgkmcnt(0)
	v_mov_b32_dpp v3, v2 quad_perm:[1,0,3,2] row_mask:0xf bank_mask:0xf
	v_cmp_gt_f32_e32 vcc, v2, v3
	v_cndmask_b32_e32 v2, v3, v2, vcc
	s_nop 1
	v_mov_b32_dpp v3, v2 quad_perm:[2,3,0,1] row_mask:0xf bank_mask:0xf
	v_cmp_gt_f32_e32 vcc, v2, v3
	v_cndmask_b32_e32 v2, v3, v2, vcc
	v_mul_f32_e32 v2, 0x3b124925, v2
	v_cmp_eq_u32_e32 vcc, 0, v0
	s_and_saveexec_b64 s[10:11], vcc
	s_cbranch_execz .LBB42_22
; %bb.21:
	s_load_dwordx2 s[22:23], s[4:5], 0x8
	s_mul_hi_i32 s31, s21, s6
	s_mul_i32 s30, s21, s6
	s_lshl_b64 s[30:31], s[30:31], 2
	v_mov_b32_e32 v3, 0
	s_waitcnt lgkmcnt(0)
	s_add_u32 s22, s22, s30
	s_addc_u32 s23, s23, s31
	global_store_dword v3, v2, s[22:23]
.LBB42_22:
	s_or_b64 exec, exec, s[10:11]
	;;#ASMSTART
	v_rcp_f32 v2, v2
	;;#ASMEND
	s_and_saveexec_b64 s[10:11], s[2:3]
	s_cbranch_execz .LBB42_24
; %bb.23:
	s_load_dwordx2 s[2:3], s[4:5], 0x0
	s_mul_i32 s12, s20, s6
	v_mov_b32_e32 v3, v2
	;;#ASMSTART
	v_pk_mul_f32 v[4:5], v[12:13], v[2:3]
	;;#ASMEND
	s_mul_hi_i32 s7, s20, s6
	s_waitcnt lgkmcnt(0)
	s_add_u32 s20, s2, s12
	v_mov_b32_e32 v12, 0xc3e00000
	v_mov_b32_e32 v13, 0x43e00000
	;;#ASMSTART
	v_med3_f32 v4, v4, v12, v13
v_med3_f32 v5, v5, v12, v13
v_cvt_pk_fp8_f32 v15, v4, v5
	;;#ASMEND
	s_addc_u32 s2, s3, s7
	;;#ASMSTART
	v_pk_mul_f32 v[4:5], v[10:11], v[2:3]
	;;#ASMEND
	s_and_b32 s21, s2, 0xffff
	;;#ASMSTART
	v_med3_f32 v4, v4, v12, v13
v_med3_f32 v5, v5, v12, v13
v_cvt_pk_fp8_f32 v10, v4, v5
	;;#ASMEND
	s_mov_b32 s2, 0x5040100
	v_perm_b32 v5, v10, v15, s2
	s_movk_i32 s2, 0xff
	v_and_b32_e32 v4, 0xffffff00, v10
	v_and_b32_sdwa v10, v5, s2 dst_sel:DWORD dst_unused:UNUSED_PAD src0_sel:WORD_1 src1_sel:DWORD
	s_mov_b32 s14, 0xffff
	v_or_b32_sdwa v4, v10, v4 dst_sel:WORD_1 dst_unused:UNUSED_PAD src0_sel:DWORD src1_sel:DWORD
	s_add_i32 s3, s15, 3
	v_and_or_b32 v4, v5, s14, v4
	;;#ASMSTART
	v_pk_mul_f32 v[8:9], v[8:9], v[2:3]
	;;#ASMEND
	v_mov_b32_e32 v5, v9
	s_ashr_i32 s7, s3, 31
	;;#ASMSTART
	v_med3_f32 v8, v8, v12, v13
v_med3_f32 v5, v5, v12, v13
v_cvt_pk_fp8_f32 v9, v8, v5
	;;#ASMEND
	;;#ASMSTART
	v_pk_mul_f32 v[2:3], v[6:7], v[2:3]
	;;#ASMEND
	s_lshr_b32 s7, s7, 30
	;;#ASMSTART
	v_med3_f32 v2, v2, v12, v13
v_med3_f32 v3, v3, v12, v13
v_cvt_pk_fp8_f32 v5, v2, v3
	;;#ASMEND
	s_add_i32 s3, s3, s7
	v_lshlrev_b32_e32 v2, 16, v5
	s_and_b32 s22, s3, -4
	s_mov_b32 s23, 0x20000
	v_and_or_b32 v5, v9, s14, v2
	buffer_store_dwordx2 v[4:5], v1, s[20:23], 0 offen
	;;#ASMSTART
	s_nop 0
	;;#ASMEND
.LBB42_24:
	s_or_b64 exec, exec, s[10:11]
	s_cmp_lt_i32 s16, 1
	s_cbranch_scc1 .LBB42_10
.LBB42_25:
	s_load_dword s2, s[4:5], 0x94
	s_waitcnt lgkmcnt(0)
	s_cmp_lg_u32 s2, 1
	s_cbranch_scc1 .LBB42_10
; %bb.26:
	s_lshl_b32 s2, s16, 1
	s_add_i32 s2, s2, 2
	v_cmp_gt_u32_e32 vcc, s16, v1
	s_and_b32 s10, s2, -4
	v_mov_b32_e32 v6, 0
	v_lshlrev_b32_e32 v1, 4, v0
	v_mov_b32_e32 v7, 0
	v_mov_b32_e32 v8, 0
	v_mov_b32_e32 v9, 0
	s_waitcnt vmcnt(0)
	v_mov_b32_e32 v2, 0
	v_mov_b32_e32 v3, 0
	;; [unrolled: 1-line block ×4, first 2 shown]
	s_barrier
	s_and_saveexec_b64 s[2:3], vcc
	s_cbranch_execz .LBB42_28
; %bb.27:
	s_mul_hi_i32 s5, s18, s6
	s_mul_i32 s4, s18, s6
	s_and_b32 s9, s9, 0xffff
	s_lshl_b64 s[4:5], s[4:5], 1
	s_add_u32 s20, s26, s4
	s_mov_b32 s11, 0x20000
	s_addc_u32 s4, s27, s5
	s_and_b32 s21, s4, 0xffff
	s_mov_b32 s22, s10
	s_mov_b32 s23, s11
	buffer_load_dwordx4 v[6:9], v1, s[20:23], 0 offen glc slc
	buffer_load_dwordx4 v[2:5], v1, s[8:11], 0 offen
.LBB42_28:
	s_or_b64 exec, exec, s[2:3]
	s_waitcnt vmcnt(1)
	v_cvt_f32_u32_sdwa v13, v6 dst_sel:DWORD dst_unused:UNUSED_PAD src0_sel:WORD_1
	v_cvt_f32_u32_sdwa v12, v6 dst_sel:DWORD dst_unused:UNUSED_PAD src0_sel:WORD_0
	v_cvt_f32_u32_sdwa v6, v9 dst_sel:DWORD dst_unused:UNUSED_PAD src0_sel:WORD_1
	v_cvt_f32_u32_sdwa v9, v9 dst_sel:DWORD dst_unused:UNUSED_PAD src0_sel:WORD_0
	;; [unrolled: 2-line block ×4, first 2 shown]
	v_cndmask_b32_e32 v13, 0, v13, vcc
	v_cndmask_b32_e32 v7, 0, v6, vcc
	;; [unrolled: 1-line block ×5, first 2 shown]
	v_mul_f32_e32 v15, v13, v13
	v_cndmask_b32_e32 v10, 0, v10, vcc
	v_fmac_f32_e32 v15, v12, v12
	v_cndmask_b32_e32 v11, 0, v11, vcc
	v_fmac_f32_e32 v15, v10, v10
	;; [unrolled: 2-line block ×3, first 2 shown]
	v_fmac_f32_e32 v15, v8, v8
	v_fmac_f32_e32 v15, v9, v9
	;; [unrolled: 1-line block ×4, first 2 shown]
	s_nop 1
	v_mov_b32_dpp v16, v15 quad_perm:[1,0,3,2] row_mask:0xf bank_mask:0xf
	v_add_f32_e32 v15, v15, v16
	s_nop 1
	v_mov_b32_dpp v16, v15 quad_perm:[2,3,0,1] row_mask:0xf bank_mask:0xf
	v_add_f32_e32 v15, v15, v16
	s_nop 1
	v_mov_b32_dpp v16, v15 row_half_mirror row_mask:0xf bank_mask:0xf
	v_add_f32_e32 v15, v15, v16
	s_nop 1
	v_mov_b32_dpp v16, v15 row_mirror row_mask:0xf bank_mask:0xf
	v_add_f32_e32 v15, v15, v16
	s_nop 1
	v_mov_b32_dpp v16, v15 row_bcast:15 row_mask:0xf bank_mask:0xf
	v_add_f32_e32 v15, v15, v16
	s_nop 1
	v_mov_b32_dpp v16, v15 row_bcast:31 row_mask:0xf bank_mask:0xf
	s_and_saveexec_b64 s[2:3], s[0:1]
	s_cbranch_execz .LBB42_30
; %bb.29:
	v_lshrrev_b32_e32 v0, 4, v0
	v_add_f32_e32 v15, v15, v16
	v_and_b32_e32 v0, 60, v0
	ds_write_b32 v0, v15 offset:16
.LBB42_30:
	s_or_b64 exec, exec, s[2:3]
	s_waitcnt lgkmcnt(0)
	s_barrier
	ds_read_b32 v0, v14 offset:16
	s_waitcnt lgkmcnt(0)
	s_nop 0
	v_mov_b32_dpp v14, v0 quad_perm:[1,0,3,2] row_mask:0xf bank_mask:0xf
	v_add_f32_e32 v0, v0, v14
	s_nop 1
	v_mov_b32_dpp v14, v0 quad_perm:[2,3,0,1] row_mask:0xf bank_mask:0xf
	s_and_saveexec_b64 s[0:1], vcc
	s_cbranch_execz .LBB42_10
; %bb.31:
	v_cvt_f32_u32_e32 v15, s16
	v_add_f32_e32 v0, v0, v14
	s_mov_b32 s11, 0x20000
	v_div_scale_f32 v14, s[0:1], v15, v15, v0
	v_rcp_f32_e32 v16, v14
	v_div_scale_f32 v17, vcc, v0, v15, v0
	s_mov_b32 s0, 0x800000
	v_fma_f32 v18, -v14, v16, 1.0
	v_fmac_f32_e32 v16, v18, v16
	v_mul_f32_e32 v18, v17, v16
	v_fma_f32 v19, -v14, v18, v17
	v_fmac_f32_e32 v18, v19, v16
	v_fma_f32 v14, -v14, v18, v17
	v_div_fmas_f32 v14, v14, v16, v18
	v_div_fixup_f32 v0, v14, v15, v0
	v_add_f32_e32 v0, s13, v0
	v_mul_f32_e32 v14, 0x4b800000, v0
	v_cmp_gt_f32_e32 vcc, s0, v0
	v_cndmask_b32_e32 v0, v0, v14, vcc
	v_rsq_f32_e32 v0, v0
	s_waitcnt vmcnt(0)
	v_cvt_f32_u32_sdwa v17, v2 dst_sel:DWORD dst_unused:UNUSED_PAD src0_sel:WORD_1
	v_cvt_f32_u32_sdwa v16, v2 dst_sel:DWORD dst_unused:UNUSED_PAD src0_sel:WORD_0
	v_cvt_f32_u32_sdwa v19, v3 dst_sel:DWORD dst_unused:UNUSED_PAD src0_sel:WORD_1
	v_mul_f32_e32 v14, 0x45800000, v0
	v_cndmask_b32_e32 v14, v0, v14, vcc
	v_mov_b32_e32 v15, v14
	;;#ASMSTART
	v_pk_mul_f32 v[12:13], v[12:13], v[14:15]
	;;#ASMEND
	;;#ASMSTART
	v_pk_mul_f32 v[10:11], v[10:11], v[14:15]
	;;#ASMEND
	;; [unrolled: 3-line block ×3, first 2 shown]
	v_cvt_f32_u32_sdwa v18, v3 dst_sel:DWORD dst_unused:UNUSED_PAD src0_sel:WORD_0
	;;#ASMSTART
	v_pk_mul_f32 v[2:3], v[6:7], v[14:15]
	;;#ASMEND
	v_cvt_f32_u32_sdwa v15, v4 dst_sel:DWORD dst_unused:UNUSED_PAD src0_sel:WORD_1
	v_cvt_f32_u32_sdwa v14, v4 dst_sel:DWORD dst_unused:UNUSED_PAD src0_sel:WORD_0
	v_pk_add_f32 v[6:7], v[16:17], 1.0 op_sel_hi:[1,0]
	v_cvt_f32_u32_sdwa v17, v5 dst_sel:DWORD dst_unused:UNUSED_PAD src0_sel:WORD_1
	v_cvt_f32_u32_sdwa v16, v5 dst_sel:DWORD dst_unused:UNUSED_PAD src0_sel:WORD_0
	s_mul_hi_i32 s1, s29, s6
	s_mul_i32 s0, s29, s6
	s_lshl_b64 s[0:1], s[0:1], 1
	s_add_u32 s8, s24, s0
	;;#ASMSTART
	v_pk_mul_f32 v[6:7], v[12:13], v[6:7]
	;;#ASMEND
	v_pk_add_f32 v[12:13], v[18:19], 1.0 op_sel_hi:[1,0]
	;;#ASMSTART
	v_pk_mul_f32 v[4:5], v[10:11], v[12:13]
	;;#ASMEND
	v_pk_add_f32 v[10:11], v[14:15], 1.0 op_sel_hi:[1,0]
	s_addc_u32 s0, s25, s1
	;;#ASMSTART
	v_pk_mul_f32 v[8:9], v[8:9], v[10:11]
	;;#ASMEND
	v_pk_add_f32 v[10:11], v[16:17], 1.0 op_sel_hi:[1,0]
	s_and_b32 s9, s0, 0xffff
	s_mov_b32 s0, 0x7060302
	;;#ASMSTART
	v_pk_mul_f32 v[10:11], v[2:3], v[10:11]
	;;#ASMEND
	v_perm_b32 v2, v7, v6, s0
	v_perm_b32 v3, v5, v4, s0
	;; [unrolled: 1-line block ×4, first 2 shown]
	buffer_store_dwordx4 v[2:5], v1, s[8:11], 0 offen
	;;#ASMSTART
	s_nop 0
	;;#ASMEND
	s_endpgm
	.section	.rodata,"a",@progbits
	.p2align	6, 0x0
	.amdhsa_kernel _ZN5aiter35fused_qk_rmsnorm_group_quant_kernelItDB8_Li256ELi8ELi1ELb0ELb1ELb1ELb0ELb1ELb1EEEvPT0_PvPT_S6_S6_PKS5_S8_S8_S8_S8_ffiiiiiiiiiiiii
		.amdhsa_group_segment_fixed_size 48
		.amdhsa_private_segment_fixed_size 0
		.amdhsa_kernarg_size 400
		.amdhsa_user_sgpr_count 6
		.amdhsa_user_sgpr_private_segment_buffer 1
		.amdhsa_user_sgpr_dispatch_ptr 0
		.amdhsa_user_sgpr_queue_ptr 0
		.amdhsa_user_sgpr_kernarg_segment_ptr 1
		.amdhsa_user_sgpr_dispatch_id 0
		.amdhsa_user_sgpr_flat_scratch_init 0
		.amdhsa_user_sgpr_kernarg_preload_length 0
		.amdhsa_user_sgpr_kernarg_preload_offset 0
		.amdhsa_user_sgpr_private_segment_size 0
		.amdhsa_uses_dynamic_stack 0
		.amdhsa_system_sgpr_private_segment_wavefront_offset 0
		.amdhsa_system_sgpr_workgroup_id_x 1
		.amdhsa_system_sgpr_workgroup_id_y 1
		.amdhsa_system_sgpr_workgroup_id_z 0
		.amdhsa_system_sgpr_workgroup_info 0
		.amdhsa_system_vgpr_workitem_id 0
		.amdhsa_next_free_vgpr 23
		.amdhsa_next_free_sgpr 32
		.amdhsa_accum_offset 24
		.amdhsa_reserve_vcc 1
		.amdhsa_reserve_flat_scratch 0
		.amdhsa_float_round_mode_32 0
		.amdhsa_float_round_mode_16_64 0
		.amdhsa_float_denorm_mode_32 3
		.amdhsa_float_denorm_mode_16_64 3
		.amdhsa_dx10_clamp 1
		.amdhsa_ieee_mode 1
		.amdhsa_fp16_overflow 0
		.amdhsa_tg_split 0
		.amdhsa_exception_fp_ieee_invalid_op 0
		.amdhsa_exception_fp_denorm_src 0
		.amdhsa_exception_fp_ieee_div_zero 0
		.amdhsa_exception_fp_ieee_overflow 0
		.amdhsa_exception_fp_ieee_underflow 0
		.amdhsa_exception_fp_ieee_inexact 0
		.amdhsa_exception_int_div_zero 0
	.end_amdhsa_kernel
	.section	.text._ZN5aiter35fused_qk_rmsnorm_group_quant_kernelItDB8_Li256ELi8ELi1ELb0ELb1ELb1ELb0ELb1ELb1EEEvPT0_PvPT_S6_S6_PKS5_S8_S8_S8_S8_ffiiiiiiiiiiiii,"axG",@progbits,_ZN5aiter35fused_qk_rmsnorm_group_quant_kernelItDB8_Li256ELi8ELi1ELb0ELb1ELb1ELb0ELb1ELb1EEEvPT0_PvPT_S6_S6_PKS5_S8_S8_S8_S8_ffiiiiiiiiiiiii,comdat
.Lfunc_end42:
	.size	_ZN5aiter35fused_qk_rmsnorm_group_quant_kernelItDB8_Li256ELi8ELi1ELb0ELb1ELb1ELb0ELb1ELb1EEEvPT0_PvPT_S6_S6_PKS5_S8_S8_S8_S8_ffiiiiiiiiiiiii, .Lfunc_end42-_ZN5aiter35fused_qk_rmsnorm_group_quant_kernelItDB8_Li256ELi8ELi1ELb0ELb1ELb1ELb0ELb1ELb1EEEvPT0_PvPT_S6_S6_PKS5_S8_S8_S8_S8_ffiiiiiiiiiiiii
                                        ; -- End function
	.section	.AMDGPU.csdata,"",@progbits
; Kernel info:
; codeLenInByte = 2820
; NumSgprs: 36
; NumVgprs: 23
; NumAgprs: 0
; TotalNumVgprs: 23
; ScratchSize: 0
; MemoryBound: 0
; FloatMode: 240
; IeeeMode: 1
; LDSByteSize: 48 bytes/workgroup (compile time only)
; SGPRBlocks: 4
; VGPRBlocks: 2
; NumSGPRsForWavesPerEU: 36
; NumVGPRsForWavesPerEU: 23
; AccumOffset: 24
; Occupancy: 8
; WaveLimiterHint : 0
; COMPUTE_PGM_RSRC2:SCRATCH_EN: 0
; COMPUTE_PGM_RSRC2:USER_SGPR: 6
; COMPUTE_PGM_RSRC2:TRAP_HANDLER: 0
; COMPUTE_PGM_RSRC2:TGID_X_EN: 1
; COMPUTE_PGM_RSRC2:TGID_Y_EN: 1
; COMPUTE_PGM_RSRC2:TGID_Z_EN: 0
; COMPUTE_PGM_RSRC2:TIDIG_COMP_CNT: 0
; COMPUTE_PGM_RSRC3_GFX90A:ACCUM_OFFSET: 5
; COMPUTE_PGM_RSRC3_GFX90A:TG_SPLIT: 0
	.section	.text._ZN5aiter35fused_qk_rmsnorm_group_quant_kernelIDF16_DB8_Li256ELi8ELi1ELb0ELb1ELb0ELb0ELb1ELb1EEEvPT0_PvPT_S6_S6_PKS5_S8_S8_S8_S8_ffiiiiiiiiiiiii,"axG",@progbits,_ZN5aiter35fused_qk_rmsnorm_group_quant_kernelIDF16_DB8_Li256ELi8ELi1ELb0ELb1ELb0ELb0ELb1ELb1EEEvPT0_PvPT_S6_S6_PKS5_S8_S8_S8_S8_ffiiiiiiiiiiiii,comdat
	.protected	_ZN5aiter35fused_qk_rmsnorm_group_quant_kernelIDF16_DB8_Li256ELi8ELi1ELb0ELb1ELb0ELb0ELb1ELb1EEEvPT0_PvPT_S6_S6_PKS5_S8_S8_S8_S8_ffiiiiiiiiiiiii ; -- Begin function _ZN5aiter35fused_qk_rmsnorm_group_quant_kernelIDF16_DB8_Li256ELi8ELi1ELb0ELb1ELb0ELb0ELb1ELb1EEEvPT0_PvPT_S6_S6_PKS5_S8_S8_S8_S8_ffiiiiiiiiiiiii
	.globl	_ZN5aiter35fused_qk_rmsnorm_group_quant_kernelIDF16_DB8_Li256ELi8ELi1ELb0ELb1ELb0ELb0ELb1ELb1EEEvPT0_PvPT_S6_S6_PKS5_S8_S8_S8_S8_ffiiiiiiiiiiiii
	.p2align	8
	.type	_ZN5aiter35fused_qk_rmsnorm_group_quant_kernelIDF16_DB8_Li256ELi8ELi1ELb0ELb1ELb0ELb0ELb1ELb1EEEvPT0_PvPT_S6_S6_PKS5_S8_S8_S8_S8_ffiiiiiiiiiiiii,@function
_ZN5aiter35fused_qk_rmsnorm_group_quant_kernelIDF16_DB8_Li256ELi8ELi1ELb0ELb1ELb0ELb0ELb1ELb1EEEvPT0_PvPT_S6_S6_PKS5_S8_S8_S8_S8_ffiiiiiiiiiiiii: ; @_ZN5aiter35fused_qk_rmsnorm_group_quant_kernelIDF16_DB8_Li256ELi8ELi1ELb0ELb1ELb0ELb0ELb1ELb1EEEvPT0_PvPT_S6_S6_PKS5_S8_S8_S8_S8_ffiiiiiiiiiiiii
; %bb.0:
	s_load_dwordx4 s[12:15], s[4:5], 0x50
	s_waitcnt lgkmcnt(0)
	s_cmp_ge_i32 s6, s14
	s_cbranch_scc1 .LBB43_12
; %bb.1:
	s_load_dwordx2 s[8:9], s[4:5], 0x48
	s_load_dwordx2 s[26:27], s[4:5], 0x30
	s_load_dwordx4 s[16:19], s[4:5], 0x60
	s_cmp_lg_u32 s7, 0
	s_cselect_b64 s[10:11], -1, 0
	s_cmp_eq_u32 s7, 0
	s_cselect_b64 vcc, -1, 0
	s_and_b64 s[0:1], vcc, exec
	s_waitcnt lgkmcnt(0)
	s_cselect_b32 s7, s15, s16
	s_add_i32 s0, s7, 1
	s_lshr_b32 s1, s0, 31
	s_add_i32 s0, s0, s1
	s_lshl_b32 s0, s0, 1
	v_lshlrev_b32_e32 v1, 3, v0
	s_and_b32 s22, s0, -4
	v_cmp_gt_i32_e64 s[2:3], s7, v1
	v_mov_b32_e32 v10, 0
	v_mov_b32_e32 v2, 0
	;; [unrolled: 1-line block ×9, first 2 shown]
	s_and_saveexec_b64 s[0:1], s[2:3]
	s_cbranch_execz .LBB43_3
; %bb.2:
	s_load_dwordx2 s[20:21], s[4:5], 0x28
	s_load_dwordx2 s[24:25], s[4:5], 0x40
	s_and_b64 s[28:29], vcc, exec
	s_cselect_b32 s14, s17, s18
	s_mov_b32 s23, 0x20000
	s_waitcnt lgkmcnt(0)
	s_cselect_b32 s17, s21, s27
	s_cselect_b32 s19, s20, s26
	s_mul_hi_i32 s21, s14, s6
	s_mul_i32 s20, s14, s6
	s_lshl_b64 s[20:21], s[20:21], 1
	s_add_u32 s28, s19, s20
	s_addc_u32 s14, s17, s21
	s_and_b64 s[20:21], vcc, exec
	s_cselect_b32 s20, s24, s8
	s_cselect_b32 s17, s25, s9
	v_lshlrev_b32_e32 v11, 4, v0
	s_and_b32 s29, s14, 0xffff
	s_mov_b32 s30, s22
	s_mov_b32 s31, s23
	s_and_b32 s21, s17, 0xffff
	buffer_load_dwordx4 v[6:9], v11, s[28:31], 0 offen glc slc
	buffer_load_dwordx4 v[2:5], v11, s[20:23], 0 offen
.LBB43_3:
	s_or_b64 exec, exec, s[0:1]
	v_mov_b32_e32 v11, 0
	v_mov_b32_e32 v16, 0
	;; [unrolled: 1-line block ×7, first 2 shown]
	s_and_saveexec_b64 s[0:1], s[2:3]
	s_cbranch_execz .LBB43_5
; %bb.4:
	s_waitcnt vmcnt(1)
	v_cvt_f32_f16_sdwa v11, v6 dst_sel:DWORD dst_unused:UNUSED_PAD src0_sel:WORD_1
	v_cvt_f32_f16_e32 v10, v6
	v_cvt_f32_f16_sdwa v17, v7 dst_sel:DWORD dst_unused:UNUSED_PAD src0_sel:WORD_1
	v_cvt_f32_f16_e32 v16, v7
	;; [unrolled: 2-line block ×4, first 2 shown]
.LBB43_5:
	s_or_b64 exec, exec, s[0:1]
	s_waitcnt vmcnt(1)
	v_mul_f32_e32 v6, v11, v11
	v_fmac_f32_e32 v6, v10, v10
	v_fmac_f32_e32 v6, v16, v16
	;; [unrolled: 1-line block ×7, first 2 shown]
	v_and_b32_e32 v8, 63, v0
	v_cmp_eq_u32_e64 s[0:1], 63, v8
	v_mov_b32_dpp v7, v6 quad_perm:[1,0,3,2] row_mask:0xf bank_mask:0xf
	v_add_f32_e32 v6, v6, v7
	s_nop 1
	v_mov_b32_dpp v7, v6 quad_perm:[2,3,0,1] row_mask:0xf bank_mask:0xf
	v_add_f32_e32 v6, v6, v7
	s_nop 1
	v_mov_b32_dpp v7, v6 row_half_mirror row_mask:0xf bank_mask:0xf
	v_add_f32_e32 v6, v6, v7
	s_nop 1
	v_mov_b32_dpp v7, v6 row_mirror row_mask:0xf bank_mask:0xf
	v_add_f32_e32 v6, v6, v7
	s_nop 1
	v_mov_b32_dpp v7, v6 row_bcast:15 row_mask:0xf bank_mask:0xf
	v_add_f32_e32 v6, v6, v7
	s_nop 1
	v_mov_b32_dpp v7, v6 row_bcast:31 row_mask:0xf bank_mask:0xf
	s_and_saveexec_b64 s[20:21], s[0:1]
	s_cbranch_execz .LBB43_7
; %bb.6:
	v_add_f32_e32 v6, v6, v7
	v_lshrrev_b32_e32 v7, 4, v0
	v_and_b32_e32 v7, 60, v7
	ds_write_b32 v7, v6 offset:32
.LBB43_7:
	s_or_b64 exec, exec, s[20:21]
	v_and_b32_e32 v6, 3, v0
	v_lshlrev_b32_e32 v18, 2, v6
	s_waitcnt lgkmcnt(0)
	s_barrier
	ds_read_b32 v6, v18 offset:32
	s_load_dwordx2 s[24:25], s[4:5], 0x18
	s_waitcnt lgkmcnt(0)
	v_mov_b32_dpp v7, v6 quad_perm:[1,0,3,2] row_mask:0xf bank_mask:0xf
	v_add_f32_e32 v6, v6, v7
	s_nop 1
	v_mov_b32_dpp v7, v6 quad_perm:[2,3,0,1] row_mask:0xf bank_mask:0xf
	s_and_saveexec_b64 s[20:21], s[2:3]
	s_cbranch_execz .LBB43_9
; %bb.8:
	v_cvt_f32_u32_e32 v8, s7
	v_add_f32_e32 v6, v6, v7
	v_mov_b32_e32 v19, s13
	v_mov_b32_e32 v20, s12
	v_div_scale_f32 v7, s[28:29], v8, v8, v6
	v_rcp_f32_e32 v9, v7
	v_cndmask_b32_e32 v19, v19, v20, vcc
	s_mov_b32 s7, 0x800000
	v_fma_f32 v20, -v7, v9, 1.0
	v_fmac_f32_e32 v9, v20, v9
	v_div_scale_f32 v20, vcc, v6, v8, v6
	v_mul_f32_e32 v21, v20, v9
	v_fma_f32 v22, -v7, v21, v20
	v_fmac_f32_e32 v21, v22, v9
	v_fma_f32 v7, -v7, v21, v20
	v_div_fmas_f32 v7, v7, v9, v21
	v_div_fixup_f32 v6, v7, v8, v6
	v_add_f32_e32 v6, v19, v6
	v_mul_f32_e32 v7, 0x4b800000, v6
	v_cmp_gt_f32_e32 vcc, s7, v6
	v_cndmask_b32_e32 v6, v6, v7, vcc
	v_rsq_f32_e32 v6, v6
	s_waitcnt vmcnt(0)
	v_cvt_f32_f16_sdwa v21, v5 dst_sel:DWORD dst_unused:UNUSED_PAD src0_sel:WORD_1
	v_cvt_f32_f16_e32 v20, v5
	v_mul_f32_e32 v7, 0x45800000, v6
	v_cndmask_b32_e32 v6, v6, v7, vcc
	v_mov_b32_e32 v7, v6
	;;#ASMSTART
	v_pk_mul_f32 v[8:9], v[10:11], v[6:7]
	;;#ASMEND
	;;#ASMSTART
	v_pk_mul_f32 v[16:17], v[16:17], v[6:7]
	;;#ASMEND
	;; [unrolled: 3-line block ×4, first 2 shown]
	v_cvt_f32_f16_sdwa v11, v2 dst_sel:DWORD dst_unused:UNUSED_PAD src0_sel:WORD_1
	v_cvt_f32_f16_e32 v10, v2
	v_cvt_f32_f16_sdwa v13, v3 dst_sel:DWORD dst_unused:UNUSED_PAD src0_sel:WORD_1
	v_cvt_f32_f16_e32 v12, v3
	;; [unrolled: 2-line block ×3, first 2 shown]
	;;#ASMSTART
	v_pk_mul_f32 v[10:11], v[8:9], v[10:11]
	;;#ASMEND
	;;#ASMSTART
	v_pk_mul_f32 v[16:17], v[16:17], v[12:13]
	;;#ASMEND
	;; [unrolled: 3-line block ×4, first 2 shown]
.LBB43_9:
	s_or_b64 exec, exec, s[20:21]
	s_load_dwordx2 s[28:29], s[4:5], 0x7c
	s_mov_b64 s[20:21], -1
	s_and_b64 vcc, exec, s[10:11]
	s_cbranch_vccnz .LBB43_13
; %bb.10:
	s_andn2_b64 vcc, exec, s[20:21]
	s_cbranch_vccz .LBB43_16
.LBB43_11:
	s_cmp_lt_i32 s16, 1
	s_cbranch_scc0 .LBB43_27
.LBB43_12:
	s_endpgm
.LBB43_13:
	s_and_saveexec_b64 s[10:11], s[2:3]
	s_cbranch_execz .LBB43_15
; %bb.14:
	s_waitcnt lgkmcnt(0)
	s_mul_hi_i32 s21, s29, s6
	s_mul_i32 s20, s29, s6
	s_waitcnt vmcnt(0)
	v_cvt_f16_f32_e32 v2, v10
	v_cvt_f16_f32_e32 v3, v16
	;; [unrolled: 1-line block ×8, first 2 shown]
	s_lshl_b64 s[20:21], s[20:21], 1
	s_add_u32 s20, s24, s20
	s_addc_u32 s7, s25, s21
	s_and_b32 s21, s7, 0xffff
	s_mov_b32 s23, 0x20000
	v_pack_b32_f16 v5, v5, v6
	v_pack_b32_f16 v4, v4, v7
	;; [unrolled: 1-line block ×4, first 2 shown]
	v_lshlrev_b32_e32 v6, 4, v0
	buffer_store_dwordx4 v[2:5], v6, s[20:23], 0 offen
	;;#ASMSTART
	s_nop 0
	;;#ASMEND
.LBB43_15:
	s_or_b64 exec, exec, s[10:11]
	s_cbranch_execnz .LBB43_11
.LBB43_16:
	s_waitcnt vmcnt(0)
	v_mov_b32_e32 v2, 0
	s_and_saveexec_b64 s[10:11], s[2:3]
	s_cbranch_execz .LBB43_18
; %bb.17:
	s_load_dwordx2 s[20:21], s[4:5], 0x10
	s_waitcnt lgkmcnt(0)
	s_mul_hi_i32 s31, s28, s6
	s_mul_i32 s30, s28, s6
	v_cvt_f16_f32_e32 v2, v10
	v_cvt_f16_f32_e32 v3, v16
	;; [unrolled: 1-line block ×8, first 2 shown]
	s_lshl_b64 s[30:31], s[30:31], 1
	s_add_u32 s20, s20, s30
	s_addc_u32 s7, s21, s31
	s_mov_b32 s23, 0x20000
	s_and_b32 s21, s7, 0xffff
	v_pack_b32_f16 v5, v5, v6
	v_pack_b32_f16 v4, v4, v7
	v_pack_b32_f16 v3, v3, v8
	v_pack_b32_f16 v2, v2, v9
	v_lshlrev_b32_e32 v6, 4, v0
	buffer_store_dwordx4 v[2:5], v6, s[20:23], 0 offen
	;;#ASMSTART
	s_nop 0
	;;#ASMEND
	s_nop 0
	v_mov_b32_e32 v2, 0x2edbe6ff
.LBB43_18:
	s_or_b64 exec, exec, s[10:11]
	s_and_saveexec_b64 s[10:11], s[2:3]
	s_cbranch_execz .LBB43_20
; %bb.19:
	v_and_b32_e32 v3, 0x7fffffff, v10
	v_and_b32_e32 v4, 0x7fffffff, v11
	;;#ASMSTART
	v_max3_f32 v2, v2, v3, v4

	;;#ASMEND
	v_and_b32_e32 v3, 0x7fffffff, v16
	v_and_b32_e32 v4, 0x7fffffff, v17
	;;#ASMSTART
	v_max3_f32 v2, v2, v3, v4

	;;#ASMEND
	;; [unrolled: 6-line block ×4, first 2 shown]
.LBB43_20:
	s_or_b64 exec, exec, s[10:11]
	s_nop 0
	v_mov_b32_dpp v3, v2 quad_perm:[1,0,3,2] row_mask:0xf bank_mask:0xf
	v_cmp_gt_f32_e32 vcc, v2, v3
	v_cndmask_b32_e32 v2, v3, v2, vcc
	s_nop 1
	v_mov_b32_dpp v3, v2 quad_perm:[2,3,0,1] row_mask:0xf bank_mask:0xf
	v_cmp_gt_f32_e32 vcc, v2, v3
	v_cndmask_b32_e32 v2, v3, v2, vcc
	s_nop 1
	v_mov_b32_dpp v3, v2 row_half_mirror row_mask:0xf bank_mask:0xf
	v_cmp_gt_f32_e32 vcc, v2, v3
	v_cndmask_b32_e32 v2, v3, v2, vcc
	s_nop 1
	v_mov_b32_dpp v3, v2 row_mirror row_mask:0xf bank_mask:0xf
	v_cmp_gt_f32_e32 vcc, v2, v3
	v_cndmask_b32_e32 v2, v3, v2, vcc
	s_nop 1
	v_mov_b32_dpp v3, v2 row_bcast:15 row_mask:0xf bank_mask:0xf
	v_cmp_gt_f32_e32 vcc, v2, v3
	v_cndmask_b32_e32 v2, v3, v2, vcc
	s_nop 1
	v_mov_b32_dpp v3, v2 row_bcast:31 row_mask:0xf bank_mask:0xf
	s_and_saveexec_b64 s[10:11], s[0:1]
	s_cbranch_execz .LBB43_22
; %bb.21:
	v_cmp_gt_f32_e32 vcc, v2, v3
	v_cndmask_b32_e32 v2, v3, v2, vcc
	v_lshrrev_b32_e32 v3, 4, v0
	v_and_b32_e32 v3, 60, v3
	ds_write_b32 v3, v2
.LBB43_22:
	s_or_b64 exec, exec, s[10:11]
	s_waitcnt lgkmcnt(0)
	s_barrier
	ds_read_b32 v2, v18
	s_load_dwordx2 s[20:21], s[4:5], 0x70
	s_waitcnt lgkmcnt(0)
	v_mov_b32_dpp v3, v2 quad_perm:[1,0,3,2] row_mask:0xf bank_mask:0xf
	v_cmp_gt_f32_e32 vcc, v2, v3
	v_cndmask_b32_e32 v2, v3, v2, vcc
	s_nop 1
	v_mov_b32_dpp v3, v2 quad_perm:[2,3,0,1] row_mask:0xf bank_mask:0xf
	v_cmp_gt_f32_e32 vcc, v2, v3
	v_cndmask_b32_e32 v2, v3, v2, vcc
	v_mul_f32_e32 v2, 0x3b124925, v2
	v_cmp_eq_u32_e32 vcc, 0, v0
	s_and_saveexec_b64 s[10:11], vcc
	s_cbranch_execz .LBB43_24
; %bb.23:
	s_load_dwordx2 s[22:23], s[4:5], 0x8
	s_mul_hi_i32 s31, s21, s6
	s_mul_i32 s30, s21, s6
	s_lshl_b64 s[30:31], s[30:31], 2
	v_mov_b32_e32 v3, 0
	s_waitcnt lgkmcnt(0)
	s_add_u32 s22, s22, s30
	s_addc_u32 s23, s23, s31
	global_store_dword v3, v2, s[22:23]
.LBB43_24:
	s_or_b64 exec, exec, s[10:11]
	;;#ASMSTART
	v_rcp_f32 v2, v2
	;;#ASMEND
	s_and_saveexec_b64 s[10:11], s[2:3]
	s_cbranch_execz .LBB43_26
; %bb.25:
	s_load_dwordx2 s[2:3], s[4:5], 0x0
	s_mul_i32 s12, s20, s6
	v_mov_b32_e32 v3, v2
	;;#ASMSTART
	v_pk_mul_f32 v[4:5], v[10:11], v[2:3]
	;;#ASMEND
	s_mul_hi_i32 s7, s20, s6
	s_waitcnt lgkmcnt(0)
	s_add_u32 s20, s2, s12
	v_mov_b32_e32 v8, 0xc3e00000
	v_mov_b32_e32 v9, 0x43e00000
	;;#ASMSTART
	v_med3_f32 v4, v4, v8, v9
v_med3_f32 v5, v5, v8, v9
v_cvt_pk_fp8_f32 v6, v4, v5
	;;#ASMEND
	s_addc_u32 s2, s3, s7
	;;#ASMSTART
	v_pk_mul_f32 v[4:5], v[16:17], v[2:3]
	;;#ASMEND
	s_and_b32 s21, s2, 0xffff
	;;#ASMSTART
	v_med3_f32 v4, v4, v8, v9
v_med3_f32 v5, v5, v8, v9
v_cvt_pk_fp8_f32 v7, v4, v5
	;;#ASMEND
	s_mov_b32 s2, 0x5040100
	v_perm_b32 v5, v7, v6, s2
	s_movk_i32 s2, 0xff
	v_and_b32_e32 v4, 0xffffff00, v7
	v_and_b32_sdwa v6, v5, s2 dst_sel:DWORD dst_unused:UNUSED_PAD src0_sel:WORD_1 src1_sel:DWORD
	s_mov_b32 s14, 0xffff
	v_or_b32_sdwa v4, v6, v4 dst_sel:WORD_1 dst_unused:UNUSED_PAD src0_sel:DWORD src1_sel:DWORD
	s_add_i32 s3, s15, 3
	v_and_or_b32 v4, v5, s14, v4
	;;#ASMSTART
	v_pk_mul_f32 v[6:7], v[14:15], v[2:3]
	;;#ASMEND
	v_mov_b32_e32 v5, v6
	s_ashr_i32 s7, s3, 31
	;;#ASMSTART
	v_med3_f32 v5, v5, v8, v9
v_med3_f32 v7, v7, v8, v9
v_cvt_pk_fp8_f32 v6, v5, v7
	;;#ASMEND
	;;#ASMSTART
	v_pk_mul_f32 v[2:3], v[12:13], v[2:3]
	;;#ASMEND
	s_lshr_b32 s7, s7, 30
	;;#ASMSTART
	v_med3_f32 v2, v2, v8, v9
v_med3_f32 v3, v3, v8, v9
v_cvt_pk_fp8_f32 v5, v2, v3
	;;#ASMEND
	s_add_i32 s3, s3, s7
	v_lshlrev_b32_e32 v2, 16, v5
	s_and_b32 s22, s3, -4
	s_mov_b32 s23, 0x20000
	v_and_or_b32 v5, v6, s14, v2
	buffer_store_dwordx2 v[4:5], v1, s[20:23], 0 offen
	;;#ASMSTART
	s_nop 0
	;;#ASMEND
.LBB43_26:
	s_or_b64 exec, exec, s[10:11]
	s_cmp_lt_i32 s16, 1
	s_cbranch_scc1 .LBB43_12
.LBB43_27:
	s_load_dword s2, s[4:5], 0x94
	s_waitcnt lgkmcnt(0)
	s_cmp_lg_u32 s2, 1
	s_cbranch_scc1 .LBB43_12
; %bb.28:
	s_lshl_b32 s2, s16, 1
	s_add_i32 s2, s2, 2
	v_cmp_gt_u32_e32 vcc, s16, v1
	s_and_b32 s10, s2, -4
	v_mov_b32_e32 v10, 0
	v_lshlrev_b32_e32 v1, 4, v0
	v_mov_b32_e32 v6, 0
	v_mov_b32_e32 v7, 0
	;; [unrolled: 1-line block ×4, first 2 shown]
	s_waitcnt vmcnt(0)
	v_mov_b32_e32 v2, 0
	v_mov_b32_e32 v3, 0
	;; [unrolled: 1-line block ×4, first 2 shown]
	s_barrier
	s_and_saveexec_b64 s[2:3], vcc
	s_cbranch_execz .LBB43_30
; %bb.29:
	s_mul_hi_i32 s5, s18, s6
	s_mul_i32 s4, s18, s6
	s_and_b32 s9, s9, 0xffff
	s_lshl_b64 s[4:5], s[4:5], 1
	s_add_u32 s20, s26, s4
	s_mov_b32 s11, 0x20000
	s_addc_u32 s4, s27, s5
	s_and_b32 s21, s4, 0xffff
	s_mov_b32 s22, s10
	s_mov_b32 s23, s11
	buffer_load_dwordx4 v[6:9], v1, s[20:23], 0 offen glc slc
	buffer_load_dwordx4 v[2:5], v1, s[8:11], 0 offen
.LBB43_30:
	s_or_b64 exec, exec, s[2:3]
	v_mov_b32_e32 v11, 0
	v_mov_b32_e32 v16, 0
	v_mov_b32_e32 v17, 0
	v_mov_b32_e32 v14, 0
	v_mov_b32_e32 v15, 0
	v_mov_b32_e32 v12, 0
	v_mov_b32_e32 v13, 0
	s_and_saveexec_b64 s[2:3], vcc
	s_cbranch_execz .LBB43_32
; %bb.31:
	s_waitcnt vmcnt(1)
	v_cvt_f32_f16_sdwa v11, v6 dst_sel:DWORD dst_unused:UNUSED_PAD src0_sel:WORD_1
	v_cvt_f32_f16_e32 v10, v6
	v_cvt_f32_f16_sdwa v17, v7 dst_sel:DWORD dst_unused:UNUSED_PAD src0_sel:WORD_1
	v_cvt_f32_f16_e32 v16, v7
	;; [unrolled: 2-line block ×4, first 2 shown]
.LBB43_32:
	s_or_b64 exec, exec, s[2:3]
	s_waitcnt vmcnt(1)
	v_mul_f32_e32 v6, v11, v11
	v_fmac_f32_e32 v6, v10, v10
	v_fmac_f32_e32 v6, v16, v16
	;; [unrolled: 1-line block ×7, first 2 shown]
	s_nop 1
	v_mov_b32_dpp v7, v6 quad_perm:[1,0,3,2] row_mask:0xf bank_mask:0xf
	v_add_f32_e32 v6, v6, v7
	s_nop 1
	v_mov_b32_dpp v7, v6 quad_perm:[2,3,0,1] row_mask:0xf bank_mask:0xf
	v_add_f32_e32 v6, v6, v7
	s_nop 1
	v_mov_b32_dpp v7, v6 row_half_mirror row_mask:0xf bank_mask:0xf
	v_add_f32_e32 v6, v6, v7
	s_nop 1
	v_mov_b32_dpp v7, v6 row_mirror row_mask:0xf bank_mask:0xf
	v_add_f32_e32 v6, v6, v7
	s_nop 1
	v_mov_b32_dpp v7, v6 row_bcast:15 row_mask:0xf bank_mask:0xf
	v_add_f32_e32 v6, v6, v7
	s_nop 1
	v_mov_b32_dpp v7, v6 row_bcast:31 row_mask:0xf bank_mask:0xf
	s_and_saveexec_b64 s[2:3], s[0:1]
	s_cbranch_execz .LBB43_34
; %bb.33:
	v_lshrrev_b32_e32 v0, 4, v0
	v_add_f32_e32 v6, v6, v7
	v_and_b32_e32 v0, 60, v0
	ds_write_b32 v0, v6 offset:16
.LBB43_34:
	s_or_b64 exec, exec, s[2:3]
	s_waitcnt lgkmcnt(0)
	s_barrier
	ds_read_b32 v0, v18 offset:16
	s_waitcnt lgkmcnt(0)
	s_nop 0
	v_mov_b32_dpp v6, v0 quad_perm:[1,0,3,2] row_mask:0xf bank_mask:0xf
	v_add_f32_e32 v0, v0, v6
	s_nop 1
	v_mov_b32_dpp v6, v0 quad_perm:[2,3,0,1] row_mask:0xf bank_mask:0xf
	s_and_saveexec_b64 s[0:1], vcc
	s_cbranch_execz .LBB43_12
; %bb.35:
	v_cvt_f32_u32_e32 v7, s16
	v_add_f32_e32 v0, v0, v6
	s_mov_b32 s11, 0x20000
	v_div_scale_f32 v6, s[0:1], v7, v7, v0
	v_rcp_f32_e32 v8, v6
	v_div_scale_f32 v9, vcc, v0, v7, v0
	s_mov_b32 s0, 0x800000
	v_fma_f32 v18, -v6, v8, 1.0
	v_fmac_f32_e32 v8, v18, v8
	v_mul_f32_e32 v18, v9, v8
	v_fma_f32 v19, -v6, v18, v9
	v_fmac_f32_e32 v18, v19, v8
	v_fma_f32 v6, -v6, v18, v9
	v_div_fmas_f32 v6, v6, v8, v18
	v_div_fixup_f32 v0, v6, v7, v0
	v_add_f32_e32 v0, s13, v0
	v_mul_f32_e32 v6, 0x4b800000, v0
	v_cmp_gt_f32_e32 vcc, s0, v0
	v_cndmask_b32_e32 v0, v0, v6, vcc
	v_rsq_f32_e32 v0, v0
	s_waitcnt vmcnt(0)
	v_cvt_f32_f16_sdwa v19, v5 dst_sel:DWORD dst_unused:UNUSED_PAD src0_sel:WORD_1
	v_cvt_f32_f16_e32 v18, v5
	s_mul_hi_i32 s1, s29, s6
	v_mul_f32_e32 v6, 0x45800000, v0
	v_cndmask_b32_e32 v6, v0, v6, vcc
	v_mov_b32_e32 v7, v6
	;;#ASMSTART
	v_pk_mul_f32 v[8:9], v[10:11], v[6:7]
	;;#ASMEND
	;;#ASMSTART
	v_pk_mul_f32 v[10:11], v[16:17], v[6:7]
	;;#ASMEND
	;; [unrolled: 3-line block ×4, first 2 shown]
	v_cvt_f32_f16_sdwa v13, v2 dst_sel:DWORD dst_unused:UNUSED_PAD src0_sel:WORD_1
	v_cvt_f32_f16_e32 v12, v2
	v_cvt_f32_f16_sdwa v17, v3 dst_sel:DWORD dst_unused:UNUSED_PAD src0_sel:WORD_1
	v_cvt_f32_f16_e32 v16, v3
	v_cvt_f32_f16_sdwa v3, v4 dst_sel:DWORD dst_unused:UNUSED_PAD src0_sel:WORD_1
	v_cvt_f32_f16_e32 v2, v4
	;;#ASMSTART
	v_pk_mul_f32 v[4:5], v[8:9], v[12:13]
	;;#ASMEND
	;;#ASMSTART
	v_pk_mul_f32 v[8:9], v[10:11], v[16:17]
	;;#ASMEND
	;; [unrolled: 3-line block ×4, first 2 shown]
	s_mul_i32 s0, s29, s6
	v_cvt_f16_f32_e32 v0, v4
	v_cvt_f16_f32_e32 v4, v5
	v_cvt_f16_f32_e32 v5, v8
	v_cvt_f16_f32_e32 v8, v9
	v_cvt_f16_f32_e32 v9, v2
	v_cvt_f16_f32_e32 v10, v3
	v_cvt_f16_f32_e32 v6, v6
	v_cvt_f16_f32_e32 v7, v7
	s_lshl_b64 s[0:1], s[0:1], 1
	s_add_u32 s8, s24, s0
	s_addc_u32 s0, s25, s1
	s_and_b32 s9, s0, 0xffff
	v_pack_b32_f16 v2, v0, v4
	v_pack_b32_f16 v3, v5, v8
	;; [unrolled: 1-line block ×4, first 2 shown]
	buffer_store_dwordx4 v[2:5], v1, s[8:11], 0 offen
	;;#ASMSTART
	s_nop 0
	;;#ASMEND
	s_endpgm
	.section	.rodata,"a",@progbits
	.p2align	6, 0x0
	.amdhsa_kernel _ZN5aiter35fused_qk_rmsnorm_group_quant_kernelIDF16_DB8_Li256ELi8ELi1ELb0ELb1ELb0ELb0ELb1ELb1EEEvPT0_PvPT_S6_S6_PKS5_S8_S8_S8_S8_ffiiiiiiiiiiiii
		.amdhsa_group_segment_fixed_size 48
		.amdhsa_private_segment_fixed_size 0
		.amdhsa_kernarg_size 400
		.amdhsa_user_sgpr_count 6
		.amdhsa_user_sgpr_private_segment_buffer 1
		.amdhsa_user_sgpr_dispatch_ptr 0
		.amdhsa_user_sgpr_queue_ptr 0
		.amdhsa_user_sgpr_kernarg_segment_ptr 1
		.amdhsa_user_sgpr_dispatch_id 0
		.amdhsa_user_sgpr_flat_scratch_init 0
		.amdhsa_user_sgpr_kernarg_preload_length 0
		.amdhsa_user_sgpr_kernarg_preload_offset 0
		.amdhsa_user_sgpr_private_segment_size 0
		.amdhsa_uses_dynamic_stack 0
		.amdhsa_system_sgpr_private_segment_wavefront_offset 0
		.amdhsa_system_sgpr_workgroup_id_x 1
		.amdhsa_system_sgpr_workgroup_id_y 1
		.amdhsa_system_sgpr_workgroup_id_z 0
		.amdhsa_system_sgpr_workgroup_info 0
		.amdhsa_system_vgpr_workitem_id 0
		.amdhsa_next_free_vgpr 23
		.amdhsa_next_free_sgpr 32
		.amdhsa_accum_offset 24
		.amdhsa_reserve_vcc 1
		.amdhsa_reserve_flat_scratch 0
		.amdhsa_float_round_mode_32 0
		.amdhsa_float_round_mode_16_64 0
		.amdhsa_float_denorm_mode_32 3
		.amdhsa_float_denorm_mode_16_64 3
		.amdhsa_dx10_clamp 1
		.amdhsa_ieee_mode 1
		.amdhsa_fp16_overflow 0
		.amdhsa_tg_split 0
		.amdhsa_exception_fp_ieee_invalid_op 0
		.amdhsa_exception_fp_denorm_src 0
		.amdhsa_exception_fp_ieee_div_zero 0
		.amdhsa_exception_fp_ieee_overflow 0
		.amdhsa_exception_fp_ieee_underflow 0
		.amdhsa_exception_fp_ieee_inexact 0
		.amdhsa_exception_int_div_zero 0
	.end_amdhsa_kernel
	.section	.text._ZN5aiter35fused_qk_rmsnorm_group_quant_kernelIDF16_DB8_Li256ELi8ELi1ELb0ELb1ELb0ELb0ELb1ELb1EEEvPT0_PvPT_S6_S6_PKS5_S8_S8_S8_S8_ffiiiiiiiiiiiii,"axG",@progbits,_ZN5aiter35fused_qk_rmsnorm_group_quant_kernelIDF16_DB8_Li256ELi8ELi1ELb0ELb1ELb0ELb0ELb1ELb1EEEvPT0_PvPT_S6_S6_PKS5_S8_S8_S8_S8_ffiiiiiiiiiiiii,comdat
.Lfunc_end43:
	.size	_ZN5aiter35fused_qk_rmsnorm_group_quant_kernelIDF16_DB8_Li256ELi8ELi1ELb0ELb1ELb0ELb0ELb1ELb1EEEvPT0_PvPT_S6_S6_PKS5_S8_S8_S8_S8_ffiiiiiiiiiiiii, .Lfunc_end43-_ZN5aiter35fused_qk_rmsnorm_group_quant_kernelIDF16_DB8_Li256ELi8ELi1ELb0ELb1ELb0ELb0ELb1ELb1EEEvPT0_PvPT_S6_S6_PKS5_S8_S8_S8_S8_ffiiiiiiiiiiiii
                                        ; -- End function
	.section	.AMDGPU.csdata,"",@progbits
; Kernel info:
; codeLenInByte = 2764
; NumSgprs: 36
; NumVgprs: 23
; NumAgprs: 0
; TotalNumVgprs: 23
; ScratchSize: 0
; MemoryBound: 0
; FloatMode: 240
; IeeeMode: 1
; LDSByteSize: 48 bytes/workgroup (compile time only)
; SGPRBlocks: 4
; VGPRBlocks: 2
; NumSGPRsForWavesPerEU: 36
; NumVGPRsForWavesPerEU: 23
; AccumOffset: 24
; Occupancy: 8
; WaveLimiterHint : 0
; COMPUTE_PGM_RSRC2:SCRATCH_EN: 0
; COMPUTE_PGM_RSRC2:USER_SGPR: 6
; COMPUTE_PGM_RSRC2:TRAP_HANDLER: 0
; COMPUTE_PGM_RSRC2:TGID_X_EN: 1
; COMPUTE_PGM_RSRC2:TGID_Y_EN: 1
; COMPUTE_PGM_RSRC2:TGID_Z_EN: 0
; COMPUTE_PGM_RSRC2:TIDIG_COMP_CNT: 0
; COMPUTE_PGM_RSRC3_GFX90A:ACCUM_OFFSET: 5
; COMPUTE_PGM_RSRC3_GFX90A:TG_SPLIT: 0
	.section	.text._ZN5aiter35fused_qk_rmsnorm_group_quant_kernelItDB8_Li256ELi8ELi1ELb0ELb1ELb0ELb0ELb1ELb1EEEvPT0_PvPT_S6_S6_PKS5_S8_S8_S8_S8_ffiiiiiiiiiiiii,"axG",@progbits,_ZN5aiter35fused_qk_rmsnorm_group_quant_kernelItDB8_Li256ELi8ELi1ELb0ELb1ELb0ELb0ELb1ELb1EEEvPT0_PvPT_S6_S6_PKS5_S8_S8_S8_S8_ffiiiiiiiiiiiii,comdat
	.protected	_ZN5aiter35fused_qk_rmsnorm_group_quant_kernelItDB8_Li256ELi8ELi1ELb0ELb1ELb0ELb0ELb1ELb1EEEvPT0_PvPT_S6_S6_PKS5_S8_S8_S8_S8_ffiiiiiiiiiiiii ; -- Begin function _ZN5aiter35fused_qk_rmsnorm_group_quant_kernelItDB8_Li256ELi8ELi1ELb0ELb1ELb0ELb0ELb1ELb1EEEvPT0_PvPT_S6_S6_PKS5_S8_S8_S8_S8_ffiiiiiiiiiiiii
	.globl	_ZN5aiter35fused_qk_rmsnorm_group_quant_kernelItDB8_Li256ELi8ELi1ELb0ELb1ELb0ELb0ELb1ELb1EEEvPT0_PvPT_S6_S6_PKS5_S8_S8_S8_S8_ffiiiiiiiiiiiii
	.p2align	8
	.type	_ZN5aiter35fused_qk_rmsnorm_group_quant_kernelItDB8_Li256ELi8ELi1ELb0ELb1ELb0ELb0ELb1ELb1EEEvPT0_PvPT_S6_S6_PKS5_S8_S8_S8_S8_ffiiiiiiiiiiiii,@function
_ZN5aiter35fused_qk_rmsnorm_group_quant_kernelItDB8_Li256ELi8ELi1ELb0ELb1ELb0ELb0ELb1ELb1EEEvPT0_PvPT_S6_S6_PKS5_S8_S8_S8_S8_ffiiiiiiiiiiiii: ; @_ZN5aiter35fused_qk_rmsnorm_group_quant_kernelItDB8_Li256ELi8ELi1ELb0ELb1ELb0ELb0ELb1ELb1EEEvPT0_PvPT_S6_S6_PKS5_S8_S8_S8_S8_ffiiiiiiiiiiiii
; %bb.0:
	s_load_dwordx4 s[12:15], s[4:5], 0x50
	s_waitcnt lgkmcnt(0)
	s_cmp_ge_i32 s6, s14
	s_cbranch_scc1 .LBB44_10
; %bb.1:
	s_load_dwordx2 s[8:9], s[4:5], 0x48
	s_load_dwordx2 s[26:27], s[4:5], 0x30
	s_load_dwordx4 s[16:19], s[4:5], 0x60
	s_cmp_lg_u32 s7, 0
	s_cselect_b64 s[10:11], -1, 0
	s_cmp_eq_u32 s7, 0
	s_cselect_b64 vcc, -1, 0
	s_and_b64 s[0:1], vcc, exec
	s_waitcnt lgkmcnt(0)
	s_cselect_b32 s7, s15, s16
	s_add_i32 s0, s7, 1
	s_lshr_b32 s1, s0, 31
	s_add_i32 s0, s0, s1
	s_lshl_b32 s0, s0, 1
	v_lshlrev_b32_e32 v1, 3, v0
	s_and_b32 s22, s0, -4
	v_cmp_gt_i32_e64 s[2:3], s7, v1
	v_mov_b32_e32 v2, 0
	v_mov_b32_e32 v3, 0
	;; [unrolled: 1-line block ×8, first 2 shown]
	s_and_saveexec_b64 s[0:1], s[2:3]
	s_cbranch_execz .LBB44_3
; %bb.2:
	s_load_dwordx2 s[20:21], s[4:5], 0x28
	s_load_dwordx2 s[24:25], s[4:5], 0x40
	s_and_b64 s[28:29], vcc, exec
	s_cselect_b32 s14, s17, s18
	s_mov_b32 s23, 0x20000
	s_waitcnt lgkmcnt(0)
	s_cselect_b32 s17, s21, s27
	s_cselect_b32 s19, s20, s26
	s_mul_hi_i32 s21, s14, s6
	s_mul_i32 s20, s14, s6
	s_lshl_b64 s[20:21], s[20:21], 1
	s_add_u32 s28, s19, s20
	s_addc_u32 s14, s17, s21
	s_and_b64 s[20:21], vcc, exec
	s_cselect_b32 s20, s24, s8
	s_cselect_b32 s17, s25, s9
	v_lshlrev_b32_e32 v10, 4, v0
	s_and_b32 s29, s14, 0xffff
	s_mov_b32 s30, s22
	s_mov_b32 s31, s23
	s_and_b32 s21, s17, 0xffff
	buffer_load_dwordx4 v[6:9], v10, s[28:31], 0 offen glc slc
	buffer_load_dwordx4 v[2:5], v10, s[20:23], 0 offen
.LBB44_3:
	s_or_b64 exec, exec, s[0:1]
	s_waitcnt vmcnt(1)
	v_cvt_f32_u32_sdwa v13, v6 dst_sel:DWORD dst_unused:UNUSED_PAD src0_sel:WORD_1
	v_cvt_f32_u32_sdwa v12, v6 dst_sel:DWORD dst_unused:UNUSED_PAD src0_sel:WORD_0
	v_cvt_f32_u32_sdwa v6, v9 dst_sel:DWORD dst_unused:UNUSED_PAD src0_sel:WORD_1
	v_cvt_f32_u32_sdwa v9, v9 dst_sel:DWORD dst_unused:UNUSED_PAD src0_sel:WORD_0
	;; [unrolled: 2-line block ×4, first 2 shown]
	v_cndmask_b32_e64 v13, 0, v13, s[2:3]
	v_cndmask_b32_e64 v7, 0, v6, s[2:3]
	;; [unrolled: 1-line block ×5, first 2 shown]
	v_mul_f32_e32 v14, v13, v13
	v_cndmask_b32_e64 v10, 0, v10, s[2:3]
	v_fmac_f32_e32 v14, v12, v12
	v_cndmask_b32_e64 v11, 0, v11, s[2:3]
	v_fmac_f32_e32 v14, v10, v10
	;; [unrolled: 2-line block ×3, first 2 shown]
	v_fmac_f32_e32 v14, v8, v8
	v_fmac_f32_e32 v14, v9, v9
	;; [unrolled: 1-line block ×4, first 2 shown]
	v_and_b32_e32 v16, 63, v0
	v_cmp_eq_u32_e64 s[0:1], 63, v16
	v_mov_b32_dpp v15, v14 quad_perm:[1,0,3,2] row_mask:0xf bank_mask:0xf
	v_add_f32_e32 v14, v14, v15
	s_nop 1
	v_mov_b32_dpp v15, v14 quad_perm:[2,3,0,1] row_mask:0xf bank_mask:0xf
	v_add_f32_e32 v14, v14, v15
	s_nop 1
	v_mov_b32_dpp v15, v14 row_half_mirror row_mask:0xf bank_mask:0xf
	v_add_f32_e32 v14, v14, v15
	s_nop 1
	v_mov_b32_dpp v15, v14 row_mirror row_mask:0xf bank_mask:0xf
	v_add_f32_e32 v14, v14, v15
	s_nop 1
	v_mov_b32_dpp v15, v14 row_bcast:15 row_mask:0xf bank_mask:0xf
	v_add_f32_e32 v14, v14, v15
	s_nop 1
	v_mov_b32_dpp v15, v14 row_bcast:31 row_mask:0xf bank_mask:0xf
	s_and_saveexec_b64 s[20:21], s[0:1]
	s_cbranch_execz .LBB44_5
; %bb.4:
	v_add_f32_e32 v14, v14, v15
	v_lshrrev_b32_e32 v15, 4, v0
	v_and_b32_e32 v15, 60, v15
	ds_write_b32 v15, v14 offset:32
.LBB44_5:
	s_or_b64 exec, exec, s[20:21]
	v_and_b32_e32 v14, 3, v0
	v_lshlrev_b32_e32 v14, 2, v14
	s_waitcnt lgkmcnt(0)
	s_barrier
	ds_read_b32 v15, v14 offset:32
	s_load_dwordx2 s[24:25], s[4:5], 0x18
	s_waitcnt lgkmcnt(0)
	v_mov_b32_dpp v16, v15 quad_perm:[1,0,3,2] row_mask:0xf bank_mask:0xf
	v_add_f32_e32 v15, v15, v16
	s_nop 1
	v_mov_b32_dpp v16, v15 quad_perm:[2,3,0,1] row_mask:0xf bank_mask:0xf
	s_and_saveexec_b64 s[20:21], s[2:3]
	s_cbranch_execz .LBB44_7
; %bb.6:
	v_cvt_f32_u32_e32 v17, s7
	v_add_f32_e32 v15, v15, v16
	v_mov_b32_e32 v19, s13
	v_mov_b32_e32 v20, s12
	v_div_scale_f32 v16, s[28:29], v17, v17, v15
	v_rcp_f32_e32 v18, v16
	v_cndmask_b32_e32 v19, v19, v20, vcc
	s_mov_b32 s7, 0x800000
	v_fma_f32 v20, -v16, v18, 1.0
	v_fmac_f32_e32 v18, v20, v18
	v_div_scale_f32 v20, vcc, v15, v17, v15
	v_mul_f32_e32 v21, v20, v18
	v_fma_f32 v22, -v16, v21, v20
	v_fmac_f32_e32 v21, v22, v18
	v_fma_f32 v16, -v16, v21, v20
	v_div_fmas_f32 v16, v16, v18, v21
	v_div_fixup_f32 v15, v16, v17, v15
	v_add_f32_e32 v15, v19, v15
	v_mul_f32_e32 v16, 0x4b800000, v15
	v_cmp_gt_f32_e32 vcc, s7, v15
	v_cndmask_b32_e32 v15, v15, v16, vcc
	v_rsq_f32_e32 v15, v15
	s_waitcnt vmcnt(0)
	v_cvt_f32_u32_sdwa v19, v3 dst_sel:DWORD dst_unused:UNUSED_PAD src0_sel:WORD_1
	v_cvt_f32_u32_sdwa v18, v3 dst_sel:DWORD dst_unused:UNUSED_PAD src0_sel:WORD_0
	v_cvt_f32_u32_sdwa v3, v4 dst_sel:DWORD dst_unused:UNUSED_PAD src0_sel:WORD_1
	v_mul_f32_e32 v16, 0x45800000, v15
	v_cndmask_b32_e32 v16, v15, v16, vcc
	v_mov_b32_e32 v17, v16
	;;#ASMSTART
	v_pk_mul_f32 v[12:13], v[12:13], v[16:17]
	;;#ASMEND
	;;#ASMSTART
	v_pk_mul_f32 v[10:11], v[10:11], v[16:17]
	;;#ASMEND
	;; [unrolled: 3-line block ×4, first 2 shown]
	v_cvt_f32_u32_sdwa v17, v2 dst_sel:DWORD dst_unused:UNUSED_PAD src0_sel:WORD_1
	v_cvt_f32_u32_sdwa v16, v2 dst_sel:DWORD dst_unused:UNUSED_PAD src0_sel:WORD_0
	v_cvt_f32_u32_sdwa v2, v4 dst_sel:DWORD dst_unused:UNUSED_PAD src0_sel:WORD_0
	v_cvt_f32_u32_sdwa v21, v5 dst_sel:DWORD dst_unused:UNUSED_PAD src0_sel:WORD_1
	v_cvt_f32_u32_sdwa v20, v5 dst_sel:DWORD dst_unused:UNUSED_PAD src0_sel:WORD_0
	;;#ASMSTART
	v_pk_mul_f32 v[12:13], v[12:13], v[16:17]
	;;#ASMEND
	;;#ASMSTART
	v_pk_mul_f32 v[10:11], v[10:11], v[18:19]
	;;#ASMEND
	;; [unrolled: 3-line block ×4, first 2 shown]
.LBB44_7:
	s_or_b64 exec, exec, s[20:21]
	s_load_dwordx2 s[28:29], s[4:5], 0x7c
	s_mov_b64 s[20:21], -1
	s_and_b64 vcc, exec, s[10:11]
	s_cbranch_vccnz .LBB44_11
; %bb.8:
	s_andn2_b64 vcc, exec, s[20:21]
	s_cbranch_vccz .LBB44_14
.LBB44_9:
	s_cmp_lt_i32 s16, 1
	s_cbranch_scc0 .LBB44_25
.LBB44_10:
	s_endpgm
.LBB44_11:
	s_and_saveexec_b64 s[10:11], s[2:3]
	s_cbranch_execz .LBB44_13
; %bb.12:
	s_waitcnt lgkmcnt(0)
	s_mul_hi_i32 s21, s29, s6
	s_mul_i32 s20, s29, s6
	s_lshl_b64 s[20:21], s[20:21], 1
	s_add_u32 s20, s24, s20
	s_addc_u32 s7, s25, s21
	s_and_b32 s21, s7, 0xffff
	s_mov_b32 s7, 0x7060302
	s_mov_b32 s23, 0x20000
	s_waitcnt vmcnt(0)
	v_perm_b32 v2, v13, v12, s7
	v_perm_b32 v3, v11, v10, s7
	v_perm_b32 v4, v9, v8, s7
	v_perm_b32 v5, v7, v6, s7
	v_lshlrev_b32_e32 v15, 4, v0
	buffer_store_dwordx4 v[2:5], v15, s[20:23], 0 offen
	;;#ASMSTART
	s_nop 0
	;;#ASMEND
.LBB44_13:
	s_or_b64 exec, exec, s[10:11]
	s_cbranch_execnz .LBB44_9
.LBB44_14:
	s_waitcnt vmcnt(0)
	v_mov_b32_e32 v2, 0
	s_and_saveexec_b64 s[10:11], s[2:3]
	s_cbranch_execz .LBB44_16
; %bb.15:
	s_load_dwordx2 s[20:21], s[4:5], 0x10
	s_waitcnt lgkmcnt(0)
	s_mul_hi_i32 s31, s28, s6
	s_mul_i32 s30, s28, s6
	s_lshl_b64 s[30:31], s[30:31], 1
	s_mov_b32 s23, 0x20000
	s_add_u32 s20, s20, s30
	s_addc_u32 s7, s21, s31
	s_and_b32 s21, s7, 0xffff
	s_mov_b32 s7, 0x7060302
	v_perm_b32 v2, v13, v12, s7
	v_perm_b32 v3, v11, v10, s7
	;; [unrolled: 1-line block ×4, first 2 shown]
	v_lshlrev_b32_e32 v15, 4, v0
	buffer_store_dwordx4 v[2:5], v15, s[20:23], 0 offen
	;;#ASMSTART
	s_nop 0
	;;#ASMEND
	s_nop 0
	v_mov_b32_e32 v2, 0x2edbe6ff
.LBB44_16:
	s_or_b64 exec, exec, s[10:11]
	s_and_saveexec_b64 s[10:11], s[2:3]
	s_cbranch_execz .LBB44_18
; %bb.17:
	v_and_b32_e32 v3, 0x7fffffff, v12
	v_and_b32_e32 v4, 0x7fffffff, v13
	;;#ASMSTART
	v_max3_f32 v2, v2, v3, v4

	;;#ASMEND
	v_and_b32_e32 v3, 0x7fffffff, v10
	v_and_b32_e32 v4, 0x7fffffff, v11
	;;#ASMSTART
	v_max3_f32 v2, v2, v3, v4

	;;#ASMEND
	;; [unrolled: 6-line block ×4, first 2 shown]
.LBB44_18:
	s_or_b64 exec, exec, s[10:11]
	s_nop 0
	v_mov_b32_dpp v3, v2 quad_perm:[1,0,3,2] row_mask:0xf bank_mask:0xf
	v_cmp_gt_f32_e32 vcc, v2, v3
	v_cndmask_b32_e32 v2, v3, v2, vcc
	s_nop 1
	v_mov_b32_dpp v3, v2 quad_perm:[2,3,0,1] row_mask:0xf bank_mask:0xf
	v_cmp_gt_f32_e32 vcc, v2, v3
	v_cndmask_b32_e32 v2, v3, v2, vcc
	s_nop 1
	v_mov_b32_dpp v3, v2 row_half_mirror row_mask:0xf bank_mask:0xf
	v_cmp_gt_f32_e32 vcc, v2, v3
	v_cndmask_b32_e32 v2, v3, v2, vcc
	s_nop 1
	v_mov_b32_dpp v3, v2 row_mirror row_mask:0xf bank_mask:0xf
	v_cmp_gt_f32_e32 vcc, v2, v3
	v_cndmask_b32_e32 v2, v3, v2, vcc
	s_nop 1
	v_mov_b32_dpp v3, v2 row_bcast:15 row_mask:0xf bank_mask:0xf
	v_cmp_gt_f32_e32 vcc, v2, v3
	v_cndmask_b32_e32 v2, v3, v2, vcc
	s_nop 1
	v_mov_b32_dpp v3, v2 row_bcast:31 row_mask:0xf bank_mask:0xf
	s_and_saveexec_b64 s[10:11], s[0:1]
	s_cbranch_execz .LBB44_20
; %bb.19:
	v_cmp_gt_f32_e32 vcc, v2, v3
	v_cndmask_b32_e32 v2, v3, v2, vcc
	v_lshrrev_b32_e32 v3, 4, v0
	v_and_b32_e32 v3, 60, v3
	ds_write_b32 v3, v2
.LBB44_20:
	s_or_b64 exec, exec, s[10:11]
	s_waitcnt lgkmcnt(0)
	s_barrier
	ds_read_b32 v2, v14
	s_load_dwordx2 s[20:21], s[4:5], 0x70
	s_waitcnt lgkmcnt(0)
	v_mov_b32_dpp v3, v2 quad_perm:[1,0,3,2] row_mask:0xf bank_mask:0xf
	v_cmp_gt_f32_e32 vcc, v2, v3
	v_cndmask_b32_e32 v2, v3, v2, vcc
	s_nop 1
	v_mov_b32_dpp v3, v2 quad_perm:[2,3,0,1] row_mask:0xf bank_mask:0xf
	v_cmp_gt_f32_e32 vcc, v2, v3
	v_cndmask_b32_e32 v2, v3, v2, vcc
	v_mul_f32_e32 v2, 0x3b124925, v2
	v_cmp_eq_u32_e32 vcc, 0, v0
	s_and_saveexec_b64 s[10:11], vcc
	s_cbranch_execz .LBB44_22
; %bb.21:
	s_load_dwordx2 s[22:23], s[4:5], 0x8
	s_mul_hi_i32 s31, s21, s6
	s_mul_i32 s30, s21, s6
	s_lshl_b64 s[30:31], s[30:31], 2
	v_mov_b32_e32 v3, 0
	s_waitcnt lgkmcnt(0)
	s_add_u32 s22, s22, s30
	s_addc_u32 s23, s23, s31
	global_store_dword v3, v2, s[22:23]
.LBB44_22:
	s_or_b64 exec, exec, s[10:11]
	;;#ASMSTART
	v_rcp_f32 v2, v2
	;;#ASMEND
	s_and_saveexec_b64 s[10:11], s[2:3]
	s_cbranch_execz .LBB44_24
; %bb.23:
	s_load_dwordx2 s[2:3], s[4:5], 0x0
	s_mul_i32 s12, s20, s6
	v_mov_b32_e32 v3, v2
	;;#ASMSTART
	v_pk_mul_f32 v[4:5], v[12:13], v[2:3]
	;;#ASMEND
	s_mul_hi_i32 s7, s20, s6
	s_waitcnt lgkmcnt(0)
	s_add_u32 s20, s2, s12
	v_mov_b32_e32 v12, 0xc3e00000
	v_mov_b32_e32 v13, 0x43e00000
	;;#ASMSTART
	v_med3_f32 v4, v4, v12, v13
v_med3_f32 v5, v5, v12, v13
v_cvt_pk_fp8_f32 v15, v4, v5
	;;#ASMEND
	s_addc_u32 s2, s3, s7
	;;#ASMSTART
	v_pk_mul_f32 v[4:5], v[10:11], v[2:3]
	;;#ASMEND
	s_and_b32 s21, s2, 0xffff
	;;#ASMSTART
	v_med3_f32 v4, v4, v12, v13
v_med3_f32 v5, v5, v12, v13
v_cvt_pk_fp8_f32 v10, v4, v5
	;;#ASMEND
	s_mov_b32 s2, 0x5040100
	v_perm_b32 v5, v10, v15, s2
	s_movk_i32 s2, 0xff
	v_and_b32_e32 v4, 0xffffff00, v10
	v_and_b32_sdwa v10, v5, s2 dst_sel:DWORD dst_unused:UNUSED_PAD src0_sel:WORD_1 src1_sel:DWORD
	s_mov_b32 s14, 0xffff
	v_or_b32_sdwa v4, v10, v4 dst_sel:WORD_1 dst_unused:UNUSED_PAD src0_sel:DWORD src1_sel:DWORD
	s_add_i32 s3, s15, 3
	v_and_or_b32 v4, v5, s14, v4
	;;#ASMSTART
	v_pk_mul_f32 v[8:9], v[8:9], v[2:3]
	;;#ASMEND
	v_mov_b32_e32 v5, v9
	s_ashr_i32 s7, s3, 31
	;;#ASMSTART
	v_med3_f32 v8, v8, v12, v13
v_med3_f32 v5, v5, v12, v13
v_cvt_pk_fp8_f32 v9, v8, v5
	;;#ASMEND
	;;#ASMSTART
	v_pk_mul_f32 v[2:3], v[6:7], v[2:3]
	;;#ASMEND
	s_lshr_b32 s7, s7, 30
	;;#ASMSTART
	v_med3_f32 v2, v2, v12, v13
v_med3_f32 v3, v3, v12, v13
v_cvt_pk_fp8_f32 v5, v2, v3
	;;#ASMEND
	s_add_i32 s3, s3, s7
	v_lshlrev_b32_e32 v2, 16, v5
	s_and_b32 s22, s3, -4
	s_mov_b32 s23, 0x20000
	v_and_or_b32 v5, v9, s14, v2
	buffer_store_dwordx2 v[4:5], v1, s[20:23], 0 offen
	;;#ASMSTART
	s_nop 0
	;;#ASMEND
.LBB44_24:
	s_or_b64 exec, exec, s[10:11]
	s_cmp_lt_i32 s16, 1
	s_cbranch_scc1 .LBB44_10
.LBB44_25:
	s_load_dword s2, s[4:5], 0x94
	s_waitcnt lgkmcnt(0)
	s_cmp_lg_u32 s2, 1
	s_cbranch_scc1 .LBB44_10
; %bb.26:
	s_lshl_b32 s2, s16, 1
	s_add_i32 s2, s2, 2
	v_cmp_gt_u32_e32 vcc, s16, v1
	s_and_b32 s10, s2, -4
	v_mov_b32_e32 v6, 0
	v_lshlrev_b32_e32 v1, 4, v0
	v_mov_b32_e32 v7, 0
	v_mov_b32_e32 v8, 0
	;; [unrolled: 1-line block ×3, first 2 shown]
	s_waitcnt vmcnt(0)
	v_mov_b32_e32 v2, 0
	v_mov_b32_e32 v3, 0
	;; [unrolled: 1-line block ×4, first 2 shown]
	s_barrier
	s_and_saveexec_b64 s[2:3], vcc
	s_cbranch_execz .LBB44_28
; %bb.27:
	s_mul_hi_i32 s5, s18, s6
	s_mul_i32 s4, s18, s6
	s_and_b32 s9, s9, 0xffff
	s_lshl_b64 s[4:5], s[4:5], 1
	s_add_u32 s20, s26, s4
	s_mov_b32 s11, 0x20000
	s_addc_u32 s4, s27, s5
	s_and_b32 s21, s4, 0xffff
	s_mov_b32 s22, s10
	s_mov_b32 s23, s11
	buffer_load_dwordx4 v[6:9], v1, s[20:23], 0 offen glc slc
	buffer_load_dwordx4 v[2:5], v1, s[8:11], 0 offen
.LBB44_28:
	s_or_b64 exec, exec, s[2:3]
	s_waitcnt vmcnt(1)
	v_cvt_f32_u32_sdwa v13, v6 dst_sel:DWORD dst_unused:UNUSED_PAD src0_sel:WORD_1
	v_cvt_f32_u32_sdwa v12, v6 dst_sel:DWORD dst_unused:UNUSED_PAD src0_sel:WORD_0
	v_cvt_f32_u32_sdwa v6, v9 dst_sel:DWORD dst_unused:UNUSED_PAD src0_sel:WORD_1
	v_cvt_f32_u32_sdwa v9, v9 dst_sel:DWORD dst_unused:UNUSED_PAD src0_sel:WORD_0
	;; [unrolled: 2-line block ×4, first 2 shown]
	v_cndmask_b32_e32 v13, 0, v13, vcc
	v_cndmask_b32_e32 v7, 0, v6, vcc
	;; [unrolled: 1-line block ×5, first 2 shown]
	v_mul_f32_e32 v15, v13, v13
	v_cndmask_b32_e32 v10, 0, v10, vcc
	v_fmac_f32_e32 v15, v12, v12
	v_cndmask_b32_e32 v11, 0, v11, vcc
	v_fmac_f32_e32 v15, v10, v10
	;; [unrolled: 2-line block ×3, first 2 shown]
	v_fmac_f32_e32 v15, v8, v8
	v_fmac_f32_e32 v15, v9, v9
	v_fmac_f32_e32 v15, v6, v6
	v_fmac_f32_e32 v15, v7, v7
	s_nop 1
	v_mov_b32_dpp v16, v15 quad_perm:[1,0,3,2] row_mask:0xf bank_mask:0xf
	v_add_f32_e32 v15, v15, v16
	s_nop 1
	v_mov_b32_dpp v16, v15 quad_perm:[2,3,0,1] row_mask:0xf bank_mask:0xf
	v_add_f32_e32 v15, v15, v16
	s_nop 1
	v_mov_b32_dpp v16, v15 row_half_mirror row_mask:0xf bank_mask:0xf
	v_add_f32_e32 v15, v15, v16
	s_nop 1
	v_mov_b32_dpp v16, v15 row_mirror row_mask:0xf bank_mask:0xf
	v_add_f32_e32 v15, v15, v16
	s_nop 1
	v_mov_b32_dpp v16, v15 row_bcast:15 row_mask:0xf bank_mask:0xf
	v_add_f32_e32 v15, v15, v16
	s_nop 1
	v_mov_b32_dpp v16, v15 row_bcast:31 row_mask:0xf bank_mask:0xf
	s_and_saveexec_b64 s[2:3], s[0:1]
	s_cbranch_execz .LBB44_30
; %bb.29:
	v_lshrrev_b32_e32 v0, 4, v0
	v_add_f32_e32 v15, v15, v16
	v_and_b32_e32 v0, 60, v0
	ds_write_b32 v0, v15 offset:16
.LBB44_30:
	s_or_b64 exec, exec, s[2:3]
	s_waitcnt lgkmcnt(0)
	s_barrier
	ds_read_b32 v0, v14 offset:16
	s_waitcnt lgkmcnt(0)
	s_nop 0
	v_mov_b32_dpp v14, v0 quad_perm:[1,0,3,2] row_mask:0xf bank_mask:0xf
	v_add_f32_e32 v0, v0, v14
	s_nop 1
	v_mov_b32_dpp v14, v0 quad_perm:[2,3,0,1] row_mask:0xf bank_mask:0xf
	s_and_saveexec_b64 s[0:1], vcc
	s_cbranch_execz .LBB44_10
; %bb.31:
	v_cvt_f32_u32_e32 v15, s16
	v_add_f32_e32 v0, v0, v14
	s_mov_b32 s11, 0x20000
	v_div_scale_f32 v14, s[0:1], v15, v15, v0
	v_rcp_f32_e32 v16, v14
	v_div_scale_f32 v17, vcc, v0, v15, v0
	s_mov_b32 s0, 0x800000
	v_fma_f32 v18, -v14, v16, 1.0
	v_fmac_f32_e32 v16, v18, v16
	v_mul_f32_e32 v18, v17, v16
	v_fma_f32 v19, -v14, v18, v17
	v_fmac_f32_e32 v18, v19, v16
	v_fma_f32 v14, -v14, v18, v17
	v_div_fmas_f32 v14, v14, v16, v18
	v_div_fixup_f32 v0, v14, v15, v0
	v_add_f32_e32 v0, s13, v0
	v_mul_f32_e32 v14, 0x4b800000, v0
	v_cmp_gt_f32_e32 vcc, s0, v0
	v_cndmask_b32_e32 v0, v0, v14, vcc
	v_rsq_f32_e32 v0, v0
	s_mul_hi_i32 s1, s29, s6
	s_mul_i32 s0, s29, s6
	s_lshl_b64 s[0:1], s[0:1], 1
	v_mul_f32_e32 v14, 0x45800000, v0
	v_cndmask_b32_e32 v14, v0, v14, vcc
	s_add_u32 s8, s24, s0
	v_mov_b32_e32 v15, v14
	s_addc_u32 s0, s25, s1
	;;#ASMSTART
	v_pk_mul_f32 v[12:13], v[12:13], v[14:15]
	;;#ASMEND
	;;#ASMSTART
	v_pk_mul_f32 v[10:11], v[10:11], v[14:15]
	;;#ASMEND
	;; [unrolled: 3-line block ×4, first 2 shown]
	s_waitcnt vmcnt(0)
	v_cvt_f32_u32_sdwa v15, v2 dst_sel:DWORD dst_unused:UNUSED_PAD src0_sel:WORD_1
	v_cvt_f32_u32_sdwa v14, v2 dst_sel:DWORD dst_unused:UNUSED_PAD src0_sel:WORD_0
	v_cvt_f32_u32_sdwa v17, v3 dst_sel:DWORD dst_unused:UNUSED_PAD src0_sel:WORD_1
	v_cvt_f32_u32_sdwa v16, v3 dst_sel:DWORD dst_unused:UNUSED_PAD src0_sel:WORD_0
	;; [unrolled: 2-line block ×4, first 2 shown]
	;;#ASMSTART
	v_pk_mul_f32 v[4:5], v[12:13], v[14:15]
	;;#ASMEND
	s_and_b32 s9, s0, 0xffff
	s_mov_b32 s0, 0x7060302
	;;#ASMSTART
	v_pk_mul_f32 v[10:11], v[10:11], v[16:17]
	;;#ASMEND
	;;#ASMSTART
	v_pk_mul_f32 v[8:9], v[8:9], v[2:3]
	;;#ASMEND
	;; [unrolled: 3-line block ×3, first 2 shown]
	v_perm_b32 v2, v5, v4, s0
	v_perm_b32 v3, v11, v10, s0
	;; [unrolled: 1-line block ×4, first 2 shown]
	buffer_store_dwordx4 v[2:5], v1, s[8:11], 0 offen
	;;#ASMSTART
	s_nop 0
	;;#ASMEND
	s_endpgm
	.section	.rodata,"a",@progbits
	.p2align	6, 0x0
	.amdhsa_kernel _ZN5aiter35fused_qk_rmsnorm_group_quant_kernelItDB8_Li256ELi8ELi1ELb0ELb1ELb0ELb0ELb1ELb1EEEvPT0_PvPT_S6_S6_PKS5_S8_S8_S8_S8_ffiiiiiiiiiiiii
		.amdhsa_group_segment_fixed_size 48
		.amdhsa_private_segment_fixed_size 0
		.amdhsa_kernarg_size 400
		.amdhsa_user_sgpr_count 6
		.amdhsa_user_sgpr_private_segment_buffer 1
		.amdhsa_user_sgpr_dispatch_ptr 0
		.amdhsa_user_sgpr_queue_ptr 0
		.amdhsa_user_sgpr_kernarg_segment_ptr 1
		.amdhsa_user_sgpr_dispatch_id 0
		.amdhsa_user_sgpr_flat_scratch_init 0
		.amdhsa_user_sgpr_kernarg_preload_length 0
		.amdhsa_user_sgpr_kernarg_preload_offset 0
		.amdhsa_user_sgpr_private_segment_size 0
		.amdhsa_uses_dynamic_stack 0
		.amdhsa_system_sgpr_private_segment_wavefront_offset 0
		.amdhsa_system_sgpr_workgroup_id_x 1
		.amdhsa_system_sgpr_workgroup_id_y 1
		.amdhsa_system_sgpr_workgroup_id_z 0
		.amdhsa_system_sgpr_workgroup_info 0
		.amdhsa_system_vgpr_workitem_id 0
		.amdhsa_next_free_vgpr 23
		.amdhsa_next_free_sgpr 32
		.amdhsa_accum_offset 24
		.amdhsa_reserve_vcc 1
		.amdhsa_reserve_flat_scratch 0
		.amdhsa_float_round_mode_32 0
		.amdhsa_float_round_mode_16_64 0
		.amdhsa_float_denorm_mode_32 3
		.amdhsa_float_denorm_mode_16_64 3
		.amdhsa_dx10_clamp 1
		.amdhsa_ieee_mode 1
		.amdhsa_fp16_overflow 0
		.amdhsa_tg_split 0
		.amdhsa_exception_fp_ieee_invalid_op 0
		.amdhsa_exception_fp_denorm_src 0
		.amdhsa_exception_fp_ieee_div_zero 0
		.amdhsa_exception_fp_ieee_overflow 0
		.amdhsa_exception_fp_ieee_underflow 0
		.amdhsa_exception_fp_ieee_inexact 0
		.amdhsa_exception_int_div_zero 0
	.end_amdhsa_kernel
	.section	.text._ZN5aiter35fused_qk_rmsnorm_group_quant_kernelItDB8_Li256ELi8ELi1ELb0ELb1ELb0ELb0ELb1ELb1EEEvPT0_PvPT_S6_S6_PKS5_S8_S8_S8_S8_ffiiiiiiiiiiiii,"axG",@progbits,_ZN5aiter35fused_qk_rmsnorm_group_quant_kernelItDB8_Li256ELi8ELi1ELb0ELb1ELb0ELb0ELb1ELb1EEEvPT0_PvPT_S6_S6_PKS5_S8_S8_S8_S8_ffiiiiiiiiiiiii,comdat
.Lfunc_end44:
	.size	_ZN5aiter35fused_qk_rmsnorm_group_quant_kernelItDB8_Li256ELi8ELi1ELb0ELb1ELb0ELb0ELb1ELb1EEEvPT0_PvPT_S6_S6_PKS5_S8_S8_S8_S8_ffiiiiiiiiiiiii, .Lfunc_end44-_ZN5aiter35fused_qk_rmsnorm_group_quant_kernelItDB8_Li256ELi8ELi1ELb0ELb1ELb0ELb0ELb1ELb1EEEvPT0_PvPT_S6_S6_PKS5_S8_S8_S8_S8_ffiiiiiiiiiiiii
                                        ; -- End function
	.section	.AMDGPU.csdata,"",@progbits
; Kernel info:
; codeLenInByte = 2756
; NumSgprs: 36
; NumVgprs: 23
; NumAgprs: 0
; TotalNumVgprs: 23
; ScratchSize: 0
; MemoryBound: 0
; FloatMode: 240
; IeeeMode: 1
; LDSByteSize: 48 bytes/workgroup (compile time only)
; SGPRBlocks: 4
; VGPRBlocks: 2
; NumSGPRsForWavesPerEU: 36
; NumVGPRsForWavesPerEU: 23
; AccumOffset: 24
; Occupancy: 8
; WaveLimiterHint : 0
; COMPUTE_PGM_RSRC2:SCRATCH_EN: 0
; COMPUTE_PGM_RSRC2:USER_SGPR: 6
; COMPUTE_PGM_RSRC2:TRAP_HANDLER: 0
; COMPUTE_PGM_RSRC2:TGID_X_EN: 1
; COMPUTE_PGM_RSRC2:TGID_Y_EN: 1
; COMPUTE_PGM_RSRC2:TGID_Z_EN: 0
; COMPUTE_PGM_RSRC2:TIDIG_COMP_CNT: 0
; COMPUTE_PGM_RSRC3_GFX90A:ACCUM_OFFSET: 5
; COMPUTE_PGM_RSRC3_GFX90A:TG_SPLIT: 0
	.section	.text._ZN5aiter35fused_qk_rmsnorm_group_quant_kernelIDF16_DB8_Li256ELi8ELi1ELb0ELb0ELb1ELb0ELb1ELb1EEEvPT0_PvPT_S6_S6_PKS5_S8_S8_S8_S8_ffiiiiiiiiiiiii,"axG",@progbits,_ZN5aiter35fused_qk_rmsnorm_group_quant_kernelIDF16_DB8_Li256ELi8ELi1ELb0ELb0ELb1ELb0ELb1ELb1EEEvPT0_PvPT_S6_S6_PKS5_S8_S8_S8_S8_ffiiiiiiiiiiiii,comdat
	.protected	_ZN5aiter35fused_qk_rmsnorm_group_quant_kernelIDF16_DB8_Li256ELi8ELi1ELb0ELb0ELb1ELb0ELb1ELb1EEEvPT0_PvPT_S6_S6_PKS5_S8_S8_S8_S8_ffiiiiiiiiiiiii ; -- Begin function _ZN5aiter35fused_qk_rmsnorm_group_quant_kernelIDF16_DB8_Li256ELi8ELi1ELb0ELb0ELb1ELb0ELb1ELb1EEEvPT0_PvPT_S6_S6_PKS5_S8_S8_S8_S8_ffiiiiiiiiiiiii
	.globl	_ZN5aiter35fused_qk_rmsnorm_group_quant_kernelIDF16_DB8_Li256ELi8ELi1ELb0ELb0ELb1ELb0ELb1ELb1EEEvPT0_PvPT_S6_S6_PKS5_S8_S8_S8_S8_ffiiiiiiiiiiiii
	.p2align	8
	.type	_ZN5aiter35fused_qk_rmsnorm_group_quant_kernelIDF16_DB8_Li256ELi8ELi1ELb0ELb0ELb1ELb0ELb1ELb1EEEvPT0_PvPT_S6_S6_PKS5_S8_S8_S8_S8_ffiiiiiiiiiiiii,@function
_ZN5aiter35fused_qk_rmsnorm_group_quant_kernelIDF16_DB8_Li256ELi8ELi1ELb0ELb0ELb1ELb0ELb1ELb1EEEvPT0_PvPT_S6_S6_PKS5_S8_S8_S8_S8_ffiiiiiiiiiiiii: ; @_ZN5aiter35fused_qk_rmsnorm_group_quant_kernelIDF16_DB8_Li256ELi8ELi1ELb0ELb0ELb1ELb0ELb1ELb1EEEvPT0_PvPT_S6_S6_PKS5_S8_S8_S8_S8_ffiiiiiiiiiiiii
; %bb.0:
	s_load_dwordx4 s[12:15], s[4:5], 0x50
	s_waitcnt lgkmcnt(0)
	s_cmp_ge_i32 s6, s14
	s_cbranch_scc1 .LBB45_12
; %bb.1:
	s_load_dwordx2 s[8:9], s[4:5], 0x48
	s_load_dwordx2 s[26:27], s[4:5], 0x30
	s_load_dwordx4 s[16:19], s[4:5], 0x60
	s_cmp_lg_u32 s7, 0
	s_cselect_b64 s[10:11], -1, 0
	s_cmp_eq_u32 s7, 0
	s_cselect_b64 vcc, -1, 0
	s_and_b64 s[0:1], vcc, exec
	s_waitcnt lgkmcnt(0)
	s_cselect_b32 s7, s15, s16
	s_add_i32 s0, s7, 1
	s_lshr_b32 s1, s0, 31
	s_add_i32 s0, s0, s1
	s_lshl_b32 s0, s0, 1
	v_lshlrev_b32_e32 v1, 3, v0
	s_and_b32 s22, s0, -4
	v_cmp_gt_i32_e64 s[2:3], s7, v1
	v_mov_b32_e32 v10, 0
	v_mov_b32_e32 v2, 0
	;; [unrolled: 1-line block ×9, first 2 shown]
	s_and_saveexec_b64 s[0:1], s[2:3]
	s_cbranch_execz .LBB45_3
; %bb.2:
	s_load_dwordx2 s[20:21], s[4:5], 0x28
	s_load_dwordx2 s[24:25], s[4:5], 0x40
	s_and_b64 s[28:29], vcc, exec
	s_cselect_b32 s14, s17, s18
	s_mov_b32 s23, 0x20000
	s_waitcnt lgkmcnt(0)
	s_cselect_b32 s17, s21, s27
	s_cselect_b32 s19, s20, s26
	s_mul_hi_i32 s21, s14, s6
	s_mul_i32 s20, s14, s6
	s_lshl_b64 s[20:21], s[20:21], 1
	s_add_u32 s28, s19, s20
	s_addc_u32 s14, s17, s21
	s_and_b64 s[20:21], vcc, exec
	s_cselect_b32 s20, s24, s8
	s_cselect_b32 s17, s25, s9
	v_lshlrev_b32_e32 v11, 4, v0
	s_and_b32 s29, s14, 0xffff
	s_mov_b32 s30, s22
	s_mov_b32 s31, s23
	s_and_b32 s21, s17, 0xffff
	buffer_load_dwordx4 v[6:9], v11, s[28:31], 0 offen glc slc
	buffer_load_dwordx4 v[2:5], v11, s[20:23], 0 offen
.LBB45_3:
	s_or_b64 exec, exec, s[0:1]
	v_mov_b32_e32 v11, 0
	v_mov_b32_e32 v16, 0
	;; [unrolled: 1-line block ×7, first 2 shown]
	s_and_saveexec_b64 s[0:1], s[2:3]
	s_cbranch_execz .LBB45_5
; %bb.4:
	s_waitcnt vmcnt(1)
	v_cvt_f32_f16_sdwa v11, v6 dst_sel:DWORD dst_unused:UNUSED_PAD src0_sel:WORD_1
	v_cvt_f32_f16_e32 v10, v6
	v_cvt_f32_f16_sdwa v17, v7 dst_sel:DWORD dst_unused:UNUSED_PAD src0_sel:WORD_1
	v_cvt_f32_f16_e32 v16, v7
	;; [unrolled: 2-line block ×4, first 2 shown]
.LBB45_5:
	s_or_b64 exec, exec, s[0:1]
	s_waitcnt vmcnt(1)
	v_mul_f32_e32 v6, v11, v11
	v_fmac_f32_e32 v6, v10, v10
	v_fmac_f32_e32 v6, v16, v16
	;; [unrolled: 1-line block ×7, first 2 shown]
	v_and_b32_e32 v8, 63, v0
	v_cmp_eq_u32_e64 s[0:1], 63, v8
	v_mov_b32_dpp v7, v6 quad_perm:[1,0,3,2] row_mask:0xf bank_mask:0xf
	v_add_f32_e32 v6, v6, v7
	s_nop 1
	v_mov_b32_dpp v7, v6 quad_perm:[2,3,0,1] row_mask:0xf bank_mask:0xf
	v_add_f32_e32 v6, v6, v7
	s_nop 1
	v_mov_b32_dpp v7, v6 row_half_mirror row_mask:0xf bank_mask:0xf
	v_add_f32_e32 v6, v6, v7
	s_nop 1
	v_mov_b32_dpp v7, v6 row_mirror row_mask:0xf bank_mask:0xf
	v_add_f32_e32 v6, v6, v7
	s_nop 1
	v_mov_b32_dpp v7, v6 row_bcast:15 row_mask:0xf bank_mask:0xf
	v_add_f32_e32 v6, v6, v7
	s_nop 1
	v_mov_b32_dpp v7, v6 row_bcast:31 row_mask:0xf bank_mask:0xf
	s_and_saveexec_b64 s[20:21], s[0:1]
	s_cbranch_execz .LBB45_7
; %bb.6:
	v_add_f32_e32 v6, v6, v7
	v_lshrrev_b32_e32 v7, 4, v0
	v_and_b32_e32 v7, 60, v7
	ds_write_b32 v7, v6 offset:32
.LBB45_7:
	s_or_b64 exec, exec, s[20:21]
	v_and_b32_e32 v6, 3, v0
	v_lshlrev_b32_e32 v18, 2, v6
	s_waitcnt lgkmcnt(0)
	s_barrier
	ds_read_b32 v6, v18 offset:32
	s_load_dwordx2 s[24:25], s[4:5], 0x18
	s_waitcnt lgkmcnt(0)
	v_mov_b32_dpp v7, v6 quad_perm:[1,0,3,2] row_mask:0xf bank_mask:0xf
	v_add_f32_e32 v6, v6, v7
	s_nop 1
	v_mov_b32_dpp v7, v6 quad_perm:[2,3,0,1] row_mask:0xf bank_mask:0xf
	s_and_saveexec_b64 s[20:21], s[2:3]
	s_cbranch_execz .LBB45_9
; %bb.8:
	v_cvt_f32_u32_e32 v8, s7
	v_add_f32_e32 v6, v6, v7
	v_mov_b32_e32 v19, s13
	v_mov_b32_e32 v20, s12
	v_div_scale_f32 v7, s[28:29], v8, v8, v6
	v_rcp_f32_e32 v9, v7
	v_cndmask_b32_e32 v19, v19, v20, vcc
	s_mov_b32 s7, 0x800000
	v_fma_f32 v20, -v7, v9, 1.0
	v_fmac_f32_e32 v9, v20, v9
	v_div_scale_f32 v20, vcc, v6, v8, v6
	v_mul_f32_e32 v21, v20, v9
	v_fma_f32 v22, -v7, v21, v20
	v_fmac_f32_e32 v21, v22, v9
	v_fma_f32 v7, -v7, v21, v20
	v_div_fmas_f32 v7, v7, v9, v21
	v_div_fixup_f32 v6, v7, v8, v6
	v_add_f32_e32 v6, v19, v6
	v_mul_f32_e32 v7, 0x4b800000, v6
	v_cmp_gt_f32_e32 vcc, s7, v6
	v_cndmask_b32_e32 v6, v6, v7, vcc
	v_rsq_f32_e32 v6, v6
	s_waitcnt vmcnt(0)
	v_cvt_f32_f16_sdwa v21, v3 dst_sel:DWORD dst_unused:UNUSED_PAD src0_sel:WORD_1
	v_cvt_f32_f16_e32 v20, v3
	v_mul_f32_e32 v7, 0x45800000, v6
	v_cndmask_b32_e32 v6, v6, v7, vcc
	v_mov_b32_e32 v7, v6
	;;#ASMSTART
	v_pk_mul_f32 v[8:9], v[10:11], v[6:7]
	;;#ASMEND
	v_cvt_f32_f16_sdwa v11, v2 dst_sel:DWORD dst_unused:UNUSED_PAD src0_sel:WORD_1
	v_cvt_f32_f16_e32 v10, v2
	;;#ASMSTART
	v_pk_mul_f32 v[16:17], v[16:17], v[6:7]
	;;#ASMEND
	;;#ASMSTART
	v_pk_mul_f32 v[14:15], v[14:15], v[6:7]
	;;#ASMEND
	;; [unrolled: 3-line block ×3, first 2 shown]
	v_pk_add_f32 v[6:7], v[10:11], 1.0 op_sel_hi:[1,0]
	;;#ASMSTART
	v_pk_mul_f32 v[10:11], v[8:9], v[6:7]
	;;#ASMEND
	v_cvt_f32_f16_sdwa v9, v4 dst_sel:DWORD dst_unused:UNUSED_PAD src0_sel:WORD_1
	v_cvt_f32_f16_e32 v8, v4
	v_cvt_f32_f16_sdwa v13, v5 dst_sel:DWORD dst_unused:UNUSED_PAD src0_sel:WORD_1
	v_cvt_f32_f16_e32 v12, v5
	v_pk_add_f32 v[6:7], v[20:21], 1.0 op_sel_hi:[1,0]
	v_pk_add_f32 v[4:5], v[8:9], 1.0 op_sel_hi:[1,0]
	;;#ASMSTART
	v_pk_mul_f32 v[16:17], v[16:17], v[6:7]
	;;#ASMEND
	;;#ASMSTART
	v_pk_mul_f32 v[14:15], v[14:15], v[4:5]
	;;#ASMEND
	v_pk_add_f32 v[4:5], v[12:13], 1.0 op_sel_hi:[1,0]
	;;#ASMSTART
	v_pk_mul_f32 v[12:13], v[2:3], v[4:5]
	;;#ASMEND
.LBB45_9:
	s_or_b64 exec, exec, s[20:21]
	s_load_dword s7, s[4:5], 0x80
	s_mov_b64 s[20:21], -1
	s_and_b64 vcc, exec, s[10:11]
	s_cbranch_vccnz .LBB45_13
; %bb.10:
	s_andn2_b64 vcc, exec, s[20:21]
	s_cbranch_vccz .LBB45_16
.LBB45_11:
	s_cmp_lt_i32 s16, 1
	s_cbranch_scc0 .LBB45_25
.LBB45_12:
	s_endpgm
.LBB45_13:
	s_and_saveexec_b64 s[10:11], s[2:3]
	s_cbranch_execz .LBB45_15
; %bb.14:
	s_waitcnt lgkmcnt(0)
	s_mul_hi_i32 s21, s7, s6
	s_mul_i32 s20, s7, s6
	s_waitcnt vmcnt(0)
	v_cvt_f16_f32_e32 v2, v10
	v_cvt_f16_f32_e32 v3, v16
	;; [unrolled: 1-line block ×8, first 2 shown]
	s_lshl_b64 s[20:21], s[20:21], 1
	s_add_u32 s20, s24, s20
	s_addc_u32 s12, s25, s21
	s_and_b32 s21, s12, 0xffff
	s_mov_b32 s23, 0x20000
	v_pack_b32_f16 v5, v5, v6
	v_pack_b32_f16 v4, v4, v7
	;; [unrolled: 1-line block ×4, first 2 shown]
	v_lshlrev_b32_e32 v6, 4, v0
	buffer_store_dwordx4 v[2:5], v6, s[20:23], 0 offen
	;;#ASMSTART
	s_nop 0
	;;#ASMEND
.LBB45_15:
	s_or_b64 exec, exec, s[10:11]
	s_cbranch_execnz .LBB45_11
.LBB45_16:
	s_waitcnt vmcnt(0)
	v_mov_b32_e32 v2, 0
	s_and_saveexec_b64 s[10:11], s[2:3]
	s_cbranch_execz .LBB45_18
; %bb.17:
	v_and_b32_e32 v2, 0x7fffffff, v10
	v_and_b32_e32 v3, 0x7fffffff, v11
	v_mov_b32_e32 v4, 0x2edbe6ff
	;;#ASMSTART
	v_max3_f32 v2, v4, v2, v3

	;;#ASMEND
	v_and_b32_e32 v3, 0x7fffffff, v16
	v_and_b32_e32 v4, 0x7fffffff, v17
	;;#ASMSTART
	v_max3_f32 v2, v2, v3, v4

	;;#ASMEND
	v_and_b32_e32 v3, 0x7fffffff, v14
	v_and_b32_e32 v4, 0x7fffffff, v15
	;; [unrolled: 6-line block ×3, first 2 shown]
	;;#ASMSTART
	v_max3_f32 v2, v2, v3, v4

	;;#ASMEND
.LBB45_18:
	s_or_b64 exec, exec, s[10:11]
	s_nop 0
	v_mov_b32_dpp v3, v2 quad_perm:[1,0,3,2] row_mask:0xf bank_mask:0xf
	v_cmp_gt_f32_e32 vcc, v2, v3
	v_cndmask_b32_e32 v2, v3, v2, vcc
	s_nop 1
	v_mov_b32_dpp v3, v2 quad_perm:[2,3,0,1] row_mask:0xf bank_mask:0xf
	v_cmp_gt_f32_e32 vcc, v2, v3
	v_cndmask_b32_e32 v2, v3, v2, vcc
	s_nop 1
	v_mov_b32_dpp v3, v2 row_half_mirror row_mask:0xf bank_mask:0xf
	v_cmp_gt_f32_e32 vcc, v2, v3
	v_cndmask_b32_e32 v2, v3, v2, vcc
	s_nop 1
	v_mov_b32_dpp v3, v2 row_mirror row_mask:0xf bank_mask:0xf
	v_cmp_gt_f32_e32 vcc, v2, v3
	v_cndmask_b32_e32 v2, v3, v2, vcc
	s_nop 1
	v_mov_b32_dpp v3, v2 row_bcast:15 row_mask:0xf bank_mask:0xf
	v_cmp_gt_f32_e32 vcc, v2, v3
	v_cndmask_b32_e32 v2, v3, v2, vcc
	s_nop 1
	v_mov_b32_dpp v3, v2 row_bcast:31 row_mask:0xf bank_mask:0xf
	s_and_saveexec_b64 s[10:11], s[0:1]
	s_cbranch_execz .LBB45_20
; %bb.19:
	v_cmp_gt_f32_e32 vcc, v2, v3
	v_cndmask_b32_e32 v2, v3, v2, vcc
	v_lshrrev_b32_e32 v3, 4, v0
	v_and_b32_e32 v3, 60, v3
	ds_write_b32 v3, v2
.LBB45_20:
	s_or_b64 exec, exec, s[10:11]
	s_waitcnt lgkmcnt(0)
	s_barrier
	ds_read_b32 v2, v18
	s_load_dwordx2 s[20:21], s[4:5], 0x70
	s_waitcnt lgkmcnt(0)
	v_mov_b32_dpp v3, v2 quad_perm:[1,0,3,2] row_mask:0xf bank_mask:0xf
	v_cmp_gt_f32_e32 vcc, v2, v3
	v_cndmask_b32_e32 v2, v3, v2, vcc
	s_nop 1
	v_mov_b32_dpp v3, v2 quad_perm:[2,3,0,1] row_mask:0xf bank_mask:0xf
	v_cmp_gt_f32_e32 vcc, v2, v3
	v_cndmask_b32_e32 v2, v3, v2, vcc
	v_mul_f32_e32 v2, 0x3b124925, v2
	v_cmp_eq_u32_e32 vcc, 0, v0
	s_and_saveexec_b64 s[10:11], vcc
	s_cbranch_execz .LBB45_22
; %bb.21:
	s_load_dwordx2 s[22:23], s[4:5], 0x8
	s_mul_hi_i32 s29, s21, s6
	s_mul_i32 s28, s21, s6
	s_lshl_b64 s[28:29], s[28:29], 2
	v_mov_b32_e32 v3, 0
	s_waitcnt lgkmcnt(0)
	s_add_u32 s22, s22, s28
	s_addc_u32 s23, s23, s29
	global_store_dword v3, v2, s[22:23]
.LBB45_22:
	s_or_b64 exec, exec, s[10:11]
	;;#ASMSTART
	v_rcp_f32 v2, v2
	;;#ASMEND
	s_and_saveexec_b64 s[10:11], s[2:3]
	s_cbranch_execz .LBB45_24
; %bb.23:
	s_load_dwordx2 s[2:3], s[4:5], 0x0
	s_mul_i32 s14, s20, s6
	v_mov_b32_e32 v3, v2
	;;#ASMSTART
	v_pk_mul_f32 v[4:5], v[10:11], v[2:3]
	;;#ASMEND
	s_mul_hi_i32 s12, s20, s6
	s_waitcnt lgkmcnt(0)
	s_add_u32 s20, s2, s14
	v_mov_b32_e32 v8, 0xc3e00000
	v_mov_b32_e32 v9, 0x43e00000
	;;#ASMSTART
	v_med3_f32 v4, v4, v8, v9
v_med3_f32 v5, v5, v8, v9
v_cvt_pk_fp8_f32 v6, v4, v5
	;;#ASMEND
	s_addc_u32 s2, s3, s12
	;;#ASMSTART
	v_pk_mul_f32 v[4:5], v[16:17], v[2:3]
	;;#ASMEND
	s_and_b32 s21, s2, 0xffff
	;;#ASMSTART
	v_med3_f32 v4, v4, v8, v9
v_med3_f32 v5, v5, v8, v9
v_cvt_pk_fp8_f32 v7, v4, v5
	;;#ASMEND
	s_mov_b32 s2, 0x5040100
	v_perm_b32 v5, v7, v6, s2
	s_movk_i32 s2, 0xff
	v_and_b32_e32 v4, 0xffffff00, v7
	v_and_b32_sdwa v6, v5, s2 dst_sel:DWORD dst_unused:UNUSED_PAD src0_sel:WORD_1 src1_sel:DWORD
	s_mov_b32 s17, 0xffff
	v_or_b32_sdwa v4, v6, v4 dst_sel:WORD_1 dst_unused:UNUSED_PAD src0_sel:DWORD src1_sel:DWORD
	s_add_i32 s3, s15, 3
	v_and_or_b32 v4, v5, s17, v4
	;;#ASMSTART
	v_pk_mul_f32 v[6:7], v[14:15], v[2:3]
	;;#ASMEND
	v_mov_b32_e32 v5, v7
	s_ashr_i32 s12, s3, 31
	;;#ASMSTART
	v_med3_f32 v6, v6, v8, v9
v_med3_f32 v5, v5, v8, v9
v_cvt_pk_fp8_f32 v7, v6, v5
	;;#ASMEND
	;;#ASMSTART
	v_pk_mul_f32 v[2:3], v[12:13], v[2:3]
	;;#ASMEND
	s_lshr_b32 s12, s12, 30
	;;#ASMSTART
	v_med3_f32 v2, v2, v8, v9
v_med3_f32 v3, v3, v8, v9
v_cvt_pk_fp8_f32 v5, v2, v3
	;;#ASMEND
	s_add_i32 s3, s3, s12
	v_lshlrev_b32_e32 v2, 16, v5
	s_and_b32 s22, s3, -4
	s_mov_b32 s23, 0x20000
	v_and_or_b32 v5, v7, s17, v2
	buffer_store_dwordx2 v[4:5], v1, s[20:23], 0 offen
	;;#ASMSTART
	s_nop 0
	;;#ASMEND
.LBB45_24:
	s_or_b64 exec, exec, s[10:11]
	s_cmp_lt_i32 s16, 1
	s_cbranch_scc1 .LBB45_12
.LBB45_25:
	s_load_dword s2, s[4:5], 0x94
	s_waitcnt lgkmcnt(0)
	s_cmp_lg_u32 s2, 1
	s_cbranch_scc1 .LBB45_12
; %bb.26:
	s_lshl_b32 s2, s16, 1
	s_add_i32 s2, s2, 2
	v_cmp_gt_u32_e32 vcc, s16, v1
	s_and_b32 s10, s2, -4
	v_mov_b32_e32 v10, 0
	v_lshlrev_b32_e32 v1, 4, v0
	v_mov_b32_e32 v6, 0
	v_mov_b32_e32 v7, 0
	;; [unrolled: 1-line block ×4, first 2 shown]
	s_waitcnt vmcnt(0)
	v_mov_b32_e32 v2, 0
	v_mov_b32_e32 v3, 0
	;; [unrolled: 1-line block ×4, first 2 shown]
	s_barrier
	s_and_saveexec_b64 s[2:3], vcc
	s_cbranch_execz .LBB45_28
; %bb.27:
	s_mul_hi_i32 s5, s18, s6
	s_mul_i32 s4, s18, s6
	s_and_b32 s9, s9, 0xffff
	s_lshl_b64 s[4:5], s[4:5], 1
	s_add_u32 s20, s26, s4
	s_mov_b32 s11, 0x20000
	s_addc_u32 s4, s27, s5
	s_and_b32 s21, s4, 0xffff
	s_mov_b32 s22, s10
	s_mov_b32 s23, s11
	buffer_load_dwordx4 v[6:9], v1, s[20:23], 0 offen glc slc
	buffer_load_dwordx4 v[2:5], v1, s[8:11], 0 offen
.LBB45_28:
	s_or_b64 exec, exec, s[2:3]
	v_mov_b32_e32 v11, 0
	v_mov_b32_e32 v16, 0
	;; [unrolled: 1-line block ×7, first 2 shown]
	s_and_saveexec_b64 s[2:3], vcc
	s_cbranch_execz .LBB45_30
; %bb.29:
	s_waitcnt vmcnt(1)
	v_cvt_f32_f16_sdwa v11, v6 dst_sel:DWORD dst_unused:UNUSED_PAD src0_sel:WORD_1
	v_cvt_f32_f16_e32 v10, v6
	v_cvt_f32_f16_sdwa v17, v7 dst_sel:DWORD dst_unused:UNUSED_PAD src0_sel:WORD_1
	v_cvt_f32_f16_e32 v16, v7
	;; [unrolled: 2-line block ×4, first 2 shown]
.LBB45_30:
	s_or_b64 exec, exec, s[2:3]
	s_waitcnt vmcnt(1)
	v_mul_f32_e32 v6, v11, v11
	v_fmac_f32_e32 v6, v10, v10
	v_fmac_f32_e32 v6, v16, v16
	;; [unrolled: 1-line block ×7, first 2 shown]
	s_nop 1
	v_mov_b32_dpp v7, v6 quad_perm:[1,0,3,2] row_mask:0xf bank_mask:0xf
	v_add_f32_e32 v6, v6, v7
	s_nop 1
	v_mov_b32_dpp v7, v6 quad_perm:[2,3,0,1] row_mask:0xf bank_mask:0xf
	v_add_f32_e32 v6, v6, v7
	s_nop 1
	v_mov_b32_dpp v7, v6 row_half_mirror row_mask:0xf bank_mask:0xf
	v_add_f32_e32 v6, v6, v7
	s_nop 1
	v_mov_b32_dpp v7, v6 row_mirror row_mask:0xf bank_mask:0xf
	v_add_f32_e32 v6, v6, v7
	s_nop 1
	v_mov_b32_dpp v7, v6 row_bcast:15 row_mask:0xf bank_mask:0xf
	v_add_f32_e32 v6, v6, v7
	s_nop 1
	v_mov_b32_dpp v7, v6 row_bcast:31 row_mask:0xf bank_mask:0xf
	s_and_saveexec_b64 s[2:3], s[0:1]
	s_cbranch_execz .LBB45_32
; %bb.31:
	v_lshrrev_b32_e32 v0, 4, v0
	v_add_f32_e32 v6, v6, v7
	v_and_b32_e32 v0, 60, v0
	ds_write_b32 v0, v6 offset:16
.LBB45_32:
	s_or_b64 exec, exec, s[2:3]
	s_waitcnt lgkmcnt(0)
	s_barrier
	ds_read_b32 v0, v18 offset:16
	s_waitcnt lgkmcnt(0)
	s_nop 0
	v_mov_b32_dpp v6, v0 quad_perm:[1,0,3,2] row_mask:0xf bank_mask:0xf
	v_add_f32_e32 v0, v0, v6
	s_nop 1
	v_mov_b32_dpp v6, v0 quad_perm:[2,3,0,1] row_mask:0xf bank_mask:0xf
	s_and_saveexec_b64 s[0:1], vcc
	s_cbranch_execz .LBB45_12
; %bb.33:
	v_cvt_f32_u32_e32 v7, s16
	v_add_f32_e32 v0, v0, v6
	s_mov_b32 s11, 0x20000
	v_div_scale_f32 v6, s[0:1], v7, v7, v0
	v_rcp_f32_e32 v8, v6
	v_div_scale_f32 v9, vcc, v0, v7, v0
	s_mov_b32 s0, 0x800000
	v_fma_f32 v18, -v6, v8, 1.0
	v_fmac_f32_e32 v8, v18, v8
	v_mul_f32_e32 v18, v9, v8
	v_fma_f32 v19, -v6, v18, v9
	v_fmac_f32_e32 v18, v19, v8
	v_fma_f32 v6, -v6, v18, v9
	v_div_fmas_f32 v6, v6, v8, v18
	v_div_fixup_f32 v0, v6, v7, v0
	v_add_f32_e32 v0, s13, v0
	v_mul_f32_e32 v6, 0x4b800000, v0
	v_cmp_gt_f32_e32 vcc, s0, v0
	v_cndmask_b32_e32 v0, v0, v6, vcc
	v_rsq_f32_e32 v0, v0
	s_waitcnt vmcnt(0)
	v_cvt_f32_f16_sdwa v19, v3 dst_sel:DWORD dst_unused:UNUSED_PAD src0_sel:WORD_1
	v_cvt_f32_f16_e32 v18, v3
	s_mul_hi_i32 s1, s7, s6
	v_mul_f32_e32 v6, 0x45800000, v0
	v_cndmask_b32_e32 v6, v0, v6, vcc
	v_mov_b32_e32 v7, v6
	;;#ASMSTART
	v_pk_mul_f32 v[8:9], v[10:11], v[6:7]
	;;#ASMEND
	;;#ASMSTART
	v_pk_mul_f32 v[10:11], v[16:17], v[6:7]
	;;#ASMEND
	v_cvt_f32_f16_sdwa v17, v2 dst_sel:DWORD dst_unused:UNUSED_PAD src0_sel:WORD_1
	v_cvt_f32_f16_e32 v16, v2
	;;#ASMSTART
	v_pk_mul_f32 v[14:15], v[14:15], v[6:7]
	;;#ASMEND
	;;#ASMSTART
	v_pk_mul_f32 v[2:3], v[12:13], v[6:7]
	;;#ASMEND
	v_cvt_f32_f16_sdwa v13, v4 dst_sel:DWORD dst_unused:UNUSED_PAD src0_sel:WORD_1
	v_cvt_f32_f16_e32 v12, v4
	v_pk_add_f32 v[6:7], v[16:17], 1.0 op_sel_hi:[1,0]
	v_cvt_f32_f16_sdwa v17, v5 dst_sel:DWORD dst_unused:UNUSED_PAD src0_sel:WORD_1
	v_cvt_f32_f16_e32 v16, v5
	;;#ASMSTART
	v_pk_mul_f32 v[6:7], v[8:9], v[6:7]
	;;#ASMEND
	v_pk_add_f32 v[8:9], v[18:19], 1.0 op_sel_hi:[1,0]
	;;#ASMSTART
	v_pk_mul_f32 v[4:5], v[10:11], v[8:9]
	;;#ASMEND
	v_pk_add_f32 v[8:9], v[12:13], 1.0 op_sel_hi:[1,0]
	;; [unrolled: 4-line block ×3, first 2 shown]
	;;#ASMSTART
	v_pk_mul_f32 v[2:3], v[2:3], v[10:11]
	;;#ASMEND
	s_mul_i32 s0, s7, s6
	v_cvt_f16_f32_e32 v0, v6
	v_cvt_f16_f32_e32 v6, v7
	;; [unrolled: 1-line block ×8, first 2 shown]
	s_lshl_b64 s[0:1], s[0:1], 1
	s_add_u32 s8, s24, s0
	s_addc_u32 s0, s25, s1
	s_and_b32 s9, s0, 0xffff
	v_pack_b32_f16 v2, v0, v6
	v_pack_b32_f16 v3, v4, v5
	;; [unrolled: 1-line block ×4, first 2 shown]
	buffer_store_dwordx4 v[2:5], v1, s[8:11], 0 offen
	;;#ASMSTART
	s_nop 0
	;;#ASMEND
	s_endpgm
	.section	.rodata,"a",@progbits
	.p2align	6, 0x0
	.amdhsa_kernel _ZN5aiter35fused_qk_rmsnorm_group_quant_kernelIDF16_DB8_Li256ELi8ELi1ELb0ELb0ELb1ELb0ELb1ELb1EEEvPT0_PvPT_S6_S6_PKS5_S8_S8_S8_S8_ffiiiiiiiiiiiii
		.amdhsa_group_segment_fixed_size 48
		.amdhsa_private_segment_fixed_size 0
		.amdhsa_kernarg_size 400
		.amdhsa_user_sgpr_count 6
		.amdhsa_user_sgpr_private_segment_buffer 1
		.amdhsa_user_sgpr_dispatch_ptr 0
		.amdhsa_user_sgpr_queue_ptr 0
		.amdhsa_user_sgpr_kernarg_segment_ptr 1
		.amdhsa_user_sgpr_dispatch_id 0
		.amdhsa_user_sgpr_flat_scratch_init 0
		.amdhsa_user_sgpr_kernarg_preload_length 0
		.amdhsa_user_sgpr_kernarg_preload_offset 0
		.amdhsa_user_sgpr_private_segment_size 0
		.amdhsa_uses_dynamic_stack 0
		.amdhsa_system_sgpr_private_segment_wavefront_offset 0
		.amdhsa_system_sgpr_workgroup_id_x 1
		.amdhsa_system_sgpr_workgroup_id_y 1
		.amdhsa_system_sgpr_workgroup_id_z 0
		.amdhsa_system_sgpr_workgroup_info 0
		.amdhsa_system_vgpr_workitem_id 0
		.amdhsa_next_free_vgpr 23
		.amdhsa_next_free_sgpr 32
		.amdhsa_accum_offset 24
		.amdhsa_reserve_vcc 1
		.amdhsa_reserve_flat_scratch 0
		.amdhsa_float_round_mode_32 0
		.amdhsa_float_round_mode_16_64 0
		.amdhsa_float_denorm_mode_32 3
		.amdhsa_float_denorm_mode_16_64 3
		.amdhsa_dx10_clamp 1
		.amdhsa_ieee_mode 1
		.amdhsa_fp16_overflow 0
		.amdhsa_tg_split 0
		.amdhsa_exception_fp_ieee_invalid_op 0
		.amdhsa_exception_fp_denorm_src 0
		.amdhsa_exception_fp_ieee_div_zero 0
		.amdhsa_exception_fp_ieee_overflow 0
		.amdhsa_exception_fp_ieee_underflow 0
		.amdhsa_exception_fp_ieee_inexact 0
		.amdhsa_exception_int_div_zero 0
	.end_amdhsa_kernel
	.section	.text._ZN5aiter35fused_qk_rmsnorm_group_quant_kernelIDF16_DB8_Li256ELi8ELi1ELb0ELb0ELb1ELb0ELb1ELb1EEEvPT0_PvPT_S6_S6_PKS5_S8_S8_S8_S8_ffiiiiiiiiiiiii,"axG",@progbits,_ZN5aiter35fused_qk_rmsnorm_group_quant_kernelIDF16_DB8_Li256ELi8ELi1ELb0ELb0ELb1ELb0ELb1ELb1EEEvPT0_PvPT_S6_S6_PKS5_S8_S8_S8_S8_ffiiiiiiiiiiiii,comdat
.Lfunc_end45:
	.size	_ZN5aiter35fused_qk_rmsnorm_group_quant_kernelIDF16_DB8_Li256ELi8ELi1ELb0ELb0ELb1ELb0ELb1ELb1EEEvPT0_PvPT_S6_S6_PKS5_S8_S8_S8_S8_ffiiiiiiiiiiiii, .Lfunc_end45-_ZN5aiter35fused_qk_rmsnorm_group_quant_kernelIDF16_DB8_Li256ELi8ELi1ELb0ELb0ELb1ELb0ELb1ELb1EEEvPT0_PvPT_S6_S6_PKS5_S8_S8_S8_S8_ffiiiiiiiiiiiii
                                        ; -- End function
	.section	.AMDGPU.csdata,"",@progbits
; Kernel info:
; codeLenInByte = 2680
; NumSgprs: 36
; NumVgprs: 23
; NumAgprs: 0
; TotalNumVgprs: 23
; ScratchSize: 0
; MemoryBound: 0
; FloatMode: 240
; IeeeMode: 1
; LDSByteSize: 48 bytes/workgroup (compile time only)
; SGPRBlocks: 4
; VGPRBlocks: 2
; NumSGPRsForWavesPerEU: 36
; NumVGPRsForWavesPerEU: 23
; AccumOffset: 24
; Occupancy: 8
; WaveLimiterHint : 0
; COMPUTE_PGM_RSRC2:SCRATCH_EN: 0
; COMPUTE_PGM_RSRC2:USER_SGPR: 6
; COMPUTE_PGM_RSRC2:TRAP_HANDLER: 0
; COMPUTE_PGM_RSRC2:TGID_X_EN: 1
; COMPUTE_PGM_RSRC2:TGID_Y_EN: 1
; COMPUTE_PGM_RSRC2:TGID_Z_EN: 0
; COMPUTE_PGM_RSRC2:TIDIG_COMP_CNT: 0
; COMPUTE_PGM_RSRC3_GFX90A:ACCUM_OFFSET: 5
; COMPUTE_PGM_RSRC3_GFX90A:TG_SPLIT: 0
	.section	.text._ZN5aiter35fused_qk_rmsnorm_group_quant_kernelItDB8_Li256ELi8ELi1ELb0ELb0ELb1ELb0ELb1ELb1EEEvPT0_PvPT_S6_S6_PKS5_S8_S8_S8_S8_ffiiiiiiiiiiiii,"axG",@progbits,_ZN5aiter35fused_qk_rmsnorm_group_quant_kernelItDB8_Li256ELi8ELi1ELb0ELb0ELb1ELb0ELb1ELb1EEEvPT0_PvPT_S6_S6_PKS5_S8_S8_S8_S8_ffiiiiiiiiiiiii,comdat
	.protected	_ZN5aiter35fused_qk_rmsnorm_group_quant_kernelItDB8_Li256ELi8ELi1ELb0ELb0ELb1ELb0ELb1ELb1EEEvPT0_PvPT_S6_S6_PKS5_S8_S8_S8_S8_ffiiiiiiiiiiiii ; -- Begin function _ZN5aiter35fused_qk_rmsnorm_group_quant_kernelItDB8_Li256ELi8ELi1ELb0ELb0ELb1ELb0ELb1ELb1EEEvPT0_PvPT_S6_S6_PKS5_S8_S8_S8_S8_ffiiiiiiiiiiiii
	.globl	_ZN5aiter35fused_qk_rmsnorm_group_quant_kernelItDB8_Li256ELi8ELi1ELb0ELb0ELb1ELb0ELb1ELb1EEEvPT0_PvPT_S6_S6_PKS5_S8_S8_S8_S8_ffiiiiiiiiiiiii
	.p2align	8
	.type	_ZN5aiter35fused_qk_rmsnorm_group_quant_kernelItDB8_Li256ELi8ELi1ELb0ELb0ELb1ELb0ELb1ELb1EEEvPT0_PvPT_S6_S6_PKS5_S8_S8_S8_S8_ffiiiiiiiiiiiii,@function
_ZN5aiter35fused_qk_rmsnorm_group_quant_kernelItDB8_Li256ELi8ELi1ELb0ELb0ELb1ELb0ELb1ELb1EEEvPT0_PvPT_S6_S6_PKS5_S8_S8_S8_S8_ffiiiiiiiiiiiii: ; @_ZN5aiter35fused_qk_rmsnorm_group_quant_kernelItDB8_Li256ELi8ELi1ELb0ELb0ELb1ELb0ELb1ELb1EEEvPT0_PvPT_S6_S6_PKS5_S8_S8_S8_S8_ffiiiiiiiiiiiii
; %bb.0:
	s_load_dwordx4 s[12:15], s[4:5], 0x50
	s_waitcnt lgkmcnt(0)
	s_cmp_ge_i32 s6, s14
	s_cbranch_scc1 .LBB46_10
; %bb.1:
	s_load_dwordx2 s[8:9], s[4:5], 0x48
	s_load_dwordx2 s[26:27], s[4:5], 0x30
	s_load_dwordx4 s[16:19], s[4:5], 0x60
	s_cmp_lg_u32 s7, 0
	s_cselect_b64 s[10:11], -1, 0
	s_cmp_eq_u32 s7, 0
	s_cselect_b64 vcc, -1, 0
	s_and_b64 s[0:1], vcc, exec
	s_waitcnt lgkmcnt(0)
	s_cselect_b32 s7, s15, s16
	s_add_i32 s0, s7, 1
	s_lshr_b32 s1, s0, 31
	s_add_i32 s0, s0, s1
	s_lshl_b32 s0, s0, 1
	v_lshlrev_b32_e32 v1, 3, v0
	s_and_b32 s22, s0, -4
	v_cmp_gt_i32_e64 s[2:3], s7, v1
	v_mov_b32_e32 v2, 0
	v_mov_b32_e32 v3, 0
	v_mov_b32_e32 v4, 0
	v_mov_b32_e32 v5, 0
	v_mov_b32_e32 v6, 0
	v_mov_b32_e32 v7, 0
	v_mov_b32_e32 v8, 0
	v_mov_b32_e32 v9, 0
	s_and_saveexec_b64 s[0:1], s[2:3]
	s_cbranch_execz .LBB46_3
; %bb.2:
	s_load_dwordx2 s[20:21], s[4:5], 0x28
	s_load_dwordx2 s[24:25], s[4:5], 0x40
	s_and_b64 s[28:29], vcc, exec
	s_cselect_b32 s14, s17, s18
	s_mov_b32 s23, 0x20000
	s_waitcnt lgkmcnt(0)
	s_cselect_b32 s17, s21, s27
	s_cselect_b32 s19, s20, s26
	s_mul_hi_i32 s21, s14, s6
	s_mul_i32 s20, s14, s6
	s_lshl_b64 s[20:21], s[20:21], 1
	s_add_u32 s28, s19, s20
	s_addc_u32 s14, s17, s21
	s_and_b64 s[20:21], vcc, exec
	s_cselect_b32 s20, s24, s8
	s_cselect_b32 s17, s25, s9
	v_lshlrev_b32_e32 v10, 4, v0
	s_and_b32 s29, s14, 0xffff
	s_mov_b32 s30, s22
	s_mov_b32 s31, s23
	s_and_b32 s21, s17, 0xffff
	buffer_load_dwordx4 v[6:9], v10, s[28:31], 0 offen glc slc
	buffer_load_dwordx4 v[2:5], v10, s[20:23], 0 offen
.LBB46_3:
	s_or_b64 exec, exec, s[0:1]
	s_waitcnt vmcnt(1)
	v_cvt_f32_u32_sdwa v13, v6 dst_sel:DWORD dst_unused:UNUSED_PAD src0_sel:WORD_1
	v_cvt_f32_u32_sdwa v12, v6 dst_sel:DWORD dst_unused:UNUSED_PAD src0_sel:WORD_0
	v_cvt_f32_u32_sdwa v6, v9 dst_sel:DWORD dst_unused:UNUSED_PAD src0_sel:WORD_1
	v_cvt_f32_u32_sdwa v9, v9 dst_sel:DWORD dst_unused:UNUSED_PAD src0_sel:WORD_0
	;; [unrolled: 2-line block ×4, first 2 shown]
	v_cndmask_b32_e64 v13, 0, v13, s[2:3]
	v_cndmask_b32_e64 v7, 0, v6, s[2:3]
	;; [unrolled: 1-line block ×5, first 2 shown]
	v_mul_f32_e32 v14, v13, v13
	v_cndmask_b32_e64 v10, 0, v10, s[2:3]
	v_fmac_f32_e32 v14, v12, v12
	v_cndmask_b32_e64 v11, 0, v11, s[2:3]
	v_fmac_f32_e32 v14, v10, v10
	;; [unrolled: 2-line block ×3, first 2 shown]
	v_fmac_f32_e32 v14, v8, v8
	v_fmac_f32_e32 v14, v9, v9
	;; [unrolled: 1-line block ×4, first 2 shown]
	v_and_b32_e32 v16, 63, v0
	v_cmp_eq_u32_e64 s[0:1], 63, v16
	v_mov_b32_dpp v15, v14 quad_perm:[1,0,3,2] row_mask:0xf bank_mask:0xf
	v_add_f32_e32 v14, v14, v15
	s_nop 1
	v_mov_b32_dpp v15, v14 quad_perm:[2,3,0,1] row_mask:0xf bank_mask:0xf
	v_add_f32_e32 v14, v14, v15
	s_nop 1
	v_mov_b32_dpp v15, v14 row_half_mirror row_mask:0xf bank_mask:0xf
	v_add_f32_e32 v14, v14, v15
	s_nop 1
	v_mov_b32_dpp v15, v14 row_mirror row_mask:0xf bank_mask:0xf
	v_add_f32_e32 v14, v14, v15
	s_nop 1
	v_mov_b32_dpp v15, v14 row_bcast:15 row_mask:0xf bank_mask:0xf
	v_add_f32_e32 v14, v14, v15
	s_nop 1
	v_mov_b32_dpp v15, v14 row_bcast:31 row_mask:0xf bank_mask:0xf
	s_and_saveexec_b64 s[20:21], s[0:1]
	s_cbranch_execz .LBB46_5
; %bb.4:
	v_add_f32_e32 v14, v14, v15
	v_lshrrev_b32_e32 v15, 4, v0
	v_and_b32_e32 v15, 60, v15
	ds_write_b32 v15, v14 offset:32
.LBB46_5:
	s_or_b64 exec, exec, s[20:21]
	v_and_b32_e32 v14, 3, v0
	v_lshlrev_b32_e32 v14, 2, v14
	s_waitcnt lgkmcnt(0)
	s_barrier
	ds_read_b32 v15, v14 offset:32
	s_load_dwordx2 s[24:25], s[4:5], 0x18
	s_waitcnt lgkmcnt(0)
	v_mov_b32_dpp v16, v15 quad_perm:[1,0,3,2] row_mask:0xf bank_mask:0xf
	v_add_f32_e32 v15, v15, v16
	s_nop 1
	v_mov_b32_dpp v16, v15 quad_perm:[2,3,0,1] row_mask:0xf bank_mask:0xf
	s_and_saveexec_b64 s[20:21], s[2:3]
	s_cbranch_execz .LBB46_7
; %bb.6:
	v_cvt_f32_u32_e32 v17, s7
	v_add_f32_e32 v15, v15, v16
	v_mov_b32_e32 v19, s13
	v_mov_b32_e32 v20, s12
	v_div_scale_f32 v16, s[28:29], v17, v17, v15
	v_rcp_f32_e32 v18, v16
	v_cndmask_b32_e32 v19, v19, v20, vcc
	s_mov_b32 s7, 0x800000
	v_fma_f32 v20, -v16, v18, 1.0
	v_fmac_f32_e32 v18, v20, v18
	v_div_scale_f32 v20, vcc, v15, v17, v15
	v_mul_f32_e32 v21, v20, v18
	v_fma_f32 v22, -v16, v21, v20
	v_fmac_f32_e32 v21, v22, v18
	v_fma_f32 v16, -v16, v21, v20
	v_div_fmas_f32 v16, v16, v18, v21
	v_div_fixup_f32 v15, v16, v17, v15
	v_add_f32_e32 v15, v19, v15
	v_mul_f32_e32 v16, 0x4b800000, v15
	v_cmp_gt_f32_e32 vcc, s7, v15
	v_cndmask_b32_e32 v15, v15, v16, vcc
	v_rsq_f32_e32 v15, v15
	s_waitcnt vmcnt(0)
	v_cvt_f32_u32_sdwa v19, v2 dst_sel:DWORD dst_unused:UNUSED_PAD src0_sel:WORD_1
	v_cvt_f32_u32_sdwa v18, v2 dst_sel:DWORD dst_unused:UNUSED_PAD src0_sel:WORD_0
	v_cvt_f32_u32_sdwa v21, v3 dst_sel:DWORD dst_unused:UNUSED_PAD src0_sel:WORD_1
	v_mul_f32_e32 v16, 0x45800000, v15
	v_cndmask_b32_e32 v16, v15, v16, vcc
	v_mov_b32_e32 v17, v16
	;;#ASMSTART
	v_pk_mul_f32 v[12:13], v[12:13], v[16:17]
	;;#ASMEND
	;;#ASMSTART
	v_pk_mul_f32 v[10:11], v[10:11], v[16:17]
	;;#ASMEND
	;; [unrolled: 3-line block ×3, first 2 shown]
	v_cvt_f32_u32_sdwa v20, v3 dst_sel:DWORD dst_unused:UNUSED_PAD src0_sel:WORD_0
	;;#ASMSTART
	v_pk_mul_f32 v[2:3], v[6:7], v[16:17]
	;;#ASMEND
	v_cvt_f32_u32_sdwa v17, v4 dst_sel:DWORD dst_unused:UNUSED_PAD src0_sel:WORD_1
	v_cvt_f32_u32_sdwa v16, v4 dst_sel:DWORD dst_unused:UNUSED_PAD src0_sel:WORD_0
	v_pk_add_f32 v[6:7], v[18:19], 1.0 op_sel_hi:[1,0]
	v_cvt_f32_u32_sdwa v19, v5 dst_sel:DWORD dst_unused:UNUSED_PAD src0_sel:WORD_1
	v_cvt_f32_u32_sdwa v18, v5 dst_sel:DWORD dst_unused:UNUSED_PAD src0_sel:WORD_0
	;;#ASMSTART
	v_pk_mul_f32 v[12:13], v[12:13], v[6:7]
	;;#ASMEND
	v_pk_add_f32 v[6:7], v[20:21], 1.0 op_sel_hi:[1,0]
	v_pk_add_f32 v[4:5], v[16:17], 1.0 op_sel_hi:[1,0]
	;;#ASMSTART
	v_pk_mul_f32 v[10:11], v[10:11], v[6:7]
	;;#ASMEND
	;;#ASMSTART
	v_pk_mul_f32 v[8:9], v[8:9], v[4:5]
	;;#ASMEND
	v_pk_add_f32 v[4:5], v[18:19], 1.0 op_sel_hi:[1,0]
	;;#ASMSTART
	v_pk_mul_f32 v[6:7], v[2:3], v[4:5]
	;;#ASMEND
.LBB46_7:
	s_or_b64 exec, exec, s[20:21]
	s_load_dword s7, s[4:5], 0x80
	s_mov_b64 s[20:21], -1
	s_and_b64 vcc, exec, s[10:11]
	s_cbranch_vccnz .LBB46_11
; %bb.8:
	s_andn2_b64 vcc, exec, s[20:21]
	s_cbranch_vccz .LBB46_14
.LBB46_9:
	s_cmp_lt_i32 s16, 1
	s_cbranch_scc0 .LBB46_23
.LBB46_10:
	s_endpgm
.LBB46_11:
	s_and_saveexec_b64 s[10:11], s[2:3]
	s_cbranch_execz .LBB46_13
; %bb.12:
	s_waitcnt lgkmcnt(0)
	s_mul_hi_i32 s21, s7, s6
	s_mul_i32 s20, s7, s6
	s_lshl_b64 s[20:21], s[20:21], 1
	s_add_u32 s20, s24, s20
	s_addc_u32 s12, s25, s21
	s_and_b32 s21, s12, 0xffff
	s_mov_b32 s12, 0x7060302
	s_mov_b32 s23, 0x20000
	s_waitcnt vmcnt(0)
	v_perm_b32 v2, v13, v12, s12
	v_perm_b32 v3, v11, v10, s12
	;; [unrolled: 1-line block ×4, first 2 shown]
	v_lshlrev_b32_e32 v15, 4, v0
	buffer_store_dwordx4 v[2:5], v15, s[20:23], 0 offen
	;;#ASMSTART
	s_nop 0
	;;#ASMEND
.LBB46_13:
	s_or_b64 exec, exec, s[10:11]
	s_cbranch_execnz .LBB46_9
.LBB46_14:
	s_waitcnt vmcnt(0)
	v_mov_b32_e32 v2, 0
	s_and_saveexec_b64 s[10:11], s[2:3]
	s_cbranch_execz .LBB46_16
; %bb.15:
	v_and_b32_e32 v2, 0x7fffffff, v12
	v_and_b32_e32 v3, 0x7fffffff, v13
	v_mov_b32_e32 v4, 0x2edbe6ff
	;;#ASMSTART
	v_max3_f32 v2, v4, v2, v3

	;;#ASMEND
	v_and_b32_e32 v3, 0x7fffffff, v10
	v_and_b32_e32 v4, 0x7fffffff, v11
	;;#ASMSTART
	v_max3_f32 v2, v2, v3, v4

	;;#ASMEND
	v_and_b32_e32 v3, 0x7fffffff, v8
	v_and_b32_e32 v4, 0x7fffffff, v9
	;; [unrolled: 6-line block ×3, first 2 shown]
	;;#ASMSTART
	v_max3_f32 v2, v2, v3, v4

	;;#ASMEND
.LBB46_16:
	s_or_b64 exec, exec, s[10:11]
	s_nop 0
	v_mov_b32_dpp v3, v2 quad_perm:[1,0,3,2] row_mask:0xf bank_mask:0xf
	v_cmp_gt_f32_e32 vcc, v2, v3
	v_cndmask_b32_e32 v2, v3, v2, vcc
	s_nop 1
	v_mov_b32_dpp v3, v2 quad_perm:[2,3,0,1] row_mask:0xf bank_mask:0xf
	v_cmp_gt_f32_e32 vcc, v2, v3
	v_cndmask_b32_e32 v2, v3, v2, vcc
	s_nop 1
	v_mov_b32_dpp v3, v2 row_half_mirror row_mask:0xf bank_mask:0xf
	v_cmp_gt_f32_e32 vcc, v2, v3
	v_cndmask_b32_e32 v2, v3, v2, vcc
	s_nop 1
	v_mov_b32_dpp v3, v2 row_mirror row_mask:0xf bank_mask:0xf
	v_cmp_gt_f32_e32 vcc, v2, v3
	v_cndmask_b32_e32 v2, v3, v2, vcc
	s_nop 1
	v_mov_b32_dpp v3, v2 row_bcast:15 row_mask:0xf bank_mask:0xf
	v_cmp_gt_f32_e32 vcc, v2, v3
	v_cndmask_b32_e32 v2, v3, v2, vcc
	s_nop 1
	v_mov_b32_dpp v3, v2 row_bcast:31 row_mask:0xf bank_mask:0xf
	s_and_saveexec_b64 s[10:11], s[0:1]
	s_cbranch_execz .LBB46_18
; %bb.17:
	v_cmp_gt_f32_e32 vcc, v2, v3
	v_cndmask_b32_e32 v2, v3, v2, vcc
	v_lshrrev_b32_e32 v3, 4, v0
	v_and_b32_e32 v3, 60, v3
	ds_write_b32 v3, v2
.LBB46_18:
	s_or_b64 exec, exec, s[10:11]
	s_waitcnt lgkmcnt(0)
	s_barrier
	ds_read_b32 v2, v14
	s_load_dwordx2 s[20:21], s[4:5], 0x70
	s_waitcnt lgkmcnt(0)
	v_mov_b32_dpp v3, v2 quad_perm:[1,0,3,2] row_mask:0xf bank_mask:0xf
	v_cmp_gt_f32_e32 vcc, v2, v3
	v_cndmask_b32_e32 v2, v3, v2, vcc
	s_nop 1
	v_mov_b32_dpp v3, v2 quad_perm:[2,3,0,1] row_mask:0xf bank_mask:0xf
	v_cmp_gt_f32_e32 vcc, v2, v3
	v_cndmask_b32_e32 v2, v3, v2, vcc
	v_mul_f32_e32 v2, 0x3b124925, v2
	v_cmp_eq_u32_e32 vcc, 0, v0
	s_and_saveexec_b64 s[10:11], vcc
	s_cbranch_execz .LBB46_20
; %bb.19:
	s_load_dwordx2 s[22:23], s[4:5], 0x8
	s_mul_hi_i32 s29, s21, s6
	s_mul_i32 s28, s21, s6
	s_lshl_b64 s[28:29], s[28:29], 2
	v_mov_b32_e32 v3, 0
	s_waitcnt lgkmcnt(0)
	s_add_u32 s22, s22, s28
	s_addc_u32 s23, s23, s29
	global_store_dword v3, v2, s[22:23]
.LBB46_20:
	s_or_b64 exec, exec, s[10:11]
	;;#ASMSTART
	v_rcp_f32 v2, v2
	;;#ASMEND
	s_and_saveexec_b64 s[10:11], s[2:3]
	s_cbranch_execz .LBB46_22
; %bb.21:
	s_load_dwordx2 s[2:3], s[4:5], 0x0
	s_mul_i32 s14, s20, s6
	v_mov_b32_e32 v3, v2
	;;#ASMSTART
	v_pk_mul_f32 v[4:5], v[12:13], v[2:3]
	;;#ASMEND
	s_mul_hi_i32 s12, s20, s6
	s_waitcnt lgkmcnt(0)
	s_add_u32 s20, s2, s14
	v_mov_b32_e32 v12, 0xc3e00000
	v_mov_b32_e32 v13, 0x43e00000
	;;#ASMSTART
	v_med3_f32 v4, v4, v12, v13
v_med3_f32 v5, v5, v12, v13
v_cvt_pk_fp8_f32 v15, v4, v5
	;;#ASMEND
	s_addc_u32 s2, s3, s12
	;;#ASMSTART
	v_pk_mul_f32 v[4:5], v[10:11], v[2:3]
	;;#ASMEND
	s_and_b32 s21, s2, 0xffff
	;;#ASMSTART
	v_med3_f32 v4, v4, v12, v13
v_med3_f32 v5, v5, v12, v13
v_cvt_pk_fp8_f32 v10, v4, v5
	;;#ASMEND
	s_mov_b32 s2, 0x5040100
	v_perm_b32 v5, v10, v15, s2
	s_movk_i32 s2, 0xff
	v_and_b32_e32 v4, 0xffffff00, v10
	v_and_b32_sdwa v10, v5, s2 dst_sel:DWORD dst_unused:UNUSED_PAD src0_sel:WORD_1 src1_sel:DWORD
	s_mov_b32 s17, 0xffff
	v_or_b32_sdwa v4, v10, v4 dst_sel:WORD_1 dst_unused:UNUSED_PAD src0_sel:DWORD src1_sel:DWORD
	s_add_i32 s3, s15, 3
	v_and_or_b32 v4, v5, s17, v4
	;;#ASMSTART
	v_pk_mul_f32 v[8:9], v[8:9], v[2:3]
	;;#ASMEND
	v_mov_b32_e32 v5, v9
	s_ashr_i32 s12, s3, 31
	;;#ASMSTART
	v_med3_f32 v8, v8, v12, v13
v_med3_f32 v5, v5, v12, v13
v_cvt_pk_fp8_f32 v9, v8, v5
	;;#ASMEND
	;;#ASMSTART
	v_pk_mul_f32 v[2:3], v[6:7], v[2:3]
	;;#ASMEND
	s_lshr_b32 s12, s12, 30
	;;#ASMSTART
	v_med3_f32 v2, v2, v12, v13
v_med3_f32 v3, v3, v12, v13
v_cvt_pk_fp8_f32 v5, v2, v3
	;;#ASMEND
	s_add_i32 s3, s3, s12
	v_lshlrev_b32_e32 v2, 16, v5
	s_and_b32 s22, s3, -4
	s_mov_b32 s23, 0x20000
	v_and_or_b32 v5, v9, s17, v2
	buffer_store_dwordx2 v[4:5], v1, s[20:23], 0 offen
	;;#ASMSTART
	s_nop 0
	;;#ASMEND
.LBB46_22:
	s_or_b64 exec, exec, s[10:11]
	s_cmp_lt_i32 s16, 1
	s_cbranch_scc1 .LBB46_10
.LBB46_23:
	s_load_dword s2, s[4:5], 0x94
	s_waitcnt lgkmcnt(0)
	s_cmp_lg_u32 s2, 1
	s_cbranch_scc1 .LBB46_10
; %bb.24:
	s_lshl_b32 s2, s16, 1
	s_add_i32 s2, s2, 2
	v_cmp_gt_u32_e32 vcc, s16, v1
	s_and_b32 s10, s2, -4
	v_mov_b32_e32 v6, 0
	v_lshlrev_b32_e32 v1, 4, v0
	v_mov_b32_e32 v7, 0
	v_mov_b32_e32 v8, 0
	;; [unrolled: 1-line block ×3, first 2 shown]
	s_waitcnt vmcnt(0)
	v_mov_b32_e32 v2, 0
	v_mov_b32_e32 v3, 0
	v_mov_b32_e32 v4, 0
	v_mov_b32_e32 v5, 0
	s_barrier
	s_and_saveexec_b64 s[2:3], vcc
	s_cbranch_execz .LBB46_26
; %bb.25:
	s_mul_hi_i32 s5, s18, s6
	s_mul_i32 s4, s18, s6
	s_and_b32 s9, s9, 0xffff
	s_lshl_b64 s[4:5], s[4:5], 1
	s_add_u32 s20, s26, s4
	s_mov_b32 s11, 0x20000
	s_addc_u32 s4, s27, s5
	s_and_b32 s21, s4, 0xffff
	s_mov_b32 s22, s10
	s_mov_b32 s23, s11
	buffer_load_dwordx4 v[6:9], v1, s[20:23], 0 offen glc slc
	buffer_load_dwordx4 v[2:5], v1, s[8:11], 0 offen
.LBB46_26:
	s_or_b64 exec, exec, s[2:3]
	s_waitcnt vmcnt(1)
	v_cvt_f32_u32_sdwa v13, v6 dst_sel:DWORD dst_unused:UNUSED_PAD src0_sel:WORD_1
	v_cvt_f32_u32_sdwa v12, v6 dst_sel:DWORD dst_unused:UNUSED_PAD src0_sel:WORD_0
	v_cvt_f32_u32_sdwa v6, v9 dst_sel:DWORD dst_unused:UNUSED_PAD src0_sel:WORD_1
	v_cvt_f32_u32_sdwa v9, v9 dst_sel:DWORD dst_unused:UNUSED_PAD src0_sel:WORD_0
	;; [unrolled: 2-line block ×4, first 2 shown]
	v_cndmask_b32_e32 v13, 0, v13, vcc
	v_cndmask_b32_e32 v7, 0, v6, vcc
	;; [unrolled: 1-line block ×5, first 2 shown]
	v_mul_f32_e32 v15, v13, v13
	v_cndmask_b32_e32 v10, 0, v10, vcc
	v_fmac_f32_e32 v15, v12, v12
	v_cndmask_b32_e32 v11, 0, v11, vcc
	v_fmac_f32_e32 v15, v10, v10
	;; [unrolled: 2-line block ×3, first 2 shown]
	v_fmac_f32_e32 v15, v8, v8
	v_fmac_f32_e32 v15, v9, v9
	;; [unrolled: 1-line block ×4, first 2 shown]
	s_nop 1
	v_mov_b32_dpp v16, v15 quad_perm:[1,0,3,2] row_mask:0xf bank_mask:0xf
	v_add_f32_e32 v15, v15, v16
	s_nop 1
	v_mov_b32_dpp v16, v15 quad_perm:[2,3,0,1] row_mask:0xf bank_mask:0xf
	v_add_f32_e32 v15, v15, v16
	s_nop 1
	v_mov_b32_dpp v16, v15 row_half_mirror row_mask:0xf bank_mask:0xf
	v_add_f32_e32 v15, v15, v16
	s_nop 1
	v_mov_b32_dpp v16, v15 row_mirror row_mask:0xf bank_mask:0xf
	v_add_f32_e32 v15, v15, v16
	s_nop 1
	v_mov_b32_dpp v16, v15 row_bcast:15 row_mask:0xf bank_mask:0xf
	v_add_f32_e32 v15, v15, v16
	s_nop 1
	v_mov_b32_dpp v16, v15 row_bcast:31 row_mask:0xf bank_mask:0xf
	s_and_saveexec_b64 s[2:3], s[0:1]
	s_cbranch_execz .LBB46_28
; %bb.27:
	v_lshrrev_b32_e32 v0, 4, v0
	v_add_f32_e32 v15, v15, v16
	v_and_b32_e32 v0, 60, v0
	ds_write_b32 v0, v15 offset:16
.LBB46_28:
	s_or_b64 exec, exec, s[2:3]
	s_waitcnt lgkmcnt(0)
	s_barrier
	ds_read_b32 v0, v14 offset:16
	s_waitcnt lgkmcnt(0)
	s_nop 0
	v_mov_b32_dpp v14, v0 quad_perm:[1,0,3,2] row_mask:0xf bank_mask:0xf
	v_add_f32_e32 v0, v0, v14
	s_nop 1
	v_mov_b32_dpp v14, v0 quad_perm:[2,3,0,1] row_mask:0xf bank_mask:0xf
	s_and_saveexec_b64 s[0:1], vcc
	s_cbranch_execz .LBB46_10
; %bb.29:
	v_cvt_f32_u32_e32 v15, s16
	v_add_f32_e32 v0, v0, v14
	s_mov_b32 s11, 0x20000
	v_div_scale_f32 v14, s[0:1], v15, v15, v0
	v_rcp_f32_e32 v16, v14
	v_div_scale_f32 v17, vcc, v0, v15, v0
	s_mov_b32 s0, 0x800000
	v_fma_f32 v18, -v14, v16, 1.0
	v_fmac_f32_e32 v16, v18, v16
	v_mul_f32_e32 v18, v17, v16
	v_fma_f32 v19, -v14, v18, v17
	v_fmac_f32_e32 v18, v19, v16
	v_fma_f32 v14, -v14, v18, v17
	v_div_fmas_f32 v14, v14, v16, v18
	v_div_fixup_f32 v0, v14, v15, v0
	v_add_f32_e32 v0, s13, v0
	v_mul_f32_e32 v14, 0x4b800000, v0
	v_cmp_gt_f32_e32 vcc, s0, v0
	v_cndmask_b32_e32 v0, v0, v14, vcc
	v_rsq_f32_e32 v0, v0
	s_waitcnt vmcnt(0)
	v_cvt_f32_u32_sdwa v17, v2 dst_sel:DWORD dst_unused:UNUSED_PAD src0_sel:WORD_1
	v_cvt_f32_u32_sdwa v16, v2 dst_sel:DWORD dst_unused:UNUSED_PAD src0_sel:WORD_0
	v_cvt_f32_u32_sdwa v19, v3 dst_sel:DWORD dst_unused:UNUSED_PAD src0_sel:WORD_1
	v_mul_f32_e32 v14, 0x45800000, v0
	v_cndmask_b32_e32 v14, v0, v14, vcc
	v_mov_b32_e32 v15, v14
	;;#ASMSTART
	v_pk_mul_f32 v[12:13], v[12:13], v[14:15]
	;;#ASMEND
	;;#ASMSTART
	v_pk_mul_f32 v[10:11], v[10:11], v[14:15]
	;;#ASMEND
	;; [unrolled: 3-line block ×3, first 2 shown]
	v_cvt_f32_u32_sdwa v18, v3 dst_sel:DWORD dst_unused:UNUSED_PAD src0_sel:WORD_0
	;;#ASMSTART
	v_pk_mul_f32 v[2:3], v[6:7], v[14:15]
	;;#ASMEND
	v_cvt_f32_u32_sdwa v15, v4 dst_sel:DWORD dst_unused:UNUSED_PAD src0_sel:WORD_1
	v_cvt_f32_u32_sdwa v14, v4 dst_sel:DWORD dst_unused:UNUSED_PAD src0_sel:WORD_0
	v_pk_add_f32 v[6:7], v[16:17], 1.0 op_sel_hi:[1,0]
	v_cvt_f32_u32_sdwa v17, v5 dst_sel:DWORD dst_unused:UNUSED_PAD src0_sel:WORD_1
	v_cvt_f32_u32_sdwa v16, v5 dst_sel:DWORD dst_unused:UNUSED_PAD src0_sel:WORD_0
	s_mul_hi_i32 s1, s7, s6
	s_mul_i32 s0, s7, s6
	s_lshl_b64 s[0:1], s[0:1], 1
	s_add_u32 s8, s24, s0
	;;#ASMSTART
	v_pk_mul_f32 v[6:7], v[12:13], v[6:7]
	;;#ASMEND
	v_pk_add_f32 v[12:13], v[18:19], 1.0 op_sel_hi:[1,0]
	;;#ASMSTART
	v_pk_mul_f32 v[4:5], v[10:11], v[12:13]
	;;#ASMEND
	v_pk_add_f32 v[10:11], v[14:15], 1.0 op_sel_hi:[1,0]
	s_addc_u32 s0, s25, s1
	;;#ASMSTART
	v_pk_mul_f32 v[8:9], v[8:9], v[10:11]
	;;#ASMEND
	v_pk_add_f32 v[10:11], v[16:17], 1.0 op_sel_hi:[1,0]
	s_and_b32 s9, s0, 0xffff
	s_mov_b32 s0, 0x7060302
	;;#ASMSTART
	v_pk_mul_f32 v[10:11], v[2:3], v[10:11]
	;;#ASMEND
	v_perm_b32 v2, v7, v6, s0
	v_perm_b32 v3, v5, v4, s0
	;; [unrolled: 1-line block ×4, first 2 shown]
	buffer_store_dwordx4 v[2:5], v1, s[8:11], 0 offen
	;;#ASMSTART
	s_nop 0
	;;#ASMEND
	s_endpgm
	.section	.rodata,"a",@progbits
	.p2align	6, 0x0
	.amdhsa_kernel _ZN5aiter35fused_qk_rmsnorm_group_quant_kernelItDB8_Li256ELi8ELi1ELb0ELb0ELb1ELb0ELb1ELb1EEEvPT0_PvPT_S6_S6_PKS5_S8_S8_S8_S8_ffiiiiiiiiiiiii
		.amdhsa_group_segment_fixed_size 48
		.amdhsa_private_segment_fixed_size 0
		.amdhsa_kernarg_size 400
		.amdhsa_user_sgpr_count 6
		.amdhsa_user_sgpr_private_segment_buffer 1
		.amdhsa_user_sgpr_dispatch_ptr 0
		.amdhsa_user_sgpr_queue_ptr 0
		.amdhsa_user_sgpr_kernarg_segment_ptr 1
		.amdhsa_user_sgpr_dispatch_id 0
		.amdhsa_user_sgpr_flat_scratch_init 0
		.amdhsa_user_sgpr_kernarg_preload_length 0
		.amdhsa_user_sgpr_kernarg_preload_offset 0
		.amdhsa_user_sgpr_private_segment_size 0
		.amdhsa_uses_dynamic_stack 0
		.amdhsa_system_sgpr_private_segment_wavefront_offset 0
		.amdhsa_system_sgpr_workgroup_id_x 1
		.amdhsa_system_sgpr_workgroup_id_y 1
		.amdhsa_system_sgpr_workgroup_id_z 0
		.amdhsa_system_sgpr_workgroup_info 0
		.amdhsa_system_vgpr_workitem_id 0
		.amdhsa_next_free_vgpr 23
		.amdhsa_next_free_sgpr 32
		.amdhsa_accum_offset 24
		.amdhsa_reserve_vcc 1
		.amdhsa_reserve_flat_scratch 0
		.amdhsa_float_round_mode_32 0
		.amdhsa_float_round_mode_16_64 0
		.amdhsa_float_denorm_mode_32 3
		.amdhsa_float_denorm_mode_16_64 3
		.amdhsa_dx10_clamp 1
		.amdhsa_ieee_mode 1
		.amdhsa_fp16_overflow 0
		.amdhsa_tg_split 0
		.amdhsa_exception_fp_ieee_invalid_op 0
		.amdhsa_exception_fp_denorm_src 0
		.amdhsa_exception_fp_ieee_div_zero 0
		.amdhsa_exception_fp_ieee_overflow 0
		.amdhsa_exception_fp_ieee_underflow 0
		.amdhsa_exception_fp_ieee_inexact 0
		.amdhsa_exception_int_div_zero 0
	.end_amdhsa_kernel
	.section	.text._ZN5aiter35fused_qk_rmsnorm_group_quant_kernelItDB8_Li256ELi8ELi1ELb0ELb0ELb1ELb0ELb1ELb1EEEvPT0_PvPT_S6_S6_PKS5_S8_S8_S8_S8_ffiiiiiiiiiiiii,"axG",@progbits,_ZN5aiter35fused_qk_rmsnorm_group_quant_kernelItDB8_Li256ELi8ELi1ELb0ELb0ELb1ELb0ELb1ELb1EEEvPT0_PvPT_S6_S6_PKS5_S8_S8_S8_S8_ffiiiiiiiiiiiii,comdat
.Lfunc_end46:
	.size	_ZN5aiter35fused_qk_rmsnorm_group_quant_kernelItDB8_Li256ELi8ELi1ELb0ELb0ELb1ELb0ELb1ELb1EEEvPT0_PvPT_S6_S6_PKS5_S8_S8_S8_S8_ffiiiiiiiiiiiii, .Lfunc_end46-_ZN5aiter35fused_qk_rmsnorm_group_quant_kernelItDB8_Li256ELi8ELi1ELb0ELb0ELb1ELb0ELb1ELb1EEEvPT0_PvPT_S6_S6_PKS5_S8_S8_S8_S8_ffiiiiiiiiiiiii
                                        ; -- End function
	.section	.AMDGPU.csdata,"",@progbits
; Kernel info:
; codeLenInByte = 2696
; NumSgprs: 36
; NumVgprs: 23
; NumAgprs: 0
; TotalNumVgprs: 23
; ScratchSize: 0
; MemoryBound: 0
; FloatMode: 240
; IeeeMode: 1
; LDSByteSize: 48 bytes/workgroup (compile time only)
; SGPRBlocks: 4
; VGPRBlocks: 2
; NumSGPRsForWavesPerEU: 36
; NumVGPRsForWavesPerEU: 23
; AccumOffset: 24
; Occupancy: 8
; WaveLimiterHint : 0
; COMPUTE_PGM_RSRC2:SCRATCH_EN: 0
; COMPUTE_PGM_RSRC2:USER_SGPR: 6
; COMPUTE_PGM_RSRC2:TRAP_HANDLER: 0
; COMPUTE_PGM_RSRC2:TGID_X_EN: 1
; COMPUTE_PGM_RSRC2:TGID_Y_EN: 1
; COMPUTE_PGM_RSRC2:TGID_Z_EN: 0
; COMPUTE_PGM_RSRC2:TIDIG_COMP_CNT: 0
; COMPUTE_PGM_RSRC3_GFX90A:ACCUM_OFFSET: 5
; COMPUTE_PGM_RSRC3_GFX90A:TG_SPLIT: 0
	.section	.text._ZN5aiter35fused_qk_rmsnorm_group_quant_kernelIDF16_DB8_Li256ELi8ELi1ELb0ELb0ELb0ELb0ELb1ELb1EEEvPT0_PvPT_S6_S6_PKS5_S8_S8_S8_S8_ffiiiiiiiiiiiii,"axG",@progbits,_ZN5aiter35fused_qk_rmsnorm_group_quant_kernelIDF16_DB8_Li256ELi8ELi1ELb0ELb0ELb0ELb0ELb1ELb1EEEvPT0_PvPT_S6_S6_PKS5_S8_S8_S8_S8_ffiiiiiiiiiiiii,comdat
	.protected	_ZN5aiter35fused_qk_rmsnorm_group_quant_kernelIDF16_DB8_Li256ELi8ELi1ELb0ELb0ELb0ELb0ELb1ELb1EEEvPT0_PvPT_S6_S6_PKS5_S8_S8_S8_S8_ffiiiiiiiiiiiii ; -- Begin function _ZN5aiter35fused_qk_rmsnorm_group_quant_kernelIDF16_DB8_Li256ELi8ELi1ELb0ELb0ELb0ELb0ELb1ELb1EEEvPT0_PvPT_S6_S6_PKS5_S8_S8_S8_S8_ffiiiiiiiiiiiii
	.globl	_ZN5aiter35fused_qk_rmsnorm_group_quant_kernelIDF16_DB8_Li256ELi8ELi1ELb0ELb0ELb0ELb0ELb1ELb1EEEvPT0_PvPT_S6_S6_PKS5_S8_S8_S8_S8_ffiiiiiiiiiiiii
	.p2align	8
	.type	_ZN5aiter35fused_qk_rmsnorm_group_quant_kernelIDF16_DB8_Li256ELi8ELi1ELb0ELb0ELb0ELb0ELb1ELb1EEEvPT0_PvPT_S6_S6_PKS5_S8_S8_S8_S8_ffiiiiiiiiiiiii,@function
_ZN5aiter35fused_qk_rmsnorm_group_quant_kernelIDF16_DB8_Li256ELi8ELi1ELb0ELb0ELb0ELb0ELb1ELb1EEEvPT0_PvPT_S6_S6_PKS5_S8_S8_S8_S8_ffiiiiiiiiiiiii: ; @_ZN5aiter35fused_qk_rmsnorm_group_quant_kernelIDF16_DB8_Li256ELi8ELi1ELb0ELb0ELb0ELb0ELb1ELb1EEEvPT0_PvPT_S6_S6_PKS5_S8_S8_S8_S8_ffiiiiiiiiiiiii
; %bb.0:
	s_load_dwordx4 s[12:15], s[4:5], 0x50
	s_waitcnt lgkmcnt(0)
	s_cmp_ge_i32 s6, s14
	s_cbranch_scc1 .LBB47_12
; %bb.1:
	s_load_dwordx2 s[8:9], s[4:5], 0x48
	s_load_dwordx2 s[26:27], s[4:5], 0x30
	s_load_dwordx4 s[16:19], s[4:5], 0x60
	s_cmp_lg_u32 s7, 0
	s_cselect_b64 s[10:11], -1, 0
	s_cmp_eq_u32 s7, 0
	s_cselect_b64 vcc, -1, 0
	s_and_b64 s[0:1], vcc, exec
	s_waitcnt lgkmcnt(0)
	s_cselect_b32 s7, s15, s16
	s_add_i32 s0, s7, 1
	s_lshr_b32 s1, s0, 31
	s_add_i32 s0, s0, s1
	s_lshl_b32 s0, s0, 1
	v_lshlrev_b32_e32 v1, 3, v0
	s_and_b32 s22, s0, -4
	v_cmp_gt_i32_e64 s[2:3], s7, v1
	v_mov_b32_e32 v10, 0
	v_mov_b32_e32 v2, 0
	v_mov_b32_e32 v3, 0
	v_mov_b32_e32 v4, 0
	v_mov_b32_e32 v5, 0
	v_mov_b32_e32 v6, 0
	v_mov_b32_e32 v7, 0
	v_mov_b32_e32 v8, 0
	v_mov_b32_e32 v9, 0
	s_and_saveexec_b64 s[0:1], s[2:3]
	s_cbranch_execz .LBB47_3
; %bb.2:
	s_load_dwordx2 s[20:21], s[4:5], 0x28
	s_load_dwordx2 s[24:25], s[4:5], 0x40
	s_and_b64 s[28:29], vcc, exec
	s_cselect_b32 s14, s17, s18
	s_mov_b32 s23, 0x20000
	s_waitcnt lgkmcnt(0)
	s_cselect_b32 s17, s21, s27
	s_cselect_b32 s19, s20, s26
	s_mul_hi_i32 s21, s14, s6
	s_mul_i32 s20, s14, s6
	s_lshl_b64 s[20:21], s[20:21], 1
	s_add_u32 s28, s19, s20
	s_addc_u32 s14, s17, s21
	s_and_b64 s[20:21], vcc, exec
	s_cselect_b32 s20, s24, s8
	s_cselect_b32 s17, s25, s9
	v_lshlrev_b32_e32 v11, 4, v0
	s_and_b32 s29, s14, 0xffff
	s_mov_b32 s30, s22
	s_mov_b32 s31, s23
	s_and_b32 s21, s17, 0xffff
	buffer_load_dwordx4 v[6:9], v11, s[28:31], 0 offen glc slc
	buffer_load_dwordx4 v[2:5], v11, s[20:23], 0 offen
.LBB47_3:
	s_or_b64 exec, exec, s[0:1]
	v_mov_b32_e32 v11, 0
	v_mov_b32_e32 v16, 0
	;; [unrolled: 1-line block ×7, first 2 shown]
	s_and_saveexec_b64 s[0:1], s[2:3]
	s_cbranch_execz .LBB47_5
; %bb.4:
	s_waitcnt vmcnt(1)
	v_cvt_f32_f16_sdwa v11, v6 dst_sel:DWORD dst_unused:UNUSED_PAD src0_sel:WORD_1
	v_cvt_f32_f16_e32 v10, v6
	v_cvt_f32_f16_sdwa v17, v7 dst_sel:DWORD dst_unused:UNUSED_PAD src0_sel:WORD_1
	v_cvt_f32_f16_e32 v16, v7
	;; [unrolled: 2-line block ×4, first 2 shown]
.LBB47_5:
	s_or_b64 exec, exec, s[0:1]
	s_waitcnt vmcnt(1)
	v_mul_f32_e32 v6, v11, v11
	v_fmac_f32_e32 v6, v10, v10
	v_fmac_f32_e32 v6, v16, v16
	;; [unrolled: 1-line block ×7, first 2 shown]
	v_and_b32_e32 v8, 63, v0
	v_cmp_eq_u32_e64 s[0:1], 63, v8
	v_mov_b32_dpp v7, v6 quad_perm:[1,0,3,2] row_mask:0xf bank_mask:0xf
	v_add_f32_e32 v6, v6, v7
	s_nop 1
	v_mov_b32_dpp v7, v6 quad_perm:[2,3,0,1] row_mask:0xf bank_mask:0xf
	v_add_f32_e32 v6, v6, v7
	s_nop 1
	v_mov_b32_dpp v7, v6 row_half_mirror row_mask:0xf bank_mask:0xf
	v_add_f32_e32 v6, v6, v7
	s_nop 1
	v_mov_b32_dpp v7, v6 row_mirror row_mask:0xf bank_mask:0xf
	v_add_f32_e32 v6, v6, v7
	s_nop 1
	v_mov_b32_dpp v7, v6 row_bcast:15 row_mask:0xf bank_mask:0xf
	v_add_f32_e32 v6, v6, v7
	s_nop 1
	v_mov_b32_dpp v7, v6 row_bcast:31 row_mask:0xf bank_mask:0xf
	s_and_saveexec_b64 s[20:21], s[0:1]
	s_cbranch_execz .LBB47_7
; %bb.6:
	v_add_f32_e32 v6, v6, v7
	v_lshrrev_b32_e32 v7, 4, v0
	v_and_b32_e32 v7, 60, v7
	ds_write_b32 v7, v6 offset:32
.LBB47_7:
	s_or_b64 exec, exec, s[20:21]
	v_and_b32_e32 v6, 3, v0
	v_lshlrev_b32_e32 v18, 2, v6
	s_waitcnt lgkmcnt(0)
	s_barrier
	ds_read_b32 v6, v18 offset:32
	s_load_dwordx2 s[24:25], s[4:5], 0x18
	s_waitcnt lgkmcnt(0)
	v_mov_b32_dpp v7, v6 quad_perm:[1,0,3,2] row_mask:0xf bank_mask:0xf
	v_add_f32_e32 v6, v6, v7
	s_nop 1
	v_mov_b32_dpp v7, v6 quad_perm:[2,3,0,1] row_mask:0xf bank_mask:0xf
	s_and_saveexec_b64 s[20:21], s[2:3]
	s_cbranch_execz .LBB47_9
; %bb.8:
	v_cvt_f32_u32_e32 v8, s7
	v_add_f32_e32 v6, v6, v7
	v_mov_b32_e32 v19, s13
	v_mov_b32_e32 v20, s12
	v_div_scale_f32 v7, s[28:29], v8, v8, v6
	v_rcp_f32_e32 v9, v7
	v_cndmask_b32_e32 v19, v19, v20, vcc
	s_mov_b32 s7, 0x800000
	v_fma_f32 v20, -v7, v9, 1.0
	v_fmac_f32_e32 v9, v20, v9
	v_div_scale_f32 v20, vcc, v6, v8, v6
	v_mul_f32_e32 v21, v20, v9
	v_fma_f32 v22, -v7, v21, v20
	v_fmac_f32_e32 v21, v22, v9
	v_fma_f32 v7, -v7, v21, v20
	v_div_fmas_f32 v7, v7, v9, v21
	v_div_fixup_f32 v6, v7, v8, v6
	v_add_f32_e32 v6, v19, v6
	v_mul_f32_e32 v7, 0x4b800000, v6
	v_cmp_gt_f32_e32 vcc, s7, v6
	v_cndmask_b32_e32 v6, v6, v7, vcc
	v_rsq_f32_e32 v6, v6
	s_waitcnt vmcnt(0)
	v_cvt_f32_f16_sdwa v21, v5 dst_sel:DWORD dst_unused:UNUSED_PAD src0_sel:WORD_1
	v_cvt_f32_f16_e32 v20, v5
	v_mul_f32_e32 v7, 0x45800000, v6
	v_cndmask_b32_e32 v6, v6, v7, vcc
	v_mov_b32_e32 v7, v6
	;;#ASMSTART
	v_pk_mul_f32 v[8:9], v[10:11], v[6:7]
	;;#ASMEND
	;;#ASMSTART
	v_pk_mul_f32 v[16:17], v[16:17], v[6:7]
	;;#ASMEND
	;;#ASMSTART
	v_pk_mul_f32 v[14:15], v[14:15], v[6:7]
	;;#ASMEND
	;;#ASMSTART
	v_pk_mul_f32 v[6:7], v[12:13], v[6:7]
	;;#ASMEND
	v_cvt_f32_f16_sdwa v11, v2 dst_sel:DWORD dst_unused:UNUSED_PAD src0_sel:WORD_1
	v_cvt_f32_f16_e32 v10, v2
	v_cvt_f32_f16_sdwa v13, v3 dst_sel:DWORD dst_unused:UNUSED_PAD src0_sel:WORD_1
	v_cvt_f32_f16_e32 v12, v3
	;; [unrolled: 2-line block ×3, first 2 shown]
	;;#ASMSTART
	v_pk_mul_f32 v[10:11], v[8:9], v[10:11]
	;;#ASMEND
	;;#ASMSTART
	v_pk_mul_f32 v[16:17], v[16:17], v[12:13]
	;;#ASMEND
	;; [unrolled: 3-line block ×4, first 2 shown]
.LBB47_9:
	s_or_b64 exec, exec, s[20:21]
	s_load_dword s7, s[4:5], 0x80
	s_mov_b64 s[20:21], -1
	s_and_b64 vcc, exec, s[10:11]
	s_cbranch_vccnz .LBB47_13
; %bb.10:
	s_andn2_b64 vcc, exec, s[20:21]
	s_cbranch_vccz .LBB47_16
.LBB47_11:
	s_cmp_lt_i32 s16, 1
	s_cbranch_scc0 .LBB47_25
.LBB47_12:
	s_endpgm
.LBB47_13:
	s_and_saveexec_b64 s[10:11], s[2:3]
	s_cbranch_execz .LBB47_15
; %bb.14:
	s_waitcnt lgkmcnt(0)
	s_mul_hi_i32 s21, s7, s6
	s_mul_i32 s20, s7, s6
	s_waitcnt vmcnt(0)
	v_cvt_f16_f32_e32 v2, v10
	v_cvt_f16_f32_e32 v3, v16
	;; [unrolled: 1-line block ×8, first 2 shown]
	s_lshl_b64 s[20:21], s[20:21], 1
	s_add_u32 s20, s24, s20
	s_addc_u32 s12, s25, s21
	s_and_b32 s21, s12, 0xffff
	s_mov_b32 s23, 0x20000
	v_pack_b32_f16 v5, v5, v6
	v_pack_b32_f16 v4, v4, v7
	;; [unrolled: 1-line block ×4, first 2 shown]
	v_lshlrev_b32_e32 v6, 4, v0
	buffer_store_dwordx4 v[2:5], v6, s[20:23], 0 offen
	;;#ASMSTART
	s_nop 0
	;;#ASMEND
.LBB47_15:
	s_or_b64 exec, exec, s[10:11]
	s_cbranch_execnz .LBB47_11
.LBB47_16:
	s_waitcnt vmcnt(0)
	v_mov_b32_e32 v2, 0
	s_and_saveexec_b64 s[10:11], s[2:3]
	s_cbranch_execz .LBB47_18
; %bb.17:
	v_and_b32_e32 v2, 0x7fffffff, v10
	v_and_b32_e32 v3, 0x7fffffff, v11
	v_mov_b32_e32 v4, 0x2edbe6ff
	;;#ASMSTART
	v_max3_f32 v2, v4, v2, v3

	;;#ASMEND
	v_and_b32_e32 v3, 0x7fffffff, v16
	v_and_b32_e32 v4, 0x7fffffff, v17
	;;#ASMSTART
	v_max3_f32 v2, v2, v3, v4

	;;#ASMEND
	v_and_b32_e32 v3, 0x7fffffff, v14
	v_and_b32_e32 v4, 0x7fffffff, v15
	;;#ASMSTART
	v_max3_f32 v2, v2, v3, v4

	;;#ASMEND
	v_and_b32_e32 v3, 0x7fffffff, v12
	v_and_b32_e32 v4, 0x7fffffff, v13
	;;#ASMSTART
	v_max3_f32 v2, v2, v3, v4

	;;#ASMEND
.LBB47_18:
	s_or_b64 exec, exec, s[10:11]
	s_nop 0
	v_mov_b32_dpp v3, v2 quad_perm:[1,0,3,2] row_mask:0xf bank_mask:0xf
	v_cmp_gt_f32_e32 vcc, v2, v3
	v_cndmask_b32_e32 v2, v3, v2, vcc
	s_nop 1
	v_mov_b32_dpp v3, v2 quad_perm:[2,3,0,1] row_mask:0xf bank_mask:0xf
	v_cmp_gt_f32_e32 vcc, v2, v3
	v_cndmask_b32_e32 v2, v3, v2, vcc
	s_nop 1
	v_mov_b32_dpp v3, v2 row_half_mirror row_mask:0xf bank_mask:0xf
	v_cmp_gt_f32_e32 vcc, v2, v3
	v_cndmask_b32_e32 v2, v3, v2, vcc
	s_nop 1
	v_mov_b32_dpp v3, v2 row_mirror row_mask:0xf bank_mask:0xf
	v_cmp_gt_f32_e32 vcc, v2, v3
	v_cndmask_b32_e32 v2, v3, v2, vcc
	s_nop 1
	v_mov_b32_dpp v3, v2 row_bcast:15 row_mask:0xf bank_mask:0xf
	v_cmp_gt_f32_e32 vcc, v2, v3
	v_cndmask_b32_e32 v2, v3, v2, vcc
	s_nop 1
	v_mov_b32_dpp v3, v2 row_bcast:31 row_mask:0xf bank_mask:0xf
	s_and_saveexec_b64 s[10:11], s[0:1]
	s_cbranch_execz .LBB47_20
; %bb.19:
	v_cmp_gt_f32_e32 vcc, v2, v3
	v_cndmask_b32_e32 v2, v3, v2, vcc
	v_lshrrev_b32_e32 v3, 4, v0
	v_and_b32_e32 v3, 60, v3
	ds_write_b32 v3, v2
.LBB47_20:
	s_or_b64 exec, exec, s[10:11]
	s_waitcnt lgkmcnt(0)
	s_barrier
	ds_read_b32 v2, v18
	s_load_dwordx2 s[20:21], s[4:5], 0x70
	s_waitcnt lgkmcnt(0)
	v_mov_b32_dpp v3, v2 quad_perm:[1,0,3,2] row_mask:0xf bank_mask:0xf
	v_cmp_gt_f32_e32 vcc, v2, v3
	v_cndmask_b32_e32 v2, v3, v2, vcc
	s_nop 1
	v_mov_b32_dpp v3, v2 quad_perm:[2,3,0,1] row_mask:0xf bank_mask:0xf
	v_cmp_gt_f32_e32 vcc, v2, v3
	v_cndmask_b32_e32 v2, v3, v2, vcc
	v_mul_f32_e32 v2, 0x3b124925, v2
	v_cmp_eq_u32_e32 vcc, 0, v0
	s_and_saveexec_b64 s[10:11], vcc
	s_cbranch_execz .LBB47_22
; %bb.21:
	s_load_dwordx2 s[22:23], s[4:5], 0x8
	s_mul_hi_i32 s29, s21, s6
	s_mul_i32 s28, s21, s6
	s_lshl_b64 s[28:29], s[28:29], 2
	v_mov_b32_e32 v3, 0
	s_waitcnt lgkmcnt(0)
	s_add_u32 s22, s22, s28
	s_addc_u32 s23, s23, s29
	global_store_dword v3, v2, s[22:23]
.LBB47_22:
	s_or_b64 exec, exec, s[10:11]
	;;#ASMSTART
	v_rcp_f32 v2, v2
	;;#ASMEND
	s_and_saveexec_b64 s[10:11], s[2:3]
	s_cbranch_execz .LBB47_24
; %bb.23:
	s_load_dwordx2 s[2:3], s[4:5], 0x0
	s_mul_i32 s14, s20, s6
	v_mov_b32_e32 v3, v2
	;;#ASMSTART
	v_pk_mul_f32 v[4:5], v[10:11], v[2:3]
	;;#ASMEND
	s_mul_hi_i32 s12, s20, s6
	s_waitcnt lgkmcnt(0)
	s_add_u32 s20, s2, s14
	v_mov_b32_e32 v8, 0xc3e00000
	v_mov_b32_e32 v9, 0x43e00000
	;;#ASMSTART
	v_med3_f32 v4, v4, v8, v9
v_med3_f32 v5, v5, v8, v9
v_cvt_pk_fp8_f32 v6, v4, v5
	;;#ASMEND
	s_addc_u32 s2, s3, s12
	;;#ASMSTART
	v_pk_mul_f32 v[4:5], v[16:17], v[2:3]
	;;#ASMEND
	s_and_b32 s21, s2, 0xffff
	;;#ASMSTART
	v_med3_f32 v4, v4, v8, v9
v_med3_f32 v5, v5, v8, v9
v_cvt_pk_fp8_f32 v7, v4, v5
	;;#ASMEND
	s_mov_b32 s2, 0x5040100
	v_perm_b32 v5, v7, v6, s2
	s_movk_i32 s2, 0xff
	v_and_b32_e32 v4, 0xffffff00, v7
	v_and_b32_sdwa v6, v5, s2 dst_sel:DWORD dst_unused:UNUSED_PAD src0_sel:WORD_1 src1_sel:DWORD
	s_mov_b32 s17, 0xffff
	v_or_b32_sdwa v4, v6, v4 dst_sel:WORD_1 dst_unused:UNUSED_PAD src0_sel:DWORD src1_sel:DWORD
	s_add_i32 s3, s15, 3
	v_and_or_b32 v4, v5, s17, v4
	;;#ASMSTART
	v_pk_mul_f32 v[6:7], v[14:15], v[2:3]
	;;#ASMEND
	v_mov_b32_e32 v5, v7
	s_ashr_i32 s12, s3, 31
	;;#ASMSTART
	v_med3_f32 v6, v6, v8, v9
v_med3_f32 v5, v5, v8, v9
v_cvt_pk_fp8_f32 v7, v6, v5
	;;#ASMEND
	;;#ASMSTART
	v_pk_mul_f32 v[2:3], v[12:13], v[2:3]
	;;#ASMEND
	s_lshr_b32 s12, s12, 30
	;;#ASMSTART
	v_med3_f32 v2, v2, v8, v9
v_med3_f32 v3, v3, v8, v9
v_cvt_pk_fp8_f32 v5, v2, v3
	;;#ASMEND
	s_add_i32 s3, s3, s12
	v_lshlrev_b32_e32 v2, 16, v5
	s_and_b32 s22, s3, -4
	s_mov_b32 s23, 0x20000
	v_and_or_b32 v5, v7, s17, v2
	buffer_store_dwordx2 v[4:5], v1, s[20:23], 0 offen
	;;#ASMSTART
	s_nop 0
	;;#ASMEND
.LBB47_24:
	s_or_b64 exec, exec, s[10:11]
	s_cmp_lt_i32 s16, 1
	s_cbranch_scc1 .LBB47_12
.LBB47_25:
	s_load_dword s2, s[4:5], 0x94
	s_waitcnt lgkmcnt(0)
	s_cmp_lg_u32 s2, 1
	s_cbranch_scc1 .LBB47_12
; %bb.26:
	s_lshl_b32 s2, s16, 1
	s_add_i32 s2, s2, 2
	v_cmp_gt_u32_e32 vcc, s16, v1
	s_and_b32 s10, s2, -4
	v_mov_b32_e32 v10, 0
	v_lshlrev_b32_e32 v1, 4, v0
	v_mov_b32_e32 v6, 0
	v_mov_b32_e32 v7, 0
	;; [unrolled: 1-line block ×4, first 2 shown]
	s_waitcnt vmcnt(0)
	v_mov_b32_e32 v2, 0
	v_mov_b32_e32 v3, 0
	;; [unrolled: 1-line block ×4, first 2 shown]
	s_barrier
	s_and_saveexec_b64 s[2:3], vcc
	s_cbranch_execz .LBB47_28
; %bb.27:
	s_mul_hi_i32 s5, s18, s6
	s_mul_i32 s4, s18, s6
	s_and_b32 s9, s9, 0xffff
	s_lshl_b64 s[4:5], s[4:5], 1
	s_add_u32 s20, s26, s4
	s_mov_b32 s11, 0x20000
	s_addc_u32 s4, s27, s5
	s_and_b32 s21, s4, 0xffff
	s_mov_b32 s22, s10
	s_mov_b32 s23, s11
	buffer_load_dwordx4 v[6:9], v1, s[20:23], 0 offen glc slc
	buffer_load_dwordx4 v[2:5], v1, s[8:11], 0 offen
.LBB47_28:
	s_or_b64 exec, exec, s[2:3]
	v_mov_b32_e32 v11, 0
	v_mov_b32_e32 v16, 0
	;; [unrolled: 1-line block ×7, first 2 shown]
	s_and_saveexec_b64 s[2:3], vcc
	s_cbranch_execz .LBB47_30
; %bb.29:
	s_waitcnt vmcnt(1)
	v_cvt_f32_f16_sdwa v11, v6 dst_sel:DWORD dst_unused:UNUSED_PAD src0_sel:WORD_1
	v_cvt_f32_f16_e32 v10, v6
	v_cvt_f32_f16_sdwa v17, v7 dst_sel:DWORD dst_unused:UNUSED_PAD src0_sel:WORD_1
	v_cvt_f32_f16_e32 v16, v7
	v_cvt_f32_f16_sdwa v15, v8 dst_sel:DWORD dst_unused:UNUSED_PAD src0_sel:WORD_1
	v_cvt_f32_f16_e32 v14, v8
	v_cvt_f32_f16_sdwa v13, v9 dst_sel:DWORD dst_unused:UNUSED_PAD src0_sel:WORD_1
	v_cvt_f32_f16_e32 v12, v9
.LBB47_30:
	s_or_b64 exec, exec, s[2:3]
	s_waitcnt vmcnt(1)
	v_mul_f32_e32 v6, v11, v11
	v_fmac_f32_e32 v6, v10, v10
	v_fmac_f32_e32 v6, v16, v16
	;; [unrolled: 1-line block ×7, first 2 shown]
	s_nop 1
	v_mov_b32_dpp v7, v6 quad_perm:[1,0,3,2] row_mask:0xf bank_mask:0xf
	v_add_f32_e32 v6, v6, v7
	s_nop 1
	v_mov_b32_dpp v7, v6 quad_perm:[2,3,0,1] row_mask:0xf bank_mask:0xf
	v_add_f32_e32 v6, v6, v7
	s_nop 1
	v_mov_b32_dpp v7, v6 row_half_mirror row_mask:0xf bank_mask:0xf
	v_add_f32_e32 v6, v6, v7
	s_nop 1
	v_mov_b32_dpp v7, v6 row_mirror row_mask:0xf bank_mask:0xf
	v_add_f32_e32 v6, v6, v7
	s_nop 1
	v_mov_b32_dpp v7, v6 row_bcast:15 row_mask:0xf bank_mask:0xf
	v_add_f32_e32 v6, v6, v7
	s_nop 1
	v_mov_b32_dpp v7, v6 row_bcast:31 row_mask:0xf bank_mask:0xf
	s_and_saveexec_b64 s[2:3], s[0:1]
	s_cbranch_execz .LBB47_32
; %bb.31:
	v_lshrrev_b32_e32 v0, 4, v0
	v_add_f32_e32 v6, v6, v7
	v_and_b32_e32 v0, 60, v0
	ds_write_b32 v0, v6 offset:16
.LBB47_32:
	s_or_b64 exec, exec, s[2:3]
	s_waitcnt lgkmcnt(0)
	s_barrier
	ds_read_b32 v0, v18 offset:16
	s_waitcnt lgkmcnt(0)
	s_nop 0
	v_mov_b32_dpp v6, v0 quad_perm:[1,0,3,2] row_mask:0xf bank_mask:0xf
	v_add_f32_e32 v0, v0, v6
	s_nop 1
	v_mov_b32_dpp v6, v0 quad_perm:[2,3,0,1] row_mask:0xf bank_mask:0xf
	s_and_saveexec_b64 s[0:1], vcc
	s_cbranch_execz .LBB47_12
; %bb.33:
	v_cvt_f32_u32_e32 v7, s16
	v_add_f32_e32 v0, v0, v6
	s_mov_b32 s11, 0x20000
	v_div_scale_f32 v6, s[0:1], v7, v7, v0
	v_rcp_f32_e32 v8, v6
	v_div_scale_f32 v9, vcc, v0, v7, v0
	s_mov_b32 s0, 0x800000
	v_fma_f32 v18, -v6, v8, 1.0
	v_fmac_f32_e32 v8, v18, v8
	v_mul_f32_e32 v18, v9, v8
	v_fma_f32 v19, -v6, v18, v9
	v_fmac_f32_e32 v18, v19, v8
	v_fma_f32 v6, -v6, v18, v9
	v_div_fmas_f32 v6, v6, v8, v18
	v_div_fixup_f32 v0, v6, v7, v0
	v_add_f32_e32 v0, s13, v0
	v_mul_f32_e32 v6, 0x4b800000, v0
	v_cmp_gt_f32_e32 vcc, s0, v0
	v_cndmask_b32_e32 v0, v0, v6, vcc
	v_rsq_f32_e32 v0, v0
	s_waitcnt vmcnt(0)
	v_cvt_f32_f16_sdwa v19, v5 dst_sel:DWORD dst_unused:UNUSED_PAD src0_sel:WORD_1
	v_cvt_f32_f16_e32 v18, v5
	s_mul_hi_i32 s1, s7, s6
	v_mul_f32_e32 v6, 0x45800000, v0
	v_cndmask_b32_e32 v6, v0, v6, vcc
	v_mov_b32_e32 v7, v6
	;;#ASMSTART
	v_pk_mul_f32 v[8:9], v[10:11], v[6:7]
	;;#ASMEND
	;;#ASMSTART
	v_pk_mul_f32 v[10:11], v[16:17], v[6:7]
	;;#ASMEND
	;; [unrolled: 3-line block ×4, first 2 shown]
	v_cvt_f32_f16_sdwa v13, v2 dst_sel:DWORD dst_unused:UNUSED_PAD src0_sel:WORD_1
	v_cvt_f32_f16_e32 v12, v2
	v_cvt_f32_f16_sdwa v17, v3 dst_sel:DWORD dst_unused:UNUSED_PAD src0_sel:WORD_1
	v_cvt_f32_f16_e32 v16, v3
	;; [unrolled: 2-line block ×3, first 2 shown]
	;;#ASMSTART
	v_pk_mul_f32 v[4:5], v[8:9], v[12:13]
	;;#ASMEND
	;;#ASMSTART
	v_pk_mul_f32 v[8:9], v[10:11], v[16:17]
	;;#ASMEND
	;; [unrolled: 3-line block ×4, first 2 shown]
	s_mul_i32 s0, s7, s6
	v_cvt_f16_f32_e32 v0, v4
	v_cvt_f16_f32_e32 v4, v5
	;; [unrolled: 1-line block ×8, first 2 shown]
	s_lshl_b64 s[0:1], s[0:1], 1
	s_add_u32 s8, s24, s0
	s_addc_u32 s0, s25, s1
	s_and_b32 s9, s0, 0xffff
	v_pack_b32_f16 v2, v0, v4
	v_pack_b32_f16 v3, v5, v8
	;; [unrolled: 1-line block ×4, first 2 shown]
	buffer_store_dwordx4 v[2:5], v1, s[8:11], 0 offen
	;;#ASMSTART
	s_nop 0
	;;#ASMEND
	s_endpgm
	.section	.rodata,"a",@progbits
	.p2align	6, 0x0
	.amdhsa_kernel _ZN5aiter35fused_qk_rmsnorm_group_quant_kernelIDF16_DB8_Li256ELi8ELi1ELb0ELb0ELb0ELb0ELb1ELb1EEEvPT0_PvPT_S6_S6_PKS5_S8_S8_S8_S8_ffiiiiiiiiiiiii
		.amdhsa_group_segment_fixed_size 48
		.amdhsa_private_segment_fixed_size 0
		.amdhsa_kernarg_size 400
		.amdhsa_user_sgpr_count 6
		.amdhsa_user_sgpr_private_segment_buffer 1
		.amdhsa_user_sgpr_dispatch_ptr 0
		.amdhsa_user_sgpr_queue_ptr 0
		.amdhsa_user_sgpr_kernarg_segment_ptr 1
		.amdhsa_user_sgpr_dispatch_id 0
		.amdhsa_user_sgpr_flat_scratch_init 0
		.amdhsa_user_sgpr_kernarg_preload_length 0
		.amdhsa_user_sgpr_kernarg_preload_offset 0
		.amdhsa_user_sgpr_private_segment_size 0
		.amdhsa_uses_dynamic_stack 0
		.amdhsa_system_sgpr_private_segment_wavefront_offset 0
		.amdhsa_system_sgpr_workgroup_id_x 1
		.amdhsa_system_sgpr_workgroup_id_y 1
		.amdhsa_system_sgpr_workgroup_id_z 0
		.amdhsa_system_sgpr_workgroup_info 0
		.amdhsa_system_vgpr_workitem_id 0
		.amdhsa_next_free_vgpr 23
		.amdhsa_next_free_sgpr 32
		.amdhsa_accum_offset 24
		.amdhsa_reserve_vcc 1
		.amdhsa_reserve_flat_scratch 0
		.amdhsa_float_round_mode_32 0
		.amdhsa_float_round_mode_16_64 0
		.amdhsa_float_denorm_mode_32 3
		.amdhsa_float_denorm_mode_16_64 3
		.amdhsa_dx10_clamp 1
		.amdhsa_ieee_mode 1
		.amdhsa_fp16_overflow 0
		.amdhsa_tg_split 0
		.amdhsa_exception_fp_ieee_invalid_op 0
		.amdhsa_exception_fp_denorm_src 0
		.amdhsa_exception_fp_ieee_div_zero 0
		.amdhsa_exception_fp_ieee_overflow 0
		.amdhsa_exception_fp_ieee_underflow 0
		.amdhsa_exception_fp_ieee_inexact 0
		.amdhsa_exception_int_div_zero 0
	.end_amdhsa_kernel
	.section	.text._ZN5aiter35fused_qk_rmsnorm_group_quant_kernelIDF16_DB8_Li256ELi8ELi1ELb0ELb0ELb0ELb0ELb1ELb1EEEvPT0_PvPT_S6_S6_PKS5_S8_S8_S8_S8_ffiiiiiiiiiiiii,"axG",@progbits,_ZN5aiter35fused_qk_rmsnorm_group_quant_kernelIDF16_DB8_Li256ELi8ELi1ELb0ELb0ELb0ELb0ELb1ELb1EEEvPT0_PvPT_S6_S6_PKS5_S8_S8_S8_S8_ffiiiiiiiiiiiii,comdat
.Lfunc_end47:
	.size	_ZN5aiter35fused_qk_rmsnorm_group_quant_kernelIDF16_DB8_Li256ELi8ELi1ELb0ELb0ELb0ELb0ELb1ELb1EEEvPT0_PvPT_S6_S6_PKS5_S8_S8_S8_S8_ffiiiiiiiiiiiii, .Lfunc_end47-_ZN5aiter35fused_qk_rmsnorm_group_quant_kernelIDF16_DB8_Li256ELi8ELi1ELb0ELb0ELb0ELb0ELb1ELb1EEEvPT0_PvPT_S6_S6_PKS5_S8_S8_S8_S8_ffiiiiiiiiiiiii
                                        ; -- End function
	.section	.AMDGPU.csdata,"",@progbits
; Kernel info:
; codeLenInByte = 2616
; NumSgprs: 36
; NumVgprs: 23
; NumAgprs: 0
; TotalNumVgprs: 23
; ScratchSize: 0
; MemoryBound: 0
; FloatMode: 240
; IeeeMode: 1
; LDSByteSize: 48 bytes/workgroup (compile time only)
; SGPRBlocks: 4
; VGPRBlocks: 2
; NumSGPRsForWavesPerEU: 36
; NumVGPRsForWavesPerEU: 23
; AccumOffset: 24
; Occupancy: 8
; WaveLimiterHint : 0
; COMPUTE_PGM_RSRC2:SCRATCH_EN: 0
; COMPUTE_PGM_RSRC2:USER_SGPR: 6
; COMPUTE_PGM_RSRC2:TRAP_HANDLER: 0
; COMPUTE_PGM_RSRC2:TGID_X_EN: 1
; COMPUTE_PGM_RSRC2:TGID_Y_EN: 1
; COMPUTE_PGM_RSRC2:TGID_Z_EN: 0
; COMPUTE_PGM_RSRC2:TIDIG_COMP_CNT: 0
; COMPUTE_PGM_RSRC3_GFX90A:ACCUM_OFFSET: 5
; COMPUTE_PGM_RSRC3_GFX90A:TG_SPLIT: 0
	.section	.text._ZN5aiter35fused_qk_rmsnorm_group_quant_kernelItDB8_Li256ELi8ELi1ELb0ELb0ELb0ELb0ELb1ELb1EEEvPT0_PvPT_S6_S6_PKS5_S8_S8_S8_S8_ffiiiiiiiiiiiii,"axG",@progbits,_ZN5aiter35fused_qk_rmsnorm_group_quant_kernelItDB8_Li256ELi8ELi1ELb0ELb0ELb0ELb0ELb1ELb1EEEvPT0_PvPT_S6_S6_PKS5_S8_S8_S8_S8_ffiiiiiiiiiiiii,comdat
	.protected	_ZN5aiter35fused_qk_rmsnorm_group_quant_kernelItDB8_Li256ELi8ELi1ELb0ELb0ELb0ELb0ELb1ELb1EEEvPT0_PvPT_S6_S6_PKS5_S8_S8_S8_S8_ffiiiiiiiiiiiii ; -- Begin function _ZN5aiter35fused_qk_rmsnorm_group_quant_kernelItDB8_Li256ELi8ELi1ELb0ELb0ELb0ELb0ELb1ELb1EEEvPT0_PvPT_S6_S6_PKS5_S8_S8_S8_S8_ffiiiiiiiiiiiii
	.globl	_ZN5aiter35fused_qk_rmsnorm_group_quant_kernelItDB8_Li256ELi8ELi1ELb0ELb0ELb0ELb0ELb1ELb1EEEvPT0_PvPT_S6_S6_PKS5_S8_S8_S8_S8_ffiiiiiiiiiiiii
	.p2align	8
	.type	_ZN5aiter35fused_qk_rmsnorm_group_quant_kernelItDB8_Li256ELi8ELi1ELb0ELb0ELb0ELb0ELb1ELb1EEEvPT0_PvPT_S6_S6_PKS5_S8_S8_S8_S8_ffiiiiiiiiiiiii,@function
_ZN5aiter35fused_qk_rmsnorm_group_quant_kernelItDB8_Li256ELi8ELi1ELb0ELb0ELb0ELb0ELb1ELb1EEEvPT0_PvPT_S6_S6_PKS5_S8_S8_S8_S8_ffiiiiiiiiiiiii: ; @_ZN5aiter35fused_qk_rmsnorm_group_quant_kernelItDB8_Li256ELi8ELi1ELb0ELb0ELb0ELb0ELb1ELb1EEEvPT0_PvPT_S6_S6_PKS5_S8_S8_S8_S8_ffiiiiiiiiiiiii
; %bb.0:
	s_load_dwordx4 s[12:15], s[4:5], 0x50
	s_waitcnt lgkmcnt(0)
	s_cmp_ge_i32 s6, s14
	s_cbranch_scc1 .LBB48_10
; %bb.1:
	s_load_dwordx2 s[8:9], s[4:5], 0x48
	s_load_dwordx2 s[26:27], s[4:5], 0x30
	s_load_dwordx4 s[16:19], s[4:5], 0x60
	s_cmp_lg_u32 s7, 0
	s_cselect_b64 s[10:11], -1, 0
	s_cmp_eq_u32 s7, 0
	s_cselect_b64 vcc, -1, 0
	s_and_b64 s[0:1], vcc, exec
	s_waitcnt lgkmcnt(0)
	s_cselect_b32 s7, s15, s16
	s_add_i32 s0, s7, 1
	s_lshr_b32 s1, s0, 31
	s_add_i32 s0, s0, s1
	s_lshl_b32 s0, s0, 1
	v_lshlrev_b32_e32 v1, 3, v0
	s_and_b32 s22, s0, -4
	v_cmp_gt_i32_e64 s[2:3], s7, v1
	v_mov_b32_e32 v2, 0
	v_mov_b32_e32 v3, 0
	v_mov_b32_e32 v4, 0
	v_mov_b32_e32 v5, 0
	v_mov_b32_e32 v6, 0
	v_mov_b32_e32 v7, 0
	v_mov_b32_e32 v8, 0
	v_mov_b32_e32 v9, 0
	s_and_saveexec_b64 s[0:1], s[2:3]
	s_cbranch_execz .LBB48_3
; %bb.2:
	s_load_dwordx2 s[20:21], s[4:5], 0x28
	s_load_dwordx2 s[24:25], s[4:5], 0x40
	s_and_b64 s[28:29], vcc, exec
	s_cselect_b32 s14, s17, s18
	s_mov_b32 s23, 0x20000
	s_waitcnt lgkmcnt(0)
	s_cselect_b32 s17, s21, s27
	s_cselect_b32 s19, s20, s26
	s_mul_hi_i32 s21, s14, s6
	s_mul_i32 s20, s14, s6
	s_lshl_b64 s[20:21], s[20:21], 1
	s_add_u32 s28, s19, s20
	s_addc_u32 s14, s17, s21
	s_and_b64 s[20:21], vcc, exec
	s_cselect_b32 s20, s24, s8
	s_cselect_b32 s17, s25, s9
	v_lshlrev_b32_e32 v10, 4, v0
	s_and_b32 s29, s14, 0xffff
	s_mov_b32 s30, s22
	s_mov_b32 s31, s23
	s_and_b32 s21, s17, 0xffff
	buffer_load_dwordx4 v[6:9], v10, s[28:31], 0 offen glc slc
	buffer_load_dwordx4 v[2:5], v10, s[20:23], 0 offen
.LBB48_3:
	s_or_b64 exec, exec, s[0:1]
	s_waitcnt vmcnt(1)
	v_cvt_f32_u32_sdwa v13, v6 dst_sel:DWORD dst_unused:UNUSED_PAD src0_sel:WORD_1
	v_cvt_f32_u32_sdwa v12, v6 dst_sel:DWORD dst_unused:UNUSED_PAD src0_sel:WORD_0
	v_cvt_f32_u32_sdwa v6, v9 dst_sel:DWORD dst_unused:UNUSED_PAD src0_sel:WORD_1
	v_cvt_f32_u32_sdwa v9, v9 dst_sel:DWORD dst_unused:UNUSED_PAD src0_sel:WORD_0
	;; [unrolled: 2-line block ×4, first 2 shown]
	v_cndmask_b32_e64 v13, 0, v13, s[2:3]
	v_cndmask_b32_e64 v7, 0, v6, s[2:3]
	;; [unrolled: 1-line block ×5, first 2 shown]
	v_mul_f32_e32 v14, v13, v13
	v_cndmask_b32_e64 v10, 0, v10, s[2:3]
	v_fmac_f32_e32 v14, v12, v12
	v_cndmask_b32_e64 v11, 0, v11, s[2:3]
	v_fmac_f32_e32 v14, v10, v10
	;; [unrolled: 2-line block ×3, first 2 shown]
	v_fmac_f32_e32 v14, v8, v8
	v_fmac_f32_e32 v14, v9, v9
	;; [unrolled: 1-line block ×4, first 2 shown]
	v_and_b32_e32 v16, 63, v0
	v_cmp_eq_u32_e64 s[0:1], 63, v16
	v_mov_b32_dpp v15, v14 quad_perm:[1,0,3,2] row_mask:0xf bank_mask:0xf
	v_add_f32_e32 v14, v14, v15
	s_nop 1
	v_mov_b32_dpp v15, v14 quad_perm:[2,3,0,1] row_mask:0xf bank_mask:0xf
	v_add_f32_e32 v14, v14, v15
	s_nop 1
	v_mov_b32_dpp v15, v14 row_half_mirror row_mask:0xf bank_mask:0xf
	v_add_f32_e32 v14, v14, v15
	s_nop 1
	v_mov_b32_dpp v15, v14 row_mirror row_mask:0xf bank_mask:0xf
	v_add_f32_e32 v14, v14, v15
	s_nop 1
	v_mov_b32_dpp v15, v14 row_bcast:15 row_mask:0xf bank_mask:0xf
	v_add_f32_e32 v14, v14, v15
	s_nop 1
	v_mov_b32_dpp v15, v14 row_bcast:31 row_mask:0xf bank_mask:0xf
	s_and_saveexec_b64 s[20:21], s[0:1]
	s_cbranch_execz .LBB48_5
; %bb.4:
	v_add_f32_e32 v14, v14, v15
	v_lshrrev_b32_e32 v15, 4, v0
	v_and_b32_e32 v15, 60, v15
	ds_write_b32 v15, v14 offset:32
.LBB48_5:
	s_or_b64 exec, exec, s[20:21]
	v_and_b32_e32 v14, 3, v0
	v_lshlrev_b32_e32 v14, 2, v14
	s_waitcnt lgkmcnt(0)
	s_barrier
	ds_read_b32 v15, v14 offset:32
	s_load_dwordx2 s[24:25], s[4:5], 0x18
	s_waitcnt lgkmcnt(0)
	v_mov_b32_dpp v16, v15 quad_perm:[1,0,3,2] row_mask:0xf bank_mask:0xf
	v_add_f32_e32 v15, v15, v16
	s_nop 1
	v_mov_b32_dpp v16, v15 quad_perm:[2,3,0,1] row_mask:0xf bank_mask:0xf
	s_and_saveexec_b64 s[20:21], s[2:3]
	s_cbranch_execz .LBB48_7
; %bb.6:
	v_cvt_f32_u32_e32 v17, s7
	v_add_f32_e32 v15, v15, v16
	v_mov_b32_e32 v19, s13
	v_mov_b32_e32 v20, s12
	v_div_scale_f32 v16, s[28:29], v17, v17, v15
	v_rcp_f32_e32 v18, v16
	v_cndmask_b32_e32 v19, v19, v20, vcc
	s_mov_b32 s7, 0x800000
	v_fma_f32 v20, -v16, v18, 1.0
	v_fmac_f32_e32 v18, v20, v18
	v_div_scale_f32 v20, vcc, v15, v17, v15
	v_mul_f32_e32 v21, v20, v18
	v_fma_f32 v22, -v16, v21, v20
	v_fmac_f32_e32 v21, v22, v18
	v_fma_f32 v16, -v16, v21, v20
	v_div_fmas_f32 v16, v16, v18, v21
	v_div_fixup_f32 v15, v16, v17, v15
	v_add_f32_e32 v15, v19, v15
	v_mul_f32_e32 v16, 0x4b800000, v15
	v_cmp_gt_f32_e32 vcc, s7, v15
	v_cndmask_b32_e32 v15, v15, v16, vcc
	v_rsq_f32_e32 v15, v15
	s_waitcnt vmcnt(0)
	v_cvt_f32_u32_sdwa v19, v3 dst_sel:DWORD dst_unused:UNUSED_PAD src0_sel:WORD_1
	v_cvt_f32_u32_sdwa v18, v3 dst_sel:DWORD dst_unused:UNUSED_PAD src0_sel:WORD_0
	v_cvt_f32_u32_sdwa v3, v4 dst_sel:DWORD dst_unused:UNUSED_PAD src0_sel:WORD_1
	v_mul_f32_e32 v16, 0x45800000, v15
	v_cndmask_b32_e32 v16, v15, v16, vcc
	v_mov_b32_e32 v17, v16
	;;#ASMSTART
	v_pk_mul_f32 v[12:13], v[12:13], v[16:17]
	;;#ASMEND
	;;#ASMSTART
	v_pk_mul_f32 v[10:11], v[10:11], v[16:17]
	;;#ASMEND
	;; [unrolled: 3-line block ×4, first 2 shown]
	v_cvt_f32_u32_sdwa v17, v2 dst_sel:DWORD dst_unused:UNUSED_PAD src0_sel:WORD_1
	v_cvt_f32_u32_sdwa v16, v2 dst_sel:DWORD dst_unused:UNUSED_PAD src0_sel:WORD_0
	v_cvt_f32_u32_sdwa v2, v4 dst_sel:DWORD dst_unused:UNUSED_PAD src0_sel:WORD_0
	v_cvt_f32_u32_sdwa v21, v5 dst_sel:DWORD dst_unused:UNUSED_PAD src0_sel:WORD_1
	v_cvt_f32_u32_sdwa v20, v5 dst_sel:DWORD dst_unused:UNUSED_PAD src0_sel:WORD_0
	;;#ASMSTART
	v_pk_mul_f32 v[12:13], v[12:13], v[16:17]
	;;#ASMEND
	;;#ASMSTART
	v_pk_mul_f32 v[10:11], v[10:11], v[18:19]
	;;#ASMEND
	;; [unrolled: 3-line block ×4, first 2 shown]
.LBB48_7:
	s_or_b64 exec, exec, s[20:21]
	s_load_dword s7, s[4:5], 0x80
	s_mov_b64 s[20:21], -1
	s_and_b64 vcc, exec, s[10:11]
	s_cbranch_vccnz .LBB48_11
; %bb.8:
	s_andn2_b64 vcc, exec, s[20:21]
	s_cbranch_vccz .LBB48_14
.LBB48_9:
	s_cmp_lt_i32 s16, 1
	s_cbranch_scc0 .LBB48_23
.LBB48_10:
	s_endpgm
.LBB48_11:
	s_and_saveexec_b64 s[10:11], s[2:3]
	s_cbranch_execz .LBB48_13
; %bb.12:
	s_waitcnt lgkmcnt(0)
	s_mul_hi_i32 s21, s7, s6
	s_mul_i32 s20, s7, s6
	s_lshl_b64 s[20:21], s[20:21], 1
	s_add_u32 s20, s24, s20
	s_addc_u32 s12, s25, s21
	s_and_b32 s21, s12, 0xffff
	s_mov_b32 s12, 0x7060302
	s_mov_b32 s23, 0x20000
	s_waitcnt vmcnt(0)
	v_perm_b32 v2, v13, v12, s12
	v_perm_b32 v3, v11, v10, s12
	;; [unrolled: 1-line block ×4, first 2 shown]
	v_lshlrev_b32_e32 v15, 4, v0
	buffer_store_dwordx4 v[2:5], v15, s[20:23], 0 offen
	;;#ASMSTART
	s_nop 0
	;;#ASMEND
.LBB48_13:
	s_or_b64 exec, exec, s[10:11]
	s_cbranch_execnz .LBB48_9
.LBB48_14:
	s_waitcnt vmcnt(0)
	v_mov_b32_e32 v2, 0
	s_and_saveexec_b64 s[10:11], s[2:3]
	s_cbranch_execz .LBB48_16
; %bb.15:
	v_and_b32_e32 v2, 0x7fffffff, v12
	v_and_b32_e32 v3, 0x7fffffff, v13
	v_mov_b32_e32 v4, 0x2edbe6ff
	;;#ASMSTART
	v_max3_f32 v2, v4, v2, v3

	;;#ASMEND
	v_and_b32_e32 v3, 0x7fffffff, v10
	v_and_b32_e32 v4, 0x7fffffff, v11
	;;#ASMSTART
	v_max3_f32 v2, v2, v3, v4

	;;#ASMEND
	v_and_b32_e32 v3, 0x7fffffff, v8
	v_and_b32_e32 v4, 0x7fffffff, v9
	;; [unrolled: 6-line block ×3, first 2 shown]
	;;#ASMSTART
	v_max3_f32 v2, v2, v3, v4

	;;#ASMEND
.LBB48_16:
	s_or_b64 exec, exec, s[10:11]
	s_nop 0
	v_mov_b32_dpp v3, v2 quad_perm:[1,0,3,2] row_mask:0xf bank_mask:0xf
	v_cmp_gt_f32_e32 vcc, v2, v3
	v_cndmask_b32_e32 v2, v3, v2, vcc
	s_nop 1
	v_mov_b32_dpp v3, v2 quad_perm:[2,3,0,1] row_mask:0xf bank_mask:0xf
	v_cmp_gt_f32_e32 vcc, v2, v3
	v_cndmask_b32_e32 v2, v3, v2, vcc
	s_nop 1
	v_mov_b32_dpp v3, v2 row_half_mirror row_mask:0xf bank_mask:0xf
	v_cmp_gt_f32_e32 vcc, v2, v3
	v_cndmask_b32_e32 v2, v3, v2, vcc
	s_nop 1
	v_mov_b32_dpp v3, v2 row_mirror row_mask:0xf bank_mask:0xf
	v_cmp_gt_f32_e32 vcc, v2, v3
	v_cndmask_b32_e32 v2, v3, v2, vcc
	s_nop 1
	v_mov_b32_dpp v3, v2 row_bcast:15 row_mask:0xf bank_mask:0xf
	v_cmp_gt_f32_e32 vcc, v2, v3
	v_cndmask_b32_e32 v2, v3, v2, vcc
	s_nop 1
	v_mov_b32_dpp v3, v2 row_bcast:31 row_mask:0xf bank_mask:0xf
	s_and_saveexec_b64 s[10:11], s[0:1]
	s_cbranch_execz .LBB48_18
; %bb.17:
	v_cmp_gt_f32_e32 vcc, v2, v3
	v_cndmask_b32_e32 v2, v3, v2, vcc
	v_lshrrev_b32_e32 v3, 4, v0
	v_and_b32_e32 v3, 60, v3
	ds_write_b32 v3, v2
.LBB48_18:
	s_or_b64 exec, exec, s[10:11]
	s_waitcnt lgkmcnt(0)
	s_barrier
	ds_read_b32 v2, v14
	s_load_dwordx2 s[20:21], s[4:5], 0x70
	s_waitcnt lgkmcnt(0)
	v_mov_b32_dpp v3, v2 quad_perm:[1,0,3,2] row_mask:0xf bank_mask:0xf
	v_cmp_gt_f32_e32 vcc, v2, v3
	v_cndmask_b32_e32 v2, v3, v2, vcc
	s_nop 1
	v_mov_b32_dpp v3, v2 quad_perm:[2,3,0,1] row_mask:0xf bank_mask:0xf
	v_cmp_gt_f32_e32 vcc, v2, v3
	v_cndmask_b32_e32 v2, v3, v2, vcc
	v_mul_f32_e32 v2, 0x3b124925, v2
	v_cmp_eq_u32_e32 vcc, 0, v0
	s_and_saveexec_b64 s[10:11], vcc
	s_cbranch_execz .LBB48_20
; %bb.19:
	s_load_dwordx2 s[22:23], s[4:5], 0x8
	s_mul_hi_i32 s29, s21, s6
	s_mul_i32 s28, s21, s6
	s_lshl_b64 s[28:29], s[28:29], 2
	v_mov_b32_e32 v3, 0
	s_waitcnt lgkmcnt(0)
	s_add_u32 s22, s22, s28
	s_addc_u32 s23, s23, s29
	global_store_dword v3, v2, s[22:23]
.LBB48_20:
	s_or_b64 exec, exec, s[10:11]
	;;#ASMSTART
	v_rcp_f32 v2, v2
	;;#ASMEND
	s_and_saveexec_b64 s[10:11], s[2:3]
	s_cbranch_execz .LBB48_22
; %bb.21:
	s_load_dwordx2 s[2:3], s[4:5], 0x0
	s_mul_i32 s14, s20, s6
	v_mov_b32_e32 v3, v2
	;;#ASMSTART
	v_pk_mul_f32 v[4:5], v[12:13], v[2:3]
	;;#ASMEND
	s_mul_hi_i32 s12, s20, s6
	s_waitcnt lgkmcnt(0)
	s_add_u32 s20, s2, s14
	v_mov_b32_e32 v12, 0xc3e00000
	v_mov_b32_e32 v13, 0x43e00000
	;;#ASMSTART
	v_med3_f32 v4, v4, v12, v13
v_med3_f32 v5, v5, v12, v13
v_cvt_pk_fp8_f32 v15, v4, v5
	;;#ASMEND
	s_addc_u32 s2, s3, s12
	;;#ASMSTART
	v_pk_mul_f32 v[4:5], v[10:11], v[2:3]
	;;#ASMEND
	s_and_b32 s21, s2, 0xffff
	;;#ASMSTART
	v_med3_f32 v4, v4, v12, v13
v_med3_f32 v5, v5, v12, v13
v_cvt_pk_fp8_f32 v10, v4, v5
	;;#ASMEND
	s_mov_b32 s2, 0x5040100
	v_perm_b32 v5, v10, v15, s2
	s_movk_i32 s2, 0xff
	v_and_b32_e32 v4, 0xffffff00, v10
	v_and_b32_sdwa v10, v5, s2 dst_sel:DWORD dst_unused:UNUSED_PAD src0_sel:WORD_1 src1_sel:DWORD
	s_mov_b32 s17, 0xffff
	v_or_b32_sdwa v4, v10, v4 dst_sel:WORD_1 dst_unused:UNUSED_PAD src0_sel:DWORD src1_sel:DWORD
	s_add_i32 s3, s15, 3
	v_and_or_b32 v4, v5, s17, v4
	;;#ASMSTART
	v_pk_mul_f32 v[8:9], v[8:9], v[2:3]
	;;#ASMEND
	v_mov_b32_e32 v5, v9
	s_ashr_i32 s12, s3, 31
	;;#ASMSTART
	v_med3_f32 v8, v8, v12, v13
v_med3_f32 v5, v5, v12, v13
v_cvt_pk_fp8_f32 v9, v8, v5
	;;#ASMEND
	;;#ASMSTART
	v_pk_mul_f32 v[2:3], v[6:7], v[2:3]
	;;#ASMEND
	s_lshr_b32 s12, s12, 30
	;;#ASMSTART
	v_med3_f32 v2, v2, v12, v13
v_med3_f32 v3, v3, v12, v13
v_cvt_pk_fp8_f32 v5, v2, v3
	;;#ASMEND
	s_add_i32 s3, s3, s12
	v_lshlrev_b32_e32 v2, 16, v5
	s_and_b32 s22, s3, -4
	s_mov_b32 s23, 0x20000
	v_and_or_b32 v5, v9, s17, v2
	buffer_store_dwordx2 v[4:5], v1, s[20:23], 0 offen
	;;#ASMSTART
	s_nop 0
	;;#ASMEND
.LBB48_22:
	s_or_b64 exec, exec, s[10:11]
	s_cmp_lt_i32 s16, 1
	s_cbranch_scc1 .LBB48_10
.LBB48_23:
	s_load_dword s2, s[4:5], 0x94
	s_waitcnt lgkmcnt(0)
	s_cmp_lg_u32 s2, 1
	s_cbranch_scc1 .LBB48_10
; %bb.24:
	s_lshl_b32 s2, s16, 1
	s_add_i32 s2, s2, 2
	v_cmp_gt_u32_e32 vcc, s16, v1
	s_and_b32 s10, s2, -4
	v_mov_b32_e32 v6, 0
	v_lshlrev_b32_e32 v1, 4, v0
	v_mov_b32_e32 v7, 0
	v_mov_b32_e32 v8, 0
	;; [unrolled: 1-line block ×3, first 2 shown]
	s_waitcnt vmcnt(0)
	v_mov_b32_e32 v2, 0
	v_mov_b32_e32 v3, 0
	;; [unrolled: 1-line block ×4, first 2 shown]
	s_barrier
	s_and_saveexec_b64 s[2:3], vcc
	s_cbranch_execz .LBB48_26
; %bb.25:
	s_mul_hi_i32 s5, s18, s6
	s_mul_i32 s4, s18, s6
	s_and_b32 s9, s9, 0xffff
	s_lshl_b64 s[4:5], s[4:5], 1
	s_add_u32 s20, s26, s4
	s_mov_b32 s11, 0x20000
	s_addc_u32 s4, s27, s5
	s_and_b32 s21, s4, 0xffff
	s_mov_b32 s22, s10
	s_mov_b32 s23, s11
	buffer_load_dwordx4 v[6:9], v1, s[20:23], 0 offen glc slc
	buffer_load_dwordx4 v[2:5], v1, s[8:11], 0 offen
.LBB48_26:
	s_or_b64 exec, exec, s[2:3]
	s_waitcnt vmcnt(1)
	v_cvt_f32_u32_sdwa v13, v6 dst_sel:DWORD dst_unused:UNUSED_PAD src0_sel:WORD_1
	v_cvt_f32_u32_sdwa v12, v6 dst_sel:DWORD dst_unused:UNUSED_PAD src0_sel:WORD_0
	v_cvt_f32_u32_sdwa v6, v9 dst_sel:DWORD dst_unused:UNUSED_PAD src0_sel:WORD_1
	v_cvt_f32_u32_sdwa v9, v9 dst_sel:DWORD dst_unused:UNUSED_PAD src0_sel:WORD_0
	;; [unrolled: 2-line block ×4, first 2 shown]
	v_cndmask_b32_e32 v13, 0, v13, vcc
	v_cndmask_b32_e32 v7, 0, v6, vcc
	;; [unrolled: 1-line block ×5, first 2 shown]
	v_mul_f32_e32 v15, v13, v13
	v_cndmask_b32_e32 v10, 0, v10, vcc
	v_fmac_f32_e32 v15, v12, v12
	v_cndmask_b32_e32 v11, 0, v11, vcc
	v_fmac_f32_e32 v15, v10, v10
	;; [unrolled: 2-line block ×3, first 2 shown]
	v_fmac_f32_e32 v15, v8, v8
	v_fmac_f32_e32 v15, v9, v9
	;; [unrolled: 1-line block ×4, first 2 shown]
	s_nop 1
	v_mov_b32_dpp v16, v15 quad_perm:[1,0,3,2] row_mask:0xf bank_mask:0xf
	v_add_f32_e32 v15, v15, v16
	s_nop 1
	v_mov_b32_dpp v16, v15 quad_perm:[2,3,0,1] row_mask:0xf bank_mask:0xf
	v_add_f32_e32 v15, v15, v16
	s_nop 1
	v_mov_b32_dpp v16, v15 row_half_mirror row_mask:0xf bank_mask:0xf
	v_add_f32_e32 v15, v15, v16
	s_nop 1
	v_mov_b32_dpp v16, v15 row_mirror row_mask:0xf bank_mask:0xf
	v_add_f32_e32 v15, v15, v16
	s_nop 1
	v_mov_b32_dpp v16, v15 row_bcast:15 row_mask:0xf bank_mask:0xf
	v_add_f32_e32 v15, v15, v16
	s_nop 1
	v_mov_b32_dpp v16, v15 row_bcast:31 row_mask:0xf bank_mask:0xf
	s_and_saveexec_b64 s[2:3], s[0:1]
	s_cbranch_execz .LBB48_28
; %bb.27:
	v_lshrrev_b32_e32 v0, 4, v0
	v_add_f32_e32 v15, v15, v16
	v_and_b32_e32 v0, 60, v0
	ds_write_b32 v0, v15 offset:16
.LBB48_28:
	s_or_b64 exec, exec, s[2:3]
	s_waitcnt lgkmcnt(0)
	s_barrier
	ds_read_b32 v0, v14 offset:16
	s_waitcnt lgkmcnt(0)
	s_nop 0
	v_mov_b32_dpp v14, v0 quad_perm:[1,0,3,2] row_mask:0xf bank_mask:0xf
	v_add_f32_e32 v0, v0, v14
	s_nop 1
	v_mov_b32_dpp v14, v0 quad_perm:[2,3,0,1] row_mask:0xf bank_mask:0xf
	s_and_saveexec_b64 s[0:1], vcc
	s_cbranch_execz .LBB48_10
; %bb.29:
	v_cvt_f32_u32_e32 v15, s16
	v_add_f32_e32 v0, v0, v14
	s_mov_b32 s11, 0x20000
	v_div_scale_f32 v14, s[0:1], v15, v15, v0
	v_rcp_f32_e32 v16, v14
	v_div_scale_f32 v17, vcc, v0, v15, v0
	s_mov_b32 s0, 0x800000
	v_fma_f32 v18, -v14, v16, 1.0
	v_fmac_f32_e32 v16, v18, v16
	v_mul_f32_e32 v18, v17, v16
	v_fma_f32 v19, -v14, v18, v17
	v_fmac_f32_e32 v18, v19, v16
	v_fma_f32 v14, -v14, v18, v17
	v_div_fmas_f32 v14, v14, v16, v18
	v_div_fixup_f32 v0, v14, v15, v0
	v_add_f32_e32 v0, s13, v0
	v_mul_f32_e32 v14, 0x4b800000, v0
	v_cmp_gt_f32_e32 vcc, s0, v0
	v_cndmask_b32_e32 v0, v0, v14, vcc
	v_rsq_f32_e32 v0, v0
	s_mul_hi_i32 s1, s7, s6
	s_mul_i32 s0, s7, s6
	s_lshl_b64 s[0:1], s[0:1], 1
	v_mul_f32_e32 v14, 0x45800000, v0
	v_cndmask_b32_e32 v14, v0, v14, vcc
	s_add_u32 s8, s24, s0
	v_mov_b32_e32 v15, v14
	s_addc_u32 s0, s25, s1
	;;#ASMSTART
	v_pk_mul_f32 v[12:13], v[12:13], v[14:15]
	;;#ASMEND
	;;#ASMSTART
	v_pk_mul_f32 v[10:11], v[10:11], v[14:15]
	;;#ASMEND
	;; [unrolled: 3-line block ×4, first 2 shown]
	s_waitcnt vmcnt(0)
	v_cvt_f32_u32_sdwa v15, v2 dst_sel:DWORD dst_unused:UNUSED_PAD src0_sel:WORD_1
	v_cvt_f32_u32_sdwa v14, v2 dst_sel:DWORD dst_unused:UNUSED_PAD src0_sel:WORD_0
	v_cvt_f32_u32_sdwa v17, v3 dst_sel:DWORD dst_unused:UNUSED_PAD src0_sel:WORD_1
	v_cvt_f32_u32_sdwa v16, v3 dst_sel:DWORD dst_unused:UNUSED_PAD src0_sel:WORD_0
	;; [unrolled: 2-line block ×4, first 2 shown]
	;;#ASMSTART
	v_pk_mul_f32 v[4:5], v[12:13], v[14:15]
	;;#ASMEND
	s_and_b32 s9, s0, 0xffff
	s_mov_b32 s0, 0x7060302
	;;#ASMSTART
	v_pk_mul_f32 v[10:11], v[10:11], v[16:17]
	;;#ASMEND
	;;#ASMSTART
	v_pk_mul_f32 v[8:9], v[8:9], v[2:3]
	;;#ASMEND
	;; [unrolled: 3-line block ×3, first 2 shown]
	v_perm_b32 v2, v5, v4, s0
	v_perm_b32 v3, v11, v10, s0
	;; [unrolled: 1-line block ×4, first 2 shown]
	buffer_store_dwordx4 v[2:5], v1, s[8:11], 0 offen
	;;#ASMSTART
	s_nop 0
	;;#ASMEND
	s_endpgm
	.section	.rodata,"a",@progbits
	.p2align	6, 0x0
	.amdhsa_kernel _ZN5aiter35fused_qk_rmsnorm_group_quant_kernelItDB8_Li256ELi8ELi1ELb0ELb0ELb0ELb0ELb1ELb1EEEvPT0_PvPT_S6_S6_PKS5_S8_S8_S8_S8_ffiiiiiiiiiiiii
		.amdhsa_group_segment_fixed_size 48
		.amdhsa_private_segment_fixed_size 0
		.amdhsa_kernarg_size 400
		.amdhsa_user_sgpr_count 6
		.amdhsa_user_sgpr_private_segment_buffer 1
		.amdhsa_user_sgpr_dispatch_ptr 0
		.amdhsa_user_sgpr_queue_ptr 0
		.amdhsa_user_sgpr_kernarg_segment_ptr 1
		.amdhsa_user_sgpr_dispatch_id 0
		.amdhsa_user_sgpr_flat_scratch_init 0
		.amdhsa_user_sgpr_kernarg_preload_length 0
		.amdhsa_user_sgpr_kernarg_preload_offset 0
		.amdhsa_user_sgpr_private_segment_size 0
		.amdhsa_uses_dynamic_stack 0
		.amdhsa_system_sgpr_private_segment_wavefront_offset 0
		.amdhsa_system_sgpr_workgroup_id_x 1
		.amdhsa_system_sgpr_workgroup_id_y 1
		.amdhsa_system_sgpr_workgroup_id_z 0
		.amdhsa_system_sgpr_workgroup_info 0
		.amdhsa_system_vgpr_workitem_id 0
		.amdhsa_next_free_vgpr 23
		.amdhsa_next_free_sgpr 32
		.amdhsa_accum_offset 24
		.amdhsa_reserve_vcc 1
		.amdhsa_reserve_flat_scratch 0
		.amdhsa_float_round_mode_32 0
		.amdhsa_float_round_mode_16_64 0
		.amdhsa_float_denorm_mode_32 3
		.amdhsa_float_denorm_mode_16_64 3
		.amdhsa_dx10_clamp 1
		.amdhsa_ieee_mode 1
		.amdhsa_fp16_overflow 0
		.amdhsa_tg_split 0
		.amdhsa_exception_fp_ieee_invalid_op 0
		.amdhsa_exception_fp_denorm_src 0
		.amdhsa_exception_fp_ieee_div_zero 0
		.amdhsa_exception_fp_ieee_overflow 0
		.amdhsa_exception_fp_ieee_underflow 0
		.amdhsa_exception_fp_ieee_inexact 0
		.amdhsa_exception_int_div_zero 0
	.end_amdhsa_kernel
	.section	.text._ZN5aiter35fused_qk_rmsnorm_group_quant_kernelItDB8_Li256ELi8ELi1ELb0ELb0ELb0ELb0ELb1ELb1EEEvPT0_PvPT_S6_S6_PKS5_S8_S8_S8_S8_ffiiiiiiiiiiiii,"axG",@progbits,_ZN5aiter35fused_qk_rmsnorm_group_quant_kernelItDB8_Li256ELi8ELi1ELb0ELb0ELb0ELb0ELb1ELb1EEEvPT0_PvPT_S6_S6_PKS5_S8_S8_S8_S8_ffiiiiiiiiiiiii,comdat
.Lfunc_end48:
	.size	_ZN5aiter35fused_qk_rmsnorm_group_quant_kernelItDB8_Li256ELi8ELi1ELb0ELb0ELb0ELb0ELb1ELb1EEEvPT0_PvPT_S6_S6_PKS5_S8_S8_S8_S8_ffiiiiiiiiiiiii, .Lfunc_end48-_ZN5aiter35fused_qk_rmsnorm_group_quant_kernelItDB8_Li256ELi8ELi1ELb0ELb0ELb0ELb0ELb1ELb1EEEvPT0_PvPT_S6_S6_PKS5_S8_S8_S8_S8_ffiiiiiiiiiiiii
                                        ; -- End function
	.section	.AMDGPU.csdata,"",@progbits
; Kernel info:
; codeLenInByte = 2632
; NumSgprs: 36
; NumVgprs: 23
; NumAgprs: 0
; TotalNumVgprs: 23
; ScratchSize: 0
; MemoryBound: 0
; FloatMode: 240
; IeeeMode: 1
; LDSByteSize: 48 bytes/workgroup (compile time only)
; SGPRBlocks: 4
; VGPRBlocks: 2
; NumSGPRsForWavesPerEU: 36
; NumVGPRsForWavesPerEU: 23
; AccumOffset: 24
; Occupancy: 8
; WaveLimiterHint : 0
; COMPUTE_PGM_RSRC2:SCRATCH_EN: 0
; COMPUTE_PGM_RSRC2:USER_SGPR: 6
; COMPUTE_PGM_RSRC2:TRAP_HANDLER: 0
; COMPUTE_PGM_RSRC2:TGID_X_EN: 1
; COMPUTE_PGM_RSRC2:TGID_Y_EN: 1
; COMPUTE_PGM_RSRC2:TGID_Z_EN: 0
; COMPUTE_PGM_RSRC2:TIDIG_COMP_CNT: 0
; COMPUTE_PGM_RSRC3_GFX90A:ACCUM_OFFSET: 5
; COMPUTE_PGM_RSRC3_GFX90A:TG_SPLIT: 0
	.section	.text._ZN5aiter35fused_qk_rmsnorm_group_quant_kernelIDF16_DB8_Li256ELi16ELi1ELb1ELb1ELb1ELb0ELb1ELb1EEEvPT0_PvPT_S6_S6_PKS5_S8_S8_S8_S8_ffiiiiiiiiiiiii,"axG",@progbits,_ZN5aiter35fused_qk_rmsnorm_group_quant_kernelIDF16_DB8_Li256ELi16ELi1ELb1ELb1ELb1ELb0ELb1ELb1EEEvPT0_PvPT_S6_S6_PKS5_S8_S8_S8_S8_ffiiiiiiiiiiiii,comdat
	.protected	_ZN5aiter35fused_qk_rmsnorm_group_quant_kernelIDF16_DB8_Li256ELi16ELi1ELb1ELb1ELb1ELb0ELb1ELb1EEEvPT0_PvPT_S6_S6_PKS5_S8_S8_S8_S8_ffiiiiiiiiiiiii ; -- Begin function _ZN5aiter35fused_qk_rmsnorm_group_quant_kernelIDF16_DB8_Li256ELi16ELi1ELb1ELb1ELb1ELb0ELb1ELb1EEEvPT0_PvPT_S6_S6_PKS5_S8_S8_S8_S8_ffiiiiiiiiiiiii
	.globl	_ZN5aiter35fused_qk_rmsnorm_group_quant_kernelIDF16_DB8_Li256ELi16ELi1ELb1ELb1ELb1ELb0ELb1ELb1EEEvPT0_PvPT_S6_S6_PKS5_S8_S8_S8_S8_ffiiiiiiiiiiiii
	.p2align	8
	.type	_ZN5aiter35fused_qk_rmsnorm_group_quant_kernelIDF16_DB8_Li256ELi16ELi1ELb1ELb1ELb1ELb0ELb1ELb1EEEvPT0_PvPT_S6_S6_PKS5_S8_S8_S8_S8_ffiiiiiiiiiiiii,@function
_ZN5aiter35fused_qk_rmsnorm_group_quant_kernelIDF16_DB8_Li256ELi16ELi1ELb1ELb1ELb1ELb0ELb1ELb1EEEvPT0_PvPT_S6_S6_PKS5_S8_S8_S8_S8_ffiiiiiiiiiiiii: ; @_ZN5aiter35fused_qk_rmsnorm_group_quant_kernelIDF16_DB8_Li256ELi16ELi1ELb1ELb1ELb1ELb0ELb1ELb1EEEvPT0_PvPT_S6_S6_PKS5_S8_S8_S8_S8_ffiiiiiiiiiiiii
; %bb.0:
	s_load_dwordx8 s[12:19], s[4:5], 0x50
	s_waitcnt lgkmcnt(0)
	s_cmp_ge_i32 s6, s14
	s_cbranch_scc1 .LBB49_17
; %bb.1:
	s_cmp_lg_u32 s7, 0
	s_cselect_b64 s[22:23], -1, 0
	s_cmp_eq_u32 s7, 0
	s_cselect_b64 s[8:9], -1, 0
	s_and_b64 s[0:1], s[8:9], exec
	s_cselect_b32 s7, s15, s16
	s_add_i32 s0, s7, 1
	s_load_dwordx2 s[10:11], s[4:5], 0x70
	s_load_dwordx2 s[20:21], s[4:5], 0x48
	;; [unrolled: 1-line block ×3, first 2 shown]
	s_lshr_b32 s1, s0, 31
	s_add_i32 s0, s0, s1
	s_lshl_b32 s0, s0, 1
	v_lshlrev_b32_e32 v2, 4, v0
	s_and_b32 s30, s0, -4
	v_lshlrev_b32_e32 v1, 3, v0
	v_and_b32_e32 v2, 0x3c00, v2
	s_movk_i32 s0, 0x1f8
	v_and_or_b32 v1, v1, s0, v2
	v_cmp_gt_i32_e64 s[0:1], s7, v1
	v_mov_b32_e32 v76, 0
	v_mov_b32_e32 v77, 0
	;; [unrolled: 1-line block ×16, first 2 shown]
	s_and_saveexec_b64 s[2:3], s[0:1]
	s_cbranch_execz .LBB49_3
; %bb.2:
	s_load_dwordx2 s[24:25], s[4:5], 0x28
	s_load_dwordx2 s[26:27], s[4:5], 0x40
	s_and_b64 s[28:29], s[8:9], exec
	s_cselect_b32 s14, s17, s18
	s_mov_b32 s31, 0x20000
	s_waitcnt lgkmcnt(0)
	s_cselect_b32 s17, s25, s35
	s_cselect_b32 s28, s24, s34
	s_mul_hi_i32 s25, s14, s6
	s_mul_i32 s24, s14, s6
	s_lshl_b64 s[24:25], s[24:25], 1
	s_add_u32 s24, s28, s24
	s_addc_u32 s14, s17, s25
	s_and_b64 s[28:29], s[8:9], exec
	s_cselect_b32 s28, s26, s20
	s_cselect_b32 s17, s27, s21
	s_and_b32 s25, s14, 0xffff
	s_mov_b32 s26, s30
	s_mov_b32 s27, s31
	v_lshlrev_b32_e32 v2, 1, v1
	s_and_b32 s29, s17, 0xffff
	s_movk_i32 s14, 0x400
	buffer_load_dwordx4 v[80:83], v2, s[24:27], 0 offen glc slc
	buffer_load_dwordx4 v[84:87], v2, s[24:27], s14 offen glc slc
	buffer_load_dwordx4 v[76:79], v2, s[28:31], 0 offen
	buffer_load_dwordx4 v[72:75], v2, s[28:31], s14 offen
.LBB49_3:
	s_or_b64 exec, exec, s[2:3]
	s_load_dwordx4 s[24:27], s[4:5], 0x7c
	s_and_b64 vcc, exec, s[22:23]
	s_cbranch_vccz .LBB49_7
; %bb.4:
	v_mov_b32_e32 v89, 0
	v_mov_b32_e32 v88, 0
	;; [unrolled: 1-line block ×16, first 2 shown]
	s_and_saveexec_b64 s[2:3], s[0:1]
	s_cbranch_execz .LBB49_6
; %bb.5:
	s_waitcnt vmcnt(3)
	v_cvt_f32_f16_sdwa v49, v80 dst_sel:DWORD dst_unused:UNUSED_PAD src0_sel:WORD_1
	v_cvt_f32_f16_e32 v48, v80
	v_cvt_f32_f16_sdwa v35, v81 dst_sel:DWORD dst_unused:UNUSED_PAD src0_sel:WORD_1
	v_cvt_f32_f16_e32 v34, v81
	;; [unrolled: 2-line block ×4, first 2 shown]
	s_waitcnt vmcnt(2)
	v_cvt_f32_f16_sdwa v65, v84 dst_sel:DWORD dst_unused:UNUSED_PAD src0_sel:WORD_1
	v_cvt_f32_f16_e32 v64, v84
	v_cvt_f32_f16_sdwa v19, v85 dst_sel:DWORD dst_unused:UNUSED_PAD src0_sel:WORD_1
	v_cvt_f32_f16_e32 v18, v85
	;; [unrolled: 2-line block ×4, first 2 shown]
.LBB49_6:
	s_or_b64 exec, exec, s[2:3]
	s_cbranch_execz .LBB49_8
	s_branch .LBB49_11
.LBB49_7:
                                        ; implicit-def: $vgpr32_vgpr33_vgpr34_vgpr35_vgpr36_vgpr37_vgpr38_vgpr39_vgpr40_vgpr41_vgpr42_vgpr43_vgpr44_vgpr45_vgpr46_vgpr47
                                        ; implicit-def: $vgpr48_vgpr49_vgpr50_vgpr51_vgpr52_vgpr53_vgpr54_vgpr55_vgpr56_vgpr57_vgpr58_vgpr59_vgpr60_vgpr61_vgpr62_vgpr63
                                        ; implicit-def: $vgpr18_vgpr19_vgpr20_vgpr21_vgpr22_vgpr23_vgpr24_vgpr25_vgpr26_vgpr27_vgpr28_vgpr29_vgpr30_vgpr31_vgpr32_vgpr33
                                        ; implicit-def: $vgpr50_vgpr51_vgpr52_vgpr53_vgpr54_vgpr55_vgpr56_vgpr57_vgpr58_vgpr59_vgpr60_vgpr61_vgpr62_vgpr63_vgpr64_vgpr65
                                        ; implicit-def: $vgpr89
                                        ; implicit-def: $vgpr8_vgpr9_vgpr10_vgpr11_vgpr12_vgpr13_vgpr14_vgpr15_vgpr16_vgpr17_vgpr18_vgpr19_vgpr20_vgpr21_vgpr22_vgpr23
                                        ; implicit-def: $vgpr56_vgpr57_vgpr58_vgpr59_vgpr60_vgpr61_vgpr62_vgpr63_vgpr64_vgpr65_vgpr66_vgpr67_vgpr68_vgpr69_vgpr70_vgpr71
                                        ; implicit-def: $vgpr2_vgpr3_vgpr4_vgpr5_vgpr6_vgpr7_vgpr8_vgpr9_vgpr10_vgpr11_vgpr12_vgpr13_vgpr14_vgpr15_vgpr16_vgpr17
.LBB49_8:
	v_mov_b32_e32 v89, 0
	v_mov_b32_e32 v88, 0
	;; [unrolled: 1-line block ×16, first 2 shown]
	s_and_saveexec_b64 s[2:3], s[0:1]
	s_cbranch_execz .LBB49_10
; %bb.9:
	s_load_dwordx2 s[28:29], s[4:5], 0x38
	s_mul_hi_i32 s37, s19, s6
	s_mul_i32 s36, s19, s6
	s_lshl_b64 s[36:37], s[36:37], 1
	s_mov_b32 s31, 0x20000
	s_waitcnt lgkmcnt(0)
	s_add_u32 s28, s28, s36
	s_addc_u32 s14, s29, s37
	s_and_b32 s29, s14, 0xffff
	v_lshlrev_b32_e32 v38, 1, v1
	s_movk_i32 s14, 0x400
	buffer_load_dwordx4 v[6:9], v38, s[28:31], s14 offen glc slc
	buffer_load_dwordx4 v[10:13], v38, s[28:31], 0 offen glc slc
	s_waitcnt vmcnt(5)
	v_cvt_f32_f16_sdwa v23, v82 dst_sel:DWORD dst_unused:UNUSED_PAD src0_sel:WORD_1
	v_cvt_f32_f16_e32 v22, v82
	v_cvt_f32_f16_sdwa v25, v83 dst_sel:DWORD dst_unused:UNUSED_PAD src0_sel:WORD_1
	v_cvt_f32_f16_e32 v24, v83
	;; [unrolled: 2-line block ×4, first 2 shown]
	s_load_dwordx2 s[28:29], s[4:5], 0x20
	s_waitcnt vmcnt(4)
	v_cvt_f32_f16_sdwa v3, v84 dst_sel:DWORD dst_unused:UNUSED_PAD src0_sel:WORD_1
	v_cvt_f32_f16_e32 v2, v84
	v_cvt_f32_f16_sdwa v5, v85 dst_sel:DWORD dst_unused:UNUSED_PAD src0_sel:WORD_1
	v_cvt_f32_f16_e32 v4, v85
	;; [unrolled: 2-line block ×4, first 2 shown]
	s_mul_hi_i32 s27, s26, s6
	s_mul_i32 s26, s26, s6
	s_lshl_b64 s[26:27], s[26:27], 1
	s_waitcnt lgkmcnt(0)
	s_add_u32 s28, s28, s26
	s_addc_u32 s17, s29, s27
	s_and_b32 s29, s17, 0xffff
	s_waitcnt vmcnt(1)
	v_cvt_f32_f16_e32 v26, v6
	v_cvt_f32_f16_sdwa v27, v6 dst_sel:DWORD dst_unused:UNUSED_PAD src0_sel:WORD_1
	v_cvt_f32_f16_e32 v28, v7
	v_cvt_f32_f16_sdwa v29, v7 dst_sel:DWORD dst_unused:UNUSED_PAD src0_sel:WORD_1
	;; [unrolled: 2-line block ×4, first 2 shown]
	s_waitcnt vmcnt(0)
	v_cvt_f32_f16_e32 v6, v12
	v_cvt_f32_f16_sdwa v7, v12 dst_sel:DWORD dst_unused:UNUSED_PAD src0_sel:WORD_1
	v_cvt_f32_f16_e32 v8, v13
	v_cvt_f32_f16_sdwa v9, v13 dst_sel:DWORD dst_unused:UNUSED_PAD src0_sel:WORD_1
	;; [unrolled: 2-line block ×4, first 2 shown]
	v_pk_add_f32 v[54:55], v[22:23], v[6:7]
	v_pk_add_f32 v[24:25], v[24:25], v[8:9]
	v_cvt_f16_f32_e32 v6, v55
	v_cvt_f16_f32_e32 v7, v25
	;; [unrolled: 1-line block ×4, first 2 shown]
	v_pk_add_f32 v[34:35], v[20:21], v[10:11]
	v_pk_add_f32 v[48:49], v[18:19], v[36:37]
	v_pack_b32_f16 v9, v8, v7
	v_pack_b32_f16 v8, v12, v6
	v_cvt_f16_f32_e32 v6, v35
	v_cvt_f16_f32_e32 v7, v34
	;; [unrolled: 1-line block ×3, first 2 shown]
	v_pk_add_f32 v[88:89], v[16:17], v[32:33]
	v_pk_add_f32 v[14:15], v[14:15], v[30:31]
	v_pack_b32_f16 v7, v7, v6
	v_cvt_f16_f32_e32 v6, v49
	v_pk_add_f32 v[18:19], v[4:5], v[28:29]
	v_pk_add_f32 v[64:65], v[2:3], v[26:27]
	v_cvt_f16_f32_e32 v4, v18
	v_pack_b32_f16 v6, v10, v6
	buffer_store_dwordx4 v[6:9], v38, s[28:31], 0 offen glc slc
	v_cvt_f16_f32_e32 v5, v19
	v_cvt_f16_f32_e32 v6, v14
	;; [unrolled: 1-line block ×7, first 2 shown]
	v_pack_b32_f16 v7, v7, v8
	v_pack_b32_f16 v6, v6, v9
	;; [unrolled: 1-line block ×4, first 2 shown]
	;;#ASMSTART
	s_nop 0
	;;#ASMEND
	buffer_store_dwordx4 v[4:7], v38, s[28:31], s14 offen glc slc
	;;#ASMSTART
	s_nop 0
	;;#ASMEND
.LBB49_10:
	s_or_b64 exec, exec, s[2:3]
.LBB49_11:
	v_mul_f32_e32 v2, v49, v49
	v_fmac_f32_e32 v2, v48, v48
	v_fmac_f32_e32 v2, v34, v34
	;; [unrolled: 1-line block ×15, first 2 shown]
	s_nop 1
	v_mov_b32_dpp v3, v2 quad_perm:[1,0,3,2] row_mask:0xf bank_mask:0xf
	v_add_f32_e32 v2, v2, v3
	s_nop 1
	v_mov_b32_dpp v3, v2 quad_perm:[2,3,0,1] row_mask:0xf bank_mask:0xf
	v_add_f32_e32 v2, v2, v3
	s_nop 1
	v_mov_b32_dpp v3, v2 row_half_mirror row_mask:0xf bank_mask:0xf
	v_add_f32_e32 v2, v2, v3
	s_nop 1
	v_mov_b32_dpp v3, v2 row_mirror row_mask:0xf bank_mask:0xf
	v_add_f32_e32 v2, v2, v3
	s_nop 1
	v_mov_b32_dpp v3, v2 row_bcast:15 row_mask:0xf bank_mask:0xf
	v_add_f32_e32 v2, v2, v3
	v_and_b32_e32 v3, 63, v0
	v_cmp_eq_u32_e64 s[2:3], 63, v3
	s_nop 0
	v_mov_b32_dpp v3, v2 row_bcast:31 row_mask:0xf bank_mask:0xf
	s_waitcnt lgkmcnt(0)
	s_and_saveexec_b64 s[26:27], s[2:3]
	s_cbranch_execz .LBB49_13
; %bb.12:
	v_add_f32_e32 v2, v2, v3
	v_lshrrev_b32_e32 v3, 4, v0
	v_and_b32_e32 v3, 60, v3
	ds_write_b32 v3, v2 offset:32
.LBB49_13:
	s_or_b64 exec, exec, s[26:27]
	v_and_b32_e32 v2, 3, v0
	v_lshlrev_b32_e32 v36, 2, v2
	s_waitcnt lgkmcnt(0)
	s_barrier
	ds_read_b32 v2, v36 offset:32
	s_load_dwordx2 s[26:27], s[4:5], 0x18
	s_waitcnt lgkmcnt(0)
	v_mov_b32_dpp v3, v2 quad_perm:[1,0,3,2] row_mask:0xf bank_mask:0xf
	v_add_f32_e32 v2, v2, v3
	s_nop 1
	v_mov_b32_dpp v3, v2 quad_perm:[2,3,0,1] row_mask:0xf bank_mask:0xf
	s_and_saveexec_b64 s[28:29], s[0:1]
	s_cbranch_execnz .LBB49_18
; %bb.14:
	s_or_b64 exec, exec, s[28:29]
	s_mov_b64 s[8:9], -1
	s_and_b64 vcc, exec, s[22:23]
	s_cbranch_vccnz .LBB49_19
.LBB49_15:
	s_andn2_b64 vcc, exec, s[8:9]
	s_cbranch_vccz .LBB49_22
.LBB49_16:
	s_cmp_lt_i32 s16, 1
	s_cbranch_scc0 .LBB49_33
.LBB49_17:
	s_endpgm
.LBB49_18:
	v_add_f32_e32 v2, v2, v3
	v_cvt_f32_u32_e32 v3, s7
	s_mov_b32 s7, 0x800000
	s_waitcnt vmcnt(1)
	v_cvt_f32_f16_sdwa v17, v76 dst_sel:DWORD dst_unused:UNUSED_PAD src0_sel:WORD_1
	v_cvt_f32_f16_e32 v16, v76
	v_div_scale_f32 v4, s[36:37], v3, v3, v2
	v_rcp_f32_e32 v5, v4
	v_pk_add_f32 v[16:17], v[16:17], 1.0 op_sel_hi:[1,0]
	v_cvt_f32_f16_sdwa v21, v79 dst_sel:DWORD dst_unused:UNUSED_PAD src0_sel:WORD_1
	v_cvt_f32_f16_e32 v20, v79
	v_fma_f32 v6, -v4, v5, 1.0
	v_fmac_f32_e32 v5, v6, v5
	v_div_scale_f32 v6, vcc, v2, v3, v2
	v_mul_f32_e32 v7, v6, v5
	v_fma_f32 v8, -v4, v7, v6
	v_fmac_f32_e32 v7, v8, v5
	v_fma_f32 v4, -v4, v7, v6
	v_div_fmas_f32 v4, v4, v5, v7
	v_div_fixup_f32 v2, v4, v3, v2
	v_mov_b32_e32 v3, s13
	v_mov_b32_e32 v4, s12
	v_cndmask_b32_e64 v3, v3, v4, s[8:9]
	v_add_f32_e32 v2, v3, v2
	v_mul_f32_e32 v3, 0x4b800000, v2
	v_cmp_gt_f32_e32 vcc, s7, v2
	v_cndmask_b32_e32 v2, v2, v3, vcc
	v_rsq_f32_e32 v2, v2
	s_waitcnt vmcnt(0)
	v_cvt_f32_f16_sdwa v23, v74 dst_sel:DWORD dst_unused:UNUSED_PAD src0_sel:WORD_1
	v_cvt_f32_f16_e32 v22, v74
	v_mul_f32_e32 v3, 0x45800000, v2
	v_cndmask_b32_e32 v2, v2, v3, vcc
	v_mov_b32_e32 v3, v2
	;;#ASMSTART
	v_pk_mul_f32 v[4:5], v[48:49], v[2:3]
	;;#ASMEND
	;;#ASMSTART
	v_pk_mul_f32 v[6:7], v[34:35], v[2:3]
	;;#ASMEND
	;; [unrolled: 3-line block ×9, first 2 shown]
	v_cvt_f32_f16_sdwa v5, v77 dst_sel:DWORD dst_unused:UNUSED_PAD src0_sel:WORD_1
	v_cvt_f32_f16_e32 v4, v77
	v_cvt_f32_f16_sdwa v17, v78 dst_sel:DWORD dst_unused:UNUSED_PAD src0_sel:WORD_1
	v_cvt_f32_f16_e32 v16, v78
	v_cvt_f32_f16_sdwa v25, v75 dst_sel:DWORD dst_unused:UNUSED_PAD src0_sel:WORD_1
	v_pk_add_f32 v[4:5], v[4:5], 1.0 op_sel_hi:[1,0]
	;;#ASMSTART
	v_pk_mul_f32 v[34:35], v[6:7], v[4:5]
	;;#ASMEND
	v_pk_add_f32 v[4:5], v[16:17], 1.0 op_sel_hi:[1,0]
	v_pk_add_f32 v[6:7], v[20:21], 1.0 op_sel_hi:[1,0]
	v_cvt_f32_f16_sdwa v17, v72 dst_sel:DWORD dst_unused:UNUSED_PAD src0_sel:WORD_1
	v_cvt_f32_f16_e32 v16, v72
	v_cvt_f32_f16_sdwa v21, v73 dst_sel:DWORD dst_unused:UNUSED_PAD src0_sel:WORD_1
	v_cvt_f32_f16_e32 v20, v73
	v_cvt_f32_f16_e32 v24, v75
	v_pk_add_f32 v[16:17], v[16:17], 1.0 op_sel_hi:[1,0]
	v_pk_add_f32 v[22:23], v[22:23], 1.0 op_sel_hi:[1,0]
	;; [unrolled: 1-line block ×4, first 2 shown]
	;;#ASMSTART
	v_pk_mul_f32 v[54:55], v[8:9], v[4:5]
	;;#ASMEND
	;;#ASMSTART
	v_pk_mul_f32 v[24:25], v[10:11], v[6:7]
	;;#ASMEND
	;; [unrolled: 3-line block ×6, first 2 shown]
	s_or_b64 exec, exec, s[28:29]
	s_mov_b64 s[8:9], -1
	s_and_b64 vcc, exec, s[22:23]
	s_cbranch_vccz .LBB49_15
.LBB49_19:
	s_and_saveexec_b64 s[8:9], s[0:1]
	s_cbranch_execz .LBB49_21
; %bb.20:
	v_cvt_f16_f32_e32 v2, v54
	v_cvt_f16_f32_e32 v3, v24
	;; [unrolled: 1-line block ×4, first 2 shown]
	s_mul_hi_i32 s23, s25, s6
	s_mul_i32 s22, s25, s6
	v_pack_b32_f16 v5, v3, v4
	v_pack_b32_f16 v4, v2, v6
	v_cvt_f16_f32_e32 v2, v34
	v_cvt_f16_f32_e32 v3, v35
	;; [unrolled: 1-line block ×3, first 2 shown]
	s_lshl_b64 s[22:23], s[22:23], 1
	s_add_u32 s28, s26, s22
	v_pack_b32_f16 v3, v2, v3
	v_cvt_f16_f32_e32 v2, v48
	s_addc_u32 s7, s27, s23
	s_and_b32 s29, s7, 0xffff
	s_mov_b32 s31, 0x20000
	v_pack_b32_f16 v2, v2, v6
	v_lshlrev_b32_e32 v6, 1, v1
	buffer_store_dwordx4 v[2:5], v6, s[28:31], 0 offen
	v_cvt_f16_f32_e32 v7, v15
	v_cvt_f16_f32_e32 v2, v14
	;; [unrolled: 1-line block ×4, first 2 shown]
	s_movk_i32 s7, 0x400
	;;#ASMSTART
	s_nop 0
	;;#ASMEND
	v_pack_b32_f16 v5, v3, v4
	v_pack_b32_f16 v4, v2, v7
	v_cvt_f16_f32_e32 v2, v18
	v_cvt_f16_f32_e32 v3, v19
	;; [unrolled: 1-line block ×3, first 2 shown]
	v_pack_b32_f16 v3, v2, v3
	v_cvt_f16_f32_e32 v2, v64
	v_pack_b32_f16 v2, v2, v7
	buffer_store_dwordx4 v[2:5], v6, s[28:31], s7 offen
	;;#ASMSTART
	s_nop 0
	;;#ASMEND
.LBB49_21:
	s_or_b64 exec, exec, s[8:9]
	s_cbranch_execnz .LBB49_16
.LBB49_22:
	v_mov_b32_e32 v2, 0
	s_and_saveexec_b64 s[8:9], s[0:1]
	s_cbranch_execz .LBB49_24
; %bb.23:
	v_cvt_f16_f32_e32 v2, v54
	v_cvt_f16_f32_e32 v3, v24
	;; [unrolled: 1-line block ×4, first 2 shown]
	s_load_dwordx2 s[22:23], s[4:5], 0x10
	s_mul_hi_i32 s29, s24, s6
	v_pack_b32_f16 v5, v3, v4
	v_pack_b32_f16 v4, v2, v6
	v_cvt_f16_f32_e32 v2, v34
	v_cvt_f16_f32_e32 v3, v35
	;; [unrolled: 1-line block ×3, first 2 shown]
	s_mul_i32 s28, s24, s6
	s_lshl_b64 s[28:29], s[28:29], 1
	v_pack_b32_f16 v3, v2, v3
	v_cvt_f16_f32_e32 v2, v48
	s_waitcnt lgkmcnt(0)
	s_add_u32 s28, s22, s28
	s_addc_u32 s7, s23, s29
	s_and_b32 s29, s7, 0xffff
	v_pack_b32_f16 v2, v2, v6
	s_mov_b32 s31, 0x20000
	v_lshlrev_b32_e32 v6, 1, v1
	buffer_store_dwordx4 v[2:5], v6, s[28:31], 0 offen
	v_cvt_f16_f32_e32 v7, v15
	v_cvt_f16_f32_e32 v2, v14
	;; [unrolled: 1-line block ×4, first 2 shown]
	s_movk_i32 s7, 0x400
	;;#ASMSTART
	s_nop 0
	;;#ASMEND
	v_pack_b32_f16 v5, v3, v4
	v_pack_b32_f16 v4, v2, v7
	v_cvt_f16_f32_e32 v2, v18
	v_cvt_f16_f32_e32 v3, v19
	;; [unrolled: 1-line block ×3, first 2 shown]
	v_pack_b32_f16 v3, v2, v3
	v_cvt_f16_f32_e32 v2, v64
	v_pack_b32_f16 v2, v2, v7
	buffer_store_dwordx4 v[2:5], v6, s[28:31], s7 offen
	v_mov_b32_e32 v2, 0x2edbe6ff
	;;#ASMSTART
	s_nop 0
	;;#ASMEND
.LBB49_24:
	s_or_b64 exec, exec, s[8:9]
	s_and_saveexec_b64 s[8:9], s[0:1]
	s_cbranch_execz .LBB49_26
; %bb.25:
	v_and_b32_e32 v3, 0x7fffffff, v48
	v_and_b32_e32 v4, 0x7fffffff, v49
	;;#ASMSTART
	v_max3_f32 v2, v2, v3, v4

	;;#ASMEND
	v_and_b32_e32 v3, 0x7fffffff, v34
	v_and_b32_e32 v4, 0x7fffffff, v35
	;;#ASMSTART
	v_max3_f32 v2, v2, v3, v4

	;;#ASMEND
	;; [unrolled: 6-line block ×8, first 2 shown]
.LBB49_26:
	s_or_b64 exec, exec, s[8:9]
	s_nop 0
	v_mov_b32_dpp v3, v2 quad_perm:[1,0,3,2] row_mask:0xf bank_mask:0xf
	v_cmp_gt_f32_e32 vcc, v2, v3
	v_cndmask_b32_e32 v2, v3, v2, vcc
	s_nop 1
	v_mov_b32_dpp v3, v2 quad_perm:[2,3,0,1] row_mask:0xf bank_mask:0xf
	v_cmp_gt_f32_e32 vcc, v2, v3
	v_cndmask_b32_e32 v2, v3, v2, vcc
	s_nop 1
	v_mov_b32_dpp v3, v2 row_half_mirror row_mask:0xf bank_mask:0xf
	v_cmp_gt_f32_e32 vcc, v2, v3
	v_cndmask_b32_e32 v2, v3, v2, vcc
	s_nop 1
	v_mov_b32_dpp v3, v2 row_mirror row_mask:0xf bank_mask:0xf
	v_cmp_gt_f32_e32 vcc, v2, v3
	v_cndmask_b32_e32 v2, v3, v2, vcc
	s_nop 1
	v_mov_b32_dpp v3, v2 row_bcast:15 row_mask:0xf bank_mask:0xf
	v_cmp_gt_f32_e32 vcc, v2, v3
	v_cndmask_b32_e32 v2, v3, v2, vcc
	s_nop 1
	v_mov_b32_dpp v3, v2 row_bcast:31 row_mask:0xf bank_mask:0xf
	s_and_saveexec_b64 s[8:9], s[2:3]
	s_cbranch_execz .LBB49_28
; %bb.27:
	v_cmp_gt_f32_e32 vcc, v2, v3
	v_cndmask_b32_e32 v2, v3, v2, vcc
	v_lshrrev_b32_e32 v3, 4, v0
	v_and_b32_e32 v3, 60, v3
	ds_write_b32 v3, v2
.LBB49_28:
	s_or_b64 exec, exec, s[8:9]
	s_waitcnt lgkmcnt(0)
	s_barrier
	ds_read_b32 v2, v36
	s_waitcnt lgkmcnt(0)
	s_nop 0
	v_mov_b32_dpp v3, v2 quad_perm:[1,0,3,2] row_mask:0xf bank_mask:0xf
	v_cmp_gt_f32_e32 vcc, v2, v3
	v_cndmask_b32_e32 v2, v3, v2, vcc
	s_nop 1
	v_mov_b32_dpp v3, v2 quad_perm:[2,3,0,1] row_mask:0xf bank_mask:0xf
	v_cmp_gt_f32_e32 vcc, v2, v3
	v_cndmask_b32_e32 v2, v3, v2, vcc
	v_mul_f32_e32 v2, 0x3b124925, v2
	v_cmp_eq_u32_e32 vcc, 0, v0
	s_and_saveexec_b64 s[8:9], vcc
	s_cbranch_execz .LBB49_30
; %bb.29:
	s_load_dwordx2 s[22:23], s[4:5], 0x8
	s_mul_hi_i32 s29, s11, s6
	s_mul_i32 s28, s11, s6
	s_lshl_b64 s[28:29], s[28:29], 2
	v_mov_b32_e32 v3, 0
	s_waitcnt lgkmcnt(0)
	s_add_u32 s22, s22, s28
	s_addc_u32 s23, s23, s29
	global_store_dword v3, v2, s[22:23]
.LBB49_30:
	s_or_b64 exec, exec, s[8:9]
	;;#ASMSTART
	v_rcp_f32 v2, v2
	;;#ASMEND
	s_and_saveexec_b64 s[22:23], s[0:1]
	s_cbranch_execz .LBB49_32
; %bb.31:
	s_load_dwordx2 s[0:1], s[4:5], 0x0
	v_mov_b32_e32 v3, v2
	;;#ASMSTART
	v_pk_mul_f32 v[4:5], v[48:49], v[2:3]
	;;#ASMEND
	v_mov_b32_e32 v8, 0xc3e00000
	v_mov_b32_e32 v9, 0x43e00000
	;;#ASMSTART
	v_med3_f32 v4, v4, v8, v9
v_med3_f32 v5, v5, v8, v9
v_cvt_pk_fp8_f32 v6, v4, v5
	;;#ASMEND
	;;#ASMSTART
	v_pk_mul_f32 v[4:5], v[34:35], v[2:3]
	;;#ASMEND
	;;#ASMSTART
	v_med3_f32 v4, v4, v8, v9
v_med3_f32 v5, v5, v8, v9
v_cvt_pk_fp8_f32 v7, v4, v5
	;;#ASMEND
	s_mul_i32 s8, s10, s6
	;;#ASMSTART
	v_pk_mul_f32 v[4:5], v[54:55], v[2:3]
	;;#ASMEND
	s_mul_hi_i32 s7, s10, s6
	s_waitcnt lgkmcnt(0)
	s_add_u32 s8, s0, s8
	;;#ASMSTART
	v_med3_f32 v4, v4, v8, v9
v_med3_f32 v5, v5, v8, v9
v_cvt_pk_fp8_f32 v10, v4, v5
	;;#ASMEND
	s_addc_u32 s0, s1, s7
	s_add_i32 s1, s15, 3
	;;#ASMSTART
	v_pk_mul_f32 v[4:5], v[24:25], v[2:3]
	;;#ASMEND
	s_ashr_i32 s7, s1, 31
	;;#ASMSTART
	v_med3_f32 v4, v4, v8, v9
v_med3_f32 v5, v5, v8, v9
v_cvt_pk_fp8_f32 v11, v4, v5
	;;#ASMEND
	s_lshr_b32 s7, s7, 30
	s_and_b32 s9, s0, 0xffff
	s_mov_b32 s0, 0x5040100
	s_add_i32 s1, s1, s7
	v_perm_b32 v5, v7, v6, s0
	s_movk_i32 s7, 0xff
	v_and_b32_e32 v4, 0xffffff00, v7
	v_and_b32_sdwa v6, v5, s7 dst_sel:DWORD dst_unused:UNUSED_PAD src0_sel:WORD_1 src1_sel:DWORD
	s_and_b32 s10, s1, -4
	s_mov_b32 s1, 0xffff
	v_or_b32_sdwa v4, v6, v4 dst_sel:WORD_1 dst_unused:UNUSED_PAD src0_sel:DWORD src1_sel:DWORD
	v_and_or_b32 v4, v5, s1, v4
	v_lshlrev_b32_e32 v5, 16, v11
	s_mov_b32 s11, 0x20000
	v_and_or_b32 v5, v10, s1, v5
	buffer_store_dwordx2 v[4:5], v1, s[8:11], 0 offen
	;;#ASMSTART
	s_nop 0
	;;#ASMEND
	;;#ASMSTART
	v_pk_mul_f32 v[4:5], v[64:65], v[2:3]
	;;#ASMEND
	;;#ASMSTART
	v_med3_f32 v4, v4, v8, v9
v_med3_f32 v5, v5, v8, v9
v_cvt_pk_fp8_f32 v6, v4, v5
	;;#ASMEND
	;;#ASMSTART
	v_pk_mul_f32 v[4:5], v[18:19], v[2:3]
	;;#ASMEND
	;;#ASMSTART
	v_med3_f32 v4, v4, v8, v9
v_med3_f32 v5, v5, v8, v9
v_cvt_pk_fp8_f32 v7, v4, v5
	;;#ASMEND
	v_perm_b32 v5, v7, v6, s0
	v_and_b32_e32 v4, 0xffffff00, v7
	v_and_b32_sdwa v6, v5, s7 dst_sel:DWORD dst_unused:UNUSED_PAD src0_sel:WORD_1 src1_sel:DWORD
	v_or_b32_sdwa v4, v6, v4 dst_sel:WORD_1 dst_unused:UNUSED_PAD src0_sel:DWORD src1_sel:DWORD
	v_and_or_b32 v4, v5, s1, v4
	;;#ASMSTART
	v_pk_mul_f32 v[6:7], v[14:15], v[2:3]
	;;#ASMEND
	v_mov_b32_e32 v5, v7
	;;#ASMSTART
	v_med3_f32 v6, v6, v8, v9
v_med3_f32 v5, v5, v8, v9
v_cvt_pk_fp8_f32 v7, v6, v5
	;;#ASMEND
	;;#ASMSTART
	v_pk_mul_f32 v[2:3], v[88:89], v[2:3]
	;;#ASMEND
	;;#ASMSTART
	v_med3_f32 v2, v2, v8, v9
v_med3_f32 v3, v3, v8, v9
v_cvt_pk_fp8_f32 v5, v2, v3
	;;#ASMEND
	v_lshlrev_b32_e32 v2, 16, v5
	v_and_or_b32 v5, v7, s1, v2
	s_movk_i32 s0, 0x200
	buffer_store_dwordx2 v[4:5], v1, s[8:11], s0 offen
	;;#ASMSTART
	s_nop 0
	;;#ASMEND
.LBB49_32:
	s_or_b64 exec, exec, s[22:23]
	s_cmp_lt_i32 s16, 1
	s_cbranch_scc1 .LBB49_17
.LBB49_33:
	s_load_dword s0, s[4:5], 0x94
	s_waitcnt lgkmcnt(0)
	s_cmp_lg_u32 s0, 1
	s_cbranch_scc1 .LBB49_17
; %bb.34:
	s_lshl_b32 s0, s16, 1
	s_add_i32 s0, s0, 2
	v_cmp_gt_u32_e32 vcc, s16, v1
	s_and_b32 s22, s0, -4
	v_mov_b32_e32 v18, 0
	v_lshlrev_b32_e32 v1, 1, v1
	v_mov_b32_e32 v14, 0
	v_mov_b32_e32 v15, 0
	;; [unrolled: 1-line block ×16, first 2 shown]
	s_barrier
	s_and_saveexec_b64 s[0:1], vcc
	s_cbranch_execz .LBB49_36
; %bb.35:
	s_mul_hi_i32 s5, s18, s6
	s_mul_i32 s4, s18, s6
	s_and_b32 s21, s21, 0xffff
	s_lshl_b64 s[4:5], s[4:5], 1
	s_add_u32 s8, s34, s4
	s_mov_b32 s23, 0x20000
	s_addc_u32 s4, s35, s5
	s_and_b32 s9, s4, 0xffff
	s_mov_b32 s10, s22
	s_mov_b32 s11, s23
	s_movk_i32 s4, 0x400
	buffer_load_dwordx4 v[14:17], v1, s[8:11], 0 offen glc slc
	buffer_load_dwordx4 v[10:13], v1, s[8:11], s4 offen glc slc
	buffer_load_dwordx4 v[6:9], v1, s[20:23], 0 offen
	buffer_load_dwordx4 v[2:5], v1, s[20:23], s4 offen
.LBB49_36:
	s_or_b64 exec, exec, s[0:1]
	v_mov_b32_e32 v19, 0
	v_mov_b32_e32 v32, 0
	;; [unrolled: 1-line block ×15, first 2 shown]
	s_and_saveexec_b64 s[0:1], vcc
	s_cbranch_execz .LBB49_38
; %bb.37:
	s_waitcnt vmcnt(3)
	v_cvt_f32_f16_sdwa v19, v14 dst_sel:DWORD dst_unused:UNUSED_PAD src0_sel:WORD_1
	v_cvt_f32_f16_e32 v18, v14
	v_cvt_f32_f16_sdwa v33, v15 dst_sel:DWORD dst_unused:UNUSED_PAD src0_sel:WORD_1
	v_cvt_f32_f16_e32 v32, v15
	;; [unrolled: 2-line block ×4, first 2 shown]
	s_waitcnt vmcnt(2)
	v_cvt_f32_f16_sdwa v27, v10 dst_sel:DWORD dst_unused:UNUSED_PAD src0_sel:WORD_1
	v_cvt_f32_f16_e32 v26, v10
	v_cvt_f32_f16_sdwa v25, v11 dst_sel:DWORD dst_unused:UNUSED_PAD src0_sel:WORD_1
	v_cvt_f32_f16_e32 v24, v11
	;; [unrolled: 2-line block ×4, first 2 shown]
.LBB49_38:
	s_or_b64 exec, exec, s[0:1]
	s_waitcnt vmcnt(2)
	v_mul_f32_e32 v10, v19, v19
	v_fmac_f32_e32 v10, v18, v18
	v_fmac_f32_e32 v10, v32, v32
	;; [unrolled: 1-line block ×15, first 2 shown]
	s_nop 1
	v_mov_b32_dpp v11, v10 quad_perm:[1,0,3,2] row_mask:0xf bank_mask:0xf
	v_add_f32_e32 v10, v10, v11
	s_nop 1
	v_mov_b32_dpp v11, v10 quad_perm:[2,3,0,1] row_mask:0xf bank_mask:0xf
	v_add_f32_e32 v10, v10, v11
	s_nop 1
	v_mov_b32_dpp v11, v10 row_half_mirror row_mask:0xf bank_mask:0xf
	v_add_f32_e32 v10, v10, v11
	s_nop 1
	v_mov_b32_dpp v11, v10 row_mirror row_mask:0xf bank_mask:0xf
	v_add_f32_e32 v10, v10, v11
	s_nop 1
	v_mov_b32_dpp v11, v10 row_bcast:15 row_mask:0xf bank_mask:0xf
	v_add_f32_e32 v10, v10, v11
	s_nop 1
	v_mov_b32_dpp v11, v10 row_bcast:31 row_mask:0xf bank_mask:0xf
	s_and_saveexec_b64 s[0:1], s[2:3]
	s_cbranch_execz .LBB49_40
; %bb.39:
	v_lshrrev_b32_e32 v0, 4, v0
	v_add_f32_e32 v10, v10, v11
	v_and_b32_e32 v0, 60, v0
	ds_write_b32 v0, v10 offset:16
.LBB49_40:
	s_or_b64 exec, exec, s[0:1]
	s_waitcnt lgkmcnt(0)
	s_barrier
	ds_read_b32 v0, v36 offset:16
	s_waitcnt lgkmcnt(0)
	s_nop 0
	v_mov_b32_dpp v10, v0 quad_perm:[1,0,3,2] row_mask:0xf bank_mask:0xf
	v_add_f32_e32 v0, v0, v10
	s_nop 1
	v_mov_b32_dpp v10, v0 quad_perm:[2,3,0,1] row_mask:0xf bank_mask:0xf
	s_and_saveexec_b64 s[0:1], vcc
	s_cbranch_execz .LBB49_17
; %bb.41:
	v_cvt_f32_u32_e32 v11, s16
	v_add_f32_e32 v0, v0, v10
	s_mov_b32 s23, 0x20000
	v_div_scale_f32 v10, s[0:1], v11, v11, v0
	v_rcp_f32_e32 v12, v10
	v_div_scale_f32 v13, vcc, v0, v11, v0
	s_mov_b32 s0, 0x800000
	v_fma_f32 v14, -v10, v12, 1.0
	v_fmac_f32_e32 v12, v14, v12
	v_mul_f32_e32 v14, v13, v12
	v_fma_f32 v15, -v10, v14, v13
	v_fmac_f32_e32 v14, v15, v12
	v_fma_f32 v10, -v10, v14, v13
	v_div_fmas_f32 v10, v10, v12, v14
	v_div_fixup_f32 v0, v10, v11, v0
	v_add_f32_e32 v0, s13, v0
	v_mul_f32_e32 v10, 0x4b800000, v0
	v_cmp_gt_f32_e32 vcc, s0, v0
	v_cndmask_b32_e32 v0, v0, v10, vcc
	v_rsq_f32_e32 v0, v0
	s_mul_hi_i32 s1, s25, s6
	s_mul_i32 s0, s25, s6
	s_lshl_b64 s[0:1], s[0:1], 1
	v_mul_f32_e32 v10, 0x45800000, v0
	v_cndmask_b32_e32 v10, v0, v10, vcc
	v_mov_b32_e32 v11, v10
	;;#ASMSTART
	v_pk_mul_f32 v[12:13], v[18:19], v[10:11]
	;;#ASMEND
	;;#ASMSTART
	v_pk_mul_f32 v[14:15], v[32:33], v[10:11]
	;;#ASMEND
	;; [unrolled: 3-line block ×4, first 2 shown]
	s_waitcnt vmcnt(1)
	v_cvt_f32_f16_sdwa v29, v6 dst_sel:DWORD dst_unused:UNUSED_PAD src0_sel:WORD_1
	v_cvt_f32_f16_e32 v28, v6
	v_cvt_f32_f16_sdwa v31, v7 dst_sel:DWORD dst_unused:UNUSED_PAD src0_sel:WORD_1
	v_cvt_f32_f16_e32 v30, v7
	;;#ASMSTART
	v_pk_mul_f32 v[26:27], v[26:27], v[10:11]
	;;#ASMEND
	;;#ASMSTART
	v_pk_mul_f32 v[24:25], v[24:25], v[10:11]
	;;#ASMEND
	;;#ASMSTART
	v_pk_mul_f32 v[22:23], v[22:23], v[10:11]
	;;#ASMEND
	;;#ASMSTART
	v_pk_mul_f32 v[6:7], v[20:21], v[10:11]
	;;#ASMEND
	v_cvt_f32_f16_sdwa v21, v8 dst_sel:DWORD dst_unused:UNUSED_PAD src0_sel:WORD_1
	v_cvt_f32_f16_e32 v20, v8
	v_pk_add_f32 v[10:11], v[28:29], 1.0 op_sel_hi:[1,0]
	;;#ASMSTART
	v_pk_mul_f32 v[10:11], v[12:13], v[10:11]
	;;#ASMEND
	v_pk_add_f32 v[12:13], v[30:31], 1.0 op_sel_hi:[1,0]
	v_cvt_f32_f16_sdwa v29, v9 dst_sel:DWORD dst_unused:UNUSED_PAD src0_sel:WORD_1
	v_cvt_f32_f16_e32 v28, v9
	;;#ASMSTART
	v_pk_mul_f32 v[8:9], v[14:15], v[12:13]
	;;#ASMEND
	v_pk_add_f32 v[12:13], v[20:21], 1.0 op_sel_hi:[1,0]
	;;#ASMSTART
	v_pk_mul_f32 v[12:13], v[16:17], v[12:13]
	;;#ASMEND
	s_waitcnt vmcnt(0)
	v_cvt_f32_f16_sdwa v17, v2 dst_sel:DWORD dst_unused:UNUSED_PAD src0_sel:WORD_1
	v_cvt_f32_f16_e32 v16, v2
	v_cvt_f32_f16_sdwa v21, v3 dst_sel:DWORD dst_unused:UNUSED_PAD src0_sel:WORD_1
	v_cvt_f32_f16_e32 v20, v3
	v_pk_add_f32 v[14:15], v[28:29], 1.0 op_sel_hi:[1,0]
	;;#ASMSTART
	v_pk_mul_f32 v[2:3], v[18:19], v[14:15]
	;;#ASMEND
	v_cvt_f32_f16_sdwa v19, v4 dst_sel:DWORD dst_unused:UNUSED_PAD src0_sel:WORD_1
	v_cvt_f32_f16_e32 v18, v4
	v_pk_add_f32 v[14:15], v[16:17], 1.0 op_sel_hi:[1,0]
	v_pk_add_f32 v[16:17], v[20:21], 1.0 op_sel_hi:[1,0]
	v_cvt_f32_f16_sdwa v21, v5 dst_sel:DWORD dst_unused:UNUSED_PAD src0_sel:WORD_1
	v_cvt_f32_f16_e32 v20, v5
	v_pk_add_f32 v[4:5], v[18:19], 1.0 op_sel_hi:[1,0]
	;;#ASMSTART
	v_pk_mul_f32 v[14:15], v[26:27], v[14:15]
	;;#ASMEND
	;;#ASMSTART
	v_pk_mul_f32 v[16:17], v[24:25], v[16:17]
	;;#ASMEND
	;; [unrolled: 3-line block ×3, first 2 shown]
	v_pk_add_f32 v[4:5], v[20:21], 1.0 op_sel_hi:[1,0]
	;;#ASMSTART
	v_pk_mul_f32 v[6:7], v[6:7], v[4:5]
	;;#ASMEND
	v_cvt_f16_f32_e32 v0, v10
	v_cvt_f16_f32_e32 v4, v11
	;; [unrolled: 1-line block ×8, first 2 shown]
	s_add_u32 s20, s26, s0
	s_addc_u32 s0, s27, s1
	s_and_b32 s21, s0, 0xffff
	v_pack_b32_f16 v2, v0, v4
	v_pack_b32_f16 v3, v5, v8
	;; [unrolled: 1-line block ×4, first 2 shown]
	buffer_store_dwordx4 v[2:5], v1, s[20:23], 0 offen
	v_cvt_f16_f32_e32 v0, v14
	v_cvt_f16_f32_e32 v2, v15
	;; [unrolled: 1-line block ×8, first 2 shown]
	v_pack_b32_f16 v2, v0, v2
	v_pack_b32_f16 v3, v3, v4
	;; [unrolled: 1-line block ×4, first 2 shown]
	s_movk_i32 s0, 0x400
	;;#ASMSTART
	s_nop 0
	;;#ASMEND
	buffer_store_dwordx4 v[2:5], v1, s[20:23], s0 offen
	;;#ASMSTART
	s_nop 0
	;;#ASMEND
	s_endpgm
	.section	.rodata,"a",@progbits
	.p2align	6, 0x0
	.amdhsa_kernel _ZN5aiter35fused_qk_rmsnorm_group_quant_kernelIDF16_DB8_Li256ELi16ELi1ELb1ELb1ELb1ELb0ELb1ELb1EEEvPT0_PvPT_S6_S6_PKS5_S8_S8_S8_S8_ffiiiiiiiiiiiii
		.amdhsa_group_segment_fixed_size 48
		.amdhsa_private_segment_fixed_size 0
		.amdhsa_kernarg_size 400
		.amdhsa_user_sgpr_count 6
		.amdhsa_user_sgpr_private_segment_buffer 1
		.amdhsa_user_sgpr_dispatch_ptr 0
		.amdhsa_user_sgpr_queue_ptr 0
		.amdhsa_user_sgpr_kernarg_segment_ptr 1
		.amdhsa_user_sgpr_dispatch_id 0
		.amdhsa_user_sgpr_flat_scratch_init 0
		.amdhsa_user_sgpr_kernarg_preload_length 0
		.amdhsa_user_sgpr_kernarg_preload_offset 0
		.amdhsa_user_sgpr_private_segment_size 0
		.amdhsa_uses_dynamic_stack 0
		.amdhsa_system_sgpr_private_segment_wavefront_offset 0
		.amdhsa_system_sgpr_workgroup_id_x 1
		.amdhsa_system_sgpr_workgroup_id_y 1
		.amdhsa_system_sgpr_workgroup_id_z 0
		.amdhsa_system_sgpr_workgroup_info 0
		.amdhsa_system_vgpr_workitem_id 0
		.amdhsa_next_free_vgpr 90
		.amdhsa_next_free_sgpr 38
		.amdhsa_accum_offset 92
		.amdhsa_reserve_vcc 1
		.amdhsa_reserve_flat_scratch 0
		.amdhsa_float_round_mode_32 0
		.amdhsa_float_round_mode_16_64 0
		.amdhsa_float_denorm_mode_32 3
		.amdhsa_float_denorm_mode_16_64 3
		.amdhsa_dx10_clamp 1
		.amdhsa_ieee_mode 1
		.amdhsa_fp16_overflow 0
		.amdhsa_tg_split 0
		.amdhsa_exception_fp_ieee_invalid_op 0
		.amdhsa_exception_fp_denorm_src 0
		.amdhsa_exception_fp_ieee_div_zero 0
		.amdhsa_exception_fp_ieee_overflow 0
		.amdhsa_exception_fp_ieee_underflow 0
		.amdhsa_exception_fp_ieee_inexact 0
		.amdhsa_exception_int_div_zero 0
	.end_amdhsa_kernel
	.section	.text._ZN5aiter35fused_qk_rmsnorm_group_quant_kernelIDF16_DB8_Li256ELi16ELi1ELb1ELb1ELb1ELb0ELb1ELb1EEEvPT0_PvPT_S6_S6_PKS5_S8_S8_S8_S8_ffiiiiiiiiiiiii,"axG",@progbits,_ZN5aiter35fused_qk_rmsnorm_group_quant_kernelIDF16_DB8_Li256ELi16ELi1ELb1ELb1ELb1ELb0ELb1ELb1EEEvPT0_PvPT_S6_S6_PKS5_S8_S8_S8_S8_ffiiiiiiiiiiiii,comdat
.Lfunc_end49:
	.size	_ZN5aiter35fused_qk_rmsnorm_group_quant_kernelIDF16_DB8_Li256ELi16ELi1ELb1ELb1ELb1ELb0ELb1ELb1EEEvPT0_PvPT_S6_S6_PKS5_S8_S8_S8_S8_ffiiiiiiiiiiiii, .Lfunc_end49-_ZN5aiter35fused_qk_rmsnorm_group_quant_kernelIDF16_DB8_Li256ELi16ELi1ELb1ELb1ELb1ELb0ELb1ELb1EEEvPT0_PvPT_S6_S6_PKS5_S8_S8_S8_S8_ffiiiiiiiiiiiii
                                        ; -- End function
	.section	.AMDGPU.csdata,"",@progbits
; Kernel info:
; codeLenInByte = 4664
; NumSgprs: 42
; NumVgprs: 90
; NumAgprs: 0
; TotalNumVgprs: 90
; ScratchSize: 0
; MemoryBound: 0
; FloatMode: 240
; IeeeMode: 1
; LDSByteSize: 48 bytes/workgroup (compile time only)
; SGPRBlocks: 5
; VGPRBlocks: 11
; NumSGPRsForWavesPerEU: 42
; NumVGPRsForWavesPerEU: 90
; AccumOffset: 92
; Occupancy: 5
; WaveLimiterHint : 0
; COMPUTE_PGM_RSRC2:SCRATCH_EN: 0
; COMPUTE_PGM_RSRC2:USER_SGPR: 6
; COMPUTE_PGM_RSRC2:TRAP_HANDLER: 0
; COMPUTE_PGM_RSRC2:TGID_X_EN: 1
; COMPUTE_PGM_RSRC2:TGID_Y_EN: 1
; COMPUTE_PGM_RSRC2:TGID_Z_EN: 0
; COMPUTE_PGM_RSRC2:TIDIG_COMP_CNT: 0
; COMPUTE_PGM_RSRC3_GFX90A:ACCUM_OFFSET: 22
; COMPUTE_PGM_RSRC3_GFX90A:TG_SPLIT: 0
	.section	.text._ZN5aiter35fused_qk_rmsnorm_group_quant_kernelItDB8_Li256ELi16ELi1ELb1ELb1ELb1ELb0ELb1ELb1EEEvPT0_PvPT_S6_S6_PKS5_S8_S8_S8_S8_ffiiiiiiiiiiiii,"axG",@progbits,_ZN5aiter35fused_qk_rmsnorm_group_quant_kernelItDB8_Li256ELi16ELi1ELb1ELb1ELb1ELb0ELb1ELb1EEEvPT0_PvPT_S6_S6_PKS5_S8_S8_S8_S8_ffiiiiiiiiiiiii,comdat
	.protected	_ZN5aiter35fused_qk_rmsnorm_group_quant_kernelItDB8_Li256ELi16ELi1ELb1ELb1ELb1ELb0ELb1ELb1EEEvPT0_PvPT_S6_S6_PKS5_S8_S8_S8_S8_ffiiiiiiiiiiiii ; -- Begin function _ZN5aiter35fused_qk_rmsnorm_group_quant_kernelItDB8_Li256ELi16ELi1ELb1ELb1ELb1ELb0ELb1ELb1EEEvPT0_PvPT_S6_S6_PKS5_S8_S8_S8_S8_ffiiiiiiiiiiiii
	.globl	_ZN5aiter35fused_qk_rmsnorm_group_quant_kernelItDB8_Li256ELi16ELi1ELb1ELb1ELb1ELb0ELb1ELb1EEEvPT0_PvPT_S6_S6_PKS5_S8_S8_S8_S8_ffiiiiiiiiiiiii
	.p2align	8
	.type	_ZN5aiter35fused_qk_rmsnorm_group_quant_kernelItDB8_Li256ELi16ELi1ELb1ELb1ELb1ELb0ELb1ELb1EEEvPT0_PvPT_S6_S6_PKS5_S8_S8_S8_S8_ffiiiiiiiiiiiii,@function
_ZN5aiter35fused_qk_rmsnorm_group_quant_kernelItDB8_Li256ELi16ELi1ELb1ELb1ELb1ELb0ELb1ELb1EEEvPT0_PvPT_S6_S6_PKS5_S8_S8_S8_S8_ffiiiiiiiiiiiii: ; @_ZN5aiter35fused_qk_rmsnorm_group_quant_kernelItDB8_Li256ELi16ELi1ELb1ELb1ELb1ELb0ELb1ELb1EEEvPT0_PvPT_S6_S6_PKS5_S8_S8_S8_S8_ffiiiiiiiiiiiii
; %bb.0:
	s_load_dwordx8 s[12:19], s[4:5], 0x50
	s_waitcnt lgkmcnt(0)
	s_cmp_ge_i32 s6, s14
	s_cbranch_scc1 .LBB50_17
; %bb.1:
	s_cmp_lg_u32 s7, 0
	s_cselect_b64 s[22:23], -1, 0
	s_cmp_eq_u32 s7, 0
	s_cselect_b64 s[8:9], -1, 0
	s_and_b64 s[0:1], s[8:9], exec
	s_cselect_b32 s7, s15, s16
	s_add_i32 s0, s7, 1
	s_load_dwordx2 s[10:11], s[4:5], 0x70
	s_load_dwordx2 s[20:21], s[4:5], 0x48
	;; [unrolled: 1-line block ×3, first 2 shown]
	s_lshr_b32 s1, s0, 31
	s_add_i32 s0, s0, s1
	s_lshl_b32 s0, s0, 1
	v_lshlrev_b32_e32 v2, 4, v0
	s_and_b32 s30, s0, -4
	v_lshlrev_b32_e32 v1, 3, v0
	v_and_b32_e32 v2, 0x3c00, v2
	s_movk_i32 s0, 0x1f8
	v_and_or_b32 v1, v1, s0, v2
	v_cmp_gt_i32_e64 s[0:1], s7, v1
	v_mov_b32_e32 v78, 0
	v_mov_b32_e32 v79, 0
	;; [unrolled: 1-line block ×16, first 2 shown]
	s_and_saveexec_b64 s[2:3], s[0:1]
	s_cbranch_execz .LBB50_3
; %bb.2:
	s_load_dwordx2 s[24:25], s[4:5], 0x28
	s_load_dwordx2 s[26:27], s[4:5], 0x40
	s_and_b64 s[28:29], s[8:9], exec
	s_cselect_b32 s14, s17, s18
	s_mov_b32 s31, 0x20000
	s_waitcnt lgkmcnt(0)
	s_cselect_b32 s17, s25, s35
	s_cselect_b32 s28, s24, s34
	s_mul_hi_i32 s25, s14, s6
	s_mul_i32 s24, s14, s6
	s_lshl_b64 s[24:25], s[24:25], 1
	s_add_u32 s24, s28, s24
	s_addc_u32 s14, s17, s25
	s_and_b64 s[28:29], s[8:9], exec
	s_cselect_b32 s28, s26, s20
	s_cselect_b32 s17, s27, s21
	s_and_b32 s25, s14, 0xffff
	s_mov_b32 s26, s30
	s_mov_b32 s27, s31
	v_lshlrev_b32_e32 v2, 1, v1
	s_and_b32 s29, s17, 0xffff
	s_movk_i32 s14, 0x400
	buffer_load_dwordx4 v[82:85], v2, s[24:27], 0 offen glc slc
	buffer_load_dwordx4 v[86:89], v2, s[24:27], s14 offen glc slc
	buffer_load_dwordx4 v[78:81], v2, s[28:31], 0 offen
	buffer_load_dwordx4 v[74:77], v2, s[28:31], s14 offen
.LBB50_3:
	s_or_b64 exec, exec, s[2:3]
	s_load_dwordx4 s[24:27], s[4:5], 0x7c
	s_and_b64 vcc, exec, s[22:23]
	s_cbranch_vccz .LBB50_7
; %bb.4:
	v_mov_b32_e32 v91, 0
	v_mov_b32_e32 v90, 0
	;; [unrolled: 1-line block ×16, first 2 shown]
	s_and_saveexec_b64 s[2:3], s[0:1]
	s_cbranch_execz .LBB50_6
; %bb.5:
	s_waitcnt vmcnt(3)
	v_cvt_f32_u32_sdwa v56, v82 dst_sel:DWORD dst_unused:UNUSED_PAD src0_sel:WORD_0
	v_cvt_f32_u32_sdwa v57, v82 dst_sel:DWORD dst_unused:UNUSED_PAD src0_sel:WORD_1
	v_cvt_f32_u32_sdwa v42, v83 dst_sel:DWORD dst_unused:UNUSED_PAD src0_sel:WORD_0
	v_cvt_f32_u32_sdwa v43, v83 dst_sel:DWORD dst_unused:UNUSED_PAD src0_sel:WORD_1
	;; [unrolled: 2-line block ×4, first 2 shown]
	s_waitcnt vmcnt(2)
	v_cvt_f32_u32_sdwa v24, v86 dst_sel:DWORD dst_unused:UNUSED_PAD src0_sel:WORD_0
	v_cvt_f32_u32_sdwa v25, v86 dst_sel:DWORD dst_unused:UNUSED_PAD src0_sel:WORD_1
	v_cvt_f32_u32_sdwa v18, v87 dst_sel:DWORD dst_unused:UNUSED_PAD src0_sel:WORD_0
	v_cvt_f32_u32_sdwa v19, v87 dst_sel:DWORD dst_unused:UNUSED_PAD src0_sel:WORD_1
	;; [unrolled: 2-line block ×4, first 2 shown]
.LBB50_6:
	s_or_b64 exec, exec, s[2:3]
	s_cbranch_execz .LBB50_8
	s_branch .LBB50_11
.LBB50_7:
                                        ; implicit-def: $vgpr40_vgpr41_vgpr42_vgpr43_vgpr44_vgpr45_vgpr46_vgpr47_vgpr48_vgpr49_vgpr50_vgpr51_vgpr52_vgpr53_vgpr54_vgpr55
                                        ; implicit-def: $vgpr26_vgpr27_vgpr28_vgpr29_vgpr30_vgpr31_vgpr32_vgpr33_vgpr34_vgpr35_vgpr36_vgpr37_vgpr38_vgpr39_vgpr40_vgpr41
                                        ; implicit-def: $vgpr56_vgpr57_vgpr58_vgpr59_vgpr60_vgpr61_vgpr62_vgpr63_vgpr64_vgpr65_vgpr66_vgpr67_vgpr68_vgpr69_vgpr70_vgpr71
                                        ; implicit-def: $vgpr91
                                        ; implicit-def: $vgpr58_vgpr59_vgpr60_vgpr61_vgpr62_vgpr63_vgpr64_vgpr65_vgpr66_vgpr67_vgpr68_vgpr69_vgpr70_vgpr71_vgpr72_vgpr73
                                        ; implicit-def: $vgpr16_vgpr17_vgpr18_vgpr19_vgpr20_vgpr21_vgpr22_vgpr23_vgpr24_vgpr25_vgpr26_vgpr27_vgpr28_vgpr29_vgpr30_vgpr31
                                        ; implicit-def: $vgpr8_vgpr9_vgpr10_vgpr11_vgpr12_vgpr13_vgpr14_vgpr15_vgpr16_vgpr17_vgpr18_vgpr19_vgpr20_vgpr21_vgpr22_vgpr23
                                        ; implicit-def: $vgpr2_vgpr3_vgpr4_vgpr5_vgpr6_vgpr7_vgpr8_vgpr9_vgpr10_vgpr11_vgpr12_vgpr13_vgpr14_vgpr15_vgpr16_vgpr17
.LBB50_8:
	v_mov_b32_e32 v91, 0
	v_mov_b32_e32 v90, 0
	;; [unrolled: 1-line block ×16, first 2 shown]
	s_and_saveexec_b64 s[2:3], s[0:1]
	s_cbranch_execz .LBB50_10
; %bb.9:
	s_load_dwordx2 s[28:29], s[4:5], 0x38
	s_mul_hi_i32 s37, s19, s6
	s_mul_i32 s36, s19, s6
	s_lshl_b64 s[36:37], s[36:37], 1
	s_mov_b32 s31, 0x20000
	s_waitcnt lgkmcnt(0)
	s_add_u32 s28, s28, s36
	s_addc_u32 s14, s29, s37
	s_and_b32 s29, s14, 0xffff
	v_lshlrev_b32_e32 v38, 1, v1
	s_movk_i32 s14, 0x400
	buffer_load_dwordx4 v[4:7], v38, s[28:31], s14 offen glc slc
	buffer_load_dwordx4 v[8:11], v38, s[28:31], 0 offen glc slc
	s_load_dwordx2 s[28:29], s[4:5], 0x20
	s_waitcnt vmcnt(5)
	v_cvt_f32_u32_sdwa v19, v82 dst_sel:DWORD dst_unused:UNUSED_PAD src0_sel:WORD_1
	v_cvt_f32_u32_sdwa v18, v82 dst_sel:DWORD dst_unused:UNUSED_PAD src0_sel:WORD_0
	v_cvt_f32_u32_sdwa v21, v83 dst_sel:DWORD dst_unused:UNUSED_PAD src0_sel:WORD_1
	v_cvt_f32_u32_sdwa v20, v83 dst_sel:DWORD dst_unused:UNUSED_PAD src0_sel:WORD_0
	v_cvt_f32_u32_sdwa v23, v84 dst_sel:DWORD dst_unused:UNUSED_PAD src0_sel:WORD_1
	v_cvt_f32_u32_sdwa v22, v84 dst_sel:DWORD dst_unused:UNUSED_PAD src0_sel:WORD_0
	v_cvt_f32_u32_sdwa v25, v85 dst_sel:DWORD dst_unused:UNUSED_PAD src0_sel:WORD_1
	v_cvt_f32_u32_sdwa v24, v85 dst_sel:DWORD dst_unused:UNUSED_PAD src0_sel:WORD_0
	s_waitcnt vmcnt(4)
	v_cvt_f32_u32_sdwa v3, v86 dst_sel:DWORD dst_unused:UNUSED_PAD src0_sel:WORD_1
	v_cvt_f32_u32_sdwa v2, v86 dst_sel:DWORD dst_unused:UNUSED_PAD src0_sel:WORD_0
	v_cvt_f32_u32_sdwa v13, v87 dst_sel:DWORD dst_unused:UNUSED_PAD src0_sel:WORD_1
	v_cvt_f32_u32_sdwa v12, v87 dst_sel:DWORD dst_unused:UNUSED_PAD src0_sel:WORD_0
	;; [unrolled: 2-line block ×3, first 2 shown]
	v_cvt_f32_u32_sdwa v16, v89 dst_sel:DWORD dst_unused:UNUSED_PAD src0_sel:WORD_0
	v_cvt_f32_u32_sdwa v17, v89 dst_sel:DWORD dst_unused:UNUSED_PAD src0_sel:WORD_1
	s_mul_hi_i32 s27, s26, s6
	s_mul_i32 s26, s26, s6
	s_lshl_b64 s[26:27], s[26:27], 1
	s_waitcnt lgkmcnt(0)
	s_add_u32 s28, s28, s26
	s_mov_b32 s17, 0x7060302
	s_addc_u32 s19, s29, s27
	s_and_b32 s29, s19, 0xffff
	s_waitcnt vmcnt(1)
	v_cvt_f32_u32_sdwa v27, v4 dst_sel:DWORD dst_unused:UNUSED_PAD src0_sel:WORD_1
	v_cvt_f32_u32_sdwa v26, v4 dst_sel:DWORD dst_unused:UNUSED_PAD src0_sel:WORD_0
	v_cvt_f32_u32_sdwa v29, v5 dst_sel:DWORD dst_unused:UNUSED_PAD src0_sel:WORD_1
	v_cvt_f32_u32_sdwa v28, v5 dst_sel:DWORD dst_unused:UNUSED_PAD src0_sel:WORD_0
	;; [unrolled: 2-line block ×3, first 2 shown]
	v_cvt_f32_u32_sdwa v34, v7 dst_sel:DWORD dst_unused:UNUSED_PAD src0_sel:WORD_0
	v_cvt_f32_u32_sdwa v35, v7 dst_sel:DWORD dst_unused:UNUSED_PAD src0_sel:WORD_1
	s_waitcnt vmcnt(0)
	v_cvt_f32_u32_sdwa v37, v8 dst_sel:DWORD dst_unused:UNUSED_PAD src0_sel:WORD_1
	v_cvt_f32_u32_sdwa v36, v8 dst_sel:DWORD dst_unused:UNUSED_PAD src0_sel:WORD_0
	v_cvt_f32_u32_sdwa v5, v10 dst_sel:DWORD dst_unused:UNUSED_PAD src0_sel:WORD_1
	v_cvt_f32_u32_sdwa v4, v10 dst_sel:DWORD dst_unused:UNUSED_PAD src0_sel:WORD_0
	;; [unrolled: 2-line block ×4, first 2 shown]
	v_pk_add_f32 v[62:63], v[22:23], v[4:5]
	v_pk_add_f32 v[32:33], v[24:25], v[6:7]
	;; [unrolled: 1-line block ×4, first 2 shown]
	v_perm_b32 v7, v33, v32, s17
	v_perm_b32 v6, v63, v62, s17
	;; [unrolled: 1-line block ×4, first 2 shown]
	v_pk_add_f32 v[90:91], v[16:17], v[34:35]
	v_pk_add_f32 v[14:15], v[14:15], v[30:31]
	;; [unrolled: 1-line block ×4, first 2 shown]
	buffer_store_dwordx4 v[4:7], v38, s[28:31], 0 offen glc slc
	;;#ASMSTART
	s_nop 0
	;;#ASMEND
	s_nop 0
	v_perm_b32 v7, v91, v90, s17
	v_perm_b32 v6, v15, v14, s17
	;; [unrolled: 1-line block ×4, first 2 shown]
	buffer_store_dwordx4 v[4:7], v38, s[28:31], s14 offen glc slc
	;;#ASMSTART
	s_nop 0
	;;#ASMEND
.LBB50_10:
	s_or_b64 exec, exec, s[2:3]
.LBB50_11:
	v_mul_f32_e32 v2, v57, v57
	v_fmac_f32_e32 v2, v56, v56
	v_fmac_f32_e32 v2, v42, v42
	;; [unrolled: 1-line block ×15, first 2 shown]
	s_nop 1
	v_mov_b32_dpp v3, v2 quad_perm:[1,0,3,2] row_mask:0xf bank_mask:0xf
	v_add_f32_e32 v2, v2, v3
	s_nop 1
	v_mov_b32_dpp v3, v2 quad_perm:[2,3,0,1] row_mask:0xf bank_mask:0xf
	v_add_f32_e32 v2, v2, v3
	s_nop 1
	v_mov_b32_dpp v3, v2 row_half_mirror row_mask:0xf bank_mask:0xf
	v_add_f32_e32 v2, v2, v3
	s_nop 1
	v_mov_b32_dpp v3, v2 row_mirror row_mask:0xf bank_mask:0xf
	v_add_f32_e32 v2, v2, v3
	s_nop 1
	v_mov_b32_dpp v3, v2 row_bcast:15 row_mask:0xf bank_mask:0xf
	v_add_f32_e32 v2, v2, v3
	v_and_b32_e32 v3, 63, v0
	v_cmp_eq_u32_e64 s[2:3], 63, v3
	s_nop 0
	v_mov_b32_dpp v3, v2 row_bcast:31 row_mask:0xf bank_mask:0xf
	s_waitcnt lgkmcnt(0)
	s_and_saveexec_b64 s[26:27], s[2:3]
	s_cbranch_execz .LBB50_13
; %bb.12:
	v_add_f32_e32 v2, v2, v3
	v_lshrrev_b32_e32 v3, 4, v0
	v_and_b32_e32 v3, 60, v3
	ds_write_b32 v3, v2 offset:32
.LBB50_13:
	s_or_b64 exec, exec, s[26:27]
	v_and_b32_e32 v2, 3, v0
	v_lshlrev_b32_e32 v34, 2, v2
	s_waitcnt lgkmcnt(0)
	s_barrier
	ds_read_b32 v2, v34 offset:32
	s_load_dwordx2 s[26:27], s[4:5], 0x18
	s_waitcnt lgkmcnt(0)
	v_mov_b32_dpp v3, v2 quad_perm:[1,0,3,2] row_mask:0xf bank_mask:0xf
	v_add_f32_e32 v2, v2, v3
	s_nop 1
	v_mov_b32_dpp v3, v2 quad_perm:[2,3,0,1] row_mask:0xf bank_mask:0xf
	s_and_saveexec_b64 s[28:29], s[0:1]
	s_cbranch_execnz .LBB50_18
; %bb.14:
	s_or_b64 exec, exec, s[28:29]
	s_mov_b64 s[8:9], -1
	s_and_b64 vcc, exec, s[22:23]
	s_cbranch_vccnz .LBB50_19
.LBB50_15:
	s_andn2_b64 vcc, exec, s[8:9]
	s_cbranch_vccz .LBB50_22
.LBB50_16:
	s_cmp_lt_i32 s16, 1
	s_cbranch_scc0 .LBB50_33
.LBB50_17:
	s_endpgm
.LBB50_18:
	v_add_f32_e32 v2, v2, v3
	v_cvt_f32_u32_e32 v3, s7
	s_mov_b32 s7, 0x800000
	s_waitcnt vmcnt(1)
	v_cvt_f32_u32_sdwa v17, v78 dst_sel:DWORD dst_unused:UNUSED_PAD src0_sel:WORD_1
	v_cvt_f32_u32_sdwa v16, v78 dst_sel:DWORD dst_unused:UNUSED_PAD src0_sel:WORD_0
	v_div_scale_f32 v4, s[36:37], v3, v3, v2
	v_rcp_f32_e32 v5, v4
	v_pk_add_f32 v[16:17], v[16:17], 1.0 op_sel_hi:[1,0]
	v_cvt_f32_u32_sdwa v21, v81 dst_sel:DWORD dst_unused:UNUSED_PAD src0_sel:WORD_1
	v_cvt_f32_u32_sdwa v20, v81 dst_sel:DWORD dst_unused:UNUSED_PAD src0_sel:WORD_0
	v_fma_f32 v6, -v4, v5, 1.0
	v_fmac_f32_e32 v5, v6, v5
	v_div_scale_f32 v6, vcc, v2, v3, v2
	v_mul_f32_e32 v7, v6, v5
	v_fma_f32 v8, -v4, v7, v6
	v_fmac_f32_e32 v7, v8, v5
	v_fma_f32 v4, -v4, v7, v6
	v_div_fmas_f32 v4, v4, v5, v7
	v_div_fixup_f32 v2, v4, v3, v2
	v_mov_b32_e32 v3, s13
	v_mov_b32_e32 v4, s12
	v_cndmask_b32_e64 v3, v3, v4, s[8:9]
	v_add_f32_e32 v2, v3, v2
	v_mul_f32_e32 v3, 0x4b800000, v2
	v_cmp_gt_f32_e32 vcc, s7, v2
	v_cndmask_b32_e32 v2, v2, v3, vcc
	v_rsq_f32_e32 v2, v2
	s_waitcnt vmcnt(0)
	v_cvt_f32_u32_sdwa v23, v76 dst_sel:DWORD dst_unused:UNUSED_PAD src0_sel:WORD_1
	v_cvt_f32_u32_sdwa v22, v76 dst_sel:DWORD dst_unused:UNUSED_PAD src0_sel:WORD_0
	v_mul_f32_e32 v3, 0x45800000, v2
	v_cndmask_b32_e32 v2, v2, v3, vcc
	v_mov_b32_e32 v3, v2
	;;#ASMSTART
	v_pk_mul_f32 v[4:5], v[56:57], v[2:3]
	;;#ASMEND
	;;#ASMSTART
	v_pk_mul_f32 v[6:7], v[42:43], v[2:3]
	;;#ASMEND
	;; [unrolled: 3-line block ×9, first 2 shown]
	v_cvt_f32_u32_sdwa v5, v79 dst_sel:DWORD dst_unused:UNUSED_PAD src0_sel:WORD_1
	v_cvt_f32_u32_sdwa v4, v79 dst_sel:DWORD dst_unused:UNUSED_PAD src0_sel:WORD_0
	v_cvt_f32_u32_sdwa v17, v80 dst_sel:DWORD dst_unused:UNUSED_PAD src0_sel:WORD_1
	v_cvt_f32_u32_sdwa v16, v80 dst_sel:DWORD dst_unused:UNUSED_PAD src0_sel:WORD_0
	v_cvt_f32_u32_sdwa v25, v77 dst_sel:DWORD dst_unused:UNUSED_PAD src0_sel:WORD_1
	v_pk_add_f32 v[4:5], v[4:5], 1.0 op_sel_hi:[1,0]
	;;#ASMSTART
	v_pk_mul_f32 v[42:43], v[6:7], v[4:5]
	;;#ASMEND
	v_pk_add_f32 v[4:5], v[16:17], 1.0 op_sel_hi:[1,0]
	v_pk_add_f32 v[6:7], v[20:21], 1.0 op_sel_hi:[1,0]
	v_cvt_f32_u32_sdwa v17, v74 dst_sel:DWORD dst_unused:UNUSED_PAD src0_sel:WORD_1
	v_cvt_f32_u32_sdwa v16, v74 dst_sel:DWORD dst_unused:UNUSED_PAD src0_sel:WORD_0
	v_cvt_f32_u32_sdwa v21, v75 dst_sel:DWORD dst_unused:UNUSED_PAD src0_sel:WORD_1
	v_cvt_f32_u32_sdwa v20, v75 dst_sel:DWORD dst_unused:UNUSED_PAD src0_sel:WORD_0
	v_cvt_f32_u32_sdwa v24, v77 dst_sel:DWORD dst_unused:UNUSED_PAD src0_sel:WORD_0
	v_pk_add_f32 v[16:17], v[16:17], 1.0 op_sel_hi:[1,0]
	v_pk_add_f32 v[22:23], v[22:23], 1.0 op_sel_hi:[1,0]
	;; [unrolled: 1-line block ×4, first 2 shown]
	;;#ASMSTART
	v_pk_mul_f32 v[62:63], v[8:9], v[4:5]
	;;#ASMEND
	;;#ASMSTART
	v_pk_mul_f32 v[32:33], v[10:11], v[6:7]
	;;#ASMEND
	;; [unrolled: 3-line block ×6, first 2 shown]
	s_or_b64 exec, exec, s[28:29]
	s_mov_b64 s[8:9], -1
	s_and_b64 vcc, exec, s[22:23]
	s_cbranch_vccz .LBB50_15
.LBB50_19:
	s_and_saveexec_b64 s[8:9], s[0:1]
	s_cbranch_execz .LBB50_21
; %bb.20:
	s_mul_hi_i32 s23, s25, s6
	s_mul_i32 s22, s25, s6
	s_lshl_b64 s[22:23], s[22:23], 1
	s_add_u32 s28, s26, s22
	s_addc_u32 s7, s27, s23
	s_and_b32 s29, s7, 0xffff
	s_mov_b32 s7, 0x7060302
	s_mov_b32 s31, 0x20000
	v_perm_b32 v5, v33, v32, s7
	v_perm_b32 v4, v63, v62, s7
	;; [unrolled: 1-line block ×4, first 2 shown]
	v_lshlrev_b32_e32 v6, 1, v1
	buffer_store_dwordx4 v[2:5], v6, s[28:31], 0 offen
	;;#ASMSTART
	s_nop 0
	;;#ASMEND
	s_nop 0
	v_perm_b32 v5, v91, v90, s7
	v_perm_b32 v4, v15, v14, s7
	;; [unrolled: 1-line block ×4, first 2 shown]
	s_movk_i32 s7, 0x400
	buffer_store_dwordx4 v[2:5], v6, s[28:31], s7 offen
	;;#ASMSTART
	s_nop 0
	;;#ASMEND
.LBB50_21:
	s_or_b64 exec, exec, s[8:9]
	s_cbranch_execnz .LBB50_16
.LBB50_22:
	v_mov_b32_e32 v2, 0
	s_and_saveexec_b64 s[8:9], s[0:1]
	s_cbranch_execz .LBB50_24
; %bb.23:
	s_load_dwordx2 s[22:23], s[4:5], 0x10
	s_mul_hi_i32 s29, s24, s6
	s_mul_i32 s28, s24, s6
	s_lshl_b64 s[28:29], s[28:29], 1
	s_mov_b32 s31, 0x20000
	s_waitcnt lgkmcnt(0)
	s_add_u32 s28, s22, s28
	s_addc_u32 s7, s23, s29
	s_and_b32 s29, s7, 0xffff
	s_mov_b32 s7, 0x7060302
	v_perm_b32 v5, v33, v32, s7
	v_perm_b32 v4, v63, v62, s7
	;; [unrolled: 1-line block ×4, first 2 shown]
	v_lshlrev_b32_e32 v6, 1, v1
	buffer_store_dwordx4 v[2:5], v6, s[28:31], 0 offen
	;;#ASMSTART
	s_nop 0
	;;#ASMEND
	s_nop 0
	v_perm_b32 v5, v91, v90, s7
	v_perm_b32 v4, v15, v14, s7
	;; [unrolled: 1-line block ×4, first 2 shown]
	s_movk_i32 s7, 0x400
	buffer_store_dwordx4 v[2:5], v6, s[28:31], s7 offen
	v_mov_b32_e32 v2, 0x2edbe6ff
	;;#ASMSTART
	s_nop 0
	;;#ASMEND
.LBB50_24:
	s_or_b64 exec, exec, s[8:9]
	s_and_saveexec_b64 s[8:9], s[0:1]
	s_cbranch_execz .LBB50_26
; %bb.25:
	v_and_b32_e32 v3, 0x7fffffff, v56
	v_and_b32_e32 v4, 0x7fffffff, v57
	;;#ASMSTART
	v_max3_f32 v2, v2, v3, v4

	;;#ASMEND
	v_and_b32_e32 v3, 0x7fffffff, v42
	v_and_b32_e32 v4, 0x7fffffff, v43
	;;#ASMSTART
	v_max3_f32 v2, v2, v3, v4

	;;#ASMEND
	;; [unrolled: 6-line block ×8, first 2 shown]
.LBB50_26:
	s_or_b64 exec, exec, s[8:9]
	s_nop 0
	v_mov_b32_dpp v3, v2 quad_perm:[1,0,3,2] row_mask:0xf bank_mask:0xf
	v_cmp_gt_f32_e32 vcc, v2, v3
	v_cndmask_b32_e32 v2, v3, v2, vcc
	s_nop 1
	v_mov_b32_dpp v3, v2 quad_perm:[2,3,0,1] row_mask:0xf bank_mask:0xf
	v_cmp_gt_f32_e32 vcc, v2, v3
	v_cndmask_b32_e32 v2, v3, v2, vcc
	s_nop 1
	v_mov_b32_dpp v3, v2 row_half_mirror row_mask:0xf bank_mask:0xf
	v_cmp_gt_f32_e32 vcc, v2, v3
	v_cndmask_b32_e32 v2, v3, v2, vcc
	s_nop 1
	v_mov_b32_dpp v3, v2 row_mirror row_mask:0xf bank_mask:0xf
	v_cmp_gt_f32_e32 vcc, v2, v3
	v_cndmask_b32_e32 v2, v3, v2, vcc
	s_nop 1
	v_mov_b32_dpp v3, v2 row_bcast:15 row_mask:0xf bank_mask:0xf
	v_cmp_gt_f32_e32 vcc, v2, v3
	v_cndmask_b32_e32 v2, v3, v2, vcc
	s_nop 1
	v_mov_b32_dpp v3, v2 row_bcast:31 row_mask:0xf bank_mask:0xf
	s_and_saveexec_b64 s[8:9], s[2:3]
	s_cbranch_execz .LBB50_28
; %bb.27:
	v_cmp_gt_f32_e32 vcc, v2, v3
	v_cndmask_b32_e32 v2, v3, v2, vcc
	v_lshrrev_b32_e32 v3, 4, v0
	v_and_b32_e32 v3, 60, v3
	ds_write_b32 v3, v2
.LBB50_28:
	s_or_b64 exec, exec, s[8:9]
	s_waitcnt lgkmcnt(0)
	s_barrier
	ds_read_b32 v2, v34
	s_waitcnt lgkmcnt(0)
	s_nop 0
	v_mov_b32_dpp v3, v2 quad_perm:[1,0,3,2] row_mask:0xf bank_mask:0xf
	v_cmp_gt_f32_e32 vcc, v2, v3
	v_cndmask_b32_e32 v2, v3, v2, vcc
	s_nop 1
	v_mov_b32_dpp v3, v2 quad_perm:[2,3,0,1] row_mask:0xf bank_mask:0xf
	v_cmp_gt_f32_e32 vcc, v2, v3
	v_cndmask_b32_e32 v2, v3, v2, vcc
	v_mul_f32_e32 v2, 0x3b124925, v2
	v_cmp_eq_u32_e32 vcc, 0, v0
	s_and_saveexec_b64 s[8:9], vcc
	s_cbranch_execz .LBB50_30
; %bb.29:
	s_load_dwordx2 s[22:23], s[4:5], 0x8
	s_mul_hi_i32 s29, s11, s6
	s_mul_i32 s28, s11, s6
	s_lshl_b64 s[28:29], s[28:29], 2
	v_mov_b32_e32 v3, 0
	s_waitcnt lgkmcnt(0)
	s_add_u32 s22, s22, s28
	s_addc_u32 s23, s23, s29
	global_store_dword v3, v2, s[22:23]
.LBB50_30:
	s_or_b64 exec, exec, s[8:9]
	;;#ASMSTART
	v_rcp_f32 v2, v2
	;;#ASMEND
	s_and_saveexec_b64 s[22:23], s[0:1]
	s_cbranch_execz .LBB50_32
; %bb.31:
	s_load_dwordx2 s[0:1], s[4:5], 0x0
	v_mov_b32_e32 v3, v2
	;;#ASMSTART
	v_pk_mul_f32 v[4:5], v[56:57], v[2:3]
	;;#ASMEND
	v_mov_b32_e32 v8, 0xc3e00000
	v_mov_b32_e32 v9, 0x43e00000
	;;#ASMSTART
	v_med3_f32 v4, v4, v8, v9
v_med3_f32 v5, v5, v8, v9
v_cvt_pk_fp8_f32 v6, v4, v5
	;;#ASMEND
	;;#ASMSTART
	v_pk_mul_f32 v[4:5], v[42:43], v[2:3]
	;;#ASMEND
	;;#ASMSTART
	v_med3_f32 v4, v4, v8, v9
v_med3_f32 v5, v5, v8, v9
v_cvt_pk_fp8_f32 v7, v4, v5
	;;#ASMEND
	s_mul_i32 s8, s10, s6
	;;#ASMSTART
	v_pk_mul_f32 v[4:5], v[62:63], v[2:3]
	;;#ASMEND
	s_mul_hi_i32 s7, s10, s6
	s_waitcnt lgkmcnt(0)
	s_add_u32 s8, s0, s8
	;;#ASMSTART
	v_med3_f32 v4, v4, v8, v9
v_med3_f32 v5, v5, v8, v9
v_cvt_pk_fp8_f32 v10, v4, v5
	;;#ASMEND
	s_addc_u32 s0, s1, s7
	s_add_i32 s1, s15, 3
	;;#ASMSTART
	v_pk_mul_f32 v[4:5], v[32:33], v[2:3]
	;;#ASMEND
	s_ashr_i32 s7, s1, 31
	;;#ASMSTART
	v_med3_f32 v4, v4, v8, v9
v_med3_f32 v5, v5, v8, v9
v_cvt_pk_fp8_f32 v11, v4, v5
	;;#ASMEND
	s_lshr_b32 s7, s7, 30
	s_and_b32 s9, s0, 0xffff
	s_mov_b32 s0, 0x5040100
	s_add_i32 s1, s1, s7
	v_perm_b32 v5, v7, v6, s0
	s_movk_i32 s7, 0xff
	v_and_b32_e32 v4, 0xffffff00, v7
	v_and_b32_sdwa v6, v5, s7 dst_sel:DWORD dst_unused:UNUSED_PAD src0_sel:WORD_1 src1_sel:DWORD
	s_and_b32 s10, s1, -4
	s_mov_b32 s1, 0xffff
	v_or_b32_sdwa v4, v6, v4 dst_sel:WORD_1 dst_unused:UNUSED_PAD src0_sel:DWORD src1_sel:DWORD
	v_and_or_b32 v4, v5, s1, v4
	v_lshlrev_b32_e32 v5, 16, v11
	s_mov_b32 s11, 0x20000
	v_and_or_b32 v5, v10, s1, v5
	buffer_store_dwordx2 v[4:5], v1, s[8:11], 0 offen
	;;#ASMSTART
	s_nop 0
	;;#ASMEND
	;;#ASMSTART
	v_pk_mul_f32 v[4:5], v[24:25], v[2:3]
	;;#ASMEND
	;;#ASMSTART
	v_med3_f32 v4, v4, v8, v9
v_med3_f32 v5, v5, v8, v9
v_cvt_pk_fp8_f32 v6, v4, v5
	;;#ASMEND
	;;#ASMSTART
	v_pk_mul_f32 v[4:5], v[18:19], v[2:3]
	;;#ASMEND
	;;#ASMSTART
	v_med3_f32 v4, v4, v8, v9
v_med3_f32 v5, v5, v8, v9
v_cvt_pk_fp8_f32 v7, v4, v5
	;;#ASMEND
	v_perm_b32 v5, v7, v6, s0
	v_and_b32_e32 v4, 0xffffff00, v7
	v_and_b32_sdwa v6, v5, s7 dst_sel:DWORD dst_unused:UNUSED_PAD src0_sel:WORD_1 src1_sel:DWORD
	v_or_b32_sdwa v4, v6, v4 dst_sel:WORD_1 dst_unused:UNUSED_PAD src0_sel:DWORD src1_sel:DWORD
	v_and_or_b32 v4, v5, s1, v4
	;;#ASMSTART
	v_pk_mul_f32 v[6:7], v[14:15], v[2:3]
	;;#ASMEND
	v_mov_b32_e32 v5, v6
	;;#ASMSTART
	v_med3_f32 v5, v5, v8, v9
v_med3_f32 v7, v7, v8, v9
v_cvt_pk_fp8_f32 v6, v5, v7
	;;#ASMEND
	;;#ASMSTART
	v_pk_mul_f32 v[2:3], v[90:91], v[2:3]
	;;#ASMEND
	;;#ASMSTART
	v_med3_f32 v2, v2, v8, v9
v_med3_f32 v3, v3, v8, v9
v_cvt_pk_fp8_f32 v5, v2, v3
	;;#ASMEND
	v_lshlrev_b32_e32 v2, 16, v5
	v_and_or_b32 v5, v6, s1, v2
	s_movk_i32 s0, 0x200
	buffer_store_dwordx2 v[4:5], v1, s[8:11], s0 offen
	;;#ASMSTART
	s_nop 0
	;;#ASMEND
.LBB50_32:
	s_or_b64 exec, exec, s[22:23]
	s_cmp_lt_i32 s16, 1
	s_cbranch_scc1 .LBB50_17
.LBB50_33:
	s_load_dword s0, s[4:5], 0x94
	s_waitcnt lgkmcnt(0)
	s_cmp_lg_u32 s0, 1
	s_cbranch_scc1 .LBB50_17
; %bb.34:
	s_lshl_b32 s0, s16, 1
	s_add_i32 s0, s0, 2
	v_cmp_gt_u32_e32 vcc, s16, v1
	s_and_b32 s22, s0, -4
	v_mov_b32_e32 v18, 0
	v_lshlrev_b32_e32 v1, 1, v1
	v_mov_b32_e32 v14, 0
	v_mov_b32_e32 v15, 0
	;; [unrolled: 1-line block ×16, first 2 shown]
	s_barrier
	s_and_saveexec_b64 s[0:1], vcc
	s_cbranch_execz .LBB50_36
; %bb.35:
	s_mul_hi_i32 s5, s18, s6
	s_mul_i32 s4, s18, s6
	s_and_b32 s21, s21, 0xffff
	s_lshl_b64 s[4:5], s[4:5], 1
	s_add_u32 s8, s34, s4
	s_mov_b32 s23, 0x20000
	s_addc_u32 s4, s35, s5
	s_and_b32 s9, s4, 0xffff
	s_mov_b32 s10, s22
	s_mov_b32 s11, s23
	s_movk_i32 s4, 0x400
	buffer_load_dwordx4 v[14:17], v1, s[8:11], 0 offen glc slc
	buffer_load_dwordx4 v[10:13], v1, s[8:11], s4 offen glc slc
	buffer_load_dwordx4 v[6:9], v1, s[20:23], 0 offen
	buffer_load_dwordx4 v[2:5], v1, s[20:23], s4 offen
.LBB50_36:
	s_or_b64 exec, exec, s[0:1]
	v_mov_b32_e32 v19, 0
	v_mov_b32_e32 v32, 0
	;; [unrolled: 1-line block ×15, first 2 shown]
	s_and_saveexec_b64 s[0:1], vcc
	s_cbranch_execz .LBB50_38
; %bb.37:
	s_waitcnt vmcnt(3)
	v_cvt_f32_u32_sdwa v18, v14 dst_sel:DWORD dst_unused:UNUSED_PAD src0_sel:WORD_0
	v_cvt_f32_u32_sdwa v19, v14 dst_sel:DWORD dst_unused:UNUSED_PAD src0_sel:WORD_1
	v_cvt_f32_u32_sdwa v32, v15 dst_sel:DWORD dst_unused:UNUSED_PAD src0_sel:WORD_0
	v_cvt_f32_u32_sdwa v33, v15 dst_sel:DWORD dst_unused:UNUSED_PAD src0_sel:WORD_1
	;; [unrolled: 2-line block ×4, first 2 shown]
	s_waitcnt vmcnt(2)
	v_cvt_f32_u32_sdwa v26, v10 dst_sel:DWORD dst_unused:UNUSED_PAD src0_sel:WORD_0
	v_cvt_f32_u32_sdwa v27, v10 dst_sel:DWORD dst_unused:UNUSED_PAD src0_sel:WORD_1
	v_cvt_f32_u32_sdwa v24, v11 dst_sel:DWORD dst_unused:UNUSED_PAD src0_sel:WORD_0
	v_cvt_f32_u32_sdwa v25, v11 dst_sel:DWORD dst_unused:UNUSED_PAD src0_sel:WORD_1
	;; [unrolled: 2-line block ×4, first 2 shown]
.LBB50_38:
	s_or_b64 exec, exec, s[0:1]
	s_waitcnt vmcnt(2)
	v_mul_f32_e32 v10, v19, v19
	v_fmac_f32_e32 v10, v18, v18
	v_fmac_f32_e32 v10, v32, v32
	;; [unrolled: 1-line block ×15, first 2 shown]
	s_nop 1
	v_mov_b32_dpp v11, v10 quad_perm:[1,0,3,2] row_mask:0xf bank_mask:0xf
	v_add_f32_e32 v10, v10, v11
	s_nop 1
	v_mov_b32_dpp v11, v10 quad_perm:[2,3,0,1] row_mask:0xf bank_mask:0xf
	v_add_f32_e32 v10, v10, v11
	s_nop 1
	v_mov_b32_dpp v11, v10 row_half_mirror row_mask:0xf bank_mask:0xf
	v_add_f32_e32 v10, v10, v11
	s_nop 1
	v_mov_b32_dpp v11, v10 row_mirror row_mask:0xf bank_mask:0xf
	v_add_f32_e32 v10, v10, v11
	s_nop 1
	v_mov_b32_dpp v11, v10 row_bcast:15 row_mask:0xf bank_mask:0xf
	v_add_f32_e32 v10, v10, v11
	s_nop 1
	v_mov_b32_dpp v11, v10 row_bcast:31 row_mask:0xf bank_mask:0xf
	s_and_saveexec_b64 s[0:1], s[2:3]
	s_cbranch_execz .LBB50_40
; %bb.39:
	v_lshrrev_b32_e32 v0, 4, v0
	v_add_f32_e32 v10, v10, v11
	v_and_b32_e32 v0, 60, v0
	ds_write_b32 v0, v10 offset:16
.LBB50_40:
	s_or_b64 exec, exec, s[0:1]
	s_waitcnt lgkmcnt(0)
	s_barrier
	ds_read_b32 v0, v34 offset:16
	s_waitcnt lgkmcnt(0)
	s_nop 0
	v_mov_b32_dpp v10, v0 quad_perm:[1,0,3,2] row_mask:0xf bank_mask:0xf
	v_add_f32_e32 v0, v0, v10
	s_nop 1
	v_mov_b32_dpp v10, v0 quad_perm:[2,3,0,1] row_mask:0xf bank_mask:0xf
	s_and_saveexec_b64 s[0:1], vcc
	s_cbranch_execz .LBB50_17
; %bb.41:
	v_cvt_f32_u32_e32 v11, s16
	v_add_f32_e32 v0, v0, v10
	s_mov_b32 s23, 0x20000
	v_div_scale_f32 v10, s[0:1], v11, v11, v0
	v_rcp_f32_e32 v12, v10
	v_div_scale_f32 v13, vcc, v0, v11, v0
	s_mov_b32 s0, 0x800000
	v_fma_f32 v14, -v10, v12, 1.0
	v_fmac_f32_e32 v12, v14, v12
	v_mul_f32_e32 v14, v13, v12
	v_fma_f32 v15, -v10, v14, v13
	v_fmac_f32_e32 v14, v15, v12
	v_fma_f32 v10, -v10, v14, v13
	v_div_fmas_f32 v10, v10, v12, v14
	v_div_fixup_f32 v0, v10, v11, v0
	v_add_f32_e32 v0, s13, v0
	v_mul_f32_e32 v10, 0x4b800000, v0
	v_cmp_gt_f32_e32 vcc, s0, v0
	v_cndmask_b32_e32 v0, v0, v10, vcc
	v_rsq_f32_e32 v0, v0
	s_mul_hi_i32 s1, s25, s6
	s_mul_i32 s0, s25, s6
	s_lshl_b64 s[0:1], s[0:1], 1
	v_mul_f32_e32 v10, 0x45800000, v0
	v_cndmask_b32_e32 v10, v0, v10, vcc
	v_mov_b32_e32 v11, v10
	;;#ASMSTART
	v_pk_mul_f32 v[12:13], v[18:19], v[10:11]
	;;#ASMEND
	;;#ASMSTART
	v_pk_mul_f32 v[14:15], v[32:33], v[10:11]
	;;#ASMEND
	;; [unrolled: 3-line block ×4, first 2 shown]
	s_waitcnt vmcnt(1)
	v_cvt_f32_u32_sdwa v29, v6 dst_sel:DWORD dst_unused:UNUSED_PAD src0_sel:WORD_1
	v_cvt_f32_u32_sdwa v28, v6 dst_sel:DWORD dst_unused:UNUSED_PAD src0_sel:WORD_0
	v_cvt_f32_u32_sdwa v31, v7 dst_sel:DWORD dst_unused:UNUSED_PAD src0_sel:WORD_1
	v_cvt_f32_u32_sdwa v30, v7 dst_sel:DWORD dst_unused:UNUSED_PAD src0_sel:WORD_0
	;;#ASMSTART
	v_pk_mul_f32 v[26:27], v[26:27], v[10:11]
	;;#ASMEND
	;;#ASMSTART
	v_pk_mul_f32 v[24:25], v[24:25], v[10:11]
	;;#ASMEND
	;; [unrolled: 3-line block ×4, first 2 shown]
	v_cvt_f32_u32_sdwa v21, v8 dst_sel:DWORD dst_unused:UNUSED_PAD src0_sel:WORD_1
	v_cvt_f32_u32_sdwa v20, v8 dst_sel:DWORD dst_unused:UNUSED_PAD src0_sel:WORD_0
	v_pk_add_f32 v[10:11], v[28:29], 1.0 op_sel_hi:[1,0]
	;;#ASMSTART
	v_pk_mul_f32 v[10:11], v[12:13], v[10:11]
	;;#ASMEND
	v_pk_add_f32 v[12:13], v[30:31], 1.0 op_sel_hi:[1,0]
	v_cvt_f32_u32_sdwa v29, v9 dst_sel:DWORD dst_unused:UNUSED_PAD src0_sel:WORD_1
	v_cvt_f32_u32_sdwa v28, v9 dst_sel:DWORD dst_unused:UNUSED_PAD src0_sel:WORD_0
	;;#ASMSTART
	v_pk_mul_f32 v[8:9], v[14:15], v[12:13]
	;;#ASMEND
	v_pk_add_f32 v[12:13], v[20:21], 1.0 op_sel_hi:[1,0]
	;;#ASMSTART
	v_pk_mul_f32 v[12:13], v[16:17], v[12:13]
	;;#ASMEND
	s_waitcnt vmcnt(0)
	v_cvt_f32_u32_sdwa v17, v2 dst_sel:DWORD dst_unused:UNUSED_PAD src0_sel:WORD_1
	v_cvt_f32_u32_sdwa v16, v2 dst_sel:DWORD dst_unused:UNUSED_PAD src0_sel:WORD_0
	v_cvt_f32_u32_sdwa v21, v3 dst_sel:DWORD dst_unused:UNUSED_PAD src0_sel:WORD_1
	v_cvt_f32_u32_sdwa v20, v3 dst_sel:DWORD dst_unused:UNUSED_PAD src0_sel:WORD_0
	v_pk_add_f32 v[14:15], v[28:29], 1.0 op_sel_hi:[1,0]
	;;#ASMSTART
	v_pk_mul_f32 v[14:15], v[18:19], v[14:15]
	;;#ASMEND
	v_pk_add_f32 v[2:3], v[16:17], 1.0 op_sel_hi:[1,0]
	v_cvt_f32_u32_sdwa v19, v4 dst_sel:DWORD dst_unused:UNUSED_PAD src0_sel:WORD_1
	v_cvt_f32_u32_sdwa v18, v4 dst_sel:DWORD dst_unused:UNUSED_PAD src0_sel:WORD_0
	;;#ASMSTART
	v_pk_mul_f32 v[16:17], v[26:27], v[2:3]
	;;#ASMEND
	v_pk_add_f32 v[2:3], v[20:21], 1.0 op_sel_hi:[1,0]
	v_cvt_f32_u32_sdwa v21, v5 dst_sel:DWORD dst_unused:UNUSED_PAD src0_sel:WORD_1
	v_cvt_f32_u32_sdwa v20, v5 dst_sel:DWORD dst_unused:UNUSED_PAD src0_sel:WORD_0
	s_add_u32 s20, s26, s0
	;;#ASMSTART
	v_pk_mul_f32 v[24:25], v[24:25], v[2:3]
	;;#ASMEND
	v_pk_add_f32 v[2:3], v[18:19], 1.0 op_sel_hi:[1,0]
	s_addc_u32 s0, s27, s1
	;;#ASMSTART
	v_pk_mul_f32 v[18:19], v[22:23], v[2:3]
	;;#ASMEND
	v_pk_add_f32 v[2:3], v[20:21], 1.0 op_sel_hi:[1,0]
	s_and_b32 s21, s0, 0xffff
	s_mov_b32 s0, 0x7060302
	;;#ASMSTART
	v_pk_mul_f32 v[6:7], v[6:7], v[2:3]
	;;#ASMEND
	v_perm_b32 v2, v11, v10, s0
	v_perm_b32 v3, v9, v8, s0
	;; [unrolled: 1-line block ×4, first 2 shown]
	buffer_store_dwordx4 v[2:5], v1, s[20:23], 0 offen
	;;#ASMSTART
	s_nop 0
	;;#ASMEND
	s_nop 0
	v_perm_b32 v2, v17, v16, s0
	v_perm_b32 v3, v25, v24, s0
	;; [unrolled: 1-line block ×4, first 2 shown]
	s_movk_i32 s0, 0x400
	buffer_store_dwordx4 v[2:5], v1, s[20:23], s0 offen
	;;#ASMSTART
	s_nop 0
	;;#ASMEND
	s_endpgm
	.section	.rodata,"a",@progbits
	.p2align	6, 0x0
	.amdhsa_kernel _ZN5aiter35fused_qk_rmsnorm_group_quant_kernelItDB8_Li256ELi16ELi1ELb1ELb1ELb1ELb0ELb1ELb1EEEvPT0_PvPT_S6_S6_PKS5_S8_S8_S8_S8_ffiiiiiiiiiiiii
		.amdhsa_group_segment_fixed_size 48
		.amdhsa_private_segment_fixed_size 0
		.amdhsa_kernarg_size 400
		.amdhsa_user_sgpr_count 6
		.amdhsa_user_sgpr_private_segment_buffer 1
		.amdhsa_user_sgpr_dispatch_ptr 0
		.amdhsa_user_sgpr_queue_ptr 0
		.amdhsa_user_sgpr_kernarg_segment_ptr 1
		.amdhsa_user_sgpr_dispatch_id 0
		.amdhsa_user_sgpr_flat_scratch_init 0
		.amdhsa_user_sgpr_kernarg_preload_length 0
		.amdhsa_user_sgpr_kernarg_preload_offset 0
		.amdhsa_user_sgpr_private_segment_size 0
		.amdhsa_uses_dynamic_stack 0
		.amdhsa_system_sgpr_private_segment_wavefront_offset 0
		.amdhsa_system_sgpr_workgroup_id_x 1
		.amdhsa_system_sgpr_workgroup_id_y 1
		.amdhsa_system_sgpr_workgroup_id_z 0
		.amdhsa_system_sgpr_workgroup_info 0
		.amdhsa_system_vgpr_workitem_id 0
		.amdhsa_next_free_vgpr 92
		.amdhsa_next_free_sgpr 38
		.amdhsa_accum_offset 92
		.amdhsa_reserve_vcc 1
		.amdhsa_reserve_flat_scratch 0
		.amdhsa_float_round_mode_32 0
		.amdhsa_float_round_mode_16_64 0
		.amdhsa_float_denorm_mode_32 3
		.amdhsa_float_denorm_mode_16_64 3
		.amdhsa_dx10_clamp 1
		.amdhsa_ieee_mode 1
		.amdhsa_fp16_overflow 0
		.amdhsa_tg_split 0
		.amdhsa_exception_fp_ieee_invalid_op 0
		.amdhsa_exception_fp_denorm_src 0
		.amdhsa_exception_fp_ieee_div_zero 0
		.amdhsa_exception_fp_ieee_overflow 0
		.amdhsa_exception_fp_ieee_underflow 0
		.amdhsa_exception_fp_ieee_inexact 0
		.amdhsa_exception_int_div_zero 0
	.end_amdhsa_kernel
	.section	.text._ZN5aiter35fused_qk_rmsnorm_group_quant_kernelItDB8_Li256ELi16ELi1ELb1ELb1ELb1ELb0ELb1ELb1EEEvPT0_PvPT_S6_S6_PKS5_S8_S8_S8_S8_ffiiiiiiiiiiiii,"axG",@progbits,_ZN5aiter35fused_qk_rmsnorm_group_quant_kernelItDB8_Li256ELi16ELi1ELb1ELb1ELb1ELb0ELb1ELb1EEEvPT0_PvPT_S6_S6_PKS5_S8_S8_S8_S8_ffiiiiiiiiiiiii,comdat
.Lfunc_end50:
	.size	_ZN5aiter35fused_qk_rmsnorm_group_quant_kernelItDB8_Li256ELi16ELi1ELb1ELb1ELb1ELb0ELb1ELb1EEEvPT0_PvPT_S6_S6_PKS5_S8_S8_S8_S8_ffiiiiiiiiiiiii, .Lfunc_end50-_ZN5aiter35fused_qk_rmsnorm_group_quant_kernelItDB8_Li256ELi16ELi1ELb1ELb1ELb1ELb0ELb1ELb1EEEvPT0_PvPT_S6_S6_PKS5_S8_S8_S8_S8_ffiiiiiiiiiiiii
                                        ; -- End function
	.section	.AMDGPU.csdata,"",@progbits
; Kernel info:
; codeLenInByte = 4648
; NumSgprs: 42
; NumVgprs: 92
; NumAgprs: 0
; TotalNumVgprs: 92
; ScratchSize: 0
; MemoryBound: 0
; FloatMode: 240
; IeeeMode: 1
; LDSByteSize: 48 bytes/workgroup (compile time only)
; SGPRBlocks: 5
; VGPRBlocks: 11
; NumSGPRsForWavesPerEU: 42
; NumVGPRsForWavesPerEU: 92
; AccumOffset: 92
; Occupancy: 5
; WaveLimiterHint : 0
; COMPUTE_PGM_RSRC2:SCRATCH_EN: 0
; COMPUTE_PGM_RSRC2:USER_SGPR: 6
; COMPUTE_PGM_RSRC2:TRAP_HANDLER: 0
; COMPUTE_PGM_RSRC2:TGID_X_EN: 1
; COMPUTE_PGM_RSRC2:TGID_Y_EN: 1
; COMPUTE_PGM_RSRC2:TGID_Z_EN: 0
; COMPUTE_PGM_RSRC2:TIDIG_COMP_CNT: 0
; COMPUTE_PGM_RSRC3_GFX90A:ACCUM_OFFSET: 22
; COMPUTE_PGM_RSRC3_GFX90A:TG_SPLIT: 0
	.section	.text._ZN5aiter35fused_qk_rmsnorm_group_quant_kernelIDF16_DB8_Li256ELi16ELi1ELb1ELb1ELb0ELb0ELb1ELb1EEEvPT0_PvPT_S6_S6_PKS5_S8_S8_S8_S8_ffiiiiiiiiiiiii,"axG",@progbits,_ZN5aiter35fused_qk_rmsnorm_group_quant_kernelIDF16_DB8_Li256ELi16ELi1ELb1ELb1ELb0ELb0ELb1ELb1EEEvPT0_PvPT_S6_S6_PKS5_S8_S8_S8_S8_ffiiiiiiiiiiiii,comdat
	.protected	_ZN5aiter35fused_qk_rmsnorm_group_quant_kernelIDF16_DB8_Li256ELi16ELi1ELb1ELb1ELb0ELb0ELb1ELb1EEEvPT0_PvPT_S6_S6_PKS5_S8_S8_S8_S8_ffiiiiiiiiiiiii ; -- Begin function _ZN5aiter35fused_qk_rmsnorm_group_quant_kernelIDF16_DB8_Li256ELi16ELi1ELb1ELb1ELb0ELb0ELb1ELb1EEEvPT0_PvPT_S6_S6_PKS5_S8_S8_S8_S8_ffiiiiiiiiiiiii
	.globl	_ZN5aiter35fused_qk_rmsnorm_group_quant_kernelIDF16_DB8_Li256ELi16ELi1ELb1ELb1ELb0ELb0ELb1ELb1EEEvPT0_PvPT_S6_S6_PKS5_S8_S8_S8_S8_ffiiiiiiiiiiiii
	.p2align	8
	.type	_ZN5aiter35fused_qk_rmsnorm_group_quant_kernelIDF16_DB8_Li256ELi16ELi1ELb1ELb1ELb0ELb0ELb1ELb1EEEvPT0_PvPT_S6_S6_PKS5_S8_S8_S8_S8_ffiiiiiiiiiiiii,@function
_ZN5aiter35fused_qk_rmsnorm_group_quant_kernelIDF16_DB8_Li256ELi16ELi1ELb1ELb1ELb0ELb0ELb1ELb1EEEvPT0_PvPT_S6_S6_PKS5_S8_S8_S8_S8_ffiiiiiiiiiiiii: ; @_ZN5aiter35fused_qk_rmsnorm_group_quant_kernelIDF16_DB8_Li256ELi16ELi1ELb1ELb1ELb0ELb0ELb1ELb1EEEvPT0_PvPT_S6_S6_PKS5_S8_S8_S8_S8_ffiiiiiiiiiiiii
; %bb.0:
	s_load_dwordx8 s[12:19], s[4:5], 0x50
	s_waitcnt lgkmcnt(0)
	s_cmp_ge_i32 s6, s14
	s_cbranch_scc1 .LBB51_17
; %bb.1:
	s_cmp_lg_u32 s7, 0
	s_cselect_b64 s[22:23], -1, 0
	s_cmp_eq_u32 s7, 0
	s_cselect_b64 s[8:9], -1, 0
	s_and_b64 s[0:1], s[8:9], exec
	s_cselect_b32 s7, s15, s16
	s_add_i32 s0, s7, 1
	s_load_dwordx2 s[10:11], s[4:5], 0x70
	s_load_dwordx2 s[20:21], s[4:5], 0x48
	;; [unrolled: 1-line block ×3, first 2 shown]
	s_lshr_b32 s1, s0, 31
	s_add_i32 s0, s0, s1
	s_lshl_b32 s0, s0, 1
	v_lshlrev_b32_e32 v2, 4, v0
	s_and_b32 s30, s0, -4
	v_lshlrev_b32_e32 v1, 3, v0
	v_and_b32_e32 v2, 0x3c00, v2
	s_movk_i32 s0, 0x1f8
	v_and_or_b32 v1, v1, s0, v2
	v_cmp_gt_i32_e64 s[0:1], s7, v1
	v_mov_b32_e32 v78, 0
	v_mov_b32_e32 v79, 0
	;; [unrolled: 1-line block ×16, first 2 shown]
	s_and_saveexec_b64 s[2:3], s[0:1]
	s_cbranch_execz .LBB51_3
; %bb.2:
	s_load_dwordx2 s[24:25], s[4:5], 0x28
	s_load_dwordx2 s[26:27], s[4:5], 0x40
	s_and_b64 s[28:29], s[8:9], exec
	s_cselect_b32 s14, s17, s18
	s_mov_b32 s31, 0x20000
	s_waitcnt lgkmcnt(0)
	s_cselect_b32 s17, s25, s35
	s_cselect_b32 s28, s24, s34
	s_mul_hi_i32 s25, s14, s6
	s_mul_i32 s24, s14, s6
	s_lshl_b64 s[24:25], s[24:25], 1
	s_add_u32 s24, s28, s24
	s_addc_u32 s14, s17, s25
	s_and_b64 s[28:29], s[8:9], exec
	s_cselect_b32 s28, s26, s20
	s_cselect_b32 s17, s27, s21
	s_and_b32 s25, s14, 0xffff
	s_mov_b32 s26, s30
	s_mov_b32 s27, s31
	v_lshlrev_b32_e32 v2, 1, v1
	s_and_b32 s29, s17, 0xffff
	s_movk_i32 s14, 0x400
	buffer_load_dwordx4 v[82:85], v2, s[24:27], 0 offen glc slc
	buffer_load_dwordx4 v[86:89], v2, s[24:27], s14 offen glc slc
	buffer_load_dwordx4 v[78:81], v2, s[28:31], 0 offen
	buffer_load_dwordx4 v[74:77], v2, s[28:31], s14 offen
.LBB51_3:
	s_or_b64 exec, exec, s[2:3]
	s_load_dwordx4 s[24:27], s[4:5], 0x7c
	s_and_b64 vcc, exec, s[22:23]
	s_cbranch_vccz .LBB51_7
; %bb.4:
	v_mov_b32_e32 v91, 0
	v_mov_b32_e32 v90, 0
	;; [unrolled: 1-line block ×16, first 2 shown]
	s_and_saveexec_b64 s[2:3], s[0:1]
	s_cbranch_execz .LBB51_6
; %bb.5:
	s_waitcnt vmcnt(3)
	v_cvt_f32_f16_sdwa v59, v82 dst_sel:DWORD dst_unused:UNUSED_PAD src0_sel:WORD_1
	v_cvt_f32_f16_e32 v58, v82
	v_cvt_f32_f16_sdwa v35, v83 dst_sel:DWORD dst_unused:UNUSED_PAD src0_sel:WORD_1
	v_cvt_f32_f16_e32 v34, v83
	;; [unrolled: 2-line block ×4, first 2 shown]
	s_waitcnt vmcnt(2)
	v_cvt_f32_f16_sdwa v51, v86 dst_sel:DWORD dst_unused:UNUSED_PAD src0_sel:WORD_1
	v_cvt_f32_f16_e32 v50, v86
	v_cvt_f32_f16_sdwa v19, v87 dst_sel:DWORD dst_unused:UNUSED_PAD src0_sel:WORD_1
	v_cvt_f32_f16_e32 v18, v87
	;; [unrolled: 2-line block ×4, first 2 shown]
.LBB51_6:
	s_or_b64 exec, exec, s[2:3]
	s_cbranch_execz .LBB51_8
	s_branch .LBB51_11
.LBB51_7:
                                        ; implicit-def: $vgpr32_vgpr33_vgpr34_vgpr35_vgpr36_vgpr37_vgpr38_vgpr39_vgpr40_vgpr41_vgpr42_vgpr43_vgpr44_vgpr45_vgpr46_vgpr47
                                        ; implicit-def: $vgpr18_vgpr19_vgpr20_vgpr21_vgpr22_vgpr23_vgpr24_vgpr25_vgpr26_vgpr27_vgpr28_vgpr29_vgpr30_vgpr31_vgpr32_vgpr33
                                        ; implicit-def: $vgpr36_vgpr37_vgpr38_vgpr39_vgpr40_vgpr41_vgpr42_vgpr43_vgpr44_vgpr45_vgpr46_vgpr47_vgpr48_vgpr49_vgpr50_vgpr51
                                        ; implicit-def: $vgpr91
                                        ; implicit-def: $vgpr58_vgpr59_vgpr60_vgpr61_vgpr62_vgpr63_vgpr64_vgpr65_vgpr66_vgpr67_vgpr68_vgpr69_vgpr70_vgpr71_vgpr72_vgpr73
                                        ; implicit-def: $vgpr8_vgpr9_vgpr10_vgpr11_vgpr12_vgpr13_vgpr14_vgpr15_vgpr16_vgpr17_vgpr18_vgpr19_vgpr20_vgpr21_vgpr22_vgpr23
                                        ; implicit-def: $vgpr42_vgpr43_vgpr44_vgpr45_vgpr46_vgpr47_vgpr48_vgpr49_vgpr50_vgpr51_vgpr52_vgpr53_vgpr54_vgpr55_vgpr56_vgpr57
                                        ; implicit-def: $vgpr2_vgpr3_vgpr4_vgpr5_vgpr6_vgpr7_vgpr8_vgpr9_vgpr10_vgpr11_vgpr12_vgpr13_vgpr14_vgpr15_vgpr16_vgpr17
.LBB51_8:
	v_mov_b32_e32 v91, 0
	v_mov_b32_e32 v90, 0
	;; [unrolled: 1-line block ×16, first 2 shown]
	s_and_saveexec_b64 s[2:3], s[0:1]
	s_cbranch_execz .LBB51_10
; %bb.9:
	s_load_dwordx2 s[28:29], s[4:5], 0x38
	s_mul_hi_i32 s37, s19, s6
	s_mul_i32 s36, s19, s6
	s_lshl_b64 s[36:37], s[36:37], 1
	s_mov_b32 s31, 0x20000
	s_waitcnt lgkmcnt(0)
	s_add_u32 s28, s28, s36
	s_addc_u32 s14, s29, s37
	s_and_b32 s29, s14, 0xffff
	v_lshlrev_b32_e32 v38, 1, v1
	s_movk_i32 s14, 0x400
	buffer_load_dwordx4 v[6:9], v38, s[28:31], s14 offen glc slc
	buffer_load_dwordx4 v[10:13], v38, s[28:31], 0 offen glc slc
	s_waitcnt vmcnt(5)
	v_cvt_f32_f16_sdwa v23, v84 dst_sel:DWORD dst_unused:UNUSED_PAD src0_sel:WORD_1
	v_cvt_f32_f16_e32 v22, v84
	v_cvt_f32_f16_sdwa v25, v85 dst_sel:DWORD dst_unused:UNUSED_PAD src0_sel:WORD_1
	v_cvt_f32_f16_e32 v24, v85
	;; [unrolled: 2-line block ×4, first 2 shown]
	s_load_dwordx2 s[28:29], s[4:5], 0x20
	s_waitcnt vmcnt(4)
	v_cvt_f32_f16_sdwa v3, v86 dst_sel:DWORD dst_unused:UNUSED_PAD src0_sel:WORD_1
	v_cvt_f32_f16_e32 v2, v86
	v_cvt_f32_f16_sdwa v5, v87 dst_sel:DWORD dst_unused:UNUSED_PAD src0_sel:WORD_1
	v_cvt_f32_f16_e32 v4, v87
	;; [unrolled: 2-line block ×4, first 2 shown]
	s_mul_hi_i32 s27, s26, s6
	s_mul_i32 s26, s26, s6
	s_lshl_b64 s[26:27], s[26:27], 1
	s_waitcnt lgkmcnt(0)
	s_add_u32 s28, s28, s26
	s_addc_u32 s17, s29, s27
	s_and_b32 s29, s17, 0xffff
	s_waitcnt vmcnt(1)
	v_cvt_f32_f16_e32 v26, v6
	v_cvt_f32_f16_sdwa v27, v6 dst_sel:DWORD dst_unused:UNUSED_PAD src0_sel:WORD_1
	v_cvt_f32_f16_e32 v28, v7
	v_cvt_f32_f16_sdwa v29, v7 dst_sel:DWORD dst_unused:UNUSED_PAD src0_sel:WORD_1
	;; [unrolled: 2-line block ×4, first 2 shown]
	s_waitcnt vmcnt(0)
	v_cvt_f32_f16_e32 v6, v12
	v_cvt_f32_f16_sdwa v7, v12 dst_sel:DWORD dst_unused:UNUSED_PAD src0_sel:WORD_1
	v_cvt_f32_f16_e32 v8, v13
	v_cvt_f32_f16_sdwa v9, v13 dst_sel:DWORD dst_unused:UNUSED_PAD src0_sel:WORD_1
	;; [unrolled: 2-line block ×4, first 2 shown]
	v_pk_add_f32 v[40:41], v[22:23], v[6:7]
	v_pk_add_f32 v[24:25], v[24:25], v[8:9]
	v_cvt_f16_f32_e32 v6, v41
	v_cvt_f16_f32_e32 v7, v25
	;; [unrolled: 1-line block ×4, first 2 shown]
	v_pk_add_f32 v[34:35], v[20:21], v[10:11]
	v_pk_add_f32 v[58:59], v[18:19], v[36:37]
	v_pack_b32_f16 v9, v8, v7
	v_pack_b32_f16 v8, v12, v6
	v_cvt_f16_f32_e32 v6, v35
	v_cvt_f16_f32_e32 v7, v34
	;; [unrolled: 1-line block ×3, first 2 shown]
	v_pk_add_f32 v[90:91], v[16:17], v[32:33]
	v_pk_add_f32 v[14:15], v[14:15], v[30:31]
	v_pack_b32_f16 v7, v7, v6
	v_cvt_f16_f32_e32 v6, v59
	v_pk_add_f32 v[18:19], v[4:5], v[28:29]
	v_pk_add_f32 v[50:51], v[2:3], v[26:27]
	v_cvt_f16_f32_e32 v4, v18
	v_pack_b32_f16 v6, v10, v6
	buffer_store_dwordx4 v[6:9], v38, s[28:31], 0 offen glc slc
	v_cvt_f16_f32_e32 v5, v19
	v_cvt_f16_f32_e32 v6, v14
	;; [unrolled: 1-line block ×7, first 2 shown]
	v_pack_b32_f16 v7, v7, v8
	v_pack_b32_f16 v6, v6, v9
	v_pack_b32_f16 v5, v4, v5
	v_pack_b32_f16 v4, v2, v3
	;;#ASMSTART
	s_nop 0
	;;#ASMEND
	buffer_store_dwordx4 v[4:7], v38, s[28:31], s14 offen glc slc
	;;#ASMSTART
	s_nop 0
	;;#ASMEND
.LBB51_10:
	s_or_b64 exec, exec, s[2:3]
.LBB51_11:
	v_mul_f32_e32 v2, v59, v59
	v_fmac_f32_e32 v2, v58, v58
	v_fmac_f32_e32 v2, v34, v34
	;; [unrolled: 1-line block ×15, first 2 shown]
	s_nop 1
	v_mov_b32_dpp v3, v2 quad_perm:[1,0,3,2] row_mask:0xf bank_mask:0xf
	v_add_f32_e32 v2, v2, v3
	s_nop 1
	v_mov_b32_dpp v3, v2 quad_perm:[2,3,0,1] row_mask:0xf bank_mask:0xf
	v_add_f32_e32 v2, v2, v3
	s_nop 1
	v_mov_b32_dpp v3, v2 row_half_mirror row_mask:0xf bank_mask:0xf
	v_add_f32_e32 v2, v2, v3
	s_nop 1
	v_mov_b32_dpp v3, v2 row_mirror row_mask:0xf bank_mask:0xf
	v_add_f32_e32 v2, v2, v3
	s_nop 1
	v_mov_b32_dpp v3, v2 row_bcast:15 row_mask:0xf bank_mask:0xf
	v_add_f32_e32 v2, v2, v3
	v_and_b32_e32 v3, 63, v0
	v_cmp_eq_u32_e64 s[2:3], 63, v3
	s_nop 0
	v_mov_b32_dpp v3, v2 row_bcast:31 row_mask:0xf bank_mask:0xf
	s_waitcnt lgkmcnt(0)
	s_and_saveexec_b64 s[26:27], s[2:3]
	s_cbranch_execz .LBB51_13
; %bb.12:
	v_add_f32_e32 v2, v2, v3
	v_lshrrev_b32_e32 v3, 4, v0
	v_and_b32_e32 v3, 60, v3
	ds_write_b32 v3, v2 offset:32
.LBB51_13:
	s_or_b64 exec, exec, s[26:27]
	v_and_b32_e32 v2, 3, v0
	v_lshlrev_b32_e32 v36, 2, v2
	s_waitcnt lgkmcnt(0)
	s_barrier
	ds_read_b32 v2, v36 offset:32
	s_load_dwordx2 s[26:27], s[4:5], 0x18
	s_waitcnt lgkmcnt(0)
	v_mov_b32_dpp v3, v2 quad_perm:[1,0,3,2] row_mask:0xf bank_mask:0xf
	v_add_f32_e32 v2, v2, v3
	s_nop 1
	v_mov_b32_dpp v3, v2 quad_perm:[2,3,0,1] row_mask:0xf bank_mask:0xf
	s_and_saveexec_b64 s[28:29], s[0:1]
	s_cbranch_execnz .LBB51_18
; %bb.14:
	s_or_b64 exec, exec, s[28:29]
	s_mov_b64 s[8:9], -1
	s_and_b64 vcc, exec, s[22:23]
	s_cbranch_vccnz .LBB51_19
.LBB51_15:
	s_andn2_b64 vcc, exec, s[8:9]
	s_cbranch_vccz .LBB51_22
.LBB51_16:
	s_cmp_lt_i32 s16, 1
	s_cbranch_scc0 .LBB51_33
.LBB51_17:
	s_endpgm
.LBB51_18:
	v_add_f32_e32 v2, v2, v3
	v_cvt_f32_u32_e32 v3, s7
	s_mov_b32 s7, 0x800000
	s_waitcnt vmcnt(1)
	v_cvt_f32_f16_sdwa v21, v79 dst_sel:DWORD dst_unused:UNUSED_PAD src0_sel:WORD_1
	v_cvt_f32_f16_e32 v20, v79
	v_div_scale_f32 v4, s[36:37], v3, v3, v2
	v_rcp_f32_e32 v5, v4
	s_waitcnt vmcnt(0)
	v_cvt_f32_f16_sdwa v23, v76 dst_sel:DWORD dst_unused:UNUSED_PAD src0_sel:WORD_1
	v_cvt_f32_f16_e32 v22, v76
	v_cvt_f32_f16_sdwa v27, v77 dst_sel:DWORD dst_unused:UNUSED_PAD src0_sel:WORD_1
	v_fma_f32 v6, -v4, v5, 1.0
	v_fmac_f32_e32 v5, v6, v5
	v_div_scale_f32 v6, vcc, v2, v3, v2
	v_mul_f32_e32 v7, v6, v5
	v_fma_f32 v8, -v4, v7, v6
	v_fmac_f32_e32 v7, v8, v5
	v_fma_f32 v4, -v4, v7, v6
	v_div_fmas_f32 v4, v4, v5, v7
	v_div_fixup_f32 v2, v4, v3, v2
	v_mov_b32_e32 v3, s13
	v_mov_b32_e32 v4, s12
	v_cndmask_b32_e64 v3, v3, v4, s[8:9]
	v_add_f32_e32 v2, v3, v2
	v_mul_f32_e32 v3, 0x4b800000, v2
	v_cmp_gt_f32_e32 vcc, s7, v2
	v_cndmask_b32_e32 v2, v2, v3, vcc
	v_rsq_f32_e32 v2, v2
	v_cvt_f32_f16_e32 v26, v77
	v_mul_f32_e32 v3, 0x45800000, v2
	v_cndmask_b32_e32 v2, v2, v3, vcc
	v_mov_b32_e32 v3, v2
	;;#ASMSTART
	v_pk_mul_f32 v[4:5], v[58:59], v[2:3]
	;;#ASMEND
	;;#ASMSTART
	v_pk_mul_f32 v[6:7], v[34:35], v[2:3]
	;;#ASMEND
	;; [unrolled: 3-line block ×6, first 2 shown]
	v_cvt_f32_f16_sdwa v19, v78 dst_sel:DWORD dst_unused:UNUSED_PAD src0_sel:WORD_1
	v_cvt_f32_f16_e32 v18, v78
	;;#ASMSTART
	v_pk_mul_f32 v[14:15], v[14:15], v[2:3]
	;;#ASMEND
	;;#ASMSTART
	v_pk_mul_f32 v[2:3], v[90:91], v[2:3]
	;;#ASMEND
	;; [unrolled: 3-line block ×3, first 2 shown]
	v_cvt_f32_f16_sdwa v19, v74 dst_sel:DWORD dst_unused:UNUSED_PAD src0_sel:WORD_1
	v_cvt_f32_f16_e32 v18, v74
	;;#ASMSTART
	v_pk_mul_f32 v[34:35], v[6:7], v[20:21]
	;;#ASMEND
	v_cvt_f32_f16_sdwa v5, v80 dst_sel:DWORD dst_unused:UNUSED_PAD src0_sel:WORD_1
	v_cvt_f32_f16_e32 v4, v80
	v_cvt_f32_f16_sdwa v7, v81 dst_sel:DWORD dst_unused:UNUSED_PAD src0_sel:WORD_1
	v_cvt_f32_f16_e32 v6, v81
	;; [unrolled: 2-line block ×3, first 2 shown]
	;;#ASMSTART
	v_pk_mul_f32 v[40:41], v[8:9], v[4:5]
	;;#ASMEND
	;;#ASMSTART
	v_pk_mul_f32 v[24:25], v[10:11], v[6:7]
	;;#ASMEND
	;; [unrolled: 3-line block ×6, first 2 shown]
	s_or_b64 exec, exec, s[28:29]
	s_mov_b64 s[8:9], -1
	s_and_b64 vcc, exec, s[22:23]
	s_cbranch_vccz .LBB51_15
.LBB51_19:
	s_and_saveexec_b64 s[8:9], s[0:1]
	s_cbranch_execz .LBB51_21
; %bb.20:
	v_cvt_f16_f32_e32 v2, v40
	v_cvt_f16_f32_e32 v3, v24
	;; [unrolled: 1-line block ×4, first 2 shown]
	s_mul_hi_i32 s23, s25, s6
	s_mul_i32 s22, s25, s6
	v_pack_b32_f16 v5, v3, v4
	v_pack_b32_f16 v4, v2, v6
	v_cvt_f16_f32_e32 v2, v34
	v_cvt_f16_f32_e32 v3, v35
	;; [unrolled: 1-line block ×3, first 2 shown]
	s_lshl_b64 s[22:23], s[22:23], 1
	s_add_u32 s28, s26, s22
	v_pack_b32_f16 v3, v2, v3
	v_cvt_f16_f32_e32 v2, v58
	s_addc_u32 s7, s27, s23
	s_and_b32 s29, s7, 0xffff
	s_mov_b32 s31, 0x20000
	v_pack_b32_f16 v2, v2, v6
	v_lshlrev_b32_e32 v6, 1, v1
	buffer_store_dwordx4 v[2:5], v6, s[28:31], 0 offen
	v_cvt_f16_f32_e32 v7, v15
	v_cvt_f16_f32_e32 v2, v14
	v_cvt_f16_f32_e32 v3, v90
	v_cvt_f16_f32_e32 v4, v91
	s_movk_i32 s7, 0x400
	;;#ASMSTART
	s_nop 0
	;;#ASMEND
	v_pack_b32_f16 v5, v3, v4
	v_pack_b32_f16 v4, v2, v7
	v_cvt_f16_f32_e32 v2, v18
	v_cvt_f16_f32_e32 v3, v19
	v_cvt_f16_f32_e32 v7, v51
	v_pack_b32_f16 v3, v2, v3
	v_cvt_f16_f32_e32 v2, v50
	v_pack_b32_f16 v2, v2, v7
	buffer_store_dwordx4 v[2:5], v6, s[28:31], s7 offen
	;;#ASMSTART
	s_nop 0
	;;#ASMEND
.LBB51_21:
	s_or_b64 exec, exec, s[8:9]
	s_cbranch_execnz .LBB51_16
.LBB51_22:
	v_mov_b32_e32 v2, 0
	s_and_saveexec_b64 s[8:9], s[0:1]
	s_cbranch_execz .LBB51_24
; %bb.23:
	v_cvt_f16_f32_e32 v2, v40
	v_cvt_f16_f32_e32 v3, v24
	;; [unrolled: 1-line block ×4, first 2 shown]
	s_load_dwordx2 s[22:23], s[4:5], 0x10
	s_mul_hi_i32 s29, s24, s6
	v_pack_b32_f16 v5, v3, v4
	v_pack_b32_f16 v4, v2, v6
	v_cvt_f16_f32_e32 v2, v34
	v_cvt_f16_f32_e32 v3, v35
	;; [unrolled: 1-line block ×3, first 2 shown]
	s_mul_i32 s28, s24, s6
	s_lshl_b64 s[28:29], s[28:29], 1
	v_pack_b32_f16 v3, v2, v3
	v_cvt_f16_f32_e32 v2, v58
	s_waitcnt lgkmcnt(0)
	s_add_u32 s28, s22, s28
	s_addc_u32 s7, s23, s29
	s_and_b32 s29, s7, 0xffff
	v_pack_b32_f16 v2, v2, v6
	s_mov_b32 s31, 0x20000
	v_lshlrev_b32_e32 v6, 1, v1
	buffer_store_dwordx4 v[2:5], v6, s[28:31], 0 offen
	v_cvt_f16_f32_e32 v7, v15
	v_cvt_f16_f32_e32 v2, v14
	;; [unrolled: 1-line block ×4, first 2 shown]
	s_movk_i32 s7, 0x400
	;;#ASMSTART
	s_nop 0
	;;#ASMEND
	v_pack_b32_f16 v5, v3, v4
	v_pack_b32_f16 v4, v2, v7
	v_cvt_f16_f32_e32 v2, v18
	v_cvt_f16_f32_e32 v3, v19
	;; [unrolled: 1-line block ×3, first 2 shown]
	v_pack_b32_f16 v3, v2, v3
	v_cvt_f16_f32_e32 v2, v50
	v_pack_b32_f16 v2, v2, v7
	buffer_store_dwordx4 v[2:5], v6, s[28:31], s7 offen
	v_mov_b32_e32 v2, 0x2edbe6ff
	;;#ASMSTART
	s_nop 0
	;;#ASMEND
.LBB51_24:
	s_or_b64 exec, exec, s[8:9]
	s_and_saveexec_b64 s[8:9], s[0:1]
	s_cbranch_execz .LBB51_26
; %bb.25:
	v_and_b32_e32 v3, 0x7fffffff, v58
	v_and_b32_e32 v4, 0x7fffffff, v59
	;;#ASMSTART
	v_max3_f32 v2, v2, v3, v4

	;;#ASMEND
	v_and_b32_e32 v3, 0x7fffffff, v34
	v_and_b32_e32 v4, 0x7fffffff, v35
	;;#ASMSTART
	v_max3_f32 v2, v2, v3, v4

	;;#ASMEND
	v_and_b32_e32 v3, 0x7fffffff, v40
	v_and_b32_e32 v4, 0x7fffffff, v41
	;;#ASMSTART
	v_max3_f32 v2, v2, v3, v4

	;;#ASMEND
	v_and_b32_e32 v3, 0x7fffffff, v24
	v_and_b32_e32 v4, 0x7fffffff, v25
	;;#ASMSTART
	v_max3_f32 v2, v2, v3, v4

	;;#ASMEND
	v_and_b32_e32 v3, 0x7fffffff, v50
	v_and_b32_e32 v4, 0x7fffffff, v51
	;;#ASMSTART
	v_max3_f32 v2, v2, v3, v4

	;;#ASMEND
	v_and_b32_e32 v3, 0x7fffffff, v18
	v_and_b32_e32 v4, 0x7fffffff, v19
	;;#ASMSTART
	v_max3_f32 v2, v2, v3, v4

	;;#ASMEND
	v_and_b32_e32 v3, 0x7fffffff, v14
	v_and_b32_e32 v4, 0x7fffffff, v15
	;;#ASMSTART
	v_max3_f32 v2, v2, v3, v4

	;;#ASMEND
	v_and_b32_e32 v3, 0x7fffffff, v90
	v_and_b32_e32 v4, 0x7fffffff, v91
	;;#ASMSTART
	v_max3_f32 v2, v2, v3, v4

	;;#ASMEND
.LBB51_26:
	s_or_b64 exec, exec, s[8:9]
	s_nop 0
	v_mov_b32_dpp v3, v2 quad_perm:[1,0,3,2] row_mask:0xf bank_mask:0xf
	v_cmp_gt_f32_e32 vcc, v2, v3
	v_cndmask_b32_e32 v2, v3, v2, vcc
	s_nop 1
	v_mov_b32_dpp v3, v2 quad_perm:[2,3,0,1] row_mask:0xf bank_mask:0xf
	v_cmp_gt_f32_e32 vcc, v2, v3
	v_cndmask_b32_e32 v2, v3, v2, vcc
	s_nop 1
	v_mov_b32_dpp v3, v2 row_half_mirror row_mask:0xf bank_mask:0xf
	v_cmp_gt_f32_e32 vcc, v2, v3
	v_cndmask_b32_e32 v2, v3, v2, vcc
	s_nop 1
	v_mov_b32_dpp v3, v2 row_mirror row_mask:0xf bank_mask:0xf
	v_cmp_gt_f32_e32 vcc, v2, v3
	v_cndmask_b32_e32 v2, v3, v2, vcc
	s_nop 1
	v_mov_b32_dpp v3, v2 row_bcast:15 row_mask:0xf bank_mask:0xf
	v_cmp_gt_f32_e32 vcc, v2, v3
	v_cndmask_b32_e32 v2, v3, v2, vcc
	s_nop 1
	v_mov_b32_dpp v3, v2 row_bcast:31 row_mask:0xf bank_mask:0xf
	s_and_saveexec_b64 s[8:9], s[2:3]
	s_cbranch_execz .LBB51_28
; %bb.27:
	v_cmp_gt_f32_e32 vcc, v2, v3
	v_cndmask_b32_e32 v2, v3, v2, vcc
	v_lshrrev_b32_e32 v3, 4, v0
	v_and_b32_e32 v3, 60, v3
	ds_write_b32 v3, v2
.LBB51_28:
	s_or_b64 exec, exec, s[8:9]
	s_waitcnt lgkmcnt(0)
	s_barrier
	ds_read_b32 v2, v36
	s_waitcnt lgkmcnt(0)
	s_nop 0
	v_mov_b32_dpp v3, v2 quad_perm:[1,0,3,2] row_mask:0xf bank_mask:0xf
	v_cmp_gt_f32_e32 vcc, v2, v3
	v_cndmask_b32_e32 v2, v3, v2, vcc
	s_nop 1
	v_mov_b32_dpp v3, v2 quad_perm:[2,3,0,1] row_mask:0xf bank_mask:0xf
	v_cmp_gt_f32_e32 vcc, v2, v3
	v_cndmask_b32_e32 v2, v3, v2, vcc
	v_mul_f32_e32 v2, 0x3b124925, v2
	v_cmp_eq_u32_e32 vcc, 0, v0
	s_and_saveexec_b64 s[8:9], vcc
	s_cbranch_execz .LBB51_30
; %bb.29:
	s_load_dwordx2 s[22:23], s[4:5], 0x8
	s_mul_hi_i32 s29, s11, s6
	s_mul_i32 s28, s11, s6
	s_lshl_b64 s[28:29], s[28:29], 2
	v_mov_b32_e32 v3, 0
	s_waitcnt lgkmcnt(0)
	s_add_u32 s22, s22, s28
	s_addc_u32 s23, s23, s29
	global_store_dword v3, v2, s[22:23]
.LBB51_30:
	s_or_b64 exec, exec, s[8:9]
	;;#ASMSTART
	v_rcp_f32 v2, v2
	;;#ASMEND
	s_and_saveexec_b64 s[22:23], s[0:1]
	s_cbranch_execz .LBB51_32
; %bb.31:
	s_load_dwordx2 s[0:1], s[4:5], 0x0
	v_mov_b32_e32 v3, v2
	;;#ASMSTART
	v_pk_mul_f32 v[4:5], v[58:59], v[2:3]
	;;#ASMEND
	v_mov_b32_e32 v8, 0xc3e00000
	v_mov_b32_e32 v9, 0x43e00000
	;;#ASMSTART
	v_med3_f32 v4, v4, v8, v9
v_med3_f32 v5, v5, v8, v9
v_cvt_pk_fp8_f32 v6, v4, v5
	;;#ASMEND
	;;#ASMSTART
	v_pk_mul_f32 v[4:5], v[34:35], v[2:3]
	;;#ASMEND
	;;#ASMSTART
	v_med3_f32 v4, v4, v8, v9
v_med3_f32 v5, v5, v8, v9
v_cvt_pk_fp8_f32 v7, v4, v5
	;;#ASMEND
	s_mul_i32 s8, s10, s6
	;;#ASMSTART
	v_pk_mul_f32 v[4:5], v[40:41], v[2:3]
	;;#ASMEND
	s_mul_hi_i32 s7, s10, s6
	s_waitcnt lgkmcnt(0)
	s_add_u32 s8, s0, s8
	;;#ASMSTART
	v_med3_f32 v4, v4, v8, v9
v_med3_f32 v5, v5, v8, v9
v_cvt_pk_fp8_f32 v10, v4, v5
	;;#ASMEND
	s_addc_u32 s0, s1, s7
	s_add_i32 s1, s15, 3
	;;#ASMSTART
	v_pk_mul_f32 v[4:5], v[24:25], v[2:3]
	;;#ASMEND
	s_ashr_i32 s7, s1, 31
	;;#ASMSTART
	v_med3_f32 v4, v4, v8, v9
v_med3_f32 v5, v5, v8, v9
v_cvt_pk_fp8_f32 v11, v4, v5
	;;#ASMEND
	s_lshr_b32 s7, s7, 30
	s_and_b32 s9, s0, 0xffff
	s_mov_b32 s0, 0x5040100
	s_add_i32 s1, s1, s7
	v_perm_b32 v5, v7, v6, s0
	s_movk_i32 s7, 0xff
	v_and_b32_e32 v4, 0xffffff00, v7
	v_and_b32_sdwa v6, v5, s7 dst_sel:DWORD dst_unused:UNUSED_PAD src0_sel:WORD_1 src1_sel:DWORD
	s_and_b32 s10, s1, -4
	s_mov_b32 s1, 0xffff
	v_or_b32_sdwa v4, v6, v4 dst_sel:WORD_1 dst_unused:UNUSED_PAD src0_sel:DWORD src1_sel:DWORD
	v_and_or_b32 v4, v5, s1, v4
	v_lshlrev_b32_e32 v5, 16, v11
	s_mov_b32 s11, 0x20000
	v_and_or_b32 v5, v10, s1, v5
	buffer_store_dwordx2 v[4:5], v1, s[8:11], 0 offen
	;;#ASMSTART
	s_nop 0
	;;#ASMEND
	;;#ASMSTART
	v_pk_mul_f32 v[4:5], v[50:51], v[2:3]
	;;#ASMEND
	;;#ASMSTART
	v_med3_f32 v4, v4, v8, v9
v_med3_f32 v5, v5, v8, v9
v_cvt_pk_fp8_f32 v6, v4, v5
	;;#ASMEND
	;;#ASMSTART
	v_pk_mul_f32 v[4:5], v[18:19], v[2:3]
	;;#ASMEND
	;;#ASMSTART
	v_med3_f32 v4, v4, v8, v9
v_med3_f32 v5, v5, v8, v9
v_cvt_pk_fp8_f32 v7, v4, v5
	;;#ASMEND
	v_perm_b32 v5, v7, v6, s0
	v_and_b32_e32 v4, 0xffffff00, v7
	v_and_b32_sdwa v6, v5, s7 dst_sel:DWORD dst_unused:UNUSED_PAD src0_sel:WORD_1 src1_sel:DWORD
	v_or_b32_sdwa v4, v6, v4 dst_sel:WORD_1 dst_unused:UNUSED_PAD src0_sel:DWORD src1_sel:DWORD
	v_and_or_b32 v4, v5, s1, v4
	;;#ASMSTART
	v_pk_mul_f32 v[6:7], v[14:15], v[2:3]
	;;#ASMEND
	v_mov_b32_e32 v5, v7
	;;#ASMSTART
	v_med3_f32 v6, v6, v8, v9
v_med3_f32 v5, v5, v8, v9
v_cvt_pk_fp8_f32 v7, v6, v5
	;;#ASMEND
	;;#ASMSTART
	v_pk_mul_f32 v[2:3], v[90:91], v[2:3]
	;;#ASMEND
	;;#ASMSTART
	v_med3_f32 v2, v2, v8, v9
v_med3_f32 v3, v3, v8, v9
v_cvt_pk_fp8_f32 v5, v2, v3
	;;#ASMEND
	v_lshlrev_b32_e32 v2, 16, v5
	v_and_or_b32 v5, v7, s1, v2
	s_movk_i32 s0, 0x200
	buffer_store_dwordx2 v[4:5], v1, s[8:11], s0 offen
	;;#ASMSTART
	s_nop 0
	;;#ASMEND
.LBB51_32:
	s_or_b64 exec, exec, s[22:23]
	s_cmp_lt_i32 s16, 1
	s_cbranch_scc1 .LBB51_17
.LBB51_33:
	s_load_dword s0, s[4:5], 0x94
	s_waitcnt lgkmcnt(0)
	s_cmp_lg_u32 s0, 1
	s_cbranch_scc1 .LBB51_17
; %bb.34:
	s_lshl_b32 s0, s16, 1
	s_add_i32 s0, s0, 2
	v_cmp_gt_u32_e32 vcc, s16, v1
	s_and_b32 s22, s0, -4
	v_mov_b32_e32 v18, 0
	v_lshlrev_b32_e32 v1, 1, v1
	v_mov_b32_e32 v14, 0
	v_mov_b32_e32 v15, 0
	v_mov_b32_e32 v16, 0
	v_mov_b32_e32 v17, 0
	v_mov_b32_e32 v10, 0
	v_mov_b32_e32 v11, 0
	v_mov_b32_e32 v12, 0
	v_mov_b32_e32 v13, 0
	v_mov_b32_e32 v6, 0
	v_mov_b32_e32 v7, 0
	v_mov_b32_e32 v8, 0
	v_mov_b32_e32 v9, 0
	v_mov_b32_e32 v2, 0
	v_mov_b32_e32 v3, 0
	v_mov_b32_e32 v4, 0
	v_mov_b32_e32 v5, 0
	s_barrier
	s_and_saveexec_b64 s[0:1], vcc
	s_cbranch_execz .LBB51_36
; %bb.35:
	s_mul_hi_i32 s5, s18, s6
	s_mul_i32 s4, s18, s6
	s_and_b32 s21, s21, 0xffff
	s_lshl_b64 s[4:5], s[4:5], 1
	s_add_u32 s8, s34, s4
	s_mov_b32 s23, 0x20000
	s_addc_u32 s4, s35, s5
	s_and_b32 s9, s4, 0xffff
	s_mov_b32 s10, s22
	s_mov_b32 s11, s23
	s_movk_i32 s4, 0x400
	buffer_load_dwordx4 v[14:17], v1, s[8:11], 0 offen glc slc
	buffer_load_dwordx4 v[10:13], v1, s[8:11], s4 offen glc slc
	buffer_load_dwordx4 v[6:9], v1, s[20:23], 0 offen
	buffer_load_dwordx4 v[2:5], v1, s[20:23], s4 offen
.LBB51_36:
	s_or_b64 exec, exec, s[0:1]
	v_mov_b32_e32 v19, 0
	v_mov_b32_e32 v32, 0
	;; [unrolled: 1-line block ×15, first 2 shown]
	s_and_saveexec_b64 s[0:1], vcc
	s_cbranch_execz .LBB51_38
; %bb.37:
	s_waitcnt vmcnt(3)
	v_cvt_f32_f16_sdwa v19, v14 dst_sel:DWORD dst_unused:UNUSED_PAD src0_sel:WORD_1
	v_cvt_f32_f16_e32 v18, v14
	v_cvt_f32_f16_sdwa v33, v15 dst_sel:DWORD dst_unused:UNUSED_PAD src0_sel:WORD_1
	v_cvt_f32_f16_e32 v32, v15
	;; [unrolled: 2-line block ×4, first 2 shown]
	s_waitcnt vmcnt(2)
	v_cvt_f32_f16_sdwa v27, v10 dst_sel:DWORD dst_unused:UNUSED_PAD src0_sel:WORD_1
	v_cvt_f32_f16_e32 v26, v10
	v_cvt_f32_f16_sdwa v25, v11 dst_sel:DWORD dst_unused:UNUSED_PAD src0_sel:WORD_1
	v_cvt_f32_f16_e32 v24, v11
	;; [unrolled: 2-line block ×4, first 2 shown]
.LBB51_38:
	s_or_b64 exec, exec, s[0:1]
	s_waitcnt vmcnt(2)
	v_mul_f32_e32 v10, v19, v19
	v_fmac_f32_e32 v10, v18, v18
	v_fmac_f32_e32 v10, v32, v32
	;; [unrolled: 1-line block ×15, first 2 shown]
	s_nop 1
	v_mov_b32_dpp v11, v10 quad_perm:[1,0,3,2] row_mask:0xf bank_mask:0xf
	v_add_f32_e32 v10, v10, v11
	s_nop 1
	v_mov_b32_dpp v11, v10 quad_perm:[2,3,0,1] row_mask:0xf bank_mask:0xf
	v_add_f32_e32 v10, v10, v11
	s_nop 1
	v_mov_b32_dpp v11, v10 row_half_mirror row_mask:0xf bank_mask:0xf
	v_add_f32_e32 v10, v10, v11
	s_nop 1
	v_mov_b32_dpp v11, v10 row_mirror row_mask:0xf bank_mask:0xf
	v_add_f32_e32 v10, v10, v11
	s_nop 1
	v_mov_b32_dpp v11, v10 row_bcast:15 row_mask:0xf bank_mask:0xf
	v_add_f32_e32 v10, v10, v11
	s_nop 1
	v_mov_b32_dpp v11, v10 row_bcast:31 row_mask:0xf bank_mask:0xf
	s_and_saveexec_b64 s[0:1], s[2:3]
	s_cbranch_execz .LBB51_40
; %bb.39:
	v_lshrrev_b32_e32 v0, 4, v0
	v_add_f32_e32 v10, v10, v11
	v_and_b32_e32 v0, 60, v0
	ds_write_b32 v0, v10 offset:16
.LBB51_40:
	s_or_b64 exec, exec, s[0:1]
	s_waitcnt lgkmcnt(0)
	s_barrier
	ds_read_b32 v0, v36 offset:16
	s_waitcnt lgkmcnt(0)
	s_nop 0
	v_mov_b32_dpp v10, v0 quad_perm:[1,0,3,2] row_mask:0xf bank_mask:0xf
	v_add_f32_e32 v0, v0, v10
	s_nop 1
	v_mov_b32_dpp v10, v0 quad_perm:[2,3,0,1] row_mask:0xf bank_mask:0xf
	s_and_saveexec_b64 s[0:1], vcc
	s_cbranch_execz .LBB51_17
; %bb.41:
	v_cvt_f32_u32_e32 v11, s16
	v_add_f32_e32 v0, v0, v10
	s_mov_b32 s23, 0x20000
	v_div_scale_f32 v10, s[0:1], v11, v11, v0
	v_rcp_f32_e32 v12, v10
	v_div_scale_f32 v13, vcc, v0, v11, v0
	s_mov_b32 s0, 0x800000
	v_fma_f32 v14, -v10, v12, 1.0
	v_fmac_f32_e32 v12, v14, v12
	v_mul_f32_e32 v14, v13, v12
	v_fma_f32 v15, -v10, v14, v13
	v_fmac_f32_e32 v14, v15, v12
	v_fma_f32 v10, -v10, v14, v13
	v_div_fmas_f32 v10, v10, v12, v14
	v_div_fixup_f32 v0, v10, v11, v0
	v_add_f32_e32 v0, s13, v0
	v_mul_f32_e32 v10, 0x4b800000, v0
	v_cmp_gt_f32_e32 vcc, s0, v0
	v_cndmask_b32_e32 v0, v0, v10, vcc
	v_rsq_f32_e32 v0, v0
	s_mul_hi_i32 s1, s25, s6
	s_mul_i32 s0, s25, s6
	s_lshl_b64 s[0:1], s[0:1], 1
	v_mul_f32_e32 v10, 0x45800000, v0
	v_cndmask_b32_e32 v10, v0, v10, vcc
	v_mov_b32_e32 v11, v10
	;;#ASMSTART
	v_pk_mul_f32 v[12:13], v[18:19], v[10:11]
	;;#ASMEND
	;;#ASMSTART
	v_pk_mul_f32 v[14:15], v[32:33], v[10:11]
	;;#ASMEND
	;; [unrolled: 3-line block ×8, first 2 shown]
	s_waitcnt vmcnt(1)
	v_cvt_f32_f16_sdwa v21, v6 dst_sel:DWORD dst_unused:UNUSED_PAD src0_sel:WORD_1
	v_cvt_f32_f16_e32 v20, v6
	v_cvt_f32_f16_sdwa v29, v7 dst_sel:DWORD dst_unused:UNUSED_PAD src0_sel:WORD_1
	v_cvt_f32_f16_e32 v28, v7
	;; [unrolled: 2-line block ×4, first 2 shown]
	;;#ASMSTART
	v_pk_mul_f32 v[8:9], v[12:13], v[20:21]
	;;#ASMEND
	;;#ASMSTART
	v_pk_mul_f32 v[12:13], v[14:15], v[28:29]
	;;#ASMEND
	;; [unrolled: 3-line block ×4, first 2 shown]
	s_waitcnt vmcnt(0)
	v_cvt_f32_f16_sdwa v17, v2 dst_sel:DWORD dst_unused:UNUSED_PAD src0_sel:WORD_1
	v_cvt_f32_f16_e32 v16, v2
	v_cvt_f32_f16_sdwa v19, v3 dst_sel:DWORD dst_unused:UNUSED_PAD src0_sel:WORD_1
	v_cvt_f32_f16_e32 v18, v3
	;; [unrolled: 2-line block ×4, first 2 shown]
	;;#ASMSTART
	v_pk_mul_f32 v[16:17], v[26:27], v[16:17]
	;;#ASMEND
	;;#ASMSTART
	v_pk_mul_f32 v[18:19], v[24:25], v[18:19]
	;;#ASMEND
	;; [unrolled: 3-line block ×3, first 2 shown]
	v_cvt_f16_f32_e32 v0, v8
	v_cvt_f16_f32_e32 v2, v9
	;; [unrolled: 1-line block ×8, first 2 shown]
	s_add_u32 s20, s26, s0
	s_addc_u32 s0, s27, s1
	s_and_b32 s21, s0, 0xffff
	v_pack_b32_f16 v2, v0, v2
	v_pack_b32_f16 v3, v3, v4
	;; [unrolled: 1-line block ×4, first 2 shown]
	;;#ASMSTART
	v_pk_mul_f32 v[10:11], v[10:11], v[20:21]
	;;#ASMEND
	buffer_store_dwordx4 v[2:5], v1, s[20:23], 0 offen
	v_cvt_f16_f32_e32 v0, v16
	v_cvt_f16_f32_e32 v2, v17
	;; [unrolled: 1-line block ×8, first 2 shown]
	v_pack_b32_f16 v2, v0, v2
	v_pack_b32_f16 v3, v3, v4
	;; [unrolled: 1-line block ×4, first 2 shown]
	s_movk_i32 s0, 0x400
	;;#ASMSTART
	s_nop 0
	;;#ASMEND
	buffer_store_dwordx4 v[2:5], v1, s[20:23], s0 offen
	;;#ASMSTART
	s_nop 0
	;;#ASMEND
	s_endpgm
	.section	.rodata,"a",@progbits
	.p2align	6, 0x0
	.amdhsa_kernel _ZN5aiter35fused_qk_rmsnorm_group_quant_kernelIDF16_DB8_Li256ELi16ELi1ELb1ELb1ELb0ELb0ELb1ELb1EEEvPT0_PvPT_S6_S6_PKS5_S8_S8_S8_S8_ffiiiiiiiiiiiii
		.amdhsa_group_segment_fixed_size 48
		.amdhsa_private_segment_fixed_size 0
		.amdhsa_kernarg_size 400
		.amdhsa_user_sgpr_count 6
		.amdhsa_user_sgpr_private_segment_buffer 1
		.amdhsa_user_sgpr_dispatch_ptr 0
		.amdhsa_user_sgpr_queue_ptr 0
		.amdhsa_user_sgpr_kernarg_segment_ptr 1
		.amdhsa_user_sgpr_dispatch_id 0
		.amdhsa_user_sgpr_flat_scratch_init 0
		.amdhsa_user_sgpr_kernarg_preload_length 0
		.amdhsa_user_sgpr_kernarg_preload_offset 0
		.amdhsa_user_sgpr_private_segment_size 0
		.amdhsa_uses_dynamic_stack 0
		.amdhsa_system_sgpr_private_segment_wavefront_offset 0
		.amdhsa_system_sgpr_workgroup_id_x 1
		.amdhsa_system_sgpr_workgroup_id_y 1
		.amdhsa_system_sgpr_workgroup_id_z 0
		.amdhsa_system_sgpr_workgroup_info 0
		.amdhsa_system_vgpr_workitem_id 0
		.amdhsa_next_free_vgpr 92
		.amdhsa_next_free_sgpr 38
		.amdhsa_accum_offset 92
		.amdhsa_reserve_vcc 1
		.amdhsa_reserve_flat_scratch 0
		.amdhsa_float_round_mode_32 0
		.amdhsa_float_round_mode_16_64 0
		.amdhsa_float_denorm_mode_32 3
		.amdhsa_float_denorm_mode_16_64 3
		.amdhsa_dx10_clamp 1
		.amdhsa_ieee_mode 1
		.amdhsa_fp16_overflow 0
		.amdhsa_tg_split 0
		.amdhsa_exception_fp_ieee_invalid_op 0
		.amdhsa_exception_fp_denorm_src 0
		.amdhsa_exception_fp_ieee_div_zero 0
		.amdhsa_exception_fp_ieee_overflow 0
		.amdhsa_exception_fp_ieee_underflow 0
		.amdhsa_exception_fp_ieee_inexact 0
		.amdhsa_exception_int_div_zero 0
	.end_amdhsa_kernel
	.section	.text._ZN5aiter35fused_qk_rmsnorm_group_quant_kernelIDF16_DB8_Li256ELi16ELi1ELb1ELb1ELb0ELb0ELb1ELb1EEEvPT0_PvPT_S6_S6_PKS5_S8_S8_S8_S8_ffiiiiiiiiiiiii,"axG",@progbits,_ZN5aiter35fused_qk_rmsnorm_group_quant_kernelIDF16_DB8_Li256ELi16ELi1ELb1ELb1ELb0ELb0ELb1ELb1EEEvPT0_PvPT_S6_S6_PKS5_S8_S8_S8_S8_ffiiiiiiiiiiiii,comdat
.Lfunc_end51:
	.size	_ZN5aiter35fused_qk_rmsnorm_group_quant_kernelIDF16_DB8_Li256ELi16ELi1ELb1ELb1ELb0ELb0ELb1ELb1EEEvPT0_PvPT_S6_S6_PKS5_S8_S8_S8_S8_ffiiiiiiiiiiiii, .Lfunc_end51-_ZN5aiter35fused_qk_rmsnorm_group_quant_kernelIDF16_DB8_Li256ELi16ELi1ELb1ELb1ELb0ELb0ELb1ELb1EEEvPT0_PvPT_S6_S6_PKS5_S8_S8_S8_S8_ffiiiiiiiiiiiii
                                        ; -- End function
	.section	.AMDGPU.csdata,"",@progbits
; Kernel info:
; codeLenInByte = 4536
; NumSgprs: 42
; NumVgprs: 92
; NumAgprs: 0
; TotalNumVgprs: 92
; ScratchSize: 0
; MemoryBound: 0
; FloatMode: 240
; IeeeMode: 1
; LDSByteSize: 48 bytes/workgroup (compile time only)
; SGPRBlocks: 5
; VGPRBlocks: 11
; NumSGPRsForWavesPerEU: 42
; NumVGPRsForWavesPerEU: 92
; AccumOffset: 92
; Occupancy: 5
; WaveLimiterHint : 0
; COMPUTE_PGM_RSRC2:SCRATCH_EN: 0
; COMPUTE_PGM_RSRC2:USER_SGPR: 6
; COMPUTE_PGM_RSRC2:TRAP_HANDLER: 0
; COMPUTE_PGM_RSRC2:TGID_X_EN: 1
; COMPUTE_PGM_RSRC2:TGID_Y_EN: 1
; COMPUTE_PGM_RSRC2:TGID_Z_EN: 0
; COMPUTE_PGM_RSRC2:TIDIG_COMP_CNT: 0
; COMPUTE_PGM_RSRC3_GFX90A:ACCUM_OFFSET: 22
; COMPUTE_PGM_RSRC3_GFX90A:TG_SPLIT: 0
	.section	.text._ZN5aiter35fused_qk_rmsnorm_group_quant_kernelItDB8_Li256ELi16ELi1ELb1ELb1ELb0ELb0ELb1ELb1EEEvPT0_PvPT_S6_S6_PKS5_S8_S8_S8_S8_ffiiiiiiiiiiiii,"axG",@progbits,_ZN5aiter35fused_qk_rmsnorm_group_quant_kernelItDB8_Li256ELi16ELi1ELb1ELb1ELb0ELb0ELb1ELb1EEEvPT0_PvPT_S6_S6_PKS5_S8_S8_S8_S8_ffiiiiiiiiiiiii,comdat
	.protected	_ZN5aiter35fused_qk_rmsnorm_group_quant_kernelItDB8_Li256ELi16ELi1ELb1ELb1ELb0ELb0ELb1ELb1EEEvPT0_PvPT_S6_S6_PKS5_S8_S8_S8_S8_ffiiiiiiiiiiiii ; -- Begin function _ZN5aiter35fused_qk_rmsnorm_group_quant_kernelItDB8_Li256ELi16ELi1ELb1ELb1ELb0ELb0ELb1ELb1EEEvPT0_PvPT_S6_S6_PKS5_S8_S8_S8_S8_ffiiiiiiiiiiiii
	.globl	_ZN5aiter35fused_qk_rmsnorm_group_quant_kernelItDB8_Li256ELi16ELi1ELb1ELb1ELb0ELb0ELb1ELb1EEEvPT0_PvPT_S6_S6_PKS5_S8_S8_S8_S8_ffiiiiiiiiiiiii
	.p2align	8
	.type	_ZN5aiter35fused_qk_rmsnorm_group_quant_kernelItDB8_Li256ELi16ELi1ELb1ELb1ELb0ELb0ELb1ELb1EEEvPT0_PvPT_S6_S6_PKS5_S8_S8_S8_S8_ffiiiiiiiiiiiii,@function
_ZN5aiter35fused_qk_rmsnorm_group_quant_kernelItDB8_Li256ELi16ELi1ELb1ELb1ELb0ELb0ELb1ELb1EEEvPT0_PvPT_S6_S6_PKS5_S8_S8_S8_S8_ffiiiiiiiiiiiii: ; @_ZN5aiter35fused_qk_rmsnorm_group_quant_kernelItDB8_Li256ELi16ELi1ELb1ELb1ELb0ELb0ELb1ELb1EEEvPT0_PvPT_S6_S6_PKS5_S8_S8_S8_S8_ffiiiiiiiiiiiii
; %bb.0:
	s_load_dwordx8 s[12:19], s[4:5], 0x50
	s_waitcnt lgkmcnt(0)
	s_cmp_ge_i32 s6, s14
	s_cbranch_scc1 .LBB52_17
; %bb.1:
	s_cmp_lg_u32 s7, 0
	s_cselect_b64 s[22:23], -1, 0
	s_cmp_eq_u32 s7, 0
	s_cselect_b64 s[8:9], -1, 0
	s_and_b64 s[0:1], s[8:9], exec
	s_cselect_b32 s7, s15, s16
	s_add_i32 s0, s7, 1
	s_load_dwordx2 s[10:11], s[4:5], 0x70
	s_load_dwordx2 s[20:21], s[4:5], 0x48
	s_load_dwordx2 s[34:35], s[4:5], 0x30
	s_lshr_b32 s1, s0, 31
	s_add_i32 s0, s0, s1
	s_lshl_b32 s0, s0, 1
	v_lshlrev_b32_e32 v2, 4, v0
	s_and_b32 s30, s0, -4
	v_lshlrev_b32_e32 v1, 3, v0
	v_and_b32_e32 v2, 0x3c00, v2
	s_movk_i32 s0, 0x1f8
	v_and_or_b32 v1, v1, s0, v2
	v_cmp_gt_i32_e64 s[0:1], s7, v1
	v_mov_b32_e32 v80, 0
	v_mov_b32_e32 v81, 0
	;; [unrolled: 1-line block ×16, first 2 shown]
	s_and_saveexec_b64 s[2:3], s[0:1]
	s_cbranch_execz .LBB52_3
; %bb.2:
	s_load_dwordx2 s[24:25], s[4:5], 0x28
	s_load_dwordx2 s[26:27], s[4:5], 0x40
	s_and_b64 s[28:29], s[8:9], exec
	s_cselect_b32 s14, s17, s18
	s_mov_b32 s31, 0x20000
	s_waitcnt lgkmcnt(0)
	s_cselect_b32 s17, s25, s35
	s_cselect_b32 s28, s24, s34
	s_mul_hi_i32 s25, s14, s6
	s_mul_i32 s24, s14, s6
	s_lshl_b64 s[24:25], s[24:25], 1
	s_add_u32 s24, s28, s24
	s_addc_u32 s14, s17, s25
	s_and_b64 s[28:29], s[8:9], exec
	s_cselect_b32 s28, s26, s20
	s_cselect_b32 s17, s27, s21
	s_and_b32 s25, s14, 0xffff
	s_mov_b32 s26, s30
	s_mov_b32 s27, s31
	v_lshlrev_b32_e32 v2, 1, v1
	s_and_b32 s29, s17, 0xffff
	s_movk_i32 s14, 0x400
	buffer_load_dwordx4 v[84:87], v2, s[24:27], 0 offen glc slc
	buffer_load_dwordx4 v[88:91], v2, s[24:27], s14 offen glc slc
	buffer_load_dwordx4 v[80:83], v2, s[28:31], 0 offen
	buffer_load_dwordx4 v[76:79], v2, s[28:31], s14 offen
.LBB52_3:
	s_or_b64 exec, exec, s[2:3]
	s_load_dwordx4 s[24:27], s[4:5], 0x7c
	s_and_b64 vcc, exec, s[22:23]
	s_cbranch_vccz .LBB52_7
; %bb.4:
	v_mov_b32_e32 v93, 0
	v_mov_b32_e32 v92, 0
	;; [unrolled: 1-line block ×16, first 2 shown]
	s_and_saveexec_b64 s[2:3], s[0:1]
	s_cbranch_execz .LBB52_6
; %bb.5:
	s_waitcnt vmcnt(3)
	v_cvt_f32_u32_sdwa v60, v84 dst_sel:DWORD dst_unused:UNUSED_PAD src0_sel:WORD_0
	v_cvt_f32_u32_sdwa v61, v84 dst_sel:DWORD dst_unused:UNUSED_PAD src0_sel:WORD_1
	v_cvt_f32_u32_sdwa v42, v85 dst_sel:DWORD dst_unused:UNUSED_PAD src0_sel:WORD_0
	v_cvt_f32_u32_sdwa v43, v85 dst_sel:DWORD dst_unused:UNUSED_PAD src0_sel:WORD_1
	;; [unrolled: 2-line block ×4, first 2 shown]
	s_waitcnt vmcnt(2)
	v_cvt_f32_u32_sdwa v24, v88 dst_sel:DWORD dst_unused:UNUSED_PAD src0_sel:WORD_0
	v_cvt_f32_u32_sdwa v25, v88 dst_sel:DWORD dst_unused:UNUSED_PAD src0_sel:WORD_1
	v_cvt_f32_u32_sdwa v18, v89 dst_sel:DWORD dst_unused:UNUSED_PAD src0_sel:WORD_0
	v_cvt_f32_u32_sdwa v19, v89 dst_sel:DWORD dst_unused:UNUSED_PAD src0_sel:WORD_1
	;; [unrolled: 2-line block ×4, first 2 shown]
.LBB52_6:
	s_or_b64 exec, exec, s[2:3]
	s_cbranch_execz .LBB52_8
	s_branch .LBB52_11
.LBB52_7:
                                        ; implicit-def: $vgpr40_vgpr41_vgpr42_vgpr43_vgpr44_vgpr45_vgpr46_vgpr47_vgpr48_vgpr49_vgpr50_vgpr51_vgpr52_vgpr53_vgpr54_vgpr55
                                        ; implicit-def: $vgpr26_vgpr27_vgpr28_vgpr29_vgpr30_vgpr31_vgpr32_vgpr33_vgpr34_vgpr35_vgpr36_vgpr37_vgpr38_vgpr39_vgpr40_vgpr41
                                        ; implicit-def: $vgpr93
                                        ; implicit-def: $vgpr60_vgpr61_vgpr62_vgpr63_vgpr64_vgpr65_vgpr66_vgpr67_vgpr68_vgpr69_vgpr70_vgpr71_vgpr72_vgpr73_vgpr74_vgpr75
                                        ; implicit-def: $vgpr44_vgpr45_vgpr46_vgpr47_vgpr48_vgpr49_vgpr50_vgpr51_vgpr52_vgpr53_vgpr54_vgpr55_vgpr56_vgpr57_vgpr58_vgpr59
                                        ; implicit-def: $vgpr16_vgpr17_vgpr18_vgpr19_vgpr20_vgpr21_vgpr22_vgpr23_vgpr24_vgpr25_vgpr26_vgpr27_vgpr28_vgpr29_vgpr30_vgpr31
                                        ; implicit-def: $vgpr8_vgpr9_vgpr10_vgpr11_vgpr12_vgpr13_vgpr14_vgpr15_vgpr16_vgpr17_vgpr18_vgpr19_vgpr20_vgpr21_vgpr22_vgpr23
                                        ; implicit-def: $vgpr2_vgpr3_vgpr4_vgpr5_vgpr6_vgpr7_vgpr8_vgpr9_vgpr10_vgpr11_vgpr12_vgpr13_vgpr14_vgpr15_vgpr16_vgpr17
.LBB52_8:
	v_mov_b32_e32 v93, 0
	v_mov_b32_e32 v92, 0
	;; [unrolled: 1-line block ×16, first 2 shown]
	s_and_saveexec_b64 s[2:3], s[0:1]
	s_cbranch_execz .LBB52_10
; %bb.9:
	s_load_dwordx2 s[28:29], s[4:5], 0x38
	s_mul_hi_i32 s37, s19, s6
	s_mul_i32 s36, s19, s6
	s_lshl_b64 s[36:37], s[36:37], 1
	s_mov_b32 s31, 0x20000
	s_waitcnt lgkmcnt(0)
	s_add_u32 s28, s28, s36
	s_addc_u32 s14, s29, s37
	s_and_b32 s29, s14, 0xffff
	v_lshlrev_b32_e32 v38, 1, v1
	s_movk_i32 s14, 0x400
	buffer_load_dwordx4 v[4:7], v38, s[28:31], s14 offen glc slc
	buffer_load_dwordx4 v[8:11], v38, s[28:31], 0 offen glc slc
	s_load_dwordx2 s[28:29], s[4:5], 0x20
	s_waitcnt vmcnt(5)
	v_cvt_f32_u32_sdwa v19, v84 dst_sel:DWORD dst_unused:UNUSED_PAD src0_sel:WORD_1
	v_cvt_f32_u32_sdwa v18, v84 dst_sel:DWORD dst_unused:UNUSED_PAD src0_sel:WORD_0
	v_cvt_f32_u32_sdwa v21, v85 dst_sel:DWORD dst_unused:UNUSED_PAD src0_sel:WORD_1
	v_cvt_f32_u32_sdwa v20, v85 dst_sel:DWORD dst_unused:UNUSED_PAD src0_sel:WORD_0
	v_cvt_f32_u32_sdwa v23, v86 dst_sel:DWORD dst_unused:UNUSED_PAD src0_sel:WORD_1
	v_cvt_f32_u32_sdwa v22, v86 dst_sel:DWORD dst_unused:UNUSED_PAD src0_sel:WORD_0
	v_cvt_f32_u32_sdwa v25, v87 dst_sel:DWORD dst_unused:UNUSED_PAD src0_sel:WORD_1
	v_cvt_f32_u32_sdwa v24, v87 dst_sel:DWORD dst_unused:UNUSED_PAD src0_sel:WORD_0
	s_waitcnt vmcnt(4)
	v_cvt_f32_u32_sdwa v3, v88 dst_sel:DWORD dst_unused:UNUSED_PAD src0_sel:WORD_1
	v_cvt_f32_u32_sdwa v2, v88 dst_sel:DWORD dst_unused:UNUSED_PAD src0_sel:WORD_0
	v_cvt_f32_u32_sdwa v13, v89 dst_sel:DWORD dst_unused:UNUSED_PAD src0_sel:WORD_1
	v_cvt_f32_u32_sdwa v12, v89 dst_sel:DWORD dst_unused:UNUSED_PAD src0_sel:WORD_0
	;; [unrolled: 2-line block ×3, first 2 shown]
	v_cvt_f32_u32_sdwa v16, v91 dst_sel:DWORD dst_unused:UNUSED_PAD src0_sel:WORD_0
	v_cvt_f32_u32_sdwa v17, v91 dst_sel:DWORD dst_unused:UNUSED_PAD src0_sel:WORD_1
	s_mul_hi_i32 s27, s26, s6
	s_mul_i32 s26, s26, s6
	s_lshl_b64 s[26:27], s[26:27], 1
	s_waitcnt lgkmcnt(0)
	s_add_u32 s28, s28, s26
	s_mov_b32 s17, 0x7060302
	s_addc_u32 s19, s29, s27
	s_and_b32 s29, s19, 0xffff
	s_waitcnt vmcnt(1)
	v_cvt_f32_u32_sdwa v27, v4 dst_sel:DWORD dst_unused:UNUSED_PAD src0_sel:WORD_1
	v_cvt_f32_u32_sdwa v26, v4 dst_sel:DWORD dst_unused:UNUSED_PAD src0_sel:WORD_0
	v_cvt_f32_u32_sdwa v29, v5 dst_sel:DWORD dst_unused:UNUSED_PAD src0_sel:WORD_1
	v_cvt_f32_u32_sdwa v28, v5 dst_sel:DWORD dst_unused:UNUSED_PAD src0_sel:WORD_0
	v_cvt_f32_u32_sdwa v31, v6 dst_sel:DWORD dst_unused:UNUSED_PAD src0_sel:WORD_1
	v_cvt_f32_u32_sdwa v30, v6 dst_sel:DWORD dst_unused:UNUSED_PAD src0_sel:WORD_0
	v_cvt_f32_u32_sdwa v34, v7 dst_sel:DWORD dst_unused:UNUSED_PAD src0_sel:WORD_0
	v_cvt_f32_u32_sdwa v35, v7 dst_sel:DWORD dst_unused:UNUSED_PAD src0_sel:WORD_1
	s_waitcnt vmcnt(0)
	v_cvt_f32_u32_sdwa v37, v8 dst_sel:DWORD dst_unused:UNUSED_PAD src0_sel:WORD_1
	v_cvt_f32_u32_sdwa v36, v8 dst_sel:DWORD dst_unused:UNUSED_PAD src0_sel:WORD_0
	v_cvt_f32_u32_sdwa v5, v10 dst_sel:DWORD dst_unused:UNUSED_PAD src0_sel:WORD_1
	v_cvt_f32_u32_sdwa v4, v10 dst_sel:DWORD dst_unused:UNUSED_PAD src0_sel:WORD_0
	;; [unrolled: 2-line block ×4, first 2 shown]
	v_pk_add_f32 v[48:49], v[22:23], v[4:5]
	v_pk_add_f32 v[32:33], v[24:25], v[6:7]
	;; [unrolled: 1-line block ×4, first 2 shown]
	v_perm_b32 v7, v33, v32, s17
	v_perm_b32 v6, v49, v48, s17
	;; [unrolled: 1-line block ×4, first 2 shown]
	v_pk_add_f32 v[92:93], v[16:17], v[34:35]
	v_pk_add_f32 v[14:15], v[14:15], v[30:31]
	;; [unrolled: 1-line block ×4, first 2 shown]
	buffer_store_dwordx4 v[4:7], v38, s[28:31], 0 offen glc slc
	;;#ASMSTART
	s_nop 0
	;;#ASMEND
	s_nop 0
	v_perm_b32 v7, v93, v92, s17
	v_perm_b32 v6, v15, v14, s17
	;; [unrolled: 1-line block ×4, first 2 shown]
	buffer_store_dwordx4 v[4:7], v38, s[28:31], s14 offen glc slc
	;;#ASMSTART
	s_nop 0
	;;#ASMEND
.LBB52_10:
	s_or_b64 exec, exec, s[2:3]
.LBB52_11:
	v_mul_f32_e32 v2, v61, v61
	v_fmac_f32_e32 v2, v60, v60
	v_fmac_f32_e32 v2, v42, v42
	;; [unrolled: 1-line block ×15, first 2 shown]
	s_nop 1
	v_mov_b32_dpp v3, v2 quad_perm:[1,0,3,2] row_mask:0xf bank_mask:0xf
	v_add_f32_e32 v2, v2, v3
	s_nop 1
	v_mov_b32_dpp v3, v2 quad_perm:[2,3,0,1] row_mask:0xf bank_mask:0xf
	v_add_f32_e32 v2, v2, v3
	s_nop 1
	v_mov_b32_dpp v3, v2 row_half_mirror row_mask:0xf bank_mask:0xf
	v_add_f32_e32 v2, v2, v3
	s_nop 1
	v_mov_b32_dpp v3, v2 row_mirror row_mask:0xf bank_mask:0xf
	v_add_f32_e32 v2, v2, v3
	s_nop 1
	v_mov_b32_dpp v3, v2 row_bcast:15 row_mask:0xf bank_mask:0xf
	v_add_f32_e32 v2, v2, v3
	v_and_b32_e32 v3, 63, v0
	v_cmp_eq_u32_e64 s[2:3], 63, v3
	s_nop 0
	v_mov_b32_dpp v3, v2 row_bcast:31 row_mask:0xf bank_mask:0xf
	s_waitcnt lgkmcnt(0)
	s_and_saveexec_b64 s[26:27], s[2:3]
	s_cbranch_execz .LBB52_13
; %bb.12:
	v_add_f32_e32 v2, v2, v3
	v_lshrrev_b32_e32 v3, 4, v0
	v_and_b32_e32 v3, 60, v3
	ds_write_b32 v3, v2 offset:32
.LBB52_13:
	s_or_b64 exec, exec, s[26:27]
	v_and_b32_e32 v2, 3, v0
	v_lshlrev_b32_e32 v34, 2, v2
	s_waitcnt lgkmcnt(0)
	s_barrier
	ds_read_b32 v2, v34 offset:32
	s_load_dwordx2 s[26:27], s[4:5], 0x18
	s_waitcnt lgkmcnt(0)
	v_mov_b32_dpp v3, v2 quad_perm:[1,0,3,2] row_mask:0xf bank_mask:0xf
	v_add_f32_e32 v2, v2, v3
	s_nop 1
	v_mov_b32_dpp v3, v2 quad_perm:[2,3,0,1] row_mask:0xf bank_mask:0xf
	s_and_saveexec_b64 s[28:29], s[0:1]
	s_cbranch_execnz .LBB52_18
; %bb.14:
	s_or_b64 exec, exec, s[28:29]
	s_mov_b64 s[8:9], -1
	s_and_b64 vcc, exec, s[22:23]
	s_cbranch_vccnz .LBB52_19
.LBB52_15:
	s_andn2_b64 vcc, exec, s[8:9]
	s_cbranch_vccz .LBB52_22
.LBB52_16:
	s_cmp_lt_i32 s16, 1
	s_cbranch_scc0 .LBB52_33
.LBB52_17:
	s_endpgm
.LBB52_18:
	v_add_f32_e32 v2, v2, v3
	v_cvt_f32_u32_e32 v3, s7
	s_mov_b32 s7, 0x800000
	s_waitcnt vmcnt(1)
	v_cvt_f32_u32_sdwa v21, v81 dst_sel:DWORD dst_unused:UNUSED_PAD src0_sel:WORD_1
	v_cvt_f32_u32_sdwa v20, v81 dst_sel:DWORD dst_unused:UNUSED_PAD src0_sel:WORD_0
	v_div_scale_f32 v4, s[36:37], v3, v3, v2
	v_rcp_f32_e32 v5, v4
	s_waitcnt vmcnt(0)
	v_cvt_f32_u32_sdwa v23, v78 dst_sel:DWORD dst_unused:UNUSED_PAD src0_sel:WORD_1
	v_cvt_f32_u32_sdwa v22, v78 dst_sel:DWORD dst_unused:UNUSED_PAD src0_sel:WORD_0
	v_cvt_f32_u32_sdwa v27, v79 dst_sel:DWORD dst_unused:UNUSED_PAD src0_sel:WORD_1
	v_fma_f32 v6, -v4, v5, 1.0
	v_fmac_f32_e32 v5, v6, v5
	v_div_scale_f32 v6, vcc, v2, v3, v2
	v_mul_f32_e32 v7, v6, v5
	v_fma_f32 v8, -v4, v7, v6
	v_fmac_f32_e32 v7, v8, v5
	v_fma_f32 v4, -v4, v7, v6
	v_div_fmas_f32 v4, v4, v5, v7
	v_div_fixup_f32 v2, v4, v3, v2
	v_mov_b32_e32 v3, s13
	v_mov_b32_e32 v4, s12
	v_cndmask_b32_e64 v3, v3, v4, s[8:9]
	v_add_f32_e32 v2, v3, v2
	v_mul_f32_e32 v3, 0x4b800000, v2
	v_cmp_gt_f32_e32 vcc, s7, v2
	v_cndmask_b32_e32 v2, v2, v3, vcc
	v_rsq_f32_e32 v2, v2
	v_cvt_f32_u32_sdwa v26, v79 dst_sel:DWORD dst_unused:UNUSED_PAD src0_sel:WORD_0
	v_mul_f32_e32 v3, 0x45800000, v2
	v_cndmask_b32_e32 v2, v2, v3, vcc
	v_mov_b32_e32 v3, v2
	;;#ASMSTART
	v_pk_mul_f32 v[4:5], v[60:61], v[2:3]
	;;#ASMEND
	;;#ASMSTART
	v_pk_mul_f32 v[6:7], v[42:43], v[2:3]
	;;#ASMEND
	;; [unrolled: 3-line block ×6, first 2 shown]
	v_cvt_f32_u32_sdwa v19, v80 dst_sel:DWORD dst_unused:UNUSED_PAD src0_sel:WORD_1
	v_cvt_f32_u32_sdwa v18, v80 dst_sel:DWORD dst_unused:UNUSED_PAD src0_sel:WORD_0
	;;#ASMSTART
	v_pk_mul_f32 v[14:15], v[14:15], v[2:3]
	;;#ASMEND
	;;#ASMSTART
	v_pk_mul_f32 v[2:3], v[92:93], v[2:3]
	;;#ASMEND
	;; [unrolled: 3-line block ×3, first 2 shown]
	v_cvt_f32_u32_sdwa v19, v76 dst_sel:DWORD dst_unused:UNUSED_PAD src0_sel:WORD_1
	v_cvt_f32_u32_sdwa v18, v76 dst_sel:DWORD dst_unused:UNUSED_PAD src0_sel:WORD_0
	;;#ASMSTART
	v_pk_mul_f32 v[42:43], v[6:7], v[20:21]
	;;#ASMEND
	v_cvt_f32_u32_sdwa v5, v82 dst_sel:DWORD dst_unused:UNUSED_PAD src0_sel:WORD_1
	v_cvt_f32_u32_sdwa v4, v82 dst_sel:DWORD dst_unused:UNUSED_PAD src0_sel:WORD_0
	v_cvt_f32_u32_sdwa v7, v83 dst_sel:DWORD dst_unused:UNUSED_PAD src0_sel:WORD_1
	v_cvt_f32_u32_sdwa v6, v83 dst_sel:DWORD dst_unused:UNUSED_PAD src0_sel:WORD_0
	;; [unrolled: 2-line block ×3, first 2 shown]
	;;#ASMSTART
	v_pk_mul_f32 v[48:49], v[8:9], v[4:5]
	;;#ASMEND
	;;#ASMSTART
	v_pk_mul_f32 v[32:33], v[10:11], v[6:7]
	;;#ASMEND
	;; [unrolled: 3-line block ×6, first 2 shown]
	s_or_b64 exec, exec, s[28:29]
	s_mov_b64 s[8:9], -1
	s_and_b64 vcc, exec, s[22:23]
	s_cbranch_vccz .LBB52_15
.LBB52_19:
	s_and_saveexec_b64 s[8:9], s[0:1]
	s_cbranch_execz .LBB52_21
; %bb.20:
	s_mul_hi_i32 s23, s25, s6
	s_mul_i32 s22, s25, s6
	s_lshl_b64 s[22:23], s[22:23], 1
	s_add_u32 s28, s26, s22
	s_addc_u32 s7, s27, s23
	s_and_b32 s29, s7, 0xffff
	s_mov_b32 s7, 0x7060302
	s_mov_b32 s31, 0x20000
	v_perm_b32 v5, v33, v32, s7
	v_perm_b32 v4, v49, v48, s7
	;; [unrolled: 1-line block ×4, first 2 shown]
	v_lshlrev_b32_e32 v6, 1, v1
	buffer_store_dwordx4 v[2:5], v6, s[28:31], 0 offen
	;;#ASMSTART
	s_nop 0
	;;#ASMEND
	s_nop 0
	v_perm_b32 v5, v93, v92, s7
	v_perm_b32 v4, v15, v14, s7
	;; [unrolled: 1-line block ×4, first 2 shown]
	s_movk_i32 s7, 0x400
	buffer_store_dwordx4 v[2:5], v6, s[28:31], s7 offen
	;;#ASMSTART
	s_nop 0
	;;#ASMEND
.LBB52_21:
	s_or_b64 exec, exec, s[8:9]
	s_cbranch_execnz .LBB52_16
.LBB52_22:
	v_mov_b32_e32 v2, 0
	s_and_saveexec_b64 s[8:9], s[0:1]
	s_cbranch_execz .LBB52_24
; %bb.23:
	s_load_dwordx2 s[22:23], s[4:5], 0x10
	s_mul_hi_i32 s29, s24, s6
	s_mul_i32 s28, s24, s6
	s_lshl_b64 s[28:29], s[28:29], 1
	s_mov_b32 s31, 0x20000
	s_waitcnt lgkmcnt(0)
	s_add_u32 s28, s22, s28
	s_addc_u32 s7, s23, s29
	s_and_b32 s29, s7, 0xffff
	s_mov_b32 s7, 0x7060302
	v_perm_b32 v5, v33, v32, s7
	v_perm_b32 v4, v49, v48, s7
	v_perm_b32 v3, v43, v42, s7
	v_perm_b32 v2, v61, v60, s7
	v_lshlrev_b32_e32 v6, 1, v1
	buffer_store_dwordx4 v[2:5], v6, s[28:31], 0 offen
	;;#ASMSTART
	s_nop 0
	;;#ASMEND
	s_nop 0
	v_perm_b32 v5, v93, v92, s7
	v_perm_b32 v4, v15, v14, s7
	v_perm_b32 v3, v19, v18, s7
	v_perm_b32 v2, v25, v24, s7
	s_movk_i32 s7, 0x400
	buffer_store_dwordx4 v[2:5], v6, s[28:31], s7 offen
	v_mov_b32_e32 v2, 0x2edbe6ff
	;;#ASMSTART
	s_nop 0
	;;#ASMEND
.LBB52_24:
	s_or_b64 exec, exec, s[8:9]
	s_and_saveexec_b64 s[8:9], s[0:1]
	s_cbranch_execz .LBB52_26
; %bb.25:
	v_and_b32_e32 v3, 0x7fffffff, v60
	v_and_b32_e32 v4, 0x7fffffff, v61
	;;#ASMSTART
	v_max3_f32 v2, v2, v3, v4

	;;#ASMEND
	v_and_b32_e32 v3, 0x7fffffff, v42
	v_and_b32_e32 v4, 0x7fffffff, v43
	;;#ASMSTART
	v_max3_f32 v2, v2, v3, v4

	;;#ASMEND
	;; [unrolled: 6-line block ×8, first 2 shown]
.LBB52_26:
	s_or_b64 exec, exec, s[8:9]
	s_nop 0
	v_mov_b32_dpp v3, v2 quad_perm:[1,0,3,2] row_mask:0xf bank_mask:0xf
	v_cmp_gt_f32_e32 vcc, v2, v3
	v_cndmask_b32_e32 v2, v3, v2, vcc
	s_nop 1
	v_mov_b32_dpp v3, v2 quad_perm:[2,3,0,1] row_mask:0xf bank_mask:0xf
	v_cmp_gt_f32_e32 vcc, v2, v3
	v_cndmask_b32_e32 v2, v3, v2, vcc
	s_nop 1
	v_mov_b32_dpp v3, v2 row_half_mirror row_mask:0xf bank_mask:0xf
	v_cmp_gt_f32_e32 vcc, v2, v3
	v_cndmask_b32_e32 v2, v3, v2, vcc
	s_nop 1
	v_mov_b32_dpp v3, v2 row_mirror row_mask:0xf bank_mask:0xf
	v_cmp_gt_f32_e32 vcc, v2, v3
	v_cndmask_b32_e32 v2, v3, v2, vcc
	s_nop 1
	v_mov_b32_dpp v3, v2 row_bcast:15 row_mask:0xf bank_mask:0xf
	v_cmp_gt_f32_e32 vcc, v2, v3
	v_cndmask_b32_e32 v2, v3, v2, vcc
	s_nop 1
	v_mov_b32_dpp v3, v2 row_bcast:31 row_mask:0xf bank_mask:0xf
	s_and_saveexec_b64 s[8:9], s[2:3]
	s_cbranch_execz .LBB52_28
; %bb.27:
	v_cmp_gt_f32_e32 vcc, v2, v3
	v_cndmask_b32_e32 v2, v3, v2, vcc
	v_lshrrev_b32_e32 v3, 4, v0
	v_and_b32_e32 v3, 60, v3
	ds_write_b32 v3, v2
.LBB52_28:
	s_or_b64 exec, exec, s[8:9]
	s_waitcnt lgkmcnt(0)
	s_barrier
	ds_read_b32 v2, v34
	s_waitcnt lgkmcnt(0)
	s_nop 0
	v_mov_b32_dpp v3, v2 quad_perm:[1,0,3,2] row_mask:0xf bank_mask:0xf
	v_cmp_gt_f32_e32 vcc, v2, v3
	v_cndmask_b32_e32 v2, v3, v2, vcc
	s_nop 1
	v_mov_b32_dpp v3, v2 quad_perm:[2,3,0,1] row_mask:0xf bank_mask:0xf
	v_cmp_gt_f32_e32 vcc, v2, v3
	v_cndmask_b32_e32 v2, v3, v2, vcc
	v_mul_f32_e32 v2, 0x3b124925, v2
	v_cmp_eq_u32_e32 vcc, 0, v0
	s_and_saveexec_b64 s[8:9], vcc
	s_cbranch_execz .LBB52_30
; %bb.29:
	s_load_dwordx2 s[22:23], s[4:5], 0x8
	s_mul_hi_i32 s29, s11, s6
	s_mul_i32 s28, s11, s6
	s_lshl_b64 s[28:29], s[28:29], 2
	v_mov_b32_e32 v3, 0
	s_waitcnt lgkmcnt(0)
	s_add_u32 s22, s22, s28
	s_addc_u32 s23, s23, s29
	global_store_dword v3, v2, s[22:23]
.LBB52_30:
	s_or_b64 exec, exec, s[8:9]
	;;#ASMSTART
	v_rcp_f32 v2, v2
	;;#ASMEND
	s_and_saveexec_b64 s[22:23], s[0:1]
	s_cbranch_execz .LBB52_32
; %bb.31:
	s_load_dwordx2 s[0:1], s[4:5], 0x0
	v_mov_b32_e32 v3, v2
	;;#ASMSTART
	v_pk_mul_f32 v[4:5], v[60:61], v[2:3]
	;;#ASMEND
	v_mov_b32_e32 v8, 0xc3e00000
	v_mov_b32_e32 v9, 0x43e00000
	;;#ASMSTART
	v_med3_f32 v4, v4, v8, v9
v_med3_f32 v5, v5, v8, v9
v_cvt_pk_fp8_f32 v6, v4, v5
	;;#ASMEND
	;;#ASMSTART
	v_pk_mul_f32 v[4:5], v[42:43], v[2:3]
	;;#ASMEND
	;;#ASMSTART
	v_med3_f32 v4, v4, v8, v9
v_med3_f32 v5, v5, v8, v9
v_cvt_pk_fp8_f32 v7, v4, v5
	;;#ASMEND
	s_mul_i32 s8, s10, s6
	;;#ASMSTART
	v_pk_mul_f32 v[4:5], v[48:49], v[2:3]
	;;#ASMEND
	s_mul_hi_i32 s7, s10, s6
	s_waitcnt lgkmcnt(0)
	s_add_u32 s8, s0, s8
	;;#ASMSTART
	v_med3_f32 v4, v4, v8, v9
v_med3_f32 v5, v5, v8, v9
v_cvt_pk_fp8_f32 v10, v4, v5
	;;#ASMEND
	s_addc_u32 s0, s1, s7
	s_add_i32 s1, s15, 3
	;;#ASMSTART
	v_pk_mul_f32 v[4:5], v[32:33], v[2:3]
	;;#ASMEND
	s_ashr_i32 s7, s1, 31
	;;#ASMSTART
	v_med3_f32 v4, v4, v8, v9
v_med3_f32 v5, v5, v8, v9
v_cvt_pk_fp8_f32 v11, v4, v5
	;;#ASMEND
	s_lshr_b32 s7, s7, 30
	s_and_b32 s9, s0, 0xffff
	s_mov_b32 s0, 0x5040100
	s_add_i32 s1, s1, s7
	v_perm_b32 v5, v7, v6, s0
	s_movk_i32 s7, 0xff
	v_and_b32_e32 v4, 0xffffff00, v7
	v_and_b32_sdwa v6, v5, s7 dst_sel:DWORD dst_unused:UNUSED_PAD src0_sel:WORD_1 src1_sel:DWORD
	s_and_b32 s10, s1, -4
	s_mov_b32 s1, 0xffff
	v_or_b32_sdwa v4, v6, v4 dst_sel:WORD_1 dst_unused:UNUSED_PAD src0_sel:DWORD src1_sel:DWORD
	v_and_or_b32 v4, v5, s1, v4
	v_lshlrev_b32_e32 v5, 16, v11
	s_mov_b32 s11, 0x20000
	v_and_or_b32 v5, v10, s1, v5
	buffer_store_dwordx2 v[4:5], v1, s[8:11], 0 offen
	;;#ASMSTART
	s_nop 0
	;;#ASMEND
	;;#ASMSTART
	v_pk_mul_f32 v[4:5], v[24:25], v[2:3]
	;;#ASMEND
	;;#ASMSTART
	v_med3_f32 v4, v4, v8, v9
v_med3_f32 v5, v5, v8, v9
v_cvt_pk_fp8_f32 v6, v4, v5
	;;#ASMEND
	;;#ASMSTART
	v_pk_mul_f32 v[4:5], v[18:19], v[2:3]
	;;#ASMEND
	;;#ASMSTART
	v_med3_f32 v4, v4, v8, v9
v_med3_f32 v5, v5, v8, v9
v_cvt_pk_fp8_f32 v7, v4, v5
	;;#ASMEND
	v_perm_b32 v5, v7, v6, s0
	v_and_b32_e32 v4, 0xffffff00, v7
	v_and_b32_sdwa v6, v5, s7 dst_sel:DWORD dst_unused:UNUSED_PAD src0_sel:WORD_1 src1_sel:DWORD
	v_or_b32_sdwa v4, v6, v4 dst_sel:WORD_1 dst_unused:UNUSED_PAD src0_sel:DWORD src1_sel:DWORD
	v_and_or_b32 v4, v5, s1, v4
	;;#ASMSTART
	v_pk_mul_f32 v[6:7], v[14:15], v[2:3]
	;;#ASMEND
	v_mov_b32_e32 v5, v6
	;;#ASMSTART
	v_med3_f32 v5, v5, v8, v9
v_med3_f32 v7, v7, v8, v9
v_cvt_pk_fp8_f32 v6, v5, v7
	;;#ASMEND
	;;#ASMSTART
	v_pk_mul_f32 v[2:3], v[92:93], v[2:3]
	;;#ASMEND
	;;#ASMSTART
	v_med3_f32 v2, v2, v8, v9
v_med3_f32 v3, v3, v8, v9
v_cvt_pk_fp8_f32 v5, v2, v3
	;;#ASMEND
	v_lshlrev_b32_e32 v2, 16, v5
	v_and_or_b32 v5, v6, s1, v2
	s_movk_i32 s0, 0x200
	buffer_store_dwordx2 v[4:5], v1, s[8:11], s0 offen
	;;#ASMSTART
	s_nop 0
	;;#ASMEND
.LBB52_32:
	s_or_b64 exec, exec, s[22:23]
	s_cmp_lt_i32 s16, 1
	s_cbranch_scc1 .LBB52_17
.LBB52_33:
	s_load_dword s0, s[4:5], 0x94
	s_waitcnt lgkmcnt(0)
	s_cmp_lg_u32 s0, 1
	s_cbranch_scc1 .LBB52_17
; %bb.34:
	s_lshl_b32 s0, s16, 1
	s_add_i32 s0, s0, 2
	v_cmp_gt_u32_e32 vcc, s16, v1
	s_and_b32 s22, s0, -4
	v_mov_b32_e32 v18, 0
	v_lshlrev_b32_e32 v1, 1, v1
	v_mov_b32_e32 v14, 0
	v_mov_b32_e32 v15, 0
	;; [unrolled: 1-line block ×16, first 2 shown]
	s_barrier
	s_and_saveexec_b64 s[0:1], vcc
	s_cbranch_execz .LBB52_36
; %bb.35:
	s_mul_hi_i32 s5, s18, s6
	s_mul_i32 s4, s18, s6
	s_and_b32 s21, s21, 0xffff
	s_lshl_b64 s[4:5], s[4:5], 1
	s_add_u32 s8, s34, s4
	s_mov_b32 s23, 0x20000
	s_addc_u32 s4, s35, s5
	s_and_b32 s9, s4, 0xffff
	s_mov_b32 s10, s22
	s_mov_b32 s11, s23
	s_movk_i32 s4, 0x400
	buffer_load_dwordx4 v[14:17], v1, s[8:11], 0 offen glc slc
	buffer_load_dwordx4 v[10:13], v1, s[8:11], s4 offen glc slc
	buffer_load_dwordx4 v[6:9], v1, s[20:23], 0 offen
	buffer_load_dwordx4 v[2:5], v1, s[20:23], s4 offen
.LBB52_36:
	s_or_b64 exec, exec, s[0:1]
	v_mov_b32_e32 v19, 0
	v_mov_b32_e32 v32, 0
	v_mov_b32_e32 v33, 0
	v_mov_b32_e32 v30, 0
	v_mov_b32_e32 v31, 0
	v_mov_b32_e32 v28, 0
	v_mov_b32_e32 v29, 0
	v_mov_b32_e32 v26, 0
	v_mov_b32_e32 v27, 0
	v_mov_b32_e32 v24, 0
	v_mov_b32_e32 v25, 0
	v_mov_b32_e32 v22, 0
	v_mov_b32_e32 v23, 0
	v_mov_b32_e32 v20, 0
	v_mov_b32_e32 v21, 0
	s_and_saveexec_b64 s[0:1], vcc
	s_cbranch_execz .LBB52_38
; %bb.37:
	s_waitcnt vmcnt(3)
	v_cvt_f32_u32_sdwa v18, v14 dst_sel:DWORD dst_unused:UNUSED_PAD src0_sel:WORD_0
	v_cvt_f32_u32_sdwa v19, v14 dst_sel:DWORD dst_unused:UNUSED_PAD src0_sel:WORD_1
	v_cvt_f32_u32_sdwa v32, v15 dst_sel:DWORD dst_unused:UNUSED_PAD src0_sel:WORD_0
	v_cvt_f32_u32_sdwa v33, v15 dst_sel:DWORD dst_unused:UNUSED_PAD src0_sel:WORD_1
	;; [unrolled: 2-line block ×4, first 2 shown]
	s_waitcnt vmcnt(2)
	v_cvt_f32_u32_sdwa v26, v10 dst_sel:DWORD dst_unused:UNUSED_PAD src0_sel:WORD_0
	v_cvt_f32_u32_sdwa v27, v10 dst_sel:DWORD dst_unused:UNUSED_PAD src0_sel:WORD_1
	v_cvt_f32_u32_sdwa v24, v11 dst_sel:DWORD dst_unused:UNUSED_PAD src0_sel:WORD_0
	v_cvt_f32_u32_sdwa v25, v11 dst_sel:DWORD dst_unused:UNUSED_PAD src0_sel:WORD_1
	;; [unrolled: 2-line block ×4, first 2 shown]
.LBB52_38:
	s_or_b64 exec, exec, s[0:1]
	s_waitcnt vmcnt(2)
	v_mul_f32_e32 v10, v19, v19
	v_fmac_f32_e32 v10, v18, v18
	v_fmac_f32_e32 v10, v32, v32
	;; [unrolled: 1-line block ×15, first 2 shown]
	s_nop 1
	v_mov_b32_dpp v11, v10 quad_perm:[1,0,3,2] row_mask:0xf bank_mask:0xf
	v_add_f32_e32 v10, v10, v11
	s_nop 1
	v_mov_b32_dpp v11, v10 quad_perm:[2,3,0,1] row_mask:0xf bank_mask:0xf
	v_add_f32_e32 v10, v10, v11
	s_nop 1
	v_mov_b32_dpp v11, v10 row_half_mirror row_mask:0xf bank_mask:0xf
	v_add_f32_e32 v10, v10, v11
	s_nop 1
	v_mov_b32_dpp v11, v10 row_mirror row_mask:0xf bank_mask:0xf
	v_add_f32_e32 v10, v10, v11
	s_nop 1
	v_mov_b32_dpp v11, v10 row_bcast:15 row_mask:0xf bank_mask:0xf
	v_add_f32_e32 v10, v10, v11
	s_nop 1
	v_mov_b32_dpp v11, v10 row_bcast:31 row_mask:0xf bank_mask:0xf
	s_and_saveexec_b64 s[0:1], s[2:3]
	s_cbranch_execz .LBB52_40
; %bb.39:
	v_lshrrev_b32_e32 v0, 4, v0
	v_add_f32_e32 v10, v10, v11
	v_and_b32_e32 v0, 60, v0
	ds_write_b32 v0, v10 offset:16
.LBB52_40:
	s_or_b64 exec, exec, s[0:1]
	s_waitcnt lgkmcnt(0)
	s_barrier
	ds_read_b32 v0, v34 offset:16
	s_waitcnt lgkmcnt(0)
	s_nop 0
	v_mov_b32_dpp v10, v0 quad_perm:[1,0,3,2] row_mask:0xf bank_mask:0xf
	v_add_f32_e32 v0, v0, v10
	s_nop 1
	v_mov_b32_dpp v10, v0 quad_perm:[2,3,0,1] row_mask:0xf bank_mask:0xf
	s_and_saveexec_b64 s[0:1], vcc
	s_cbranch_execz .LBB52_17
; %bb.41:
	v_cvt_f32_u32_e32 v11, s16
	v_add_f32_e32 v0, v0, v10
	s_mov_b32 s23, 0x20000
	v_div_scale_f32 v10, s[0:1], v11, v11, v0
	v_rcp_f32_e32 v12, v10
	v_div_scale_f32 v13, vcc, v0, v11, v0
	s_mov_b32 s0, 0x800000
	v_fma_f32 v14, -v10, v12, 1.0
	v_fmac_f32_e32 v12, v14, v12
	v_mul_f32_e32 v14, v13, v12
	v_fma_f32 v15, -v10, v14, v13
	v_fmac_f32_e32 v14, v15, v12
	v_fma_f32 v10, -v10, v14, v13
	v_div_fmas_f32 v10, v10, v12, v14
	v_div_fixup_f32 v0, v10, v11, v0
	v_add_f32_e32 v0, s13, v0
	v_mul_f32_e32 v10, 0x4b800000, v0
	v_cmp_gt_f32_e32 vcc, s0, v0
	v_cndmask_b32_e32 v0, v0, v10, vcc
	v_rsq_f32_e32 v0, v0
	s_mul_hi_i32 s1, s25, s6
	s_mul_i32 s0, s25, s6
	s_lshl_b64 s[0:1], s[0:1], 1
	v_mul_f32_e32 v10, 0x45800000, v0
	v_cndmask_b32_e32 v10, v0, v10, vcc
	v_mov_b32_e32 v11, v10
	s_add_u32 s20, s26, s0
	;;#ASMSTART
	v_pk_mul_f32 v[12:13], v[18:19], v[10:11]
	;;#ASMEND
	;;#ASMSTART
	v_pk_mul_f32 v[14:15], v[32:33], v[10:11]
	;;#ASMEND
	;; [unrolled: 3-line block ×8, first 2 shown]
	s_waitcnt vmcnt(1)
	v_cvt_f32_u32_sdwa v21, v6 dst_sel:DWORD dst_unused:UNUSED_PAD src0_sel:WORD_1
	v_cvt_f32_u32_sdwa v20, v6 dst_sel:DWORD dst_unused:UNUSED_PAD src0_sel:WORD_0
	v_cvt_f32_u32_sdwa v29, v7 dst_sel:DWORD dst_unused:UNUSED_PAD src0_sel:WORD_1
	v_cvt_f32_u32_sdwa v28, v7 dst_sel:DWORD dst_unused:UNUSED_PAD src0_sel:WORD_0
	;; [unrolled: 2-line block ×3, first 2 shown]
	s_addc_u32 s0, s27, s1
	v_cvt_f32_u32_sdwa v31, v9 dst_sel:DWORD dst_unused:UNUSED_PAD src0_sel:WORD_1
	v_cvt_f32_u32_sdwa v30, v9 dst_sel:DWORD dst_unused:UNUSED_PAD src0_sel:WORD_0
	;;#ASMSTART
	v_pk_mul_f32 v[8:9], v[12:13], v[20:21]
	;;#ASMEND
	;;#ASMSTART
	v_pk_mul_f32 v[12:13], v[14:15], v[28:29]
	;;#ASMEND
	;; [unrolled: 3-line block ×4, first 2 shown]
	s_waitcnt vmcnt(0)
	v_cvt_f32_u32_sdwa v17, v2 dst_sel:DWORD dst_unused:UNUSED_PAD src0_sel:WORD_1
	v_cvt_f32_u32_sdwa v16, v2 dst_sel:DWORD dst_unused:UNUSED_PAD src0_sel:WORD_0
	v_cvt_f32_u32_sdwa v19, v3 dst_sel:DWORD dst_unused:UNUSED_PAD src0_sel:WORD_1
	v_cvt_f32_u32_sdwa v18, v3 dst_sel:DWORD dst_unused:UNUSED_PAD src0_sel:WORD_0
	v_cvt_f32_u32_sdwa v3, v4 dst_sel:DWORD dst_unused:UNUSED_PAD src0_sel:WORD_1
	v_cvt_f32_u32_sdwa v2, v4 dst_sel:DWORD dst_unused:UNUSED_PAD src0_sel:WORD_0
	s_and_b32 s21, s0, 0xffff
	s_mov_b32 s0, 0x7060302
	v_cvt_f32_u32_sdwa v21, v5 dst_sel:DWORD dst_unused:UNUSED_PAD src0_sel:WORD_1
	v_cvt_f32_u32_sdwa v20, v5 dst_sel:DWORD dst_unused:UNUSED_PAD src0_sel:WORD_0
	;;#ASMSTART
	v_pk_mul_f32 v[16:17], v[26:27], v[16:17]
	;;#ASMEND
	;;#ASMSTART
	v_pk_mul_f32 v[18:19], v[24:25], v[18:19]
	;;#ASMEND
	;; [unrolled: 3-line block ×3, first 2 shown]
	v_perm_b32 v2, v9, v8, s0
	v_perm_b32 v3, v13, v12, s0
	;; [unrolled: 1-line block ×4, first 2 shown]
	;;#ASMSTART
	v_pk_mul_f32 v[10:11], v[10:11], v[20:21]
	;;#ASMEND
	buffer_store_dwordx4 v[2:5], v1, s[20:23], 0 offen
	;;#ASMSTART
	s_nop 0
	;;#ASMEND
	s_nop 0
	v_perm_b32 v2, v17, v16, s0
	v_perm_b32 v3, v19, v18, s0
	;; [unrolled: 1-line block ×4, first 2 shown]
	s_movk_i32 s0, 0x400
	buffer_store_dwordx4 v[2:5], v1, s[20:23], s0 offen
	;;#ASMSTART
	s_nop 0
	;;#ASMEND
	s_endpgm
	.section	.rodata,"a",@progbits
	.p2align	6, 0x0
	.amdhsa_kernel _ZN5aiter35fused_qk_rmsnorm_group_quant_kernelItDB8_Li256ELi16ELi1ELb1ELb1ELb0ELb0ELb1ELb1EEEvPT0_PvPT_S6_S6_PKS5_S8_S8_S8_S8_ffiiiiiiiiiiiii
		.amdhsa_group_segment_fixed_size 48
		.amdhsa_private_segment_fixed_size 0
		.amdhsa_kernarg_size 400
		.amdhsa_user_sgpr_count 6
		.amdhsa_user_sgpr_private_segment_buffer 1
		.amdhsa_user_sgpr_dispatch_ptr 0
		.amdhsa_user_sgpr_queue_ptr 0
		.amdhsa_user_sgpr_kernarg_segment_ptr 1
		.amdhsa_user_sgpr_dispatch_id 0
		.amdhsa_user_sgpr_flat_scratch_init 0
		.amdhsa_user_sgpr_kernarg_preload_length 0
		.amdhsa_user_sgpr_kernarg_preload_offset 0
		.amdhsa_user_sgpr_private_segment_size 0
		.amdhsa_uses_dynamic_stack 0
		.amdhsa_system_sgpr_private_segment_wavefront_offset 0
		.amdhsa_system_sgpr_workgroup_id_x 1
		.amdhsa_system_sgpr_workgroup_id_y 1
		.amdhsa_system_sgpr_workgroup_id_z 0
		.amdhsa_system_sgpr_workgroup_info 0
		.amdhsa_system_vgpr_workitem_id 0
		.amdhsa_next_free_vgpr 94
		.amdhsa_next_free_sgpr 38
		.amdhsa_accum_offset 96
		.amdhsa_reserve_vcc 1
		.amdhsa_reserve_flat_scratch 0
		.amdhsa_float_round_mode_32 0
		.amdhsa_float_round_mode_16_64 0
		.amdhsa_float_denorm_mode_32 3
		.amdhsa_float_denorm_mode_16_64 3
		.amdhsa_dx10_clamp 1
		.amdhsa_ieee_mode 1
		.amdhsa_fp16_overflow 0
		.amdhsa_tg_split 0
		.amdhsa_exception_fp_ieee_invalid_op 0
		.amdhsa_exception_fp_denorm_src 0
		.amdhsa_exception_fp_ieee_div_zero 0
		.amdhsa_exception_fp_ieee_overflow 0
		.amdhsa_exception_fp_ieee_underflow 0
		.amdhsa_exception_fp_ieee_inexact 0
		.amdhsa_exception_int_div_zero 0
	.end_amdhsa_kernel
	.section	.text._ZN5aiter35fused_qk_rmsnorm_group_quant_kernelItDB8_Li256ELi16ELi1ELb1ELb1ELb0ELb0ELb1ELb1EEEvPT0_PvPT_S6_S6_PKS5_S8_S8_S8_S8_ffiiiiiiiiiiiii,"axG",@progbits,_ZN5aiter35fused_qk_rmsnorm_group_quant_kernelItDB8_Li256ELi16ELi1ELb1ELb1ELb0ELb0ELb1ELb1EEEvPT0_PvPT_S6_S6_PKS5_S8_S8_S8_S8_ffiiiiiiiiiiiii,comdat
.Lfunc_end52:
	.size	_ZN5aiter35fused_qk_rmsnorm_group_quant_kernelItDB8_Li256ELi16ELi1ELb1ELb1ELb0ELb0ELb1ELb1EEEvPT0_PvPT_S6_S6_PKS5_S8_S8_S8_S8_ffiiiiiiiiiiiii, .Lfunc_end52-_ZN5aiter35fused_qk_rmsnorm_group_quant_kernelItDB8_Li256ELi16ELi1ELb1ELb1ELb0ELb0ELb1ELb1EEEvPT0_PvPT_S6_S6_PKS5_S8_S8_S8_S8_ffiiiiiiiiiiiii
                                        ; -- End function
	.section	.AMDGPU.csdata,"",@progbits
; Kernel info:
; codeLenInByte = 4520
; NumSgprs: 42
; NumVgprs: 94
; NumAgprs: 0
; TotalNumVgprs: 94
; ScratchSize: 0
; MemoryBound: 0
; FloatMode: 240
; IeeeMode: 1
; LDSByteSize: 48 bytes/workgroup (compile time only)
; SGPRBlocks: 5
; VGPRBlocks: 11
; NumSGPRsForWavesPerEU: 42
; NumVGPRsForWavesPerEU: 94
; AccumOffset: 96
; Occupancy: 5
; WaveLimiterHint : 0
; COMPUTE_PGM_RSRC2:SCRATCH_EN: 0
; COMPUTE_PGM_RSRC2:USER_SGPR: 6
; COMPUTE_PGM_RSRC2:TRAP_HANDLER: 0
; COMPUTE_PGM_RSRC2:TGID_X_EN: 1
; COMPUTE_PGM_RSRC2:TGID_Y_EN: 1
; COMPUTE_PGM_RSRC2:TGID_Z_EN: 0
; COMPUTE_PGM_RSRC2:TIDIG_COMP_CNT: 0
; COMPUTE_PGM_RSRC3_GFX90A:ACCUM_OFFSET: 23
; COMPUTE_PGM_RSRC3_GFX90A:TG_SPLIT: 0
	.section	.text._ZN5aiter35fused_qk_rmsnorm_group_quant_kernelIDF16_DB8_Li256ELi16ELi1ELb1ELb0ELb1ELb0ELb1ELb1EEEvPT0_PvPT_S6_S6_PKS5_S8_S8_S8_S8_ffiiiiiiiiiiiii,"axG",@progbits,_ZN5aiter35fused_qk_rmsnorm_group_quant_kernelIDF16_DB8_Li256ELi16ELi1ELb1ELb0ELb1ELb0ELb1ELb1EEEvPT0_PvPT_S6_S6_PKS5_S8_S8_S8_S8_ffiiiiiiiiiiiii,comdat
	.protected	_ZN5aiter35fused_qk_rmsnorm_group_quant_kernelIDF16_DB8_Li256ELi16ELi1ELb1ELb0ELb1ELb0ELb1ELb1EEEvPT0_PvPT_S6_S6_PKS5_S8_S8_S8_S8_ffiiiiiiiiiiiii ; -- Begin function _ZN5aiter35fused_qk_rmsnorm_group_quant_kernelIDF16_DB8_Li256ELi16ELi1ELb1ELb0ELb1ELb0ELb1ELb1EEEvPT0_PvPT_S6_S6_PKS5_S8_S8_S8_S8_ffiiiiiiiiiiiii
	.globl	_ZN5aiter35fused_qk_rmsnorm_group_quant_kernelIDF16_DB8_Li256ELi16ELi1ELb1ELb0ELb1ELb0ELb1ELb1EEEvPT0_PvPT_S6_S6_PKS5_S8_S8_S8_S8_ffiiiiiiiiiiiii
	.p2align	8
	.type	_ZN5aiter35fused_qk_rmsnorm_group_quant_kernelIDF16_DB8_Li256ELi16ELi1ELb1ELb0ELb1ELb0ELb1ELb1EEEvPT0_PvPT_S6_S6_PKS5_S8_S8_S8_S8_ffiiiiiiiiiiiii,@function
_ZN5aiter35fused_qk_rmsnorm_group_quant_kernelIDF16_DB8_Li256ELi16ELi1ELb1ELb0ELb1ELb0ELb1ELb1EEEvPT0_PvPT_S6_S6_PKS5_S8_S8_S8_S8_ffiiiiiiiiiiiii: ; @_ZN5aiter35fused_qk_rmsnorm_group_quant_kernelIDF16_DB8_Li256ELi16ELi1ELb1ELb0ELb1ELb0ELb1ELb1EEEvPT0_PvPT_S6_S6_PKS5_S8_S8_S8_S8_ffiiiiiiiiiiiii
; %bb.0:
	s_load_dwordx8 s[12:19], s[4:5], 0x50
	s_waitcnt lgkmcnt(0)
	s_cmp_ge_i32 s6, s14
	s_cbranch_scc1 .LBB53_17
; %bb.1:
	s_cmp_lg_u32 s7, 0
	s_cselect_b64 s[22:23], -1, 0
	s_cmp_eq_u32 s7, 0
	s_cselect_b64 s[8:9], -1, 0
	s_and_b64 s[0:1], s[8:9], exec
	s_cselect_b32 s7, s15, s16
	s_add_i32 s0, s7, 1
	s_load_dwordx2 s[10:11], s[4:5], 0x70
	s_load_dwordx2 s[20:21], s[4:5], 0x48
	;; [unrolled: 1-line block ×3, first 2 shown]
	s_lshr_b32 s1, s0, 31
	s_add_i32 s0, s0, s1
	s_lshl_b32 s0, s0, 1
	v_lshlrev_b32_e32 v2, 4, v0
	s_and_b32 s26, s0, -4
	v_lshlrev_b32_e32 v1, 3, v0
	v_and_b32_e32 v2, 0x3c00, v2
	s_movk_i32 s0, 0x1f8
	v_and_or_b32 v1, v1, s0, v2
	v_cmp_gt_i32_e64 s[0:1], s7, v1
	v_mov_b32_e32 v76, 0
	v_mov_b32_e32 v77, 0
	;; [unrolled: 1-line block ×16, first 2 shown]
	s_and_saveexec_b64 s[2:3], s[0:1]
	s_cbranch_execz .LBB53_3
; %bb.2:
	s_load_dwordx2 s[24:25], s[4:5], 0x28
	s_load_dwordx2 s[28:29], s[4:5], 0x40
	s_and_b64 s[34:35], s[8:9], exec
	s_cselect_b32 s14, s17, s18
	s_mov_b32 s38, s26
	s_waitcnt lgkmcnt(0)
	s_cselect_b32 s17, s25, s31
	s_cselect_b32 s27, s24, s30
	s_mul_hi_i32 s25, s14, s6
	s_mul_i32 s24, s14, s6
	s_lshl_b64 s[24:25], s[24:25], 1
	s_add_u32 s36, s27, s24
	s_addc_u32 s14, s17, s25
	s_and_b64 s[24:25], s[8:9], exec
	s_mov_b32 s27, 0x20000
	s_cselect_b32 s24, s28, s20
	s_cselect_b32 s17, s29, s21
	s_and_b32 s37, s14, 0xffff
	s_mov_b32 s39, s27
	v_lshlrev_b32_e32 v2, 1, v1
	s_and_b32 s25, s17, 0xffff
	s_movk_i32 s14, 0x400
	buffer_load_dwordx4 v[80:83], v2, s[36:39], 0 offen glc slc
	buffer_load_dwordx4 v[84:87], v2, s[36:39], s14 offen glc slc
	buffer_load_dwordx4 v[76:79], v2, s[24:27], 0 offen
	buffer_load_dwordx4 v[72:75], v2, s[24:27], s14 offen
.LBB53_3:
	s_or_b64 exec, exec, s[2:3]
	s_load_dwordx2 s[28:29], s[4:5], 0x80
	s_and_b64 vcc, exec, s[22:23]
	s_cbranch_vccz .LBB53_7
; %bb.4:
	v_mov_b32_e32 v89, 0
	v_mov_b32_e32 v88, 0
	;; [unrolled: 1-line block ×16, first 2 shown]
	s_and_saveexec_b64 s[2:3], s[0:1]
	s_cbranch_execz .LBB53_6
; %bb.5:
	s_waitcnt vmcnt(3)
	v_cvt_f32_f16_sdwa v49, v80 dst_sel:DWORD dst_unused:UNUSED_PAD src0_sel:WORD_1
	v_cvt_f32_f16_e32 v48, v80
	v_cvt_f32_f16_sdwa v35, v81 dst_sel:DWORD dst_unused:UNUSED_PAD src0_sel:WORD_1
	v_cvt_f32_f16_e32 v34, v81
	;; [unrolled: 2-line block ×4, first 2 shown]
	s_waitcnt vmcnt(2)
	v_cvt_f32_f16_sdwa v65, v84 dst_sel:DWORD dst_unused:UNUSED_PAD src0_sel:WORD_1
	v_cvt_f32_f16_e32 v64, v84
	v_cvt_f32_f16_sdwa v19, v85 dst_sel:DWORD dst_unused:UNUSED_PAD src0_sel:WORD_1
	v_cvt_f32_f16_e32 v18, v85
	;; [unrolled: 2-line block ×4, first 2 shown]
.LBB53_6:
	s_or_b64 exec, exec, s[2:3]
	s_cbranch_execz .LBB53_8
	s_branch .LBB53_11
.LBB53_7:
                                        ; implicit-def: $vgpr32_vgpr33_vgpr34_vgpr35_vgpr36_vgpr37_vgpr38_vgpr39_vgpr40_vgpr41_vgpr42_vgpr43_vgpr44_vgpr45_vgpr46_vgpr47
                                        ; implicit-def: $vgpr48_vgpr49_vgpr50_vgpr51_vgpr52_vgpr53_vgpr54_vgpr55_vgpr56_vgpr57_vgpr58_vgpr59_vgpr60_vgpr61_vgpr62_vgpr63
                                        ; implicit-def: $vgpr18_vgpr19_vgpr20_vgpr21_vgpr22_vgpr23_vgpr24_vgpr25_vgpr26_vgpr27_vgpr28_vgpr29_vgpr30_vgpr31_vgpr32_vgpr33
                                        ; implicit-def: $vgpr50_vgpr51_vgpr52_vgpr53_vgpr54_vgpr55_vgpr56_vgpr57_vgpr58_vgpr59_vgpr60_vgpr61_vgpr62_vgpr63_vgpr64_vgpr65
                                        ; implicit-def: $vgpr89
                                        ; implicit-def: $vgpr8_vgpr9_vgpr10_vgpr11_vgpr12_vgpr13_vgpr14_vgpr15_vgpr16_vgpr17_vgpr18_vgpr19_vgpr20_vgpr21_vgpr22_vgpr23
                                        ; implicit-def: $vgpr56_vgpr57_vgpr58_vgpr59_vgpr60_vgpr61_vgpr62_vgpr63_vgpr64_vgpr65_vgpr66_vgpr67_vgpr68_vgpr69_vgpr70_vgpr71
                                        ; implicit-def: $vgpr2_vgpr3_vgpr4_vgpr5_vgpr6_vgpr7_vgpr8_vgpr9_vgpr10_vgpr11_vgpr12_vgpr13_vgpr14_vgpr15_vgpr16_vgpr17
.LBB53_8:
	v_mov_b32_e32 v89, 0
	v_mov_b32_e32 v88, 0
	;; [unrolled: 1-line block ×16, first 2 shown]
	s_and_saveexec_b64 s[2:3], s[0:1]
	s_cbranch_execz .LBB53_10
; %bb.9:
	s_load_dwordx2 s[24:25], s[4:5], 0x38
	s_mul_hi_i32 s35, s19, s6
	s_mul_i32 s34, s19, s6
	s_lshl_b64 s[34:35], s[34:35], 1
	s_mov_b32 s27, 0x20000
	s_waitcnt lgkmcnt(0)
	s_add_u32 s24, s24, s34
	s_addc_u32 s14, s25, s35
	s_and_b32 s25, s14, 0xffff
	v_lshlrev_b32_e32 v38, 1, v1
	s_movk_i32 s14, 0x400
	buffer_load_dwordx4 v[6:9], v38, s[24:27], s14 offen glc slc
	buffer_load_dwordx4 v[10:13], v38, s[24:27], 0 offen glc slc
	s_waitcnt vmcnt(5)
	v_cvt_f32_f16_sdwa v23, v82 dst_sel:DWORD dst_unused:UNUSED_PAD src0_sel:WORD_1
	v_cvt_f32_f16_e32 v22, v82
	v_cvt_f32_f16_sdwa v25, v83 dst_sel:DWORD dst_unused:UNUSED_PAD src0_sel:WORD_1
	v_cvt_f32_f16_e32 v24, v83
	;; [unrolled: 2-line block ×4, first 2 shown]
	s_load_dwordx2 s[24:25], s[4:5], 0x20
	s_waitcnt vmcnt(4)
	v_cvt_f32_f16_sdwa v3, v84 dst_sel:DWORD dst_unused:UNUSED_PAD src0_sel:WORD_1
	v_cvt_f32_f16_e32 v2, v84
	v_cvt_f32_f16_sdwa v5, v85 dst_sel:DWORD dst_unused:UNUSED_PAD src0_sel:WORD_1
	v_cvt_f32_f16_e32 v4, v85
	;; [unrolled: 2-line block ×4, first 2 shown]
	s_mul_hi_i32 s35, s29, s6
	s_mul_i32 s34, s29, s6
	s_lshl_b64 s[34:35], s[34:35], 1
	s_waitcnt lgkmcnt(0)
	s_add_u32 s24, s24, s34
	s_addc_u32 s17, s25, s35
	s_and_b32 s25, s17, 0xffff
	s_waitcnt vmcnt(1)
	v_cvt_f32_f16_e32 v26, v6
	v_cvt_f32_f16_sdwa v27, v6 dst_sel:DWORD dst_unused:UNUSED_PAD src0_sel:WORD_1
	v_cvt_f32_f16_e32 v28, v7
	v_cvt_f32_f16_sdwa v29, v7 dst_sel:DWORD dst_unused:UNUSED_PAD src0_sel:WORD_1
	;; [unrolled: 2-line block ×4, first 2 shown]
	s_waitcnt vmcnt(0)
	v_cvt_f32_f16_e32 v6, v12
	v_cvt_f32_f16_sdwa v7, v12 dst_sel:DWORD dst_unused:UNUSED_PAD src0_sel:WORD_1
	v_cvt_f32_f16_e32 v8, v13
	v_cvt_f32_f16_sdwa v9, v13 dst_sel:DWORD dst_unused:UNUSED_PAD src0_sel:WORD_1
	;; [unrolled: 2-line block ×4, first 2 shown]
	v_pk_add_f32 v[54:55], v[22:23], v[6:7]
	v_pk_add_f32 v[24:25], v[24:25], v[8:9]
	v_cvt_f16_f32_e32 v6, v55
	v_cvt_f16_f32_e32 v7, v25
	;; [unrolled: 1-line block ×4, first 2 shown]
	v_pk_add_f32 v[34:35], v[20:21], v[10:11]
	v_pk_add_f32 v[48:49], v[18:19], v[36:37]
	v_pack_b32_f16 v9, v8, v7
	v_pack_b32_f16 v8, v12, v6
	v_cvt_f16_f32_e32 v6, v35
	v_cvt_f16_f32_e32 v7, v34
	v_cvt_f16_f32_e32 v10, v48
	v_pk_add_f32 v[88:89], v[16:17], v[32:33]
	v_pk_add_f32 v[14:15], v[14:15], v[30:31]
	v_pack_b32_f16 v7, v7, v6
	v_cvt_f16_f32_e32 v6, v49
	v_pk_add_f32 v[18:19], v[4:5], v[28:29]
	v_pk_add_f32 v[64:65], v[2:3], v[26:27]
	v_cvt_f16_f32_e32 v4, v18
	v_pack_b32_f16 v6, v10, v6
	buffer_store_dwordx4 v[6:9], v38, s[24:27], 0 offen glc slc
	v_cvt_f16_f32_e32 v5, v19
	v_cvt_f16_f32_e32 v6, v14
	v_cvt_f16_f32_e32 v7, v88
	v_cvt_f16_f32_e32 v8, v89
	v_cvt_f16_f32_e32 v9, v15
	v_cvt_f16_f32_e32 v2, v64
	v_cvt_f16_f32_e32 v3, v65
	v_pack_b32_f16 v7, v7, v8
	v_pack_b32_f16 v6, v6, v9
	;; [unrolled: 1-line block ×4, first 2 shown]
	;;#ASMSTART
	s_nop 0
	;;#ASMEND
	buffer_store_dwordx4 v[4:7], v38, s[24:27], s14 offen glc slc
	;;#ASMSTART
	s_nop 0
	;;#ASMEND
.LBB53_10:
	s_or_b64 exec, exec, s[2:3]
.LBB53_11:
	v_mul_f32_e32 v2, v49, v49
	v_fmac_f32_e32 v2, v48, v48
	v_fmac_f32_e32 v2, v34, v34
	;; [unrolled: 1-line block ×15, first 2 shown]
	s_nop 1
	v_mov_b32_dpp v3, v2 quad_perm:[1,0,3,2] row_mask:0xf bank_mask:0xf
	v_add_f32_e32 v2, v2, v3
	s_nop 1
	v_mov_b32_dpp v3, v2 quad_perm:[2,3,0,1] row_mask:0xf bank_mask:0xf
	v_add_f32_e32 v2, v2, v3
	s_nop 1
	v_mov_b32_dpp v3, v2 row_half_mirror row_mask:0xf bank_mask:0xf
	v_add_f32_e32 v2, v2, v3
	s_nop 1
	v_mov_b32_dpp v3, v2 row_mirror row_mask:0xf bank_mask:0xf
	v_add_f32_e32 v2, v2, v3
	s_nop 1
	v_mov_b32_dpp v3, v2 row_bcast:15 row_mask:0xf bank_mask:0xf
	v_add_f32_e32 v2, v2, v3
	v_and_b32_e32 v3, 63, v0
	v_cmp_eq_u32_e64 s[2:3], 63, v3
	s_nop 0
	v_mov_b32_dpp v3, v2 row_bcast:31 row_mask:0xf bank_mask:0xf
	s_and_saveexec_b64 s[24:25], s[2:3]
	s_cbranch_execz .LBB53_13
; %bb.12:
	v_add_f32_e32 v2, v2, v3
	v_lshrrev_b32_e32 v3, 4, v0
	v_and_b32_e32 v3, 60, v3
	ds_write_b32 v3, v2 offset:32
.LBB53_13:
	s_or_b64 exec, exec, s[24:25]
	v_and_b32_e32 v2, 3, v0
	v_lshlrev_b32_e32 v36, 2, v2
	s_waitcnt lgkmcnt(0)
	s_barrier
	ds_read_b32 v2, v36 offset:32
	s_load_dwordx2 s[34:35], s[4:5], 0x18
	s_waitcnt lgkmcnt(0)
	v_mov_b32_dpp v3, v2 quad_perm:[1,0,3,2] row_mask:0xf bank_mask:0xf
	v_add_f32_e32 v2, v2, v3
	s_nop 1
	v_mov_b32_dpp v3, v2 quad_perm:[2,3,0,1] row_mask:0xf bank_mask:0xf
	s_and_saveexec_b64 s[24:25], s[0:1]
	s_cbranch_execnz .LBB53_18
; %bb.14:
	s_or_b64 exec, exec, s[24:25]
	s_mov_b64 s[8:9], -1
	s_and_b64 vcc, exec, s[22:23]
	s_cbranch_vccnz .LBB53_19
.LBB53_15:
	s_andn2_b64 vcc, exec, s[8:9]
	s_cbranch_vccz .LBB53_22
.LBB53_16:
	s_cmp_lt_i32 s16, 1
	s_cbranch_scc0 .LBB53_31
.LBB53_17:
	s_endpgm
.LBB53_18:
	v_add_f32_e32 v2, v2, v3
	v_cvt_f32_u32_e32 v3, s7
	s_mov_b32 s7, 0x800000
	s_waitcnt vmcnt(1)
	v_cvt_f32_f16_sdwa v17, v76 dst_sel:DWORD dst_unused:UNUSED_PAD src0_sel:WORD_1
	v_cvt_f32_f16_e32 v16, v76
	v_div_scale_f32 v4, s[36:37], v3, v3, v2
	v_rcp_f32_e32 v5, v4
	v_pk_add_f32 v[16:17], v[16:17], 1.0 op_sel_hi:[1,0]
	v_cvt_f32_f16_sdwa v21, v79 dst_sel:DWORD dst_unused:UNUSED_PAD src0_sel:WORD_1
	v_cvt_f32_f16_e32 v20, v79
	v_fma_f32 v6, -v4, v5, 1.0
	v_fmac_f32_e32 v5, v6, v5
	v_div_scale_f32 v6, vcc, v2, v3, v2
	v_mul_f32_e32 v7, v6, v5
	v_fma_f32 v8, -v4, v7, v6
	v_fmac_f32_e32 v7, v8, v5
	v_fma_f32 v4, -v4, v7, v6
	v_div_fmas_f32 v4, v4, v5, v7
	v_div_fixup_f32 v2, v4, v3, v2
	v_mov_b32_e32 v3, s13
	v_mov_b32_e32 v4, s12
	v_cndmask_b32_e64 v3, v3, v4, s[8:9]
	v_add_f32_e32 v2, v3, v2
	v_mul_f32_e32 v3, 0x4b800000, v2
	v_cmp_gt_f32_e32 vcc, s7, v2
	v_cndmask_b32_e32 v2, v2, v3, vcc
	v_rsq_f32_e32 v2, v2
	s_waitcnt vmcnt(0)
	v_cvt_f32_f16_sdwa v23, v74 dst_sel:DWORD dst_unused:UNUSED_PAD src0_sel:WORD_1
	v_cvt_f32_f16_e32 v22, v74
	v_mul_f32_e32 v3, 0x45800000, v2
	v_cndmask_b32_e32 v2, v2, v3, vcc
	v_mov_b32_e32 v3, v2
	;;#ASMSTART
	v_pk_mul_f32 v[4:5], v[48:49], v[2:3]
	;;#ASMEND
	;;#ASMSTART
	v_pk_mul_f32 v[6:7], v[34:35], v[2:3]
	;;#ASMEND
	;; [unrolled: 3-line block ×9, first 2 shown]
	v_cvt_f32_f16_sdwa v5, v77 dst_sel:DWORD dst_unused:UNUSED_PAD src0_sel:WORD_1
	v_cvt_f32_f16_e32 v4, v77
	v_cvt_f32_f16_sdwa v17, v78 dst_sel:DWORD dst_unused:UNUSED_PAD src0_sel:WORD_1
	v_cvt_f32_f16_e32 v16, v78
	v_cvt_f32_f16_sdwa v25, v75 dst_sel:DWORD dst_unused:UNUSED_PAD src0_sel:WORD_1
	v_pk_add_f32 v[4:5], v[4:5], 1.0 op_sel_hi:[1,0]
	;;#ASMSTART
	v_pk_mul_f32 v[34:35], v[6:7], v[4:5]
	;;#ASMEND
	v_pk_add_f32 v[4:5], v[16:17], 1.0 op_sel_hi:[1,0]
	v_pk_add_f32 v[6:7], v[20:21], 1.0 op_sel_hi:[1,0]
	v_cvt_f32_f16_sdwa v17, v72 dst_sel:DWORD dst_unused:UNUSED_PAD src0_sel:WORD_1
	v_cvt_f32_f16_e32 v16, v72
	v_cvt_f32_f16_sdwa v21, v73 dst_sel:DWORD dst_unused:UNUSED_PAD src0_sel:WORD_1
	v_cvt_f32_f16_e32 v20, v73
	v_cvt_f32_f16_e32 v24, v75
	v_pk_add_f32 v[16:17], v[16:17], 1.0 op_sel_hi:[1,0]
	v_pk_add_f32 v[22:23], v[22:23], 1.0 op_sel_hi:[1,0]
	;; [unrolled: 1-line block ×4, first 2 shown]
	;;#ASMSTART
	v_pk_mul_f32 v[54:55], v[8:9], v[4:5]
	;;#ASMEND
	;;#ASMSTART
	v_pk_mul_f32 v[24:25], v[10:11], v[6:7]
	;;#ASMEND
	;; [unrolled: 3-line block ×6, first 2 shown]
	s_or_b64 exec, exec, s[24:25]
	s_mov_b64 s[8:9], -1
	s_and_b64 vcc, exec, s[22:23]
	s_cbranch_vccz .LBB53_15
.LBB53_19:
	s_and_saveexec_b64 s[8:9], s[0:1]
	s_cbranch_execz .LBB53_21
; %bb.20:
	v_cvt_f16_f32_e32 v2, v54
	v_cvt_f16_f32_e32 v3, v24
	;; [unrolled: 1-line block ×4, first 2 shown]
	s_mul_hi_i32 s23, s28, s6
	s_mul_i32 s22, s28, s6
	v_pack_b32_f16 v5, v3, v4
	v_pack_b32_f16 v4, v2, v6
	v_cvt_f16_f32_e32 v2, v34
	v_cvt_f16_f32_e32 v3, v35
	v_cvt_f16_f32_e32 v6, v49
	s_lshl_b64 s[22:23], s[22:23], 1
	s_add_u32 s24, s34, s22
	v_pack_b32_f16 v3, v2, v3
	v_cvt_f16_f32_e32 v2, v48
	s_addc_u32 s7, s35, s23
	s_and_b32 s25, s7, 0xffff
	s_mov_b32 s27, 0x20000
	v_pack_b32_f16 v2, v2, v6
	v_lshlrev_b32_e32 v6, 1, v1
	buffer_store_dwordx4 v[2:5], v6, s[24:27], 0 offen
	v_cvt_f16_f32_e32 v7, v15
	v_cvt_f16_f32_e32 v2, v14
	;; [unrolled: 1-line block ×4, first 2 shown]
	s_movk_i32 s7, 0x400
	;;#ASMSTART
	s_nop 0
	;;#ASMEND
	v_pack_b32_f16 v5, v3, v4
	v_pack_b32_f16 v4, v2, v7
	v_cvt_f16_f32_e32 v2, v18
	v_cvt_f16_f32_e32 v3, v19
	;; [unrolled: 1-line block ×3, first 2 shown]
	v_pack_b32_f16 v3, v2, v3
	v_cvt_f16_f32_e32 v2, v64
	v_pack_b32_f16 v2, v2, v7
	buffer_store_dwordx4 v[2:5], v6, s[24:27], s7 offen
	;;#ASMSTART
	s_nop 0
	;;#ASMEND
.LBB53_21:
	s_or_b64 exec, exec, s[8:9]
	s_cbranch_execnz .LBB53_16
.LBB53_22:
	v_mov_b32_e32 v2, 0
	s_and_saveexec_b64 s[8:9], s[0:1]
	s_cbranch_execz .LBB53_24
; %bb.23:
	v_and_b32_e32 v2, 0x7fffffff, v48
	v_and_b32_e32 v3, 0x7fffffff, v49
	v_mov_b32_e32 v4, 0x2edbe6ff
	;;#ASMSTART
	v_max3_f32 v2, v4, v2, v3

	;;#ASMEND
	v_and_b32_e32 v3, 0x7fffffff, v34
	v_and_b32_e32 v4, 0x7fffffff, v35
	;;#ASMSTART
	v_max3_f32 v2, v2, v3, v4

	;;#ASMEND
	v_and_b32_e32 v3, 0x7fffffff, v54
	v_and_b32_e32 v4, 0x7fffffff, v55
	;; [unrolled: 6-line block ×7, first 2 shown]
	;;#ASMSTART
	v_max3_f32 v2, v2, v3, v4

	;;#ASMEND
.LBB53_24:
	s_or_b64 exec, exec, s[8:9]
	s_nop 0
	v_mov_b32_dpp v3, v2 quad_perm:[1,0,3,2] row_mask:0xf bank_mask:0xf
	v_cmp_gt_f32_e32 vcc, v2, v3
	v_cndmask_b32_e32 v2, v3, v2, vcc
	s_nop 1
	v_mov_b32_dpp v3, v2 quad_perm:[2,3,0,1] row_mask:0xf bank_mask:0xf
	v_cmp_gt_f32_e32 vcc, v2, v3
	v_cndmask_b32_e32 v2, v3, v2, vcc
	s_nop 1
	v_mov_b32_dpp v3, v2 row_half_mirror row_mask:0xf bank_mask:0xf
	v_cmp_gt_f32_e32 vcc, v2, v3
	v_cndmask_b32_e32 v2, v3, v2, vcc
	s_nop 1
	v_mov_b32_dpp v3, v2 row_mirror row_mask:0xf bank_mask:0xf
	v_cmp_gt_f32_e32 vcc, v2, v3
	v_cndmask_b32_e32 v2, v3, v2, vcc
	s_nop 1
	v_mov_b32_dpp v3, v2 row_bcast:15 row_mask:0xf bank_mask:0xf
	v_cmp_gt_f32_e32 vcc, v2, v3
	v_cndmask_b32_e32 v2, v3, v2, vcc
	s_nop 1
	v_mov_b32_dpp v3, v2 row_bcast:31 row_mask:0xf bank_mask:0xf
	s_and_saveexec_b64 s[8:9], s[2:3]
	s_cbranch_execz .LBB53_26
; %bb.25:
	v_cmp_gt_f32_e32 vcc, v2, v3
	v_cndmask_b32_e32 v2, v3, v2, vcc
	v_lshrrev_b32_e32 v3, 4, v0
	v_and_b32_e32 v3, 60, v3
	ds_write_b32 v3, v2
.LBB53_26:
	s_or_b64 exec, exec, s[8:9]
	s_waitcnt lgkmcnt(0)
	s_barrier
	ds_read_b32 v2, v36
	s_waitcnt lgkmcnt(0)
	s_nop 0
	v_mov_b32_dpp v3, v2 quad_perm:[1,0,3,2] row_mask:0xf bank_mask:0xf
	v_cmp_gt_f32_e32 vcc, v2, v3
	v_cndmask_b32_e32 v2, v3, v2, vcc
	s_nop 1
	v_mov_b32_dpp v3, v2 quad_perm:[2,3,0,1] row_mask:0xf bank_mask:0xf
	v_cmp_gt_f32_e32 vcc, v2, v3
	v_cndmask_b32_e32 v2, v3, v2, vcc
	v_mul_f32_e32 v2, 0x3b124925, v2
	v_cmp_eq_u32_e32 vcc, 0, v0
	s_and_saveexec_b64 s[8:9], vcc
	s_cbranch_execz .LBB53_28
; %bb.27:
	s_load_dwordx2 s[22:23], s[4:5], 0x8
	s_mul_hi_i32 s25, s11, s6
	s_mul_i32 s24, s11, s6
	s_lshl_b64 s[24:25], s[24:25], 2
	v_mov_b32_e32 v3, 0
	s_waitcnt lgkmcnt(0)
	s_add_u32 s22, s22, s24
	s_addc_u32 s23, s23, s25
	global_store_dword v3, v2, s[22:23]
.LBB53_28:
	s_or_b64 exec, exec, s[8:9]
	;;#ASMSTART
	v_rcp_f32 v2, v2
	;;#ASMEND
	s_and_saveexec_b64 s[22:23], s[0:1]
	s_cbranch_execz .LBB53_30
; %bb.29:
	s_load_dwordx2 s[0:1], s[4:5], 0x0
	v_mov_b32_e32 v3, v2
	;;#ASMSTART
	v_pk_mul_f32 v[4:5], v[48:49], v[2:3]
	;;#ASMEND
	v_mov_b32_e32 v8, 0xc3e00000
	v_mov_b32_e32 v9, 0x43e00000
	;;#ASMSTART
	v_med3_f32 v4, v4, v8, v9
v_med3_f32 v5, v5, v8, v9
v_cvt_pk_fp8_f32 v6, v4, v5
	;;#ASMEND
	;;#ASMSTART
	v_pk_mul_f32 v[4:5], v[34:35], v[2:3]
	;;#ASMEND
	;;#ASMSTART
	v_med3_f32 v4, v4, v8, v9
v_med3_f32 v5, v5, v8, v9
v_cvt_pk_fp8_f32 v7, v4, v5
	;;#ASMEND
	s_mul_i32 s8, s10, s6
	;;#ASMSTART
	v_pk_mul_f32 v[4:5], v[54:55], v[2:3]
	;;#ASMEND
	s_mul_hi_i32 s7, s10, s6
	s_waitcnt lgkmcnt(0)
	s_add_u32 s8, s0, s8
	;;#ASMSTART
	v_med3_f32 v4, v4, v8, v9
v_med3_f32 v5, v5, v8, v9
v_cvt_pk_fp8_f32 v10, v4, v5
	;;#ASMEND
	s_addc_u32 s0, s1, s7
	s_add_i32 s1, s15, 3
	;;#ASMSTART
	v_pk_mul_f32 v[4:5], v[24:25], v[2:3]
	;;#ASMEND
	s_ashr_i32 s7, s1, 31
	;;#ASMSTART
	v_med3_f32 v4, v4, v8, v9
v_med3_f32 v5, v5, v8, v9
v_cvt_pk_fp8_f32 v11, v4, v5
	;;#ASMEND
	s_lshr_b32 s7, s7, 30
	s_and_b32 s9, s0, 0xffff
	s_mov_b32 s0, 0x5040100
	s_add_i32 s1, s1, s7
	v_perm_b32 v5, v7, v6, s0
	s_movk_i32 s7, 0xff
	v_and_b32_e32 v4, 0xffffff00, v7
	v_and_b32_sdwa v6, v5, s7 dst_sel:DWORD dst_unused:UNUSED_PAD src0_sel:WORD_1 src1_sel:DWORD
	s_and_b32 s10, s1, -4
	s_mov_b32 s1, 0xffff
	v_or_b32_sdwa v4, v6, v4 dst_sel:WORD_1 dst_unused:UNUSED_PAD src0_sel:DWORD src1_sel:DWORD
	v_and_or_b32 v4, v5, s1, v4
	v_lshlrev_b32_e32 v5, 16, v11
	s_mov_b32 s11, 0x20000
	v_and_or_b32 v5, v10, s1, v5
	buffer_store_dwordx2 v[4:5], v1, s[8:11], 0 offen
	;;#ASMSTART
	s_nop 0
	;;#ASMEND
	;;#ASMSTART
	v_pk_mul_f32 v[4:5], v[64:65], v[2:3]
	;;#ASMEND
	;;#ASMSTART
	v_med3_f32 v4, v4, v8, v9
v_med3_f32 v5, v5, v8, v9
v_cvt_pk_fp8_f32 v6, v4, v5
	;;#ASMEND
	;;#ASMSTART
	v_pk_mul_f32 v[4:5], v[18:19], v[2:3]
	;;#ASMEND
	;;#ASMSTART
	v_med3_f32 v4, v4, v8, v9
v_med3_f32 v5, v5, v8, v9
v_cvt_pk_fp8_f32 v7, v4, v5
	;;#ASMEND
	v_perm_b32 v5, v7, v6, s0
	v_and_b32_e32 v4, 0xffffff00, v7
	v_and_b32_sdwa v6, v5, s7 dst_sel:DWORD dst_unused:UNUSED_PAD src0_sel:WORD_1 src1_sel:DWORD
	v_or_b32_sdwa v4, v6, v4 dst_sel:WORD_1 dst_unused:UNUSED_PAD src0_sel:DWORD src1_sel:DWORD
	v_and_or_b32 v4, v5, s1, v4
	;;#ASMSTART
	v_pk_mul_f32 v[6:7], v[14:15], v[2:3]
	;;#ASMEND
	v_mov_b32_e32 v5, v7
	;;#ASMSTART
	v_med3_f32 v6, v6, v8, v9
v_med3_f32 v5, v5, v8, v9
v_cvt_pk_fp8_f32 v7, v6, v5
	;;#ASMEND
	;;#ASMSTART
	v_pk_mul_f32 v[2:3], v[88:89], v[2:3]
	;;#ASMEND
	;;#ASMSTART
	v_med3_f32 v2, v2, v8, v9
v_med3_f32 v3, v3, v8, v9
v_cvt_pk_fp8_f32 v5, v2, v3
	;;#ASMEND
	v_lshlrev_b32_e32 v2, 16, v5
	v_and_or_b32 v5, v7, s1, v2
	s_movk_i32 s0, 0x200
	buffer_store_dwordx2 v[4:5], v1, s[8:11], s0 offen
	;;#ASMSTART
	s_nop 0
	;;#ASMEND
.LBB53_30:
	s_or_b64 exec, exec, s[22:23]
	s_cmp_lt_i32 s16, 1
	s_cbranch_scc1 .LBB53_17
.LBB53_31:
	s_load_dword s0, s[4:5], 0x94
	s_waitcnt lgkmcnt(0)
	s_cmp_lg_u32 s0, 1
	s_cbranch_scc1 .LBB53_17
; %bb.32:
	s_lshl_b32 s0, s16, 1
	s_add_i32 s0, s0, 2
	v_cmp_gt_u32_e32 vcc, s16, v1
	s_and_b32 s22, s0, -4
	v_mov_b32_e32 v18, 0
	v_lshlrev_b32_e32 v1, 1, v1
	v_mov_b32_e32 v14, 0
	v_mov_b32_e32 v15, 0
	;; [unrolled: 1-line block ×16, first 2 shown]
	s_barrier
	s_and_saveexec_b64 s[0:1], vcc
	s_cbranch_execz .LBB53_34
; %bb.33:
	s_mul_hi_i32 s5, s18, s6
	s_mul_i32 s4, s18, s6
	s_and_b32 s21, s21, 0xffff
	s_lshl_b64 s[4:5], s[4:5], 1
	s_add_u32 s8, s30, s4
	s_mov_b32 s23, 0x20000
	s_addc_u32 s4, s31, s5
	s_and_b32 s9, s4, 0xffff
	s_mov_b32 s10, s22
	s_mov_b32 s11, s23
	s_movk_i32 s4, 0x400
	buffer_load_dwordx4 v[14:17], v1, s[8:11], 0 offen glc slc
	buffer_load_dwordx4 v[10:13], v1, s[8:11], s4 offen glc slc
	buffer_load_dwordx4 v[6:9], v1, s[20:23], 0 offen
	buffer_load_dwordx4 v[2:5], v1, s[20:23], s4 offen
.LBB53_34:
	s_or_b64 exec, exec, s[0:1]
	v_mov_b32_e32 v19, 0
	v_mov_b32_e32 v32, 0
	;; [unrolled: 1-line block ×15, first 2 shown]
	s_and_saveexec_b64 s[0:1], vcc
	s_cbranch_execz .LBB53_36
; %bb.35:
	s_waitcnt vmcnt(3)
	v_cvt_f32_f16_sdwa v19, v14 dst_sel:DWORD dst_unused:UNUSED_PAD src0_sel:WORD_1
	v_cvt_f32_f16_e32 v18, v14
	v_cvt_f32_f16_sdwa v33, v15 dst_sel:DWORD dst_unused:UNUSED_PAD src0_sel:WORD_1
	v_cvt_f32_f16_e32 v32, v15
	;; [unrolled: 2-line block ×4, first 2 shown]
	s_waitcnt vmcnt(2)
	v_cvt_f32_f16_sdwa v27, v10 dst_sel:DWORD dst_unused:UNUSED_PAD src0_sel:WORD_1
	v_cvt_f32_f16_e32 v26, v10
	v_cvt_f32_f16_sdwa v25, v11 dst_sel:DWORD dst_unused:UNUSED_PAD src0_sel:WORD_1
	v_cvt_f32_f16_e32 v24, v11
	;; [unrolled: 2-line block ×4, first 2 shown]
.LBB53_36:
	s_or_b64 exec, exec, s[0:1]
	s_waitcnt vmcnt(2)
	v_mul_f32_e32 v10, v19, v19
	v_fmac_f32_e32 v10, v18, v18
	v_fmac_f32_e32 v10, v32, v32
	;; [unrolled: 1-line block ×15, first 2 shown]
	s_nop 1
	v_mov_b32_dpp v11, v10 quad_perm:[1,0,3,2] row_mask:0xf bank_mask:0xf
	v_add_f32_e32 v10, v10, v11
	s_nop 1
	v_mov_b32_dpp v11, v10 quad_perm:[2,3,0,1] row_mask:0xf bank_mask:0xf
	v_add_f32_e32 v10, v10, v11
	s_nop 1
	v_mov_b32_dpp v11, v10 row_half_mirror row_mask:0xf bank_mask:0xf
	v_add_f32_e32 v10, v10, v11
	s_nop 1
	v_mov_b32_dpp v11, v10 row_mirror row_mask:0xf bank_mask:0xf
	v_add_f32_e32 v10, v10, v11
	s_nop 1
	v_mov_b32_dpp v11, v10 row_bcast:15 row_mask:0xf bank_mask:0xf
	v_add_f32_e32 v10, v10, v11
	s_nop 1
	v_mov_b32_dpp v11, v10 row_bcast:31 row_mask:0xf bank_mask:0xf
	s_and_saveexec_b64 s[0:1], s[2:3]
	s_cbranch_execz .LBB53_38
; %bb.37:
	v_lshrrev_b32_e32 v0, 4, v0
	v_add_f32_e32 v10, v10, v11
	v_and_b32_e32 v0, 60, v0
	ds_write_b32 v0, v10 offset:16
.LBB53_38:
	s_or_b64 exec, exec, s[0:1]
	s_waitcnt lgkmcnt(0)
	s_barrier
	ds_read_b32 v0, v36 offset:16
	s_waitcnt lgkmcnt(0)
	s_nop 0
	v_mov_b32_dpp v10, v0 quad_perm:[1,0,3,2] row_mask:0xf bank_mask:0xf
	v_add_f32_e32 v0, v0, v10
	s_nop 1
	v_mov_b32_dpp v10, v0 quad_perm:[2,3,0,1] row_mask:0xf bank_mask:0xf
	s_and_saveexec_b64 s[0:1], vcc
	s_cbranch_execz .LBB53_17
; %bb.39:
	v_cvt_f32_u32_e32 v11, s16
	v_add_f32_e32 v0, v0, v10
	s_mov_b32 s23, 0x20000
	v_div_scale_f32 v10, s[0:1], v11, v11, v0
	v_rcp_f32_e32 v12, v10
	v_div_scale_f32 v13, vcc, v0, v11, v0
	s_mov_b32 s0, 0x800000
	v_fma_f32 v14, -v10, v12, 1.0
	v_fmac_f32_e32 v12, v14, v12
	v_mul_f32_e32 v14, v13, v12
	v_fma_f32 v15, -v10, v14, v13
	v_fmac_f32_e32 v14, v15, v12
	v_fma_f32 v10, -v10, v14, v13
	v_div_fmas_f32 v10, v10, v12, v14
	v_div_fixup_f32 v0, v10, v11, v0
	v_add_f32_e32 v0, s13, v0
	v_mul_f32_e32 v10, 0x4b800000, v0
	v_cmp_gt_f32_e32 vcc, s0, v0
	v_cndmask_b32_e32 v0, v0, v10, vcc
	v_rsq_f32_e32 v0, v0
	s_mul_hi_i32 s1, s28, s6
	s_mul_i32 s0, s28, s6
	s_lshl_b64 s[0:1], s[0:1], 1
	v_mul_f32_e32 v10, 0x45800000, v0
	v_cndmask_b32_e32 v10, v0, v10, vcc
	v_mov_b32_e32 v11, v10
	;;#ASMSTART
	v_pk_mul_f32 v[12:13], v[18:19], v[10:11]
	;;#ASMEND
	;;#ASMSTART
	v_pk_mul_f32 v[14:15], v[32:33], v[10:11]
	;;#ASMEND
	;; [unrolled: 3-line block ×4, first 2 shown]
	s_waitcnt vmcnt(1)
	v_cvt_f32_f16_sdwa v29, v6 dst_sel:DWORD dst_unused:UNUSED_PAD src0_sel:WORD_1
	v_cvt_f32_f16_e32 v28, v6
	v_cvt_f32_f16_sdwa v31, v7 dst_sel:DWORD dst_unused:UNUSED_PAD src0_sel:WORD_1
	v_cvt_f32_f16_e32 v30, v7
	;;#ASMSTART
	v_pk_mul_f32 v[26:27], v[26:27], v[10:11]
	;;#ASMEND
	;;#ASMSTART
	v_pk_mul_f32 v[24:25], v[24:25], v[10:11]
	;;#ASMEND
	;; [unrolled: 3-line block ×4, first 2 shown]
	v_cvt_f32_f16_sdwa v21, v8 dst_sel:DWORD dst_unused:UNUSED_PAD src0_sel:WORD_1
	v_cvt_f32_f16_e32 v20, v8
	v_pk_add_f32 v[10:11], v[28:29], 1.0 op_sel_hi:[1,0]
	;;#ASMSTART
	v_pk_mul_f32 v[10:11], v[12:13], v[10:11]
	;;#ASMEND
	v_pk_add_f32 v[12:13], v[30:31], 1.0 op_sel_hi:[1,0]
	v_cvt_f32_f16_sdwa v29, v9 dst_sel:DWORD dst_unused:UNUSED_PAD src0_sel:WORD_1
	v_cvt_f32_f16_e32 v28, v9
	;;#ASMSTART
	v_pk_mul_f32 v[8:9], v[14:15], v[12:13]
	;;#ASMEND
	v_pk_add_f32 v[12:13], v[20:21], 1.0 op_sel_hi:[1,0]
	;;#ASMSTART
	v_pk_mul_f32 v[12:13], v[16:17], v[12:13]
	;;#ASMEND
	s_waitcnt vmcnt(0)
	v_cvt_f32_f16_sdwa v17, v2 dst_sel:DWORD dst_unused:UNUSED_PAD src0_sel:WORD_1
	v_cvt_f32_f16_e32 v16, v2
	v_cvt_f32_f16_sdwa v21, v3 dst_sel:DWORD dst_unused:UNUSED_PAD src0_sel:WORD_1
	v_cvt_f32_f16_e32 v20, v3
	v_pk_add_f32 v[14:15], v[28:29], 1.0 op_sel_hi:[1,0]
	;;#ASMSTART
	v_pk_mul_f32 v[2:3], v[18:19], v[14:15]
	;;#ASMEND
	v_cvt_f32_f16_sdwa v19, v4 dst_sel:DWORD dst_unused:UNUSED_PAD src0_sel:WORD_1
	v_cvt_f32_f16_e32 v18, v4
	v_pk_add_f32 v[14:15], v[16:17], 1.0 op_sel_hi:[1,0]
	v_pk_add_f32 v[16:17], v[20:21], 1.0 op_sel_hi:[1,0]
	v_cvt_f32_f16_sdwa v21, v5 dst_sel:DWORD dst_unused:UNUSED_PAD src0_sel:WORD_1
	v_cvt_f32_f16_e32 v20, v5
	v_pk_add_f32 v[4:5], v[18:19], 1.0 op_sel_hi:[1,0]
	;;#ASMSTART
	v_pk_mul_f32 v[14:15], v[26:27], v[14:15]
	;;#ASMEND
	;;#ASMSTART
	v_pk_mul_f32 v[16:17], v[24:25], v[16:17]
	;;#ASMEND
	;;#ASMSTART
	v_pk_mul_f32 v[18:19], v[22:23], v[4:5]
	;;#ASMEND
	v_pk_add_f32 v[4:5], v[20:21], 1.0 op_sel_hi:[1,0]
	;;#ASMSTART
	v_pk_mul_f32 v[6:7], v[6:7], v[4:5]
	;;#ASMEND
	v_cvt_f16_f32_e32 v0, v10
	v_cvt_f16_f32_e32 v4, v11
	;; [unrolled: 1-line block ×8, first 2 shown]
	s_add_u32 s20, s34, s0
	s_addc_u32 s0, s35, s1
	s_and_b32 s21, s0, 0xffff
	v_pack_b32_f16 v2, v0, v4
	v_pack_b32_f16 v3, v5, v8
	v_pack_b32_f16 v4, v9, v10
	v_pack_b32_f16 v5, v11, v12
	buffer_store_dwordx4 v[2:5], v1, s[20:23], 0 offen
	v_cvt_f16_f32_e32 v0, v14
	v_cvt_f16_f32_e32 v2, v15
	;; [unrolled: 1-line block ×8, first 2 shown]
	v_pack_b32_f16 v2, v0, v2
	v_pack_b32_f16 v3, v3, v4
	;; [unrolled: 1-line block ×4, first 2 shown]
	s_movk_i32 s0, 0x400
	;;#ASMSTART
	s_nop 0
	;;#ASMEND
	buffer_store_dwordx4 v[2:5], v1, s[20:23], s0 offen
	;;#ASMSTART
	s_nop 0
	;;#ASMEND
	s_endpgm
	.section	.rodata,"a",@progbits
	.p2align	6, 0x0
	.amdhsa_kernel _ZN5aiter35fused_qk_rmsnorm_group_quant_kernelIDF16_DB8_Li256ELi16ELi1ELb1ELb0ELb1ELb0ELb1ELb1EEEvPT0_PvPT_S6_S6_PKS5_S8_S8_S8_S8_ffiiiiiiiiiiiii
		.amdhsa_group_segment_fixed_size 48
		.amdhsa_private_segment_fixed_size 0
		.amdhsa_kernarg_size 400
		.amdhsa_user_sgpr_count 6
		.amdhsa_user_sgpr_private_segment_buffer 1
		.amdhsa_user_sgpr_dispatch_ptr 0
		.amdhsa_user_sgpr_queue_ptr 0
		.amdhsa_user_sgpr_kernarg_segment_ptr 1
		.amdhsa_user_sgpr_dispatch_id 0
		.amdhsa_user_sgpr_flat_scratch_init 0
		.amdhsa_user_sgpr_kernarg_preload_length 0
		.amdhsa_user_sgpr_kernarg_preload_offset 0
		.amdhsa_user_sgpr_private_segment_size 0
		.amdhsa_uses_dynamic_stack 0
		.amdhsa_system_sgpr_private_segment_wavefront_offset 0
		.amdhsa_system_sgpr_workgroup_id_x 1
		.amdhsa_system_sgpr_workgroup_id_y 1
		.amdhsa_system_sgpr_workgroup_id_z 0
		.amdhsa_system_sgpr_workgroup_info 0
		.amdhsa_system_vgpr_workitem_id 0
		.amdhsa_next_free_vgpr 90
		.amdhsa_next_free_sgpr 40
		.amdhsa_accum_offset 92
		.amdhsa_reserve_vcc 1
		.amdhsa_reserve_flat_scratch 0
		.amdhsa_float_round_mode_32 0
		.amdhsa_float_round_mode_16_64 0
		.amdhsa_float_denorm_mode_32 3
		.amdhsa_float_denorm_mode_16_64 3
		.amdhsa_dx10_clamp 1
		.amdhsa_ieee_mode 1
		.amdhsa_fp16_overflow 0
		.amdhsa_tg_split 0
		.amdhsa_exception_fp_ieee_invalid_op 0
		.amdhsa_exception_fp_denorm_src 0
		.amdhsa_exception_fp_ieee_div_zero 0
		.amdhsa_exception_fp_ieee_overflow 0
		.amdhsa_exception_fp_ieee_underflow 0
		.amdhsa_exception_fp_ieee_inexact 0
		.amdhsa_exception_int_div_zero 0
	.end_amdhsa_kernel
	.section	.text._ZN5aiter35fused_qk_rmsnorm_group_quant_kernelIDF16_DB8_Li256ELi16ELi1ELb1ELb0ELb1ELb0ELb1ELb1EEEvPT0_PvPT_S6_S6_PKS5_S8_S8_S8_S8_ffiiiiiiiiiiiii,"axG",@progbits,_ZN5aiter35fused_qk_rmsnorm_group_quant_kernelIDF16_DB8_Li256ELi16ELi1ELb1ELb0ELb1ELb0ELb1ELb1EEEvPT0_PvPT_S6_S6_PKS5_S8_S8_S8_S8_ffiiiiiiiiiiiii,comdat
.Lfunc_end53:
	.size	_ZN5aiter35fused_qk_rmsnorm_group_quant_kernelIDF16_DB8_Li256ELi16ELi1ELb1ELb0ELb1ELb0ELb1ELb1EEEvPT0_PvPT_S6_S6_PKS5_S8_S8_S8_S8_ffiiiiiiiiiiiii, .Lfunc_end53-_ZN5aiter35fused_qk_rmsnorm_group_quant_kernelIDF16_DB8_Li256ELi16ELi1ELb1ELb0ELb1ELb0ELb1ELb1EEEvPT0_PvPT_S6_S6_PKS5_S8_S8_S8_S8_ffiiiiiiiiiiiii
                                        ; -- End function
	.section	.AMDGPU.csdata,"",@progbits
; Kernel info:
; codeLenInByte = 4432
; NumSgprs: 44
; NumVgprs: 90
; NumAgprs: 0
; TotalNumVgprs: 90
; ScratchSize: 0
; MemoryBound: 0
; FloatMode: 240
; IeeeMode: 1
; LDSByteSize: 48 bytes/workgroup (compile time only)
; SGPRBlocks: 5
; VGPRBlocks: 11
; NumSGPRsForWavesPerEU: 44
; NumVGPRsForWavesPerEU: 90
; AccumOffset: 92
; Occupancy: 5
; WaveLimiterHint : 0
; COMPUTE_PGM_RSRC2:SCRATCH_EN: 0
; COMPUTE_PGM_RSRC2:USER_SGPR: 6
; COMPUTE_PGM_RSRC2:TRAP_HANDLER: 0
; COMPUTE_PGM_RSRC2:TGID_X_EN: 1
; COMPUTE_PGM_RSRC2:TGID_Y_EN: 1
; COMPUTE_PGM_RSRC2:TGID_Z_EN: 0
; COMPUTE_PGM_RSRC2:TIDIG_COMP_CNT: 0
; COMPUTE_PGM_RSRC3_GFX90A:ACCUM_OFFSET: 22
; COMPUTE_PGM_RSRC3_GFX90A:TG_SPLIT: 0
	.section	.text._ZN5aiter35fused_qk_rmsnorm_group_quant_kernelItDB8_Li256ELi16ELi1ELb1ELb0ELb1ELb0ELb1ELb1EEEvPT0_PvPT_S6_S6_PKS5_S8_S8_S8_S8_ffiiiiiiiiiiiii,"axG",@progbits,_ZN5aiter35fused_qk_rmsnorm_group_quant_kernelItDB8_Li256ELi16ELi1ELb1ELb0ELb1ELb0ELb1ELb1EEEvPT0_PvPT_S6_S6_PKS5_S8_S8_S8_S8_ffiiiiiiiiiiiii,comdat
	.protected	_ZN5aiter35fused_qk_rmsnorm_group_quant_kernelItDB8_Li256ELi16ELi1ELb1ELb0ELb1ELb0ELb1ELb1EEEvPT0_PvPT_S6_S6_PKS5_S8_S8_S8_S8_ffiiiiiiiiiiiii ; -- Begin function _ZN5aiter35fused_qk_rmsnorm_group_quant_kernelItDB8_Li256ELi16ELi1ELb1ELb0ELb1ELb0ELb1ELb1EEEvPT0_PvPT_S6_S6_PKS5_S8_S8_S8_S8_ffiiiiiiiiiiiii
	.globl	_ZN5aiter35fused_qk_rmsnorm_group_quant_kernelItDB8_Li256ELi16ELi1ELb1ELb0ELb1ELb0ELb1ELb1EEEvPT0_PvPT_S6_S6_PKS5_S8_S8_S8_S8_ffiiiiiiiiiiiii
	.p2align	8
	.type	_ZN5aiter35fused_qk_rmsnorm_group_quant_kernelItDB8_Li256ELi16ELi1ELb1ELb0ELb1ELb0ELb1ELb1EEEvPT0_PvPT_S6_S6_PKS5_S8_S8_S8_S8_ffiiiiiiiiiiiii,@function
_ZN5aiter35fused_qk_rmsnorm_group_quant_kernelItDB8_Li256ELi16ELi1ELb1ELb0ELb1ELb0ELb1ELb1EEEvPT0_PvPT_S6_S6_PKS5_S8_S8_S8_S8_ffiiiiiiiiiiiii: ; @_ZN5aiter35fused_qk_rmsnorm_group_quant_kernelItDB8_Li256ELi16ELi1ELb1ELb0ELb1ELb0ELb1ELb1EEEvPT0_PvPT_S6_S6_PKS5_S8_S8_S8_S8_ffiiiiiiiiiiiii
; %bb.0:
	s_load_dwordx8 s[12:19], s[4:5], 0x50
	s_waitcnt lgkmcnt(0)
	s_cmp_ge_i32 s6, s14
	s_cbranch_scc1 .LBB54_17
; %bb.1:
	s_cmp_lg_u32 s7, 0
	s_cselect_b64 s[22:23], -1, 0
	s_cmp_eq_u32 s7, 0
	s_cselect_b64 s[8:9], -1, 0
	s_and_b64 s[0:1], s[8:9], exec
	s_cselect_b32 s7, s15, s16
	s_add_i32 s0, s7, 1
	s_load_dwordx2 s[10:11], s[4:5], 0x70
	s_load_dwordx2 s[20:21], s[4:5], 0x48
	;; [unrolled: 1-line block ×3, first 2 shown]
	s_lshr_b32 s1, s0, 31
	s_add_i32 s0, s0, s1
	s_lshl_b32 s0, s0, 1
	v_lshlrev_b32_e32 v2, 4, v0
	s_and_b32 s26, s0, -4
	v_lshlrev_b32_e32 v1, 3, v0
	v_and_b32_e32 v2, 0x3c00, v2
	s_movk_i32 s0, 0x1f8
	v_and_or_b32 v1, v1, s0, v2
	v_cmp_gt_i32_e64 s[0:1], s7, v1
	v_mov_b32_e32 v78, 0
	v_mov_b32_e32 v79, 0
	;; [unrolled: 1-line block ×16, first 2 shown]
	s_and_saveexec_b64 s[2:3], s[0:1]
	s_cbranch_execz .LBB54_3
; %bb.2:
	s_load_dwordx2 s[24:25], s[4:5], 0x28
	s_load_dwordx2 s[28:29], s[4:5], 0x40
	s_and_b64 s[34:35], s[8:9], exec
	s_cselect_b32 s14, s17, s18
	s_mov_b32 s38, s26
	s_waitcnt lgkmcnt(0)
	s_cselect_b32 s17, s25, s31
	s_cselect_b32 s27, s24, s30
	s_mul_hi_i32 s25, s14, s6
	s_mul_i32 s24, s14, s6
	s_lshl_b64 s[24:25], s[24:25], 1
	s_add_u32 s36, s27, s24
	s_addc_u32 s14, s17, s25
	s_and_b64 s[24:25], s[8:9], exec
	s_mov_b32 s27, 0x20000
	s_cselect_b32 s24, s28, s20
	s_cselect_b32 s17, s29, s21
	s_and_b32 s37, s14, 0xffff
	s_mov_b32 s39, s27
	v_lshlrev_b32_e32 v2, 1, v1
	s_and_b32 s25, s17, 0xffff
	s_movk_i32 s14, 0x400
	buffer_load_dwordx4 v[82:85], v2, s[36:39], 0 offen glc slc
	buffer_load_dwordx4 v[86:89], v2, s[36:39], s14 offen glc slc
	buffer_load_dwordx4 v[78:81], v2, s[24:27], 0 offen
	buffer_load_dwordx4 v[74:77], v2, s[24:27], s14 offen
.LBB54_3:
	s_or_b64 exec, exec, s[2:3]
	s_load_dwordx2 s[28:29], s[4:5], 0x80
	s_and_b64 vcc, exec, s[22:23]
	s_cbranch_vccz .LBB54_7
; %bb.4:
	v_mov_b32_e32 v91, 0
	v_mov_b32_e32 v90, 0
	;; [unrolled: 1-line block ×16, first 2 shown]
	s_and_saveexec_b64 s[2:3], s[0:1]
	s_cbranch_execz .LBB54_6
; %bb.5:
	s_waitcnt vmcnt(3)
	v_cvt_f32_u32_sdwa v56, v82 dst_sel:DWORD dst_unused:UNUSED_PAD src0_sel:WORD_0
	v_cvt_f32_u32_sdwa v57, v82 dst_sel:DWORD dst_unused:UNUSED_PAD src0_sel:WORD_1
	v_cvt_f32_u32_sdwa v42, v83 dst_sel:DWORD dst_unused:UNUSED_PAD src0_sel:WORD_0
	v_cvt_f32_u32_sdwa v43, v83 dst_sel:DWORD dst_unused:UNUSED_PAD src0_sel:WORD_1
	;; [unrolled: 2-line block ×4, first 2 shown]
	s_waitcnt vmcnt(2)
	v_cvt_f32_u32_sdwa v24, v86 dst_sel:DWORD dst_unused:UNUSED_PAD src0_sel:WORD_0
	v_cvt_f32_u32_sdwa v25, v86 dst_sel:DWORD dst_unused:UNUSED_PAD src0_sel:WORD_1
	v_cvt_f32_u32_sdwa v18, v87 dst_sel:DWORD dst_unused:UNUSED_PAD src0_sel:WORD_0
	v_cvt_f32_u32_sdwa v19, v87 dst_sel:DWORD dst_unused:UNUSED_PAD src0_sel:WORD_1
	;; [unrolled: 2-line block ×4, first 2 shown]
.LBB54_6:
	s_or_b64 exec, exec, s[2:3]
	s_cbranch_execz .LBB54_8
	s_branch .LBB54_11
.LBB54_7:
                                        ; implicit-def: $vgpr40_vgpr41_vgpr42_vgpr43_vgpr44_vgpr45_vgpr46_vgpr47_vgpr48_vgpr49_vgpr50_vgpr51_vgpr52_vgpr53_vgpr54_vgpr55
                                        ; implicit-def: $vgpr26_vgpr27_vgpr28_vgpr29_vgpr30_vgpr31_vgpr32_vgpr33_vgpr34_vgpr35_vgpr36_vgpr37_vgpr38_vgpr39_vgpr40_vgpr41
                                        ; implicit-def: $vgpr56_vgpr57_vgpr58_vgpr59_vgpr60_vgpr61_vgpr62_vgpr63_vgpr64_vgpr65_vgpr66_vgpr67_vgpr68_vgpr69_vgpr70_vgpr71
                                        ; implicit-def: $vgpr91
                                        ; implicit-def: $vgpr58_vgpr59_vgpr60_vgpr61_vgpr62_vgpr63_vgpr64_vgpr65_vgpr66_vgpr67_vgpr68_vgpr69_vgpr70_vgpr71_vgpr72_vgpr73
                                        ; implicit-def: $vgpr16_vgpr17_vgpr18_vgpr19_vgpr20_vgpr21_vgpr22_vgpr23_vgpr24_vgpr25_vgpr26_vgpr27_vgpr28_vgpr29_vgpr30_vgpr31
                                        ; implicit-def: $vgpr8_vgpr9_vgpr10_vgpr11_vgpr12_vgpr13_vgpr14_vgpr15_vgpr16_vgpr17_vgpr18_vgpr19_vgpr20_vgpr21_vgpr22_vgpr23
                                        ; implicit-def: $vgpr2_vgpr3_vgpr4_vgpr5_vgpr6_vgpr7_vgpr8_vgpr9_vgpr10_vgpr11_vgpr12_vgpr13_vgpr14_vgpr15_vgpr16_vgpr17
.LBB54_8:
	v_mov_b32_e32 v91, 0
	v_mov_b32_e32 v90, 0
	;; [unrolled: 1-line block ×16, first 2 shown]
	s_and_saveexec_b64 s[2:3], s[0:1]
	s_cbranch_execz .LBB54_10
; %bb.9:
	s_load_dwordx2 s[24:25], s[4:5], 0x38
	s_mul_hi_i32 s35, s19, s6
	s_mul_i32 s34, s19, s6
	s_lshl_b64 s[34:35], s[34:35], 1
	s_mov_b32 s27, 0x20000
	s_waitcnt lgkmcnt(0)
	s_add_u32 s24, s24, s34
	s_addc_u32 s14, s25, s35
	s_and_b32 s25, s14, 0xffff
	v_lshlrev_b32_e32 v38, 1, v1
	s_movk_i32 s14, 0x400
	buffer_load_dwordx4 v[4:7], v38, s[24:27], s14 offen glc slc
	buffer_load_dwordx4 v[8:11], v38, s[24:27], 0 offen glc slc
	s_load_dwordx2 s[24:25], s[4:5], 0x20
	s_waitcnt vmcnt(5)
	v_cvt_f32_u32_sdwa v19, v82 dst_sel:DWORD dst_unused:UNUSED_PAD src0_sel:WORD_1
	v_cvt_f32_u32_sdwa v18, v82 dst_sel:DWORD dst_unused:UNUSED_PAD src0_sel:WORD_0
	v_cvt_f32_u32_sdwa v21, v83 dst_sel:DWORD dst_unused:UNUSED_PAD src0_sel:WORD_1
	v_cvt_f32_u32_sdwa v20, v83 dst_sel:DWORD dst_unused:UNUSED_PAD src0_sel:WORD_0
	;; [unrolled: 2-line block ×4, first 2 shown]
	s_waitcnt vmcnt(4)
	v_cvt_f32_u32_sdwa v3, v86 dst_sel:DWORD dst_unused:UNUSED_PAD src0_sel:WORD_1
	v_cvt_f32_u32_sdwa v2, v86 dst_sel:DWORD dst_unused:UNUSED_PAD src0_sel:WORD_0
	v_cvt_f32_u32_sdwa v13, v87 dst_sel:DWORD dst_unused:UNUSED_PAD src0_sel:WORD_1
	v_cvt_f32_u32_sdwa v12, v87 dst_sel:DWORD dst_unused:UNUSED_PAD src0_sel:WORD_0
	;; [unrolled: 2-line block ×3, first 2 shown]
	v_cvt_f32_u32_sdwa v16, v89 dst_sel:DWORD dst_unused:UNUSED_PAD src0_sel:WORD_0
	v_cvt_f32_u32_sdwa v17, v89 dst_sel:DWORD dst_unused:UNUSED_PAD src0_sel:WORD_1
	s_mul_hi_i32 s35, s29, s6
	s_mul_i32 s34, s29, s6
	s_lshl_b64 s[34:35], s[34:35], 1
	s_waitcnt lgkmcnt(0)
	s_add_u32 s24, s24, s34
	s_mov_b32 s17, 0x7060302
	s_addc_u32 s19, s25, s35
	s_and_b32 s25, s19, 0xffff
	s_waitcnt vmcnt(1)
	v_cvt_f32_u32_sdwa v27, v4 dst_sel:DWORD dst_unused:UNUSED_PAD src0_sel:WORD_1
	v_cvt_f32_u32_sdwa v26, v4 dst_sel:DWORD dst_unused:UNUSED_PAD src0_sel:WORD_0
	v_cvt_f32_u32_sdwa v29, v5 dst_sel:DWORD dst_unused:UNUSED_PAD src0_sel:WORD_1
	v_cvt_f32_u32_sdwa v28, v5 dst_sel:DWORD dst_unused:UNUSED_PAD src0_sel:WORD_0
	;; [unrolled: 2-line block ×3, first 2 shown]
	v_cvt_f32_u32_sdwa v34, v7 dst_sel:DWORD dst_unused:UNUSED_PAD src0_sel:WORD_0
	v_cvt_f32_u32_sdwa v35, v7 dst_sel:DWORD dst_unused:UNUSED_PAD src0_sel:WORD_1
	s_waitcnt vmcnt(0)
	v_cvt_f32_u32_sdwa v37, v8 dst_sel:DWORD dst_unused:UNUSED_PAD src0_sel:WORD_1
	v_cvt_f32_u32_sdwa v36, v8 dst_sel:DWORD dst_unused:UNUSED_PAD src0_sel:WORD_0
	v_cvt_f32_u32_sdwa v5, v10 dst_sel:DWORD dst_unused:UNUSED_PAD src0_sel:WORD_1
	v_cvt_f32_u32_sdwa v4, v10 dst_sel:DWORD dst_unused:UNUSED_PAD src0_sel:WORD_0
	;; [unrolled: 2-line block ×4, first 2 shown]
	v_pk_add_f32 v[62:63], v[22:23], v[4:5]
	v_pk_add_f32 v[32:33], v[24:25], v[6:7]
	;; [unrolled: 1-line block ×4, first 2 shown]
	v_perm_b32 v7, v33, v32, s17
	v_perm_b32 v6, v63, v62, s17
	;; [unrolled: 1-line block ×4, first 2 shown]
	v_pk_add_f32 v[90:91], v[16:17], v[34:35]
	v_pk_add_f32 v[14:15], v[14:15], v[30:31]
	v_pk_add_f32 v[18:19], v[12:13], v[28:29]
	v_pk_add_f32 v[24:25], v[2:3], v[26:27]
	buffer_store_dwordx4 v[4:7], v38, s[24:27], 0 offen glc slc
	;;#ASMSTART
	s_nop 0
	;;#ASMEND
	s_nop 0
	v_perm_b32 v7, v91, v90, s17
	v_perm_b32 v6, v15, v14, s17
	;; [unrolled: 1-line block ×4, first 2 shown]
	buffer_store_dwordx4 v[4:7], v38, s[24:27], s14 offen glc slc
	;;#ASMSTART
	s_nop 0
	;;#ASMEND
.LBB54_10:
	s_or_b64 exec, exec, s[2:3]
.LBB54_11:
	v_mul_f32_e32 v2, v57, v57
	v_fmac_f32_e32 v2, v56, v56
	v_fmac_f32_e32 v2, v42, v42
	;; [unrolled: 1-line block ×15, first 2 shown]
	s_nop 1
	v_mov_b32_dpp v3, v2 quad_perm:[1,0,3,2] row_mask:0xf bank_mask:0xf
	v_add_f32_e32 v2, v2, v3
	s_nop 1
	v_mov_b32_dpp v3, v2 quad_perm:[2,3,0,1] row_mask:0xf bank_mask:0xf
	v_add_f32_e32 v2, v2, v3
	s_nop 1
	v_mov_b32_dpp v3, v2 row_half_mirror row_mask:0xf bank_mask:0xf
	v_add_f32_e32 v2, v2, v3
	s_nop 1
	v_mov_b32_dpp v3, v2 row_mirror row_mask:0xf bank_mask:0xf
	v_add_f32_e32 v2, v2, v3
	s_nop 1
	v_mov_b32_dpp v3, v2 row_bcast:15 row_mask:0xf bank_mask:0xf
	v_add_f32_e32 v2, v2, v3
	v_and_b32_e32 v3, 63, v0
	v_cmp_eq_u32_e64 s[2:3], 63, v3
	s_nop 0
	v_mov_b32_dpp v3, v2 row_bcast:31 row_mask:0xf bank_mask:0xf
	s_and_saveexec_b64 s[24:25], s[2:3]
	s_cbranch_execz .LBB54_13
; %bb.12:
	v_add_f32_e32 v2, v2, v3
	v_lshrrev_b32_e32 v3, 4, v0
	v_and_b32_e32 v3, 60, v3
	ds_write_b32 v3, v2 offset:32
.LBB54_13:
	s_or_b64 exec, exec, s[24:25]
	v_and_b32_e32 v2, 3, v0
	v_lshlrev_b32_e32 v34, 2, v2
	s_waitcnt lgkmcnt(0)
	s_barrier
	ds_read_b32 v2, v34 offset:32
	s_load_dwordx2 s[34:35], s[4:5], 0x18
	s_waitcnt lgkmcnt(0)
	v_mov_b32_dpp v3, v2 quad_perm:[1,0,3,2] row_mask:0xf bank_mask:0xf
	v_add_f32_e32 v2, v2, v3
	s_nop 1
	v_mov_b32_dpp v3, v2 quad_perm:[2,3,0,1] row_mask:0xf bank_mask:0xf
	s_and_saveexec_b64 s[24:25], s[0:1]
	s_cbranch_execnz .LBB54_18
; %bb.14:
	s_or_b64 exec, exec, s[24:25]
	s_mov_b64 s[8:9], -1
	s_and_b64 vcc, exec, s[22:23]
	s_cbranch_vccnz .LBB54_19
.LBB54_15:
	s_andn2_b64 vcc, exec, s[8:9]
	s_cbranch_vccz .LBB54_22
.LBB54_16:
	s_cmp_lt_i32 s16, 1
	s_cbranch_scc0 .LBB54_31
.LBB54_17:
	s_endpgm
.LBB54_18:
	v_add_f32_e32 v2, v2, v3
	v_cvt_f32_u32_e32 v3, s7
	s_mov_b32 s7, 0x800000
	s_waitcnt vmcnt(1)
	v_cvt_f32_u32_sdwa v17, v78 dst_sel:DWORD dst_unused:UNUSED_PAD src0_sel:WORD_1
	v_cvt_f32_u32_sdwa v16, v78 dst_sel:DWORD dst_unused:UNUSED_PAD src0_sel:WORD_0
	v_div_scale_f32 v4, s[36:37], v3, v3, v2
	v_rcp_f32_e32 v5, v4
	v_pk_add_f32 v[16:17], v[16:17], 1.0 op_sel_hi:[1,0]
	v_cvt_f32_u32_sdwa v21, v81 dst_sel:DWORD dst_unused:UNUSED_PAD src0_sel:WORD_1
	v_cvt_f32_u32_sdwa v20, v81 dst_sel:DWORD dst_unused:UNUSED_PAD src0_sel:WORD_0
	v_fma_f32 v6, -v4, v5, 1.0
	v_fmac_f32_e32 v5, v6, v5
	v_div_scale_f32 v6, vcc, v2, v3, v2
	v_mul_f32_e32 v7, v6, v5
	v_fma_f32 v8, -v4, v7, v6
	v_fmac_f32_e32 v7, v8, v5
	v_fma_f32 v4, -v4, v7, v6
	v_div_fmas_f32 v4, v4, v5, v7
	v_div_fixup_f32 v2, v4, v3, v2
	v_mov_b32_e32 v3, s13
	v_mov_b32_e32 v4, s12
	v_cndmask_b32_e64 v3, v3, v4, s[8:9]
	v_add_f32_e32 v2, v3, v2
	v_mul_f32_e32 v3, 0x4b800000, v2
	v_cmp_gt_f32_e32 vcc, s7, v2
	v_cndmask_b32_e32 v2, v2, v3, vcc
	v_rsq_f32_e32 v2, v2
	s_waitcnt vmcnt(0)
	v_cvt_f32_u32_sdwa v23, v76 dst_sel:DWORD dst_unused:UNUSED_PAD src0_sel:WORD_1
	v_cvt_f32_u32_sdwa v22, v76 dst_sel:DWORD dst_unused:UNUSED_PAD src0_sel:WORD_0
	v_mul_f32_e32 v3, 0x45800000, v2
	v_cndmask_b32_e32 v2, v2, v3, vcc
	v_mov_b32_e32 v3, v2
	;;#ASMSTART
	v_pk_mul_f32 v[4:5], v[56:57], v[2:3]
	;;#ASMEND
	;;#ASMSTART
	v_pk_mul_f32 v[6:7], v[42:43], v[2:3]
	;;#ASMEND
	;; [unrolled: 3-line block ×9, first 2 shown]
	v_cvt_f32_u32_sdwa v5, v79 dst_sel:DWORD dst_unused:UNUSED_PAD src0_sel:WORD_1
	v_cvt_f32_u32_sdwa v4, v79 dst_sel:DWORD dst_unused:UNUSED_PAD src0_sel:WORD_0
	v_cvt_f32_u32_sdwa v17, v80 dst_sel:DWORD dst_unused:UNUSED_PAD src0_sel:WORD_1
	v_cvt_f32_u32_sdwa v16, v80 dst_sel:DWORD dst_unused:UNUSED_PAD src0_sel:WORD_0
	v_cvt_f32_u32_sdwa v25, v77 dst_sel:DWORD dst_unused:UNUSED_PAD src0_sel:WORD_1
	v_pk_add_f32 v[4:5], v[4:5], 1.0 op_sel_hi:[1,0]
	;;#ASMSTART
	v_pk_mul_f32 v[42:43], v[6:7], v[4:5]
	;;#ASMEND
	v_pk_add_f32 v[4:5], v[16:17], 1.0 op_sel_hi:[1,0]
	v_pk_add_f32 v[6:7], v[20:21], 1.0 op_sel_hi:[1,0]
	v_cvt_f32_u32_sdwa v17, v74 dst_sel:DWORD dst_unused:UNUSED_PAD src0_sel:WORD_1
	v_cvt_f32_u32_sdwa v16, v74 dst_sel:DWORD dst_unused:UNUSED_PAD src0_sel:WORD_0
	v_cvt_f32_u32_sdwa v21, v75 dst_sel:DWORD dst_unused:UNUSED_PAD src0_sel:WORD_1
	v_cvt_f32_u32_sdwa v20, v75 dst_sel:DWORD dst_unused:UNUSED_PAD src0_sel:WORD_0
	v_cvt_f32_u32_sdwa v24, v77 dst_sel:DWORD dst_unused:UNUSED_PAD src0_sel:WORD_0
	v_pk_add_f32 v[16:17], v[16:17], 1.0 op_sel_hi:[1,0]
	v_pk_add_f32 v[22:23], v[22:23], 1.0 op_sel_hi:[1,0]
	;; [unrolled: 1-line block ×4, first 2 shown]
	;;#ASMSTART
	v_pk_mul_f32 v[62:63], v[8:9], v[4:5]
	;;#ASMEND
	;;#ASMSTART
	v_pk_mul_f32 v[32:33], v[10:11], v[6:7]
	;;#ASMEND
	;; [unrolled: 3-line block ×6, first 2 shown]
	s_or_b64 exec, exec, s[24:25]
	s_mov_b64 s[8:9], -1
	s_and_b64 vcc, exec, s[22:23]
	s_cbranch_vccz .LBB54_15
.LBB54_19:
	s_and_saveexec_b64 s[8:9], s[0:1]
	s_cbranch_execz .LBB54_21
; %bb.20:
	s_mul_hi_i32 s23, s28, s6
	s_mul_i32 s22, s28, s6
	s_lshl_b64 s[22:23], s[22:23], 1
	s_add_u32 s24, s34, s22
	s_addc_u32 s7, s35, s23
	s_and_b32 s25, s7, 0xffff
	s_mov_b32 s7, 0x7060302
	s_mov_b32 s27, 0x20000
	v_perm_b32 v5, v33, v32, s7
	v_perm_b32 v4, v63, v62, s7
	;; [unrolled: 1-line block ×4, first 2 shown]
	v_lshlrev_b32_e32 v6, 1, v1
	buffer_store_dwordx4 v[2:5], v6, s[24:27], 0 offen
	;;#ASMSTART
	s_nop 0
	;;#ASMEND
	s_nop 0
	v_perm_b32 v5, v91, v90, s7
	v_perm_b32 v4, v15, v14, s7
	;; [unrolled: 1-line block ×4, first 2 shown]
	s_movk_i32 s7, 0x400
	buffer_store_dwordx4 v[2:5], v6, s[24:27], s7 offen
	;;#ASMSTART
	s_nop 0
	;;#ASMEND
.LBB54_21:
	s_or_b64 exec, exec, s[8:9]
	s_cbranch_execnz .LBB54_16
.LBB54_22:
	v_mov_b32_e32 v2, 0
	s_and_saveexec_b64 s[8:9], s[0:1]
	s_cbranch_execz .LBB54_24
; %bb.23:
	v_and_b32_e32 v2, 0x7fffffff, v56
	v_and_b32_e32 v3, 0x7fffffff, v57
	v_mov_b32_e32 v4, 0x2edbe6ff
	;;#ASMSTART
	v_max3_f32 v2, v4, v2, v3

	;;#ASMEND
	v_and_b32_e32 v3, 0x7fffffff, v42
	v_and_b32_e32 v4, 0x7fffffff, v43
	;;#ASMSTART
	v_max3_f32 v2, v2, v3, v4

	;;#ASMEND
	v_and_b32_e32 v3, 0x7fffffff, v62
	v_and_b32_e32 v4, 0x7fffffff, v63
	;;#ASMSTART
	v_max3_f32 v2, v2, v3, v4

	;;#ASMEND
	v_and_b32_e32 v3, 0x7fffffff, v32
	v_and_b32_e32 v4, 0x7fffffff, v33
	;;#ASMSTART
	v_max3_f32 v2, v2, v3, v4

	;;#ASMEND
	v_and_b32_e32 v3, 0x7fffffff, v24
	v_and_b32_e32 v4, 0x7fffffff, v25
	;;#ASMSTART
	v_max3_f32 v2, v2, v3, v4

	;;#ASMEND
	v_and_b32_e32 v3, 0x7fffffff, v18
	v_and_b32_e32 v4, 0x7fffffff, v19
	;;#ASMSTART
	v_max3_f32 v2, v2, v3, v4

	;;#ASMEND
	v_and_b32_e32 v3, 0x7fffffff, v14
	v_and_b32_e32 v4, 0x7fffffff, v15
	;;#ASMSTART
	v_max3_f32 v2, v2, v3, v4

	;;#ASMEND
	v_and_b32_e32 v3, 0x7fffffff, v90
	v_and_b32_e32 v4, 0x7fffffff, v91
	;;#ASMSTART
	v_max3_f32 v2, v2, v3, v4

	;;#ASMEND
.LBB54_24:
	s_or_b64 exec, exec, s[8:9]
	s_nop 0
	v_mov_b32_dpp v3, v2 quad_perm:[1,0,3,2] row_mask:0xf bank_mask:0xf
	v_cmp_gt_f32_e32 vcc, v2, v3
	v_cndmask_b32_e32 v2, v3, v2, vcc
	s_nop 1
	v_mov_b32_dpp v3, v2 quad_perm:[2,3,0,1] row_mask:0xf bank_mask:0xf
	v_cmp_gt_f32_e32 vcc, v2, v3
	v_cndmask_b32_e32 v2, v3, v2, vcc
	s_nop 1
	v_mov_b32_dpp v3, v2 row_half_mirror row_mask:0xf bank_mask:0xf
	v_cmp_gt_f32_e32 vcc, v2, v3
	v_cndmask_b32_e32 v2, v3, v2, vcc
	s_nop 1
	v_mov_b32_dpp v3, v2 row_mirror row_mask:0xf bank_mask:0xf
	v_cmp_gt_f32_e32 vcc, v2, v3
	v_cndmask_b32_e32 v2, v3, v2, vcc
	s_nop 1
	v_mov_b32_dpp v3, v2 row_bcast:15 row_mask:0xf bank_mask:0xf
	v_cmp_gt_f32_e32 vcc, v2, v3
	v_cndmask_b32_e32 v2, v3, v2, vcc
	s_nop 1
	v_mov_b32_dpp v3, v2 row_bcast:31 row_mask:0xf bank_mask:0xf
	s_and_saveexec_b64 s[8:9], s[2:3]
	s_cbranch_execz .LBB54_26
; %bb.25:
	v_cmp_gt_f32_e32 vcc, v2, v3
	v_cndmask_b32_e32 v2, v3, v2, vcc
	v_lshrrev_b32_e32 v3, 4, v0
	v_and_b32_e32 v3, 60, v3
	ds_write_b32 v3, v2
.LBB54_26:
	s_or_b64 exec, exec, s[8:9]
	s_waitcnt lgkmcnt(0)
	s_barrier
	ds_read_b32 v2, v34
	s_waitcnt lgkmcnt(0)
	s_nop 0
	v_mov_b32_dpp v3, v2 quad_perm:[1,0,3,2] row_mask:0xf bank_mask:0xf
	v_cmp_gt_f32_e32 vcc, v2, v3
	v_cndmask_b32_e32 v2, v3, v2, vcc
	s_nop 1
	v_mov_b32_dpp v3, v2 quad_perm:[2,3,0,1] row_mask:0xf bank_mask:0xf
	v_cmp_gt_f32_e32 vcc, v2, v3
	v_cndmask_b32_e32 v2, v3, v2, vcc
	v_mul_f32_e32 v2, 0x3b124925, v2
	v_cmp_eq_u32_e32 vcc, 0, v0
	s_and_saveexec_b64 s[8:9], vcc
	s_cbranch_execz .LBB54_28
; %bb.27:
	s_load_dwordx2 s[22:23], s[4:5], 0x8
	s_mul_hi_i32 s25, s11, s6
	s_mul_i32 s24, s11, s6
	s_lshl_b64 s[24:25], s[24:25], 2
	v_mov_b32_e32 v3, 0
	s_waitcnt lgkmcnt(0)
	s_add_u32 s22, s22, s24
	s_addc_u32 s23, s23, s25
	global_store_dword v3, v2, s[22:23]
.LBB54_28:
	s_or_b64 exec, exec, s[8:9]
	;;#ASMSTART
	v_rcp_f32 v2, v2
	;;#ASMEND
	s_and_saveexec_b64 s[22:23], s[0:1]
	s_cbranch_execz .LBB54_30
; %bb.29:
	s_load_dwordx2 s[0:1], s[4:5], 0x0
	v_mov_b32_e32 v3, v2
	;;#ASMSTART
	v_pk_mul_f32 v[4:5], v[56:57], v[2:3]
	;;#ASMEND
	v_mov_b32_e32 v8, 0xc3e00000
	v_mov_b32_e32 v9, 0x43e00000
	;;#ASMSTART
	v_med3_f32 v4, v4, v8, v9
v_med3_f32 v5, v5, v8, v9
v_cvt_pk_fp8_f32 v6, v4, v5
	;;#ASMEND
	;;#ASMSTART
	v_pk_mul_f32 v[4:5], v[42:43], v[2:3]
	;;#ASMEND
	;;#ASMSTART
	v_med3_f32 v4, v4, v8, v9
v_med3_f32 v5, v5, v8, v9
v_cvt_pk_fp8_f32 v7, v4, v5
	;;#ASMEND
	s_mul_i32 s8, s10, s6
	;;#ASMSTART
	v_pk_mul_f32 v[4:5], v[62:63], v[2:3]
	;;#ASMEND
	s_mul_hi_i32 s7, s10, s6
	s_waitcnt lgkmcnt(0)
	s_add_u32 s8, s0, s8
	;;#ASMSTART
	v_med3_f32 v4, v4, v8, v9
v_med3_f32 v5, v5, v8, v9
v_cvt_pk_fp8_f32 v10, v4, v5
	;;#ASMEND
	s_addc_u32 s0, s1, s7
	s_add_i32 s1, s15, 3
	;;#ASMSTART
	v_pk_mul_f32 v[4:5], v[32:33], v[2:3]
	;;#ASMEND
	s_ashr_i32 s7, s1, 31
	;;#ASMSTART
	v_med3_f32 v4, v4, v8, v9
v_med3_f32 v5, v5, v8, v9
v_cvt_pk_fp8_f32 v11, v4, v5
	;;#ASMEND
	s_lshr_b32 s7, s7, 30
	s_and_b32 s9, s0, 0xffff
	s_mov_b32 s0, 0x5040100
	s_add_i32 s1, s1, s7
	v_perm_b32 v5, v7, v6, s0
	s_movk_i32 s7, 0xff
	v_and_b32_e32 v4, 0xffffff00, v7
	v_and_b32_sdwa v6, v5, s7 dst_sel:DWORD dst_unused:UNUSED_PAD src0_sel:WORD_1 src1_sel:DWORD
	s_and_b32 s10, s1, -4
	s_mov_b32 s1, 0xffff
	v_or_b32_sdwa v4, v6, v4 dst_sel:WORD_1 dst_unused:UNUSED_PAD src0_sel:DWORD src1_sel:DWORD
	v_and_or_b32 v4, v5, s1, v4
	v_lshlrev_b32_e32 v5, 16, v11
	s_mov_b32 s11, 0x20000
	v_and_or_b32 v5, v10, s1, v5
	buffer_store_dwordx2 v[4:5], v1, s[8:11], 0 offen
	;;#ASMSTART
	s_nop 0
	;;#ASMEND
	;;#ASMSTART
	v_pk_mul_f32 v[4:5], v[24:25], v[2:3]
	;;#ASMEND
	;;#ASMSTART
	v_med3_f32 v4, v4, v8, v9
v_med3_f32 v5, v5, v8, v9
v_cvt_pk_fp8_f32 v6, v4, v5
	;;#ASMEND
	;;#ASMSTART
	v_pk_mul_f32 v[4:5], v[18:19], v[2:3]
	;;#ASMEND
	;;#ASMSTART
	v_med3_f32 v4, v4, v8, v9
v_med3_f32 v5, v5, v8, v9
v_cvt_pk_fp8_f32 v7, v4, v5
	;;#ASMEND
	v_perm_b32 v5, v7, v6, s0
	v_and_b32_e32 v4, 0xffffff00, v7
	v_and_b32_sdwa v6, v5, s7 dst_sel:DWORD dst_unused:UNUSED_PAD src0_sel:WORD_1 src1_sel:DWORD
	v_or_b32_sdwa v4, v6, v4 dst_sel:WORD_1 dst_unused:UNUSED_PAD src0_sel:DWORD src1_sel:DWORD
	v_and_or_b32 v4, v5, s1, v4
	;;#ASMSTART
	v_pk_mul_f32 v[6:7], v[14:15], v[2:3]
	;;#ASMEND
	v_mov_b32_e32 v5, v7
	;;#ASMSTART
	v_med3_f32 v6, v6, v8, v9
v_med3_f32 v5, v5, v8, v9
v_cvt_pk_fp8_f32 v7, v6, v5
	;;#ASMEND
	;;#ASMSTART
	v_pk_mul_f32 v[2:3], v[90:91], v[2:3]
	;;#ASMEND
	;;#ASMSTART
	v_med3_f32 v2, v2, v8, v9
v_med3_f32 v3, v3, v8, v9
v_cvt_pk_fp8_f32 v5, v2, v3
	;;#ASMEND
	v_lshlrev_b32_e32 v2, 16, v5
	v_and_or_b32 v5, v7, s1, v2
	s_movk_i32 s0, 0x200
	buffer_store_dwordx2 v[4:5], v1, s[8:11], s0 offen
	;;#ASMSTART
	s_nop 0
	;;#ASMEND
.LBB54_30:
	s_or_b64 exec, exec, s[22:23]
	s_cmp_lt_i32 s16, 1
	s_cbranch_scc1 .LBB54_17
.LBB54_31:
	s_load_dword s0, s[4:5], 0x94
	s_waitcnt lgkmcnt(0)
	s_cmp_lg_u32 s0, 1
	s_cbranch_scc1 .LBB54_17
; %bb.32:
	s_lshl_b32 s0, s16, 1
	s_add_i32 s0, s0, 2
	v_cmp_gt_u32_e32 vcc, s16, v1
	s_and_b32 s22, s0, -4
	v_mov_b32_e32 v18, 0
	v_lshlrev_b32_e32 v1, 1, v1
	v_mov_b32_e32 v14, 0
	v_mov_b32_e32 v15, 0
	;; [unrolled: 1-line block ×16, first 2 shown]
	s_barrier
	s_and_saveexec_b64 s[0:1], vcc
	s_cbranch_execz .LBB54_34
; %bb.33:
	s_mul_hi_i32 s5, s18, s6
	s_mul_i32 s4, s18, s6
	s_and_b32 s21, s21, 0xffff
	s_lshl_b64 s[4:5], s[4:5], 1
	s_add_u32 s8, s30, s4
	s_mov_b32 s23, 0x20000
	s_addc_u32 s4, s31, s5
	s_and_b32 s9, s4, 0xffff
	s_mov_b32 s10, s22
	s_mov_b32 s11, s23
	s_movk_i32 s4, 0x400
	buffer_load_dwordx4 v[14:17], v1, s[8:11], 0 offen glc slc
	buffer_load_dwordx4 v[10:13], v1, s[8:11], s4 offen glc slc
	buffer_load_dwordx4 v[6:9], v1, s[20:23], 0 offen
	buffer_load_dwordx4 v[2:5], v1, s[20:23], s4 offen
.LBB54_34:
	s_or_b64 exec, exec, s[0:1]
	v_mov_b32_e32 v19, 0
	v_mov_b32_e32 v32, 0
	;; [unrolled: 1-line block ×15, first 2 shown]
	s_and_saveexec_b64 s[0:1], vcc
	s_cbranch_execz .LBB54_36
; %bb.35:
	s_waitcnt vmcnt(3)
	v_cvt_f32_u32_sdwa v18, v14 dst_sel:DWORD dst_unused:UNUSED_PAD src0_sel:WORD_0
	v_cvt_f32_u32_sdwa v19, v14 dst_sel:DWORD dst_unused:UNUSED_PAD src0_sel:WORD_1
	v_cvt_f32_u32_sdwa v32, v15 dst_sel:DWORD dst_unused:UNUSED_PAD src0_sel:WORD_0
	v_cvt_f32_u32_sdwa v33, v15 dst_sel:DWORD dst_unused:UNUSED_PAD src0_sel:WORD_1
	;; [unrolled: 2-line block ×4, first 2 shown]
	s_waitcnt vmcnt(2)
	v_cvt_f32_u32_sdwa v26, v10 dst_sel:DWORD dst_unused:UNUSED_PAD src0_sel:WORD_0
	v_cvt_f32_u32_sdwa v27, v10 dst_sel:DWORD dst_unused:UNUSED_PAD src0_sel:WORD_1
	v_cvt_f32_u32_sdwa v24, v11 dst_sel:DWORD dst_unused:UNUSED_PAD src0_sel:WORD_0
	v_cvt_f32_u32_sdwa v25, v11 dst_sel:DWORD dst_unused:UNUSED_PAD src0_sel:WORD_1
	;; [unrolled: 2-line block ×4, first 2 shown]
.LBB54_36:
	s_or_b64 exec, exec, s[0:1]
	s_waitcnt vmcnt(2)
	v_mul_f32_e32 v10, v19, v19
	v_fmac_f32_e32 v10, v18, v18
	v_fmac_f32_e32 v10, v32, v32
	;; [unrolled: 1-line block ×15, first 2 shown]
	s_nop 1
	v_mov_b32_dpp v11, v10 quad_perm:[1,0,3,2] row_mask:0xf bank_mask:0xf
	v_add_f32_e32 v10, v10, v11
	s_nop 1
	v_mov_b32_dpp v11, v10 quad_perm:[2,3,0,1] row_mask:0xf bank_mask:0xf
	v_add_f32_e32 v10, v10, v11
	s_nop 1
	v_mov_b32_dpp v11, v10 row_half_mirror row_mask:0xf bank_mask:0xf
	v_add_f32_e32 v10, v10, v11
	s_nop 1
	v_mov_b32_dpp v11, v10 row_mirror row_mask:0xf bank_mask:0xf
	v_add_f32_e32 v10, v10, v11
	s_nop 1
	v_mov_b32_dpp v11, v10 row_bcast:15 row_mask:0xf bank_mask:0xf
	v_add_f32_e32 v10, v10, v11
	s_nop 1
	v_mov_b32_dpp v11, v10 row_bcast:31 row_mask:0xf bank_mask:0xf
	s_and_saveexec_b64 s[0:1], s[2:3]
	s_cbranch_execz .LBB54_38
; %bb.37:
	v_lshrrev_b32_e32 v0, 4, v0
	v_add_f32_e32 v10, v10, v11
	v_and_b32_e32 v0, 60, v0
	ds_write_b32 v0, v10 offset:16
.LBB54_38:
	s_or_b64 exec, exec, s[0:1]
	s_waitcnt lgkmcnt(0)
	s_barrier
	ds_read_b32 v0, v34 offset:16
	s_waitcnt lgkmcnt(0)
	s_nop 0
	v_mov_b32_dpp v10, v0 quad_perm:[1,0,3,2] row_mask:0xf bank_mask:0xf
	v_add_f32_e32 v0, v0, v10
	s_nop 1
	v_mov_b32_dpp v10, v0 quad_perm:[2,3,0,1] row_mask:0xf bank_mask:0xf
	s_and_saveexec_b64 s[0:1], vcc
	s_cbranch_execz .LBB54_17
; %bb.39:
	v_cvt_f32_u32_e32 v11, s16
	v_add_f32_e32 v0, v0, v10
	s_mov_b32 s23, 0x20000
	v_div_scale_f32 v10, s[0:1], v11, v11, v0
	v_rcp_f32_e32 v12, v10
	v_div_scale_f32 v13, vcc, v0, v11, v0
	s_mov_b32 s0, 0x800000
	v_fma_f32 v14, -v10, v12, 1.0
	v_fmac_f32_e32 v12, v14, v12
	v_mul_f32_e32 v14, v13, v12
	v_fma_f32 v15, -v10, v14, v13
	v_fmac_f32_e32 v14, v15, v12
	v_fma_f32 v10, -v10, v14, v13
	v_div_fmas_f32 v10, v10, v12, v14
	v_div_fixup_f32 v0, v10, v11, v0
	v_add_f32_e32 v0, s13, v0
	v_mul_f32_e32 v10, 0x4b800000, v0
	v_cmp_gt_f32_e32 vcc, s0, v0
	v_cndmask_b32_e32 v0, v0, v10, vcc
	v_rsq_f32_e32 v0, v0
	s_mul_hi_i32 s1, s28, s6
	s_mul_i32 s0, s28, s6
	s_lshl_b64 s[0:1], s[0:1], 1
	v_mul_f32_e32 v10, 0x45800000, v0
	v_cndmask_b32_e32 v10, v0, v10, vcc
	v_mov_b32_e32 v11, v10
	;;#ASMSTART
	v_pk_mul_f32 v[12:13], v[18:19], v[10:11]
	;;#ASMEND
	;;#ASMSTART
	v_pk_mul_f32 v[14:15], v[32:33], v[10:11]
	;;#ASMEND
	;; [unrolled: 3-line block ×4, first 2 shown]
	s_waitcnt vmcnt(1)
	v_cvt_f32_u32_sdwa v29, v6 dst_sel:DWORD dst_unused:UNUSED_PAD src0_sel:WORD_1
	v_cvt_f32_u32_sdwa v28, v6 dst_sel:DWORD dst_unused:UNUSED_PAD src0_sel:WORD_0
	v_cvt_f32_u32_sdwa v31, v7 dst_sel:DWORD dst_unused:UNUSED_PAD src0_sel:WORD_1
	v_cvt_f32_u32_sdwa v30, v7 dst_sel:DWORD dst_unused:UNUSED_PAD src0_sel:WORD_0
	;;#ASMSTART
	v_pk_mul_f32 v[26:27], v[26:27], v[10:11]
	;;#ASMEND
	;;#ASMSTART
	v_pk_mul_f32 v[24:25], v[24:25], v[10:11]
	;;#ASMEND
	;; [unrolled: 3-line block ×4, first 2 shown]
	v_cvt_f32_u32_sdwa v21, v8 dst_sel:DWORD dst_unused:UNUSED_PAD src0_sel:WORD_1
	v_cvt_f32_u32_sdwa v20, v8 dst_sel:DWORD dst_unused:UNUSED_PAD src0_sel:WORD_0
	v_pk_add_f32 v[10:11], v[28:29], 1.0 op_sel_hi:[1,0]
	;;#ASMSTART
	v_pk_mul_f32 v[10:11], v[12:13], v[10:11]
	;;#ASMEND
	v_pk_add_f32 v[12:13], v[30:31], 1.0 op_sel_hi:[1,0]
	v_cvt_f32_u32_sdwa v29, v9 dst_sel:DWORD dst_unused:UNUSED_PAD src0_sel:WORD_1
	v_cvt_f32_u32_sdwa v28, v9 dst_sel:DWORD dst_unused:UNUSED_PAD src0_sel:WORD_0
	;;#ASMSTART
	v_pk_mul_f32 v[8:9], v[14:15], v[12:13]
	;;#ASMEND
	v_pk_add_f32 v[12:13], v[20:21], 1.0 op_sel_hi:[1,0]
	;;#ASMSTART
	v_pk_mul_f32 v[12:13], v[16:17], v[12:13]
	;;#ASMEND
	s_waitcnt vmcnt(0)
	v_cvt_f32_u32_sdwa v17, v2 dst_sel:DWORD dst_unused:UNUSED_PAD src0_sel:WORD_1
	v_cvt_f32_u32_sdwa v16, v2 dst_sel:DWORD dst_unused:UNUSED_PAD src0_sel:WORD_0
	v_cvt_f32_u32_sdwa v21, v3 dst_sel:DWORD dst_unused:UNUSED_PAD src0_sel:WORD_1
	v_cvt_f32_u32_sdwa v20, v3 dst_sel:DWORD dst_unused:UNUSED_PAD src0_sel:WORD_0
	v_pk_add_f32 v[14:15], v[28:29], 1.0 op_sel_hi:[1,0]
	;;#ASMSTART
	v_pk_mul_f32 v[14:15], v[18:19], v[14:15]
	;;#ASMEND
	v_pk_add_f32 v[2:3], v[16:17], 1.0 op_sel_hi:[1,0]
	v_cvt_f32_u32_sdwa v19, v4 dst_sel:DWORD dst_unused:UNUSED_PAD src0_sel:WORD_1
	v_cvt_f32_u32_sdwa v18, v4 dst_sel:DWORD dst_unused:UNUSED_PAD src0_sel:WORD_0
	;;#ASMSTART
	v_pk_mul_f32 v[16:17], v[26:27], v[2:3]
	;;#ASMEND
	v_pk_add_f32 v[2:3], v[20:21], 1.0 op_sel_hi:[1,0]
	v_cvt_f32_u32_sdwa v21, v5 dst_sel:DWORD dst_unused:UNUSED_PAD src0_sel:WORD_1
	v_cvt_f32_u32_sdwa v20, v5 dst_sel:DWORD dst_unused:UNUSED_PAD src0_sel:WORD_0
	s_add_u32 s20, s34, s0
	;;#ASMSTART
	v_pk_mul_f32 v[24:25], v[24:25], v[2:3]
	;;#ASMEND
	v_pk_add_f32 v[2:3], v[18:19], 1.0 op_sel_hi:[1,0]
	s_addc_u32 s0, s35, s1
	;;#ASMSTART
	v_pk_mul_f32 v[18:19], v[22:23], v[2:3]
	;;#ASMEND
	v_pk_add_f32 v[2:3], v[20:21], 1.0 op_sel_hi:[1,0]
	s_and_b32 s21, s0, 0xffff
	s_mov_b32 s0, 0x7060302
	;;#ASMSTART
	v_pk_mul_f32 v[6:7], v[6:7], v[2:3]
	;;#ASMEND
	v_perm_b32 v2, v11, v10, s0
	v_perm_b32 v3, v9, v8, s0
	;; [unrolled: 1-line block ×4, first 2 shown]
	buffer_store_dwordx4 v[2:5], v1, s[20:23], 0 offen
	;;#ASMSTART
	s_nop 0
	;;#ASMEND
	s_nop 0
	v_perm_b32 v2, v17, v16, s0
	v_perm_b32 v3, v25, v24, s0
	;; [unrolled: 1-line block ×4, first 2 shown]
	s_movk_i32 s0, 0x400
	buffer_store_dwordx4 v[2:5], v1, s[20:23], s0 offen
	;;#ASMSTART
	s_nop 0
	;;#ASMEND
	s_endpgm
	.section	.rodata,"a",@progbits
	.p2align	6, 0x0
	.amdhsa_kernel _ZN5aiter35fused_qk_rmsnorm_group_quant_kernelItDB8_Li256ELi16ELi1ELb1ELb0ELb1ELb0ELb1ELb1EEEvPT0_PvPT_S6_S6_PKS5_S8_S8_S8_S8_ffiiiiiiiiiiiii
		.amdhsa_group_segment_fixed_size 48
		.amdhsa_private_segment_fixed_size 0
		.amdhsa_kernarg_size 400
		.amdhsa_user_sgpr_count 6
		.amdhsa_user_sgpr_private_segment_buffer 1
		.amdhsa_user_sgpr_dispatch_ptr 0
		.amdhsa_user_sgpr_queue_ptr 0
		.amdhsa_user_sgpr_kernarg_segment_ptr 1
		.amdhsa_user_sgpr_dispatch_id 0
		.amdhsa_user_sgpr_flat_scratch_init 0
		.amdhsa_user_sgpr_kernarg_preload_length 0
		.amdhsa_user_sgpr_kernarg_preload_offset 0
		.amdhsa_user_sgpr_private_segment_size 0
		.amdhsa_uses_dynamic_stack 0
		.amdhsa_system_sgpr_private_segment_wavefront_offset 0
		.amdhsa_system_sgpr_workgroup_id_x 1
		.amdhsa_system_sgpr_workgroup_id_y 1
		.amdhsa_system_sgpr_workgroup_id_z 0
		.amdhsa_system_sgpr_workgroup_info 0
		.amdhsa_system_vgpr_workitem_id 0
		.amdhsa_next_free_vgpr 92
		.amdhsa_next_free_sgpr 40
		.amdhsa_accum_offset 92
		.amdhsa_reserve_vcc 1
		.amdhsa_reserve_flat_scratch 0
		.amdhsa_float_round_mode_32 0
		.amdhsa_float_round_mode_16_64 0
		.amdhsa_float_denorm_mode_32 3
		.amdhsa_float_denorm_mode_16_64 3
		.amdhsa_dx10_clamp 1
		.amdhsa_ieee_mode 1
		.amdhsa_fp16_overflow 0
		.amdhsa_tg_split 0
		.amdhsa_exception_fp_ieee_invalid_op 0
		.amdhsa_exception_fp_denorm_src 0
		.amdhsa_exception_fp_ieee_div_zero 0
		.amdhsa_exception_fp_ieee_overflow 0
		.amdhsa_exception_fp_ieee_underflow 0
		.amdhsa_exception_fp_ieee_inexact 0
		.amdhsa_exception_int_div_zero 0
	.end_amdhsa_kernel
	.section	.text._ZN5aiter35fused_qk_rmsnorm_group_quant_kernelItDB8_Li256ELi16ELi1ELb1ELb0ELb1ELb0ELb1ELb1EEEvPT0_PvPT_S6_S6_PKS5_S8_S8_S8_S8_ffiiiiiiiiiiiii,"axG",@progbits,_ZN5aiter35fused_qk_rmsnorm_group_quant_kernelItDB8_Li256ELi16ELi1ELb1ELb0ELb1ELb0ELb1ELb1EEEvPT0_PvPT_S6_S6_PKS5_S8_S8_S8_S8_ffiiiiiiiiiiiii,comdat
.Lfunc_end54:
	.size	_ZN5aiter35fused_qk_rmsnorm_group_quant_kernelItDB8_Li256ELi16ELi1ELb1ELb0ELb1ELb0ELb1ELb1EEEvPT0_PvPT_S6_S6_PKS5_S8_S8_S8_S8_ffiiiiiiiiiiiii, .Lfunc_end54-_ZN5aiter35fused_qk_rmsnorm_group_quant_kernelItDB8_Li256ELi16ELi1ELb1ELb0ELb1ELb0ELb1ELb1EEEvPT0_PvPT_S6_S6_PKS5_S8_S8_S8_S8_ffiiiiiiiiiiiii
                                        ; -- End function
	.section	.AMDGPU.csdata,"",@progbits
; Kernel info:
; codeLenInByte = 4468
; NumSgprs: 44
; NumVgprs: 92
; NumAgprs: 0
; TotalNumVgprs: 92
; ScratchSize: 0
; MemoryBound: 0
; FloatMode: 240
; IeeeMode: 1
; LDSByteSize: 48 bytes/workgroup (compile time only)
; SGPRBlocks: 5
; VGPRBlocks: 11
; NumSGPRsForWavesPerEU: 44
; NumVGPRsForWavesPerEU: 92
; AccumOffset: 92
; Occupancy: 5
; WaveLimiterHint : 0
; COMPUTE_PGM_RSRC2:SCRATCH_EN: 0
; COMPUTE_PGM_RSRC2:USER_SGPR: 6
; COMPUTE_PGM_RSRC2:TRAP_HANDLER: 0
; COMPUTE_PGM_RSRC2:TGID_X_EN: 1
; COMPUTE_PGM_RSRC2:TGID_Y_EN: 1
; COMPUTE_PGM_RSRC2:TGID_Z_EN: 0
; COMPUTE_PGM_RSRC2:TIDIG_COMP_CNT: 0
; COMPUTE_PGM_RSRC3_GFX90A:ACCUM_OFFSET: 22
; COMPUTE_PGM_RSRC3_GFX90A:TG_SPLIT: 0
	.section	.text._ZN5aiter35fused_qk_rmsnorm_group_quant_kernelIDF16_DB8_Li256ELi16ELi1ELb1ELb0ELb0ELb0ELb1ELb1EEEvPT0_PvPT_S6_S6_PKS5_S8_S8_S8_S8_ffiiiiiiiiiiiii,"axG",@progbits,_ZN5aiter35fused_qk_rmsnorm_group_quant_kernelIDF16_DB8_Li256ELi16ELi1ELb1ELb0ELb0ELb0ELb1ELb1EEEvPT0_PvPT_S6_S6_PKS5_S8_S8_S8_S8_ffiiiiiiiiiiiii,comdat
	.protected	_ZN5aiter35fused_qk_rmsnorm_group_quant_kernelIDF16_DB8_Li256ELi16ELi1ELb1ELb0ELb0ELb0ELb1ELb1EEEvPT0_PvPT_S6_S6_PKS5_S8_S8_S8_S8_ffiiiiiiiiiiiii ; -- Begin function _ZN5aiter35fused_qk_rmsnorm_group_quant_kernelIDF16_DB8_Li256ELi16ELi1ELb1ELb0ELb0ELb0ELb1ELb1EEEvPT0_PvPT_S6_S6_PKS5_S8_S8_S8_S8_ffiiiiiiiiiiiii
	.globl	_ZN5aiter35fused_qk_rmsnorm_group_quant_kernelIDF16_DB8_Li256ELi16ELi1ELb1ELb0ELb0ELb0ELb1ELb1EEEvPT0_PvPT_S6_S6_PKS5_S8_S8_S8_S8_ffiiiiiiiiiiiii
	.p2align	8
	.type	_ZN5aiter35fused_qk_rmsnorm_group_quant_kernelIDF16_DB8_Li256ELi16ELi1ELb1ELb0ELb0ELb0ELb1ELb1EEEvPT0_PvPT_S6_S6_PKS5_S8_S8_S8_S8_ffiiiiiiiiiiiii,@function
_ZN5aiter35fused_qk_rmsnorm_group_quant_kernelIDF16_DB8_Li256ELi16ELi1ELb1ELb0ELb0ELb0ELb1ELb1EEEvPT0_PvPT_S6_S6_PKS5_S8_S8_S8_S8_ffiiiiiiiiiiiii: ; @_ZN5aiter35fused_qk_rmsnorm_group_quant_kernelIDF16_DB8_Li256ELi16ELi1ELb1ELb0ELb0ELb0ELb1ELb1EEEvPT0_PvPT_S6_S6_PKS5_S8_S8_S8_S8_ffiiiiiiiiiiiii
; %bb.0:
	s_load_dwordx8 s[12:19], s[4:5], 0x50
	s_waitcnt lgkmcnt(0)
	s_cmp_ge_i32 s6, s14
	s_cbranch_scc1 .LBB55_17
; %bb.1:
	s_cmp_lg_u32 s7, 0
	s_cselect_b64 s[22:23], -1, 0
	s_cmp_eq_u32 s7, 0
	s_cselect_b64 s[8:9], -1, 0
	s_and_b64 s[0:1], s[8:9], exec
	s_cselect_b32 s7, s15, s16
	s_add_i32 s0, s7, 1
	s_load_dwordx2 s[10:11], s[4:5], 0x70
	s_load_dwordx2 s[20:21], s[4:5], 0x48
	;; [unrolled: 1-line block ×3, first 2 shown]
	s_lshr_b32 s1, s0, 31
	s_add_i32 s0, s0, s1
	s_lshl_b32 s0, s0, 1
	v_lshlrev_b32_e32 v2, 4, v0
	s_and_b32 s26, s0, -4
	v_lshlrev_b32_e32 v1, 3, v0
	v_and_b32_e32 v2, 0x3c00, v2
	s_movk_i32 s0, 0x1f8
	v_and_or_b32 v1, v1, s0, v2
	v_cmp_gt_i32_e64 s[0:1], s7, v1
	v_mov_b32_e32 v78, 0
	v_mov_b32_e32 v79, 0
	;; [unrolled: 1-line block ×16, first 2 shown]
	s_and_saveexec_b64 s[2:3], s[0:1]
	s_cbranch_execz .LBB55_3
; %bb.2:
	s_load_dwordx2 s[24:25], s[4:5], 0x28
	s_load_dwordx2 s[28:29], s[4:5], 0x40
	s_and_b64 s[34:35], s[8:9], exec
	s_cselect_b32 s14, s17, s18
	s_mov_b32 s38, s26
	s_waitcnt lgkmcnt(0)
	s_cselect_b32 s17, s25, s31
	s_cselect_b32 s27, s24, s30
	s_mul_hi_i32 s25, s14, s6
	s_mul_i32 s24, s14, s6
	s_lshl_b64 s[24:25], s[24:25], 1
	s_add_u32 s36, s27, s24
	s_addc_u32 s14, s17, s25
	s_and_b64 s[24:25], s[8:9], exec
	s_mov_b32 s27, 0x20000
	s_cselect_b32 s24, s28, s20
	s_cselect_b32 s17, s29, s21
	s_and_b32 s37, s14, 0xffff
	s_mov_b32 s39, s27
	v_lshlrev_b32_e32 v2, 1, v1
	s_and_b32 s25, s17, 0xffff
	s_movk_i32 s14, 0x400
	buffer_load_dwordx4 v[82:85], v2, s[36:39], 0 offen glc slc
	buffer_load_dwordx4 v[86:89], v2, s[36:39], s14 offen glc slc
	buffer_load_dwordx4 v[78:81], v2, s[24:27], 0 offen
	buffer_load_dwordx4 v[74:77], v2, s[24:27], s14 offen
.LBB55_3:
	s_or_b64 exec, exec, s[2:3]
	s_load_dwordx2 s[28:29], s[4:5], 0x80
	s_and_b64 vcc, exec, s[22:23]
	s_cbranch_vccz .LBB55_7
; %bb.4:
	v_mov_b32_e32 v91, 0
	v_mov_b32_e32 v90, 0
	;; [unrolled: 1-line block ×16, first 2 shown]
	s_and_saveexec_b64 s[2:3], s[0:1]
	s_cbranch_execz .LBB55_6
; %bb.5:
	s_waitcnt vmcnt(3)
	v_cvt_f32_f16_sdwa v59, v82 dst_sel:DWORD dst_unused:UNUSED_PAD src0_sel:WORD_1
	v_cvt_f32_f16_e32 v58, v82
	v_cvt_f32_f16_sdwa v35, v83 dst_sel:DWORD dst_unused:UNUSED_PAD src0_sel:WORD_1
	v_cvt_f32_f16_e32 v34, v83
	;; [unrolled: 2-line block ×4, first 2 shown]
	s_waitcnt vmcnt(2)
	v_cvt_f32_f16_sdwa v51, v86 dst_sel:DWORD dst_unused:UNUSED_PAD src0_sel:WORD_1
	v_cvt_f32_f16_e32 v50, v86
	v_cvt_f32_f16_sdwa v19, v87 dst_sel:DWORD dst_unused:UNUSED_PAD src0_sel:WORD_1
	v_cvt_f32_f16_e32 v18, v87
	;; [unrolled: 2-line block ×4, first 2 shown]
.LBB55_6:
	s_or_b64 exec, exec, s[2:3]
	s_cbranch_execz .LBB55_8
	s_branch .LBB55_11
.LBB55_7:
                                        ; implicit-def: $vgpr32_vgpr33_vgpr34_vgpr35_vgpr36_vgpr37_vgpr38_vgpr39_vgpr40_vgpr41_vgpr42_vgpr43_vgpr44_vgpr45_vgpr46_vgpr47
                                        ; implicit-def: $vgpr18_vgpr19_vgpr20_vgpr21_vgpr22_vgpr23_vgpr24_vgpr25_vgpr26_vgpr27_vgpr28_vgpr29_vgpr30_vgpr31_vgpr32_vgpr33
                                        ; implicit-def: $vgpr36_vgpr37_vgpr38_vgpr39_vgpr40_vgpr41_vgpr42_vgpr43_vgpr44_vgpr45_vgpr46_vgpr47_vgpr48_vgpr49_vgpr50_vgpr51
                                        ; implicit-def: $vgpr91
                                        ; implicit-def: $vgpr58_vgpr59_vgpr60_vgpr61_vgpr62_vgpr63_vgpr64_vgpr65_vgpr66_vgpr67_vgpr68_vgpr69_vgpr70_vgpr71_vgpr72_vgpr73
                                        ; implicit-def: $vgpr8_vgpr9_vgpr10_vgpr11_vgpr12_vgpr13_vgpr14_vgpr15_vgpr16_vgpr17_vgpr18_vgpr19_vgpr20_vgpr21_vgpr22_vgpr23
                                        ; implicit-def: $vgpr42_vgpr43_vgpr44_vgpr45_vgpr46_vgpr47_vgpr48_vgpr49_vgpr50_vgpr51_vgpr52_vgpr53_vgpr54_vgpr55_vgpr56_vgpr57
                                        ; implicit-def: $vgpr2_vgpr3_vgpr4_vgpr5_vgpr6_vgpr7_vgpr8_vgpr9_vgpr10_vgpr11_vgpr12_vgpr13_vgpr14_vgpr15_vgpr16_vgpr17
.LBB55_8:
	v_mov_b32_e32 v91, 0
	v_mov_b32_e32 v90, 0
	v_mov_b32_e32 v15, 0
	v_mov_b32_e32 v14, 0
	v_mov_b32_e32 v19, 0
	v_mov_b32_e32 v18, 0
	v_mov_b32_e32 v51, 0
	v_mov_b32_e32 v50, 0
	v_mov_b32_e32 v25, 0
	v_mov_b32_e32 v24, 0
	v_mov_b32_e32 v41, 0
	v_mov_b32_e32 v40, 0
	v_mov_b32_e32 v35, 0
	v_mov_b32_e32 v34, 0
	v_mov_b32_e32 v59, 0
	v_mov_b32_e32 v58, 0
	s_and_saveexec_b64 s[2:3], s[0:1]
	s_cbranch_execz .LBB55_10
; %bb.9:
	s_load_dwordx2 s[24:25], s[4:5], 0x38
	s_mul_hi_i32 s35, s19, s6
	s_mul_i32 s34, s19, s6
	s_lshl_b64 s[34:35], s[34:35], 1
	s_mov_b32 s27, 0x20000
	s_waitcnt lgkmcnt(0)
	s_add_u32 s24, s24, s34
	s_addc_u32 s14, s25, s35
	s_and_b32 s25, s14, 0xffff
	v_lshlrev_b32_e32 v38, 1, v1
	s_movk_i32 s14, 0x400
	buffer_load_dwordx4 v[6:9], v38, s[24:27], s14 offen glc slc
	buffer_load_dwordx4 v[10:13], v38, s[24:27], 0 offen glc slc
	s_waitcnt vmcnt(5)
	v_cvt_f32_f16_sdwa v23, v84 dst_sel:DWORD dst_unused:UNUSED_PAD src0_sel:WORD_1
	v_cvt_f32_f16_e32 v22, v84
	v_cvt_f32_f16_sdwa v25, v85 dst_sel:DWORD dst_unused:UNUSED_PAD src0_sel:WORD_1
	v_cvt_f32_f16_e32 v24, v85
	;; [unrolled: 2-line block ×4, first 2 shown]
	s_load_dwordx2 s[24:25], s[4:5], 0x20
	s_waitcnt vmcnt(4)
	v_cvt_f32_f16_sdwa v3, v86 dst_sel:DWORD dst_unused:UNUSED_PAD src0_sel:WORD_1
	v_cvt_f32_f16_e32 v2, v86
	v_cvt_f32_f16_sdwa v5, v87 dst_sel:DWORD dst_unused:UNUSED_PAD src0_sel:WORD_1
	v_cvt_f32_f16_e32 v4, v87
	;; [unrolled: 2-line block ×4, first 2 shown]
	s_mul_hi_i32 s35, s29, s6
	s_mul_i32 s34, s29, s6
	s_lshl_b64 s[34:35], s[34:35], 1
	s_waitcnt lgkmcnt(0)
	s_add_u32 s24, s24, s34
	s_addc_u32 s17, s25, s35
	s_and_b32 s25, s17, 0xffff
	s_waitcnt vmcnt(1)
	v_cvt_f32_f16_e32 v26, v6
	v_cvt_f32_f16_sdwa v27, v6 dst_sel:DWORD dst_unused:UNUSED_PAD src0_sel:WORD_1
	v_cvt_f32_f16_e32 v28, v7
	v_cvt_f32_f16_sdwa v29, v7 dst_sel:DWORD dst_unused:UNUSED_PAD src0_sel:WORD_1
	;; [unrolled: 2-line block ×4, first 2 shown]
	s_waitcnt vmcnt(0)
	v_cvt_f32_f16_e32 v6, v12
	v_cvt_f32_f16_sdwa v7, v12 dst_sel:DWORD dst_unused:UNUSED_PAD src0_sel:WORD_1
	v_cvt_f32_f16_e32 v8, v13
	v_cvt_f32_f16_sdwa v9, v13 dst_sel:DWORD dst_unused:UNUSED_PAD src0_sel:WORD_1
	;; [unrolled: 2-line block ×4, first 2 shown]
	v_pk_add_f32 v[40:41], v[22:23], v[6:7]
	v_pk_add_f32 v[24:25], v[24:25], v[8:9]
	v_cvt_f16_f32_e32 v6, v41
	v_cvt_f16_f32_e32 v7, v25
	;; [unrolled: 1-line block ×4, first 2 shown]
	v_pk_add_f32 v[34:35], v[20:21], v[10:11]
	v_pk_add_f32 v[58:59], v[18:19], v[36:37]
	v_pack_b32_f16 v9, v8, v7
	v_pack_b32_f16 v8, v12, v6
	v_cvt_f16_f32_e32 v6, v35
	v_cvt_f16_f32_e32 v7, v34
	;; [unrolled: 1-line block ×3, first 2 shown]
	v_pk_add_f32 v[90:91], v[16:17], v[32:33]
	v_pk_add_f32 v[14:15], v[14:15], v[30:31]
	v_pack_b32_f16 v7, v7, v6
	v_cvt_f16_f32_e32 v6, v59
	v_pk_add_f32 v[18:19], v[4:5], v[28:29]
	v_pk_add_f32 v[50:51], v[2:3], v[26:27]
	v_cvt_f16_f32_e32 v4, v18
	v_pack_b32_f16 v6, v10, v6
	buffer_store_dwordx4 v[6:9], v38, s[24:27], 0 offen glc slc
	v_cvt_f16_f32_e32 v5, v19
	v_cvt_f16_f32_e32 v6, v14
	v_cvt_f16_f32_e32 v7, v90
	v_cvt_f16_f32_e32 v8, v91
	v_cvt_f16_f32_e32 v9, v15
	v_cvt_f16_f32_e32 v2, v50
	v_cvt_f16_f32_e32 v3, v51
	v_pack_b32_f16 v7, v7, v8
	v_pack_b32_f16 v6, v6, v9
	;; [unrolled: 1-line block ×4, first 2 shown]
	;;#ASMSTART
	s_nop 0
	;;#ASMEND
	buffer_store_dwordx4 v[4:7], v38, s[24:27], s14 offen glc slc
	;;#ASMSTART
	s_nop 0
	;;#ASMEND
.LBB55_10:
	s_or_b64 exec, exec, s[2:3]
.LBB55_11:
	v_mul_f32_e32 v2, v59, v59
	v_fmac_f32_e32 v2, v58, v58
	v_fmac_f32_e32 v2, v34, v34
	;; [unrolled: 1-line block ×15, first 2 shown]
	s_nop 1
	v_mov_b32_dpp v3, v2 quad_perm:[1,0,3,2] row_mask:0xf bank_mask:0xf
	v_add_f32_e32 v2, v2, v3
	s_nop 1
	v_mov_b32_dpp v3, v2 quad_perm:[2,3,0,1] row_mask:0xf bank_mask:0xf
	v_add_f32_e32 v2, v2, v3
	s_nop 1
	v_mov_b32_dpp v3, v2 row_half_mirror row_mask:0xf bank_mask:0xf
	v_add_f32_e32 v2, v2, v3
	s_nop 1
	v_mov_b32_dpp v3, v2 row_mirror row_mask:0xf bank_mask:0xf
	v_add_f32_e32 v2, v2, v3
	s_nop 1
	v_mov_b32_dpp v3, v2 row_bcast:15 row_mask:0xf bank_mask:0xf
	v_add_f32_e32 v2, v2, v3
	v_and_b32_e32 v3, 63, v0
	v_cmp_eq_u32_e64 s[2:3], 63, v3
	s_nop 0
	v_mov_b32_dpp v3, v2 row_bcast:31 row_mask:0xf bank_mask:0xf
	s_and_saveexec_b64 s[24:25], s[2:3]
	s_cbranch_execz .LBB55_13
; %bb.12:
	v_add_f32_e32 v2, v2, v3
	v_lshrrev_b32_e32 v3, 4, v0
	v_and_b32_e32 v3, 60, v3
	ds_write_b32 v3, v2 offset:32
.LBB55_13:
	s_or_b64 exec, exec, s[24:25]
	v_and_b32_e32 v2, 3, v0
	v_lshlrev_b32_e32 v36, 2, v2
	s_waitcnt lgkmcnt(0)
	s_barrier
	ds_read_b32 v2, v36 offset:32
	s_load_dwordx2 s[34:35], s[4:5], 0x18
	s_waitcnt lgkmcnt(0)
	v_mov_b32_dpp v3, v2 quad_perm:[1,0,3,2] row_mask:0xf bank_mask:0xf
	v_add_f32_e32 v2, v2, v3
	s_nop 1
	v_mov_b32_dpp v3, v2 quad_perm:[2,3,0,1] row_mask:0xf bank_mask:0xf
	s_and_saveexec_b64 s[24:25], s[0:1]
	s_cbranch_execnz .LBB55_18
; %bb.14:
	s_or_b64 exec, exec, s[24:25]
	s_mov_b64 s[8:9], -1
	s_and_b64 vcc, exec, s[22:23]
	s_cbranch_vccnz .LBB55_19
.LBB55_15:
	s_andn2_b64 vcc, exec, s[8:9]
	s_cbranch_vccz .LBB55_22
.LBB55_16:
	s_cmp_lt_i32 s16, 1
	s_cbranch_scc0 .LBB55_31
.LBB55_17:
	s_endpgm
.LBB55_18:
	v_add_f32_e32 v2, v2, v3
	v_cvt_f32_u32_e32 v3, s7
	s_mov_b32 s7, 0x800000
	s_waitcnt vmcnt(1)
	v_cvt_f32_f16_sdwa v21, v79 dst_sel:DWORD dst_unused:UNUSED_PAD src0_sel:WORD_1
	v_cvt_f32_f16_e32 v20, v79
	v_div_scale_f32 v4, s[36:37], v3, v3, v2
	v_rcp_f32_e32 v5, v4
	s_waitcnt vmcnt(0)
	v_cvt_f32_f16_sdwa v23, v76 dst_sel:DWORD dst_unused:UNUSED_PAD src0_sel:WORD_1
	v_cvt_f32_f16_e32 v22, v76
	v_cvt_f32_f16_sdwa v27, v77 dst_sel:DWORD dst_unused:UNUSED_PAD src0_sel:WORD_1
	v_fma_f32 v6, -v4, v5, 1.0
	v_fmac_f32_e32 v5, v6, v5
	v_div_scale_f32 v6, vcc, v2, v3, v2
	v_mul_f32_e32 v7, v6, v5
	v_fma_f32 v8, -v4, v7, v6
	v_fmac_f32_e32 v7, v8, v5
	v_fma_f32 v4, -v4, v7, v6
	v_div_fmas_f32 v4, v4, v5, v7
	v_div_fixup_f32 v2, v4, v3, v2
	v_mov_b32_e32 v3, s13
	v_mov_b32_e32 v4, s12
	v_cndmask_b32_e64 v3, v3, v4, s[8:9]
	v_add_f32_e32 v2, v3, v2
	v_mul_f32_e32 v3, 0x4b800000, v2
	v_cmp_gt_f32_e32 vcc, s7, v2
	v_cndmask_b32_e32 v2, v2, v3, vcc
	v_rsq_f32_e32 v2, v2
	v_cvt_f32_f16_e32 v26, v77
	v_mul_f32_e32 v3, 0x45800000, v2
	v_cndmask_b32_e32 v2, v2, v3, vcc
	v_mov_b32_e32 v3, v2
	;;#ASMSTART
	v_pk_mul_f32 v[4:5], v[58:59], v[2:3]
	;;#ASMEND
	;;#ASMSTART
	v_pk_mul_f32 v[6:7], v[34:35], v[2:3]
	;;#ASMEND
	;; [unrolled: 3-line block ×6, first 2 shown]
	v_cvt_f32_f16_sdwa v19, v78 dst_sel:DWORD dst_unused:UNUSED_PAD src0_sel:WORD_1
	v_cvt_f32_f16_e32 v18, v78
	;;#ASMSTART
	v_pk_mul_f32 v[14:15], v[14:15], v[2:3]
	;;#ASMEND
	;;#ASMSTART
	v_pk_mul_f32 v[2:3], v[90:91], v[2:3]
	;;#ASMEND
	;; [unrolled: 3-line block ×3, first 2 shown]
	v_cvt_f32_f16_sdwa v19, v74 dst_sel:DWORD dst_unused:UNUSED_PAD src0_sel:WORD_1
	v_cvt_f32_f16_e32 v18, v74
	;;#ASMSTART
	v_pk_mul_f32 v[34:35], v[6:7], v[20:21]
	;;#ASMEND
	v_cvt_f32_f16_sdwa v5, v80 dst_sel:DWORD dst_unused:UNUSED_PAD src0_sel:WORD_1
	v_cvt_f32_f16_e32 v4, v80
	v_cvt_f32_f16_sdwa v7, v81 dst_sel:DWORD dst_unused:UNUSED_PAD src0_sel:WORD_1
	v_cvt_f32_f16_e32 v6, v81
	;; [unrolled: 2-line block ×3, first 2 shown]
	;;#ASMSTART
	v_pk_mul_f32 v[40:41], v[8:9], v[4:5]
	;;#ASMEND
	;;#ASMSTART
	v_pk_mul_f32 v[24:25], v[10:11], v[6:7]
	;;#ASMEND
	;; [unrolled: 3-line block ×6, first 2 shown]
	s_or_b64 exec, exec, s[24:25]
	s_mov_b64 s[8:9], -1
	s_and_b64 vcc, exec, s[22:23]
	s_cbranch_vccz .LBB55_15
.LBB55_19:
	s_and_saveexec_b64 s[8:9], s[0:1]
	s_cbranch_execz .LBB55_21
; %bb.20:
	v_cvt_f16_f32_e32 v2, v40
	v_cvt_f16_f32_e32 v3, v24
	;; [unrolled: 1-line block ×4, first 2 shown]
	s_mul_hi_i32 s23, s28, s6
	s_mul_i32 s22, s28, s6
	v_pack_b32_f16 v5, v3, v4
	v_pack_b32_f16 v4, v2, v6
	v_cvt_f16_f32_e32 v2, v34
	v_cvt_f16_f32_e32 v3, v35
	;; [unrolled: 1-line block ×3, first 2 shown]
	s_lshl_b64 s[22:23], s[22:23], 1
	s_add_u32 s24, s34, s22
	v_pack_b32_f16 v3, v2, v3
	v_cvt_f16_f32_e32 v2, v58
	s_addc_u32 s7, s35, s23
	s_and_b32 s25, s7, 0xffff
	s_mov_b32 s27, 0x20000
	v_pack_b32_f16 v2, v2, v6
	v_lshlrev_b32_e32 v6, 1, v1
	buffer_store_dwordx4 v[2:5], v6, s[24:27], 0 offen
	v_cvt_f16_f32_e32 v7, v15
	v_cvt_f16_f32_e32 v2, v14
	;; [unrolled: 1-line block ×4, first 2 shown]
	s_movk_i32 s7, 0x400
	;;#ASMSTART
	s_nop 0
	;;#ASMEND
	v_pack_b32_f16 v5, v3, v4
	v_pack_b32_f16 v4, v2, v7
	v_cvt_f16_f32_e32 v2, v18
	v_cvt_f16_f32_e32 v3, v19
	;; [unrolled: 1-line block ×3, first 2 shown]
	v_pack_b32_f16 v3, v2, v3
	v_cvt_f16_f32_e32 v2, v50
	v_pack_b32_f16 v2, v2, v7
	buffer_store_dwordx4 v[2:5], v6, s[24:27], s7 offen
	;;#ASMSTART
	s_nop 0
	;;#ASMEND
.LBB55_21:
	s_or_b64 exec, exec, s[8:9]
	s_cbranch_execnz .LBB55_16
.LBB55_22:
	v_mov_b32_e32 v2, 0
	s_and_saveexec_b64 s[8:9], s[0:1]
	s_cbranch_execz .LBB55_24
; %bb.23:
	v_and_b32_e32 v2, 0x7fffffff, v58
	v_and_b32_e32 v3, 0x7fffffff, v59
	v_mov_b32_e32 v4, 0x2edbe6ff
	;;#ASMSTART
	v_max3_f32 v2, v4, v2, v3

	;;#ASMEND
	v_and_b32_e32 v3, 0x7fffffff, v34
	v_and_b32_e32 v4, 0x7fffffff, v35
	;;#ASMSTART
	v_max3_f32 v2, v2, v3, v4

	;;#ASMEND
	v_and_b32_e32 v3, 0x7fffffff, v40
	v_and_b32_e32 v4, 0x7fffffff, v41
	;; [unrolled: 6-line block ×7, first 2 shown]
	;;#ASMSTART
	v_max3_f32 v2, v2, v3, v4

	;;#ASMEND
.LBB55_24:
	s_or_b64 exec, exec, s[8:9]
	s_nop 0
	v_mov_b32_dpp v3, v2 quad_perm:[1,0,3,2] row_mask:0xf bank_mask:0xf
	v_cmp_gt_f32_e32 vcc, v2, v3
	v_cndmask_b32_e32 v2, v3, v2, vcc
	s_nop 1
	v_mov_b32_dpp v3, v2 quad_perm:[2,3,0,1] row_mask:0xf bank_mask:0xf
	v_cmp_gt_f32_e32 vcc, v2, v3
	v_cndmask_b32_e32 v2, v3, v2, vcc
	s_nop 1
	v_mov_b32_dpp v3, v2 row_half_mirror row_mask:0xf bank_mask:0xf
	v_cmp_gt_f32_e32 vcc, v2, v3
	v_cndmask_b32_e32 v2, v3, v2, vcc
	s_nop 1
	v_mov_b32_dpp v3, v2 row_mirror row_mask:0xf bank_mask:0xf
	v_cmp_gt_f32_e32 vcc, v2, v3
	v_cndmask_b32_e32 v2, v3, v2, vcc
	s_nop 1
	v_mov_b32_dpp v3, v2 row_bcast:15 row_mask:0xf bank_mask:0xf
	v_cmp_gt_f32_e32 vcc, v2, v3
	v_cndmask_b32_e32 v2, v3, v2, vcc
	s_nop 1
	v_mov_b32_dpp v3, v2 row_bcast:31 row_mask:0xf bank_mask:0xf
	s_and_saveexec_b64 s[8:9], s[2:3]
	s_cbranch_execz .LBB55_26
; %bb.25:
	v_cmp_gt_f32_e32 vcc, v2, v3
	v_cndmask_b32_e32 v2, v3, v2, vcc
	v_lshrrev_b32_e32 v3, 4, v0
	v_and_b32_e32 v3, 60, v3
	ds_write_b32 v3, v2
.LBB55_26:
	s_or_b64 exec, exec, s[8:9]
	s_waitcnt lgkmcnt(0)
	s_barrier
	ds_read_b32 v2, v36
	s_waitcnt lgkmcnt(0)
	s_nop 0
	v_mov_b32_dpp v3, v2 quad_perm:[1,0,3,2] row_mask:0xf bank_mask:0xf
	v_cmp_gt_f32_e32 vcc, v2, v3
	v_cndmask_b32_e32 v2, v3, v2, vcc
	s_nop 1
	v_mov_b32_dpp v3, v2 quad_perm:[2,3,0,1] row_mask:0xf bank_mask:0xf
	v_cmp_gt_f32_e32 vcc, v2, v3
	v_cndmask_b32_e32 v2, v3, v2, vcc
	v_mul_f32_e32 v2, 0x3b124925, v2
	v_cmp_eq_u32_e32 vcc, 0, v0
	s_and_saveexec_b64 s[8:9], vcc
	s_cbranch_execz .LBB55_28
; %bb.27:
	s_load_dwordx2 s[22:23], s[4:5], 0x8
	s_mul_hi_i32 s25, s11, s6
	s_mul_i32 s24, s11, s6
	s_lshl_b64 s[24:25], s[24:25], 2
	v_mov_b32_e32 v3, 0
	s_waitcnt lgkmcnt(0)
	s_add_u32 s22, s22, s24
	s_addc_u32 s23, s23, s25
	global_store_dword v3, v2, s[22:23]
.LBB55_28:
	s_or_b64 exec, exec, s[8:9]
	;;#ASMSTART
	v_rcp_f32 v2, v2
	;;#ASMEND
	s_and_saveexec_b64 s[22:23], s[0:1]
	s_cbranch_execz .LBB55_30
; %bb.29:
	s_load_dwordx2 s[0:1], s[4:5], 0x0
	v_mov_b32_e32 v3, v2
	;;#ASMSTART
	v_pk_mul_f32 v[4:5], v[58:59], v[2:3]
	;;#ASMEND
	v_mov_b32_e32 v8, 0xc3e00000
	v_mov_b32_e32 v9, 0x43e00000
	;;#ASMSTART
	v_med3_f32 v4, v4, v8, v9
v_med3_f32 v5, v5, v8, v9
v_cvt_pk_fp8_f32 v6, v4, v5
	;;#ASMEND
	;;#ASMSTART
	v_pk_mul_f32 v[4:5], v[34:35], v[2:3]
	;;#ASMEND
	;;#ASMSTART
	v_med3_f32 v4, v4, v8, v9
v_med3_f32 v5, v5, v8, v9
v_cvt_pk_fp8_f32 v7, v4, v5
	;;#ASMEND
	s_mul_i32 s8, s10, s6
	;;#ASMSTART
	v_pk_mul_f32 v[4:5], v[40:41], v[2:3]
	;;#ASMEND
	s_mul_hi_i32 s7, s10, s6
	s_waitcnt lgkmcnt(0)
	s_add_u32 s8, s0, s8
	;;#ASMSTART
	v_med3_f32 v4, v4, v8, v9
v_med3_f32 v5, v5, v8, v9
v_cvt_pk_fp8_f32 v10, v4, v5
	;;#ASMEND
	s_addc_u32 s0, s1, s7
	s_add_i32 s1, s15, 3
	;;#ASMSTART
	v_pk_mul_f32 v[4:5], v[24:25], v[2:3]
	;;#ASMEND
	s_ashr_i32 s7, s1, 31
	;;#ASMSTART
	v_med3_f32 v4, v4, v8, v9
v_med3_f32 v5, v5, v8, v9
v_cvt_pk_fp8_f32 v11, v4, v5
	;;#ASMEND
	s_lshr_b32 s7, s7, 30
	s_and_b32 s9, s0, 0xffff
	s_mov_b32 s0, 0x5040100
	s_add_i32 s1, s1, s7
	v_perm_b32 v5, v7, v6, s0
	s_movk_i32 s7, 0xff
	v_and_b32_e32 v4, 0xffffff00, v7
	v_and_b32_sdwa v6, v5, s7 dst_sel:DWORD dst_unused:UNUSED_PAD src0_sel:WORD_1 src1_sel:DWORD
	s_and_b32 s10, s1, -4
	s_mov_b32 s1, 0xffff
	v_or_b32_sdwa v4, v6, v4 dst_sel:WORD_1 dst_unused:UNUSED_PAD src0_sel:DWORD src1_sel:DWORD
	v_and_or_b32 v4, v5, s1, v4
	v_lshlrev_b32_e32 v5, 16, v11
	s_mov_b32 s11, 0x20000
	v_and_or_b32 v5, v10, s1, v5
	buffer_store_dwordx2 v[4:5], v1, s[8:11], 0 offen
	;;#ASMSTART
	s_nop 0
	;;#ASMEND
	;;#ASMSTART
	v_pk_mul_f32 v[4:5], v[50:51], v[2:3]
	;;#ASMEND
	;;#ASMSTART
	v_med3_f32 v4, v4, v8, v9
v_med3_f32 v5, v5, v8, v9
v_cvt_pk_fp8_f32 v6, v4, v5
	;;#ASMEND
	;;#ASMSTART
	v_pk_mul_f32 v[4:5], v[18:19], v[2:3]
	;;#ASMEND
	;;#ASMSTART
	v_med3_f32 v4, v4, v8, v9
v_med3_f32 v5, v5, v8, v9
v_cvt_pk_fp8_f32 v7, v4, v5
	;;#ASMEND
	v_perm_b32 v5, v7, v6, s0
	v_and_b32_e32 v4, 0xffffff00, v7
	v_and_b32_sdwa v6, v5, s7 dst_sel:DWORD dst_unused:UNUSED_PAD src0_sel:WORD_1 src1_sel:DWORD
	v_or_b32_sdwa v4, v6, v4 dst_sel:WORD_1 dst_unused:UNUSED_PAD src0_sel:DWORD src1_sel:DWORD
	v_and_or_b32 v4, v5, s1, v4
	;;#ASMSTART
	v_pk_mul_f32 v[6:7], v[14:15], v[2:3]
	;;#ASMEND
	v_mov_b32_e32 v5, v7
	;;#ASMSTART
	v_med3_f32 v6, v6, v8, v9
v_med3_f32 v5, v5, v8, v9
v_cvt_pk_fp8_f32 v7, v6, v5
	;;#ASMEND
	;;#ASMSTART
	v_pk_mul_f32 v[2:3], v[90:91], v[2:3]
	;;#ASMEND
	;;#ASMSTART
	v_med3_f32 v2, v2, v8, v9
v_med3_f32 v3, v3, v8, v9
v_cvt_pk_fp8_f32 v5, v2, v3
	;;#ASMEND
	v_lshlrev_b32_e32 v2, 16, v5
	v_and_or_b32 v5, v7, s1, v2
	s_movk_i32 s0, 0x200
	buffer_store_dwordx2 v[4:5], v1, s[8:11], s0 offen
	;;#ASMSTART
	s_nop 0
	;;#ASMEND
.LBB55_30:
	s_or_b64 exec, exec, s[22:23]
	s_cmp_lt_i32 s16, 1
	s_cbranch_scc1 .LBB55_17
.LBB55_31:
	s_load_dword s0, s[4:5], 0x94
	s_waitcnt lgkmcnt(0)
	s_cmp_lg_u32 s0, 1
	s_cbranch_scc1 .LBB55_17
; %bb.32:
	s_lshl_b32 s0, s16, 1
	s_add_i32 s0, s0, 2
	v_cmp_gt_u32_e32 vcc, s16, v1
	s_and_b32 s22, s0, -4
	v_mov_b32_e32 v18, 0
	v_lshlrev_b32_e32 v1, 1, v1
	v_mov_b32_e32 v14, 0
	v_mov_b32_e32 v15, 0
	;; [unrolled: 1-line block ×16, first 2 shown]
	s_barrier
	s_and_saveexec_b64 s[0:1], vcc
	s_cbranch_execz .LBB55_34
; %bb.33:
	s_mul_hi_i32 s5, s18, s6
	s_mul_i32 s4, s18, s6
	s_and_b32 s21, s21, 0xffff
	s_lshl_b64 s[4:5], s[4:5], 1
	s_add_u32 s8, s30, s4
	s_mov_b32 s23, 0x20000
	s_addc_u32 s4, s31, s5
	s_and_b32 s9, s4, 0xffff
	s_mov_b32 s10, s22
	s_mov_b32 s11, s23
	s_movk_i32 s4, 0x400
	buffer_load_dwordx4 v[14:17], v1, s[8:11], 0 offen glc slc
	buffer_load_dwordx4 v[10:13], v1, s[8:11], s4 offen glc slc
	buffer_load_dwordx4 v[6:9], v1, s[20:23], 0 offen
	buffer_load_dwordx4 v[2:5], v1, s[20:23], s4 offen
.LBB55_34:
	s_or_b64 exec, exec, s[0:1]
	v_mov_b32_e32 v19, 0
	v_mov_b32_e32 v32, 0
	;; [unrolled: 1-line block ×15, first 2 shown]
	s_and_saveexec_b64 s[0:1], vcc
	s_cbranch_execz .LBB55_36
; %bb.35:
	s_waitcnt vmcnt(3)
	v_cvt_f32_f16_sdwa v19, v14 dst_sel:DWORD dst_unused:UNUSED_PAD src0_sel:WORD_1
	v_cvt_f32_f16_e32 v18, v14
	v_cvt_f32_f16_sdwa v33, v15 dst_sel:DWORD dst_unused:UNUSED_PAD src0_sel:WORD_1
	v_cvt_f32_f16_e32 v32, v15
	;; [unrolled: 2-line block ×4, first 2 shown]
	s_waitcnt vmcnt(2)
	v_cvt_f32_f16_sdwa v27, v10 dst_sel:DWORD dst_unused:UNUSED_PAD src0_sel:WORD_1
	v_cvt_f32_f16_e32 v26, v10
	v_cvt_f32_f16_sdwa v25, v11 dst_sel:DWORD dst_unused:UNUSED_PAD src0_sel:WORD_1
	v_cvt_f32_f16_e32 v24, v11
	;; [unrolled: 2-line block ×4, first 2 shown]
.LBB55_36:
	s_or_b64 exec, exec, s[0:1]
	s_waitcnt vmcnt(2)
	v_mul_f32_e32 v10, v19, v19
	v_fmac_f32_e32 v10, v18, v18
	v_fmac_f32_e32 v10, v32, v32
	;; [unrolled: 1-line block ×15, first 2 shown]
	s_nop 1
	v_mov_b32_dpp v11, v10 quad_perm:[1,0,3,2] row_mask:0xf bank_mask:0xf
	v_add_f32_e32 v10, v10, v11
	s_nop 1
	v_mov_b32_dpp v11, v10 quad_perm:[2,3,0,1] row_mask:0xf bank_mask:0xf
	v_add_f32_e32 v10, v10, v11
	s_nop 1
	v_mov_b32_dpp v11, v10 row_half_mirror row_mask:0xf bank_mask:0xf
	v_add_f32_e32 v10, v10, v11
	s_nop 1
	v_mov_b32_dpp v11, v10 row_mirror row_mask:0xf bank_mask:0xf
	v_add_f32_e32 v10, v10, v11
	s_nop 1
	v_mov_b32_dpp v11, v10 row_bcast:15 row_mask:0xf bank_mask:0xf
	v_add_f32_e32 v10, v10, v11
	s_nop 1
	v_mov_b32_dpp v11, v10 row_bcast:31 row_mask:0xf bank_mask:0xf
	s_and_saveexec_b64 s[0:1], s[2:3]
	s_cbranch_execz .LBB55_38
; %bb.37:
	v_lshrrev_b32_e32 v0, 4, v0
	v_add_f32_e32 v10, v10, v11
	v_and_b32_e32 v0, 60, v0
	ds_write_b32 v0, v10 offset:16
.LBB55_38:
	s_or_b64 exec, exec, s[0:1]
	s_waitcnt lgkmcnt(0)
	s_barrier
	ds_read_b32 v0, v36 offset:16
	s_waitcnt lgkmcnt(0)
	s_nop 0
	v_mov_b32_dpp v10, v0 quad_perm:[1,0,3,2] row_mask:0xf bank_mask:0xf
	v_add_f32_e32 v0, v0, v10
	s_nop 1
	v_mov_b32_dpp v10, v0 quad_perm:[2,3,0,1] row_mask:0xf bank_mask:0xf
	s_and_saveexec_b64 s[0:1], vcc
	s_cbranch_execz .LBB55_17
; %bb.39:
	v_cvt_f32_u32_e32 v11, s16
	v_add_f32_e32 v0, v0, v10
	s_mov_b32 s23, 0x20000
	v_div_scale_f32 v10, s[0:1], v11, v11, v0
	v_rcp_f32_e32 v12, v10
	v_div_scale_f32 v13, vcc, v0, v11, v0
	s_mov_b32 s0, 0x800000
	v_fma_f32 v14, -v10, v12, 1.0
	v_fmac_f32_e32 v12, v14, v12
	v_mul_f32_e32 v14, v13, v12
	v_fma_f32 v15, -v10, v14, v13
	v_fmac_f32_e32 v14, v15, v12
	v_fma_f32 v10, -v10, v14, v13
	v_div_fmas_f32 v10, v10, v12, v14
	v_div_fixup_f32 v0, v10, v11, v0
	v_add_f32_e32 v0, s13, v0
	v_mul_f32_e32 v10, 0x4b800000, v0
	v_cmp_gt_f32_e32 vcc, s0, v0
	v_cndmask_b32_e32 v0, v0, v10, vcc
	v_rsq_f32_e32 v0, v0
	s_mul_hi_i32 s1, s28, s6
	s_mul_i32 s0, s28, s6
	s_lshl_b64 s[0:1], s[0:1], 1
	v_mul_f32_e32 v10, 0x45800000, v0
	v_cndmask_b32_e32 v10, v0, v10, vcc
	v_mov_b32_e32 v11, v10
	;;#ASMSTART
	v_pk_mul_f32 v[12:13], v[18:19], v[10:11]
	;;#ASMEND
	;;#ASMSTART
	v_pk_mul_f32 v[14:15], v[32:33], v[10:11]
	;;#ASMEND
	;; [unrolled: 3-line block ×8, first 2 shown]
	s_waitcnt vmcnt(1)
	v_cvt_f32_f16_sdwa v21, v6 dst_sel:DWORD dst_unused:UNUSED_PAD src0_sel:WORD_1
	v_cvt_f32_f16_e32 v20, v6
	v_cvt_f32_f16_sdwa v29, v7 dst_sel:DWORD dst_unused:UNUSED_PAD src0_sel:WORD_1
	v_cvt_f32_f16_e32 v28, v7
	;; [unrolled: 2-line block ×4, first 2 shown]
	;;#ASMSTART
	v_pk_mul_f32 v[8:9], v[12:13], v[20:21]
	;;#ASMEND
	;;#ASMSTART
	v_pk_mul_f32 v[12:13], v[14:15], v[28:29]
	;;#ASMEND
	;; [unrolled: 3-line block ×4, first 2 shown]
	s_waitcnt vmcnt(0)
	v_cvt_f32_f16_sdwa v17, v2 dst_sel:DWORD dst_unused:UNUSED_PAD src0_sel:WORD_1
	v_cvt_f32_f16_e32 v16, v2
	v_cvt_f32_f16_sdwa v19, v3 dst_sel:DWORD dst_unused:UNUSED_PAD src0_sel:WORD_1
	v_cvt_f32_f16_e32 v18, v3
	;; [unrolled: 2-line block ×4, first 2 shown]
	;;#ASMSTART
	v_pk_mul_f32 v[16:17], v[26:27], v[16:17]
	;;#ASMEND
	;;#ASMSTART
	v_pk_mul_f32 v[18:19], v[24:25], v[18:19]
	;;#ASMEND
	;; [unrolled: 3-line block ×3, first 2 shown]
	v_cvt_f16_f32_e32 v0, v8
	v_cvt_f16_f32_e32 v2, v9
	;; [unrolled: 1-line block ×8, first 2 shown]
	s_add_u32 s20, s34, s0
	s_addc_u32 s0, s35, s1
	s_and_b32 s21, s0, 0xffff
	v_pack_b32_f16 v2, v0, v2
	v_pack_b32_f16 v3, v3, v4
	;; [unrolled: 1-line block ×4, first 2 shown]
	;;#ASMSTART
	v_pk_mul_f32 v[10:11], v[10:11], v[20:21]
	;;#ASMEND
	buffer_store_dwordx4 v[2:5], v1, s[20:23], 0 offen
	v_cvt_f16_f32_e32 v0, v16
	v_cvt_f16_f32_e32 v2, v17
	;; [unrolled: 1-line block ×8, first 2 shown]
	v_pack_b32_f16 v2, v0, v2
	v_pack_b32_f16 v3, v3, v4
	;; [unrolled: 1-line block ×4, first 2 shown]
	s_movk_i32 s0, 0x400
	;;#ASMSTART
	s_nop 0
	;;#ASMEND
	buffer_store_dwordx4 v[2:5], v1, s[20:23], s0 offen
	;;#ASMSTART
	s_nop 0
	;;#ASMEND
	s_endpgm
	.section	.rodata,"a",@progbits
	.p2align	6, 0x0
	.amdhsa_kernel _ZN5aiter35fused_qk_rmsnorm_group_quant_kernelIDF16_DB8_Li256ELi16ELi1ELb1ELb0ELb0ELb0ELb1ELb1EEEvPT0_PvPT_S6_S6_PKS5_S8_S8_S8_S8_ffiiiiiiiiiiiii
		.amdhsa_group_segment_fixed_size 48
		.amdhsa_private_segment_fixed_size 0
		.amdhsa_kernarg_size 400
		.amdhsa_user_sgpr_count 6
		.amdhsa_user_sgpr_private_segment_buffer 1
		.amdhsa_user_sgpr_dispatch_ptr 0
		.amdhsa_user_sgpr_queue_ptr 0
		.amdhsa_user_sgpr_kernarg_segment_ptr 1
		.amdhsa_user_sgpr_dispatch_id 0
		.amdhsa_user_sgpr_flat_scratch_init 0
		.amdhsa_user_sgpr_kernarg_preload_length 0
		.amdhsa_user_sgpr_kernarg_preload_offset 0
		.amdhsa_user_sgpr_private_segment_size 0
		.amdhsa_uses_dynamic_stack 0
		.amdhsa_system_sgpr_private_segment_wavefront_offset 0
		.amdhsa_system_sgpr_workgroup_id_x 1
		.amdhsa_system_sgpr_workgroup_id_y 1
		.amdhsa_system_sgpr_workgroup_id_z 0
		.amdhsa_system_sgpr_workgroup_info 0
		.amdhsa_system_vgpr_workitem_id 0
		.amdhsa_next_free_vgpr 92
		.amdhsa_next_free_sgpr 40
		.amdhsa_accum_offset 92
		.amdhsa_reserve_vcc 1
		.amdhsa_reserve_flat_scratch 0
		.amdhsa_float_round_mode_32 0
		.amdhsa_float_round_mode_16_64 0
		.amdhsa_float_denorm_mode_32 3
		.amdhsa_float_denorm_mode_16_64 3
		.amdhsa_dx10_clamp 1
		.amdhsa_ieee_mode 1
		.amdhsa_fp16_overflow 0
		.amdhsa_tg_split 0
		.amdhsa_exception_fp_ieee_invalid_op 0
		.amdhsa_exception_fp_denorm_src 0
		.amdhsa_exception_fp_ieee_div_zero 0
		.amdhsa_exception_fp_ieee_overflow 0
		.amdhsa_exception_fp_ieee_underflow 0
		.amdhsa_exception_fp_ieee_inexact 0
		.amdhsa_exception_int_div_zero 0
	.end_amdhsa_kernel
	.section	.text._ZN5aiter35fused_qk_rmsnorm_group_quant_kernelIDF16_DB8_Li256ELi16ELi1ELb1ELb0ELb0ELb0ELb1ELb1EEEvPT0_PvPT_S6_S6_PKS5_S8_S8_S8_S8_ffiiiiiiiiiiiii,"axG",@progbits,_ZN5aiter35fused_qk_rmsnorm_group_quant_kernelIDF16_DB8_Li256ELi16ELi1ELb1ELb0ELb0ELb0ELb1ELb1EEEvPT0_PvPT_S6_S6_PKS5_S8_S8_S8_S8_ffiiiiiiiiiiiii,comdat
.Lfunc_end55:
	.size	_ZN5aiter35fused_qk_rmsnorm_group_quant_kernelIDF16_DB8_Li256ELi16ELi1ELb1ELb0ELb0ELb0ELb1ELb1EEEvPT0_PvPT_S6_S6_PKS5_S8_S8_S8_S8_ffiiiiiiiiiiiii, .Lfunc_end55-_ZN5aiter35fused_qk_rmsnorm_group_quant_kernelIDF16_DB8_Li256ELi16ELi1ELb1ELb0ELb0ELb0ELb1ELb1EEEvPT0_PvPT_S6_S6_PKS5_S8_S8_S8_S8_ffiiiiiiiiiiiii
                                        ; -- End function
	.section	.AMDGPU.csdata,"",@progbits
; Kernel info:
; codeLenInByte = 4304
; NumSgprs: 44
; NumVgprs: 92
; NumAgprs: 0
; TotalNumVgprs: 92
; ScratchSize: 0
; MemoryBound: 0
; FloatMode: 240
; IeeeMode: 1
; LDSByteSize: 48 bytes/workgroup (compile time only)
; SGPRBlocks: 5
; VGPRBlocks: 11
; NumSGPRsForWavesPerEU: 44
; NumVGPRsForWavesPerEU: 92
; AccumOffset: 92
; Occupancy: 5
; WaveLimiterHint : 0
; COMPUTE_PGM_RSRC2:SCRATCH_EN: 0
; COMPUTE_PGM_RSRC2:USER_SGPR: 6
; COMPUTE_PGM_RSRC2:TRAP_HANDLER: 0
; COMPUTE_PGM_RSRC2:TGID_X_EN: 1
; COMPUTE_PGM_RSRC2:TGID_Y_EN: 1
; COMPUTE_PGM_RSRC2:TGID_Z_EN: 0
; COMPUTE_PGM_RSRC2:TIDIG_COMP_CNT: 0
; COMPUTE_PGM_RSRC3_GFX90A:ACCUM_OFFSET: 22
; COMPUTE_PGM_RSRC3_GFX90A:TG_SPLIT: 0
	.section	.text._ZN5aiter35fused_qk_rmsnorm_group_quant_kernelItDB8_Li256ELi16ELi1ELb1ELb0ELb0ELb0ELb1ELb1EEEvPT0_PvPT_S6_S6_PKS5_S8_S8_S8_S8_ffiiiiiiiiiiiii,"axG",@progbits,_ZN5aiter35fused_qk_rmsnorm_group_quant_kernelItDB8_Li256ELi16ELi1ELb1ELb0ELb0ELb0ELb1ELb1EEEvPT0_PvPT_S6_S6_PKS5_S8_S8_S8_S8_ffiiiiiiiiiiiii,comdat
	.protected	_ZN5aiter35fused_qk_rmsnorm_group_quant_kernelItDB8_Li256ELi16ELi1ELb1ELb0ELb0ELb0ELb1ELb1EEEvPT0_PvPT_S6_S6_PKS5_S8_S8_S8_S8_ffiiiiiiiiiiiii ; -- Begin function _ZN5aiter35fused_qk_rmsnorm_group_quant_kernelItDB8_Li256ELi16ELi1ELb1ELb0ELb0ELb0ELb1ELb1EEEvPT0_PvPT_S6_S6_PKS5_S8_S8_S8_S8_ffiiiiiiiiiiiii
	.globl	_ZN5aiter35fused_qk_rmsnorm_group_quant_kernelItDB8_Li256ELi16ELi1ELb1ELb0ELb0ELb0ELb1ELb1EEEvPT0_PvPT_S6_S6_PKS5_S8_S8_S8_S8_ffiiiiiiiiiiiii
	.p2align	8
	.type	_ZN5aiter35fused_qk_rmsnorm_group_quant_kernelItDB8_Li256ELi16ELi1ELb1ELb0ELb0ELb0ELb1ELb1EEEvPT0_PvPT_S6_S6_PKS5_S8_S8_S8_S8_ffiiiiiiiiiiiii,@function
_ZN5aiter35fused_qk_rmsnorm_group_quant_kernelItDB8_Li256ELi16ELi1ELb1ELb0ELb0ELb0ELb1ELb1EEEvPT0_PvPT_S6_S6_PKS5_S8_S8_S8_S8_ffiiiiiiiiiiiii: ; @_ZN5aiter35fused_qk_rmsnorm_group_quant_kernelItDB8_Li256ELi16ELi1ELb1ELb0ELb0ELb0ELb1ELb1EEEvPT0_PvPT_S6_S6_PKS5_S8_S8_S8_S8_ffiiiiiiiiiiiii
; %bb.0:
	s_load_dwordx8 s[12:19], s[4:5], 0x50
	s_waitcnt lgkmcnt(0)
	s_cmp_ge_i32 s6, s14
	s_cbranch_scc1 .LBB56_17
; %bb.1:
	s_cmp_lg_u32 s7, 0
	s_cselect_b64 s[22:23], -1, 0
	s_cmp_eq_u32 s7, 0
	s_cselect_b64 s[8:9], -1, 0
	s_and_b64 s[0:1], s[8:9], exec
	s_cselect_b32 s7, s15, s16
	s_add_i32 s0, s7, 1
	s_load_dwordx2 s[10:11], s[4:5], 0x70
	s_load_dwordx2 s[20:21], s[4:5], 0x48
	;; [unrolled: 1-line block ×3, first 2 shown]
	s_lshr_b32 s1, s0, 31
	s_add_i32 s0, s0, s1
	s_lshl_b32 s0, s0, 1
	v_lshlrev_b32_e32 v2, 4, v0
	s_and_b32 s26, s0, -4
	v_lshlrev_b32_e32 v1, 3, v0
	v_and_b32_e32 v2, 0x3c00, v2
	s_movk_i32 s0, 0x1f8
	v_and_or_b32 v1, v1, s0, v2
	v_cmp_gt_i32_e64 s[0:1], s7, v1
	v_mov_b32_e32 v80, 0
	v_mov_b32_e32 v81, 0
	;; [unrolled: 1-line block ×16, first 2 shown]
	s_and_saveexec_b64 s[2:3], s[0:1]
	s_cbranch_execz .LBB56_3
; %bb.2:
	s_load_dwordx2 s[24:25], s[4:5], 0x28
	s_load_dwordx2 s[28:29], s[4:5], 0x40
	s_and_b64 s[34:35], s[8:9], exec
	s_cselect_b32 s14, s17, s18
	s_mov_b32 s38, s26
	s_waitcnt lgkmcnt(0)
	s_cselect_b32 s17, s25, s31
	s_cselect_b32 s27, s24, s30
	s_mul_hi_i32 s25, s14, s6
	s_mul_i32 s24, s14, s6
	s_lshl_b64 s[24:25], s[24:25], 1
	s_add_u32 s36, s27, s24
	s_addc_u32 s14, s17, s25
	s_and_b64 s[24:25], s[8:9], exec
	s_mov_b32 s27, 0x20000
	s_cselect_b32 s24, s28, s20
	s_cselect_b32 s17, s29, s21
	s_and_b32 s37, s14, 0xffff
	s_mov_b32 s39, s27
	v_lshlrev_b32_e32 v2, 1, v1
	s_and_b32 s25, s17, 0xffff
	s_movk_i32 s14, 0x400
	buffer_load_dwordx4 v[84:87], v2, s[36:39], 0 offen glc slc
	buffer_load_dwordx4 v[88:91], v2, s[36:39], s14 offen glc slc
	buffer_load_dwordx4 v[80:83], v2, s[24:27], 0 offen
	buffer_load_dwordx4 v[76:79], v2, s[24:27], s14 offen
.LBB56_3:
	s_or_b64 exec, exec, s[2:3]
	s_load_dwordx2 s[28:29], s[4:5], 0x80
	s_and_b64 vcc, exec, s[22:23]
	s_cbranch_vccz .LBB56_7
; %bb.4:
	v_mov_b32_e32 v93, 0
	v_mov_b32_e32 v92, 0
	;; [unrolled: 1-line block ×16, first 2 shown]
	s_and_saveexec_b64 s[2:3], s[0:1]
	s_cbranch_execz .LBB56_6
; %bb.5:
	s_waitcnt vmcnt(3)
	v_cvt_f32_u32_sdwa v60, v84 dst_sel:DWORD dst_unused:UNUSED_PAD src0_sel:WORD_0
	v_cvt_f32_u32_sdwa v61, v84 dst_sel:DWORD dst_unused:UNUSED_PAD src0_sel:WORD_1
	v_cvt_f32_u32_sdwa v42, v85 dst_sel:DWORD dst_unused:UNUSED_PAD src0_sel:WORD_0
	v_cvt_f32_u32_sdwa v43, v85 dst_sel:DWORD dst_unused:UNUSED_PAD src0_sel:WORD_1
	;; [unrolled: 2-line block ×4, first 2 shown]
	s_waitcnt vmcnt(2)
	v_cvt_f32_u32_sdwa v24, v88 dst_sel:DWORD dst_unused:UNUSED_PAD src0_sel:WORD_0
	v_cvt_f32_u32_sdwa v25, v88 dst_sel:DWORD dst_unused:UNUSED_PAD src0_sel:WORD_1
	v_cvt_f32_u32_sdwa v18, v89 dst_sel:DWORD dst_unused:UNUSED_PAD src0_sel:WORD_0
	v_cvt_f32_u32_sdwa v19, v89 dst_sel:DWORD dst_unused:UNUSED_PAD src0_sel:WORD_1
	;; [unrolled: 2-line block ×4, first 2 shown]
.LBB56_6:
	s_or_b64 exec, exec, s[2:3]
	s_cbranch_execz .LBB56_8
	s_branch .LBB56_11
.LBB56_7:
                                        ; implicit-def: $vgpr40_vgpr41_vgpr42_vgpr43_vgpr44_vgpr45_vgpr46_vgpr47_vgpr48_vgpr49_vgpr50_vgpr51_vgpr52_vgpr53_vgpr54_vgpr55
                                        ; implicit-def: $vgpr26_vgpr27_vgpr28_vgpr29_vgpr30_vgpr31_vgpr32_vgpr33_vgpr34_vgpr35_vgpr36_vgpr37_vgpr38_vgpr39_vgpr40_vgpr41
                                        ; implicit-def: $vgpr93
                                        ; implicit-def: $vgpr60_vgpr61_vgpr62_vgpr63_vgpr64_vgpr65_vgpr66_vgpr67_vgpr68_vgpr69_vgpr70_vgpr71_vgpr72_vgpr73_vgpr74_vgpr75
                                        ; implicit-def: $vgpr44_vgpr45_vgpr46_vgpr47_vgpr48_vgpr49_vgpr50_vgpr51_vgpr52_vgpr53_vgpr54_vgpr55_vgpr56_vgpr57_vgpr58_vgpr59
                                        ; implicit-def: $vgpr16_vgpr17_vgpr18_vgpr19_vgpr20_vgpr21_vgpr22_vgpr23_vgpr24_vgpr25_vgpr26_vgpr27_vgpr28_vgpr29_vgpr30_vgpr31
                                        ; implicit-def: $vgpr8_vgpr9_vgpr10_vgpr11_vgpr12_vgpr13_vgpr14_vgpr15_vgpr16_vgpr17_vgpr18_vgpr19_vgpr20_vgpr21_vgpr22_vgpr23
                                        ; implicit-def: $vgpr2_vgpr3_vgpr4_vgpr5_vgpr6_vgpr7_vgpr8_vgpr9_vgpr10_vgpr11_vgpr12_vgpr13_vgpr14_vgpr15_vgpr16_vgpr17
.LBB56_8:
	v_mov_b32_e32 v93, 0
	v_mov_b32_e32 v92, 0
	;; [unrolled: 1-line block ×16, first 2 shown]
	s_and_saveexec_b64 s[2:3], s[0:1]
	s_cbranch_execz .LBB56_10
; %bb.9:
	s_load_dwordx2 s[24:25], s[4:5], 0x38
	s_mul_hi_i32 s35, s19, s6
	s_mul_i32 s34, s19, s6
	s_lshl_b64 s[34:35], s[34:35], 1
	s_mov_b32 s27, 0x20000
	s_waitcnt lgkmcnt(0)
	s_add_u32 s24, s24, s34
	s_addc_u32 s14, s25, s35
	s_and_b32 s25, s14, 0xffff
	v_lshlrev_b32_e32 v38, 1, v1
	s_movk_i32 s14, 0x400
	buffer_load_dwordx4 v[4:7], v38, s[24:27], s14 offen glc slc
	buffer_load_dwordx4 v[8:11], v38, s[24:27], 0 offen glc slc
	s_load_dwordx2 s[24:25], s[4:5], 0x20
	s_waitcnt vmcnt(5)
	v_cvt_f32_u32_sdwa v19, v84 dst_sel:DWORD dst_unused:UNUSED_PAD src0_sel:WORD_1
	v_cvt_f32_u32_sdwa v18, v84 dst_sel:DWORD dst_unused:UNUSED_PAD src0_sel:WORD_0
	v_cvt_f32_u32_sdwa v21, v85 dst_sel:DWORD dst_unused:UNUSED_PAD src0_sel:WORD_1
	v_cvt_f32_u32_sdwa v20, v85 dst_sel:DWORD dst_unused:UNUSED_PAD src0_sel:WORD_0
	;; [unrolled: 2-line block ×4, first 2 shown]
	s_waitcnt vmcnt(4)
	v_cvt_f32_u32_sdwa v3, v88 dst_sel:DWORD dst_unused:UNUSED_PAD src0_sel:WORD_1
	v_cvt_f32_u32_sdwa v2, v88 dst_sel:DWORD dst_unused:UNUSED_PAD src0_sel:WORD_0
	v_cvt_f32_u32_sdwa v13, v89 dst_sel:DWORD dst_unused:UNUSED_PAD src0_sel:WORD_1
	v_cvt_f32_u32_sdwa v12, v89 dst_sel:DWORD dst_unused:UNUSED_PAD src0_sel:WORD_0
	;; [unrolled: 2-line block ×3, first 2 shown]
	v_cvt_f32_u32_sdwa v16, v91 dst_sel:DWORD dst_unused:UNUSED_PAD src0_sel:WORD_0
	v_cvt_f32_u32_sdwa v17, v91 dst_sel:DWORD dst_unused:UNUSED_PAD src0_sel:WORD_1
	s_mul_hi_i32 s35, s29, s6
	s_mul_i32 s34, s29, s6
	s_lshl_b64 s[34:35], s[34:35], 1
	s_waitcnt lgkmcnt(0)
	s_add_u32 s24, s24, s34
	s_mov_b32 s17, 0x7060302
	s_addc_u32 s19, s25, s35
	s_and_b32 s25, s19, 0xffff
	s_waitcnt vmcnt(1)
	v_cvt_f32_u32_sdwa v27, v4 dst_sel:DWORD dst_unused:UNUSED_PAD src0_sel:WORD_1
	v_cvt_f32_u32_sdwa v26, v4 dst_sel:DWORD dst_unused:UNUSED_PAD src0_sel:WORD_0
	v_cvt_f32_u32_sdwa v29, v5 dst_sel:DWORD dst_unused:UNUSED_PAD src0_sel:WORD_1
	v_cvt_f32_u32_sdwa v28, v5 dst_sel:DWORD dst_unused:UNUSED_PAD src0_sel:WORD_0
	;; [unrolled: 2-line block ×3, first 2 shown]
	v_cvt_f32_u32_sdwa v34, v7 dst_sel:DWORD dst_unused:UNUSED_PAD src0_sel:WORD_0
	v_cvt_f32_u32_sdwa v35, v7 dst_sel:DWORD dst_unused:UNUSED_PAD src0_sel:WORD_1
	s_waitcnt vmcnt(0)
	v_cvt_f32_u32_sdwa v37, v8 dst_sel:DWORD dst_unused:UNUSED_PAD src0_sel:WORD_1
	v_cvt_f32_u32_sdwa v36, v8 dst_sel:DWORD dst_unused:UNUSED_PAD src0_sel:WORD_0
	v_cvt_f32_u32_sdwa v5, v10 dst_sel:DWORD dst_unused:UNUSED_PAD src0_sel:WORD_1
	v_cvt_f32_u32_sdwa v4, v10 dst_sel:DWORD dst_unused:UNUSED_PAD src0_sel:WORD_0
	;; [unrolled: 2-line block ×4, first 2 shown]
	v_pk_add_f32 v[48:49], v[22:23], v[4:5]
	v_pk_add_f32 v[32:33], v[24:25], v[6:7]
	v_pk_add_f32 v[60:61], v[18:19], v[36:37]
	v_pk_add_f32 v[42:43], v[20:21], v[10:11]
	v_perm_b32 v7, v33, v32, s17
	v_perm_b32 v6, v49, v48, s17
	;; [unrolled: 1-line block ×4, first 2 shown]
	v_pk_add_f32 v[92:93], v[16:17], v[34:35]
	v_pk_add_f32 v[14:15], v[14:15], v[30:31]
	;; [unrolled: 1-line block ×4, first 2 shown]
	buffer_store_dwordx4 v[4:7], v38, s[24:27], 0 offen glc slc
	;;#ASMSTART
	s_nop 0
	;;#ASMEND
	s_nop 0
	v_perm_b32 v7, v93, v92, s17
	v_perm_b32 v6, v15, v14, s17
	;; [unrolled: 1-line block ×4, first 2 shown]
	buffer_store_dwordx4 v[4:7], v38, s[24:27], s14 offen glc slc
	;;#ASMSTART
	s_nop 0
	;;#ASMEND
.LBB56_10:
	s_or_b64 exec, exec, s[2:3]
.LBB56_11:
	v_mul_f32_e32 v2, v61, v61
	v_fmac_f32_e32 v2, v60, v60
	v_fmac_f32_e32 v2, v42, v42
	;; [unrolled: 1-line block ×15, first 2 shown]
	s_nop 1
	v_mov_b32_dpp v3, v2 quad_perm:[1,0,3,2] row_mask:0xf bank_mask:0xf
	v_add_f32_e32 v2, v2, v3
	s_nop 1
	v_mov_b32_dpp v3, v2 quad_perm:[2,3,0,1] row_mask:0xf bank_mask:0xf
	v_add_f32_e32 v2, v2, v3
	s_nop 1
	v_mov_b32_dpp v3, v2 row_half_mirror row_mask:0xf bank_mask:0xf
	v_add_f32_e32 v2, v2, v3
	s_nop 1
	v_mov_b32_dpp v3, v2 row_mirror row_mask:0xf bank_mask:0xf
	v_add_f32_e32 v2, v2, v3
	s_nop 1
	v_mov_b32_dpp v3, v2 row_bcast:15 row_mask:0xf bank_mask:0xf
	v_add_f32_e32 v2, v2, v3
	v_and_b32_e32 v3, 63, v0
	v_cmp_eq_u32_e64 s[2:3], 63, v3
	s_nop 0
	v_mov_b32_dpp v3, v2 row_bcast:31 row_mask:0xf bank_mask:0xf
	s_and_saveexec_b64 s[24:25], s[2:3]
	s_cbranch_execz .LBB56_13
; %bb.12:
	v_add_f32_e32 v2, v2, v3
	v_lshrrev_b32_e32 v3, 4, v0
	v_and_b32_e32 v3, 60, v3
	ds_write_b32 v3, v2 offset:32
.LBB56_13:
	s_or_b64 exec, exec, s[24:25]
	v_and_b32_e32 v2, 3, v0
	v_lshlrev_b32_e32 v34, 2, v2
	s_waitcnt lgkmcnt(0)
	s_barrier
	ds_read_b32 v2, v34 offset:32
	s_load_dwordx2 s[34:35], s[4:5], 0x18
	s_waitcnt lgkmcnt(0)
	v_mov_b32_dpp v3, v2 quad_perm:[1,0,3,2] row_mask:0xf bank_mask:0xf
	v_add_f32_e32 v2, v2, v3
	s_nop 1
	v_mov_b32_dpp v3, v2 quad_perm:[2,3,0,1] row_mask:0xf bank_mask:0xf
	s_and_saveexec_b64 s[24:25], s[0:1]
	s_cbranch_execnz .LBB56_18
; %bb.14:
	s_or_b64 exec, exec, s[24:25]
	s_mov_b64 s[8:9], -1
	s_and_b64 vcc, exec, s[22:23]
	s_cbranch_vccnz .LBB56_19
.LBB56_15:
	s_andn2_b64 vcc, exec, s[8:9]
	s_cbranch_vccz .LBB56_22
.LBB56_16:
	s_cmp_lt_i32 s16, 1
	s_cbranch_scc0 .LBB56_31
.LBB56_17:
	s_endpgm
.LBB56_18:
	v_add_f32_e32 v2, v2, v3
	v_cvt_f32_u32_e32 v3, s7
	s_mov_b32 s7, 0x800000
	s_waitcnt vmcnt(1)
	v_cvt_f32_u32_sdwa v21, v81 dst_sel:DWORD dst_unused:UNUSED_PAD src0_sel:WORD_1
	v_cvt_f32_u32_sdwa v20, v81 dst_sel:DWORD dst_unused:UNUSED_PAD src0_sel:WORD_0
	v_div_scale_f32 v4, s[36:37], v3, v3, v2
	v_rcp_f32_e32 v5, v4
	s_waitcnt vmcnt(0)
	v_cvt_f32_u32_sdwa v23, v78 dst_sel:DWORD dst_unused:UNUSED_PAD src0_sel:WORD_1
	v_cvt_f32_u32_sdwa v22, v78 dst_sel:DWORD dst_unused:UNUSED_PAD src0_sel:WORD_0
	v_cvt_f32_u32_sdwa v27, v79 dst_sel:DWORD dst_unused:UNUSED_PAD src0_sel:WORD_1
	v_fma_f32 v6, -v4, v5, 1.0
	v_fmac_f32_e32 v5, v6, v5
	v_div_scale_f32 v6, vcc, v2, v3, v2
	v_mul_f32_e32 v7, v6, v5
	v_fma_f32 v8, -v4, v7, v6
	v_fmac_f32_e32 v7, v8, v5
	v_fma_f32 v4, -v4, v7, v6
	v_div_fmas_f32 v4, v4, v5, v7
	v_div_fixup_f32 v2, v4, v3, v2
	v_mov_b32_e32 v3, s13
	v_mov_b32_e32 v4, s12
	v_cndmask_b32_e64 v3, v3, v4, s[8:9]
	v_add_f32_e32 v2, v3, v2
	v_mul_f32_e32 v3, 0x4b800000, v2
	v_cmp_gt_f32_e32 vcc, s7, v2
	v_cndmask_b32_e32 v2, v2, v3, vcc
	v_rsq_f32_e32 v2, v2
	v_cvt_f32_u32_sdwa v26, v79 dst_sel:DWORD dst_unused:UNUSED_PAD src0_sel:WORD_0
	v_mul_f32_e32 v3, 0x45800000, v2
	v_cndmask_b32_e32 v2, v2, v3, vcc
	v_mov_b32_e32 v3, v2
	;;#ASMSTART
	v_pk_mul_f32 v[4:5], v[60:61], v[2:3]
	;;#ASMEND
	;;#ASMSTART
	v_pk_mul_f32 v[6:7], v[42:43], v[2:3]
	;;#ASMEND
	;; [unrolled: 3-line block ×6, first 2 shown]
	v_cvt_f32_u32_sdwa v19, v80 dst_sel:DWORD dst_unused:UNUSED_PAD src0_sel:WORD_1
	v_cvt_f32_u32_sdwa v18, v80 dst_sel:DWORD dst_unused:UNUSED_PAD src0_sel:WORD_0
	;;#ASMSTART
	v_pk_mul_f32 v[14:15], v[14:15], v[2:3]
	;;#ASMEND
	;;#ASMSTART
	v_pk_mul_f32 v[2:3], v[92:93], v[2:3]
	;;#ASMEND
	;;#ASMSTART
	v_pk_mul_f32 v[60:61], v[4:5], v[18:19]
	;;#ASMEND
	v_cvt_f32_u32_sdwa v19, v76 dst_sel:DWORD dst_unused:UNUSED_PAD src0_sel:WORD_1
	v_cvt_f32_u32_sdwa v18, v76 dst_sel:DWORD dst_unused:UNUSED_PAD src0_sel:WORD_0
	;;#ASMSTART
	v_pk_mul_f32 v[42:43], v[6:7], v[20:21]
	;;#ASMEND
	v_cvt_f32_u32_sdwa v5, v82 dst_sel:DWORD dst_unused:UNUSED_PAD src0_sel:WORD_1
	v_cvt_f32_u32_sdwa v4, v82 dst_sel:DWORD dst_unused:UNUSED_PAD src0_sel:WORD_0
	v_cvt_f32_u32_sdwa v7, v83 dst_sel:DWORD dst_unused:UNUSED_PAD src0_sel:WORD_1
	v_cvt_f32_u32_sdwa v6, v83 dst_sel:DWORD dst_unused:UNUSED_PAD src0_sel:WORD_0
	v_cvt_f32_u32_sdwa v21, v77 dst_sel:DWORD dst_unused:UNUSED_PAD src0_sel:WORD_1
	v_cvt_f32_u32_sdwa v20, v77 dst_sel:DWORD dst_unused:UNUSED_PAD src0_sel:WORD_0
	;;#ASMSTART
	v_pk_mul_f32 v[48:49], v[8:9], v[4:5]
	;;#ASMEND
	;;#ASMSTART
	v_pk_mul_f32 v[32:33], v[10:11], v[6:7]
	;;#ASMEND
	;; [unrolled: 3-line block ×6, first 2 shown]
	s_or_b64 exec, exec, s[24:25]
	s_mov_b64 s[8:9], -1
	s_and_b64 vcc, exec, s[22:23]
	s_cbranch_vccz .LBB56_15
.LBB56_19:
	s_and_saveexec_b64 s[8:9], s[0:1]
	s_cbranch_execz .LBB56_21
; %bb.20:
	s_mul_hi_i32 s23, s28, s6
	s_mul_i32 s22, s28, s6
	s_lshl_b64 s[22:23], s[22:23], 1
	s_add_u32 s24, s34, s22
	s_addc_u32 s7, s35, s23
	s_and_b32 s25, s7, 0xffff
	s_mov_b32 s7, 0x7060302
	s_mov_b32 s27, 0x20000
	v_perm_b32 v5, v33, v32, s7
	v_perm_b32 v4, v49, v48, s7
	;; [unrolled: 1-line block ×4, first 2 shown]
	v_lshlrev_b32_e32 v6, 1, v1
	buffer_store_dwordx4 v[2:5], v6, s[24:27], 0 offen
	;;#ASMSTART
	s_nop 0
	;;#ASMEND
	s_nop 0
	v_perm_b32 v5, v93, v92, s7
	v_perm_b32 v4, v15, v14, s7
	;; [unrolled: 1-line block ×4, first 2 shown]
	s_movk_i32 s7, 0x400
	buffer_store_dwordx4 v[2:5], v6, s[24:27], s7 offen
	;;#ASMSTART
	s_nop 0
	;;#ASMEND
.LBB56_21:
	s_or_b64 exec, exec, s[8:9]
	s_cbranch_execnz .LBB56_16
.LBB56_22:
	v_mov_b32_e32 v2, 0
	s_and_saveexec_b64 s[8:9], s[0:1]
	s_cbranch_execz .LBB56_24
; %bb.23:
	v_and_b32_e32 v2, 0x7fffffff, v60
	v_and_b32_e32 v3, 0x7fffffff, v61
	v_mov_b32_e32 v4, 0x2edbe6ff
	;;#ASMSTART
	v_max3_f32 v2, v4, v2, v3

	;;#ASMEND
	v_and_b32_e32 v3, 0x7fffffff, v42
	v_and_b32_e32 v4, 0x7fffffff, v43
	;;#ASMSTART
	v_max3_f32 v2, v2, v3, v4

	;;#ASMEND
	v_and_b32_e32 v3, 0x7fffffff, v48
	v_and_b32_e32 v4, 0x7fffffff, v49
	;; [unrolled: 6-line block ×7, first 2 shown]
	;;#ASMSTART
	v_max3_f32 v2, v2, v3, v4

	;;#ASMEND
.LBB56_24:
	s_or_b64 exec, exec, s[8:9]
	s_nop 0
	v_mov_b32_dpp v3, v2 quad_perm:[1,0,3,2] row_mask:0xf bank_mask:0xf
	v_cmp_gt_f32_e32 vcc, v2, v3
	v_cndmask_b32_e32 v2, v3, v2, vcc
	s_nop 1
	v_mov_b32_dpp v3, v2 quad_perm:[2,3,0,1] row_mask:0xf bank_mask:0xf
	v_cmp_gt_f32_e32 vcc, v2, v3
	v_cndmask_b32_e32 v2, v3, v2, vcc
	s_nop 1
	v_mov_b32_dpp v3, v2 row_half_mirror row_mask:0xf bank_mask:0xf
	v_cmp_gt_f32_e32 vcc, v2, v3
	v_cndmask_b32_e32 v2, v3, v2, vcc
	s_nop 1
	v_mov_b32_dpp v3, v2 row_mirror row_mask:0xf bank_mask:0xf
	v_cmp_gt_f32_e32 vcc, v2, v3
	v_cndmask_b32_e32 v2, v3, v2, vcc
	s_nop 1
	v_mov_b32_dpp v3, v2 row_bcast:15 row_mask:0xf bank_mask:0xf
	v_cmp_gt_f32_e32 vcc, v2, v3
	v_cndmask_b32_e32 v2, v3, v2, vcc
	s_nop 1
	v_mov_b32_dpp v3, v2 row_bcast:31 row_mask:0xf bank_mask:0xf
	s_and_saveexec_b64 s[8:9], s[2:3]
	s_cbranch_execz .LBB56_26
; %bb.25:
	v_cmp_gt_f32_e32 vcc, v2, v3
	v_cndmask_b32_e32 v2, v3, v2, vcc
	v_lshrrev_b32_e32 v3, 4, v0
	v_and_b32_e32 v3, 60, v3
	ds_write_b32 v3, v2
.LBB56_26:
	s_or_b64 exec, exec, s[8:9]
	s_waitcnt lgkmcnt(0)
	s_barrier
	ds_read_b32 v2, v34
	s_waitcnt lgkmcnt(0)
	s_nop 0
	v_mov_b32_dpp v3, v2 quad_perm:[1,0,3,2] row_mask:0xf bank_mask:0xf
	v_cmp_gt_f32_e32 vcc, v2, v3
	v_cndmask_b32_e32 v2, v3, v2, vcc
	s_nop 1
	v_mov_b32_dpp v3, v2 quad_perm:[2,3,0,1] row_mask:0xf bank_mask:0xf
	v_cmp_gt_f32_e32 vcc, v2, v3
	v_cndmask_b32_e32 v2, v3, v2, vcc
	v_mul_f32_e32 v2, 0x3b124925, v2
	v_cmp_eq_u32_e32 vcc, 0, v0
	s_and_saveexec_b64 s[8:9], vcc
	s_cbranch_execz .LBB56_28
; %bb.27:
	s_load_dwordx2 s[22:23], s[4:5], 0x8
	s_mul_hi_i32 s25, s11, s6
	s_mul_i32 s24, s11, s6
	s_lshl_b64 s[24:25], s[24:25], 2
	v_mov_b32_e32 v3, 0
	s_waitcnt lgkmcnt(0)
	s_add_u32 s22, s22, s24
	s_addc_u32 s23, s23, s25
	global_store_dword v3, v2, s[22:23]
.LBB56_28:
	s_or_b64 exec, exec, s[8:9]
	;;#ASMSTART
	v_rcp_f32 v2, v2
	;;#ASMEND
	s_and_saveexec_b64 s[22:23], s[0:1]
	s_cbranch_execz .LBB56_30
; %bb.29:
	s_load_dwordx2 s[0:1], s[4:5], 0x0
	v_mov_b32_e32 v3, v2
	;;#ASMSTART
	v_pk_mul_f32 v[4:5], v[60:61], v[2:3]
	;;#ASMEND
	v_mov_b32_e32 v8, 0xc3e00000
	v_mov_b32_e32 v9, 0x43e00000
	;;#ASMSTART
	v_med3_f32 v4, v4, v8, v9
v_med3_f32 v5, v5, v8, v9
v_cvt_pk_fp8_f32 v6, v4, v5
	;;#ASMEND
	;;#ASMSTART
	v_pk_mul_f32 v[4:5], v[42:43], v[2:3]
	;;#ASMEND
	;;#ASMSTART
	v_med3_f32 v4, v4, v8, v9
v_med3_f32 v5, v5, v8, v9
v_cvt_pk_fp8_f32 v7, v4, v5
	;;#ASMEND
	s_mul_i32 s8, s10, s6
	;;#ASMSTART
	v_pk_mul_f32 v[4:5], v[48:49], v[2:3]
	;;#ASMEND
	s_mul_hi_i32 s7, s10, s6
	s_waitcnt lgkmcnt(0)
	s_add_u32 s8, s0, s8
	;;#ASMSTART
	v_med3_f32 v4, v4, v8, v9
v_med3_f32 v5, v5, v8, v9
v_cvt_pk_fp8_f32 v10, v4, v5
	;;#ASMEND
	s_addc_u32 s0, s1, s7
	s_add_i32 s1, s15, 3
	;;#ASMSTART
	v_pk_mul_f32 v[4:5], v[32:33], v[2:3]
	;;#ASMEND
	s_ashr_i32 s7, s1, 31
	;;#ASMSTART
	v_med3_f32 v4, v4, v8, v9
v_med3_f32 v5, v5, v8, v9
v_cvt_pk_fp8_f32 v11, v4, v5
	;;#ASMEND
	s_lshr_b32 s7, s7, 30
	s_and_b32 s9, s0, 0xffff
	s_mov_b32 s0, 0x5040100
	s_add_i32 s1, s1, s7
	v_perm_b32 v5, v7, v6, s0
	s_movk_i32 s7, 0xff
	v_and_b32_e32 v4, 0xffffff00, v7
	v_and_b32_sdwa v6, v5, s7 dst_sel:DWORD dst_unused:UNUSED_PAD src0_sel:WORD_1 src1_sel:DWORD
	s_and_b32 s10, s1, -4
	s_mov_b32 s1, 0xffff
	v_or_b32_sdwa v4, v6, v4 dst_sel:WORD_1 dst_unused:UNUSED_PAD src0_sel:DWORD src1_sel:DWORD
	v_and_or_b32 v4, v5, s1, v4
	v_lshlrev_b32_e32 v5, 16, v11
	s_mov_b32 s11, 0x20000
	v_and_or_b32 v5, v10, s1, v5
	buffer_store_dwordx2 v[4:5], v1, s[8:11], 0 offen
	;;#ASMSTART
	s_nop 0
	;;#ASMEND
	;;#ASMSTART
	v_pk_mul_f32 v[4:5], v[24:25], v[2:3]
	;;#ASMEND
	;;#ASMSTART
	v_med3_f32 v4, v4, v8, v9
v_med3_f32 v5, v5, v8, v9
v_cvt_pk_fp8_f32 v6, v4, v5
	;;#ASMEND
	;;#ASMSTART
	v_pk_mul_f32 v[4:5], v[18:19], v[2:3]
	;;#ASMEND
	;;#ASMSTART
	v_med3_f32 v4, v4, v8, v9
v_med3_f32 v5, v5, v8, v9
v_cvt_pk_fp8_f32 v7, v4, v5
	;;#ASMEND
	v_perm_b32 v5, v7, v6, s0
	v_and_b32_e32 v4, 0xffffff00, v7
	v_and_b32_sdwa v6, v5, s7 dst_sel:DWORD dst_unused:UNUSED_PAD src0_sel:WORD_1 src1_sel:DWORD
	v_or_b32_sdwa v4, v6, v4 dst_sel:WORD_1 dst_unused:UNUSED_PAD src0_sel:DWORD src1_sel:DWORD
	v_and_or_b32 v4, v5, s1, v4
	;;#ASMSTART
	v_pk_mul_f32 v[6:7], v[14:15], v[2:3]
	;;#ASMEND
	v_mov_b32_e32 v5, v7
	;;#ASMSTART
	v_med3_f32 v6, v6, v8, v9
v_med3_f32 v5, v5, v8, v9
v_cvt_pk_fp8_f32 v7, v6, v5
	;;#ASMEND
	;;#ASMSTART
	v_pk_mul_f32 v[2:3], v[92:93], v[2:3]
	;;#ASMEND
	;;#ASMSTART
	v_med3_f32 v2, v2, v8, v9
v_med3_f32 v3, v3, v8, v9
v_cvt_pk_fp8_f32 v5, v2, v3
	;;#ASMEND
	v_lshlrev_b32_e32 v2, 16, v5
	v_and_or_b32 v5, v7, s1, v2
	s_movk_i32 s0, 0x200
	buffer_store_dwordx2 v[4:5], v1, s[8:11], s0 offen
	;;#ASMSTART
	s_nop 0
	;;#ASMEND
.LBB56_30:
	s_or_b64 exec, exec, s[22:23]
	s_cmp_lt_i32 s16, 1
	s_cbranch_scc1 .LBB56_17
.LBB56_31:
	s_load_dword s0, s[4:5], 0x94
	s_waitcnt lgkmcnt(0)
	s_cmp_lg_u32 s0, 1
	s_cbranch_scc1 .LBB56_17
; %bb.32:
	s_lshl_b32 s0, s16, 1
	s_add_i32 s0, s0, 2
	v_cmp_gt_u32_e32 vcc, s16, v1
	s_and_b32 s22, s0, -4
	v_mov_b32_e32 v18, 0
	v_lshlrev_b32_e32 v1, 1, v1
	v_mov_b32_e32 v14, 0
	v_mov_b32_e32 v15, 0
	;; [unrolled: 1-line block ×16, first 2 shown]
	s_barrier
	s_and_saveexec_b64 s[0:1], vcc
	s_cbranch_execz .LBB56_34
; %bb.33:
	s_mul_hi_i32 s5, s18, s6
	s_mul_i32 s4, s18, s6
	s_and_b32 s21, s21, 0xffff
	s_lshl_b64 s[4:5], s[4:5], 1
	s_add_u32 s8, s30, s4
	s_mov_b32 s23, 0x20000
	s_addc_u32 s4, s31, s5
	s_and_b32 s9, s4, 0xffff
	s_mov_b32 s10, s22
	s_mov_b32 s11, s23
	s_movk_i32 s4, 0x400
	buffer_load_dwordx4 v[14:17], v1, s[8:11], 0 offen glc slc
	buffer_load_dwordx4 v[10:13], v1, s[8:11], s4 offen glc slc
	buffer_load_dwordx4 v[6:9], v1, s[20:23], 0 offen
	buffer_load_dwordx4 v[2:5], v1, s[20:23], s4 offen
.LBB56_34:
	s_or_b64 exec, exec, s[0:1]
	v_mov_b32_e32 v19, 0
	v_mov_b32_e32 v32, 0
	;; [unrolled: 1-line block ×15, first 2 shown]
	s_and_saveexec_b64 s[0:1], vcc
	s_cbranch_execz .LBB56_36
; %bb.35:
	s_waitcnt vmcnt(3)
	v_cvt_f32_u32_sdwa v18, v14 dst_sel:DWORD dst_unused:UNUSED_PAD src0_sel:WORD_0
	v_cvt_f32_u32_sdwa v19, v14 dst_sel:DWORD dst_unused:UNUSED_PAD src0_sel:WORD_1
	v_cvt_f32_u32_sdwa v32, v15 dst_sel:DWORD dst_unused:UNUSED_PAD src0_sel:WORD_0
	v_cvt_f32_u32_sdwa v33, v15 dst_sel:DWORD dst_unused:UNUSED_PAD src0_sel:WORD_1
	v_cvt_f32_u32_sdwa v30, v16 dst_sel:DWORD dst_unused:UNUSED_PAD src0_sel:WORD_0
	v_cvt_f32_u32_sdwa v31, v16 dst_sel:DWORD dst_unused:UNUSED_PAD src0_sel:WORD_1
	v_cvt_f32_u32_sdwa v28, v17 dst_sel:DWORD dst_unused:UNUSED_PAD src0_sel:WORD_0
	v_cvt_f32_u32_sdwa v29, v17 dst_sel:DWORD dst_unused:UNUSED_PAD src0_sel:WORD_1
	s_waitcnt vmcnt(2)
	v_cvt_f32_u32_sdwa v26, v10 dst_sel:DWORD dst_unused:UNUSED_PAD src0_sel:WORD_0
	v_cvt_f32_u32_sdwa v27, v10 dst_sel:DWORD dst_unused:UNUSED_PAD src0_sel:WORD_1
	v_cvt_f32_u32_sdwa v24, v11 dst_sel:DWORD dst_unused:UNUSED_PAD src0_sel:WORD_0
	v_cvt_f32_u32_sdwa v25, v11 dst_sel:DWORD dst_unused:UNUSED_PAD src0_sel:WORD_1
	;; [unrolled: 2-line block ×4, first 2 shown]
.LBB56_36:
	s_or_b64 exec, exec, s[0:1]
	s_waitcnt vmcnt(2)
	v_mul_f32_e32 v10, v19, v19
	v_fmac_f32_e32 v10, v18, v18
	v_fmac_f32_e32 v10, v32, v32
	;; [unrolled: 1-line block ×15, first 2 shown]
	s_nop 1
	v_mov_b32_dpp v11, v10 quad_perm:[1,0,3,2] row_mask:0xf bank_mask:0xf
	v_add_f32_e32 v10, v10, v11
	s_nop 1
	v_mov_b32_dpp v11, v10 quad_perm:[2,3,0,1] row_mask:0xf bank_mask:0xf
	v_add_f32_e32 v10, v10, v11
	s_nop 1
	v_mov_b32_dpp v11, v10 row_half_mirror row_mask:0xf bank_mask:0xf
	v_add_f32_e32 v10, v10, v11
	s_nop 1
	v_mov_b32_dpp v11, v10 row_mirror row_mask:0xf bank_mask:0xf
	v_add_f32_e32 v10, v10, v11
	s_nop 1
	v_mov_b32_dpp v11, v10 row_bcast:15 row_mask:0xf bank_mask:0xf
	v_add_f32_e32 v10, v10, v11
	s_nop 1
	v_mov_b32_dpp v11, v10 row_bcast:31 row_mask:0xf bank_mask:0xf
	s_and_saveexec_b64 s[0:1], s[2:3]
	s_cbranch_execz .LBB56_38
; %bb.37:
	v_lshrrev_b32_e32 v0, 4, v0
	v_add_f32_e32 v10, v10, v11
	v_and_b32_e32 v0, 60, v0
	ds_write_b32 v0, v10 offset:16
.LBB56_38:
	s_or_b64 exec, exec, s[0:1]
	s_waitcnt lgkmcnt(0)
	s_barrier
	ds_read_b32 v0, v34 offset:16
	s_waitcnt lgkmcnt(0)
	s_nop 0
	v_mov_b32_dpp v10, v0 quad_perm:[1,0,3,2] row_mask:0xf bank_mask:0xf
	v_add_f32_e32 v0, v0, v10
	s_nop 1
	v_mov_b32_dpp v10, v0 quad_perm:[2,3,0,1] row_mask:0xf bank_mask:0xf
	s_and_saveexec_b64 s[0:1], vcc
	s_cbranch_execz .LBB56_17
; %bb.39:
	v_cvt_f32_u32_e32 v11, s16
	v_add_f32_e32 v0, v0, v10
	s_mov_b32 s23, 0x20000
	v_div_scale_f32 v10, s[0:1], v11, v11, v0
	v_rcp_f32_e32 v12, v10
	v_div_scale_f32 v13, vcc, v0, v11, v0
	s_mov_b32 s0, 0x800000
	v_fma_f32 v14, -v10, v12, 1.0
	v_fmac_f32_e32 v12, v14, v12
	v_mul_f32_e32 v14, v13, v12
	v_fma_f32 v15, -v10, v14, v13
	v_fmac_f32_e32 v14, v15, v12
	v_fma_f32 v10, -v10, v14, v13
	v_div_fmas_f32 v10, v10, v12, v14
	v_div_fixup_f32 v0, v10, v11, v0
	v_add_f32_e32 v0, s13, v0
	v_mul_f32_e32 v10, 0x4b800000, v0
	v_cmp_gt_f32_e32 vcc, s0, v0
	v_cndmask_b32_e32 v0, v0, v10, vcc
	v_rsq_f32_e32 v0, v0
	s_mul_hi_i32 s1, s28, s6
	s_mul_i32 s0, s28, s6
	s_lshl_b64 s[0:1], s[0:1], 1
	v_mul_f32_e32 v10, 0x45800000, v0
	v_cndmask_b32_e32 v10, v0, v10, vcc
	v_mov_b32_e32 v11, v10
	s_add_u32 s20, s34, s0
	;;#ASMSTART
	v_pk_mul_f32 v[12:13], v[18:19], v[10:11]
	;;#ASMEND
	;;#ASMSTART
	v_pk_mul_f32 v[14:15], v[32:33], v[10:11]
	;;#ASMEND
	;; [unrolled: 3-line block ×8, first 2 shown]
	s_waitcnt vmcnt(1)
	v_cvt_f32_u32_sdwa v21, v6 dst_sel:DWORD dst_unused:UNUSED_PAD src0_sel:WORD_1
	v_cvt_f32_u32_sdwa v20, v6 dst_sel:DWORD dst_unused:UNUSED_PAD src0_sel:WORD_0
	v_cvt_f32_u32_sdwa v29, v7 dst_sel:DWORD dst_unused:UNUSED_PAD src0_sel:WORD_1
	v_cvt_f32_u32_sdwa v28, v7 dst_sel:DWORD dst_unused:UNUSED_PAD src0_sel:WORD_0
	;; [unrolled: 2-line block ×3, first 2 shown]
	s_addc_u32 s0, s35, s1
	v_cvt_f32_u32_sdwa v31, v9 dst_sel:DWORD dst_unused:UNUSED_PAD src0_sel:WORD_1
	v_cvt_f32_u32_sdwa v30, v9 dst_sel:DWORD dst_unused:UNUSED_PAD src0_sel:WORD_0
	;;#ASMSTART
	v_pk_mul_f32 v[8:9], v[12:13], v[20:21]
	;;#ASMEND
	;;#ASMSTART
	v_pk_mul_f32 v[12:13], v[14:15], v[28:29]
	;;#ASMEND
	;; [unrolled: 3-line block ×4, first 2 shown]
	s_waitcnt vmcnt(0)
	v_cvt_f32_u32_sdwa v17, v2 dst_sel:DWORD dst_unused:UNUSED_PAD src0_sel:WORD_1
	v_cvt_f32_u32_sdwa v16, v2 dst_sel:DWORD dst_unused:UNUSED_PAD src0_sel:WORD_0
	v_cvt_f32_u32_sdwa v19, v3 dst_sel:DWORD dst_unused:UNUSED_PAD src0_sel:WORD_1
	v_cvt_f32_u32_sdwa v18, v3 dst_sel:DWORD dst_unused:UNUSED_PAD src0_sel:WORD_0
	;; [unrolled: 2-line block ×3, first 2 shown]
	s_and_b32 s21, s0, 0xffff
	s_mov_b32 s0, 0x7060302
	v_cvt_f32_u32_sdwa v21, v5 dst_sel:DWORD dst_unused:UNUSED_PAD src0_sel:WORD_1
	v_cvt_f32_u32_sdwa v20, v5 dst_sel:DWORD dst_unused:UNUSED_PAD src0_sel:WORD_0
	;;#ASMSTART
	v_pk_mul_f32 v[16:17], v[26:27], v[16:17]
	;;#ASMEND
	;;#ASMSTART
	v_pk_mul_f32 v[18:19], v[24:25], v[18:19]
	;;#ASMEND
	;; [unrolled: 3-line block ×3, first 2 shown]
	v_perm_b32 v2, v9, v8, s0
	v_perm_b32 v3, v13, v12, s0
	;; [unrolled: 1-line block ×4, first 2 shown]
	;;#ASMSTART
	v_pk_mul_f32 v[10:11], v[10:11], v[20:21]
	;;#ASMEND
	buffer_store_dwordx4 v[2:5], v1, s[20:23], 0 offen
	;;#ASMSTART
	s_nop 0
	;;#ASMEND
	s_nop 0
	v_perm_b32 v2, v17, v16, s0
	v_perm_b32 v3, v19, v18, s0
	;; [unrolled: 1-line block ×4, first 2 shown]
	s_movk_i32 s0, 0x400
	buffer_store_dwordx4 v[2:5], v1, s[20:23], s0 offen
	;;#ASMSTART
	s_nop 0
	;;#ASMEND
	s_endpgm
	.section	.rodata,"a",@progbits
	.p2align	6, 0x0
	.amdhsa_kernel _ZN5aiter35fused_qk_rmsnorm_group_quant_kernelItDB8_Li256ELi16ELi1ELb1ELb0ELb0ELb0ELb1ELb1EEEvPT0_PvPT_S6_S6_PKS5_S8_S8_S8_S8_ffiiiiiiiiiiiii
		.amdhsa_group_segment_fixed_size 48
		.amdhsa_private_segment_fixed_size 0
		.amdhsa_kernarg_size 400
		.amdhsa_user_sgpr_count 6
		.amdhsa_user_sgpr_private_segment_buffer 1
		.amdhsa_user_sgpr_dispatch_ptr 0
		.amdhsa_user_sgpr_queue_ptr 0
		.amdhsa_user_sgpr_kernarg_segment_ptr 1
		.amdhsa_user_sgpr_dispatch_id 0
		.amdhsa_user_sgpr_flat_scratch_init 0
		.amdhsa_user_sgpr_kernarg_preload_length 0
		.amdhsa_user_sgpr_kernarg_preload_offset 0
		.amdhsa_user_sgpr_private_segment_size 0
		.amdhsa_uses_dynamic_stack 0
		.amdhsa_system_sgpr_private_segment_wavefront_offset 0
		.amdhsa_system_sgpr_workgroup_id_x 1
		.amdhsa_system_sgpr_workgroup_id_y 1
		.amdhsa_system_sgpr_workgroup_id_z 0
		.amdhsa_system_sgpr_workgroup_info 0
		.amdhsa_system_vgpr_workitem_id 0
		.amdhsa_next_free_vgpr 94
		.amdhsa_next_free_sgpr 40
		.amdhsa_accum_offset 96
		.amdhsa_reserve_vcc 1
		.amdhsa_reserve_flat_scratch 0
		.amdhsa_float_round_mode_32 0
		.amdhsa_float_round_mode_16_64 0
		.amdhsa_float_denorm_mode_32 3
		.amdhsa_float_denorm_mode_16_64 3
		.amdhsa_dx10_clamp 1
		.amdhsa_ieee_mode 1
		.amdhsa_fp16_overflow 0
		.amdhsa_tg_split 0
		.amdhsa_exception_fp_ieee_invalid_op 0
		.amdhsa_exception_fp_denorm_src 0
		.amdhsa_exception_fp_ieee_div_zero 0
		.amdhsa_exception_fp_ieee_overflow 0
		.amdhsa_exception_fp_ieee_underflow 0
		.amdhsa_exception_fp_ieee_inexact 0
		.amdhsa_exception_int_div_zero 0
	.end_amdhsa_kernel
	.section	.text._ZN5aiter35fused_qk_rmsnorm_group_quant_kernelItDB8_Li256ELi16ELi1ELb1ELb0ELb0ELb0ELb1ELb1EEEvPT0_PvPT_S6_S6_PKS5_S8_S8_S8_S8_ffiiiiiiiiiiiii,"axG",@progbits,_ZN5aiter35fused_qk_rmsnorm_group_quant_kernelItDB8_Li256ELi16ELi1ELb1ELb0ELb0ELb0ELb1ELb1EEEvPT0_PvPT_S6_S6_PKS5_S8_S8_S8_S8_ffiiiiiiiiiiiii,comdat
.Lfunc_end56:
	.size	_ZN5aiter35fused_qk_rmsnorm_group_quant_kernelItDB8_Li256ELi16ELi1ELb1ELb0ELb0ELb0ELb1ELb1EEEvPT0_PvPT_S6_S6_PKS5_S8_S8_S8_S8_ffiiiiiiiiiiiii, .Lfunc_end56-_ZN5aiter35fused_qk_rmsnorm_group_quant_kernelItDB8_Li256ELi16ELi1ELb1ELb0ELb0ELb0ELb1ELb1EEEvPT0_PvPT_S6_S6_PKS5_S8_S8_S8_S8_ffiiiiiiiiiiiii
                                        ; -- End function
	.section	.AMDGPU.csdata,"",@progbits
; Kernel info:
; codeLenInByte = 4340
; NumSgprs: 44
; NumVgprs: 94
; NumAgprs: 0
; TotalNumVgprs: 94
; ScratchSize: 0
; MemoryBound: 0
; FloatMode: 240
; IeeeMode: 1
; LDSByteSize: 48 bytes/workgroup (compile time only)
; SGPRBlocks: 5
; VGPRBlocks: 11
; NumSGPRsForWavesPerEU: 44
; NumVGPRsForWavesPerEU: 94
; AccumOffset: 96
; Occupancy: 5
; WaveLimiterHint : 0
; COMPUTE_PGM_RSRC2:SCRATCH_EN: 0
; COMPUTE_PGM_RSRC2:USER_SGPR: 6
; COMPUTE_PGM_RSRC2:TRAP_HANDLER: 0
; COMPUTE_PGM_RSRC2:TGID_X_EN: 1
; COMPUTE_PGM_RSRC2:TGID_Y_EN: 1
; COMPUTE_PGM_RSRC2:TGID_Z_EN: 0
; COMPUTE_PGM_RSRC2:TIDIG_COMP_CNT: 0
; COMPUTE_PGM_RSRC3_GFX90A:ACCUM_OFFSET: 23
; COMPUTE_PGM_RSRC3_GFX90A:TG_SPLIT: 0
	.section	.text._ZN5aiter35fused_qk_rmsnorm_group_quant_kernelIDF16_DB8_Li256ELi16ELi1ELb0ELb1ELb1ELb0ELb1ELb1EEEvPT0_PvPT_S6_S6_PKS5_S8_S8_S8_S8_ffiiiiiiiiiiiii,"axG",@progbits,_ZN5aiter35fused_qk_rmsnorm_group_quant_kernelIDF16_DB8_Li256ELi16ELi1ELb0ELb1ELb1ELb0ELb1ELb1EEEvPT0_PvPT_S6_S6_PKS5_S8_S8_S8_S8_ffiiiiiiiiiiiii,comdat
	.protected	_ZN5aiter35fused_qk_rmsnorm_group_quant_kernelIDF16_DB8_Li256ELi16ELi1ELb0ELb1ELb1ELb0ELb1ELb1EEEvPT0_PvPT_S6_S6_PKS5_S8_S8_S8_S8_ffiiiiiiiiiiiii ; -- Begin function _ZN5aiter35fused_qk_rmsnorm_group_quant_kernelIDF16_DB8_Li256ELi16ELi1ELb0ELb1ELb1ELb0ELb1ELb1EEEvPT0_PvPT_S6_S6_PKS5_S8_S8_S8_S8_ffiiiiiiiiiiiii
	.globl	_ZN5aiter35fused_qk_rmsnorm_group_quant_kernelIDF16_DB8_Li256ELi16ELi1ELb0ELb1ELb1ELb0ELb1ELb1EEEvPT0_PvPT_S6_S6_PKS5_S8_S8_S8_S8_ffiiiiiiiiiiiii
	.p2align	8
	.type	_ZN5aiter35fused_qk_rmsnorm_group_quant_kernelIDF16_DB8_Li256ELi16ELi1ELb0ELb1ELb1ELb0ELb1ELb1EEEvPT0_PvPT_S6_S6_PKS5_S8_S8_S8_S8_ffiiiiiiiiiiiii,@function
_ZN5aiter35fused_qk_rmsnorm_group_quant_kernelIDF16_DB8_Li256ELi16ELi1ELb0ELb1ELb1ELb0ELb1ELb1EEEvPT0_PvPT_S6_S6_PKS5_S8_S8_S8_S8_ffiiiiiiiiiiiii: ; @_ZN5aiter35fused_qk_rmsnorm_group_quant_kernelIDF16_DB8_Li256ELi16ELi1ELb0ELb1ELb1ELb0ELb1ELb1EEEvPT0_PvPT_S6_S6_PKS5_S8_S8_S8_S8_ffiiiiiiiiiiiii
; %bb.0:
	s_load_dwordx4 s[12:15], s[4:5], 0x50
	s_waitcnt lgkmcnt(0)
	s_cmp_ge_i32 s6, s14
	s_cbranch_scc1 .LBB57_12
; %bb.1:
	s_load_dwordx2 s[8:9], s[4:5], 0x48
	s_load_dwordx2 s[26:27], s[4:5], 0x30
	s_load_dwordx4 s[16:19], s[4:5], 0x60
	s_cmp_lg_u32 s7, 0
	s_cselect_b64 s[10:11], -1, 0
	s_cmp_eq_u32 s7, 0
	s_cselect_b64 vcc, -1, 0
	s_and_b64 s[0:1], vcc, exec
	s_waitcnt lgkmcnt(0)
	s_cselect_b32 s7, s15, s16
	s_add_i32 s0, s7, 1
	s_lshr_b32 s1, s0, 31
	s_add_i32 s0, s0, s1
	s_lshl_b32 s0, s0, 1
	v_lshlrev_b32_e32 v2, 4, v0
	s_and_b32 s22, s0, -4
	v_lshlrev_b32_e32 v1, 3, v0
	v_and_b32_e32 v2, 0x3c00, v2
	s_movk_i32 s0, 0x1f8
	v_and_or_b32 v1, v1, s0, v2
	v_cmp_gt_i32_e64 s[2:3], s7, v1
	v_mov_b32_e32 v18, 0
	v_mov_b32_e32 v6, 0
	;; [unrolled: 1-line block ×17, first 2 shown]
	s_and_saveexec_b64 s[0:1], s[2:3]
	s_cbranch_execz .LBB57_3
; %bb.2:
	s_load_dwordx2 s[20:21], s[4:5], 0x28
	s_load_dwordx2 s[24:25], s[4:5], 0x40
	s_and_b64 s[28:29], vcc, exec
	s_cselect_b32 s14, s17, s18
	s_mov_b32 s23, 0x20000
	s_waitcnt lgkmcnt(0)
	s_cselect_b32 s17, s21, s27
	s_cselect_b32 s19, s20, s26
	s_mul_hi_i32 s21, s14, s6
	s_mul_i32 s20, s14, s6
	s_lshl_b64 s[20:21], s[20:21], 1
	s_add_u32 s28, s19, s20
	s_addc_u32 s14, s17, s21
	s_and_b64 s[20:21], vcc, exec
	s_cselect_b32 s20, s24, s8
	s_cselect_b32 s17, s25, s9
	s_and_b32 s29, s14, 0xffff
	s_mov_b32 s30, s22
	s_mov_b32 s31, s23
	v_lshlrev_b32_e32 v19, 1, v1
	s_and_b32 s21, s17, 0xffff
	s_movk_i32 s14, 0x400
	buffer_load_dwordx4 v[14:17], v19, s[28:31], 0 offen glc slc
	buffer_load_dwordx4 v[10:13], v19, s[28:31], s14 offen glc slc
	buffer_load_dwordx4 v[6:9], v19, s[20:23], 0 offen
	buffer_load_dwordx4 v[2:5], v19, s[20:23], s14 offen
.LBB57_3:
	s_or_b64 exec, exec, s[0:1]
	v_mov_b32_e32 v19, 0
	v_mov_b32_e32 v32, 0
	;; [unrolled: 1-line block ×15, first 2 shown]
	s_and_saveexec_b64 s[0:1], s[2:3]
	s_cbranch_execz .LBB57_5
; %bb.4:
	s_waitcnt vmcnt(3)
	v_cvt_f32_f16_sdwa v19, v14 dst_sel:DWORD dst_unused:UNUSED_PAD src0_sel:WORD_1
	v_cvt_f32_f16_e32 v18, v14
	v_cvt_f32_f16_sdwa v33, v15 dst_sel:DWORD dst_unused:UNUSED_PAD src0_sel:WORD_1
	v_cvt_f32_f16_e32 v32, v15
	v_cvt_f32_f16_sdwa v29, v16 dst_sel:DWORD dst_unused:UNUSED_PAD src0_sel:WORD_1
	v_cvt_f32_f16_e32 v28, v16
	v_cvt_f32_f16_sdwa v31, v17 dst_sel:DWORD dst_unused:UNUSED_PAD src0_sel:WORD_1
	v_cvt_f32_f16_e32 v30, v17
	s_waitcnt vmcnt(2)
	v_cvt_f32_f16_sdwa v25, v10 dst_sel:DWORD dst_unused:UNUSED_PAD src0_sel:WORD_1
	v_cvt_f32_f16_e32 v24, v10
	v_cvt_f32_f16_sdwa v27, v11 dst_sel:DWORD dst_unused:UNUSED_PAD src0_sel:WORD_1
	v_cvt_f32_f16_e32 v26, v11
	;; [unrolled: 2-line block ×4, first 2 shown]
.LBB57_5:
	s_or_b64 exec, exec, s[0:1]
	s_waitcnt vmcnt(2)
	v_mul_f32_e32 v10, v19, v19
	v_fmac_f32_e32 v10, v18, v18
	v_fmac_f32_e32 v10, v32, v32
	v_fmac_f32_e32 v10, v33, v33
	v_fmac_f32_e32 v10, v28, v28
	v_fmac_f32_e32 v10, v29, v29
	v_fmac_f32_e32 v10, v30, v30
	v_fmac_f32_e32 v10, v31, v31
	v_fmac_f32_e32 v10, v24, v24
	v_fmac_f32_e32 v10, v25, v25
	v_fmac_f32_e32 v10, v26, v26
	v_fmac_f32_e32 v10, v27, v27
	v_fmac_f32_e32 v10, v22, v22
	v_fmac_f32_e32 v10, v23, v23
	v_fmac_f32_e32 v10, v20, v20
	v_fmac_f32_e32 v10, v21, v21
	v_and_b32_e32 v12, 63, v0
	v_cmp_eq_u32_e64 s[0:1], 63, v12
	v_mov_b32_dpp v11, v10 quad_perm:[1,0,3,2] row_mask:0xf bank_mask:0xf
	v_add_f32_e32 v10, v10, v11
	s_nop 1
	v_mov_b32_dpp v11, v10 quad_perm:[2,3,0,1] row_mask:0xf bank_mask:0xf
	v_add_f32_e32 v10, v10, v11
	s_nop 1
	v_mov_b32_dpp v11, v10 row_half_mirror row_mask:0xf bank_mask:0xf
	v_add_f32_e32 v10, v10, v11
	s_nop 1
	v_mov_b32_dpp v11, v10 row_mirror row_mask:0xf bank_mask:0xf
	v_add_f32_e32 v10, v10, v11
	s_nop 1
	v_mov_b32_dpp v11, v10 row_bcast:15 row_mask:0xf bank_mask:0xf
	v_add_f32_e32 v10, v10, v11
	s_nop 1
	v_mov_b32_dpp v11, v10 row_bcast:31 row_mask:0xf bank_mask:0xf
	s_and_saveexec_b64 s[20:21], s[0:1]
	s_cbranch_execz .LBB57_7
; %bb.6:
	v_add_f32_e32 v10, v10, v11
	v_lshrrev_b32_e32 v11, 4, v0
	v_and_b32_e32 v11, 60, v11
	ds_write_b32 v11, v10 offset:32
.LBB57_7:
	s_or_b64 exec, exec, s[20:21]
	v_and_b32_e32 v10, 3, v0
	v_lshlrev_b32_e32 v34, 2, v10
	s_waitcnt lgkmcnt(0)
	s_barrier
	ds_read_b32 v10, v34 offset:32
	s_load_dwordx2 s[24:25], s[4:5], 0x18
	s_waitcnt lgkmcnt(0)
	v_mov_b32_dpp v11, v10 quad_perm:[1,0,3,2] row_mask:0xf bank_mask:0xf
	v_add_f32_e32 v10, v10, v11
	s_nop 1
	v_mov_b32_dpp v11, v10 quad_perm:[2,3,0,1] row_mask:0xf bank_mask:0xf
	s_and_saveexec_b64 s[20:21], s[2:3]
	s_cbranch_execz .LBB57_9
; %bb.8:
	v_cvt_f32_u32_e32 v12, s7
	v_add_f32_e32 v10, v10, v11
	v_mov_b32_e32 v14, s13
	v_mov_b32_e32 v15, s12
	v_div_scale_f32 v11, s[28:29], v12, v12, v10
	v_rcp_f32_e32 v13, v11
	v_cndmask_b32_e32 v14, v14, v15, vcc
	s_mov_b32 s7, 0x800000
	v_fma_f32 v15, -v11, v13, 1.0
	v_fmac_f32_e32 v13, v15, v13
	v_div_scale_f32 v15, vcc, v10, v12, v10
	v_mul_f32_e32 v16, v15, v13
	v_fma_f32 v17, -v11, v16, v15
	v_fmac_f32_e32 v16, v17, v13
	v_fma_f32 v11, -v11, v16, v15
	v_div_fmas_f32 v11, v11, v13, v16
	v_div_fixup_f32 v10, v11, v12, v10
	v_add_f32_e32 v10, v14, v10
	v_mul_f32_e32 v11, 0x4b800000, v10
	v_cmp_gt_f32_e32 vcc, s7, v10
	v_cndmask_b32_e32 v10, v10, v11, vcc
	v_rsq_f32_e32 v10, v10
	v_mul_f32_e32 v11, 0x45800000, v10
	v_cndmask_b32_e32 v10, v10, v11, vcc
	v_mov_b32_e32 v11, v10
	;;#ASMSTART
	v_pk_mul_f32 v[12:13], v[18:19], v[10:11]
	;;#ASMEND
	s_waitcnt vmcnt(1)
	v_cvt_f32_f16_sdwa v19, v6 dst_sel:DWORD dst_unused:UNUSED_PAD src0_sel:WORD_1
	v_cvt_f32_f16_e32 v18, v6
	;;#ASMSTART
	v_pk_mul_f32 v[14:15], v[32:33], v[10:11]
	;;#ASMEND
	;;#ASMSTART
	v_pk_mul_f32 v[16:17], v[28:29], v[10:11]
	;;#ASMEND
	v_cvt_f32_f16_sdwa v29, v7 dst_sel:DWORD dst_unused:UNUSED_PAD src0_sel:WORD_1
	v_cvt_f32_f16_e32 v28, v7
	;;#ASMSTART
	v_pk_mul_f32 v[30:31], v[30:31], v[10:11]
	;;#ASMEND
	;;#ASMSTART
	v_pk_mul_f32 v[24:25], v[24:25], v[10:11]
	;;#ASMEND
	;; [unrolled: 3-line block ×5, first 2 shown]
	v_pk_add_f32 v[10:11], v[18:19], 1.0 op_sel_hi:[1,0]
	;;#ASMSTART
	v_pk_mul_f32 v[18:19], v[12:13], v[10:11]
	;;#ASMEND
	v_cvt_f32_f16_sdwa v13, v8 dst_sel:DWORD dst_unused:UNUSED_PAD src0_sel:WORD_1
	v_cvt_f32_f16_e32 v12, v8
	v_cvt_f32_f16_sdwa v21, v9 dst_sel:DWORD dst_unused:UNUSED_PAD src0_sel:WORD_1
	v_cvt_f32_f16_e32 v20, v9
	v_pk_add_f32 v[10:11], v[28:29], 1.0 op_sel_hi:[1,0]
	;;#ASMSTART
	v_pk_mul_f32 v[32:33], v[14:15], v[10:11]
	;;#ASMEND
	s_waitcnt vmcnt(0)
	v_cvt_f32_f16_sdwa v11, v2 dst_sel:DWORD dst_unused:UNUSED_PAD src0_sel:WORD_1
	v_cvt_f32_f16_e32 v10, v2
	v_pk_add_f32 v[8:9], v[12:13], 1.0 op_sel_hi:[1,0]
	;;#ASMSTART
	v_pk_mul_f32 v[28:29], v[16:17], v[8:9]
	;;#ASMEND
	v_pk_add_f32 v[8:9], v[20:21], 1.0 op_sel_hi:[1,0]
	v_cvt_f32_f16_sdwa v13, v3 dst_sel:DWORD dst_unused:UNUSED_PAD src0_sel:WORD_1
	v_cvt_f32_f16_e32 v12, v3
	;;#ASMSTART
	v_pk_mul_f32 v[30:31], v[30:31], v[8:9]
	;;#ASMEND
	v_cvt_f32_f16_sdwa v9, v4 dst_sel:DWORD dst_unused:UNUSED_PAD src0_sel:WORD_1
	v_cvt_f32_f16_e32 v8, v4
	v_pk_add_f32 v[2:3], v[10:11], 1.0 op_sel_hi:[1,0]
	v_cvt_f32_f16_sdwa v11, v5 dst_sel:DWORD dst_unused:UNUSED_PAD src0_sel:WORD_1
	v_cvt_f32_f16_e32 v10, v5
	;;#ASMSTART
	v_pk_mul_f32 v[24:25], v[24:25], v[2:3]
	;;#ASMEND
	v_pk_add_f32 v[2:3], v[12:13], 1.0 op_sel_hi:[1,0]
	;;#ASMSTART
	v_pk_mul_f32 v[26:27], v[26:27], v[2:3]
	;;#ASMEND
	v_pk_add_f32 v[2:3], v[8:9], 1.0 op_sel_hi:[1,0]
	;; [unrolled: 4-line block ×3, first 2 shown]
	;;#ASMSTART
	v_pk_mul_f32 v[20:21], v[6:7], v[2:3]
	;;#ASMEND
.LBB57_9:
	s_or_b64 exec, exec, s[20:21]
	s_load_dwordx2 s[28:29], s[4:5], 0x7c
	s_mov_b64 s[20:21], -1
	s_and_b64 vcc, exec, s[10:11]
	s_cbranch_vccnz .LBB57_13
; %bb.10:
	s_andn2_b64 vcc, exec, s[20:21]
	s_cbranch_vccz .LBB57_16
.LBB57_11:
	s_cmp_lt_i32 s16, 1
	s_cbranch_scc0 .LBB57_27
.LBB57_12:
	s_endpgm
.LBB57_13:
	s_and_saveexec_b64 s[10:11], s[2:3]
	s_cbranch_execz .LBB57_15
; %bb.14:
	s_waitcnt lgkmcnt(0)
	s_mul_hi_i32 s21, s29, s6
	s_mul_i32 s20, s29, s6
	s_waitcnt vmcnt(0)
	v_cvt_f16_f32_e32 v2, v18
	v_cvt_f16_f32_e32 v3, v32
	;; [unrolled: 1-line block ×8, first 2 shown]
	s_lshl_b64 s[20:21], s[20:21], 1
	s_add_u32 s20, s24, s20
	s_addc_u32 s7, s25, s21
	s_and_b32 s21, s7, 0xffff
	s_mov_b32 s23, 0x20000
	v_pack_b32_f16 v5, v5, v6
	v_pack_b32_f16 v4, v4, v7
	;; [unrolled: 1-line block ×4, first 2 shown]
	v_lshlrev_b32_e32 v6, 1, v1
	buffer_store_dwordx4 v[2:5], v6, s[20:23], 0 offen
	v_cvt_f16_f32_e32 v7, v21
	v_cvt_f16_f32_e32 v2, v24
	v_cvt_f16_f32_e32 v3, v26
	v_cvt_f16_f32_e32 v4, v22
	v_cvt_f16_f32_e32 v5, v20
	v_cvt_f16_f32_e32 v8, v23
	v_cvt_f16_f32_e32 v9, v27
	v_cvt_f16_f32_e32 v10, v25
	v_pack_b32_f16 v5, v5, v7
	v_pack_b32_f16 v4, v4, v8
	;; [unrolled: 1-line block ×4, first 2 shown]
	s_movk_i32 s7, 0x400
	;;#ASMSTART
	s_nop 0
	;;#ASMEND
	buffer_store_dwordx4 v[2:5], v6, s[20:23], s7 offen
	;;#ASMSTART
	s_nop 0
	;;#ASMEND
.LBB57_15:
	s_or_b64 exec, exec, s[10:11]
	s_cbranch_execnz .LBB57_11
.LBB57_16:
	s_waitcnt vmcnt(0)
	v_mov_b32_e32 v2, 0
	s_and_saveexec_b64 s[10:11], s[2:3]
	s_cbranch_execz .LBB57_18
; %bb.17:
	s_load_dwordx2 s[20:21], s[4:5], 0x10
	s_waitcnt lgkmcnt(0)
	s_mul_hi_i32 s31, s28, s6
	s_mul_i32 s30, s28, s6
	v_cvt_f16_f32_e32 v2, v18
	v_cvt_f16_f32_e32 v3, v32
	;; [unrolled: 1-line block ×8, first 2 shown]
	s_lshl_b64 s[30:31], s[30:31], 1
	s_add_u32 s20, s20, s30
	s_addc_u32 s7, s21, s31
	s_mov_b32 s23, 0x20000
	s_and_b32 s21, s7, 0xffff
	v_pack_b32_f16 v5, v5, v6
	v_pack_b32_f16 v4, v4, v7
	;; [unrolled: 1-line block ×4, first 2 shown]
	v_lshlrev_b32_e32 v6, 1, v1
	buffer_store_dwordx4 v[2:5], v6, s[20:23], 0 offen
	v_cvt_f16_f32_e32 v7, v21
	v_cvt_f16_f32_e32 v2, v24
	v_cvt_f16_f32_e32 v3, v26
	v_cvt_f16_f32_e32 v4, v22
	v_cvt_f16_f32_e32 v5, v20
	v_cvt_f16_f32_e32 v8, v23
	v_cvt_f16_f32_e32 v9, v27
	v_cvt_f16_f32_e32 v10, v25
	v_pack_b32_f16 v5, v5, v7
	v_pack_b32_f16 v4, v4, v8
	;; [unrolled: 1-line block ×4, first 2 shown]
	s_movk_i32 s7, 0x400
	;;#ASMSTART
	s_nop 0
	;;#ASMEND
	buffer_store_dwordx4 v[2:5], v6, s[20:23], s7 offen
	v_mov_b32_e32 v2, 0x2edbe6ff
	;;#ASMSTART
	s_nop 0
	;;#ASMEND
.LBB57_18:
	s_or_b64 exec, exec, s[10:11]
	s_and_saveexec_b64 s[10:11], s[2:3]
	s_cbranch_execz .LBB57_20
; %bb.19:
	v_and_b32_e32 v3, 0x7fffffff, v18
	v_and_b32_e32 v4, 0x7fffffff, v19
	;;#ASMSTART
	v_max3_f32 v2, v2, v3, v4

	;;#ASMEND
	v_and_b32_e32 v3, 0x7fffffff, v32
	v_and_b32_e32 v4, 0x7fffffff, v33
	;;#ASMSTART
	v_max3_f32 v2, v2, v3, v4

	;;#ASMEND
	;; [unrolled: 6-line block ×8, first 2 shown]
.LBB57_20:
	s_or_b64 exec, exec, s[10:11]
	s_nop 0
	v_mov_b32_dpp v3, v2 quad_perm:[1,0,3,2] row_mask:0xf bank_mask:0xf
	v_cmp_gt_f32_e32 vcc, v2, v3
	v_cndmask_b32_e32 v2, v3, v2, vcc
	s_nop 1
	v_mov_b32_dpp v3, v2 quad_perm:[2,3,0,1] row_mask:0xf bank_mask:0xf
	v_cmp_gt_f32_e32 vcc, v2, v3
	v_cndmask_b32_e32 v2, v3, v2, vcc
	s_nop 1
	v_mov_b32_dpp v3, v2 row_half_mirror row_mask:0xf bank_mask:0xf
	v_cmp_gt_f32_e32 vcc, v2, v3
	v_cndmask_b32_e32 v2, v3, v2, vcc
	s_nop 1
	v_mov_b32_dpp v3, v2 row_mirror row_mask:0xf bank_mask:0xf
	v_cmp_gt_f32_e32 vcc, v2, v3
	v_cndmask_b32_e32 v2, v3, v2, vcc
	s_nop 1
	v_mov_b32_dpp v3, v2 row_bcast:15 row_mask:0xf bank_mask:0xf
	v_cmp_gt_f32_e32 vcc, v2, v3
	v_cndmask_b32_e32 v2, v3, v2, vcc
	s_nop 1
	v_mov_b32_dpp v3, v2 row_bcast:31 row_mask:0xf bank_mask:0xf
	s_and_saveexec_b64 s[10:11], s[0:1]
	s_cbranch_execz .LBB57_22
; %bb.21:
	v_cmp_gt_f32_e32 vcc, v2, v3
	v_cndmask_b32_e32 v2, v3, v2, vcc
	v_lshrrev_b32_e32 v3, 4, v0
	v_and_b32_e32 v3, 60, v3
	ds_write_b32 v3, v2
.LBB57_22:
	s_or_b64 exec, exec, s[10:11]
	s_waitcnt lgkmcnt(0)
	s_barrier
	ds_read_b32 v2, v34
	s_load_dwordx2 s[20:21], s[4:5], 0x70
	s_waitcnt lgkmcnt(0)
	v_mov_b32_dpp v3, v2 quad_perm:[1,0,3,2] row_mask:0xf bank_mask:0xf
	v_cmp_gt_f32_e32 vcc, v2, v3
	v_cndmask_b32_e32 v2, v3, v2, vcc
	s_nop 1
	v_mov_b32_dpp v3, v2 quad_perm:[2,3,0,1] row_mask:0xf bank_mask:0xf
	v_cmp_gt_f32_e32 vcc, v2, v3
	v_cndmask_b32_e32 v2, v3, v2, vcc
	v_mul_f32_e32 v2, 0x3b124925, v2
	v_cmp_eq_u32_e32 vcc, 0, v0
	s_and_saveexec_b64 s[10:11], vcc
	s_cbranch_execz .LBB57_24
; %bb.23:
	s_load_dwordx2 s[22:23], s[4:5], 0x8
	s_mul_hi_i32 s31, s21, s6
	s_mul_i32 s30, s21, s6
	s_lshl_b64 s[30:31], s[30:31], 2
	v_mov_b32_e32 v3, 0
	s_waitcnt lgkmcnt(0)
	s_add_u32 s22, s22, s30
	s_addc_u32 s23, s23, s31
	global_store_dword v3, v2, s[22:23]
.LBB57_24:
	s_or_b64 exec, exec, s[10:11]
	;;#ASMSTART
	v_rcp_f32 v2, v2
	;;#ASMEND
	s_and_saveexec_b64 s[10:11], s[2:3]
	s_cbranch_execz .LBB57_26
; %bb.25:
	s_load_dwordx2 s[2:3], s[4:5], 0x0
	s_mul_i32 s12, s20, s6
	s_mul_hi_i32 s7, s20, s6
	v_mov_b32_e32 v3, v2
	;;#ASMSTART
	v_pk_mul_f32 v[4:5], v[18:19], v[2:3]
	;;#ASMEND
	s_waitcnt lgkmcnt(0)
	s_add_u32 s20, s2, s12
	s_addc_u32 s2, s3, s7
	s_add_i32 s3, s15, 3
	s_ashr_i32 s7, s3, 31
	v_mov_b32_e32 v8, 0xc3e00000
	v_mov_b32_e32 v9, 0x43e00000
	;;#ASMSTART
	v_med3_f32 v4, v4, v8, v9
v_med3_f32 v5, v5, v8, v9
v_cvt_pk_fp8_f32 v6, v4, v5
	;;#ASMEND
	s_lshr_b32 s7, s7, 30
	;;#ASMSTART
	v_pk_mul_f32 v[4:5], v[32:33], v[2:3]
	;;#ASMEND
	s_add_i32 s3, s3, s7
	s_and_b32 s21, s2, 0xffff
	;;#ASMSTART
	v_med3_f32 v4, v4, v8, v9
v_med3_f32 v5, v5, v8, v9
v_cvt_pk_fp8_f32 v7, v4, v5
	;;#ASMEND
	s_mov_b32 s2, 0x5040100
	s_and_b32 s22, s3, -4
	v_perm_b32 v5, v7, v6, s2
	s_movk_i32 s3, 0xff
	v_and_b32_e32 v4, 0xffffff00, v7
	v_and_b32_sdwa v6, v5, s3 dst_sel:DWORD dst_unused:UNUSED_PAD src0_sel:WORD_1 src1_sel:DWORD
	s_mov_b32 s14, 0xffff
	v_or_b32_sdwa v4, v6, v4 dst_sel:WORD_1 dst_unused:UNUSED_PAD src0_sel:DWORD src1_sel:DWORD
	v_and_or_b32 v4, v5, s14, v4
	;;#ASMSTART
	v_pk_mul_f32 v[6:7], v[28:29], v[2:3]
	;;#ASMEND
	v_mov_b32_e32 v5, v6
	;;#ASMSTART
	v_med3_f32 v5, v5, v8, v9
v_med3_f32 v7, v7, v8, v9
v_cvt_pk_fp8_f32 v10, v5, v7
	;;#ASMEND
	;;#ASMSTART
	v_pk_mul_f32 v[6:7], v[30:31], v[2:3]
	;;#ASMEND
	v_mov_b32_e32 v5, v7
	;;#ASMSTART
	v_med3_f32 v6, v6, v8, v9
v_med3_f32 v5, v5, v8, v9
v_cvt_pk_fp8_f32 v7, v6, v5
	;;#ASMEND
	v_lshlrev_b32_e32 v5, 16, v7
	s_mov_b32 s23, 0x20000
	v_and_or_b32 v5, v10, s14, v5
	buffer_store_dwordx2 v[4:5], v1, s[20:23], 0 offen
	;;#ASMSTART
	s_nop 0
	;;#ASMEND
	;;#ASMSTART
	v_pk_mul_f32 v[4:5], v[24:25], v[2:3]
	;;#ASMEND
	;;#ASMSTART
	v_med3_f32 v4, v4, v8, v9
v_med3_f32 v5, v5, v8, v9
v_cvt_pk_fp8_f32 v6, v4, v5
	;;#ASMEND
	;;#ASMSTART
	v_pk_mul_f32 v[4:5], v[26:27], v[2:3]
	;;#ASMEND
	;;#ASMSTART
	v_med3_f32 v4, v4, v8, v9
v_med3_f32 v5, v5, v8, v9
v_cvt_pk_fp8_f32 v7, v4, v5
	;;#ASMEND
	v_perm_b32 v5, v7, v6, s2
	v_and_b32_e32 v4, 0xffffff00, v7
	v_and_b32_sdwa v6, v5, s3 dst_sel:DWORD dst_unused:UNUSED_PAD src0_sel:WORD_1 src1_sel:DWORD
	v_or_b32_sdwa v4, v6, v4 dst_sel:WORD_1 dst_unused:UNUSED_PAD src0_sel:DWORD src1_sel:DWORD
	v_and_or_b32 v4, v5, s14, v4
	;;#ASMSTART
	v_pk_mul_f32 v[6:7], v[22:23], v[2:3]
	;;#ASMEND
	v_mov_b32_e32 v5, v6
	;;#ASMSTART
	v_med3_f32 v5, v5, v8, v9
v_med3_f32 v7, v7, v8, v9
v_cvt_pk_fp8_f32 v6, v5, v7
	;;#ASMEND
	;;#ASMSTART
	v_pk_mul_f32 v[2:3], v[20:21], v[2:3]
	;;#ASMEND
	;;#ASMSTART
	v_med3_f32 v2, v2, v8, v9
v_med3_f32 v3, v3, v8, v9
v_cvt_pk_fp8_f32 v5, v2, v3
	;;#ASMEND
	v_lshlrev_b32_e32 v2, 16, v5
	v_and_or_b32 v5, v6, s14, v2
	s_movk_i32 s2, 0x200
	buffer_store_dwordx2 v[4:5], v1, s[20:23], s2 offen
	;;#ASMSTART
	s_nop 0
	;;#ASMEND
.LBB57_26:
	s_or_b64 exec, exec, s[10:11]
	s_cmp_lt_i32 s16, 1
	s_cbranch_scc1 .LBB57_12
.LBB57_27:
	s_load_dword s2, s[4:5], 0x94
	s_waitcnt lgkmcnt(0)
	s_cmp_lg_u32 s2, 1
	s_cbranch_scc1 .LBB57_12
; %bb.28:
	s_lshl_b32 s2, s16, 1
	s_add_i32 s2, s2, 2
	v_cmp_gt_u32_e32 vcc, s16, v1
	s_and_b32 s10, s2, -4
	v_mov_b32_e32 v18, 0
	v_lshlrev_b32_e32 v1, 1, v1
	v_mov_b32_e32 v14, 0
	v_mov_b32_e32 v15, 0
	v_mov_b32_e32 v16, 0
	v_mov_b32_e32 v17, 0
	v_mov_b32_e32 v10, 0
	v_mov_b32_e32 v11, 0
	v_mov_b32_e32 v12, 0
	v_mov_b32_e32 v13, 0
	s_waitcnt vmcnt(1)
	v_mov_b32_e32 v6, 0
	v_mov_b32_e32 v7, 0
	;; [unrolled: 1-line block ×4, first 2 shown]
	s_waitcnt vmcnt(0)
	v_mov_b32_e32 v2, 0
	v_mov_b32_e32 v3, 0
	v_mov_b32_e32 v4, 0
	v_mov_b32_e32 v5, 0
	s_barrier
	s_and_saveexec_b64 s[2:3], vcc
	s_cbranch_execz .LBB57_30
; %bb.29:
	s_mul_hi_i32 s5, s18, s6
	s_mul_i32 s4, s18, s6
	s_and_b32 s9, s9, 0xffff
	s_lshl_b64 s[4:5], s[4:5], 1
	s_add_u32 s20, s26, s4
	s_mov_b32 s11, 0x20000
	s_addc_u32 s4, s27, s5
	s_and_b32 s21, s4, 0xffff
	s_mov_b32 s22, s10
	s_mov_b32 s23, s11
	s_movk_i32 s4, 0x400
	buffer_load_dwordx4 v[14:17], v1, s[20:23], 0 offen glc slc
	buffer_load_dwordx4 v[10:13], v1, s[20:23], s4 offen glc slc
	buffer_load_dwordx4 v[6:9], v1, s[8:11], 0 offen
	buffer_load_dwordx4 v[2:5], v1, s[8:11], s4 offen
.LBB57_30:
	s_or_b64 exec, exec, s[2:3]
	v_mov_b32_e32 v19, 0
	v_mov_b32_e32 v32, 0
	;; [unrolled: 1-line block ×15, first 2 shown]
	s_and_saveexec_b64 s[2:3], vcc
	s_cbranch_execz .LBB57_32
; %bb.31:
	s_waitcnt vmcnt(3)
	v_cvt_f32_f16_sdwa v19, v14 dst_sel:DWORD dst_unused:UNUSED_PAD src0_sel:WORD_1
	v_cvt_f32_f16_e32 v18, v14
	v_cvt_f32_f16_sdwa v33, v15 dst_sel:DWORD dst_unused:UNUSED_PAD src0_sel:WORD_1
	v_cvt_f32_f16_e32 v32, v15
	;; [unrolled: 2-line block ×4, first 2 shown]
	s_waitcnt vmcnt(2)
	v_cvt_f32_f16_sdwa v27, v10 dst_sel:DWORD dst_unused:UNUSED_PAD src0_sel:WORD_1
	v_cvt_f32_f16_e32 v26, v10
	v_cvt_f32_f16_sdwa v25, v11 dst_sel:DWORD dst_unused:UNUSED_PAD src0_sel:WORD_1
	v_cvt_f32_f16_e32 v24, v11
	;; [unrolled: 2-line block ×4, first 2 shown]
.LBB57_32:
	s_or_b64 exec, exec, s[2:3]
	s_waitcnt vmcnt(2)
	v_mul_f32_e32 v10, v19, v19
	v_fmac_f32_e32 v10, v18, v18
	v_fmac_f32_e32 v10, v32, v32
	;; [unrolled: 1-line block ×15, first 2 shown]
	s_nop 1
	v_mov_b32_dpp v11, v10 quad_perm:[1,0,3,2] row_mask:0xf bank_mask:0xf
	v_add_f32_e32 v10, v10, v11
	s_nop 1
	v_mov_b32_dpp v11, v10 quad_perm:[2,3,0,1] row_mask:0xf bank_mask:0xf
	v_add_f32_e32 v10, v10, v11
	s_nop 1
	v_mov_b32_dpp v11, v10 row_half_mirror row_mask:0xf bank_mask:0xf
	v_add_f32_e32 v10, v10, v11
	s_nop 1
	v_mov_b32_dpp v11, v10 row_mirror row_mask:0xf bank_mask:0xf
	v_add_f32_e32 v10, v10, v11
	s_nop 1
	v_mov_b32_dpp v11, v10 row_bcast:15 row_mask:0xf bank_mask:0xf
	v_add_f32_e32 v10, v10, v11
	s_nop 1
	v_mov_b32_dpp v11, v10 row_bcast:31 row_mask:0xf bank_mask:0xf
	s_and_saveexec_b64 s[2:3], s[0:1]
	s_cbranch_execz .LBB57_34
; %bb.33:
	v_lshrrev_b32_e32 v0, 4, v0
	v_add_f32_e32 v10, v10, v11
	v_and_b32_e32 v0, 60, v0
	ds_write_b32 v0, v10 offset:16
.LBB57_34:
	s_or_b64 exec, exec, s[2:3]
	s_waitcnt lgkmcnt(0)
	s_barrier
	ds_read_b32 v0, v34 offset:16
	s_waitcnt lgkmcnt(0)
	s_nop 0
	v_mov_b32_dpp v10, v0 quad_perm:[1,0,3,2] row_mask:0xf bank_mask:0xf
	v_add_f32_e32 v0, v0, v10
	s_nop 1
	v_mov_b32_dpp v10, v0 quad_perm:[2,3,0,1] row_mask:0xf bank_mask:0xf
	s_and_saveexec_b64 s[0:1], vcc
	s_cbranch_execz .LBB57_12
; %bb.35:
	v_cvt_f32_u32_e32 v11, s16
	v_add_f32_e32 v0, v0, v10
	s_mov_b32 s11, 0x20000
	v_div_scale_f32 v10, s[0:1], v11, v11, v0
	v_rcp_f32_e32 v12, v10
	v_div_scale_f32 v13, vcc, v0, v11, v0
	s_mov_b32 s0, 0x800000
	v_fma_f32 v14, -v10, v12, 1.0
	v_fmac_f32_e32 v12, v14, v12
	v_mul_f32_e32 v14, v13, v12
	v_fma_f32 v15, -v10, v14, v13
	v_fmac_f32_e32 v14, v15, v12
	v_fma_f32 v10, -v10, v14, v13
	v_div_fmas_f32 v10, v10, v12, v14
	v_div_fixup_f32 v0, v10, v11, v0
	v_add_f32_e32 v0, s13, v0
	v_mul_f32_e32 v10, 0x4b800000, v0
	v_cmp_gt_f32_e32 vcc, s0, v0
	v_cndmask_b32_e32 v0, v0, v10, vcc
	v_rsq_f32_e32 v0, v0
	s_mul_hi_i32 s1, s29, s6
	s_mul_i32 s0, s29, s6
	s_lshl_b64 s[0:1], s[0:1], 1
	v_mul_f32_e32 v10, 0x45800000, v0
	v_cndmask_b32_e32 v10, v0, v10, vcc
	v_mov_b32_e32 v11, v10
	;;#ASMSTART
	v_pk_mul_f32 v[12:13], v[18:19], v[10:11]
	;;#ASMEND
	;;#ASMSTART
	v_pk_mul_f32 v[14:15], v[32:33], v[10:11]
	;;#ASMEND
	;; [unrolled: 3-line block ×4, first 2 shown]
	s_waitcnt vmcnt(1)
	v_cvt_f32_f16_sdwa v29, v6 dst_sel:DWORD dst_unused:UNUSED_PAD src0_sel:WORD_1
	v_cvt_f32_f16_e32 v28, v6
	v_cvt_f32_f16_sdwa v31, v7 dst_sel:DWORD dst_unused:UNUSED_PAD src0_sel:WORD_1
	v_cvt_f32_f16_e32 v30, v7
	;;#ASMSTART
	v_pk_mul_f32 v[26:27], v[26:27], v[10:11]
	;;#ASMEND
	;;#ASMSTART
	v_pk_mul_f32 v[24:25], v[24:25], v[10:11]
	;;#ASMEND
	;; [unrolled: 3-line block ×4, first 2 shown]
	v_cvt_f32_f16_sdwa v21, v8 dst_sel:DWORD dst_unused:UNUSED_PAD src0_sel:WORD_1
	v_cvt_f32_f16_e32 v20, v8
	v_pk_add_f32 v[10:11], v[28:29], 1.0 op_sel_hi:[1,0]
	;;#ASMSTART
	v_pk_mul_f32 v[10:11], v[12:13], v[10:11]
	;;#ASMEND
	v_pk_add_f32 v[12:13], v[30:31], 1.0 op_sel_hi:[1,0]
	v_cvt_f32_f16_sdwa v29, v9 dst_sel:DWORD dst_unused:UNUSED_PAD src0_sel:WORD_1
	v_cvt_f32_f16_e32 v28, v9
	;;#ASMSTART
	v_pk_mul_f32 v[8:9], v[14:15], v[12:13]
	;;#ASMEND
	v_pk_add_f32 v[12:13], v[20:21], 1.0 op_sel_hi:[1,0]
	;;#ASMSTART
	v_pk_mul_f32 v[12:13], v[16:17], v[12:13]
	;;#ASMEND
	s_waitcnt vmcnt(0)
	v_cvt_f32_f16_sdwa v17, v2 dst_sel:DWORD dst_unused:UNUSED_PAD src0_sel:WORD_1
	v_cvt_f32_f16_e32 v16, v2
	v_cvt_f32_f16_sdwa v21, v3 dst_sel:DWORD dst_unused:UNUSED_PAD src0_sel:WORD_1
	v_cvt_f32_f16_e32 v20, v3
	v_pk_add_f32 v[14:15], v[28:29], 1.0 op_sel_hi:[1,0]
	;;#ASMSTART
	v_pk_mul_f32 v[2:3], v[18:19], v[14:15]
	;;#ASMEND
	v_cvt_f32_f16_sdwa v19, v4 dst_sel:DWORD dst_unused:UNUSED_PAD src0_sel:WORD_1
	v_cvt_f32_f16_e32 v18, v4
	v_pk_add_f32 v[14:15], v[16:17], 1.0 op_sel_hi:[1,0]
	v_pk_add_f32 v[16:17], v[20:21], 1.0 op_sel_hi:[1,0]
	v_cvt_f32_f16_sdwa v21, v5 dst_sel:DWORD dst_unused:UNUSED_PAD src0_sel:WORD_1
	v_cvt_f32_f16_e32 v20, v5
	v_pk_add_f32 v[4:5], v[18:19], 1.0 op_sel_hi:[1,0]
	;;#ASMSTART
	v_pk_mul_f32 v[14:15], v[26:27], v[14:15]
	;;#ASMEND
	;;#ASMSTART
	v_pk_mul_f32 v[16:17], v[24:25], v[16:17]
	;;#ASMEND
	;; [unrolled: 3-line block ×3, first 2 shown]
	v_pk_add_f32 v[4:5], v[20:21], 1.0 op_sel_hi:[1,0]
	;;#ASMSTART
	v_pk_mul_f32 v[6:7], v[6:7], v[4:5]
	;;#ASMEND
	v_cvt_f16_f32_e32 v0, v10
	v_cvt_f16_f32_e32 v4, v11
	v_cvt_f16_f32_e32 v5, v8
	v_cvt_f16_f32_e32 v8, v9
	v_cvt_f16_f32_e32 v9, v12
	v_cvt_f16_f32_e32 v10, v13
	v_cvt_f16_f32_e32 v11, v2
	v_cvt_f16_f32_e32 v12, v3
	s_add_u32 s8, s24, s0
	s_addc_u32 s0, s25, s1
	s_and_b32 s9, s0, 0xffff
	v_pack_b32_f16 v2, v0, v4
	v_pack_b32_f16 v3, v5, v8
	;; [unrolled: 1-line block ×4, first 2 shown]
	buffer_store_dwordx4 v[2:5], v1, s[8:11], 0 offen
	v_cvt_f16_f32_e32 v0, v14
	v_cvt_f16_f32_e32 v2, v15
	;; [unrolled: 1-line block ×8, first 2 shown]
	v_pack_b32_f16 v2, v0, v2
	v_pack_b32_f16 v3, v3, v4
	;; [unrolled: 1-line block ×4, first 2 shown]
	s_movk_i32 s0, 0x400
	;;#ASMSTART
	s_nop 0
	;;#ASMEND
	buffer_store_dwordx4 v[2:5], v1, s[8:11], s0 offen
	;;#ASMSTART
	s_nop 0
	;;#ASMEND
	s_endpgm
	.section	.rodata,"a",@progbits
	.p2align	6, 0x0
	.amdhsa_kernel _ZN5aiter35fused_qk_rmsnorm_group_quant_kernelIDF16_DB8_Li256ELi16ELi1ELb0ELb1ELb1ELb0ELb1ELb1EEEvPT0_PvPT_S6_S6_PKS5_S8_S8_S8_S8_ffiiiiiiiiiiiii
		.amdhsa_group_segment_fixed_size 48
		.amdhsa_private_segment_fixed_size 0
		.amdhsa_kernarg_size 400
		.amdhsa_user_sgpr_count 6
		.amdhsa_user_sgpr_private_segment_buffer 1
		.amdhsa_user_sgpr_dispatch_ptr 0
		.amdhsa_user_sgpr_queue_ptr 0
		.amdhsa_user_sgpr_kernarg_segment_ptr 1
		.amdhsa_user_sgpr_dispatch_id 0
		.amdhsa_user_sgpr_flat_scratch_init 0
		.amdhsa_user_sgpr_kernarg_preload_length 0
		.amdhsa_user_sgpr_kernarg_preload_offset 0
		.amdhsa_user_sgpr_private_segment_size 0
		.amdhsa_uses_dynamic_stack 0
		.amdhsa_system_sgpr_private_segment_wavefront_offset 0
		.amdhsa_system_sgpr_workgroup_id_x 1
		.amdhsa_system_sgpr_workgroup_id_y 1
		.amdhsa_system_sgpr_workgroup_id_z 0
		.amdhsa_system_sgpr_workgroup_info 0
		.amdhsa_system_vgpr_workitem_id 0
		.amdhsa_next_free_vgpr 35
		.amdhsa_next_free_sgpr 32
		.amdhsa_accum_offset 36
		.amdhsa_reserve_vcc 1
		.amdhsa_reserve_flat_scratch 0
		.amdhsa_float_round_mode_32 0
		.amdhsa_float_round_mode_16_64 0
		.amdhsa_float_denorm_mode_32 3
		.amdhsa_float_denorm_mode_16_64 3
		.amdhsa_dx10_clamp 1
		.amdhsa_ieee_mode 1
		.amdhsa_fp16_overflow 0
		.amdhsa_tg_split 0
		.amdhsa_exception_fp_ieee_invalid_op 0
		.amdhsa_exception_fp_denorm_src 0
		.amdhsa_exception_fp_ieee_div_zero 0
		.amdhsa_exception_fp_ieee_overflow 0
		.amdhsa_exception_fp_ieee_underflow 0
		.amdhsa_exception_fp_ieee_inexact 0
		.amdhsa_exception_int_div_zero 0
	.end_amdhsa_kernel
	.section	.text._ZN5aiter35fused_qk_rmsnorm_group_quant_kernelIDF16_DB8_Li256ELi16ELi1ELb0ELb1ELb1ELb0ELb1ELb1EEEvPT0_PvPT_S6_S6_PKS5_S8_S8_S8_S8_ffiiiiiiiiiiiii,"axG",@progbits,_ZN5aiter35fused_qk_rmsnorm_group_quant_kernelIDF16_DB8_Li256ELi16ELi1ELb0ELb1ELb1ELb0ELb1ELb1EEEvPT0_PvPT_S6_S6_PKS5_S8_S8_S8_S8_ffiiiiiiiiiiiii,comdat
.Lfunc_end57:
	.size	_ZN5aiter35fused_qk_rmsnorm_group_quant_kernelIDF16_DB8_Li256ELi16ELi1ELb0ELb1ELb1ELb0ELb1ELb1EEEvPT0_PvPT_S6_S6_PKS5_S8_S8_S8_S8_ffiiiiiiiiiiiii, .Lfunc_end57-_ZN5aiter35fused_qk_rmsnorm_group_quant_kernelIDF16_DB8_Li256ELi16ELi1ELb0ELb1ELb1ELb0ELb1ELb1EEEvPT0_PvPT_S6_S6_PKS5_S8_S8_S8_S8_ffiiiiiiiiiiiii
                                        ; -- End function
	.section	.AMDGPU.csdata,"",@progbits
; Kernel info:
; codeLenInByte = 4040
; NumSgprs: 36
; NumVgprs: 35
; NumAgprs: 0
; TotalNumVgprs: 35
; ScratchSize: 0
; MemoryBound: 0
; FloatMode: 240
; IeeeMode: 1
; LDSByteSize: 48 bytes/workgroup (compile time only)
; SGPRBlocks: 4
; VGPRBlocks: 4
; NumSGPRsForWavesPerEU: 36
; NumVGPRsForWavesPerEU: 35
; AccumOffset: 36
; Occupancy: 8
; WaveLimiterHint : 0
; COMPUTE_PGM_RSRC2:SCRATCH_EN: 0
; COMPUTE_PGM_RSRC2:USER_SGPR: 6
; COMPUTE_PGM_RSRC2:TRAP_HANDLER: 0
; COMPUTE_PGM_RSRC2:TGID_X_EN: 1
; COMPUTE_PGM_RSRC2:TGID_Y_EN: 1
; COMPUTE_PGM_RSRC2:TGID_Z_EN: 0
; COMPUTE_PGM_RSRC2:TIDIG_COMP_CNT: 0
; COMPUTE_PGM_RSRC3_GFX90A:ACCUM_OFFSET: 8
; COMPUTE_PGM_RSRC3_GFX90A:TG_SPLIT: 0
	.section	.text._ZN5aiter35fused_qk_rmsnorm_group_quant_kernelItDB8_Li256ELi16ELi1ELb0ELb1ELb1ELb0ELb1ELb1EEEvPT0_PvPT_S6_S6_PKS5_S8_S8_S8_S8_ffiiiiiiiiiiiii,"axG",@progbits,_ZN5aiter35fused_qk_rmsnorm_group_quant_kernelItDB8_Li256ELi16ELi1ELb0ELb1ELb1ELb0ELb1ELb1EEEvPT0_PvPT_S6_S6_PKS5_S8_S8_S8_S8_ffiiiiiiiiiiiii,comdat
	.protected	_ZN5aiter35fused_qk_rmsnorm_group_quant_kernelItDB8_Li256ELi16ELi1ELb0ELb1ELb1ELb0ELb1ELb1EEEvPT0_PvPT_S6_S6_PKS5_S8_S8_S8_S8_ffiiiiiiiiiiiii ; -- Begin function _ZN5aiter35fused_qk_rmsnorm_group_quant_kernelItDB8_Li256ELi16ELi1ELb0ELb1ELb1ELb0ELb1ELb1EEEvPT0_PvPT_S6_S6_PKS5_S8_S8_S8_S8_ffiiiiiiiiiiiii
	.globl	_ZN5aiter35fused_qk_rmsnorm_group_quant_kernelItDB8_Li256ELi16ELi1ELb0ELb1ELb1ELb0ELb1ELb1EEEvPT0_PvPT_S6_S6_PKS5_S8_S8_S8_S8_ffiiiiiiiiiiiii
	.p2align	8
	.type	_ZN5aiter35fused_qk_rmsnorm_group_quant_kernelItDB8_Li256ELi16ELi1ELb0ELb1ELb1ELb0ELb1ELb1EEEvPT0_PvPT_S6_S6_PKS5_S8_S8_S8_S8_ffiiiiiiiiiiiii,@function
_ZN5aiter35fused_qk_rmsnorm_group_quant_kernelItDB8_Li256ELi16ELi1ELb0ELb1ELb1ELb0ELb1ELb1EEEvPT0_PvPT_S6_S6_PKS5_S8_S8_S8_S8_ffiiiiiiiiiiiii: ; @_ZN5aiter35fused_qk_rmsnorm_group_quant_kernelItDB8_Li256ELi16ELi1ELb0ELb1ELb1ELb0ELb1ELb1EEEvPT0_PvPT_S6_S6_PKS5_S8_S8_S8_S8_ffiiiiiiiiiiiii
; %bb.0:
	s_load_dwordx4 s[12:15], s[4:5], 0x50
	s_waitcnt lgkmcnt(0)
	s_cmp_ge_i32 s6, s14
	s_cbranch_scc1 .LBB58_12
; %bb.1:
	s_load_dwordx2 s[8:9], s[4:5], 0x48
	s_load_dwordx2 s[26:27], s[4:5], 0x30
	s_load_dwordx4 s[16:19], s[4:5], 0x60
	s_cmp_lg_u32 s7, 0
	s_cselect_b64 s[10:11], -1, 0
	s_cmp_eq_u32 s7, 0
	s_cselect_b64 vcc, -1, 0
	s_and_b64 s[0:1], vcc, exec
	s_waitcnt lgkmcnt(0)
	s_cselect_b32 s7, s15, s16
	s_add_i32 s0, s7, 1
	s_lshr_b32 s1, s0, 31
	s_add_i32 s0, s0, s1
	s_lshl_b32 s0, s0, 1
	v_lshlrev_b32_e32 v2, 4, v0
	s_and_b32 s22, s0, -4
	v_lshlrev_b32_e32 v1, 3, v0
	v_and_b32_e32 v2, 0x3c00, v2
	s_movk_i32 s0, 0x1f8
	v_and_or_b32 v1, v1, s0, v2
	v_cmp_gt_i32_e64 s[2:3], s7, v1
	v_mov_b32_e32 v18, 0
	v_mov_b32_e32 v6, 0
	;; [unrolled: 1-line block ×17, first 2 shown]
	s_and_saveexec_b64 s[0:1], s[2:3]
	s_cbranch_execz .LBB58_3
; %bb.2:
	s_load_dwordx2 s[20:21], s[4:5], 0x28
	s_load_dwordx2 s[24:25], s[4:5], 0x40
	s_and_b64 s[28:29], vcc, exec
	s_cselect_b32 s14, s17, s18
	s_mov_b32 s23, 0x20000
	s_waitcnt lgkmcnt(0)
	s_cselect_b32 s17, s21, s27
	s_cselect_b32 s19, s20, s26
	s_mul_hi_i32 s21, s14, s6
	s_mul_i32 s20, s14, s6
	s_lshl_b64 s[20:21], s[20:21], 1
	s_add_u32 s28, s19, s20
	s_addc_u32 s14, s17, s21
	s_and_b64 s[20:21], vcc, exec
	s_cselect_b32 s20, s24, s8
	s_cselect_b32 s17, s25, s9
	s_and_b32 s29, s14, 0xffff
	s_mov_b32 s30, s22
	s_mov_b32 s31, s23
	v_lshlrev_b32_e32 v19, 1, v1
	s_and_b32 s21, s17, 0xffff
	s_movk_i32 s14, 0x400
	buffer_load_dwordx4 v[14:17], v19, s[28:31], 0 offen glc slc
	buffer_load_dwordx4 v[10:13], v19, s[28:31], s14 offen glc slc
	buffer_load_dwordx4 v[6:9], v19, s[20:23], 0 offen
	buffer_load_dwordx4 v[2:5], v19, s[20:23], s14 offen
.LBB58_3:
	s_or_b64 exec, exec, s[0:1]
	v_mov_b32_e32 v19, 0
	v_mov_b32_e32 v32, 0
	;; [unrolled: 1-line block ×15, first 2 shown]
	s_and_saveexec_b64 s[0:1], s[2:3]
	s_cbranch_execz .LBB58_5
; %bb.4:
	s_waitcnt vmcnt(3)
	v_cvt_f32_u32_sdwa v18, v14 dst_sel:DWORD dst_unused:UNUSED_PAD src0_sel:WORD_0
	v_cvt_f32_u32_sdwa v19, v14 dst_sel:DWORD dst_unused:UNUSED_PAD src0_sel:WORD_1
	v_cvt_f32_u32_sdwa v32, v15 dst_sel:DWORD dst_unused:UNUSED_PAD src0_sel:WORD_0
	v_cvt_f32_u32_sdwa v33, v15 dst_sel:DWORD dst_unused:UNUSED_PAD src0_sel:WORD_1
	;; [unrolled: 2-line block ×4, first 2 shown]
	s_waitcnt vmcnt(2)
	v_cvt_f32_u32_sdwa v24, v10 dst_sel:DWORD dst_unused:UNUSED_PAD src0_sel:WORD_0
	v_cvt_f32_u32_sdwa v25, v10 dst_sel:DWORD dst_unused:UNUSED_PAD src0_sel:WORD_1
	v_cvt_f32_u32_sdwa v26, v11 dst_sel:DWORD dst_unused:UNUSED_PAD src0_sel:WORD_0
	v_cvt_f32_u32_sdwa v27, v11 dst_sel:DWORD dst_unused:UNUSED_PAD src0_sel:WORD_1
	v_cvt_f32_u32_sdwa v22, v12 dst_sel:DWORD dst_unused:UNUSED_PAD src0_sel:WORD_0
	v_cvt_f32_u32_sdwa v23, v12 dst_sel:DWORD dst_unused:UNUSED_PAD src0_sel:WORD_1
	v_cvt_f32_u32_sdwa v20, v13 dst_sel:DWORD dst_unused:UNUSED_PAD src0_sel:WORD_0
	v_cvt_f32_u32_sdwa v21, v13 dst_sel:DWORD dst_unused:UNUSED_PAD src0_sel:WORD_1
.LBB58_5:
	s_or_b64 exec, exec, s[0:1]
	s_waitcnt vmcnt(2)
	v_mul_f32_e32 v10, v19, v19
	v_fmac_f32_e32 v10, v18, v18
	v_fmac_f32_e32 v10, v32, v32
	;; [unrolled: 1-line block ×15, first 2 shown]
	v_and_b32_e32 v12, 63, v0
	v_cmp_eq_u32_e64 s[0:1], 63, v12
	v_mov_b32_dpp v11, v10 quad_perm:[1,0,3,2] row_mask:0xf bank_mask:0xf
	v_add_f32_e32 v10, v10, v11
	s_nop 1
	v_mov_b32_dpp v11, v10 quad_perm:[2,3,0,1] row_mask:0xf bank_mask:0xf
	v_add_f32_e32 v10, v10, v11
	s_nop 1
	v_mov_b32_dpp v11, v10 row_half_mirror row_mask:0xf bank_mask:0xf
	v_add_f32_e32 v10, v10, v11
	s_nop 1
	v_mov_b32_dpp v11, v10 row_mirror row_mask:0xf bank_mask:0xf
	v_add_f32_e32 v10, v10, v11
	s_nop 1
	v_mov_b32_dpp v11, v10 row_bcast:15 row_mask:0xf bank_mask:0xf
	v_add_f32_e32 v10, v10, v11
	s_nop 1
	v_mov_b32_dpp v11, v10 row_bcast:31 row_mask:0xf bank_mask:0xf
	s_and_saveexec_b64 s[20:21], s[0:1]
	s_cbranch_execz .LBB58_7
; %bb.6:
	v_add_f32_e32 v10, v10, v11
	v_lshrrev_b32_e32 v11, 4, v0
	v_and_b32_e32 v11, 60, v11
	ds_write_b32 v11, v10 offset:32
.LBB58_7:
	s_or_b64 exec, exec, s[20:21]
	v_and_b32_e32 v10, 3, v0
	v_lshlrev_b32_e32 v34, 2, v10
	s_waitcnt lgkmcnt(0)
	s_barrier
	ds_read_b32 v10, v34 offset:32
	s_load_dwordx2 s[24:25], s[4:5], 0x18
	s_waitcnt lgkmcnt(0)
	v_mov_b32_dpp v11, v10 quad_perm:[1,0,3,2] row_mask:0xf bank_mask:0xf
	v_add_f32_e32 v10, v10, v11
	s_nop 1
	v_mov_b32_dpp v11, v10 quad_perm:[2,3,0,1] row_mask:0xf bank_mask:0xf
	s_and_saveexec_b64 s[20:21], s[2:3]
	s_cbranch_execz .LBB58_9
; %bb.8:
	v_cvt_f32_u32_e32 v12, s7
	v_add_f32_e32 v10, v10, v11
	v_mov_b32_e32 v14, s13
	v_mov_b32_e32 v15, s12
	v_div_scale_f32 v11, s[28:29], v12, v12, v10
	v_rcp_f32_e32 v13, v11
	v_cndmask_b32_e32 v14, v14, v15, vcc
	s_mov_b32 s7, 0x800000
	v_fma_f32 v15, -v11, v13, 1.0
	v_fmac_f32_e32 v13, v15, v13
	v_div_scale_f32 v15, vcc, v10, v12, v10
	v_mul_f32_e32 v16, v15, v13
	v_fma_f32 v17, -v11, v16, v15
	v_fmac_f32_e32 v16, v17, v13
	v_fma_f32 v11, -v11, v16, v15
	v_div_fmas_f32 v11, v11, v13, v16
	v_div_fixup_f32 v10, v11, v12, v10
	v_add_f32_e32 v10, v14, v10
	v_mul_f32_e32 v11, 0x4b800000, v10
	v_cmp_gt_f32_e32 vcc, s7, v10
	v_cndmask_b32_e32 v10, v10, v11, vcc
	v_rsq_f32_e32 v10, v10
	v_mul_f32_e32 v11, 0x45800000, v10
	v_cndmask_b32_e32 v10, v10, v11, vcc
	v_mov_b32_e32 v11, v10
	;;#ASMSTART
	v_pk_mul_f32 v[12:13], v[18:19], v[10:11]
	;;#ASMEND
	s_waitcnt vmcnt(1)
	v_cvt_f32_u32_sdwa v19, v6 dst_sel:DWORD dst_unused:UNUSED_PAD src0_sel:WORD_1
	v_cvt_f32_u32_sdwa v18, v6 dst_sel:DWORD dst_unused:UNUSED_PAD src0_sel:WORD_0
	;;#ASMSTART
	v_pk_mul_f32 v[14:15], v[32:33], v[10:11]
	;;#ASMEND
	;;#ASMSTART
	v_pk_mul_f32 v[16:17], v[28:29], v[10:11]
	;;#ASMEND
	v_cvt_f32_u32_sdwa v29, v7 dst_sel:DWORD dst_unused:UNUSED_PAD src0_sel:WORD_1
	v_cvt_f32_u32_sdwa v28, v7 dst_sel:DWORD dst_unused:UNUSED_PAD src0_sel:WORD_0
	;;#ASMSTART
	v_pk_mul_f32 v[30:31], v[30:31], v[10:11]
	;;#ASMEND
	;;#ASMSTART
	v_pk_mul_f32 v[24:25], v[24:25], v[10:11]
	;;#ASMEND
	;; [unrolled: 3-line block ×5, first 2 shown]
	v_pk_add_f32 v[10:11], v[18:19], 1.0 op_sel_hi:[1,0]
	;;#ASMSTART
	v_pk_mul_f32 v[18:19], v[12:13], v[10:11]
	;;#ASMEND
	v_cvt_f32_u32_sdwa v13, v8 dst_sel:DWORD dst_unused:UNUSED_PAD src0_sel:WORD_1
	v_cvt_f32_u32_sdwa v12, v8 dst_sel:DWORD dst_unused:UNUSED_PAD src0_sel:WORD_0
	v_cvt_f32_u32_sdwa v21, v9 dst_sel:DWORD dst_unused:UNUSED_PAD src0_sel:WORD_1
	v_cvt_f32_u32_sdwa v20, v9 dst_sel:DWORD dst_unused:UNUSED_PAD src0_sel:WORD_0
	v_pk_add_f32 v[10:11], v[28:29], 1.0 op_sel_hi:[1,0]
	;;#ASMSTART
	v_pk_mul_f32 v[32:33], v[14:15], v[10:11]
	;;#ASMEND
	s_waitcnt vmcnt(0)
	v_cvt_f32_u32_sdwa v11, v2 dst_sel:DWORD dst_unused:UNUSED_PAD src0_sel:WORD_1
	v_cvt_f32_u32_sdwa v10, v2 dst_sel:DWORD dst_unused:UNUSED_PAD src0_sel:WORD_0
	v_pk_add_f32 v[8:9], v[12:13], 1.0 op_sel_hi:[1,0]
	;;#ASMSTART
	v_pk_mul_f32 v[28:29], v[16:17], v[8:9]
	;;#ASMEND
	v_pk_add_f32 v[8:9], v[20:21], 1.0 op_sel_hi:[1,0]
	v_cvt_f32_u32_sdwa v13, v3 dst_sel:DWORD dst_unused:UNUSED_PAD src0_sel:WORD_1
	v_cvt_f32_u32_sdwa v12, v3 dst_sel:DWORD dst_unused:UNUSED_PAD src0_sel:WORD_0
	;;#ASMSTART
	v_pk_mul_f32 v[30:31], v[30:31], v[8:9]
	;;#ASMEND
	v_cvt_f32_u32_sdwa v9, v4 dst_sel:DWORD dst_unused:UNUSED_PAD src0_sel:WORD_1
	v_cvt_f32_u32_sdwa v8, v4 dst_sel:DWORD dst_unused:UNUSED_PAD src0_sel:WORD_0
	v_pk_add_f32 v[2:3], v[10:11], 1.0 op_sel_hi:[1,0]
	v_cvt_f32_u32_sdwa v11, v5 dst_sel:DWORD dst_unused:UNUSED_PAD src0_sel:WORD_1
	v_cvt_f32_u32_sdwa v10, v5 dst_sel:DWORD dst_unused:UNUSED_PAD src0_sel:WORD_0
	;;#ASMSTART
	v_pk_mul_f32 v[24:25], v[24:25], v[2:3]
	;;#ASMEND
	v_pk_add_f32 v[2:3], v[12:13], 1.0 op_sel_hi:[1,0]
	;;#ASMSTART
	v_pk_mul_f32 v[26:27], v[26:27], v[2:3]
	;;#ASMEND
	v_pk_add_f32 v[2:3], v[8:9], 1.0 op_sel_hi:[1,0]
	;; [unrolled: 4-line block ×3, first 2 shown]
	;;#ASMSTART
	v_pk_mul_f32 v[20:21], v[6:7], v[2:3]
	;;#ASMEND
.LBB58_9:
	s_or_b64 exec, exec, s[20:21]
	s_load_dwordx2 s[28:29], s[4:5], 0x7c
	s_mov_b64 s[20:21], -1
	s_and_b64 vcc, exec, s[10:11]
	s_cbranch_vccnz .LBB58_13
; %bb.10:
	s_andn2_b64 vcc, exec, s[20:21]
	s_cbranch_vccz .LBB58_16
.LBB58_11:
	s_cmp_lt_i32 s16, 1
	s_cbranch_scc0 .LBB58_27
.LBB58_12:
	s_endpgm
.LBB58_13:
	s_and_saveexec_b64 s[10:11], s[2:3]
	s_cbranch_execz .LBB58_15
; %bb.14:
	s_waitcnt lgkmcnt(0)
	s_mul_hi_i32 s21, s29, s6
	s_mul_i32 s20, s29, s6
	s_lshl_b64 s[20:21], s[20:21], 1
	s_add_u32 s20, s24, s20
	s_addc_u32 s7, s25, s21
	s_and_b32 s21, s7, 0xffff
	s_mov_b32 s7, 0x7060302
	s_mov_b32 s23, 0x20000
	s_waitcnt vmcnt(0)
	v_perm_b32 v5, v31, v30, s7
	v_perm_b32 v4, v29, v28, s7
	;; [unrolled: 1-line block ×4, first 2 shown]
	v_lshlrev_b32_e32 v6, 1, v1
	buffer_store_dwordx4 v[2:5], v6, s[20:23], 0 offen
	;;#ASMSTART
	s_nop 0
	;;#ASMEND
	s_nop 0
	v_perm_b32 v5, v21, v20, s7
	v_perm_b32 v4, v23, v22, s7
	v_perm_b32 v3, v27, v26, s7
	v_perm_b32 v2, v25, v24, s7
	s_movk_i32 s7, 0x400
	buffer_store_dwordx4 v[2:5], v6, s[20:23], s7 offen
	;;#ASMSTART
	s_nop 0
	;;#ASMEND
.LBB58_15:
	s_or_b64 exec, exec, s[10:11]
	s_cbranch_execnz .LBB58_11
.LBB58_16:
	s_waitcnt vmcnt(0)
	v_mov_b32_e32 v2, 0
	s_and_saveexec_b64 s[10:11], s[2:3]
	s_cbranch_execz .LBB58_18
; %bb.17:
	s_load_dwordx2 s[20:21], s[4:5], 0x10
	s_waitcnt lgkmcnt(0)
	s_mul_hi_i32 s31, s28, s6
	s_mul_i32 s30, s28, s6
	s_lshl_b64 s[30:31], s[30:31], 1
	s_mov_b32 s23, 0x20000
	s_add_u32 s20, s20, s30
	s_addc_u32 s7, s21, s31
	s_and_b32 s21, s7, 0xffff
	s_mov_b32 s7, 0x7060302
	v_perm_b32 v5, v31, v30, s7
	v_perm_b32 v4, v29, v28, s7
	;; [unrolled: 1-line block ×4, first 2 shown]
	v_lshlrev_b32_e32 v6, 1, v1
	buffer_store_dwordx4 v[2:5], v6, s[20:23], 0 offen
	;;#ASMSTART
	s_nop 0
	;;#ASMEND
	s_nop 0
	v_perm_b32 v5, v21, v20, s7
	v_perm_b32 v4, v23, v22, s7
	;; [unrolled: 1-line block ×4, first 2 shown]
	s_movk_i32 s7, 0x400
	buffer_store_dwordx4 v[2:5], v6, s[20:23], s7 offen
	v_mov_b32_e32 v2, 0x2edbe6ff
	;;#ASMSTART
	s_nop 0
	;;#ASMEND
.LBB58_18:
	s_or_b64 exec, exec, s[10:11]
	s_and_saveexec_b64 s[10:11], s[2:3]
	s_cbranch_execz .LBB58_20
; %bb.19:
	v_and_b32_e32 v3, 0x7fffffff, v18
	v_and_b32_e32 v4, 0x7fffffff, v19
	;;#ASMSTART
	v_max3_f32 v2, v2, v3, v4

	;;#ASMEND
	v_and_b32_e32 v3, 0x7fffffff, v32
	v_and_b32_e32 v4, 0x7fffffff, v33
	;;#ASMSTART
	v_max3_f32 v2, v2, v3, v4

	;;#ASMEND
	;; [unrolled: 6-line block ×8, first 2 shown]
.LBB58_20:
	s_or_b64 exec, exec, s[10:11]
	s_nop 0
	v_mov_b32_dpp v3, v2 quad_perm:[1,0,3,2] row_mask:0xf bank_mask:0xf
	v_cmp_gt_f32_e32 vcc, v2, v3
	v_cndmask_b32_e32 v2, v3, v2, vcc
	s_nop 1
	v_mov_b32_dpp v3, v2 quad_perm:[2,3,0,1] row_mask:0xf bank_mask:0xf
	v_cmp_gt_f32_e32 vcc, v2, v3
	v_cndmask_b32_e32 v2, v3, v2, vcc
	s_nop 1
	v_mov_b32_dpp v3, v2 row_half_mirror row_mask:0xf bank_mask:0xf
	v_cmp_gt_f32_e32 vcc, v2, v3
	v_cndmask_b32_e32 v2, v3, v2, vcc
	s_nop 1
	v_mov_b32_dpp v3, v2 row_mirror row_mask:0xf bank_mask:0xf
	v_cmp_gt_f32_e32 vcc, v2, v3
	v_cndmask_b32_e32 v2, v3, v2, vcc
	s_nop 1
	v_mov_b32_dpp v3, v2 row_bcast:15 row_mask:0xf bank_mask:0xf
	v_cmp_gt_f32_e32 vcc, v2, v3
	v_cndmask_b32_e32 v2, v3, v2, vcc
	s_nop 1
	v_mov_b32_dpp v3, v2 row_bcast:31 row_mask:0xf bank_mask:0xf
	s_and_saveexec_b64 s[10:11], s[0:1]
	s_cbranch_execz .LBB58_22
; %bb.21:
	v_cmp_gt_f32_e32 vcc, v2, v3
	v_cndmask_b32_e32 v2, v3, v2, vcc
	v_lshrrev_b32_e32 v3, 4, v0
	v_and_b32_e32 v3, 60, v3
	ds_write_b32 v3, v2
.LBB58_22:
	s_or_b64 exec, exec, s[10:11]
	s_waitcnt lgkmcnt(0)
	s_barrier
	ds_read_b32 v2, v34
	s_load_dwordx2 s[20:21], s[4:5], 0x70
	s_waitcnt lgkmcnt(0)
	v_mov_b32_dpp v3, v2 quad_perm:[1,0,3,2] row_mask:0xf bank_mask:0xf
	v_cmp_gt_f32_e32 vcc, v2, v3
	v_cndmask_b32_e32 v2, v3, v2, vcc
	s_nop 1
	v_mov_b32_dpp v3, v2 quad_perm:[2,3,0,1] row_mask:0xf bank_mask:0xf
	v_cmp_gt_f32_e32 vcc, v2, v3
	v_cndmask_b32_e32 v2, v3, v2, vcc
	v_mul_f32_e32 v2, 0x3b124925, v2
	v_cmp_eq_u32_e32 vcc, 0, v0
	s_and_saveexec_b64 s[10:11], vcc
	s_cbranch_execz .LBB58_24
; %bb.23:
	s_load_dwordx2 s[22:23], s[4:5], 0x8
	s_mul_hi_i32 s31, s21, s6
	s_mul_i32 s30, s21, s6
	s_lshl_b64 s[30:31], s[30:31], 2
	v_mov_b32_e32 v3, 0
	s_waitcnt lgkmcnt(0)
	s_add_u32 s22, s22, s30
	s_addc_u32 s23, s23, s31
	global_store_dword v3, v2, s[22:23]
.LBB58_24:
	s_or_b64 exec, exec, s[10:11]
	;;#ASMSTART
	v_rcp_f32 v2, v2
	;;#ASMEND
	s_and_saveexec_b64 s[10:11], s[2:3]
	s_cbranch_execz .LBB58_26
; %bb.25:
	s_load_dwordx2 s[2:3], s[4:5], 0x0
	s_mul_i32 s12, s20, s6
	s_mul_hi_i32 s7, s20, s6
	v_mov_b32_e32 v3, v2
	;;#ASMSTART
	v_pk_mul_f32 v[4:5], v[18:19], v[2:3]
	;;#ASMEND
	s_waitcnt lgkmcnt(0)
	s_add_u32 s20, s2, s12
	s_addc_u32 s2, s3, s7
	s_add_i32 s3, s15, 3
	s_ashr_i32 s7, s3, 31
	v_mov_b32_e32 v8, 0xc3e00000
	v_mov_b32_e32 v9, 0x43e00000
	;;#ASMSTART
	v_med3_f32 v4, v4, v8, v9
v_med3_f32 v5, v5, v8, v9
v_cvt_pk_fp8_f32 v6, v4, v5
	;;#ASMEND
	s_lshr_b32 s7, s7, 30
	;;#ASMSTART
	v_pk_mul_f32 v[4:5], v[32:33], v[2:3]
	;;#ASMEND
	s_add_i32 s3, s3, s7
	s_and_b32 s21, s2, 0xffff
	;;#ASMSTART
	v_med3_f32 v4, v4, v8, v9
v_med3_f32 v5, v5, v8, v9
v_cvt_pk_fp8_f32 v7, v4, v5
	;;#ASMEND
	s_mov_b32 s2, 0x5040100
	s_and_b32 s22, s3, -4
	v_perm_b32 v5, v7, v6, s2
	s_movk_i32 s3, 0xff
	v_and_b32_e32 v4, 0xffffff00, v7
	v_and_b32_sdwa v6, v5, s3 dst_sel:DWORD dst_unused:UNUSED_PAD src0_sel:WORD_1 src1_sel:DWORD
	s_mov_b32 s14, 0xffff
	v_or_b32_sdwa v4, v6, v4 dst_sel:WORD_1 dst_unused:UNUSED_PAD src0_sel:DWORD src1_sel:DWORD
	v_and_or_b32 v4, v5, s14, v4
	;;#ASMSTART
	v_pk_mul_f32 v[6:7], v[28:29], v[2:3]
	;;#ASMEND
	v_mov_b32_e32 v5, v6
	;;#ASMSTART
	v_med3_f32 v5, v5, v8, v9
v_med3_f32 v7, v7, v8, v9
v_cvt_pk_fp8_f32 v10, v5, v7
	;;#ASMEND
	;;#ASMSTART
	v_pk_mul_f32 v[6:7], v[30:31], v[2:3]
	;;#ASMEND
	v_mov_b32_e32 v5, v7
	;;#ASMSTART
	v_med3_f32 v6, v6, v8, v9
v_med3_f32 v5, v5, v8, v9
v_cvt_pk_fp8_f32 v7, v6, v5
	;;#ASMEND
	v_lshlrev_b32_e32 v5, 16, v7
	s_mov_b32 s23, 0x20000
	v_and_or_b32 v5, v10, s14, v5
	buffer_store_dwordx2 v[4:5], v1, s[20:23], 0 offen
	;;#ASMSTART
	s_nop 0
	;;#ASMEND
	;;#ASMSTART
	v_pk_mul_f32 v[4:5], v[24:25], v[2:3]
	;;#ASMEND
	;;#ASMSTART
	v_med3_f32 v4, v4, v8, v9
v_med3_f32 v5, v5, v8, v9
v_cvt_pk_fp8_f32 v6, v4, v5
	;;#ASMEND
	;;#ASMSTART
	v_pk_mul_f32 v[4:5], v[26:27], v[2:3]
	;;#ASMEND
	;;#ASMSTART
	v_med3_f32 v4, v4, v8, v9
v_med3_f32 v5, v5, v8, v9
v_cvt_pk_fp8_f32 v7, v4, v5
	;;#ASMEND
	v_perm_b32 v5, v7, v6, s2
	v_and_b32_e32 v4, 0xffffff00, v7
	v_and_b32_sdwa v6, v5, s3 dst_sel:DWORD dst_unused:UNUSED_PAD src0_sel:WORD_1 src1_sel:DWORD
	v_or_b32_sdwa v4, v6, v4 dst_sel:WORD_1 dst_unused:UNUSED_PAD src0_sel:DWORD src1_sel:DWORD
	v_and_or_b32 v4, v5, s14, v4
	;;#ASMSTART
	v_pk_mul_f32 v[6:7], v[22:23], v[2:3]
	;;#ASMEND
	v_mov_b32_e32 v5, v6
	;;#ASMSTART
	v_med3_f32 v5, v5, v8, v9
v_med3_f32 v7, v7, v8, v9
v_cvt_pk_fp8_f32 v6, v5, v7
	;;#ASMEND
	;;#ASMSTART
	v_pk_mul_f32 v[2:3], v[20:21], v[2:3]
	;;#ASMEND
	;;#ASMSTART
	v_med3_f32 v2, v2, v8, v9
v_med3_f32 v3, v3, v8, v9
v_cvt_pk_fp8_f32 v5, v2, v3
	;;#ASMEND
	v_lshlrev_b32_e32 v2, 16, v5
	v_and_or_b32 v5, v6, s14, v2
	s_movk_i32 s2, 0x200
	buffer_store_dwordx2 v[4:5], v1, s[20:23], s2 offen
	;;#ASMSTART
	s_nop 0
	;;#ASMEND
.LBB58_26:
	s_or_b64 exec, exec, s[10:11]
	s_cmp_lt_i32 s16, 1
	s_cbranch_scc1 .LBB58_12
.LBB58_27:
	s_load_dword s2, s[4:5], 0x94
	s_waitcnt lgkmcnt(0)
	s_cmp_lg_u32 s2, 1
	s_cbranch_scc1 .LBB58_12
; %bb.28:
	s_lshl_b32 s2, s16, 1
	s_add_i32 s2, s2, 2
	v_cmp_gt_u32_e32 vcc, s16, v1
	s_and_b32 s10, s2, -4
	v_mov_b32_e32 v18, 0
	v_lshlrev_b32_e32 v1, 1, v1
	v_mov_b32_e32 v14, 0
	v_mov_b32_e32 v15, 0
	;; [unrolled: 1-line block ×8, first 2 shown]
	s_waitcnt vmcnt(1)
	v_mov_b32_e32 v6, 0
	v_mov_b32_e32 v7, 0
	;; [unrolled: 1-line block ×4, first 2 shown]
	s_waitcnt vmcnt(0)
	v_mov_b32_e32 v2, 0
	v_mov_b32_e32 v3, 0
	;; [unrolled: 1-line block ×4, first 2 shown]
	s_barrier
	s_and_saveexec_b64 s[2:3], vcc
	s_cbranch_execz .LBB58_30
; %bb.29:
	s_mul_hi_i32 s5, s18, s6
	s_mul_i32 s4, s18, s6
	s_and_b32 s9, s9, 0xffff
	s_lshl_b64 s[4:5], s[4:5], 1
	s_add_u32 s20, s26, s4
	s_mov_b32 s11, 0x20000
	s_addc_u32 s4, s27, s5
	s_and_b32 s21, s4, 0xffff
	s_mov_b32 s22, s10
	s_mov_b32 s23, s11
	s_movk_i32 s4, 0x400
	buffer_load_dwordx4 v[14:17], v1, s[20:23], 0 offen glc slc
	buffer_load_dwordx4 v[10:13], v1, s[20:23], s4 offen glc slc
	buffer_load_dwordx4 v[6:9], v1, s[8:11], 0 offen
	buffer_load_dwordx4 v[2:5], v1, s[8:11], s4 offen
.LBB58_30:
	s_or_b64 exec, exec, s[2:3]
	v_mov_b32_e32 v19, 0
	v_mov_b32_e32 v32, 0
	;; [unrolled: 1-line block ×15, first 2 shown]
	s_and_saveexec_b64 s[2:3], vcc
	s_cbranch_execz .LBB58_32
; %bb.31:
	s_waitcnt vmcnt(3)
	v_cvt_f32_u32_sdwa v18, v14 dst_sel:DWORD dst_unused:UNUSED_PAD src0_sel:WORD_0
	v_cvt_f32_u32_sdwa v19, v14 dst_sel:DWORD dst_unused:UNUSED_PAD src0_sel:WORD_1
	v_cvt_f32_u32_sdwa v32, v15 dst_sel:DWORD dst_unused:UNUSED_PAD src0_sel:WORD_0
	v_cvt_f32_u32_sdwa v33, v15 dst_sel:DWORD dst_unused:UNUSED_PAD src0_sel:WORD_1
	;; [unrolled: 2-line block ×4, first 2 shown]
	s_waitcnt vmcnt(2)
	v_cvt_f32_u32_sdwa v26, v10 dst_sel:DWORD dst_unused:UNUSED_PAD src0_sel:WORD_0
	v_cvt_f32_u32_sdwa v27, v10 dst_sel:DWORD dst_unused:UNUSED_PAD src0_sel:WORD_1
	v_cvt_f32_u32_sdwa v24, v11 dst_sel:DWORD dst_unused:UNUSED_PAD src0_sel:WORD_0
	v_cvt_f32_u32_sdwa v25, v11 dst_sel:DWORD dst_unused:UNUSED_PAD src0_sel:WORD_1
	;; [unrolled: 2-line block ×4, first 2 shown]
.LBB58_32:
	s_or_b64 exec, exec, s[2:3]
	s_waitcnt vmcnt(2)
	v_mul_f32_e32 v10, v19, v19
	v_fmac_f32_e32 v10, v18, v18
	v_fmac_f32_e32 v10, v32, v32
	;; [unrolled: 1-line block ×15, first 2 shown]
	s_nop 1
	v_mov_b32_dpp v11, v10 quad_perm:[1,0,3,2] row_mask:0xf bank_mask:0xf
	v_add_f32_e32 v10, v10, v11
	s_nop 1
	v_mov_b32_dpp v11, v10 quad_perm:[2,3,0,1] row_mask:0xf bank_mask:0xf
	v_add_f32_e32 v10, v10, v11
	s_nop 1
	v_mov_b32_dpp v11, v10 row_half_mirror row_mask:0xf bank_mask:0xf
	v_add_f32_e32 v10, v10, v11
	s_nop 1
	v_mov_b32_dpp v11, v10 row_mirror row_mask:0xf bank_mask:0xf
	v_add_f32_e32 v10, v10, v11
	s_nop 1
	v_mov_b32_dpp v11, v10 row_bcast:15 row_mask:0xf bank_mask:0xf
	v_add_f32_e32 v10, v10, v11
	s_nop 1
	v_mov_b32_dpp v11, v10 row_bcast:31 row_mask:0xf bank_mask:0xf
	s_and_saveexec_b64 s[2:3], s[0:1]
	s_cbranch_execz .LBB58_34
; %bb.33:
	v_lshrrev_b32_e32 v0, 4, v0
	v_add_f32_e32 v10, v10, v11
	v_and_b32_e32 v0, 60, v0
	ds_write_b32 v0, v10 offset:16
.LBB58_34:
	s_or_b64 exec, exec, s[2:3]
	s_waitcnt lgkmcnt(0)
	s_barrier
	ds_read_b32 v0, v34 offset:16
	s_waitcnt lgkmcnt(0)
	s_nop 0
	v_mov_b32_dpp v10, v0 quad_perm:[1,0,3,2] row_mask:0xf bank_mask:0xf
	v_add_f32_e32 v0, v0, v10
	s_nop 1
	v_mov_b32_dpp v10, v0 quad_perm:[2,3,0,1] row_mask:0xf bank_mask:0xf
	s_and_saveexec_b64 s[0:1], vcc
	s_cbranch_execz .LBB58_12
; %bb.35:
	v_cvt_f32_u32_e32 v11, s16
	v_add_f32_e32 v0, v0, v10
	s_mov_b32 s11, 0x20000
	v_div_scale_f32 v10, s[0:1], v11, v11, v0
	v_rcp_f32_e32 v12, v10
	v_div_scale_f32 v13, vcc, v0, v11, v0
	s_mov_b32 s0, 0x800000
	v_fma_f32 v14, -v10, v12, 1.0
	v_fmac_f32_e32 v12, v14, v12
	v_mul_f32_e32 v14, v13, v12
	v_fma_f32 v15, -v10, v14, v13
	v_fmac_f32_e32 v14, v15, v12
	v_fma_f32 v10, -v10, v14, v13
	v_div_fmas_f32 v10, v10, v12, v14
	v_div_fixup_f32 v0, v10, v11, v0
	v_add_f32_e32 v0, s13, v0
	v_mul_f32_e32 v10, 0x4b800000, v0
	v_cmp_gt_f32_e32 vcc, s0, v0
	v_cndmask_b32_e32 v0, v0, v10, vcc
	v_rsq_f32_e32 v0, v0
	s_mul_hi_i32 s1, s29, s6
	s_mul_i32 s0, s29, s6
	s_lshl_b64 s[0:1], s[0:1], 1
	v_mul_f32_e32 v10, 0x45800000, v0
	v_cndmask_b32_e32 v10, v0, v10, vcc
	v_mov_b32_e32 v11, v10
	;;#ASMSTART
	v_pk_mul_f32 v[12:13], v[18:19], v[10:11]
	;;#ASMEND
	;;#ASMSTART
	v_pk_mul_f32 v[14:15], v[32:33], v[10:11]
	;;#ASMEND
	;;#ASMSTART
	v_pk_mul_f32 v[16:17], v[30:31], v[10:11]
	;;#ASMEND
	;;#ASMSTART
	v_pk_mul_f32 v[18:19], v[28:29], v[10:11]
	;;#ASMEND
	s_waitcnt vmcnt(1)
	v_cvt_f32_u32_sdwa v29, v6 dst_sel:DWORD dst_unused:UNUSED_PAD src0_sel:WORD_1
	v_cvt_f32_u32_sdwa v28, v6 dst_sel:DWORD dst_unused:UNUSED_PAD src0_sel:WORD_0
	v_cvt_f32_u32_sdwa v31, v7 dst_sel:DWORD dst_unused:UNUSED_PAD src0_sel:WORD_1
	v_cvt_f32_u32_sdwa v30, v7 dst_sel:DWORD dst_unused:UNUSED_PAD src0_sel:WORD_0
	;;#ASMSTART
	v_pk_mul_f32 v[26:27], v[26:27], v[10:11]
	;;#ASMEND
	;;#ASMSTART
	v_pk_mul_f32 v[24:25], v[24:25], v[10:11]
	;;#ASMEND
	;; [unrolled: 3-line block ×4, first 2 shown]
	v_cvt_f32_u32_sdwa v21, v8 dst_sel:DWORD dst_unused:UNUSED_PAD src0_sel:WORD_1
	v_cvt_f32_u32_sdwa v20, v8 dst_sel:DWORD dst_unused:UNUSED_PAD src0_sel:WORD_0
	v_pk_add_f32 v[10:11], v[28:29], 1.0 op_sel_hi:[1,0]
	;;#ASMSTART
	v_pk_mul_f32 v[10:11], v[12:13], v[10:11]
	;;#ASMEND
	v_pk_add_f32 v[12:13], v[30:31], 1.0 op_sel_hi:[1,0]
	v_cvt_f32_u32_sdwa v29, v9 dst_sel:DWORD dst_unused:UNUSED_PAD src0_sel:WORD_1
	v_cvt_f32_u32_sdwa v28, v9 dst_sel:DWORD dst_unused:UNUSED_PAD src0_sel:WORD_0
	;;#ASMSTART
	v_pk_mul_f32 v[8:9], v[14:15], v[12:13]
	;;#ASMEND
	v_pk_add_f32 v[12:13], v[20:21], 1.0 op_sel_hi:[1,0]
	;;#ASMSTART
	v_pk_mul_f32 v[12:13], v[16:17], v[12:13]
	;;#ASMEND
	s_waitcnt vmcnt(0)
	v_cvt_f32_u32_sdwa v17, v2 dst_sel:DWORD dst_unused:UNUSED_PAD src0_sel:WORD_1
	v_cvt_f32_u32_sdwa v16, v2 dst_sel:DWORD dst_unused:UNUSED_PAD src0_sel:WORD_0
	v_cvt_f32_u32_sdwa v21, v3 dst_sel:DWORD dst_unused:UNUSED_PAD src0_sel:WORD_1
	v_cvt_f32_u32_sdwa v20, v3 dst_sel:DWORD dst_unused:UNUSED_PAD src0_sel:WORD_0
	v_pk_add_f32 v[14:15], v[28:29], 1.0 op_sel_hi:[1,0]
	;;#ASMSTART
	v_pk_mul_f32 v[14:15], v[18:19], v[14:15]
	;;#ASMEND
	v_pk_add_f32 v[2:3], v[16:17], 1.0 op_sel_hi:[1,0]
	v_cvt_f32_u32_sdwa v19, v4 dst_sel:DWORD dst_unused:UNUSED_PAD src0_sel:WORD_1
	v_cvt_f32_u32_sdwa v18, v4 dst_sel:DWORD dst_unused:UNUSED_PAD src0_sel:WORD_0
	;;#ASMSTART
	v_pk_mul_f32 v[16:17], v[26:27], v[2:3]
	;;#ASMEND
	v_pk_add_f32 v[2:3], v[20:21], 1.0 op_sel_hi:[1,0]
	v_cvt_f32_u32_sdwa v21, v5 dst_sel:DWORD dst_unused:UNUSED_PAD src0_sel:WORD_1
	v_cvt_f32_u32_sdwa v20, v5 dst_sel:DWORD dst_unused:UNUSED_PAD src0_sel:WORD_0
	s_add_u32 s8, s24, s0
	;;#ASMSTART
	v_pk_mul_f32 v[24:25], v[24:25], v[2:3]
	;;#ASMEND
	v_pk_add_f32 v[2:3], v[18:19], 1.0 op_sel_hi:[1,0]
	s_addc_u32 s0, s25, s1
	;;#ASMSTART
	v_pk_mul_f32 v[18:19], v[22:23], v[2:3]
	;;#ASMEND
	v_pk_add_f32 v[2:3], v[20:21], 1.0 op_sel_hi:[1,0]
	s_and_b32 s9, s0, 0xffff
	s_mov_b32 s0, 0x7060302
	;;#ASMSTART
	v_pk_mul_f32 v[6:7], v[6:7], v[2:3]
	;;#ASMEND
	v_perm_b32 v2, v11, v10, s0
	v_perm_b32 v3, v9, v8, s0
	;; [unrolled: 1-line block ×4, first 2 shown]
	buffer_store_dwordx4 v[2:5], v1, s[8:11], 0 offen
	;;#ASMSTART
	s_nop 0
	;;#ASMEND
	s_nop 0
	v_perm_b32 v2, v17, v16, s0
	v_perm_b32 v3, v25, v24, s0
	;; [unrolled: 1-line block ×4, first 2 shown]
	s_movk_i32 s0, 0x400
	buffer_store_dwordx4 v[2:5], v1, s[8:11], s0 offen
	;;#ASMSTART
	s_nop 0
	;;#ASMEND
	s_endpgm
	.section	.rodata,"a",@progbits
	.p2align	6, 0x0
	.amdhsa_kernel _ZN5aiter35fused_qk_rmsnorm_group_quant_kernelItDB8_Li256ELi16ELi1ELb0ELb1ELb1ELb0ELb1ELb1EEEvPT0_PvPT_S6_S6_PKS5_S8_S8_S8_S8_ffiiiiiiiiiiiii
		.amdhsa_group_segment_fixed_size 48
		.amdhsa_private_segment_fixed_size 0
		.amdhsa_kernarg_size 400
		.amdhsa_user_sgpr_count 6
		.amdhsa_user_sgpr_private_segment_buffer 1
		.amdhsa_user_sgpr_dispatch_ptr 0
		.amdhsa_user_sgpr_queue_ptr 0
		.amdhsa_user_sgpr_kernarg_segment_ptr 1
		.amdhsa_user_sgpr_dispatch_id 0
		.amdhsa_user_sgpr_flat_scratch_init 0
		.amdhsa_user_sgpr_kernarg_preload_length 0
		.amdhsa_user_sgpr_kernarg_preload_offset 0
		.amdhsa_user_sgpr_private_segment_size 0
		.amdhsa_uses_dynamic_stack 0
		.amdhsa_system_sgpr_private_segment_wavefront_offset 0
		.amdhsa_system_sgpr_workgroup_id_x 1
		.amdhsa_system_sgpr_workgroup_id_y 1
		.amdhsa_system_sgpr_workgroup_id_z 0
		.amdhsa_system_sgpr_workgroup_info 0
		.amdhsa_system_vgpr_workitem_id 0
		.amdhsa_next_free_vgpr 35
		.amdhsa_next_free_sgpr 32
		.amdhsa_accum_offset 36
		.amdhsa_reserve_vcc 1
		.amdhsa_reserve_flat_scratch 0
		.amdhsa_float_round_mode_32 0
		.amdhsa_float_round_mode_16_64 0
		.amdhsa_float_denorm_mode_32 3
		.amdhsa_float_denorm_mode_16_64 3
		.amdhsa_dx10_clamp 1
		.amdhsa_ieee_mode 1
		.amdhsa_fp16_overflow 0
		.amdhsa_tg_split 0
		.amdhsa_exception_fp_ieee_invalid_op 0
		.amdhsa_exception_fp_denorm_src 0
		.amdhsa_exception_fp_ieee_div_zero 0
		.amdhsa_exception_fp_ieee_overflow 0
		.amdhsa_exception_fp_ieee_underflow 0
		.amdhsa_exception_fp_ieee_inexact 0
		.amdhsa_exception_int_div_zero 0
	.end_amdhsa_kernel
	.section	.text._ZN5aiter35fused_qk_rmsnorm_group_quant_kernelItDB8_Li256ELi16ELi1ELb0ELb1ELb1ELb0ELb1ELb1EEEvPT0_PvPT_S6_S6_PKS5_S8_S8_S8_S8_ffiiiiiiiiiiiii,"axG",@progbits,_ZN5aiter35fused_qk_rmsnorm_group_quant_kernelItDB8_Li256ELi16ELi1ELb0ELb1ELb1ELb0ELb1ELb1EEEvPT0_PvPT_S6_S6_PKS5_S8_S8_S8_S8_ffiiiiiiiiiiiii,comdat
.Lfunc_end58:
	.size	_ZN5aiter35fused_qk_rmsnorm_group_quant_kernelItDB8_Li256ELi16ELi1ELb0ELb1ELb1ELb0ELb1ELb1EEEvPT0_PvPT_S6_S6_PKS5_S8_S8_S8_S8_ffiiiiiiiiiiiii, .Lfunc_end58-_ZN5aiter35fused_qk_rmsnorm_group_quant_kernelItDB8_Li256ELi16ELi1ELb0ELb1ELb1ELb0ELb1ELb1EEEvPT0_PvPT_S6_S6_PKS5_S8_S8_S8_S8_ffiiiiiiiiiiiii
                                        ; -- End function
	.section	.AMDGPU.csdata,"",@progbits
; Kernel info:
; codeLenInByte = 4012
; NumSgprs: 36
; NumVgprs: 35
; NumAgprs: 0
; TotalNumVgprs: 35
; ScratchSize: 0
; MemoryBound: 0
; FloatMode: 240
; IeeeMode: 1
; LDSByteSize: 48 bytes/workgroup (compile time only)
; SGPRBlocks: 4
; VGPRBlocks: 4
; NumSGPRsForWavesPerEU: 36
; NumVGPRsForWavesPerEU: 35
; AccumOffset: 36
; Occupancy: 8
; WaveLimiterHint : 0
; COMPUTE_PGM_RSRC2:SCRATCH_EN: 0
; COMPUTE_PGM_RSRC2:USER_SGPR: 6
; COMPUTE_PGM_RSRC2:TRAP_HANDLER: 0
; COMPUTE_PGM_RSRC2:TGID_X_EN: 1
; COMPUTE_PGM_RSRC2:TGID_Y_EN: 1
; COMPUTE_PGM_RSRC2:TGID_Z_EN: 0
; COMPUTE_PGM_RSRC2:TIDIG_COMP_CNT: 0
; COMPUTE_PGM_RSRC3_GFX90A:ACCUM_OFFSET: 8
; COMPUTE_PGM_RSRC3_GFX90A:TG_SPLIT: 0
	.section	.text._ZN5aiter35fused_qk_rmsnorm_group_quant_kernelIDF16_DB8_Li256ELi16ELi1ELb0ELb1ELb0ELb0ELb1ELb1EEEvPT0_PvPT_S6_S6_PKS5_S8_S8_S8_S8_ffiiiiiiiiiiiii,"axG",@progbits,_ZN5aiter35fused_qk_rmsnorm_group_quant_kernelIDF16_DB8_Li256ELi16ELi1ELb0ELb1ELb0ELb0ELb1ELb1EEEvPT0_PvPT_S6_S6_PKS5_S8_S8_S8_S8_ffiiiiiiiiiiiii,comdat
	.protected	_ZN5aiter35fused_qk_rmsnorm_group_quant_kernelIDF16_DB8_Li256ELi16ELi1ELb0ELb1ELb0ELb0ELb1ELb1EEEvPT0_PvPT_S6_S6_PKS5_S8_S8_S8_S8_ffiiiiiiiiiiiii ; -- Begin function _ZN5aiter35fused_qk_rmsnorm_group_quant_kernelIDF16_DB8_Li256ELi16ELi1ELb0ELb1ELb0ELb0ELb1ELb1EEEvPT0_PvPT_S6_S6_PKS5_S8_S8_S8_S8_ffiiiiiiiiiiiii
	.globl	_ZN5aiter35fused_qk_rmsnorm_group_quant_kernelIDF16_DB8_Li256ELi16ELi1ELb0ELb1ELb0ELb0ELb1ELb1EEEvPT0_PvPT_S6_S6_PKS5_S8_S8_S8_S8_ffiiiiiiiiiiiii
	.p2align	8
	.type	_ZN5aiter35fused_qk_rmsnorm_group_quant_kernelIDF16_DB8_Li256ELi16ELi1ELb0ELb1ELb0ELb0ELb1ELb1EEEvPT0_PvPT_S6_S6_PKS5_S8_S8_S8_S8_ffiiiiiiiiiiiii,@function
_ZN5aiter35fused_qk_rmsnorm_group_quant_kernelIDF16_DB8_Li256ELi16ELi1ELb0ELb1ELb0ELb0ELb1ELb1EEEvPT0_PvPT_S6_S6_PKS5_S8_S8_S8_S8_ffiiiiiiiiiiiii: ; @_ZN5aiter35fused_qk_rmsnorm_group_quant_kernelIDF16_DB8_Li256ELi16ELi1ELb0ELb1ELb0ELb0ELb1ELb1EEEvPT0_PvPT_S6_S6_PKS5_S8_S8_S8_S8_ffiiiiiiiiiiiii
; %bb.0:
	s_load_dwordx4 s[12:15], s[4:5], 0x50
	s_waitcnt lgkmcnt(0)
	s_cmp_ge_i32 s6, s14
	s_cbranch_scc1 .LBB59_12
; %bb.1:
	s_load_dwordx2 s[8:9], s[4:5], 0x48
	s_load_dwordx2 s[26:27], s[4:5], 0x30
	s_load_dwordx4 s[16:19], s[4:5], 0x60
	s_cmp_lg_u32 s7, 0
	s_cselect_b64 s[10:11], -1, 0
	s_cmp_eq_u32 s7, 0
	s_cselect_b64 vcc, -1, 0
	s_and_b64 s[0:1], vcc, exec
	s_waitcnt lgkmcnt(0)
	s_cselect_b32 s7, s15, s16
	s_add_i32 s0, s7, 1
	s_lshr_b32 s1, s0, 31
	s_add_i32 s0, s0, s1
	s_lshl_b32 s0, s0, 1
	v_lshlrev_b32_e32 v2, 4, v0
	s_and_b32 s22, s0, -4
	v_lshlrev_b32_e32 v1, 3, v0
	v_and_b32_e32 v2, 0x3c00, v2
	s_movk_i32 s0, 0x1f8
	v_and_or_b32 v1, v1, s0, v2
	v_cmp_gt_i32_e64 s[2:3], s7, v1
	v_mov_b32_e32 v18, 0
	v_mov_b32_e32 v6, 0
	;; [unrolled: 1-line block ×17, first 2 shown]
	s_and_saveexec_b64 s[0:1], s[2:3]
	s_cbranch_execz .LBB59_3
; %bb.2:
	s_load_dwordx2 s[20:21], s[4:5], 0x28
	s_load_dwordx2 s[24:25], s[4:5], 0x40
	s_and_b64 s[28:29], vcc, exec
	s_cselect_b32 s14, s17, s18
	s_mov_b32 s23, 0x20000
	s_waitcnt lgkmcnt(0)
	s_cselect_b32 s17, s21, s27
	s_cselect_b32 s19, s20, s26
	s_mul_hi_i32 s21, s14, s6
	s_mul_i32 s20, s14, s6
	s_lshl_b64 s[20:21], s[20:21], 1
	s_add_u32 s28, s19, s20
	s_addc_u32 s14, s17, s21
	s_and_b64 s[20:21], vcc, exec
	s_cselect_b32 s20, s24, s8
	s_cselect_b32 s17, s25, s9
	s_and_b32 s29, s14, 0xffff
	s_mov_b32 s30, s22
	s_mov_b32 s31, s23
	v_lshlrev_b32_e32 v19, 1, v1
	s_and_b32 s21, s17, 0xffff
	s_movk_i32 s14, 0x400
	buffer_load_dwordx4 v[14:17], v19, s[28:31], 0 offen glc slc
	buffer_load_dwordx4 v[10:13], v19, s[28:31], s14 offen glc slc
	buffer_load_dwordx4 v[6:9], v19, s[20:23], 0 offen
	buffer_load_dwordx4 v[2:5], v19, s[20:23], s14 offen
.LBB59_3:
	s_or_b64 exec, exec, s[0:1]
	v_mov_b32_e32 v19, 0
	v_mov_b32_e32 v32, 0
	;; [unrolled: 1-line block ×15, first 2 shown]
	s_and_saveexec_b64 s[0:1], s[2:3]
	s_cbranch_execz .LBB59_5
; %bb.4:
	s_waitcnt vmcnt(3)
	v_cvt_f32_f16_sdwa v19, v14 dst_sel:DWORD dst_unused:UNUSED_PAD src0_sel:WORD_1
	v_cvt_f32_f16_e32 v18, v14
	v_cvt_f32_f16_sdwa v33, v15 dst_sel:DWORD dst_unused:UNUSED_PAD src0_sel:WORD_1
	v_cvt_f32_f16_e32 v32, v15
	;; [unrolled: 2-line block ×4, first 2 shown]
	s_waitcnt vmcnt(2)
	v_cvt_f32_f16_sdwa v31, v10 dst_sel:DWORD dst_unused:UNUSED_PAD src0_sel:WORD_1
	v_cvt_f32_f16_e32 v30, v10
	v_cvt_f32_f16_sdwa v27, v11 dst_sel:DWORD dst_unused:UNUSED_PAD src0_sel:WORD_1
	v_cvt_f32_f16_e32 v26, v11
	;; [unrolled: 2-line block ×4, first 2 shown]
.LBB59_5:
	s_or_b64 exec, exec, s[0:1]
	s_waitcnt vmcnt(2)
	v_mul_f32_e32 v10, v19, v19
	v_fmac_f32_e32 v10, v18, v18
	v_fmac_f32_e32 v10, v32, v32
	;; [unrolled: 1-line block ×15, first 2 shown]
	v_and_b32_e32 v12, 63, v0
	v_cmp_eq_u32_e64 s[0:1], 63, v12
	v_mov_b32_dpp v11, v10 quad_perm:[1,0,3,2] row_mask:0xf bank_mask:0xf
	v_add_f32_e32 v10, v10, v11
	s_nop 1
	v_mov_b32_dpp v11, v10 quad_perm:[2,3,0,1] row_mask:0xf bank_mask:0xf
	v_add_f32_e32 v10, v10, v11
	s_nop 1
	v_mov_b32_dpp v11, v10 row_half_mirror row_mask:0xf bank_mask:0xf
	v_add_f32_e32 v10, v10, v11
	s_nop 1
	v_mov_b32_dpp v11, v10 row_mirror row_mask:0xf bank_mask:0xf
	v_add_f32_e32 v10, v10, v11
	s_nop 1
	v_mov_b32_dpp v11, v10 row_bcast:15 row_mask:0xf bank_mask:0xf
	v_add_f32_e32 v10, v10, v11
	s_nop 1
	v_mov_b32_dpp v11, v10 row_bcast:31 row_mask:0xf bank_mask:0xf
	s_and_saveexec_b64 s[20:21], s[0:1]
	s_cbranch_execz .LBB59_7
; %bb.6:
	v_add_f32_e32 v10, v10, v11
	v_lshrrev_b32_e32 v11, 4, v0
	v_and_b32_e32 v11, 60, v11
	ds_write_b32 v11, v10 offset:32
.LBB59_7:
	s_or_b64 exec, exec, s[20:21]
	v_and_b32_e32 v10, 3, v0
	v_lshlrev_b32_e32 v34, 2, v10
	s_waitcnt lgkmcnt(0)
	s_barrier
	ds_read_b32 v10, v34 offset:32
	s_load_dwordx2 s[24:25], s[4:5], 0x18
	s_waitcnt lgkmcnt(0)
	v_mov_b32_dpp v11, v10 quad_perm:[1,0,3,2] row_mask:0xf bank_mask:0xf
	v_add_f32_e32 v10, v10, v11
	s_nop 1
	v_mov_b32_dpp v11, v10 quad_perm:[2,3,0,1] row_mask:0xf bank_mask:0xf
	s_and_saveexec_b64 s[20:21], s[2:3]
	s_cbranch_execz .LBB59_9
; %bb.8:
	v_cvt_f32_u32_e32 v12, s7
	v_add_f32_e32 v10, v10, v11
	v_mov_b32_e32 v14, s13
	v_mov_b32_e32 v15, s12
	v_div_scale_f32 v11, s[28:29], v12, v12, v10
	v_rcp_f32_e32 v13, v11
	v_cndmask_b32_e32 v14, v14, v15, vcc
	s_mov_b32 s7, 0x800000
	s_waitcnt vmcnt(1)
	v_cvt_f32_f16_sdwa v37, v9 dst_sel:DWORD dst_unused:UNUSED_PAD src0_sel:WORD_1
	v_fma_f32 v15, -v11, v13, 1.0
	v_fmac_f32_e32 v13, v15, v13
	v_div_scale_f32 v15, vcc, v10, v12, v10
	v_mul_f32_e32 v16, v15, v13
	v_fma_f32 v17, -v11, v16, v15
	v_fmac_f32_e32 v16, v17, v13
	v_fma_f32 v11, -v11, v16, v15
	v_div_fmas_f32 v11, v11, v13, v16
	v_div_fixup_f32 v10, v11, v12, v10
	v_add_f32_e32 v10, v14, v10
	v_mul_f32_e32 v11, 0x4b800000, v10
	v_cmp_gt_f32_e32 vcc, s7, v10
	v_cndmask_b32_e32 v10, v10, v11, vcc
	v_rsq_f32_e32 v10, v10
	v_cvt_f32_f16_e32 v36, v9
	s_waitcnt vmcnt(0)
	v_cvt_f32_f16_sdwa v9, v3 dst_sel:DWORD dst_unused:UNUSED_PAD src0_sel:WORD_1
	v_mul_f32_e32 v11, 0x45800000, v10
	v_cndmask_b32_e32 v10, v10, v11, vcc
	v_mov_b32_e32 v11, v10
	;;#ASMSTART
	v_pk_mul_f32 v[12:13], v[18:19], v[10:11]
	;;#ASMEND
	;;#ASMSTART
	v_pk_mul_f32 v[14:15], v[32:33], v[10:11]
	;;#ASMEND
	;; [unrolled: 3-line block ×8, first 2 shown]
	v_cvt_f32_f16_sdwa v19, v6 dst_sel:DWORD dst_unused:UNUSED_PAD src0_sel:WORD_1
	v_cvt_f32_f16_e32 v18, v6
	v_cvt_f32_f16_sdwa v21, v7 dst_sel:DWORD dst_unused:UNUSED_PAD src0_sel:WORD_1
	v_cvt_f32_f16_e32 v20, v7
	;; [unrolled: 2-line block ×3, first 2 shown]
	;;#ASMSTART
	v_pk_mul_f32 v[18:19], v[12:13], v[18:19]
	;;#ASMEND
	;;#ASMSTART
	v_pk_mul_f32 v[32:33], v[14:15], v[20:21]
	;;#ASMEND
	;; [unrolled: 3-line block ×4, first 2 shown]
	v_cvt_f32_f16_sdwa v7, v2 dst_sel:DWORD dst_unused:UNUSED_PAD src0_sel:WORD_1
	v_cvt_f32_f16_e32 v6, v2
	v_cvt_f32_f16_e32 v8, v3
	v_cvt_f32_f16_sdwa v3, v4 dst_sel:DWORD dst_unused:UNUSED_PAD src0_sel:WORD_1
	v_cvt_f32_f16_e32 v2, v4
	v_cvt_f32_f16_sdwa v13, v5 dst_sel:DWORD dst_unused:UNUSED_PAD src0_sel:WORD_1
	v_cvt_f32_f16_e32 v12, v5
	;;#ASMSTART
	v_pk_mul_f32 v[30:31], v[30:31], v[6:7]
	;;#ASMEND
	;;#ASMSTART
	v_pk_mul_f32 v[26:27], v[26:27], v[8:9]
	;;#ASMEND
	;;#ASMSTART
	v_pk_mul_f32 v[22:23], v[22:23], v[2:3]
	;;#ASMEND
	;;#ASMSTART
	v_pk_mul_f32 v[20:21], v[10:11], v[12:13]
	;;#ASMEND
.LBB59_9:
	s_or_b64 exec, exec, s[20:21]
	s_load_dwordx2 s[28:29], s[4:5], 0x7c
	s_mov_b64 s[20:21], -1
	s_and_b64 vcc, exec, s[10:11]
	s_cbranch_vccnz .LBB59_13
; %bb.10:
	s_andn2_b64 vcc, exec, s[20:21]
	s_cbranch_vccz .LBB59_16
.LBB59_11:
	s_cmp_lt_i32 s16, 1
	s_cbranch_scc0 .LBB59_27
.LBB59_12:
	s_endpgm
.LBB59_13:
	s_and_saveexec_b64 s[10:11], s[2:3]
	s_cbranch_execz .LBB59_15
; %bb.14:
	s_waitcnt lgkmcnt(0)
	s_mul_hi_i32 s21, s29, s6
	s_mul_i32 s20, s29, s6
	s_waitcnt vmcnt(0)
	v_cvt_f16_f32_e32 v2, v18
	v_cvt_f16_f32_e32 v3, v32
	;; [unrolled: 1-line block ×8, first 2 shown]
	s_lshl_b64 s[20:21], s[20:21], 1
	s_add_u32 s20, s24, s20
	s_addc_u32 s7, s25, s21
	s_and_b32 s21, s7, 0xffff
	s_mov_b32 s23, 0x20000
	v_pack_b32_f16 v5, v5, v6
	v_pack_b32_f16 v4, v4, v7
	;; [unrolled: 1-line block ×4, first 2 shown]
	v_lshlrev_b32_e32 v6, 1, v1
	buffer_store_dwordx4 v[2:5], v6, s[20:23], 0 offen
	v_cvt_f16_f32_e32 v7, v21
	v_cvt_f16_f32_e32 v2, v30
	;; [unrolled: 1-line block ×8, first 2 shown]
	v_pack_b32_f16 v5, v5, v7
	v_pack_b32_f16 v4, v4, v8
	;; [unrolled: 1-line block ×4, first 2 shown]
	s_movk_i32 s7, 0x400
	;;#ASMSTART
	s_nop 0
	;;#ASMEND
	buffer_store_dwordx4 v[2:5], v6, s[20:23], s7 offen
	;;#ASMSTART
	s_nop 0
	;;#ASMEND
.LBB59_15:
	s_or_b64 exec, exec, s[10:11]
	s_cbranch_execnz .LBB59_11
.LBB59_16:
	s_waitcnt vmcnt(0)
	v_mov_b32_e32 v2, 0
	s_and_saveexec_b64 s[10:11], s[2:3]
	s_cbranch_execz .LBB59_18
; %bb.17:
	s_load_dwordx2 s[20:21], s[4:5], 0x10
	s_waitcnt lgkmcnt(0)
	s_mul_hi_i32 s31, s28, s6
	s_mul_i32 s30, s28, s6
	v_cvt_f16_f32_e32 v2, v18
	v_cvt_f16_f32_e32 v3, v32
	;; [unrolled: 1-line block ×8, first 2 shown]
	s_lshl_b64 s[30:31], s[30:31], 1
	s_add_u32 s20, s20, s30
	s_addc_u32 s7, s21, s31
	s_mov_b32 s23, 0x20000
	s_and_b32 s21, s7, 0xffff
	v_pack_b32_f16 v5, v5, v6
	v_pack_b32_f16 v4, v4, v7
	;; [unrolled: 1-line block ×4, first 2 shown]
	v_lshlrev_b32_e32 v6, 1, v1
	buffer_store_dwordx4 v[2:5], v6, s[20:23], 0 offen
	v_cvt_f16_f32_e32 v7, v21
	v_cvt_f16_f32_e32 v2, v30
	;; [unrolled: 1-line block ×8, first 2 shown]
	v_pack_b32_f16 v5, v5, v7
	v_pack_b32_f16 v4, v4, v8
	;; [unrolled: 1-line block ×4, first 2 shown]
	s_movk_i32 s7, 0x400
	;;#ASMSTART
	s_nop 0
	;;#ASMEND
	buffer_store_dwordx4 v[2:5], v6, s[20:23], s7 offen
	v_mov_b32_e32 v2, 0x2edbe6ff
	;;#ASMSTART
	s_nop 0
	;;#ASMEND
.LBB59_18:
	s_or_b64 exec, exec, s[10:11]
	s_and_saveexec_b64 s[10:11], s[2:3]
	s_cbranch_execz .LBB59_20
; %bb.19:
	v_and_b32_e32 v3, 0x7fffffff, v18
	v_and_b32_e32 v4, 0x7fffffff, v19
	;;#ASMSTART
	v_max3_f32 v2, v2, v3, v4

	;;#ASMEND
	v_and_b32_e32 v3, 0x7fffffff, v32
	v_and_b32_e32 v4, 0x7fffffff, v33
	;;#ASMSTART
	v_max3_f32 v2, v2, v3, v4

	;;#ASMEND
	;; [unrolled: 6-line block ×8, first 2 shown]
.LBB59_20:
	s_or_b64 exec, exec, s[10:11]
	s_nop 0
	v_mov_b32_dpp v3, v2 quad_perm:[1,0,3,2] row_mask:0xf bank_mask:0xf
	v_cmp_gt_f32_e32 vcc, v2, v3
	v_cndmask_b32_e32 v2, v3, v2, vcc
	s_nop 1
	v_mov_b32_dpp v3, v2 quad_perm:[2,3,0,1] row_mask:0xf bank_mask:0xf
	v_cmp_gt_f32_e32 vcc, v2, v3
	v_cndmask_b32_e32 v2, v3, v2, vcc
	s_nop 1
	v_mov_b32_dpp v3, v2 row_half_mirror row_mask:0xf bank_mask:0xf
	v_cmp_gt_f32_e32 vcc, v2, v3
	v_cndmask_b32_e32 v2, v3, v2, vcc
	s_nop 1
	v_mov_b32_dpp v3, v2 row_mirror row_mask:0xf bank_mask:0xf
	v_cmp_gt_f32_e32 vcc, v2, v3
	v_cndmask_b32_e32 v2, v3, v2, vcc
	s_nop 1
	v_mov_b32_dpp v3, v2 row_bcast:15 row_mask:0xf bank_mask:0xf
	v_cmp_gt_f32_e32 vcc, v2, v3
	v_cndmask_b32_e32 v2, v3, v2, vcc
	s_nop 1
	v_mov_b32_dpp v3, v2 row_bcast:31 row_mask:0xf bank_mask:0xf
	s_and_saveexec_b64 s[10:11], s[0:1]
	s_cbranch_execz .LBB59_22
; %bb.21:
	v_cmp_gt_f32_e32 vcc, v2, v3
	v_cndmask_b32_e32 v2, v3, v2, vcc
	v_lshrrev_b32_e32 v3, 4, v0
	v_and_b32_e32 v3, 60, v3
	ds_write_b32 v3, v2
.LBB59_22:
	s_or_b64 exec, exec, s[10:11]
	s_waitcnt lgkmcnt(0)
	s_barrier
	ds_read_b32 v2, v34
	s_load_dwordx2 s[20:21], s[4:5], 0x70
	s_waitcnt lgkmcnt(0)
	v_mov_b32_dpp v3, v2 quad_perm:[1,0,3,2] row_mask:0xf bank_mask:0xf
	v_cmp_gt_f32_e32 vcc, v2, v3
	v_cndmask_b32_e32 v2, v3, v2, vcc
	s_nop 1
	v_mov_b32_dpp v3, v2 quad_perm:[2,3,0,1] row_mask:0xf bank_mask:0xf
	v_cmp_gt_f32_e32 vcc, v2, v3
	v_cndmask_b32_e32 v2, v3, v2, vcc
	v_mul_f32_e32 v2, 0x3b124925, v2
	v_cmp_eq_u32_e32 vcc, 0, v0
	s_and_saveexec_b64 s[10:11], vcc
	s_cbranch_execz .LBB59_24
; %bb.23:
	s_load_dwordx2 s[22:23], s[4:5], 0x8
	s_mul_hi_i32 s31, s21, s6
	s_mul_i32 s30, s21, s6
	s_lshl_b64 s[30:31], s[30:31], 2
	v_mov_b32_e32 v3, 0
	s_waitcnt lgkmcnt(0)
	s_add_u32 s22, s22, s30
	s_addc_u32 s23, s23, s31
	global_store_dword v3, v2, s[22:23]
.LBB59_24:
	s_or_b64 exec, exec, s[10:11]
	;;#ASMSTART
	v_rcp_f32 v2, v2
	;;#ASMEND
	s_and_saveexec_b64 s[10:11], s[2:3]
	s_cbranch_execz .LBB59_26
; %bb.25:
	s_load_dwordx2 s[2:3], s[4:5], 0x0
	s_mul_i32 s12, s20, s6
	s_mul_hi_i32 s7, s20, s6
	v_mov_b32_e32 v3, v2
	;;#ASMSTART
	v_pk_mul_f32 v[4:5], v[18:19], v[2:3]
	;;#ASMEND
	s_waitcnt lgkmcnt(0)
	s_add_u32 s20, s2, s12
	s_addc_u32 s2, s3, s7
	s_add_i32 s3, s15, 3
	s_ashr_i32 s7, s3, 31
	v_mov_b32_e32 v8, 0xc3e00000
	v_mov_b32_e32 v9, 0x43e00000
	;;#ASMSTART
	v_med3_f32 v4, v4, v8, v9
v_med3_f32 v5, v5, v8, v9
v_cvt_pk_fp8_f32 v6, v4, v5
	;;#ASMEND
	s_lshr_b32 s7, s7, 30
	;;#ASMSTART
	v_pk_mul_f32 v[4:5], v[32:33], v[2:3]
	;;#ASMEND
	s_add_i32 s3, s3, s7
	s_and_b32 s21, s2, 0xffff
	;;#ASMSTART
	v_med3_f32 v4, v4, v8, v9
v_med3_f32 v5, v5, v8, v9
v_cvt_pk_fp8_f32 v7, v4, v5
	;;#ASMEND
	s_mov_b32 s2, 0x5040100
	s_and_b32 s22, s3, -4
	v_perm_b32 v5, v7, v6, s2
	s_movk_i32 s3, 0xff
	v_and_b32_e32 v4, 0xffffff00, v7
	v_and_b32_sdwa v6, v5, s3 dst_sel:DWORD dst_unused:UNUSED_PAD src0_sel:WORD_1 src1_sel:DWORD
	s_mov_b32 s14, 0xffff
	v_or_b32_sdwa v4, v6, v4 dst_sel:WORD_1 dst_unused:UNUSED_PAD src0_sel:DWORD src1_sel:DWORD
	v_and_or_b32 v4, v5, s14, v4
	;;#ASMSTART
	v_pk_mul_f32 v[6:7], v[28:29], v[2:3]
	;;#ASMEND
	v_mov_b32_e32 v5, v6
	;;#ASMSTART
	v_med3_f32 v5, v5, v8, v9
v_med3_f32 v7, v7, v8, v9
v_cvt_pk_fp8_f32 v10, v5, v7
	;;#ASMEND
	;;#ASMSTART
	v_pk_mul_f32 v[6:7], v[24:25], v[2:3]
	;;#ASMEND
	v_mov_b32_e32 v5, v7
	;;#ASMSTART
	v_med3_f32 v6, v6, v8, v9
v_med3_f32 v5, v5, v8, v9
v_cvt_pk_fp8_f32 v7, v6, v5
	;;#ASMEND
	v_lshlrev_b32_e32 v5, 16, v7
	s_mov_b32 s23, 0x20000
	v_and_or_b32 v5, v10, s14, v5
	buffer_store_dwordx2 v[4:5], v1, s[20:23], 0 offen
	;;#ASMSTART
	s_nop 0
	;;#ASMEND
	;;#ASMSTART
	v_pk_mul_f32 v[4:5], v[30:31], v[2:3]
	;;#ASMEND
	;;#ASMSTART
	v_med3_f32 v4, v4, v8, v9
v_med3_f32 v5, v5, v8, v9
v_cvt_pk_fp8_f32 v6, v4, v5
	;;#ASMEND
	;;#ASMSTART
	v_pk_mul_f32 v[4:5], v[26:27], v[2:3]
	;;#ASMEND
	;;#ASMSTART
	v_med3_f32 v4, v4, v8, v9
v_med3_f32 v5, v5, v8, v9
v_cvt_pk_fp8_f32 v7, v4, v5
	;;#ASMEND
	v_perm_b32 v5, v7, v6, s2
	v_and_b32_e32 v4, 0xffffff00, v7
	v_and_b32_sdwa v6, v5, s3 dst_sel:DWORD dst_unused:UNUSED_PAD src0_sel:WORD_1 src1_sel:DWORD
	v_or_b32_sdwa v4, v6, v4 dst_sel:WORD_1 dst_unused:UNUSED_PAD src0_sel:DWORD src1_sel:DWORD
	v_and_or_b32 v4, v5, s14, v4
	;;#ASMSTART
	v_pk_mul_f32 v[6:7], v[22:23], v[2:3]
	;;#ASMEND
	v_mov_b32_e32 v5, v6
	;;#ASMSTART
	v_med3_f32 v5, v5, v8, v9
v_med3_f32 v7, v7, v8, v9
v_cvt_pk_fp8_f32 v6, v5, v7
	;;#ASMEND
	;;#ASMSTART
	v_pk_mul_f32 v[2:3], v[20:21], v[2:3]
	;;#ASMEND
	;;#ASMSTART
	v_med3_f32 v2, v2, v8, v9
v_med3_f32 v3, v3, v8, v9
v_cvt_pk_fp8_f32 v5, v2, v3
	;;#ASMEND
	v_lshlrev_b32_e32 v2, 16, v5
	v_and_or_b32 v5, v6, s14, v2
	s_movk_i32 s2, 0x200
	buffer_store_dwordx2 v[4:5], v1, s[20:23], s2 offen
	;;#ASMSTART
	s_nop 0
	;;#ASMEND
.LBB59_26:
	s_or_b64 exec, exec, s[10:11]
	s_cmp_lt_i32 s16, 1
	s_cbranch_scc1 .LBB59_12
.LBB59_27:
	s_load_dword s2, s[4:5], 0x94
	s_waitcnt lgkmcnt(0)
	s_cmp_lg_u32 s2, 1
	s_cbranch_scc1 .LBB59_12
; %bb.28:
	s_lshl_b32 s2, s16, 1
	s_add_i32 s2, s2, 2
	v_cmp_gt_u32_e32 vcc, s16, v1
	s_and_b32 s10, s2, -4
	v_mov_b32_e32 v18, 0
	v_lshlrev_b32_e32 v1, 1, v1
	v_mov_b32_e32 v14, 0
	v_mov_b32_e32 v15, 0
	;; [unrolled: 1-line block ×8, first 2 shown]
	s_waitcnt vmcnt(1)
	v_mov_b32_e32 v6, 0
	v_mov_b32_e32 v7, 0
	;; [unrolled: 1-line block ×4, first 2 shown]
	s_waitcnt vmcnt(0)
	v_mov_b32_e32 v2, 0
	v_mov_b32_e32 v3, 0
	;; [unrolled: 1-line block ×4, first 2 shown]
	s_barrier
	s_and_saveexec_b64 s[2:3], vcc
	s_cbranch_execz .LBB59_30
; %bb.29:
	s_mul_hi_i32 s5, s18, s6
	s_mul_i32 s4, s18, s6
	s_and_b32 s9, s9, 0xffff
	s_lshl_b64 s[4:5], s[4:5], 1
	s_add_u32 s20, s26, s4
	s_mov_b32 s11, 0x20000
	s_addc_u32 s4, s27, s5
	s_and_b32 s21, s4, 0xffff
	s_mov_b32 s22, s10
	s_mov_b32 s23, s11
	s_movk_i32 s4, 0x400
	buffer_load_dwordx4 v[14:17], v1, s[20:23], 0 offen glc slc
	buffer_load_dwordx4 v[10:13], v1, s[20:23], s4 offen glc slc
	buffer_load_dwordx4 v[6:9], v1, s[8:11], 0 offen
	buffer_load_dwordx4 v[2:5], v1, s[8:11], s4 offen
.LBB59_30:
	s_or_b64 exec, exec, s[2:3]
	v_mov_b32_e32 v19, 0
	v_mov_b32_e32 v32, 0
	;; [unrolled: 1-line block ×15, first 2 shown]
	s_and_saveexec_b64 s[2:3], vcc
	s_cbranch_execz .LBB59_32
; %bb.31:
	s_waitcnt vmcnt(3)
	v_cvt_f32_f16_sdwa v19, v14 dst_sel:DWORD dst_unused:UNUSED_PAD src0_sel:WORD_1
	v_cvt_f32_f16_e32 v18, v14
	v_cvt_f32_f16_sdwa v33, v15 dst_sel:DWORD dst_unused:UNUSED_PAD src0_sel:WORD_1
	v_cvt_f32_f16_e32 v32, v15
	;; [unrolled: 2-line block ×4, first 2 shown]
	s_waitcnt vmcnt(2)
	v_cvt_f32_f16_sdwa v27, v10 dst_sel:DWORD dst_unused:UNUSED_PAD src0_sel:WORD_1
	v_cvt_f32_f16_e32 v26, v10
	v_cvt_f32_f16_sdwa v25, v11 dst_sel:DWORD dst_unused:UNUSED_PAD src0_sel:WORD_1
	v_cvt_f32_f16_e32 v24, v11
	;; [unrolled: 2-line block ×4, first 2 shown]
.LBB59_32:
	s_or_b64 exec, exec, s[2:3]
	s_waitcnt vmcnt(2)
	v_mul_f32_e32 v10, v19, v19
	v_fmac_f32_e32 v10, v18, v18
	v_fmac_f32_e32 v10, v32, v32
	;; [unrolled: 1-line block ×15, first 2 shown]
	s_nop 1
	v_mov_b32_dpp v11, v10 quad_perm:[1,0,3,2] row_mask:0xf bank_mask:0xf
	v_add_f32_e32 v10, v10, v11
	s_nop 1
	v_mov_b32_dpp v11, v10 quad_perm:[2,3,0,1] row_mask:0xf bank_mask:0xf
	v_add_f32_e32 v10, v10, v11
	s_nop 1
	v_mov_b32_dpp v11, v10 row_half_mirror row_mask:0xf bank_mask:0xf
	v_add_f32_e32 v10, v10, v11
	s_nop 1
	v_mov_b32_dpp v11, v10 row_mirror row_mask:0xf bank_mask:0xf
	v_add_f32_e32 v10, v10, v11
	s_nop 1
	v_mov_b32_dpp v11, v10 row_bcast:15 row_mask:0xf bank_mask:0xf
	v_add_f32_e32 v10, v10, v11
	s_nop 1
	v_mov_b32_dpp v11, v10 row_bcast:31 row_mask:0xf bank_mask:0xf
	s_and_saveexec_b64 s[2:3], s[0:1]
	s_cbranch_execz .LBB59_34
; %bb.33:
	v_lshrrev_b32_e32 v0, 4, v0
	v_add_f32_e32 v10, v10, v11
	v_and_b32_e32 v0, 60, v0
	ds_write_b32 v0, v10 offset:16
.LBB59_34:
	s_or_b64 exec, exec, s[2:3]
	s_waitcnt lgkmcnt(0)
	s_barrier
	ds_read_b32 v0, v34 offset:16
	s_waitcnt lgkmcnt(0)
	s_nop 0
	v_mov_b32_dpp v10, v0 quad_perm:[1,0,3,2] row_mask:0xf bank_mask:0xf
	v_add_f32_e32 v0, v0, v10
	s_nop 1
	v_mov_b32_dpp v10, v0 quad_perm:[2,3,0,1] row_mask:0xf bank_mask:0xf
	s_and_saveexec_b64 s[0:1], vcc
	s_cbranch_execz .LBB59_12
; %bb.35:
	v_cvt_f32_u32_e32 v11, s16
	v_add_f32_e32 v0, v0, v10
	s_mov_b32 s11, 0x20000
	v_div_scale_f32 v10, s[0:1], v11, v11, v0
	v_rcp_f32_e32 v12, v10
	v_div_scale_f32 v13, vcc, v0, v11, v0
	s_mov_b32 s0, 0x800000
	v_fma_f32 v14, -v10, v12, 1.0
	v_fmac_f32_e32 v12, v14, v12
	v_mul_f32_e32 v14, v13, v12
	v_fma_f32 v15, -v10, v14, v13
	v_fmac_f32_e32 v14, v15, v12
	v_fma_f32 v10, -v10, v14, v13
	v_div_fmas_f32 v10, v10, v12, v14
	v_div_fixup_f32 v0, v10, v11, v0
	v_add_f32_e32 v0, s13, v0
	v_mul_f32_e32 v10, 0x4b800000, v0
	v_cmp_gt_f32_e32 vcc, s0, v0
	v_cndmask_b32_e32 v0, v0, v10, vcc
	v_rsq_f32_e32 v0, v0
	s_mul_hi_i32 s1, s29, s6
	s_mul_i32 s0, s29, s6
	s_lshl_b64 s[0:1], s[0:1], 1
	v_mul_f32_e32 v10, 0x45800000, v0
	v_cndmask_b32_e32 v10, v0, v10, vcc
	v_mov_b32_e32 v11, v10
	;;#ASMSTART
	v_pk_mul_f32 v[12:13], v[18:19], v[10:11]
	;;#ASMEND
	;;#ASMSTART
	v_pk_mul_f32 v[14:15], v[32:33], v[10:11]
	;;#ASMEND
	;; [unrolled: 3-line block ×8, first 2 shown]
	s_waitcnt vmcnt(1)
	v_cvt_f32_f16_sdwa v21, v6 dst_sel:DWORD dst_unused:UNUSED_PAD src0_sel:WORD_1
	v_cvt_f32_f16_e32 v20, v6
	v_cvt_f32_f16_sdwa v29, v7 dst_sel:DWORD dst_unused:UNUSED_PAD src0_sel:WORD_1
	v_cvt_f32_f16_e32 v28, v7
	;; [unrolled: 2-line block ×4, first 2 shown]
	;;#ASMSTART
	v_pk_mul_f32 v[8:9], v[12:13], v[20:21]
	;;#ASMEND
	;;#ASMSTART
	v_pk_mul_f32 v[12:13], v[14:15], v[28:29]
	;;#ASMEND
	;; [unrolled: 3-line block ×4, first 2 shown]
	s_waitcnt vmcnt(0)
	v_cvt_f32_f16_sdwa v17, v2 dst_sel:DWORD dst_unused:UNUSED_PAD src0_sel:WORD_1
	v_cvt_f32_f16_e32 v16, v2
	v_cvt_f32_f16_sdwa v19, v3 dst_sel:DWORD dst_unused:UNUSED_PAD src0_sel:WORD_1
	v_cvt_f32_f16_e32 v18, v3
	;; [unrolled: 2-line block ×4, first 2 shown]
	;;#ASMSTART
	v_pk_mul_f32 v[16:17], v[26:27], v[16:17]
	;;#ASMEND
	;;#ASMSTART
	v_pk_mul_f32 v[18:19], v[24:25], v[18:19]
	;;#ASMEND
	;; [unrolled: 3-line block ×3, first 2 shown]
	v_cvt_f16_f32_e32 v0, v8
	v_cvt_f16_f32_e32 v2, v9
	;; [unrolled: 1-line block ×8, first 2 shown]
	s_add_u32 s8, s24, s0
	s_addc_u32 s0, s25, s1
	s_and_b32 s9, s0, 0xffff
	v_pack_b32_f16 v2, v0, v2
	v_pack_b32_f16 v3, v3, v4
	;; [unrolled: 1-line block ×4, first 2 shown]
	;;#ASMSTART
	v_pk_mul_f32 v[10:11], v[10:11], v[20:21]
	;;#ASMEND
	buffer_store_dwordx4 v[2:5], v1, s[8:11], 0 offen
	v_cvt_f16_f32_e32 v0, v16
	v_cvt_f16_f32_e32 v2, v17
	;; [unrolled: 1-line block ×8, first 2 shown]
	v_pack_b32_f16 v2, v0, v2
	v_pack_b32_f16 v3, v3, v4
	;; [unrolled: 1-line block ×4, first 2 shown]
	s_movk_i32 s0, 0x400
	;;#ASMSTART
	s_nop 0
	;;#ASMEND
	buffer_store_dwordx4 v[2:5], v1, s[8:11], s0 offen
	;;#ASMSTART
	s_nop 0
	;;#ASMEND
	s_endpgm
	.section	.rodata,"a",@progbits
	.p2align	6, 0x0
	.amdhsa_kernel _ZN5aiter35fused_qk_rmsnorm_group_quant_kernelIDF16_DB8_Li256ELi16ELi1ELb0ELb1ELb0ELb0ELb1ELb1EEEvPT0_PvPT_S6_S6_PKS5_S8_S8_S8_S8_ffiiiiiiiiiiiii
		.amdhsa_group_segment_fixed_size 48
		.amdhsa_private_segment_fixed_size 0
		.amdhsa_kernarg_size 400
		.amdhsa_user_sgpr_count 6
		.amdhsa_user_sgpr_private_segment_buffer 1
		.amdhsa_user_sgpr_dispatch_ptr 0
		.amdhsa_user_sgpr_queue_ptr 0
		.amdhsa_user_sgpr_kernarg_segment_ptr 1
		.amdhsa_user_sgpr_dispatch_id 0
		.amdhsa_user_sgpr_flat_scratch_init 0
		.amdhsa_user_sgpr_kernarg_preload_length 0
		.amdhsa_user_sgpr_kernarg_preload_offset 0
		.amdhsa_user_sgpr_private_segment_size 0
		.amdhsa_uses_dynamic_stack 0
		.amdhsa_system_sgpr_private_segment_wavefront_offset 0
		.amdhsa_system_sgpr_workgroup_id_x 1
		.amdhsa_system_sgpr_workgroup_id_y 1
		.amdhsa_system_sgpr_workgroup_id_z 0
		.amdhsa_system_sgpr_workgroup_info 0
		.amdhsa_system_vgpr_workitem_id 0
		.amdhsa_next_free_vgpr 38
		.amdhsa_next_free_sgpr 32
		.amdhsa_accum_offset 40
		.amdhsa_reserve_vcc 1
		.amdhsa_reserve_flat_scratch 0
		.amdhsa_float_round_mode_32 0
		.amdhsa_float_round_mode_16_64 0
		.amdhsa_float_denorm_mode_32 3
		.amdhsa_float_denorm_mode_16_64 3
		.amdhsa_dx10_clamp 1
		.amdhsa_ieee_mode 1
		.amdhsa_fp16_overflow 0
		.amdhsa_tg_split 0
		.amdhsa_exception_fp_ieee_invalid_op 0
		.amdhsa_exception_fp_denorm_src 0
		.amdhsa_exception_fp_ieee_div_zero 0
		.amdhsa_exception_fp_ieee_overflow 0
		.amdhsa_exception_fp_ieee_underflow 0
		.amdhsa_exception_fp_ieee_inexact 0
		.amdhsa_exception_int_div_zero 0
	.end_amdhsa_kernel
	.section	.text._ZN5aiter35fused_qk_rmsnorm_group_quant_kernelIDF16_DB8_Li256ELi16ELi1ELb0ELb1ELb0ELb0ELb1ELb1EEEvPT0_PvPT_S6_S6_PKS5_S8_S8_S8_S8_ffiiiiiiiiiiiii,"axG",@progbits,_ZN5aiter35fused_qk_rmsnorm_group_quant_kernelIDF16_DB8_Li256ELi16ELi1ELb0ELb1ELb0ELb0ELb1ELb1EEEvPT0_PvPT_S6_S6_PKS5_S8_S8_S8_S8_ffiiiiiiiiiiiii,comdat
.Lfunc_end59:
	.size	_ZN5aiter35fused_qk_rmsnorm_group_quant_kernelIDF16_DB8_Li256ELi16ELi1ELb0ELb1ELb0ELb0ELb1ELb1EEEvPT0_PvPT_S6_S6_PKS5_S8_S8_S8_S8_ffiiiiiiiiiiiii, .Lfunc_end59-_ZN5aiter35fused_qk_rmsnorm_group_quant_kernelIDF16_DB8_Li256ELi16ELi1ELb0ELb1ELb0ELb0ELb1ELb1EEEvPT0_PvPT_S6_S6_PKS5_S8_S8_S8_S8_ffiiiiiiiiiiiii
                                        ; -- End function
	.section	.AMDGPU.csdata,"",@progbits
; Kernel info:
; codeLenInByte = 3912
; NumSgprs: 36
; NumVgprs: 38
; NumAgprs: 0
; TotalNumVgprs: 38
; ScratchSize: 0
; MemoryBound: 0
; FloatMode: 240
; IeeeMode: 1
; LDSByteSize: 48 bytes/workgroup (compile time only)
; SGPRBlocks: 4
; VGPRBlocks: 4
; NumSGPRsForWavesPerEU: 36
; NumVGPRsForWavesPerEU: 38
; AccumOffset: 40
; Occupancy: 8
; WaveLimiterHint : 0
; COMPUTE_PGM_RSRC2:SCRATCH_EN: 0
; COMPUTE_PGM_RSRC2:USER_SGPR: 6
; COMPUTE_PGM_RSRC2:TRAP_HANDLER: 0
; COMPUTE_PGM_RSRC2:TGID_X_EN: 1
; COMPUTE_PGM_RSRC2:TGID_Y_EN: 1
; COMPUTE_PGM_RSRC2:TGID_Z_EN: 0
; COMPUTE_PGM_RSRC2:TIDIG_COMP_CNT: 0
; COMPUTE_PGM_RSRC3_GFX90A:ACCUM_OFFSET: 9
; COMPUTE_PGM_RSRC3_GFX90A:TG_SPLIT: 0
	.section	.text._ZN5aiter35fused_qk_rmsnorm_group_quant_kernelItDB8_Li256ELi16ELi1ELb0ELb1ELb0ELb0ELb1ELb1EEEvPT0_PvPT_S6_S6_PKS5_S8_S8_S8_S8_ffiiiiiiiiiiiii,"axG",@progbits,_ZN5aiter35fused_qk_rmsnorm_group_quant_kernelItDB8_Li256ELi16ELi1ELb0ELb1ELb0ELb0ELb1ELb1EEEvPT0_PvPT_S6_S6_PKS5_S8_S8_S8_S8_ffiiiiiiiiiiiii,comdat
	.protected	_ZN5aiter35fused_qk_rmsnorm_group_quant_kernelItDB8_Li256ELi16ELi1ELb0ELb1ELb0ELb0ELb1ELb1EEEvPT0_PvPT_S6_S6_PKS5_S8_S8_S8_S8_ffiiiiiiiiiiiii ; -- Begin function _ZN5aiter35fused_qk_rmsnorm_group_quant_kernelItDB8_Li256ELi16ELi1ELb0ELb1ELb0ELb0ELb1ELb1EEEvPT0_PvPT_S6_S6_PKS5_S8_S8_S8_S8_ffiiiiiiiiiiiii
	.globl	_ZN5aiter35fused_qk_rmsnorm_group_quant_kernelItDB8_Li256ELi16ELi1ELb0ELb1ELb0ELb0ELb1ELb1EEEvPT0_PvPT_S6_S6_PKS5_S8_S8_S8_S8_ffiiiiiiiiiiiii
	.p2align	8
	.type	_ZN5aiter35fused_qk_rmsnorm_group_quant_kernelItDB8_Li256ELi16ELi1ELb0ELb1ELb0ELb0ELb1ELb1EEEvPT0_PvPT_S6_S6_PKS5_S8_S8_S8_S8_ffiiiiiiiiiiiii,@function
_ZN5aiter35fused_qk_rmsnorm_group_quant_kernelItDB8_Li256ELi16ELi1ELb0ELb1ELb0ELb0ELb1ELb1EEEvPT0_PvPT_S6_S6_PKS5_S8_S8_S8_S8_ffiiiiiiiiiiiii: ; @_ZN5aiter35fused_qk_rmsnorm_group_quant_kernelItDB8_Li256ELi16ELi1ELb0ELb1ELb0ELb0ELb1ELb1EEEvPT0_PvPT_S6_S6_PKS5_S8_S8_S8_S8_ffiiiiiiiiiiiii
; %bb.0:
	s_load_dwordx4 s[12:15], s[4:5], 0x50
	s_waitcnt lgkmcnt(0)
	s_cmp_ge_i32 s6, s14
	s_cbranch_scc1 .LBB60_12
; %bb.1:
	s_load_dwordx2 s[8:9], s[4:5], 0x48
	s_load_dwordx2 s[26:27], s[4:5], 0x30
	s_load_dwordx4 s[16:19], s[4:5], 0x60
	s_cmp_lg_u32 s7, 0
	s_cselect_b64 s[10:11], -1, 0
	s_cmp_eq_u32 s7, 0
	s_cselect_b64 vcc, -1, 0
	s_and_b64 s[0:1], vcc, exec
	s_waitcnt lgkmcnt(0)
	s_cselect_b32 s7, s15, s16
	s_add_i32 s0, s7, 1
	s_lshr_b32 s1, s0, 31
	s_add_i32 s0, s0, s1
	s_lshl_b32 s0, s0, 1
	v_lshlrev_b32_e32 v2, 4, v0
	s_and_b32 s22, s0, -4
	v_lshlrev_b32_e32 v1, 3, v0
	v_and_b32_e32 v2, 0x3c00, v2
	s_movk_i32 s0, 0x1f8
	v_and_or_b32 v1, v1, s0, v2
	v_cmp_gt_i32_e64 s[2:3], s7, v1
	v_mov_b32_e32 v18, 0
	v_mov_b32_e32 v6, 0
	;; [unrolled: 1-line block ×17, first 2 shown]
	s_and_saveexec_b64 s[0:1], s[2:3]
	s_cbranch_execz .LBB60_3
; %bb.2:
	s_load_dwordx2 s[20:21], s[4:5], 0x28
	s_load_dwordx2 s[24:25], s[4:5], 0x40
	s_and_b64 s[28:29], vcc, exec
	s_cselect_b32 s14, s17, s18
	s_mov_b32 s23, 0x20000
	s_waitcnt lgkmcnt(0)
	s_cselect_b32 s17, s21, s27
	s_cselect_b32 s19, s20, s26
	s_mul_hi_i32 s21, s14, s6
	s_mul_i32 s20, s14, s6
	s_lshl_b64 s[20:21], s[20:21], 1
	s_add_u32 s28, s19, s20
	s_addc_u32 s14, s17, s21
	s_and_b64 s[20:21], vcc, exec
	s_cselect_b32 s20, s24, s8
	s_cselect_b32 s17, s25, s9
	s_and_b32 s29, s14, 0xffff
	s_mov_b32 s30, s22
	s_mov_b32 s31, s23
	v_lshlrev_b32_e32 v19, 1, v1
	s_and_b32 s21, s17, 0xffff
	s_movk_i32 s14, 0x400
	buffer_load_dwordx4 v[14:17], v19, s[28:31], 0 offen glc slc
	buffer_load_dwordx4 v[10:13], v19, s[28:31], s14 offen glc slc
	buffer_load_dwordx4 v[6:9], v19, s[20:23], 0 offen
	buffer_load_dwordx4 v[2:5], v19, s[20:23], s14 offen
.LBB60_3:
	s_or_b64 exec, exec, s[0:1]
	v_mov_b32_e32 v19, 0
	v_mov_b32_e32 v32, 0
	;; [unrolled: 1-line block ×15, first 2 shown]
	s_and_saveexec_b64 s[0:1], s[2:3]
	s_cbranch_execz .LBB60_5
; %bb.4:
	s_waitcnt vmcnt(3)
	v_cvt_f32_u32_sdwa v18, v14 dst_sel:DWORD dst_unused:UNUSED_PAD src0_sel:WORD_0
	v_cvt_f32_u32_sdwa v19, v14 dst_sel:DWORD dst_unused:UNUSED_PAD src0_sel:WORD_1
	v_cvt_f32_u32_sdwa v32, v15 dst_sel:DWORD dst_unused:UNUSED_PAD src0_sel:WORD_0
	v_cvt_f32_u32_sdwa v33, v15 dst_sel:DWORD dst_unused:UNUSED_PAD src0_sel:WORD_1
	;; [unrolled: 2-line block ×4, first 2 shown]
	s_waitcnt vmcnt(2)
	v_cvt_f32_u32_sdwa v30, v10 dst_sel:DWORD dst_unused:UNUSED_PAD src0_sel:WORD_0
	v_cvt_f32_u32_sdwa v31, v10 dst_sel:DWORD dst_unused:UNUSED_PAD src0_sel:WORD_1
	v_cvt_f32_u32_sdwa v26, v11 dst_sel:DWORD dst_unused:UNUSED_PAD src0_sel:WORD_0
	v_cvt_f32_u32_sdwa v27, v11 dst_sel:DWORD dst_unused:UNUSED_PAD src0_sel:WORD_1
	;; [unrolled: 2-line block ×4, first 2 shown]
.LBB60_5:
	s_or_b64 exec, exec, s[0:1]
	s_waitcnt vmcnt(2)
	v_mul_f32_e32 v10, v19, v19
	v_fmac_f32_e32 v10, v18, v18
	v_fmac_f32_e32 v10, v32, v32
	;; [unrolled: 1-line block ×15, first 2 shown]
	v_and_b32_e32 v12, 63, v0
	v_cmp_eq_u32_e64 s[0:1], 63, v12
	v_mov_b32_dpp v11, v10 quad_perm:[1,0,3,2] row_mask:0xf bank_mask:0xf
	v_add_f32_e32 v10, v10, v11
	s_nop 1
	v_mov_b32_dpp v11, v10 quad_perm:[2,3,0,1] row_mask:0xf bank_mask:0xf
	v_add_f32_e32 v10, v10, v11
	s_nop 1
	v_mov_b32_dpp v11, v10 row_half_mirror row_mask:0xf bank_mask:0xf
	v_add_f32_e32 v10, v10, v11
	s_nop 1
	v_mov_b32_dpp v11, v10 row_mirror row_mask:0xf bank_mask:0xf
	v_add_f32_e32 v10, v10, v11
	s_nop 1
	v_mov_b32_dpp v11, v10 row_bcast:15 row_mask:0xf bank_mask:0xf
	v_add_f32_e32 v10, v10, v11
	s_nop 1
	v_mov_b32_dpp v11, v10 row_bcast:31 row_mask:0xf bank_mask:0xf
	s_and_saveexec_b64 s[20:21], s[0:1]
	s_cbranch_execz .LBB60_7
; %bb.6:
	v_add_f32_e32 v10, v10, v11
	v_lshrrev_b32_e32 v11, 4, v0
	v_and_b32_e32 v11, 60, v11
	ds_write_b32 v11, v10 offset:32
.LBB60_7:
	s_or_b64 exec, exec, s[20:21]
	v_and_b32_e32 v10, 3, v0
	v_lshlrev_b32_e32 v34, 2, v10
	s_waitcnt lgkmcnt(0)
	s_barrier
	ds_read_b32 v10, v34 offset:32
	s_load_dwordx2 s[24:25], s[4:5], 0x18
	s_waitcnt lgkmcnt(0)
	v_mov_b32_dpp v11, v10 quad_perm:[1,0,3,2] row_mask:0xf bank_mask:0xf
	v_add_f32_e32 v10, v10, v11
	s_nop 1
	v_mov_b32_dpp v11, v10 quad_perm:[2,3,0,1] row_mask:0xf bank_mask:0xf
	s_and_saveexec_b64 s[20:21], s[2:3]
	s_cbranch_execz .LBB60_9
; %bb.8:
	v_cvt_f32_u32_e32 v12, s7
	v_add_f32_e32 v10, v10, v11
	v_mov_b32_e32 v14, s13
	v_mov_b32_e32 v15, s12
	v_div_scale_f32 v11, s[28:29], v12, v12, v10
	v_rcp_f32_e32 v13, v11
	v_cndmask_b32_e32 v14, v14, v15, vcc
	s_mov_b32 s7, 0x800000
	s_waitcnt vmcnt(1)
	v_cvt_f32_u32_sdwa v37, v9 dst_sel:DWORD dst_unused:UNUSED_PAD src0_sel:WORD_1
	v_fma_f32 v15, -v11, v13, 1.0
	v_fmac_f32_e32 v13, v15, v13
	v_div_scale_f32 v15, vcc, v10, v12, v10
	v_mul_f32_e32 v16, v15, v13
	v_fma_f32 v17, -v11, v16, v15
	v_fmac_f32_e32 v16, v17, v13
	v_fma_f32 v11, -v11, v16, v15
	v_div_fmas_f32 v11, v11, v13, v16
	v_div_fixup_f32 v10, v11, v12, v10
	v_add_f32_e32 v10, v14, v10
	v_mul_f32_e32 v11, 0x4b800000, v10
	v_cmp_gt_f32_e32 vcc, s7, v10
	v_cndmask_b32_e32 v10, v10, v11, vcc
	v_rsq_f32_e32 v10, v10
	v_cvt_f32_u32_sdwa v36, v9 dst_sel:DWORD dst_unused:UNUSED_PAD src0_sel:WORD_0
	s_waitcnt vmcnt(0)
	v_cvt_f32_u32_sdwa v9, v3 dst_sel:DWORD dst_unused:UNUSED_PAD src0_sel:WORD_1
	v_mul_f32_e32 v11, 0x45800000, v10
	v_cndmask_b32_e32 v10, v10, v11, vcc
	v_mov_b32_e32 v11, v10
	;;#ASMSTART
	v_pk_mul_f32 v[12:13], v[18:19], v[10:11]
	;;#ASMEND
	;;#ASMSTART
	v_pk_mul_f32 v[14:15], v[32:33], v[10:11]
	;;#ASMEND
	;; [unrolled: 3-line block ×8, first 2 shown]
	v_cvt_f32_u32_sdwa v19, v6 dst_sel:DWORD dst_unused:UNUSED_PAD src0_sel:WORD_1
	v_cvt_f32_u32_sdwa v18, v6 dst_sel:DWORD dst_unused:UNUSED_PAD src0_sel:WORD_0
	v_cvt_f32_u32_sdwa v21, v7 dst_sel:DWORD dst_unused:UNUSED_PAD src0_sel:WORD_1
	v_cvt_f32_u32_sdwa v20, v7 dst_sel:DWORD dst_unused:UNUSED_PAD src0_sel:WORD_0
	;; [unrolled: 2-line block ×3, first 2 shown]
	;;#ASMSTART
	v_pk_mul_f32 v[18:19], v[12:13], v[18:19]
	;;#ASMEND
	;;#ASMSTART
	v_pk_mul_f32 v[32:33], v[14:15], v[20:21]
	;;#ASMEND
	;; [unrolled: 3-line block ×4, first 2 shown]
	v_cvt_f32_u32_sdwa v7, v2 dst_sel:DWORD dst_unused:UNUSED_PAD src0_sel:WORD_1
	v_cvt_f32_u32_sdwa v6, v2 dst_sel:DWORD dst_unused:UNUSED_PAD src0_sel:WORD_0
	v_cvt_f32_u32_sdwa v8, v3 dst_sel:DWORD dst_unused:UNUSED_PAD src0_sel:WORD_0
	v_cvt_f32_u32_sdwa v3, v4 dst_sel:DWORD dst_unused:UNUSED_PAD src0_sel:WORD_1
	v_cvt_f32_u32_sdwa v2, v4 dst_sel:DWORD dst_unused:UNUSED_PAD src0_sel:WORD_0
	v_cvt_f32_u32_sdwa v13, v5 dst_sel:DWORD dst_unused:UNUSED_PAD src0_sel:WORD_1
	v_cvt_f32_u32_sdwa v12, v5 dst_sel:DWORD dst_unused:UNUSED_PAD src0_sel:WORD_0
	;;#ASMSTART
	v_pk_mul_f32 v[30:31], v[30:31], v[6:7]
	;;#ASMEND
	;;#ASMSTART
	v_pk_mul_f32 v[26:27], v[26:27], v[8:9]
	;;#ASMEND
	;; [unrolled: 3-line block ×4, first 2 shown]
.LBB60_9:
	s_or_b64 exec, exec, s[20:21]
	s_load_dwordx2 s[28:29], s[4:5], 0x7c
	s_mov_b64 s[20:21], -1
	s_and_b64 vcc, exec, s[10:11]
	s_cbranch_vccnz .LBB60_13
; %bb.10:
	s_andn2_b64 vcc, exec, s[20:21]
	s_cbranch_vccz .LBB60_16
.LBB60_11:
	s_cmp_lt_i32 s16, 1
	s_cbranch_scc0 .LBB60_27
.LBB60_12:
	s_endpgm
.LBB60_13:
	s_and_saveexec_b64 s[10:11], s[2:3]
	s_cbranch_execz .LBB60_15
; %bb.14:
	s_waitcnt lgkmcnt(0)
	s_mul_hi_i32 s21, s29, s6
	s_mul_i32 s20, s29, s6
	s_lshl_b64 s[20:21], s[20:21], 1
	s_add_u32 s20, s24, s20
	s_addc_u32 s7, s25, s21
	s_and_b32 s21, s7, 0xffff
	s_mov_b32 s7, 0x7060302
	s_mov_b32 s23, 0x20000
	s_waitcnt vmcnt(0)
	v_perm_b32 v5, v25, v24, s7
	v_perm_b32 v4, v29, v28, s7
	;; [unrolled: 1-line block ×4, first 2 shown]
	v_lshlrev_b32_e32 v6, 1, v1
	buffer_store_dwordx4 v[2:5], v6, s[20:23], 0 offen
	;;#ASMSTART
	s_nop 0
	;;#ASMEND
	s_nop 0
	v_perm_b32 v5, v21, v20, s7
	v_perm_b32 v4, v23, v22, s7
	;; [unrolled: 1-line block ×4, first 2 shown]
	s_movk_i32 s7, 0x400
	buffer_store_dwordx4 v[2:5], v6, s[20:23], s7 offen
	;;#ASMSTART
	s_nop 0
	;;#ASMEND
.LBB60_15:
	s_or_b64 exec, exec, s[10:11]
	s_cbranch_execnz .LBB60_11
.LBB60_16:
	s_waitcnt vmcnt(0)
	v_mov_b32_e32 v2, 0
	s_and_saveexec_b64 s[10:11], s[2:3]
	s_cbranch_execz .LBB60_18
; %bb.17:
	s_load_dwordx2 s[20:21], s[4:5], 0x10
	s_waitcnt lgkmcnt(0)
	s_mul_hi_i32 s31, s28, s6
	s_mul_i32 s30, s28, s6
	s_lshl_b64 s[30:31], s[30:31], 1
	s_mov_b32 s23, 0x20000
	s_add_u32 s20, s20, s30
	s_addc_u32 s7, s21, s31
	s_and_b32 s21, s7, 0xffff
	s_mov_b32 s7, 0x7060302
	v_perm_b32 v5, v25, v24, s7
	v_perm_b32 v4, v29, v28, s7
	;; [unrolled: 1-line block ×4, first 2 shown]
	v_lshlrev_b32_e32 v6, 1, v1
	buffer_store_dwordx4 v[2:5], v6, s[20:23], 0 offen
	;;#ASMSTART
	s_nop 0
	;;#ASMEND
	s_nop 0
	v_perm_b32 v5, v21, v20, s7
	v_perm_b32 v4, v23, v22, s7
	;; [unrolled: 1-line block ×4, first 2 shown]
	s_movk_i32 s7, 0x400
	buffer_store_dwordx4 v[2:5], v6, s[20:23], s7 offen
	v_mov_b32_e32 v2, 0x2edbe6ff
	;;#ASMSTART
	s_nop 0
	;;#ASMEND
.LBB60_18:
	s_or_b64 exec, exec, s[10:11]
	s_and_saveexec_b64 s[10:11], s[2:3]
	s_cbranch_execz .LBB60_20
; %bb.19:
	v_and_b32_e32 v3, 0x7fffffff, v18
	v_and_b32_e32 v4, 0x7fffffff, v19
	;;#ASMSTART
	v_max3_f32 v2, v2, v3, v4

	;;#ASMEND
	v_and_b32_e32 v3, 0x7fffffff, v32
	v_and_b32_e32 v4, 0x7fffffff, v33
	;;#ASMSTART
	v_max3_f32 v2, v2, v3, v4

	;;#ASMEND
	;; [unrolled: 6-line block ×8, first 2 shown]
.LBB60_20:
	s_or_b64 exec, exec, s[10:11]
	s_nop 0
	v_mov_b32_dpp v3, v2 quad_perm:[1,0,3,2] row_mask:0xf bank_mask:0xf
	v_cmp_gt_f32_e32 vcc, v2, v3
	v_cndmask_b32_e32 v2, v3, v2, vcc
	s_nop 1
	v_mov_b32_dpp v3, v2 quad_perm:[2,3,0,1] row_mask:0xf bank_mask:0xf
	v_cmp_gt_f32_e32 vcc, v2, v3
	v_cndmask_b32_e32 v2, v3, v2, vcc
	s_nop 1
	v_mov_b32_dpp v3, v2 row_half_mirror row_mask:0xf bank_mask:0xf
	v_cmp_gt_f32_e32 vcc, v2, v3
	v_cndmask_b32_e32 v2, v3, v2, vcc
	s_nop 1
	v_mov_b32_dpp v3, v2 row_mirror row_mask:0xf bank_mask:0xf
	v_cmp_gt_f32_e32 vcc, v2, v3
	v_cndmask_b32_e32 v2, v3, v2, vcc
	s_nop 1
	v_mov_b32_dpp v3, v2 row_bcast:15 row_mask:0xf bank_mask:0xf
	v_cmp_gt_f32_e32 vcc, v2, v3
	v_cndmask_b32_e32 v2, v3, v2, vcc
	s_nop 1
	v_mov_b32_dpp v3, v2 row_bcast:31 row_mask:0xf bank_mask:0xf
	s_and_saveexec_b64 s[10:11], s[0:1]
	s_cbranch_execz .LBB60_22
; %bb.21:
	v_cmp_gt_f32_e32 vcc, v2, v3
	v_cndmask_b32_e32 v2, v3, v2, vcc
	v_lshrrev_b32_e32 v3, 4, v0
	v_and_b32_e32 v3, 60, v3
	ds_write_b32 v3, v2
.LBB60_22:
	s_or_b64 exec, exec, s[10:11]
	s_waitcnt lgkmcnt(0)
	s_barrier
	ds_read_b32 v2, v34
	s_load_dwordx2 s[20:21], s[4:5], 0x70
	s_waitcnt lgkmcnt(0)
	v_mov_b32_dpp v3, v2 quad_perm:[1,0,3,2] row_mask:0xf bank_mask:0xf
	v_cmp_gt_f32_e32 vcc, v2, v3
	v_cndmask_b32_e32 v2, v3, v2, vcc
	s_nop 1
	v_mov_b32_dpp v3, v2 quad_perm:[2,3,0,1] row_mask:0xf bank_mask:0xf
	v_cmp_gt_f32_e32 vcc, v2, v3
	v_cndmask_b32_e32 v2, v3, v2, vcc
	v_mul_f32_e32 v2, 0x3b124925, v2
	v_cmp_eq_u32_e32 vcc, 0, v0
	s_and_saveexec_b64 s[10:11], vcc
	s_cbranch_execz .LBB60_24
; %bb.23:
	s_load_dwordx2 s[22:23], s[4:5], 0x8
	s_mul_hi_i32 s31, s21, s6
	s_mul_i32 s30, s21, s6
	s_lshl_b64 s[30:31], s[30:31], 2
	v_mov_b32_e32 v3, 0
	s_waitcnt lgkmcnt(0)
	s_add_u32 s22, s22, s30
	s_addc_u32 s23, s23, s31
	global_store_dword v3, v2, s[22:23]
.LBB60_24:
	s_or_b64 exec, exec, s[10:11]
	;;#ASMSTART
	v_rcp_f32 v2, v2
	;;#ASMEND
	s_and_saveexec_b64 s[10:11], s[2:3]
	s_cbranch_execz .LBB60_26
; %bb.25:
	s_load_dwordx2 s[2:3], s[4:5], 0x0
	s_mul_i32 s12, s20, s6
	s_mul_hi_i32 s7, s20, s6
	v_mov_b32_e32 v3, v2
	;;#ASMSTART
	v_pk_mul_f32 v[4:5], v[18:19], v[2:3]
	;;#ASMEND
	s_waitcnt lgkmcnt(0)
	s_add_u32 s20, s2, s12
	s_addc_u32 s2, s3, s7
	s_add_i32 s3, s15, 3
	s_ashr_i32 s7, s3, 31
	v_mov_b32_e32 v8, 0xc3e00000
	v_mov_b32_e32 v9, 0x43e00000
	;;#ASMSTART
	v_med3_f32 v4, v4, v8, v9
v_med3_f32 v5, v5, v8, v9
v_cvt_pk_fp8_f32 v6, v4, v5
	;;#ASMEND
	s_lshr_b32 s7, s7, 30
	;;#ASMSTART
	v_pk_mul_f32 v[4:5], v[32:33], v[2:3]
	;;#ASMEND
	s_add_i32 s3, s3, s7
	s_and_b32 s21, s2, 0xffff
	;;#ASMSTART
	v_med3_f32 v4, v4, v8, v9
v_med3_f32 v5, v5, v8, v9
v_cvt_pk_fp8_f32 v7, v4, v5
	;;#ASMEND
	s_mov_b32 s2, 0x5040100
	s_and_b32 s22, s3, -4
	v_perm_b32 v5, v7, v6, s2
	s_movk_i32 s3, 0xff
	v_and_b32_e32 v4, 0xffffff00, v7
	v_and_b32_sdwa v6, v5, s3 dst_sel:DWORD dst_unused:UNUSED_PAD src0_sel:WORD_1 src1_sel:DWORD
	s_mov_b32 s14, 0xffff
	v_or_b32_sdwa v4, v6, v4 dst_sel:WORD_1 dst_unused:UNUSED_PAD src0_sel:DWORD src1_sel:DWORD
	v_and_or_b32 v4, v5, s14, v4
	;;#ASMSTART
	v_pk_mul_f32 v[6:7], v[28:29], v[2:3]
	;;#ASMEND
	v_mov_b32_e32 v5, v6
	;;#ASMSTART
	v_med3_f32 v5, v5, v8, v9
v_med3_f32 v7, v7, v8, v9
v_cvt_pk_fp8_f32 v10, v5, v7
	;;#ASMEND
	;;#ASMSTART
	v_pk_mul_f32 v[6:7], v[24:25], v[2:3]
	;;#ASMEND
	v_mov_b32_e32 v5, v7
	;;#ASMSTART
	v_med3_f32 v6, v6, v8, v9
v_med3_f32 v5, v5, v8, v9
v_cvt_pk_fp8_f32 v7, v6, v5
	;;#ASMEND
	v_lshlrev_b32_e32 v5, 16, v7
	s_mov_b32 s23, 0x20000
	v_and_or_b32 v5, v10, s14, v5
	buffer_store_dwordx2 v[4:5], v1, s[20:23], 0 offen
	;;#ASMSTART
	s_nop 0
	;;#ASMEND
	;;#ASMSTART
	v_pk_mul_f32 v[4:5], v[30:31], v[2:3]
	;;#ASMEND
	;;#ASMSTART
	v_med3_f32 v4, v4, v8, v9
v_med3_f32 v5, v5, v8, v9
v_cvt_pk_fp8_f32 v6, v4, v5
	;;#ASMEND
	;;#ASMSTART
	v_pk_mul_f32 v[4:5], v[26:27], v[2:3]
	;;#ASMEND
	;;#ASMSTART
	v_med3_f32 v4, v4, v8, v9
v_med3_f32 v5, v5, v8, v9
v_cvt_pk_fp8_f32 v7, v4, v5
	;;#ASMEND
	v_perm_b32 v5, v7, v6, s2
	v_and_b32_e32 v4, 0xffffff00, v7
	v_and_b32_sdwa v6, v5, s3 dst_sel:DWORD dst_unused:UNUSED_PAD src0_sel:WORD_1 src1_sel:DWORD
	v_or_b32_sdwa v4, v6, v4 dst_sel:WORD_1 dst_unused:UNUSED_PAD src0_sel:DWORD src1_sel:DWORD
	v_and_or_b32 v4, v5, s14, v4
	;;#ASMSTART
	v_pk_mul_f32 v[6:7], v[22:23], v[2:3]
	;;#ASMEND
	v_mov_b32_e32 v5, v6
	;;#ASMSTART
	v_med3_f32 v5, v5, v8, v9
v_med3_f32 v7, v7, v8, v9
v_cvt_pk_fp8_f32 v6, v5, v7
	;;#ASMEND
	;;#ASMSTART
	v_pk_mul_f32 v[2:3], v[20:21], v[2:3]
	;;#ASMEND
	;;#ASMSTART
	v_med3_f32 v2, v2, v8, v9
v_med3_f32 v3, v3, v8, v9
v_cvt_pk_fp8_f32 v5, v2, v3
	;;#ASMEND
	v_lshlrev_b32_e32 v2, 16, v5
	v_and_or_b32 v5, v6, s14, v2
	s_movk_i32 s2, 0x200
	buffer_store_dwordx2 v[4:5], v1, s[20:23], s2 offen
	;;#ASMSTART
	s_nop 0
	;;#ASMEND
.LBB60_26:
	s_or_b64 exec, exec, s[10:11]
	s_cmp_lt_i32 s16, 1
	s_cbranch_scc1 .LBB60_12
.LBB60_27:
	s_load_dword s2, s[4:5], 0x94
	s_waitcnt lgkmcnt(0)
	s_cmp_lg_u32 s2, 1
	s_cbranch_scc1 .LBB60_12
; %bb.28:
	s_lshl_b32 s2, s16, 1
	s_add_i32 s2, s2, 2
	v_cmp_gt_u32_e32 vcc, s16, v1
	s_and_b32 s10, s2, -4
	v_mov_b32_e32 v18, 0
	v_lshlrev_b32_e32 v1, 1, v1
	v_mov_b32_e32 v14, 0
	v_mov_b32_e32 v15, 0
	;; [unrolled: 1-line block ×8, first 2 shown]
	s_waitcnt vmcnt(1)
	v_mov_b32_e32 v6, 0
	v_mov_b32_e32 v7, 0
	;; [unrolled: 1-line block ×4, first 2 shown]
	s_waitcnt vmcnt(0)
	v_mov_b32_e32 v2, 0
	v_mov_b32_e32 v3, 0
	;; [unrolled: 1-line block ×4, first 2 shown]
	s_barrier
	s_and_saveexec_b64 s[2:3], vcc
	s_cbranch_execz .LBB60_30
; %bb.29:
	s_mul_hi_i32 s5, s18, s6
	s_mul_i32 s4, s18, s6
	s_and_b32 s9, s9, 0xffff
	s_lshl_b64 s[4:5], s[4:5], 1
	s_add_u32 s20, s26, s4
	s_mov_b32 s11, 0x20000
	s_addc_u32 s4, s27, s5
	s_and_b32 s21, s4, 0xffff
	s_mov_b32 s22, s10
	s_mov_b32 s23, s11
	s_movk_i32 s4, 0x400
	buffer_load_dwordx4 v[14:17], v1, s[20:23], 0 offen glc slc
	buffer_load_dwordx4 v[10:13], v1, s[20:23], s4 offen glc slc
	buffer_load_dwordx4 v[6:9], v1, s[8:11], 0 offen
	buffer_load_dwordx4 v[2:5], v1, s[8:11], s4 offen
.LBB60_30:
	s_or_b64 exec, exec, s[2:3]
	v_mov_b32_e32 v19, 0
	v_mov_b32_e32 v32, 0
	;; [unrolled: 1-line block ×15, first 2 shown]
	s_and_saveexec_b64 s[2:3], vcc
	s_cbranch_execz .LBB60_32
; %bb.31:
	s_waitcnt vmcnt(3)
	v_cvt_f32_u32_sdwa v18, v14 dst_sel:DWORD dst_unused:UNUSED_PAD src0_sel:WORD_0
	v_cvt_f32_u32_sdwa v19, v14 dst_sel:DWORD dst_unused:UNUSED_PAD src0_sel:WORD_1
	v_cvt_f32_u32_sdwa v32, v15 dst_sel:DWORD dst_unused:UNUSED_PAD src0_sel:WORD_0
	v_cvt_f32_u32_sdwa v33, v15 dst_sel:DWORD dst_unused:UNUSED_PAD src0_sel:WORD_1
	;; [unrolled: 2-line block ×4, first 2 shown]
	s_waitcnt vmcnt(2)
	v_cvt_f32_u32_sdwa v26, v10 dst_sel:DWORD dst_unused:UNUSED_PAD src0_sel:WORD_0
	v_cvt_f32_u32_sdwa v27, v10 dst_sel:DWORD dst_unused:UNUSED_PAD src0_sel:WORD_1
	v_cvt_f32_u32_sdwa v24, v11 dst_sel:DWORD dst_unused:UNUSED_PAD src0_sel:WORD_0
	v_cvt_f32_u32_sdwa v25, v11 dst_sel:DWORD dst_unused:UNUSED_PAD src0_sel:WORD_1
	;; [unrolled: 2-line block ×4, first 2 shown]
.LBB60_32:
	s_or_b64 exec, exec, s[2:3]
	s_waitcnt vmcnt(2)
	v_mul_f32_e32 v10, v19, v19
	v_fmac_f32_e32 v10, v18, v18
	v_fmac_f32_e32 v10, v32, v32
	;; [unrolled: 1-line block ×15, first 2 shown]
	s_nop 1
	v_mov_b32_dpp v11, v10 quad_perm:[1,0,3,2] row_mask:0xf bank_mask:0xf
	v_add_f32_e32 v10, v10, v11
	s_nop 1
	v_mov_b32_dpp v11, v10 quad_perm:[2,3,0,1] row_mask:0xf bank_mask:0xf
	v_add_f32_e32 v10, v10, v11
	s_nop 1
	v_mov_b32_dpp v11, v10 row_half_mirror row_mask:0xf bank_mask:0xf
	v_add_f32_e32 v10, v10, v11
	s_nop 1
	v_mov_b32_dpp v11, v10 row_mirror row_mask:0xf bank_mask:0xf
	v_add_f32_e32 v10, v10, v11
	s_nop 1
	v_mov_b32_dpp v11, v10 row_bcast:15 row_mask:0xf bank_mask:0xf
	v_add_f32_e32 v10, v10, v11
	s_nop 1
	v_mov_b32_dpp v11, v10 row_bcast:31 row_mask:0xf bank_mask:0xf
	s_and_saveexec_b64 s[2:3], s[0:1]
	s_cbranch_execz .LBB60_34
; %bb.33:
	v_lshrrev_b32_e32 v0, 4, v0
	v_add_f32_e32 v10, v10, v11
	v_and_b32_e32 v0, 60, v0
	ds_write_b32 v0, v10 offset:16
.LBB60_34:
	s_or_b64 exec, exec, s[2:3]
	s_waitcnt lgkmcnt(0)
	s_barrier
	ds_read_b32 v0, v34 offset:16
	s_waitcnt lgkmcnt(0)
	s_nop 0
	v_mov_b32_dpp v10, v0 quad_perm:[1,0,3,2] row_mask:0xf bank_mask:0xf
	v_add_f32_e32 v0, v0, v10
	s_nop 1
	v_mov_b32_dpp v10, v0 quad_perm:[2,3,0,1] row_mask:0xf bank_mask:0xf
	s_and_saveexec_b64 s[0:1], vcc
	s_cbranch_execz .LBB60_12
; %bb.35:
	v_cvt_f32_u32_e32 v11, s16
	v_add_f32_e32 v0, v0, v10
	s_mov_b32 s11, 0x20000
	v_div_scale_f32 v10, s[0:1], v11, v11, v0
	v_rcp_f32_e32 v12, v10
	v_div_scale_f32 v13, vcc, v0, v11, v0
	s_mov_b32 s0, 0x800000
	v_fma_f32 v14, -v10, v12, 1.0
	v_fmac_f32_e32 v12, v14, v12
	v_mul_f32_e32 v14, v13, v12
	v_fma_f32 v15, -v10, v14, v13
	v_fmac_f32_e32 v14, v15, v12
	v_fma_f32 v10, -v10, v14, v13
	v_div_fmas_f32 v10, v10, v12, v14
	v_div_fixup_f32 v0, v10, v11, v0
	v_add_f32_e32 v0, s13, v0
	v_mul_f32_e32 v10, 0x4b800000, v0
	v_cmp_gt_f32_e32 vcc, s0, v0
	v_cndmask_b32_e32 v0, v0, v10, vcc
	v_rsq_f32_e32 v0, v0
	s_mul_hi_i32 s1, s29, s6
	s_mul_i32 s0, s29, s6
	s_lshl_b64 s[0:1], s[0:1], 1
	v_mul_f32_e32 v10, 0x45800000, v0
	v_cndmask_b32_e32 v10, v0, v10, vcc
	v_mov_b32_e32 v11, v10
	s_add_u32 s8, s24, s0
	;;#ASMSTART
	v_pk_mul_f32 v[12:13], v[18:19], v[10:11]
	;;#ASMEND
	;;#ASMSTART
	v_pk_mul_f32 v[14:15], v[32:33], v[10:11]
	;;#ASMEND
	;; [unrolled: 3-line block ×8, first 2 shown]
	s_waitcnt vmcnt(1)
	v_cvt_f32_u32_sdwa v21, v6 dst_sel:DWORD dst_unused:UNUSED_PAD src0_sel:WORD_1
	v_cvt_f32_u32_sdwa v20, v6 dst_sel:DWORD dst_unused:UNUSED_PAD src0_sel:WORD_0
	v_cvt_f32_u32_sdwa v29, v7 dst_sel:DWORD dst_unused:UNUSED_PAD src0_sel:WORD_1
	v_cvt_f32_u32_sdwa v28, v7 dst_sel:DWORD dst_unused:UNUSED_PAD src0_sel:WORD_0
	;; [unrolled: 2-line block ×3, first 2 shown]
	s_addc_u32 s0, s25, s1
	v_cvt_f32_u32_sdwa v31, v9 dst_sel:DWORD dst_unused:UNUSED_PAD src0_sel:WORD_1
	v_cvt_f32_u32_sdwa v30, v9 dst_sel:DWORD dst_unused:UNUSED_PAD src0_sel:WORD_0
	;;#ASMSTART
	v_pk_mul_f32 v[8:9], v[12:13], v[20:21]
	;;#ASMEND
	;;#ASMSTART
	v_pk_mul_f32 v[12:13], v[14:15], v[28:29]
	;;#ASMEND
	;; [unrolled: 3-line block ×4, first 2 shown]
	s_waitcnt vmcnt(0)
	v_cvt_f32_u32_sdwa v17, v2 dst_sel:DWORD dst_unused:UNUSED_PAD src0_sel:WORD_1
	v_cvt_f32_u32_sdwa v16, v2 dst_sel:DWORD dst_unused:UNUSED_PAD src0_sel:WORD_0
	v_cvt_f32_u32_sdwa v19, v3 dst_sel:DWORD dst_unused:UNUSED_PAD src0_sel:WORD_1
	v_cvt_f32_u32_sdwa v18, v3 dst_sel:DWORD dst_unused:UNUSED_PAD src0_sel:WORD_0
	v_cvt_f32_u32_sdwa v3, v4 dst_sel:DWORD dst_unused:UNUSED_PAD src0_sel:WORD_1
	v_cvt_f32_u32_sdwa v2, v4 dst_sel:DWORD dst_unused:UNUSED_PAD src0_sel:WORD_0
	s_and_b32 s9, s0, 0xffff
	s_mov_b32 s0, 0x7060302
	v_cvt_f32_u32_sdwa v21, v5 dst_sel:DWORD dst_unused:UNUSED_PAD src0_sel:WORD_1
	v_cvt_f32_u32_sdwa v20, v5 dst_sel:DWORD dst_unused:UNUSED_PAD src0_sel:WORD_0
	;;#ASMSTART
	v_pk_mul_f32 v[16:17], v[26:27], v[16:17]
	;;#ASMEND
	;;#ASMSTART
	v_pk_mul_f32 v[18:19], v[24:25], v[18:19]
	;;#ASMEND
	;; [unrolled: 3-line block ×3, first 2 shown]
	v_perm_b32 v2, v9, v8, s0
	v_perm_b32 v3, v13, v12, s0
	;; [unrolled: 1-line block ×4, first 2 shown]
	;;#ASMSTART
	v_pk_mul_f32 v[10:11], v[10:11], v[20:21]
	;;#ASMEND
	buffer_store_dwordx4 v[2:5], v1, s[8:11], 0 offen
	;;#ASMSTART
	s_nop 0
	;;#ASMEND
	s_nop 0
	v_perm_b32 v2, v17, v16, s0
	v_perm_b32 v3, v19, v18, s0
	v_perm_b32 v4, v23, v22, s0
	v_perm_b32 v5, v11, v10, s0
	s_movk_i32 s0, 0x400
	buffer_store_dwordx4 v[2:5], v1, s[8:11], s0 offen
	;;#ASMSTART
	s_nop 0
	;;#ASMEND
	s_endpgm
	.section	.rodata,"a",@progbits
	.p2align	6, 0x0
	.amdhsa_kernel _ZN5aiter35fused_qk_rmsnorm_group_quant_kernelItDB8_Li256ELi16ELi1ELb0ELb1ELb0ELb0ELb1ELb1EEEvPT0_PvPT_S6_S6_PKS5_S8_S8_S8_S8_ffiiiiiiiiiiiii
		.amdhsa_group_segment_fixed_size 48
		.amdhsa_private_segment_fixed_size 0
		.amdhsa_kernarg_size 400
		.amdhsa_user_sgpr_count 6
		.amdhsa_user_sgpr_private_segment_buffer 1
		.amdhsa_user_sgpr_dispatch_ptr 0
		.amdhsa_user_sgpr_queue_ptr 0
		.amdhsa_user_sgpr_kernarg_segment_ptr 1
		.amdhsa_user_sgpr_dispatch_id 0
		.amdhsa_user_sgpr_flat_scratch_init 0
		.amdhsa_user_sgpr_kernarg_preload_length 0
		.amdhsa_user_sgpr_kernarg_preload_offset 0
		.amdhsa_user_sgpr_private_segment_size 0
		.amdhsa_uses_dynamic_stack 0
		.amdhsa_system_sgpr_private_segment_wavefront_offset 0
		.amdhsa_system_sgpr_workgroup_id_x 1
		.amdhsa_system_sgpr_workgroup_id_y 1
		.amdhsa_system_sgpr_workgroup_id_z 0
		.amdhsa_system_sgpr_workgroup_info 0
		.amdhsa_system_vgpr_workitem_id 0
		.amdhsa_next_free_vgpr 38
		.amdhsa_next_free_sgpr 32
		.amdhsa_accum_offset 40
		.amdhsa_reserve_vcc 1
		.amdhsa_reserve_flat_scratch 0
		.amdhsa_float_round_mode_32 0
		.amdhsa_float_round_mode_16_64 0
		.amdhsa_float_denorm_mode_32 3
		.amdhsa_float_denorm_mode_16_64 3
		.amdhsa_dx10_clamp 1
		.amdhsa_ieee_mode 1
		.amdhsa_fp16_overflow 0
		.amdhsa_tg_split 0
		.amdhsa_exception_fp_ieee_invalid_op 0
		.amdhsa_exception_fp_denorm_src 0
		.amdhsa_exception_fp_ieee_div_zero 0
		.amdhsa_exception_fp_ieee_overflow 0
		.amdhsa_exception_fp_ieee_underflow 0
		.amdhsa_exception_fp_ieee_inexact 0
		.amdhsa_exception_int_div_zero 0
	.end_amdhsa_kernel
	.section	.text._ZN5aiter35fused_qk_rmsnorm_group_quant_kernelItDB8_Li256ELi16ELi1ELb0ELb1ELb0ELb0ELb1ELb1EEEvPT0_PvPT_S6_S6_PKS5_S8_S8_S8_S8_ffiiiiiiiiiiiii,"axG",@progbits,_ZN5aiter35fused_qk_rmsnorm_group_quant_kernelItDB8_Li256ELi16ELi1ELb0ELb1ELb0ELb0ELb1ELb1EEEvPT0_PvPT_S6_S6_PKS5_S8_S8_S8_S8_ffiiiiiiiiiiiii,comdat
.Lfunc_end60:
	.size	_ZN5aiter35fused_qk_rmsnorm_group_quant_kernelItDB8_Li256ELi16ELi1ELb0ELb1ELb0ELb0ELb1ELb1EEEvPT0_PvPT_S6_S6_PKS5_S8_S8_S8_S8_ffiiiiiiiiiiiii, .Lfunc_end60-_ZN5aiter35fused_qk_rmsnorm_group_quant_kernelItDB8_Li256ELi16ELi1ELb0ELb1ELb0ELb0ELb1ELb1EEEvPT0_PvPT_S6_S6_PKS5_S8_S8_S8_S8_ffiiiiiiiiiiiii
                                        ; -- End function
	.section	.AMDGPU.csdata,"",@progbits
; Kernel info:
; codeLenInByte = 3884
; NumSgprs: 36
; NumVgprs: 38
; NumAgprs: 0
; TotalNumVgprs: 38
; ScratchSize: 0
; MemoryBound: 0
; FloatMode: 240
; IeeeMode: 1
; LDSByteSize: 48 bytes/workgroup (compile time only)
; SGPRBlocks: 4
; VGPRBlocks: 4
; NumSGPRsForWavesPerEU: 36
; NumVGPRsForWavesPerEU: 38
; AccumOffset: 40
; Occupancy: 8
; WaveLimiterHint : 0
; COMPUTE_PGM_RSRC2:SCRATCH_EN: 0
; COMPUTE_PGM_RSRC2:USER_SGPR: 6
; COMPUTE_PGM_RSRC2:TRAP_HANDLER: 0
; COMPUTE_PGM_RSRC2:TGID_X_EN: 1
; COMPUTE_PGM_RSRC2:TGID_Y_EN: 1
; COMPUTE_PGM_RSRC2:TGID_Z_EN: 0
; COMPUTE_PGM_RSRC2:TIDIG_COMP_CNT: 0
; COMPUTE_PGM_RSRC3_GFX90A:ACCUM_OFFSET: 9
; COMPUTE_PGM_RSRC3_GFX90A:TG_SPLIT: 0
	.section	.text._ZN5aiter35fused_qk_rmsnorm_group_quant_kernelIDF16_DB8_Li256ELi16ELi1ELb0ELb0ELb1ELb0ELb1ELb1EEEvPT0_PvPT_S6_S6_PKS5_S8_S8_S8_S8_ffiiiiiiiiiiiii,"axG",@progbits,_ZN5aiter35fused_qk_rmsnorm_group_quant_kernelIDF16_DB8_Li256ELi16ELi1ELb0ELb0ELb1ELb0ELb1ELb1EEEvPT0_PvPT_S6_S6_PKS5_S8_S8_S8_S8_ffiiiiiiiiiiiii,comdat
	.protected	_ZN5aiter35fused_qk_rmsnorm_group_quant_kernelIDF16_DB8_Li256ELi16ELi1ELb0ELb0ELb1ELb0ELb1ELb1EEEvPT0_PvPT_S6_S6_PKS5_S8_S8_S8_S8_ffiiiiiiiiiiiii ; -- Begin function _ZN5aiter35fused_qk_rmsnorm_group_quant_kernelIDF16_DB8_Li256ELi16ELi1ELb0ELb0ELb1ELb0ELb1ELb1EEEvPT0_PvPT_S6_S6_PKS5_S8_S8_S8_S8_ffiiiiiiiiiiiii
	.globl	_ZN5aiter35fused_qk_rmsnorm_group_quant_kernelIDF16_DB8_Li256ELi16ELi1ELb0ELb0ELb1ELb0ELb1ELb1EEEvPT0_PvPT_S6_S6_PKS5_S8_S8_S8_S8_ffiiiiiiiiiiiii
	.p2align	8
	.type	_ZN5aiter35fused_qk_rmsnorm_group_quant_kernelIDF16_DB8_Li256ELi16ELi1ELb0ELb0ELb1ELb0ELb1ELb1EEEvPT0_PvPT_S6_S6_PKS5_S8_S8_S8_S8_ffiiiiiiiiiiiii,@function
_ZN5aiter35fused_qk_rmsnorm_group_quant_kernelIDF16_DB8_Li256ELi16ELi1ELb0ELb0ELb1ELb0ELb1ELb1EEEvPT0_PvPT_S6_S6_PKS5_S8_S8_S8_S8_ffiiiiiiiiiiiii: ; @_ZN5aiter35fused_qk_rmsnorm_group_quant_kernelIDF16_DB8_Li256ELi16ELi1ELb0ELb0ELb1ELb0ELb1ELb1EEEvPT0_PvPT_S6_S6_PKS5_S8_S8_S8_S8_ffiiiiiiiiiiiii
; %bb.0:
	s_load_dwordx4 s[12:15], s[4:5], 0x50
	s_waitcnt lgkmcnt(0)
	s_cmp_ge_i32 s6, s14
	s_cbranch_scc1 .LBB61_12
; %bb.1:
	s_load_dwordx2 s[8:9], s[4:5], 0x48
	s_load_dwordx2 s[26:27], s[4:5], 0x30
	s_load_dwordx4 s[16:19], s[4:5], 0x60
	s_cmp_lg_u32 s7, 0
	s_cselect_b64 s[10:11], -1, 0
	s_cmp_eq_u32 s7, 0
	s_cselect_b64 vcc, -1, 0
	s_and_b64 s[0:1], vcc, exec
	s_waitcnt lgkmcnt(0)
	s_cselect_b32 s7, s15, s16
	s_add_i32 s0, s7, 1
	s_lshr_b32 s1, s0, 31
	s_add_i32 s0, s0, s1
	s_lshl_b32 s0, s0, 1
	v_lshlrev_b32_e32 v2, 4, v0
	s_and_b32 s22, s0, -4
	v_lshlrev_b32_e32 v1, 3, v0
	v_and_b32_e32 v2, 0x3c00, v2
	s_movk_i32 s0, 0x1f8
	v_and_or_b32 v1, v1, s0, v2
	v_cmp_gt_i32_e64 s[2:3], s7, v1
	v_mov_b32_e32 v18, 0
	v_mov_b32_e32 v6, 0
	;; [unrolled: 1-line block ×17, first 2 shown]
	s_and_saveexec_b64 s[0:1], s[2:3]
	s_cbranch_execz .LBB61_3
; %bb.2:
	s_load_dwordx2 s[20:21], s[4:5], 0x28
	s_load_dwordx2 s[24:25], s[4:5], 0x40
	s_and_b64 s[28:29], vcc, exec
	s_cselect_b32 s14, s17, s18
	s_mov_b32 s23, 0x20000
	s_waitcnt lgkmcnt(0)
	s_cselect_b32 s17, s21, s27
	s_cselect_b32 s19, s20, s26
	s_mul_hi_i32 s21, s14, s6
	s_mul_i32 s20, s14, s6
	s_lshl_b64 s[20:21], s[20:21], 1
	s_add_u32 s28, s19, s20
	s_addc_u32 s14, s17, s21
	s_and_b64 s[20:21], vcc, exec
	s_cselect_b32 s20, s24, s8
	s_cselect_b32 s17, s25, s9
	s_and_b32 s29, s14, 0xffff
	s_mov_b32 s30, s22
	s_mov_b32 s31, s23
	v_lshlrev_b32_e32 v19, 1, v1
	s_and_b32 s21, s17, 0xffff
	s_movk_i32 s14, 0x400
	buffer_load_dwordx4 v[14:17], v19, s[28:31], 0 offen glc slc
	buffer_load_dwordx4 v[10:13], v19, s[28:31], s14 offen glc slc
	buffer_load_dwordx4 v[6:9], v19, s[20:23], 0 offen
	buffer_load_dwordx4 v[2:5], v19, s[20:23], s14 offen
.LBB61_3:
	s_or_b64 exec, exec, s[0:1]
	v_mov_b32_e32 v19, 0
	v_mov_b32_e32 v32, 0
	;; [unrolled: 1-line block ×15, first 2 shown]
	s_and_saveexec_b64 s[0:1], s[2:3]
	s_cbranch_execz .LBB61_5
; %bb.4:
	s_waitcnt vmcnt(3)
	v_cvt_f32_f16_sdwa v19, v14 dst_sel:DWORD dst_unused:UNUSED_PAD src0_sel:WORD_1
	v_cvt_f32_f16_e32 v18, v14
	v_cvt_f32_f16_sdwa v33, v15 dst_sel:DWORD dst_unused:UNUSED_PAD src0_sel:WORD_1
	v_cvt_f32_f16_e32 v32, v15
	;; [unrolled: 2-line block ×4, first 2 shown]
	s_waitcnt vmcnt(2)
	v_cvt_f32_f16_sdwa v25, v10 dst_sel:DWORD dst_unused:UNUSED_PAD src0_sel:WORD_1
	v_cvt_f32_f16_e32 v24, v10
	v_cvt_f32_f16_sdwa v27, v11 dst_sel:DWORD dst_unused:UNUSED_PAD src0_sel:WORD_1
	v_cvt_f32_f16_e32 v26, v11
	;; [unrolled: 2-line block ×4, first 2 shown]
.LBB61_5:
	s_or_b64 exec, exec, s[0:1]
	s_waitcnt vmcnt(2)
	v_mul_f32_e32 v10, v19, v19
	v_fmac_f32_e32 v10, v18, v18
	v_fmac_f32_e32 v10, v32, v32
	;; [unrolled: 1-line block ×15, first 2 shown]
	v_and_b32_e32 v12, 63, v0
	v_cmp_eq_u32_e64 s[0:1], 63, v12
	v_mov_b32_dpp v11, v10 quad_perm:[1,0,3,2] row_mask:0xf bank_mask:0xf
	v_add_f32_e32 v10, v10, v11
	s_nop 1
	v_mov_b32_dpp v11, v10 quad_perm:[2,3,0,1] row_mask:0xf bank_mask:0xf
	v_add_f32_e32 v10, v10, v11
	s_nop 1
	v_mov_b32_dpp v11, v10 row_half_mirror row_mask:0xf bank_mask:0xf
	v_add_f32_e32 v10, v10, v11
	s_nop 1
	v_mov_b32_dpp v11, v10 row_mirror row_mask:0xf bank_mask:0xf
	v_add_f32_e32 v10, v10, v11
	s_nop 1
	v_mov_b32_dpp v11, v10 row_bcast:15 row_mask:0xf bank_mask:0xf
	v_add_f32_e32 v10, v10, v11
	s_nop 1
	v_mov_b32_dpp v11, v10 row_bcast:31 row_mask:0xf bank_mask:0xf
	s_and_saveexec_b64 s[20:21], s[0:1]
	s_cbranch_execz .LBB61_7
; %bb.6:
	v_add_f32_e32 v10, v10, v11
	v_lshrrev_b32_e32 v11, 4, v0
	v_and_b32_e32 v11, 60, v11
	ds_write_b32 v11, v10 offset:32
.LBB61_7:
	s_or_b64 exec, exec, s[20:21]
	v_and_b32_e32 v10, 3, v0
	v_lshlrev_b32_e32 v34, 2, v10
	s_waitcnt lgkmcnt(0)
	s_barrier
	ds_read_b32 v10, v34 offset:32
	s_load_dwordx2 s[24:25], s[4:5], 0x18
	s_waitcnt lgkmcnt(0)
	v_mov_b32_dpp v11, v10 quad_perm:[1,0,3,2] row_mask:0xf bank_mask:0xf
	v_add_f32_e32 v10, v10, v11
	s_nop 1
	v_mov_b32_dpp v11, v10 quad_perm:[2,3,0,1] row_mask:0xf bank_mask:0xf
	s_and_saveexec_b64 s[20:21], s[2:3]
	s_cbranch_execz .LBB61_9
; %bb.8:
	v_cvt_f32_u32_e32 v12, s7
	v_add_f32_e32 v10, v10, v11
	v_mov_b32_e32 v14, s13
	v_mov_b32_e32 v15, s12
	v_div_scale_f32 v11, s[28:29], v12, v12, v10
	v_rcp_f32_e32 v13, v11
	v_cndmask_b32_e32 v14, v14, v15, vcc
	s_mov_b32 s7, 0x800000
	v_fma_f32 v15, -v11, v13, 1.0
	v_fmac_f32_e32 v13, v15, v13
	v_div_scale_f32 v15, vcc, v10, v12, v10
	v_mul_f32_e32 v16, v15, v13
	v_fma_f32 v17, -v11, v16, v15
	v_fmac_f32_e32 v16, v17, v13
	v_fma_f32 v11, -v11, v16, v15
	v_div_fmas_f32 v11, v11, v13, v16
	v_div_fixup_f32 v10, v11, v12, v10
	v_add_f32_e32 v10, v14, v10
	v_mul_f32_e32 v11, 0x4b800000, v10
	v_cmp_gt_f32_e32 vcc, s7, v10
	v_cndmask_b32_e32 v10, v10, v11, vcc
	v_rsq_f32_e32 v10, v10
	v_mul_f32_e32 v11, 0x45800000, v10
	v_cndmask_b32_e32 v10, v10, v11, vcc
	v_mov_b32_e32 v11, v10
	;;#ASMSTART
	v_pk_mul_f32 v[12:13], v[18:19], v[10:11]
	;;#ASMEND
	s_waitcnt vmcnt(1)
	v_cvt_f32_f16_sdwa v19, v6 dst_sel:DWORD dst_unused:UNUSED_PAD src0_sel:WORD_1
	v_cvt_f32_f16_e32 v18, v6
	;;#ASMSTART
	v_pk_mul_f32 v[14:15], v[32:33], v[10:11]
	;;#ASMEND
	;;#ASMSTART
	v_pk_mul_f32 v[16:17], v[28:29], v[10:11]
	;;#ASMEND
	v_cvt_f32_f16_sdwa v29, v7 dst_sel:DWORD dst_unused:UNUSED_PAD src0_sel:WORD_1
	v_cvt_f32_f16_e32 v28, v7
	;;#ASMSTART
	v_pk_mul_f32 v[30:31], v[30:31], v[10:11]
	;;#ASMEND
	;;#ASMSTART
	v_pk_mul_f32 v[24:25], v[24:25], v[10:11]
	;;#ASMEND
	;;#ASMSTART
	v_pk_mul_f32 v[26:27], v[26:27], v[10:11]
	;;#ASMEND
	;;#ASMSTART
	v_pk_mul_f32 v[22:23], v[22:23], v[10:11]
	;;#ASMEND
	;;#ASMSTART
	v_pk_mul_f32 v[6:7], v[20:21], v[10:11]
	;;#ASMEND
	v_pk_add_f32 v[10:11], v[18:19], 1.0 op_sel_hi:[1,0]
	;;#ASMSTART
	v_pk_mul_f32 v[18:19], v[12:13], v[10:11]
	;;#ASMEND
	v_cvt_f32_f16_sdwa v13, v8 dst_sel:DWORD dst_unused:UNUSED_PAD src0_sel:WORD_1
	v_cvt_f32_f16_e32 v12, v8
	v_cvt_f32_f16_sdwa v21, v9 dst_sel:DWORD dst_unused:UNUSED_PAD src0_sel:WORD_1
	v_cvt_f32_f16_e32 v20, v9
	v_pk_add_f32 v[10:11], v[28:29], 1.0 op_sel_hi:[1,0]
	;;#ASMSTART
	v_pk_mul_f32 v[32:33], v[14:15], v[10:11]
	;;#ASMEND
	s_waitcnt vmcnt(0)
	v_cvt_f32_f16_sdwa v11, v2 dst_sel:DWORD dst_unused:UNUSED_PAD src0_sel:WORD_1
	v_cvt_f32_f16_e32 v10, v2
	v_pk_add_f32 v[8:9], v[12:13], 1.0 op_sel_hi:[1,0]
	;;#ASMSTART
	v_pk_mul_f32 v[28:29], v[16:17], v[8:9]
	;;#ASMEND
	v_pk_add_f32 v[8:9], v[20:21], 1.0 op_sel_hi:[1,0]
	v_cvt_f32_f16_sdwa v13, v3 dst_sel:DWORD dst_unused:UNUSED_PAD src0_sel:WORD_1
	v_cvt_f32_f16_e32 v12, v3
	;;#ASMSTART
	v_pk_mul_f32 v[30:31], v[30:31], v[8:9]
	;;#ASMEND
	v_cvt_f32_f16_sdwa v9, v4 dst_sel:DWORD dst_unused:UNUSED_PAD src0_sel:WORD_1
	v_cvt_f32_f16_e32 v8, v4
	v_pk_add_f32 v[2:3], v[10:11], 1.0 op_sel_hi:[1,0]
	v_cvt_f32_f16_sdwa v11, v5 dst_sel:DWORD dst_unused:UNUSED_PAD src0_sel:WORD_1
	v_cvt_f32_f16_e32 v10, v5
	;;#ASMSTART
	v_pk_mul_f32 v[24:25], v[24:25], v[2:3]
	;;#ASMEND
	v_pk_add_f32 v[2:3], v[12:13], 1.0 op_sel_hi:[1,0]
	;;#ASMSTART
	v_pk_mul_f32 v[26:27], v[26:27], v[2:3]
	;;#ASMEND
	v_pk_add_f32 v[2:3], v[8:9], 1.0 op_sel_hi:[1,0]
	;; [unrolled: 4-line block ×3, first 2 shown]
	;;#ASMSTART
	v_pk_mul_f32 v[20:21], v[6:7], v[2:3]
	;;#ASMEND
.LBB61_9:
	s_or_b64 exec, exec, s[20:21]
	s_load_dword s7, s[4:5], 0x80
	s_mov_b64 s[20:21], -1
	s_and_b64 vcc, exec, s[10:11]
	s_cbranch_vccnz .LBB61_13
; %bb.10:
	s_andn2_b64 vcc, exec, s[20:21]
	s_cbranch_vccz .LBB61_16
.LBB61_11:
	s_cmp_lt_i32 s16, 1
	s_cbranch_scc0 .LBB61_25
.LBB61_12:
	s_endpgm
.LBB61_13:
	s_and_saveexec_b64 s[10:11], s[2:3]
	s_cbranch_execz .LBB61_15
; %bb.14:
	s_waitcnt lgkmcnt(0)
	s_mul_hi_i32 s21, s7, s6
	s_mul_i32 s20, s7, s6
	s_waitcnt vmcnt(0)
	v_cvt_f16_f32_e32 v2, v18
	v_cvt_f16_f32_e32 v3, v32
	;; [unrolled: 1-line block ×8, first 2 shown]
	s_lshl_b64 s[20:21], s[20:21], 1
	s_add_u32 s20, s24, s20
	s_addc_u32 s12, s25, s21
	s_and_b32 s21, s12, 0xffff
	s_mov_b32 s23, 0x20000
	v_pack_b32_f16 v5, v5, v6
	v_pack_b32_f16 v4, v4, v7
	;; [unrolled: 1-line block ×4, first 2 shown]
	v_lshlrev_b32_e32 v6, 1, v1
	buffer_store_dwordx4 v[2:5], v6, s[20:23], 0 offen
	v_cvt_f16_f32_e32 v7, v21
	v_cvt_f16_f32_e32 v2, v24
	;; [unrolled: 1-line block ×8, first 2 shown]
	v_pack_b32_f16 v5, v5, v7
	v_pack_b32_f16 v4, v4, v8
	;; [unrolled: 1-line block ×4, first 2 shown]
	s_movk_i32 s12, 0x400
	;;#ASMSTART
	s_nop 0
	;;#ASMEND
	buffer_store_dwordx4 v[2:5], v6, s[20:23], s12 offen
	;;#ASMSTART
	s_nop 0
	;;#ASMEND
.LBB61_15:
	s_or_b64 exec, exec, s[10:11]
	s_cbranch_execnz .LBB61_11
.LBB61_16:
	s_waitcnt vmcnt(0)
	v_mov_b32_e32 v2, 0
	s_and_saveexec_b64 s[10:11], s[2:3]
	s_cbranch_execz .LBB61_18
; %bb.17:
	v_and_b32_e32 v2, 0x7fffffff, v18
	v_and_b32_e32 v3, 0x7fffffff, v19
	v_mov_b32_e32 v4, 0x2edbe6ff
	;;#ASMSTART
	v_max3_f32 v2, v4, v2, v3

	;;#ASMEND
	v_and_b32_e32 v3, 0x7fffffff, v32
	v_and_b32_e32 v4, 0x7fffffff, v33
	;;#ASMSTART
	v_max3_f32 v2, v2, v3, v4

	;;#ASMEND
	v_and_b32_e32 v3, 0x7fffffff, v28
	v_and_b32_e32 v4, 0x7fffffff, v29
	;; [unrolled: 6-line block ×7, first 2 shown]
	;;#ASMSTART
	v_max3_f32 v2, v2, v3, v4

	;;#ASMEND
.LBB61_18:
	s_or_b64 exec, exec, s[10:11]
	s_nop 0
	v_mov_b32_dpp v3, v2 quad_perm:[1,0,3,2] row_mask:0xf bank_mask:0xf
	v_cmp_gt_f32_e32 vcc, v2, v3
	v_cndmask_b32_e32 v2, v3, v2, vcc
	s_nop 1
	v_mov_b32_dpp v3, v2 quad_perm:[2,3,0,1] row_mask:0xf bank_mask:0xf
	v_cmp_gt_f32_e32 vcc, v2, v3
	v_cndmask_b32_e32 v2, v3, v2, vcc
	s_nop 1
	v_mov_b32_dpp v3, v2 row_half_mirror row_mask:0xf bank_mask:0xf
	v_cmp_gt_f32_e32 vcc, v2, v3
	v_cndmask_b32_e32 v2, v3, v2, vcc
	s_nop 1
	v_mov_b32_dpp v3, v2 row_mirror row_mask:0xf bank_mask:0xf
	v_cmp_gt_f32_e32 vcc, v2, v3
	v_cndmask_b32_e32 v2, v3, v2, vcc
	s_nop 1
	v_mov_b32_dpp v3, v2 row_bcast:15 row_mask:0xf bank_mask:0xf
	v_cmp_gt_f32_e32 vcc, v2, v3
	v_cndmask_b32_e32 v2, v3, v2, vcc
	s_nop 1
	v_mov_b32_dpp v3, v2 row_bcast:31 row_mask:0xf bank_mask:0xf
	s_and_saveexec_b64 s[10:11], s[0:1]
	s_cbranch_execz .LBB61_20
; %bb.19:
	v_cmp_gt_f32_e32 vcc, v2, v3
	v_cndmask_b32_e32 v2, v3, v2, vcc
	v_lshrrev_b32_e32 v3, 4, v0
	v_and_b32_e32 v3, 60, v3
	ds_write_b32 v3, v2
.LBB61_20:
	s_or_b64 exec, exec, s[10:11]
	s_waitcnt lgkmcnt(0)
	s_barrier
	ds_read_b32 v2, v34
	s_load_dwordx2 s[20:21], s[4:5], 0x70
	s_waitcnt lgkmcnt(0)
	v_mov_b32_dpp v3, v2 quad_perm:[1,0,3,2] row_mask:0xf bank_mask:0xf
	v_cmp_gt_f32_e32 vcc, v2, v3
	v_cndmask_b32_e32 v2, v3, v2, vcc
	s_nop 1
	v_mov_b32_dpp v3, v2 quad_perm:[2,3,0,1] row_mask:0xf bank_mask:0xf
	v_cmp_gt_f32_e32 vcc, v2, v3
	v_cndmask_b32_e32 v2, v3, v2, vcc
	v_mul_f32_e32 v2, 0x3b124925, v2
	v_cmp_eq_u32_e32 vcc, 0, v0
	s_and_saveexec_b64 s[10:11], vcc
	s_cbranch_execz .LBB61_22
; %bb.21:
	s_load_dwordx2 s[22:23], s[4:5], 0x8
	s_mul_hi_i32 s29, s21, s6
	s_mul_i32 s28, s21, s6
	s_lshl_b64 s[28:29], s[28:29], 2
	v_mov_b32_e32 v3, 0
	s_waitcnt lgkmcnt(0)
	s_add_u32 s22, s22, s28
	s_addc_u32 s23, s23, s29
	global_store_dword v3, v2, s[22:23]
.LBB61_22:
	s_or_b64 exec, exec, s[10:11]
	;;#ASMSTART
	v_rcp_f32 v2, v2
	;;#ASMEND
	s_and_saveexec_b64 s[10:11], s[2:3]
	s_cbranch_execz .LBB61_24
; %bb.23:
	s_load_dwordx2 s[2:3], s[4:5], 0x0
	s_mul_i32 s14, s20, s6
	s_mul_hi_i32 s12, s20, s6
	v_mov_b32_e32 v3, v2
	;;#ASMSTART
	v_pk_mul_f32 v[4:5], v[18:19], v[2:3]
	;;#ASMEND
	s_waitcnt lgkmcnt(0)
	s_add_u32 s20, s2, s14
	s_addc_u32 s2, s3, s12
	s_add_i32 s3, s15, 3
	s_ashr_i32 s12, s3, 31
	v_mov_b32_e32 v8, 0xc3e00000
	v_mov_b32_e32 v9, 0x43e00000
	;;#ASMSTART
	v_med3_f32 v4, v4, v8, v9
v_med3_f32 v5, v5, v8, v9
v_cvt_pk_fp8_f32 v6, v4, v5
	;;#ASMEND
	s_lshr_b32 s12, s12, 30
	;;#ASMSTART
	v_pk_mul_f32 v[4:5], v[32:33], v[2:3]
	;;#ASMEND
	s_add_i32 s3, s3, s12
	s_and_b32 s21, s2, 0xffff
	;;#ASMSTART
	v_med3_f32 v4, v4, v8, v9
v_med3_f32 v5, v5, v8, v9
v_cvt_pk_fp8_f32 v7, v4, v5
	;;#ASMEND
	s_mov_b32 s2, 0x5040100
	s_and_b32 s22, s3, -4
	v_perm_b32 v5, v7, v6, s2
	s_movk_i32 s3, 0xff
	v_and_b32_e32 v4, 0xffffff00, v7
	v_and_b32_sdwa v6, v5, s3 dst_sel:DWORD dst_unused:UNUSED_PAD src0_sel:WORD_1 src1_sel:DWORD
	s_mov_b32 s17, 0xffff
	v_or_b32_sdwa v4, v6, v4 dst_sel:WORD_1 dst_unused:UNUSED_PAD src0_sel:DWORD src1_sel:DWORD
	v_and_or_b32 v4, v5, s17, v4
	;;#ASMSTART
	v_pk_mul_f32 v[6:7], v[28:29], v[2:3]
	;;#ASMEND
	v_mov_b32_e32 v5, v7
	;;#ASMSTART
	v_med3_f32 v6, v6, v8, v9
v_med3_f32 v5, v5, v8, v9
v_cvt_pk_fp8_f32 v10, v6, v5
	;;#ASMEND
	;;#ASMSTART
	v_pk_mul_f32 v[6:7], v[30:31], v[2:3]
	;;#ASMEND
	v_mov_b32_e32 v5, v7
	;;#ASMSTART
	v_med3_f32 v6, v6, v8, v9
v_med3_f32 v5, v5, v8, v9
v_cvt_pk_fp8_f32 v7, v6, v5
	;;#ASMEND
	v_lshlrev_b32_e32 v5, 16, v7
	s_mov_b32 s23, 0x20000
	v_and_or_b32 v5, v10, s17, v5
	buffer_store_dwordx2 v[4:5], v1, s[20:23], 0 offen
	;;#ASMSTART
	s_nop 0
	;;#ASMEND
	;;#ASMSTART
	v_pk_mul_f32 v[4:5], v[24:25], v[2:3]
	;;#ASMEND
	;;#ASMSTART
	v_med3_f32 v4, v4, v8, v9
v_med3_f32 v5, v5, v8, v9
v_cvt_pk_fp8_f32 v6, v4, v5
	;;#ASMEND
	;;#ASMSTART
	v_pk_mul_f32 v[4:5], v[26:27], v[2:3]
	;;#ASMEND
	;;#ASMSTART
	v_med3_f32 v4, v4, v8, v9
v_med3_f32 v5, v5, v8, v9
v_cvt_pk_fp8_f32 v7, v4, v5
	;;#ASMEND
	v_perm_b32 v5, v7, v6, s2
	v_and_b32_e32 v4, 0xffffff00, v7
	v_and_b32_sdwa v6, v5, s3 dst_sel:DWORD dst_unused:UNUSED_PAD src0_sel:WORD_1 src1_sel:DWORD
	v_or_b32_sdwa v4, v6, v4 dst_sel:WORD_1 dst_unused:UNUSED_PAD src0_sel:DWORD src1_sel:DWORD
	v_and_or_b32 v4, v5, s17, v4
	;;#ASMSTART
	v_pk_mul_f32 v[6:7], v[22:23], v[2:3]
	;;#ASMEND
	v_mov_b32_e32 v5, v7
	;;#ASMSTART
	v_med3_f32 v6, v6, v8, v9
v_med3_f32 v5, v5, v8, v9
v_cvt_pk_fp8_f32 v7, v6, v5
	;;#ASMEND
	;;#ASMSTART
	v_pk_mul_f32 v[2:3], v[20:21], v[2:3]
	;;#ASMEND
	;;#ASMSTART
	v_med3_f32 v2, v2, v8, v9
v_med3_f32 v3, v3, v8, v9
v_cvt_pk_fp8_f32 v5, v2, v3
	;;#ASMEND
	v_lshlrev_b32_e32 v2, 16, v5
	v_and_or_b32 v5, v7, s17, v2
	s_movk_i32 s2, 0x200
	buffer_store_dwordx2 v[4:5], v1, s[20:23], s2 offen
	;;#ASMSTART
	s_nop 0
	;;#ASMEND
.LBB61_24:
	s_or_b64 exec, exec, s[10:11]
	s_cmp_lt_i32 s16, 1
	s_cbranch_scc1 .LBB61_12
.LBB61_25:
	s_load_dword s2, s[4:5], 0x94
	s_waitcnt lgkmcnt(0)
	s_cmp_lg_u32 s2, 1
	s_cbranch_scc1 .LBB61_12
; %bb.26:
	s_lshl_b32 s2, s16, 1
	s_add_i32 s2, s2, 2
	v_cmp_gt_u32_e32 vcc, s16, v1
	s_and_b32 s10, s2, -4
	v_mov_b32_e32 v18, 0
	v_lshlrev_b32_e32 v1, 1, v1
	v_mov_b32_e32 v14, 0
	v_mov_b32_e32 v15, 0
	;; [unrolled: 1-line block ×8, first 2 shown]
	s_waitcnt vmcnt(1)
	v_mov_b32_e32 v6, 0
	v_mov_b32_e32 v7, 0
	;; [unrolled: 1-line block ×4, first 2 shown]
	s_waitcnt vmcnt(0)
	v_mov_b32_e32 v2, 0
	v_mov_b32_e32 v3, 0
	;; [unrolled: 1-line block ×4, first 2 shown]
	s_barrier
	s_and_saveexec_b64 s[2:3], vcc
	s_cbranch_execz .LBB61_28
; %bb.27:
	s_mul_hi_i32 s5, s18, s6
	s_mul_i32 s4, s18, s6
	s_and_b32 s9, s9, 0xffff
	s_lshl_b64 s[4:5], s[4:5], 1
	s_add_u32 s20, s26, s4
	s_mov_b32 s11, 0x20000
	s_addc_u32 s4, s27, s5
	s_and_b32 s21, s4, 0xffff
	s_mov_b32 s22, s10
	s_mov_b32 s23, s11
	s_movk_i32 s4, 0x400
	buffer_load_dwordx4 v[14:17], v1, s[20:23], 0 offen glc slc
	buffer_load_dwordx4 v[10:13], v1, s[20:23], s4 offen glc slc
	buffer_load_dwordx4 v[6:9], v1, s[8:11], 0 offen
	buffer_load_dwordx4 v[2:5], v1, s[8:11], s4 offen
.LBB61_28:
	s_or_b64 exec, exec, s[2:3]
	v_mov_b32_e32 v19, 0
	v_mov_b32_e32 v32, 0
	;; [unrolled: 1-line block ×15, first 2 shown]
	s_and_saveexec_b64 s[2:3], vcc
	s_cbranch_execz .LBB61_30
; %bb.29:
	s_waitcnt vmcnt(3)
	v_cvt_f32_f16_sdwa v19, v14 dst_sel:DWORD dst_unused:UNUSED_PAD src0_sel:WORD_1
	v_cvt_f32_f16_e32 v18, v14
	v_cvt_f32_f16_sdwa v33, v15 dst_sel:DWORD dst_unused:UNUSED_PAD src0_sel:WORD_1
	v_cvt_f32_f16_e32 v32, v15
	;; [unrolled: 2-line block ×4, first 2 shown]
	s_waitcnt vmcnt(2)
	v_cvt_f32_f16_sdwa v27, v10 dst_sel:DWORD dst_unused:UNUSED_PAD src0_sel:WORD_1
	v_cvt_f32_f16_e32 v26, v10
	v_cvt_f32_f16_sdwa v25, v11 dst_sel:DWORD dst_unused:UNUSED_PAD src0_sel:WORD_1
	v_cvt_f32_f16_e32 v24, v11
	;; [unrolled: 2-line block ×4, first 2 shown]
.LBB61_30:
	s_or_b64 exec, exec, s[2:3]
	s_waitcnt vmcnt(2)
	v_mul_f32_e32 v10, v19, v19
	v_fmac_f32_e32 v10, v18, v18
	v_fmac_f32_e32 v10, v32, v32
	;; [unrolled: 1-line block ×15, first 2 shown]
	s_nop 1
	v_mov_b32_dpp v11, v10 quad_perm:[1,0,3,2] row_mask:0xf bank_mask:0xf
	v_add_f32_e32 v10, v10, v11
	s_nop 1
	v_mov_b32_dpp v11, v10 quad_perm:[2,3,0,1] row_mask:0xf bank_mask:0xf
	v_add_f32_e32 v10, v10, v11
	s_nop 1
	v_mov_b32_dpp v11, v10 row_half_mirror row_mask:0xf bank_mask:0xf
	v_add_f32_e32 v10, v10, v11
	s_nop 1
	v_mov_b32_dpp v11, v10 row_mirror row_mask:0xf bank_mask:0xf
	v_add_f32_e32 v10, v10, v11
	s_nop 1
	v_mov_b32_dpp v11, v10 row_bcast:15 row_mask:0xf bank_mask:0xf
	v_add_f32_e32 v10, v10, v11
	s_nop 1
	v_mov_b32_dpp v11, v10 row_bcast:31 row_mask:0xf bank_mask:0xf
	s_and_saveexec_b64 s[2:3], s[0:1]
	s_cbranch_execz .LBB61_32
; %bb.31:
	v_lshrrev_b32_e32 v0, 4, v0
	v_add_f32_e32 v10, v10, v11
	v_and_b32_e32 v0, 60, v0
	ds_write_b32 v0, v10 offset:16
.LBB61_32:
	s_or_b64 exec, exec, s[2:3]
	s_waitcnt lgkmcnt(0)
	s_barrier
	ds_read_b32 v0, v34 offset:16
	s_waitcnt lgkmcnt(0)
	s_nop 0
	v_mov_b32_dpp v10, v0 quad_perm:[1,0,3,2] row_mask:0xf bank_mask:0xf
	v_add_f32_e32 v0, v0, v10
	s_nop 1
	v_mov_b32_dpp v10, v0 quad_perm:[2,3,0,1] row_mask:0xf bank_mask:0xf
	s_and_saveexec_b64 s[0:1], vcc
	s_cbranch_execz .LBB61_12
; %bb.33:
	v_cvt_f32_u32_e32 v11, s16
	v_add_f32_e32 v0, v0, v10
	s_mov_b32 s11, 0x20000
	v_div_scale_f32 v10, s[0:1], v11, v11, v0
	v_rcp_f32_e32 v12, v10
	v_div_scale_f32 v13, vcc, v0, v11, v0
	s_mov_b32 s0, 0x800000
	v_fma_f32 v14, -v10, v12, 1.0
	v_fmac_f32_e32 v12, v14, v12
	v_mul_f32_e32 v14, v13, v12
	v_fma_f32 v15, -v10, v14, v13
	v_fmac_f32_e32 v14, v15, v12
	v_fma_f32 v10, -v10, v14, v13
	v_div_fmas_f32 v10, v10, v12, v14
	v_div_fixup_f32 v0, v10, v11, v0
	v_add_f32_e32 v0, s13, v0
	v_mul_f32_e32 v10, 0x4b800000, v0
	v_cmp_gt_f32_e32 vcc, s0, v0
	v_cndmask_b32_e32 v0, v0, v10, vcc
	v_rsq_f32_e32 v0, v0
	s_mul_hi_i32 s1, s7, s6
	s_mul_i32 s0, s7, s6
	s_lshl_b64 s[0:1], s[0:1], 1
	v_mul_f32_e32 v10, 0x45800000, v0
	v_cndmask_b32_e32 v10, v0, v10, vcc
	v_mov_b32_e32 v11, v10
	;;#ASMSTART
	v_pk_mul_f32 v[12:13], v[18:19], v[10:11]
	;;#ASMEND
	;;#ASMSTART
	v_pk_mul_f32 v[14:15], v[32:33], v[10:11]
	;;#ASMEND
	;; [unrolled: 3-line block ×4, first 2 shown]
	s_waitcnt vmcnt(1)
	v_cvt_f32_f16_sdwa v29, v6 dst_sel:DWORD dst_unused:UNUSED_PAD src0_sel:WORD_1
	v_cvt_f32_f16_e32 v28, v6
	v_cvt_f32_f16_sdwa v31, v7 dst_sel:DWORD dst_unused:UNUSED_PAD src0_sel:WORD_1
	v_cvt_f32_f16_e32 v30, v7
	;;#ASMSTART
	v_pk_mul_f32 v[26:27], v[26:27], v[10:11]
	;;#ASMEND
	;;#ASMSTART
	v_pk_mul_f32 v[24:25], v[24:25], v[10:11]
	;;#ASMEND
	;; [unrolled: 3-line block ×4, first 2 shown]
	v_cvt_f32_f16_sdwa v21, v8 dst_sel:DWORD dst_unused:UNUSED_PAD src0_sel:WORD_1
	v_cvt_f32_f16_e32 v20, v8
	v_pk_add_f32 v[10:11], v[28:29], 1.0 op_sel_hi:[1,0]
	;;#ASMSTART
	v_pk_mul_f32 v[10:11], v[12:13], v[10:11]
	;;#ASMEND
	v_pk_add_f32 v[12:13], v[30:31], 1.0 op_sel_hi:[1,0]
	v_cvt_f32_f16_sdwa v29, v9 dst_sel:DWORD dst_unused:UNUSED_PAD src0_sel:WORD_1
	v_cvt_f32_f16_e32 v28, v9
	;;#ASMSTART
	v_pk_mul_f32 v[8:9], v[14:15], v[12:13]
	;;#ASMEND
	v_pk_add_f32 v[12:13], v[20:21], 1.0 op_sel_hi:[1,0]
	;;#ASMSTART
	v_pk_mul_f32 v[12:13], v[16:17], v[12:13]
	;;#ASMEND
	s_waitcnt vmcnt(0)
	v_cvt_f32_f16_sdwa v17, v2 dst_sel:DWORD dst_unused:UNUSED_PAD src0_sel:WORD_1
	v_cvt_f32_f16_e32 v16, v2
	v_cvt_f32_f16_sdwa v21, v3 dst_sel:DWORD dst_unused:UNUSED_PAD src0_sel:WORD_1
	v_cvt_f32_f16_e32 v20, v3
	v_pk_add_f32 v[14:15], v[28:29], 1.0 op_sel_hi:[1,0]
	;;#ASMSTART
	v_pk_mul_f32 v[2:3], v[18:19], v[14:15]
	;;#ASMEND
	v_cvt_f32_f16_sdwa v19, v4 dst_sel:DWORD dst_unused:UNUSED_PAD src0_sel:WORD_1
	v_cvt_f32_f16_e32 v18, v4
	v_pk_add_f32 v[14:15], v[16:17], 1.0 op_sel_hi:[1,0]
	v_pk_add_f32 v[16:17], v[20:21], 1.0 op_sel_hi:[1,0]
	v_cvt_f32_f16_sdwa v21, v5 dst_sel:DWORD dst_unused:UNUSED_PAD src0_sel:WORD_1
	v_cvt_f32_f16_e32 v20, v5
	v_pk_add_f32 v[4:5], v[18:19], 1.0 op_sel_hi:[1,0]
	;;#ASMSTART
	v_pk_mul_f32 v[14:15], v[26:27], v[14:15]
	;;#ASMEND
	;;#ASMSTART
	v_pk_mul_f32 v[16:17], v[24:25], v[16:17]
	;;#ASMEND
	;; [unrolled: 3-line block ×3, first 2 shown]
	v_pk_add_f32 v[4:5], v[20:21], 1.0 op_sel_hi:[1,0]
	;;#ASMSTART
	v_pk_mul_f32 v[6:7], v[6:7], v[4:5]
	;;#ASMEND
	v_cvt_f16_f32_e32 v0, v10
	v_cvt_f16_f32_e32 v4, v11
	;; [unrolled: 1-line block ×8, first 2 shown]
	s_add_u32 s8, s24, s0
	s_addc_u32 s0, s25, s1
	s_and_b32 s9, s0, 0xffff
	v_pack_b32_f16 v2, v0, v4
	v_pack_b32_f16 v3, v5, v8
	;; [unrolled: 1-line block ×4, first 2 shown]
	buffer_store_dwordx4 v[2:5], v1, s[8:11], 0 offen
	v_cvt_f16_f32_e32 v0, v14
	v_cvt_f16_f32_e32 v2, v15
	;; [unrolled: 1-line block ×8, first 2 shown]
	v_pack_b32_f16 v2, v0, v2
	v_pack_b32_f16 v3, v3, v4
	;; [unrolled: 1-line block ×4, first 2 shown]
	s_movk_i32 s0, 0x400
	;;#ASMSTART
	s_nop 0
	;;#ASMEND
	buffer_store_dwordx4 v[2:5], v1, s[8:11], s0 offen
	;;#ASMSTART
	s_nop 0
	;;#ASMEND
	s_endpgm
	.section	.rodata,"a",@progbits
	.p2align	6, 0x0
	.amdhsa_kernel _ZN5aiter35fused_qk_rmsnorm_group_quant_kernelIDF16_DB8_Li256ELi16ELi1ELb0ELb0ELb1ELb0ELb1ELb1EEEvPT0_PvPT_S6_S6_PKS5_S8_S8_S8_S8_ffiiiiiiiiiiiii
		.amdhsa_group_segment_fixed_size 48
		.amdhsa_private_segment_fixed_size 0
		.amdhsa_kernarg_size 400
		.amdhsa_user_sgpr_count 6
		.amdhsa_user_sgpr_private_segment_buffer 1
		.amdhsa_user_sgpr_dispatch_ptr 0
		.amdhsa_user_sgpr_queue_ptr 0
		.amdhsa_user_sgpr_kernarg_segment_ptr 1
		.amdhsa_user_sgpr_dispatch_id 0
		.amdhsa_user_sgpr_flat_scratch_init 0
		.amdhsa_user_sgpr_kernarg_preload_length 0
		.amdhsa_user_sgpr_kernarg_preload_offset 0
		.amdhsa_user_sgpr_private_segment_size 0
		.amdhsa_uses_dynamic_stack 0
		.amdhsa_system_sgpr_private_segment_wavefront_offset 0
		.amdhsa_system_sgpr_workgroup_id_x 1
		.amdhsa_system_sgpr_workgroup_id_y 1
		.amdhsa_system_sgpr_workgroup_id_z 0
		.amdhsa_system_sgpr_workgroup_info 0
		.amdhsa_system_vgpr_workitem_id 0
		.amdhsa_next_free_vgpr 35
		.amdhsa_next_free_sgpr 32
		.amdhsa_accum_offset 36
		.amdhsa_reserve_vcc 1
		.amdhsa_reserve_flat_scratch 0
		.amdhsa_float_round_mode_32 0
		.amdhsa_float_round_mode_16_64 0
		.amdhsa_float_denorm_mode_32 3
		.amdhsa_float_denorm_mode_16_64 3
		.amdhsa_dx10_clamp 1
		.amdhsa_ieee_mode 1
		.amdhsa_fp16_overflow 0
		.amdhsa_tg_split 0
		.amdhsa_exception_fp_ieee_invalid_op 0
		.amdhsa_exception_fp_denorm_src 0
		.amdhsa_exception_fp_ieee_div_zero 0
		.amdhsa_exception_fp_ieee_overflow 0
		.amdhsa_exception_fp_ieee_underflow 0
		.amdhsa_exception_fp_ieee_inexact 0
		.amdhsa_exception_int_div_zero 0
	.end_amdhsa_kernel
	.section	.text._ZN5aiter35fused_qk_rmsnorm_group_quant_kernelIDF16_DB8_Li256ELi16ELi1ELb0ELb0ELb1ELb0ELb1ELb1EEEvPT0_PvPT_S6_S6_PKS5_S8_S8_S8_S8_ffiiiiiiiiiiiii,"axG",@progbits,_ZN5aiter35fused_qk_rmsnorm_group_quant_kernelIDF16_DB8_Li256ELi16ELi1ELb0ELb0ELb1ELb0ELb1ELb1EEEvPT0_PvPT_S6_S6_PKS5_S8_S8_S8_S8_ffiiiiiiiiiiiii,comdat
.Lfunc_end61:
	.size	_ZN5aiter35fused_qk_rmsnorm_group_quant_kernelIDF16_DB8_Li256ELi16ELi1ELb0ELb0ELb1ELb0ELb1ELb1EEEvPT0_PvPT_S6_S6_PKS5_S8_S8_S8_S8_ffiiiiiiiiiiiii, .Lfunc_end61-_ZN5aiter35fused_qk_rmsnorm_group_quant_kernelIDF16_DB8_Li256ELi16ELi1ELb0ELb0ELb1ELb0ELb1ELb1EEEvPT0_PvPT_S6_S6_PKS5_S8_S8_S8_S8_ffiiiiiiiiiiiii
                                        ; -- End function
	.section	.AMDGPU.csdata,"",@progbits
; Kernel info:
; codeLenInByte = 3812
; NumSgprs: 36
; NumVgprs: 35
; NumAgprs: 0
; TotalNumVgprs: 35
; ScratchSize: 0
; MemoryBound: 0
; FloatMode: 240
; IeeeMode: 1
; LDSByteSize: 48 bytes/workgroup (compile time only)
; SGPRBlocks: 4
; VGPRBlocks: 4
; NumSGPRsForWavesPerEU: 36
; NumVGPRsForWavesPerEU: 35
; AccumOffset: 36
; Occupancy: 8
; WaveLimiterHint : 0
; COMPUTE_PGM_RSRC2:SCRATCH_EN: 0
; COMPUTE_PGM_RSRC2:USER_SGPR: 6
; COMPUTE_PGM_RSRC2:TRAP_HANDLER: 0
; COMPUTE_PGM_RSRC2:TGID_X_EN: 1
; COMPUTE_PGM_RSRC2:TGID_Y_EN: 1
; COMPUTE_PGM_RSRC2:TGID_Z_EN: 0
; COMPUTE_PGM_RSRC2:TIDIG_COMP_CNT: 0
; COMPUTE_PGM_RSRC3_GFX90A:ACCUM_OFFSET: 8
; COMPUTE_PGM_RSRC3_GFX90A:TG_SPLIT: 0
	.section	.text._ZN5aiter35fused_qk_rmsnorm_group_quant_kernelItDB8_Li256ELi16ELi1ELb0ELb0ELb1ELb0ELb1ELb1EEEvPT0_PvPT_S6_S6_PKS5_S8_S8_S8_S8_ffiiiiiiiiiiiii,"axG",@progbits,_ZN5aiter35fused_qk_rmsnorm_group_quant_kernelItDB8_Li256ELi16ELi1ELb0ELb0ELb1ELb0ELb1ELb1EEEvPT0_PvPT_S6_S6_PKS5_S8_S8_S8_S8_ffiiiiiiiiiiiii,comdat
	.protected	_ZN5aiter35fused_qk_rmsnorm_group_quant_kernelItDB8_Li256ELi16ELi1ELb0ELb0ELb1ELb0ELb1ELb1EEEvPT0_PvPT_S6_S6_PKS5_S8_S8_S8_S8_ffiiiiiiiiiiiii ; -- Begin function _ZN5aiter35fused_qk_rmsnorm_group_quant_kernelItDB8_Li256ELi16ELi1ELb0ELb0ELb1ELb0ELb1ELb1EEEvPT0_PvPT_S6_S6_PKS5_S8_S8_S8_S8_ffiiiiiiiiiiiii
	.globl	_ZN5aiter35fused_qk_rmsnorm_group_quant_kernelItDB8_Li256ELi16ELi1ELb0ELb0ELb1ELb0ELb1ELb1EEEvPT0_PvPT_S6_S6_PKS5_S8_S8_S8_S8_ffiiiiiiiiiiiii
	.p2align	8
	.type	_ZN5aiter35fused_qk_rmsnorm_group_quant_kernelItDB8_Li256ELi16ELi1ELb0ELb0ELb1ELb0ELb1ELb1EEEvPT0_PvPT_S6_S6_PKS5_S8_S8_S8_S8_ffiiiiiiiiiiiii,@function
_ZN5aiter35fused_qk_rmsnorm_group_quant_kernelItDB8_Li256ELi16ELi1ELb0ELb0ELb1ELb0ELb1ELb1EEEvPT0_PvPT_S6_S6_PKS5_S8_S8_S8_S8_ffiiiiiiiiiiiii: ; @_ZN5aiter35fused_qk_rmsnorm_group_quant_kernelItDB8_Li256ELi16ELi1ELb0ELb0ELb1ELb0ELb1ELb1EEEvPT0_PvPT_S6_S6_PKS5_S8_S8_S8_S8_ffiiiiiiiiiiiii
; %bb.0:
	s_load_dwordx4 s[12:15], s[4:5], 0x50
	s_waitcnt lgkmcnt(0)
	s_cmp_ge_i32 s6, s14
	s_cbranch_scc1 .LBB62_12
; %bb.1:
	s_load_dwordx2 s[8:9], s[4:5], 0x48
	s_load_dwordx2 s[26:27], s[4:5], 0x30
	s_load_dwordx4 s[16:19], s[4:5], 0x60
	s_cmp_lg_u32 s7, 0
	s_cselect_b64 s[10:11], -1, 0
	s_cmp_eq_u32 s7, 0
	s_cselect_b64 vcc, -1, 0
	s_and_b64 s[0:1], vcc, exec
	s_waitcnt lgkmcnt(0)
	s_cselect_b32 s7, s15, s16
	s_add_i32 s0, s7, 1
	s_lshr_b32 s1, s0, 31
	s_add_i32 s0, s0, s1
	s_lshl_b32 s0, s0, 1
	v_lshlrev_b32_e32 v2, 4, v0
	s_and_b32 s22, s0, -4
	v_lshlrev_b32_e32 v1, 3, v0
	v_and_b32_e32 v2, 0x3c00, v2
	s_movk_i32 s0, 0x1f8
	v_and_or_b32 v1, v1, s0, v2
	v_cmp_gt_i32_e64 s[2:3], s7, v1
	v_mov_b32_e32 v18, 0
	v_mov_b32_e32 v6, 0
	;; [unrolled: 1-line block ×17, first 2 shown]
	s_and_saveexec_b64 s[0:1], s[2:3]
	s_cbranch_execz .LBB62_3
; %bb.2:
	s_load_dwordx2 s[20:21], s[4:5], 0x28
	s_load_dwordx2 s[24:25], s[4:5], 0x40
	s_and_b64 s[28:29], vcc, exec
	s_cselect_b32 s14, s17, s18
	s_mov_b32 s23, 0x20000
	s_waitcnt lgkmcnt(0)
	s_cselect_b32 s17, s21, s27
	s_cselect_b32 s19, s20, s26
	s_mul_hi_i32 s21, s14, s6
	s_mul_i32 s20, s14, s6
	s_lshl_b64 s[20:21], s[20:21], 1
	s_add_u32 s28, s19, s20
	s_addc_u32 s14, s17, s21
	s_and_b64 s[20:21], vcc, exec
	s_cselect_b32 s20, s24, s8
	s_cselect_b32 s17, s25, s9
	s_and_b32 s29, s14, 0xffff
	s_mov_b32 s30, s22
	s_mov_b32 s31, s23
	v_lshlrev_b32_e32 v19, 1, v1
	s_and_b32 s21, s17, 0xffff
	s_movk_i32 s14, 0x400
	buffer_load_dwordx4 v[14:17], v19, s[28:31], 0 offen glc slc
	buffer_load_dwordx4 v[10:13], v19, s[28:31], s14 offen glc slc
	buffer_load_dwordx4 v[6:9], v19, s[20:23], 0 offen
	buffer_load_dwordx4 v[2:5], v19, s[20:23], s14 offen
.LBB62_3:
	s_or_b64 exec, exec, s[0:1]
	v_mov_b32_e32 v19, 0
	v_mov_b32_e32 v32, 0
	;; [unrolled: 1-line block ×15, first 2 shown]
	s_and_saveexec_b64 s[0:1], s[2:3]
	s_cbranch_execz .LBB62_5
; %bb.4:
	s_waitcnt vmcnt(3)
	v_cvt_f32_u32_sdwa v18, v14 dst_sel:DWORD dst_unused:UNUSED_PAD src0_sel:WORD_0
	v_cvt_f32_u32_sdwa v19, v14 dst_sel:DWORD dst_unused:UNUSED_PAD src0_sel:WORD_1
	v_cvt_f32_u32_sdwa v32, v15 dst_sel:DWORD dst_unused:UNUSED_PAD src0_sel:WORD_0
	v_cvt_f32_u32_sdwa v33, v15 dst_sel:DWORD dst_unused:UNUSED_PAD src0_sel:WORD_1
	;; [unrolled: 2-line block ×4, first 2 shown]
	s_waitcnt vmcnt(2)
	v_cvt_f32_u32_sdwa v24, v10 dst_sel:DWORD dst_unused:UNUSED_PAD src0_sel:WORD_0
	v_cvt_f32_u32_sdwa v25, v10 dst_sel:DWORD dst_unused:UNUSED_PAD src0_sel:WORD_1
	v_cvt_f32_u32_sdwa v26, v11 dst_sel:DWORD dst_unused:UNUSED_PAD src0_sel:WORD_0
	v_cvt_f32_u32_sdwa v27, v11 dst_sel:DWORD dst_unused:UNUSED_PAD src0_sel:WORD_1
	;; [unrolled: 2-line block ×4, first 2 shown]
.LBB62_5:
	s_or_b64 exec, exec, s[0:1]
	s_waitcnt vmcnt(2)
	v_mul_f32_e32 v10, v19, v19
	v_fmac_f32_e32 v10, v18, v18
	v_fmac_f32_e32 v10, v32, v32
	;; [unrolled: 1-line block ×15, first 2 shown]
	v_and_b32_e32 v12, 63, v0
	v_cmp_eq_u32_e64 s[0:1], 63, v12
	v_mov_b32_dpp v11, v10 quad_perm:[1,0,3,2] row_mask:0xf bank_mask:0xf
	v_add_f32_e32 v10, v10, v11
	s_nop 1
	v_mov_b32_dpp v11, v10 quad_perm:[2,3,0,1] row_mask:0xf bank_mask:0xf
	v_add_f32_e32 v10, v10, v11
	s_nop 1
	v_mov_b32_dpp v11, v10 row_half_mirror row_mask:0xf bank_mask:0xf
	v_add_f32_e32 v10, v10, v11
	s_nop 1
	v_mov_b32_dpp v11, v10 row_mirror row_mask:0xf bank_mask:0xf
	v_add_f32_e32 v10, v10, v11
	s_nop 1
	v_mov_b32_dpp v11, v10 row_bcast:15 row_mask:0xf bank_mask:0xf
	v_add_f32_e32 v10, v10, v11
	s_nop 1
	v_mov_b32_dpp v11, v10 row_bcast:31 row_mask:0xf bank_mask:0xf
	s_and_saveexec_b64 s[20:21], s[0:1]
	s_cbranch_execz .LBB62_7
; %bb.6:
	v_add_f32_e32 v10, v10, v11
	v_lshrrev_b32_e32 v11, 4, v0
	v_and_b32_e32 v11, 60, v11
	ds_write_b32 v11, v10 offset:32
.LBB62_7:
	s_or_b64 exec, exec, s[20:21]
	v_and_b32_e32 v10, 3, v0
	v_lshlrev_b32_e32 v34, 2, v10
	s_waitcnt lgkmcnt(0)
	s_barrier
	ds_read_b32 v10, v34 offset:32
	s_load_dwordx2 s[24:25], s[4:5], 0x18
	s_waitcnt lgkmcnt(0)
	v_mov_b32_dpp v11, v10 quad_perm:[1,0,3,2] row_mask:0xf bank_mask:0xf
	v_add_f32_e32 v10, v10, v11
	s_nop 1
	v_mov_b32_dpp v11, v10 quad_perm:[2,3,0,1] row_mask:0xf bank_mask:0xf
	s_and_saveexec_b64 s[20:21], s[2:3]
	s_cbranch_execz .LBB62_9
; %bb.8:
	v_cvt_f32_u32_e32 v12, s7
	v_add_f32_e32 v10, v10, v11
	v_mov_b32_e32 v14, s13
	v_mov_b32_e32 v15, s12
	v_div_scale_f32 v11, s[28:29], v12, v12, v10
	v_rcp_f32_e32 v13, v11
	v_cndmask_b32_e32 v14, v14, v15, vcc
	s_mov_b32 s7, 0x800000
	v_fma_f32 v15, -v11, v13, 1.0
	v_fmac_f32_e32 v13, v15, v13
	v_div_scale_f32 v15, vcc, v10, v12, v10
	v_mul_f32_e32 v16, v15, v13
	v_fma_f32 v17, -v11, v16, v15
	v_fmac_f32_e32 v16, v17, v13
	v_fma_f32 v11, -v11, v16, v15
	v_div_fmas_f32 v11, v11, v13, v16
	v_div_fixup_f32 v10, v11, v12, v10
	v_add_f32_e32 v10, v14, v10
	v_mul_f32_e32 v11, 0x4b800000, v10
	v_cmp_gt_f32_e32 vcc, s7, v10
	v_cndmask_b32_e32 v10, v10, v11, vcc
	v_rsq_f32_e32 v10, v10
	v_mul_f32_e32 v11, 0x45800000, v10
	v_cndmask_b32_e32 v10, v10, v11, vcc
	v_mov_b32_e32 v11, v10
	;;#ASMSTART
	v_pk_mul_f32 v[12:13], v[18:19], v[10:11]
	;;#ASMEND
	s_waitcnt vmcnt(1)
	v_cvt_f32_u32_sdwa v19, v6 dst_sel:DWORD dst_unused:UNUSED_PAD src0_sel:WORD_1
	v_cvt_f32_u32_sdwa v18, v6 dst_sel:DWORD dst_unused:UNUSED_PAD src0_sel:WORD_0
	;;#ASMSTART
	v_pk_mul_f32 v[14:15], v[32:33], v[10:11]
	;;#ASMEND
	;;#ASMSTART
	v_pk_mul_f32 v[16:17], v[28:29], v[10:11]
	;;#ASMEND
	v_cvt_f32_u32_sdwa v29, v7 dst_sel:DWORD dst_unused:UNUSED_PAD src0_sel:WORD_1
	v_cvt_f32_u32_sdwa v28, v7 dst_sel:DWORD dst_unused:UNUSED_PAD src0_sel:WORD_0
	;;#ASMSTART
	v_pk_mul_f32 v[30:31], v[30:31], v[10:11]
	;;#ASMEND
	;;#ASMSTART
	v_pk_mul_f32 v[24:25], v[24:25], v[10:11]
	;;#ASMEND
	;; [unrolled: 3-line block ×5, first 2 shown]
	v_pk_add_f32 v[10:11], v[18:19], 1.0 op_sel_hi:[1,0]
	;;#ASMSTART
	v_pk_mul_f32 v[18:19], v[12:13], v[10:11]
	;;#ASMEND
	v_cvt_f32_u32_sdwa v13, v8 dst_sel:DWORD dst_unused:UNUSED_PAD src0_sel:WORD_1
	v_cvt_f32_u32_sdwa v12, v8 dst_sel:DWORD dst_unused:UNUSED_PAD src0_sel:WORD_0
	v_cvt_f32_u32_sdwa v21, v9 dst_sel:DWORD dst_unused:UNUSED_PAD src0_sel:WORD_1
	v_cvt_f32_u32_sdwa v20, v9 dst_sel:DWORD dst_unused:UNUSED_PAD src0_sel:WORD_0
	v_pk_add_f32 v[10:11], v[28:29], 1.0 op_sel_hi:[1,0]
	;;#ASMSTART
	v_pk_mul_f32 v[32:33], v[14:15], v[10:11]
	;;#ASMEND
	s_waitcnt vmcnt(0)
	v_cvt_f32_u32_sdwa v11, v2 dst_sel:DWORD dst_unused:UNUSED_PAD src0_sel:WORD_1
	v_cvt_f32_u32_sdwa v10, v2 dst_sel:DWORD dst_unused:UNUSED_PAD src0_sel:WORD_0
	v_pk_add_f32 v[8:9], v[12:13], 1.0 op_sel_hi:[1,0]
	;;#ASMSTART
	v_pk_mul_f32 v[28:29], v[16:17], v[8:9]
	;;#ASMEND
	v_pk_add_f32 v[8:9], v[20:21], 1.0 op_sel_hi:[1,0]
	v_cvt_f32_u32_sdwa v13, v3 dst_sel:DWORD dst_unused:UNUSED_PAD src0_sel:WORD_1
	v_cvt_f32_u32_sdwa v12, v3 dst_sel:DWORD dst_unused:UNUSED_PAD src0_sel:WORD_0
	;;#ASMSTART
	v_pk_mul_f32 v[30:31], v[30:31], v[8:9]
	;;#ASMEND
	v_cvt_f32_u32_sdwa v9, v4 dst_sel:DWORD dst_unused:UNUSED_PAD src0_sel:WORD_1
	v_cvt_f32_u32_sdwa v8, v4 dst_sel:DWORD dst_unused:UNUSED_PAD src0_sel:WORD_0
	v_pk_add_f32 v[2:3], v[10:11], 1.0 op_sel_hi:[1,0]
	v_cvt_f32_u32_sdwa v11, v5 dst_sel:DWORD dst_unused:UNUSED_PAD src0_sel:WORD_1
	v_cvt_f32_u32_sdwa v10, v5 dst_sel:DWORD dst_unused:UNUSED_PAD src0_sel:WORD_0
	;;#ASMSTART
	v_pk_mul_f32 v[24:25], v[24:25], v[2:3]
	;;#ASMEND
	v_pk_add_f32 v[2:3], v[12:13], 1.0 op_sel_hi:[1,0]
	;;#ASMSTART
	v_pk_mul_f32 v[26:27], v[26:27], v[2:3]
	;;#ASMEND
	v_pk_add_f32 v[2:3], v[8:9], 1.0 op_sel_hi:[1,0]
	;; [unrolled: 4-line block ×3, first 2 shown]
	;;#ASMSTART
	v_pk_mul_f32 v[20:21], v[6:7], v[2:3]
	;;#ASMEND
.LBB62_9:
	s_or_b64 exec, exec, s[20:21]
	s_load_dword s7, s[4:5], 0x80
	s_mov_b64 s[20:21], -1
	s_and_b64 vcc, exec, s[10:11]
	s_cbranch_vccnz .LBB62_13
; %bb.10:
	s_andn2_b64 vcc, exec, s[20:21]
	s_cbranch_vccz .LBB62_16
.LBB62_11:
	s_cmp_lt_i32 s16, 1
	s_cbranch_scc0 .LBB62_25
.LBB62_12:
	s_endpgm
.LBB62_13:
	s_and_saveexec_b64 s[10:11], s[2:3]
	s_cbranch_execz .LBB62_15
; %bb.14:
	s_waitcnt lgkmcnt(0)
	s_mul_hi_i32 s21, s7, s6
	s_mul_i32 s20, s7, s6
	s_lshl_b64 s[20:21], s[20:21], 1
	s_add_u32 s20, s24, s20
	s_addc_u32 s12, s25, s21
	s_and_b32 s21, s12, 0xffff
	s_mov_b32 s12, 0x7060302
	s_mov_b32 s23, 0x20000
	s_waitcnt vmcnt(0)
	v_perm_b32 v5, v31, v30, s12
	v_perm_b32 v4, v29, v28, s12
	;; [unrolled: 1-line block ×4, first 2 shown]
	v_lshlrev_b32_e32 v6, 1, v1
	buffer_store_dwordx4 v[2:5], v6, s[20:23], 0 offen
	;;#ASMSTART
	s_nop 0
	;;#ASMEND
	s_nop 0
	v_perm_b32 v5, v21, v20, s12
	v_perm_b32 v4, v23, v22, s12
	;; [unrolled: 1-line block ×4, first 2 shown]
	s_movk_i32 s12, 0x400
	buffer_store_dwordx4 v[2:5], v6, s[20:23], s12 offen
	;;#ASMSTART
	s_nop 0
	;;#ASMEND
.LBB62_15:
	s_or_b64 exec, exec, s[10:11]
	s_cbranch_execnz .LBB62_11
.LBB62_16:
	s_waitcnt vmcnt(0)
	v_mov_b32_e32 v2, 0
	s_and_saveexec_b64 s[10:11], s[2:3]
	s_cbranch_execz .LBB62_18
; %bb.17:
	v_and_b32_e32 v2, 0x7fffffff, v18
	v_and_b32_e32 v3, 0x7fffffff, v19
	v_mov_b32_e32 v4, 0x2edbe6ff
	;;#ASMSTART
	v_max3_f32 v2, v4, v2, v3

	;;#ASMEND
	v_and_b32_e32 v3, 0x7fffffff, v32
	v_and_b32_e32 v4, 0x7fffffff, v33
	;;#ASMSTART
	v_max3_f32 v2, v2, v3, v4

	;;#ASMEND
	v_and_b32_e32 v3, 0x7fffffff, v28
	v_and_b32_e32 v4, 0x7fffffff, v29
	;;#ASMSTART
	v_max3_f32 v2, v2, v3, v4

	;;#ASMEND
	v_and_b32_e32 v3, 0x7fffffff, v30
	v_and_b32_e32 v4, 0x7fffffff, v31
	;;#ASMSTART
	v_max3_f32 v2, v2, v3, v4

	;;#ASMEND
	v_and_b32_e32 v3, 0x7fffffff, v24
	v_and_b32_e32 v4, 0x7fffffff, v25
	;;#ASMSTART
	v_max3_f32 v2, v2, v3, v4

	;;#ASMEND
	v_and_b32_e32 v3, 0x7fffffff, v26
	v_and_b32_e32 v4, 0x7fffffff, v27
	;;#ASMSTART
	v_max3_f32 v2, v2, v3, v4

	;;#ASMEND
	v_and_b32_e32 v3, 0x7fffffff, v22
	v_and_b32_e32 v4, 0x7fffffff, v23
	;;#ASMSTART
	v_max3_f32 v2, v2, v3, v4

	;;#ASMEND
	v_and_b32_e32 v3, 0x7fffffff, v20
	v_and_b32_e32 v4, 0x7fffffff, v21
	;;#ASMSTART
	v_max3_f32 v2, v2, v3, v4

	;;#ASMEND
.LBB62_18:
	s_or_b64 exec, exec, s[10:11]
	s_nop 0
	v_mov_b32_dpp v3, v2 quad_perm:[1,0,3,2] row_mask:0xf bank_mask:0xf
	v_cmp_gt_f32_e32 vcc, v2, v3
	v_cndmask_b32_e32 v2, v3, v2, vcc
	s_nop 1
	v_mov_b32_dpp v3, v2 quad_perm:[2,3,0,1] row_mask:0xf bank_mask:0xf
	v_cmp_gt_f32_e32 vcc, v2, v3
	v_cndmask_b32_e32 v2, v3, v2, vcc
	s_nop 1
	v_mov_b32_dpp v3, v2 row_half_mirror row_mask:0xf bank_mask:0xf
	v_cmp_gt_f32_e32 vcc, v2, v3
	v_cndmask_b32_e32 v2, v3, v2, vcc
	s_nop 1
	v_mov_b32_dpp v3, v2 row_mirror row_mask:0xf bank_mask:0xf
	v_cmp_gt_f32_e32 vcc, v2, v3
	v_cndmask_b32_e32 v2, v3, v2, vcc
	s_nop 1
	v_mov_b32_dpp v3, v2 row_bcast:15 row_mask:0xf bank_mask:0xf
	v_cmp_gt_f32_e32 vcc, v2, v3
	v_cndmask_b32_e32 v2, v3, v2, vcc
	s_nop 1
	v_mov_b32_dpp v3, v2 row_bcast:31 row_mask:0xf bank_mask:0xf
	s_and_saveexec_b64 s[10:11], s[0:1]
	s_cbranch_execz .LBB62_20
; %bb.19:
	v_cmp_gt_f32_e32 vcc, v2, v3
	v_cndmask_b32_e32 v2, v3, v2, vcc
	v_lshrrev_b32_e32 v3, 4, v0
	v_and_b32_e32 v3, 60, v3
	ds_write_b32 v3, v2
.LBB62_20:
	s_or_b64 exec, exec, s[10:11]
	s_waitcnt lgkmcnt(0)
	s_barrier
	ds_read_b32 v2, v34
	s_load_dwordx2 s[20:21], s[4:5], 0x70
	s_waitcnt lgkmcnt(0)
	v_mov_b32_dpp v3, v2 quad_perm:[1,0,3,2] row_mask:0xf bank_mask:0xf
	v_cmp_gt_f32_e32 vcc, v2, v3
	v_cndmask_b32_e32 v2, v3, v2, vcc
	s_nop 1
	v_mov_b32_dpp v3, v2 quad_perm:[2,3,0,1] row_mask:0xf bank_mask:0xf
	v_cmp_gt_f32_e32 vcc, v2, v3
	v_cndmask_b32_e32 v2, v3, v2, vcc
	v_mul_f32_e32 v2, 0x3b124925, v2
	v_cmp_eq_u32_e32 vcc, 0, v0
	s_and_saveexec_b64 s[10:11], vcc
	s_cbranch_execz .LBB62_22
; %bb.21:
	s_load_dwordx2 s[22:23], s[4:5], 0x8
	s_mul_hi_i32 s29, s21, s6
	s_mul_i32 s28, s21, s6
	s_lshl_b64 s[28:29], s[28:29], 2
	v_mov_b32_e32 v3, 0
	s_waitcnt lgkmcnt(0)
	s_add_u32 s22, s22, s28
	s_addc_u32 s23, s23, s29
	global_store_dword v3, v2, s[22:23]
.LBB62_22:
	s_or_b64 exec, exec, s[10:11]
	;;#ASMSTART
	v_rcp_f32 v2, v2
	;;#ASMEND
	s_and_saveexec_b64 s[10:11], s[2:3]
	s_cbranch_execz .LBB62_24
; %bb.23:
	s_load_dwordx2 s[2:3], s[4:5], 0x0
	s_mul_i32 s14, s20, s6
	s_mul_hi_i32 s12, s20, s6
	v_mov_b32_e32 v3, v2
	;;#ASMSTART
	v_pk_mul_f32 v[4:5], v[18:19], v[2:3]
	;;#ASMEND
	s_waitcnt lgkmcnt(0)
	s_add_u32 s20, s2, s14
	s_addc_u32 s2, s3, s12
	s_add_i32 s3, s15, 3
	s_ashr_i32 s12, s3, 31
	v_mov_b32_e32 v8, 0xc3e00000
	v_mov_b32_e32 v9, 0x43e00000
	;;#ASMSTART
	v_med3_f32 v4, v4, v8, v9
v_med3_f32 v5, v5, v8, v9
v_cvt_pk_fp8_f32 v6, v4, v5
	;;#ASMEND
	s_lshr_b32 s12, s12, 30
	;;#ASMSTART
	v_pk_mul_f32 v[4:5], v[32:33], v[2:3]
	;;#ASMEND
	s_add_i32 s3, s3, s12
	s_and_b32 s21, s2, 0xffff
	;;#ASMSTART
	v_med3_f32 v4, v4, v8, v9
v_med3_f32 v5, v5, v8, v9
v_cvt_pk_fp8_f32 v7, v4, v5
	;;#ASMEND
	s_mov_b32 s2, 0x5040100
	s_and_b32 s22, s3, -4
	v_perm_b32 v5, v7, v6, s2
	s_movk_i32 s3, 0xff
	v_and_b32_e32 v4, 0xffffff00, v7
	v_and_b32_sdwa v6, v5, s3 dst_sel:DWORD dst_unused:UNUSED_PAD src0_sel:WORD_1 src1_sel:DWORD
	s_mov_b32 s17, 0xffff
	v_or_b32_sdwa v4, v6, v4 dst_sel:WORD_1 dst_unused:UNUSED_PAD src0_sel:DWORD src1_sel:DWORD
	v_and_or_b32 v4, v5, s17, v4
	;;#ASMSTART
	v_pk_mul_f32 v[6:7], v[28:29], v[2:3]
	;;#ASMEND
	v_mov_b32_e32 v5, v6
	;;#ASMSTART
	v_med3_f32 v5, v5, v8, v9
v_med3_f32 v7, v7, v8, v9
v_cvt_pk_fp8_f32 v10, v5, v7
	;;#ASMEND
	;;#ASMSTART
	v_pk_mul_f32 v[6:7], v[30:31], v[2:3]
	;;#ASMEND
	v_mov_b32_e32 v5, v7
	;;#ASMSTART
	v_med3_f32 v6, v6, v8, v9
v_med3_f32 v5, v5, v8, v9
v_cvt_pk_fp8_f32 v7, v6, v5
	;;#ASMEND
	v_lshlrev_b32_e32 v5, 16, v7
	s_mov_b32 s23, 0x20000
	v_and_or_b32 v5, v10, s17, v5
	buffer_store_dwordx2 v[4:5], v1, s[20:23], 0 offen
	;;#ASMSTART
	s_nop 0
	;;#ASMEND
	;;#ASMSTART
	v_pk_mul_f32 v[4:5], v[24:25], v[2:3]
	;;#ASMEND
	;;#ASMSTART
	v_med3_f32 v4, v4, v8, v9
v_med3_f32 v5, v5, v8, v9
v_cvt_pk_fp8_f32 v6, v4, v5
	;;#ASMEND
	;;#ASMSTART
	v_pk_mul_f32 v[4:5], v[26:27], v[2:3]
	;;#ASMEND
	;;#ASMSTART
	v_med3_f32 v4, v4, v8, v9
v_med3_f32 v5, v5, v8, v9
v_cvt_pk_fp8_f32 v7, v4, v5
	;;#ASMEND
	v_perm_b32 v5, v7, v6, s2
	v_and_b32_e32 v4, 0xffffff00, v7
	v_and_b32_sdwa v6, v5, s3 dst_sel:DWORD dst_unused:UNUSED_PAD src0_sel:WORD_1 src1_sel:DWORD
	v_or_b32_sdwa v4, v6, v4 dst_sel:WORD_1 dst_unused:UNUSED_PAD src0_sel:DWORD src1_sel:DWORD
	v_and_or_b32 v4, v5, s17, v4
	;;#ASMSTART
	v_pk_mul_f32 v[6:7], v[22:23], v[2:3]
	;;#ASMEND
	v_mov_b32_e32 v5, v6
	;;#ASMSTART
	v_med3_f32 v5, v5, v8, v9
v_med3_f32 v7, v7, v8, v9
v_cvt_pk_fp8_f32 v6, v5, v7
	;;#ASMEND
	;;#ASMSTART
	v_pk_mul_f32 v[2:3], v[20:21], v[2:3]
	;;#ASMEND
	;;#ASMSTART
	v_med3_f32 v2, v2, v8, v9
v_med3_f32 v3, v3, v8, v9
v_cvt_pk_fp8_f32 v5, v2, v3
	;;#ASMEND
	v_lshlrev_b32_e32 v2, 16, v5
	v_and_or_b32 v5, v6, s17, v2
	s_movk_i32 s2, 0x200
	buffer_store_dwordx2 v[4:5], v1, s[20:23], s2 offen
	;;#ASMSTART
	s_nop 0
	;;#ASMEND
.LBB62_24:
	s_or_b64 exec, exec, s[10:11]
	s_cmp_lt_i32 s16, 1
	s_cbranch_scc1 .LBB62_12
.LBB62_25:
	s_load_dword s2, s[4:5], 0x94
	s_waitcnt lgkmcnt(0)
	s_cmp_lg_u32 s2, 1
	s_cbranch_scc1 .LBB62_12
; %bb.26:
	s_lshl_b32 s2, s16, 1
	s_add_i32 s2, s2, 2
	v_cmp_gt_u32_e32 vcc, s16, v1
	s_and_b32 s10, s2, -4
	v_mov_b32_e32 v18, 0
	v_lshlrev_b32_e32 v1, 1, v1
	v_mov_b32_e32 v14, 0
	v_mov_b32_e32 v15, 0
	v_mov_b32_e32 v16, 0
	v_mov_b32_e32 v17, 0
	v_mov_b32_e32 v10, 0
	v_mov_b32_e32 v11, 0
	v_mov_b32_e32 v12, 0
	v_mov_b32_e32 v13, 0
	s_waitcnt vmcnt(1)
	v_mov_b32_e32 v6, 0
	v_mov_b32_e32 v7, 0
	;; [unrolled: 1-line block ×4, first 2 shown]
	s_waitcnt vmcnt(0)
	v_mov_b32_e32 v2, 0
	v_mov_b32_e32 v3, 0
	;; [unrolled: 1-line block ×4, first 2 shown]
	s_barrier
	s_and_saveexec_b64 s[2:3], vcc
	s_cbranch_execz .LBB62_28
; %bb.27:
	s_mul_hi_i32 s5, s18, s6
	s_mul_i32 s4, s18, s6
	s_and_b32 s9, s9, 0xffff
	s_lshl_b64 s[4:5], s[4:5], 1
	s_add_u32 s20, s26, s4
	s_mov_b32 s11, 0x20000
	s_addc_u32 s4, s27, s5
	s_and_b32 s21, s4, 0xffff
	s_mov_b32 s22, s10
	s_mov_b32 s23, s11
	s_movk_i32 s4, 0x400
	buffer_load_dwordx4 v[14:17], v1, s[20:23], 0 offen glc slc
	buffer_load_dwordx4 v[10:13], v1, s[20:23], s4 offen glc slc
	buffer_load_dwordx4 v[6:9], v1, s[8:11], 0 offen
	buffer_load_dwordx4 v[2:5], v1, s[8:11], s4 offen
.LBB62_28:
	s_or_b64 exec, exec, s[2:3]
	v_mov_b32_e32 v19, 0
	v_mov_b32_e32 v32, 0
	;; [unrolled: 1-line block ×15, first 2 shown]
	s_and_saveexec_b64 s[2:3], vcc
	s_cbranch_execz .LBB62_30
; %bb.29:
	s_waitcnt vmcnt(3)
	v_cvt_f32_u32_sdwa v18, v14 dst_sel:DWORD dst_unused:UNUSED_PAD src0_sel:WORD_0
	v_cvt_f32_u32_sdwa v19, v14 dst_sel:DWORD dst_unused:UNUSED_PAD src0_sel:WORD_1
	v_cvt_f32_u32_sdwa v32, v15 dst_sel:DWORD dst_unused:UNUSED_PAD src0_sel:WORD_0
	v_cvt_f32_u32_sdwa v33, v15 dst_sel:DWORD dst_unused:UNUSED_PAD src0_sel:WORD_1
	;; [unrolled: 2-line block ×4, first 2 shown]
	s_waitcnt vmcnt(2)
	v_cvt_f32_u32_sdwa v26, v10 dst_sel:DWORD dst_unused:UNUSED_PAD src0_sel:WORD_0
	v_cvt_f32_u32_sdwa v27, v10 dst_sel:DWORD dst_unused:UNUSED_PAD src0_sel:WORD_1
	v_cvt_f32_u32_sdwa v24, v11 dst_sel:DWORD dst_unused:UNUSED_PAD src0_sel:WORD_0
	v_cvt_f32_u32_sdwa v25, v11 dst_sel:DWORD dst_unused:UNUSED_PAD src0_sel:WORD_1
	;; [unrolled: 2-line block ×4, first 2 shown]
.LBB62_30:
	s_or_b64 exec, exec, s[2:3]
	s_waitcnt vmcnt(2)
	v_mul_f32_e32 v10, v19, v19
	v_fmac_f32_e32 v10, v18, v18
	v_fmac_f32_e32 v10, v32, v32
	v_fmac_f32_e32 v10, v33, v33
	v_fmac_f32_e32 v10, v30, v30
	v_fmac_f32_e32 v10, v31, v31
	v_fmac_f32_e32 v10, v28, v28
	v_fmac_f32_e32 v10, v29, v29
	v_fmac_f32_e32 v10, v26, v26
	v_fmac_f32_e32 v10, v27, v27
	v_fmac_f32_e32 v10, v24, v24
	v_fmac_f32_e32 v10, v25, v25
	v_fmac_f32_e32 v10, v22, v22
	v_fmac_f32_e32 v10, v23, v23
	v_fmac_f32_e32 v10, v20, v20
	v_fmac_f32_e32 v10, v21, v21
	s_nop 1
	v_mov_b32_dpp v11, v10 quad_perm:[1,0,3,2] row_mask:0xf bank_mask:0xf
	v_add_f32_e32 v10, v10, v11
	s_nop 1
	v_mov_b32_dpp v11, v10 quad_perm:[2,3,0,1] row_mask:0xf bank_mask:0xf
	v_add_f32_e32 v10, v10, v11
	s_nop 1
	v_mov_b32_dpp v11, v10 row_half_mirror row_mask:0xf bank_mask:0xf
	v_add_f32_e32 v10, v10, v11
	s_nop 1
	v_mov_b32_dpp v11, v10 row_mirror row_mask:0xf bank_mask:0xf
	v_add_f32_e32 v10, v10, v11
	s_nop 1
	v_mov_b32_dpp v11, v10 row_bcast:15 row_mask:0xf bank_mask:0xf
	v_add_f32_e32 v10, v10, v11
	s_nop 1
	v_mov_b32_dpp v11, v10 row_bcast:31 row_mask:0xf bank_mask:0xf
	s_and_saveexec_b64 s[2:3], s[0:1]
	s_cbranch_execz .LBB62_32
; %bb.31:
	v_lshrrev_b32_e32 v0, 4, v0
	v_add_f32_e32 v10, v10, v11
	v_and_b32_e32 v0, 60, v0
	ds_write_b32 v0, v10 offset:16
.LBB62_32:
	s_or_b64 exec, exec, s[2:3]
	s_waitcnt lgkmcnt(0)
	s_barrier
	ds_read_b32 v0, v34 offset:16
	s_waitcnt lgkmcnt(0)
	s_nop 0
	v_mov_b32_dpp v10, v0 quad_perm:[1,0,3,2] row_mask:0xf bank_mask:0xf
	v_add_f32_e32 v0, v0, v10
	s_nop 1
	v_mov_b32_dpp v10, v0 quad_perm:[2,3,0,1] row_mask:0xf bank_mask:0xf
	s_and_saveexec_b64 s[0:1], vcc
	s_cbranch_execz .LBB62_12
; %bb.33:
	v_cvt_f32_u32_e32 v11, s16
	v_add_f32_e32 v0, v0, v10
	s_mov_b32 s11, 0x20000
	v_div_scale_f32 v10, s[0:1], v11, v11, v0
	v_rcp_f32_e32 v12, v10
	v_div_scale_f32 v13, vcc, v0, v11, v0
	s_mov_b32 s0, 0x800000
	v_fma_f32 v14, -v10, v12, 1.0
	v_fmac_f32_e32 v12, v14, v12
	v_mul_f32_e32 v14, v13, v12
	v_fma_f32 v15, -v10, v14, v13
	v_fmac_f32_e32 v14, v15, v12
	v_fma_f32 v10, -v10, v14, v13
	v_div_fmas_f32 v10, v10, v12, v14
	v_div_fixup_f32 v0, v10, v11, v0
	v_add_f32_e32 v0, s13, v0
	v_mul_f32_e32 v10, 0x4b800000, v0
	v_cmp_gt_f32_e32 vcc, s0, v0
	v_cndmask_b32_e32 v0, v0, v10, vcc
	v_rsq_f32_e32 v0, v0
	s_mul_hi_i32 s1, s7, s6
	s_mul_i32 s0, s7, s6
	s_lshl_b64 s[0:1], s[0:1], 1
	v_mul_f32_e32 v10, 0x45800000, v0
	v_cndmask_b32_e32 v10, v0, v10, vcc
	v_mov_b32_e32 v11, v10
	;;#ASMSTART
	v_pk_mul_f32 v[12:13], v[18:19], v[10:11]
	;;#ASMEND
	;;#ASMSTART
	v_pk_mul_f32 v[14:15], v[32:33], v[10:11]
	;;#ASMEND
	;; [unrolled: 3-line block ×4, first 2 shown]
	s_waitcnt vmcnt(1)
	v_cvt_f32_u32_sdwa v29, v6 dst_sel:DWORD dst_unused:UNUSED_PAD src0_sel:WORD_1
	v_cvt_f32_u32_sdwa v28, v6 dst_sel:DWORD dst_unused:UNUSED_PAD src0_sel:WORD_0
	v_cvt_f32_u32_sdwa v31, v7 dst_sel:DWORD dst_unused:UNUSED_PAD src0_sel:WORD_1
	v_cvt_f32_u32_sdwa v30, v7 dst_sel:DWORD dst_unused:UNUSED_PAD src0_sel:WORD_0
	;;#ASMSTART
	v_pk_mul_f32 v[26:27], v[26:27], v[10:11]
	;;#ASMEND
	;;#ASMSTART
	v_pk_mul_f32 v[24:25], v[24:25], v[10:11]
	;;#ASMEND
	;; [unrolled: 3-line block ×4, first 2 shown]
	v_cvt_f32_u32_sdwa v21, v8 dst_sel:DWORD dst_unused:UNUSED_PAD src0_sel:WORD_1
	v_cvt_f32_u32_sdwa v20, v8 dst_sel:DWORD dst_unused:UNUSED_PAD src0_sel:WORD_0
	v_pk_add_f32 v[10:11], v[28:29], 1.0 op_sel_hi:[1,0]
	;;#ASMSTART
	v_pk_mul_f32 v[10:11], v[12:13], v[10:11]
	;;#ASMEND
	v_pk_add_f32 v[12:13], v[30:31], 1.0 op_sel_hi:[1,0]
	v_cvt_f32_u32_sdwa v29, v9 dst_sel:DWORD dst_unused:UNUSED_PAD src0_sel:WORD_1
	v_cvt_f32_u32_sdwa v28, v9 dst_sel:DWORD dst_unused:UNUSED_PAD src0_sel:WORD_0
	;;#ASMSTART
	v_pk_mul_f32 v[8:9], v[14:15], v[12:13]
	;;#ASMEND
	v_pk_add_f32 v[12:13], v[20:21], 1.0 op_sel_hi:[1,0]
	;;#ASMSTART
	v_pk_mul_f32 v[12:13], v[16:17], v[12:13]
	;;#ASMEND
	s_waitcnt vmcnt(0)
	v_cvt_f32_u32_sdwa v17, v2 dst_sel:DWORD dst_unused:UNUSED_PAD src0_sel:WORD_1
	v_cvt_f32_u32_sdwa v16, v2 dst_sel:DWORD dst_unused:UNUSED_PAD src0_sel:WORD_0
	v_cvt_f32_u32_sdwa v21, v3 dst_sel:DWORD dst_unused:UNUSED_PAD src0_sel:WORD_1
	v_cvt_f32_u32_sdwa v20, v3 dst_sel:DWORD dst_unused:UNUSED_PAD src0_sel:WORD_0
	v_pk_add_f32 v[14:15], v[28:29], 1.0 op_sel_hi:[1,0]
	;;#ASMSTART
	v_pk_mul_f32 v[14:15], v[18:19], v[14:15]
	;;#ASMEND
	v_pk_add_f32 v[2:3], v[16:17], 1.0 op_sel_hi:[1,0]
	v_cvt_f32_u32_sdwa v19, v4 dst_sel:DWORD dst_unused:UNUSED_PAD src0_sel:WORD_1
	v_cvt_f32_u32_sdwa v18, v4 dst_sel:DWORD dst_unused:UNUSED_PAD src0_sel:WORD_0
	;;#ASMSTART
	v_pk_mul_f32 v[16:17], v[26:27], v[2:3]
	;;#ASMEND
	v_pk_add_f32 v[2:3], v[20:21], 1.0 op_sel_hi:[1,0]
	v_cvt_f32_u32_sdwa v21, v5 dst_sel:DWORD dst_unused:UNUSED_PAD src0_sel:WORD_1
	v_cvt_f32_u32_sdwa v20, v5 dst_sel:DWORD dst_unused:UNUSED_PAD src0_sel:WORD_0
	s_add_u32 s8, s24, s0
	;;#ASMSTART
	v_pk_mul_f32 v[24:25], v[24:25], v[2:3]
	;;#ASMEND
	v_pk_add_f32 v[2:3], v[18:19], 1.0 op_sel_hi:[1,0]
	s_addc_u32 s0, s25, s1
	;;#ASMSTART
	v_pk_mul_f32 v[18:19], v[22:23], v[2:3]
	;;#ASMEND
	v_pk_add_f32 v[2:3], v[20:21], 1.0 op_sel_hi:[1,0]
	s_and_b32 s9, s0, 0xffff
	s_mov_b32 s0, 0x7060302
	;;#ASMSTART
	v_pk_mul_f32 v[6:7], v[6:7], v[2:3]
	;;#ASMEND
	v_perm_b32 v2, v11, v10, s0
	v_perm_b32 v3, v9, v8, s0
	;; [unrolled: 1-line block ×4, first 2 shown]
	buffer_store_dwordx4 v[2:5], v1, s[8:11], 0 offen
	;;#ASMSTART
	s_nop 0
	;;#ASMEND
	s_nop 0
	v_perm_b32 v2, v17, v16, s0
	v_perm_b32 v3, v25, v24, s0
	;; [unrolled: 1-line block ×4, first 2 shown]
	s_movk_i32 s0, 0x400
	buffer_store_dwordx4 v[2:5], v1, s[8:11], s0 offen
	;;#ASMSTART
	s_nop 0
	;;#ASMEND
	s_endpgm
	.section	.rodata,"a",@progbits
	.p2align	6, 0x0
	.amdhsa_kernel _ZN5aiter35fused_qk_rmsnorm_group_quant_kernelItDB8_Li256ELi16ELi1ELb0ELb0ELb1ELb0ELb1ELb1EEEvPT0_PvPT_S6_S6_PKS5_S8_S8_S8_S8_ffiiiiiiiiiiiii
		.amdhsa_group_segment_fixed_size 48
		.amdhsa_private_segment_fixed_size 0
		.amdhsa_kernarg_size 400
		.amdhsa_user_sgpr_count 6
		.amdhsa_user_sgpr_private_segment_buffer 1
		.amdhsa_user_sgpr_dispatch_ptr 0
		.amdhsa_user_sgpr_queue_ptr 0
		.amdhsa_user_sgpr_kernarg_segment_ptr 1
		.amdhsa_user_sgpr_dispatch_id 0
		.amdhsa_user_sgpr_flat_scratch_init 0
		.amdhsa_user_sgpr_kernarg_preload_length 0
		.amdhsa_user_sgpr_kernarg_preload_offset 0
		.amdhsa_user_sgpr_private_segment_size 0
		.amdhsa_uses_dynamic_stack 0
		.amdhsa_system_sgpr_private_segment_wavefront_offset 0
		.amdhsa_system_sgpr_workgroup_id_x 1
		.amdhsa_system_sgpr_workgroup_id_y 1
		.amdhsa_system_sgpr_workgroup_id_z 0
		.amdhsa_system_sgpr_workgroup_info 0
		.amdhsa_system_vgpr_workitem_id 0
		.amdhsa_next_free_vgpr 35
		.amdhsa_next_free_sgpr 32
		.amdhsa_accum_offset 36
		.amdhsa_reserve_vcc 1
		.amdhsa_reserve_flat_scratch 0
		.amdhsa_float_round_mode_32 0
		.amdhsa_float_round_mode_16_64 0
		.amdhsa_float_denorm_mode_32 3
		.amdhsa_float_denorm_mode_16_64 3
		.amdhsa_dx10_clamp 1
		.amdhsa_ieee_mode 1
		.amdhsa_fp16_overflow 0
		.amdhsa_tg_split 0
		.amdhsa_exception_fp_ieee_invalid_op 0
		.amdhsa_exception_fp_denorm_src 0
		.amdhsa_exception_fp_ieee_div_zero 0
		.amdhsa_exception_fp_ieee_overflow 0
		.amdhsa_exception_fp_ieee_underflow 0
		.amdhsa_exception_fp_ieee_inexact 0
		.amdhsa_exception_int_div_zero 0
	.end_amdhsa_kernel
	.section	.text._ZN5aiter35fused_qk_rmsnorm_group_quant_kernelItDB8_Li256ELi16ELi1ELb0ELb0ELb1ELb0ELb1ELb1EEEvPT0_PvPT_S6_S6_PKS5_S8_S8_S8_S8_ffiiiiiiiiiiiii,"axG",@progbits,_ZN5aiter35fused_qk_rmsnorm_group_quant_kernelItDB8_Li256ELi16ELi1ELb0ELb0ELb1ELb0ELb1ELb1EEEvPT0_PvPT_S6_S6_PKS5_S8_S8_S8_S8_ffiiiiiiiiiiiii,comdat
.Lfunc_end62:
	.size	_ZN5aiter35fused_qk_rmsnorm_group_quant_kernelItDB8_Li256ELi16ELi1ELb0ELb0ELb1ELb0ELb1ELb1EEEvPT0_PvPT_S6_S6_PKS5_S8_S8_S8_S8_ffiiiiiiiiiiiii, .Lfunc_end62-_ZN5aiter35fused_qk_rmsnorm_group_quant_kernelItDB8_Li256ELi16ELi1ELb0ELb0ELb1ELb0ELb1ELb1EEEvPT0_PvPT_S6_S6_PKS5_S8_S8_S8_S8_ffiiiiiiiiiiiii
                                        ; -- End function
	.section	.AMDGPU.csdata,"",@progbits
; Kernel info:
; codeLenInByte = 3836
; NumSgprs: 36
; NumVgprs: 35
; NumAgprs: 0
; TotalNumVgprs: 35
; ScratchSize: 0
; MemoryBound: 0
; FloatMode: 240
; IeeeMode: 1
; LDSByteSize: 48 bytes/workgroup (compile time only)
; SGPRBlocks: 4
; VGPRBlocks: 4
; NumSGPRsForWavesPerEU: 36
; NumVGPRsForWavesPerEU: 35
; AccumOffset: 36
; Occupancy: 8
; WaveLimiterHint : 0
; COMPUTE_PGM_RSRC2:SCRATCH_EN: 0
; COMPUTE_PGM_RSRC2:USER_SGPR: 6
; COMPUTE_PGM_RSRC2:TRAP_HANDLER: 0
; COMPUTE_PGM_RSRC2:TGID_X_EN: 1
; COMPUTE_PGM_RSRC2:TGID_Y_EN: 1
; COMPUTE_PGM_RSRC2:TGID_Z_EN: 0
; COMPUTE_PGM_RSRC2:TIDIG_COMP_CNT: 0
; COMPUTE_PGM_RSRC3_GFX90A:ACCUM_OFFSET: 8
; COMPUTE_PGM_RSRC3_GFX90A:TG_SPLIT: 0
	.section	.text._ZN5aiter35fused_qk_rmsnorm_group_quant_kernelIDF16_DB8_Li256ELi16ELi1ELb0ELb0ELb0ELb0ELb1ELb1EEEvPT0_PvPT_S6_S6_PKS5_S8_S8_S8_S8_ffiiiiiiiiiiiii,"axG",@progbits,_ZN5aiter35fused_qk_rmsnorm_group_quant_kernelIDF16_DB8_Li256ELi16ELi1ELb0ELb0ELb0ELb0ELb1ELb1EEEvPT0_PvPT_S6_S6_PKS5_S8_S8_S8_S8_ffiiiiiiiiiiiii,comdat
	.protected	_ZN5aiter35fused_qk_rmsnorm_group_quant_kernelIDF16_DB8_Li256ELi16ELi1ELb0ELb0ELb0ELb0ELb1ELb1EEEvPT0_PvPT_S6_S6_PKS5_S8_S8_S8_S8_ffiiiiiiiiiiiii ; -- Begin function _ZN5aiter35fused_qk_rmsnorm_group_quant_kernelIDF16_DB8_Li256ELi16ELi1ELb0ELb0ELb0ELb0ELb1ELb1EEEvPT0_PvPT_S6_S6_PKS5_S8_S8_S8_S8_ffiiiiiiiiiiiii
	.globl	_ZN5aiter35fused_qk_rmsnorm_group_quant_kernelIDF16_DB8_Li256ELi16ELi1ELb0ELb0ELb0ELb0ELb1ELb1EEEvPT0_PvPT_S6_S6_PKS5_S8_S8_S8_S8_ffiiiiiiiiiiiii
	.p2align	8
	.type	_ZN5aiter35fused_qk_rmsnorm_group_quant_kernelIDF16_DB8_Li256ELi16ELi1ELb0ELb0ELb0ELb0ELb1ELb1EEEvPT0_PvPT_S6_S6_PKS5_S8_S8_S8_S8_ffiiiiiiiiiiiii,@function
_ZN5aiter35fused_qk_rmsnorm_group_quant_kernelIDF16_DB8_Li256ELi16ELi1ELb0ELb0ELb0ELb0ELb1ELb1EEEvPT0_PvPT_S6_S6_PKS5_S8_S8_S8_S8_ffiiiiiiiiiiiii: ; @_ZN5aiter35fused_qk_rmsnorm_group_quant_kernelIDF16_DB8_Li256ELi16ELi1ELb0ELb0ELb0ELb0ELb1ELb1EEEvPT0_PvPT_S6_S6_PKS5_S8_S8_S8_S8_ffiiiiiiiiiiiii
; %bb.0:
	s_load_dwordx4 s[12:15], s[4:5], 0x50
	s_waitcnt lgkmcnt(0)
	s_cmp_ge_i32 s6, s14
	s_cbranch_scc1 .LBB63_12
; %bb.1:
	s_load_dwordx2 s[8:9], s[4:5], 0x48
	s_load_dwordx2 s[26:27], s[4:5], 0x30
	s_load_dwordx4 s[16:19], s[4:5], 0x60
	s_cmp_lg_u32 s7, 0
	s_cselect_b64 s[10:11], -1, 0
	s_cmp_eq_u32 s7, 0
	s_cselect_b64 vcc, -1, 0
	s_and_b64 s[0:1], vcc, exec
	s_waitcnt lgkmcnt(0)
	s_cselect_b32 s7, s15, s16
	s_add_i32 s0, s7, 1
	s_lshr_b32 s1, s0, 31
	s_add_i32 s0, s0, s1
	s_lshl_b32 s0, s0, 1
	v_lshlrev_b32_e32 v2, 4, v0
	s_and_b32 s22, s0, -4
	v_lshlrev_b32_e32 v1, 3, v0
	v_and_b32_e32 v2, 0x3c00, v2
	s_movk_i32 s0, 0x1f8
	v_and_or_b32 v1, v1, s0, v2
	v_cmp_gt_i32_e64 s[2:3], s7, v1
	v_mov_b32_e32 v18, 0
	v_mov_b32_e32 v6, 0
	;; [unrolled: 1-line block ×17, first 2 shown]
	s_and_saveexec_b64 s[0:1], s[2:3]
	s_cbranch_execz .LBB63_3
; %bb.2:
	s_load_dwordx2 s[20:21], s[4:5], 0x28
	s_load_dwordx2 s[24:25], s[4:5], 0x40
	s_and_b64 s[28:29], vcc, exec
	s_cselect_b32 s14, s17, s18
	s_mov_b32 s23, 0x20000
	s_waitcnt lgkmcnt(0)
	s_cselect_b32 s17, s21, s27
	s_cselect_b32 s19, s20, s26
	s_mul_hi_i32 s21, s14, s6
	s_mul_i32 s20, s14, s6
	s_lshl_b64 s[20:21], s[20:21], 1
	s_add_u32 s28, s19, s20
	s_addc_u32 s14, s17, s21
	s_and_b64 s[20:21], vcc, exec
	s_cselect_b32 s20, s24, s8
	s_cselect_b32 s17, s25, s9
	s_and_b32 s29, s14, 0xffff
	s_mov_b32 s30, s22
	s_mov_b32 s31, s23
	v_lshlrev_b32_e32 v19, 1, v1
	s_and_b32 s21, s17, 0xffff
	s_movk_i32 s14, 0x400
	buffer_load_dwordx4 v[14:17], v19, s[28:31], 0 offen glc slc
	buffer_load_dwordx4 v[10:13], v19, s[28:31], s14 offen glc slc
	buffer_load_dwordx4 v[6:9], v19, s[20:23], 0 offen
	buffer_load_dwordx4 v[2:5], v19, s[20:23], s14 offen
.LBB63_3:
	s_or_b64 exec, exec, s[0:1]
	v_mov_b32_e32 v19, 0
	v_mov_b32_e32 v32, 0
	;; [unrolled: 1-line block ×15, first 2 shown]
	s_and_saveexec_b64 s[0:1], s[2:3]
	s_cbranch_execz .LBB63_5
; %bb.4:
	s_waitcnt vmcnt(3)
	v_cvt_f32_f16_sdwa v19, v14 dst_sel:DWORD dst_unused:UNUSED_PAD src0_sel:WORD_1
	v_cvt_f32_f16_e32 v18, v14
	v_cvt_f32_f16_sdwa v33, v15 dst_sel:DWORD dst_unused:UNUSED_PAD src0_sel:WORD_1
	v_cvt_f32_f16_e32 v32, v15
	;; [unrolled: 2-line block ×4, first 2 shown]
	s_waitcnt vmcnt(2)
	v_cvt_f32_f16_sdwa v31, v10 dst_sel:DWORD dst_unused:UNUSED_PAD src0_sel:WORD_1
	v_cvt_f32_f16_e32 v30, v10
	v_cvt_f32_f16_sdwa v27, v11 dst_sel:DWORD dst_unused:UNUSED_PAD src0_sel:WORD_1
	v_cvt_f32_f16_e32 v26, v11
	;; [unrolled: 2-line block ×4, first 2 shown]
.LBB63_5:
	s_or_b64 exec, exec, s[0:1]
	s_waitcnt vmcnt(2)
	v_mul_f32_e32 v10, v19, v19
	v_fmac_f32_e32 v10, v18, v18
	v_fmac_f32_e32 v10, v32, v32
	;; [unrolled: 1-line block ×15, first 2 shown]
	v_and_b32_e32 v12, 63, v0
	v_cmp_eq_u32_e64 s[0:1], 63, v12
	v_mov_b32_dpp v11, v10 quad_perm:[1,0,3,2] row_mask:0xf bank_mask:0xf
	v_add_f32_e32 v10, v10, v11
	s_nop 1
	v_mov_b32_dpp v11, v10 quad_perm:[2,3,0,1] row_mask:0xf bank_mask:0xf
	v_add_f32_e32 v10, v10, v11
	s_nop 1
	v_mov_b32_dpp v11, v10 row_half_mirror row_mask:0xf bank_mask:0xf
	v_add_f32_e32 v10, v10, v11
	s_nop 1
	v_mov_b32_dpp v11, v10 row_mirror row_mask:0xf bank_mask:0xf
	v_add_f32_e32 v10, v10, v11
	s_nop 1
	v_mov_b32_dpp v11, v10 row_bcast:15 row_mask:0xf bank_mask:0xf
	v_add_f32_e32 v10, v10, v11
	s_nop 1
	v_mov_b32_dpp v11, v10 row_bcast:31 row_mask:0xf bank_mask:0xf
	s_and_saveexec_b64 s[20:21], s[0:1]
	s_cbranch_execz .LBB63_7
; %bb.6:
	v_add_f32_e32 v10, v10, v11
	v_lshrrev_b32_e32 v11, 4, v0
	v_and_b32_e32 v11, 60, v11
	ds_write_b32 v11, v10 offset:32
.LBB63_7:
	s_or_b64 exec, exec, s[20:21]
	v_and_b32_e32 v10, 3, v0
	v_lshlrev_b32_e32 v34, 2, v10
	s_waitcnt lgkmcnt(0)
	s_barrier
	ds_read_b32 v10, v34 offset:32
	s_load_dwordx2 s[24:25], s[4:5], 0x18
	s_waitcnt lgkmcnt(0)
	v_mov_b32_dpp v11, v10 quad_perm:[1,0,3,2] row_mask:0xf bank_mask:0xf
	v_add_f32_e32 v10, v10, v11
	s_nop 1
	v_mov_b32_dpp v11, v10 quad_perm:[2,3,0,1] row_mask:0xf bank_mask:0xf
	s_and_saveexec_b64 s[20:21], s[2:3]
	s_cbranch_execz .LBB63_9
; %bb.8:
	v_cvt_f32_u32_e32 v12, s7
	v_add_f32_e32 v10, v10, v11
	v_mov_b32_e32 v14, s13
	v_mov_b32_e32 v15, s12
	v_div_scale_f32 v11, s[28:29], v12, v12, v10
	v_rcp_f32_e32 v13, v11
	v_cndmask_b32_e32 v14, v14, v15, vcc
	s_mov_b32 s7, 0x800000
	s_waitcnt vmcnt(1)
	v_cvt_f32_f16_sdwa v37, v9 dst_sel:DWORD dst_unused:UNUSED_PAD src0_sel:WORD_1
	v_fma_f32 v15, -v11, v13, 1.0
	v_fmac_f32_e32 v13, v15, v13
	v_div_scale_f32 v15, vcc, v10, v12, v10
	v_mul_f32_e32 v16, v15, v13
	v_fma_f32 v17, -v11, v16, v15
	v_fmac_f32_e32 v16, v17, v13
	v_fma_f32 v11, -v11, v16, v15
	v_div_fmas_f32 v11, v11, v13, v16
	v_div_fixup_f32 v10, v11, v12, v10
	v_add_f32_e32 v10, v14, v10
	v_mul_f32_e32 v11, 0x4b800000, v10
	v_cmp_gt_f32_e32 vcc, s7, v10
	v_cndmask_b32_e32 v10, v10, v11, vcc
	v_rsq_f32_e32 v10, v10
	v_cvt_f32_f16_e32 v36, v9
	s_waitcnt vmcnt(0)
	v_cvt_f32_f16_sdwa v9, v3 dst_sel:DWORD dst_unused:UNUSED_PAD src0_sel:WORD_1
	v_mul_f32_e32 v11, 0x45800000, v10
	v_cndmask_b32_e32 v10, v10, v11, vcc
	v_mov_b32_e32 v11, v10
	;;#ASMSTART
	v_pk_mul_f32 v[12:13], v[18:19], v[10:11]
	;;#ASMEND
	;;#ASMSTART
	v_pk_mul_f32 v[14:15], v[32:33], v[10:11]
	;;#ASMEND
	;; [unrolled: 3-line block ×8, first 2 shown]
	v_cvt_f32_f16_sdwa v19, v6 dst_sel:DWORD dst_unused:UNUSED_PAD src0_sel:WORD_1
	v_cvt_f32_f16_e32 v18, v6
	v_cvt_f32_f16_sdwa v21, v7 dst_sel:DWORD dst_unused:UNUSED_PAD src0_sel:WORD_1
	v_cvt_f32_f16_e32 v20, v7
	;; [unrolled: 2-line block ×3, first 2 shown]
	;;#ASMSTART
	v_pk_mul_f32 v[18:19], v[12:13], v[18:19]
	;;#ASMEND
	;;#ASMSTART
	v_pk_mul_f32 v[32:33], v[14:15], v[20:21]
	;;#ASMEND
	;; [unrolled: 3-line block ×4, first 2 shown]
	v_cvt_f32_f16_sdwa v7, v2 dst_sel:DWORD dst_unused:UNUSED_PAD src0_sel:WORD_1
	v_cvt_f32_f16_e32 v6, v2
	v_cvt_f32_f16_e32 v8, v3
	v_cvt_f32_f16_sdwa v3, v4 dst_sel:DWORD dst_unused:UNUSED_PAD src0_sel:WORD_1
	v_cvt_f32_f16_e32 v2, v4
	v_cvt_f32_f16_sdwa v13, v5 dst_sel:DWORD dst_unused:UNUSED_PAD src0_sel:WORD_1
	v_cvt_f32_f16_e32 v12, v5
	;;#ASMSTART
	v_pk_mul_f32 v[30:31], v[30:31], v[6:7]
	;;#ASMEND
	;;#ASMSTART
	v_pk_mul_f32 v[26:27], v[26:27], v[8:9]
	;;#ASMEND
	;; [unrolled: 3-line block ×4, first 2 shown]
.LBB63_9:
	s_or_b64 exec, exec, s[20:21]
	s_load_dword s7, s[4:5], 0x80
	s_mov_b64 s[20:21], -1
	s_and_b64 vcc, exec, s[10:11]
	s_cbranch_vccnz .LBB63_13
; %bb.10:
	s_andn2_b64 vcc, exec, s[20:21]
	s_cbranch_vccz .LBB63_16
.LBB63_11:
	s_cmp_lt_i32 s16, 1
	s_cbranch_scc0 .LBB63_25
.LBB63_12:
	s_endpgm
.LBB63_13:
	s_and_saveexec_b64 s[10:11], s[2:3]
	s_cbranch_execz .LBB63_15
; %bb.14:
	s_waitcnt lgkmcnt(0)
	s_mul_hi_i32 s21, s7, s6
	s_mul_i32 s20, s7, s6
	s_waitcnt vmcnt(0)
	v_cvt_f16_f32_e32 v2, v18
	v_cvt_f16_f32_e32 v3, v32
	;; [unrolled: 1-line block ×8, first 2 shown]
	s_lshl_b64 s[20:21], s[20:21], 1
	s_add_u32 s20, s24, s20
	s_addc_u32 s12, s25, s21
	s_and_b32 s21, s12, 0xffff
	s_mov_b32 s23, 0x20000
	v_pack_b32_f16 v5, v5, v6
	v_pack_b32_f16 v4, v4, v7
	;; [unrolled: 1-line block ×4, first 2 shown]
	v_lshlrev_b32_e32 v6, 1, v1
	buffer_store_dwordx4 v[2:5], v6, s[20:23], 0 offen
	v_cvt_f16_f32_e32 v7, v21
	v_cvt_f16_f32_e32 v2, v30
	;; [unrolled: 1-line block ×8, first 2 shown]
	v_pack_b32_f16 v5, v5, v7
	v_pack_b32_f16 v4, v4, v8
	;; [unrolled: 1-line block ×4, first 2 shown]
	s_movk_i32 s12, 0x400
	;;#ASMSTART
	s_nop 0
	;;#ASMEND
	buffer_store_dwordx4 v[2:5], v6, s[20:23], s12 offen
	;;#ASMSTART
	s_nop 0
	;;#ASMEND
.LBB63_15:
	s_or_b64 exec, exec, s[10:11]
	s_cbranch_execnz .LBB63_11
.LBB63_16:
	s_waitcnt vmcnt(0)
	v_mov_b32_e32 v2, 0
	s_and_saveexec_b64 s[10:11], s[2:3]
	s_cbranch_execz .LBB63_18
; %bb.17:
	v_and_b32_e32 v2, 0x7fffffff, v18
	v_and_b32_e32 v3, 0x7fffffff, v19
	v_mov_b32_e32 v4, 0x2edbe6ff
	;;#ASMSTART
	v_max3_f32 v2, v4, v2, v3

	;;#ASMEND
	v_and_b32_e32 v3, 0x7fffffff, v32
	v_and_b32_e32 v4, 0x7fffffff, v33
	;;#ASMSTART
	v_max3_f32 v2, v2, v3, v4

	;;#ASMEND
	v_and_b32_e32 v3, 0x7fffffff, v28
	v_and_b32_e32 v4, 0x7fffffff, v29
	;; [unrolled: 6-line block ×7, first 2 shown]
	;;#ASMSTART
	v_max3_f32 v2, v2, v3, v4

	;;#ASMEND
.LBB63_18:
	s_or_b64 exec, exec, s[10:11]
	s_nop 0
	v_mov_b32_dpp v3, v2 quad_perm:[1,0,3,2] row_mask:0xf bank_mask:0xf
	v_cmp_gt_f32_e32 vcc, v2, v3
	v_cndmask_b32_e32 v2, v3, v2, vcc
	s_nop 1
	v_mov_b32_dpp v3, v2 quad_perm:[2,3,0,1] row_mask:0xf bank_mask:0xf
	v_cmp_gt_f32_e32 vcc, v2, v3
	v_cndmask_b32_e32 v2, v3, v2, vcc
	s_nop 1
	v_mov_b32_dpp v3, v2 row_half_mirror row_mask:0xf bank_mask:0xf
	v_cmp_gt_f32_e32 vcc, v2, v3
	v_cndmask_b32_e32 v2, v3, v2, vcc
	s_nop 1
	v_mov_b32_dpp v3, v2 row_mirror row_mask:0xf bank_mask:0xf
	v_cmp_gt_f32_e32 vcc, v2, v3
	v_cndmask_b32_e32 v2, v3, v2, vcc
	s_nop 1
	v_mov_b32_dpp v3, v2 row_bcast:15 row_mask:0xf bank_mask:0xf
	v_cmp_gt_f32_e32 vcc, v2, v3
	v_cndmask_b32_e32 v2, v3, v2, vcc
	s_nop 1
	v_mov_b32_dpp v3, v2 row_bcast:31 row_mask:0xf bank_mask:0xf
	s_and_saveexec_b64 s[10:11], s[0:1]
	s_cbranch_execz .LBB63_20
; %bb.19:
	v_cmp_gt_f32_e32 vcc, v2, v3
	v_cndmask_b32_e32 v2, v3, v2, vcc
	v_lshrrev_b32_e32 v3, 4, v0
	v_and_b32_e32 v3, 60, v3
	ds_write_b32 v3, v2
.LBB63_20:
	s_or_b64 exec, exec, s[10:11]
	s_waitcnt lgkmcnt(0)
	s_barrier
	ds_read_b32 v2, v34
	s_load_dwordx2 s[20:21], s[4:5], 0x70
	s_waitcnt lgkmcnt(0)
	v_mov_b32_dpp v3, v2 quad_perm:[1,0,3,2] row_mask:0xf bank_mask:0xf
	v_cmp_gt_f32_e32 vcc, v2, v3
	v_cndmask_b32_e32 v2, v3, v2, vcc
	s_nop 1
	v_mov_b32_dpp v3, v2 quad_perm:[2,3,0,1] row_mask:0xf bank_mask:0xf
	v_cmp_gt_f32_e32 vcc, v2, v3
	v_cndmask_b32_e32 v2, v3, v2, vcc
	v_mul_f32_e32 v2, 0x3b124925, v2
	v_cmp_eq_u32_e32 vcc, 0, v0
	s_and_saveexec_b64 s[10:11], vcc
	s_cbranch_execz .LBB63_22
; %bb.21:
	s_load_dwordx2 s[22:23], s[4:5], 0x8
	s_mul_hi_i32 s29, s21, s6
	s_mul_i32 s28, s21, s6
	s_lshl_b64 s[28:29], s[28:29], 2
	v_mov_b32_e32 v3, 0
	s_waitcnt lgkmcnt(0)
	s_add_u32 s22, s22, s28
	s_addc_u32 s23, s23, s29
	global_store_dword v3, v2, s[22:23]
.LBB63_22:
	s_or_b64 exec, exec, s[10:11]
	;;#ASMSTART
	v_rcp_f32 v2, v2
	;;#ASMEND
	s_and_saveexec_b64 s[10:11], s[2:3]
	s_cbranch_execz .LBB63_24
; %bb.23:
	s_load_dwordx2 s[2:3], s[4:5], 0x0
	s_mul_i32 s14, s20, s6
	s_mul_hi_i32 s12, s20, s6
	v_mov_b32_e32 v3, v2
	;;#ASMSTART
	v_pk_mul_f32 v[4:5], v[18:19], v[2:3]
	;;#ASMEND
	s_waitcnt lgkmcnt(0)
	s_add_u32 s20, s2, s14
	s_addc_u32 s2, s3, s12
	s_add_i32 s3, s15, 3
	s_ashr_i32 s12, s3, 31
	v_mov_b32_e32 v8, 0xc3e00000
	v_mov_b32_e32 v9, 0x43e00000
	;;#ASMSTART
	v_med3_f32 v4, v4, v8, v9
v_med3_f32 v5, v5, v8, v9
v_cvt_pk_fp8_f32 v6, v4, v5
	;;#ASMEND
	s_lshr_b32 s12, s12, 30
	;;#ASMSTART
	v_pk_mul_f32 v[4:5], v[32:33], v[2:3]
	;;#ASMEND
	s_add_i32 s3, s3, s12
	s_and_b32 s21, s2, 0xffff
	;;#ASMSTART
	v_med3_f32 v4, v4, v8, v9
v_med3_f32 v5, v5, v8, v9
v_cvt_pk_fp8_f32 v7, v4, v5
	;;#ASMEND
	s_mov_b32 s2, 0x5040100
	s_and_b32 s22, s3, -4
	v_perm_b32 v5, v7, v6, s2
	s_movk_i32 s3, 0xff
	v_and_b32_e32 v4, 0xffffff00, v7
	v_and_b32_sdwa v6, v5, s3 dst_sel:DWORD dst_unused:UNUSED_PAD src0_sel:WORD_1 src1_sel:DWORD
	s_mov_b32 s17, 0xffff
	v_or_b32_sdwa v4, v6, v4 dst_sel:WORD_1 dst_unused:UNUSED_PAD src0_sel:DWORD src1_sel:DWORD
	v_and_or_b32 v4, v5, s17, v4
	;;#ASMSTART
	v_pk_mul_f32 v[6:7], v[28:29], v[2:3]
	;;#ASMEND
	v_mov_b32_e32 v5, v7
	;;#ASMSTART
	v_med3_f32 v6, v6, v8, v9
v_med3_f32 v5, v5, v8, v9
v_cvt_pk_fp8_f32 v10, v6, v5
	;;#ASMEND
	;;#ASMSTART
	v_pk_mul_f32 v[6:7], v[24:25], v[2:3]
	;;#ASMEND
	v_mov_b32_e32 v5, v7
	;;#ASMSTART
	v_med3_f32 v6, v6, v8, v9
v_med3_f32 v5, v5, v8, v9
v_cvt_pk_fp8_f32 v7, v6, v5
	;;#ASMEND
	v_lshlrev_b32_e32 v5, 16, v7
	s_mov_b32 s23, 0x20000
	v_and_or_b32 v5, v10, s17, v5
	buffer_store_dwordx2 v[4:5], v1, s[20:23], 0 offen
	;;#ASMSTART
	s_nop 0
	;;#ASMEND
	;;#ASMSTART
	v_pk_mul_f32 v[4:5], v[30:31], v[2:3]
	;;#ASMEND
	;;#ASMSTART
	v_med3_f32 v4, v4, v8, v9
v_med3_f32 v5, v5, v8, v9
v_cvt_pk_fp8_f32 v6, v4, v5
	;;#ASMEND
	;;#ASMSTART
	v_pk_mul_f32 v[4:5], v[26:27], v[2:3]
	;;#ASMEND
	;;#ASMSTART
	v_med3_f32 v4, v4, v8, v9
v_med3_f32 v5, v5, v8, v9
v_cvt_pk_fp8_f32 v7, v4, v5
	;;#ASMEND
	v_perm_b32 v5, v7, v6, s2
	v_and_b32_e32 v4, 0xffffff00, v7
	v_and_b32_sdwa v6, v5, s3 dst_sel:DWORD dst_unused:UNUSED_PAD src0_sel:WORD_1 src1_sel:DWORD
	v_or_b32_sdwa v4, v6, v4 dst_sel:WORD_1 dst_unused:UNUSED_PAD src0_sel:DWORD src1_sel:DWORD
	v_and_or_b32 v4, v5, s17, v4
	;;#ASMSTART
	v_pk_mul_f32 v[6:7], v[22:23], v[2:3]
	;;#ASMEND
	v_mov_b32_e32 v5, v7
	;;#ASMSTART
	v_med3_f32 v6, v6, v8, v9
v_med3_f32 v5, v5, v8, v9
v_cvt_pk_fp8_f32 v7, v6, v5
	;;#ASMEND
	;;#ASMSTART
	v_pk_mul_f32 v[2:3], v[20:21], v[2:3]
	;;#ASMEND
	;;#ASMSTART
	v_med3_f32 v2, v2, v8, v9
v_med3_f32 v3, v3, v8, v9
v_cvt_pk_fp8_f32 v5, v2, v3
	;;#ASMEND
	v_lshlrev_b32_e32 v2, 16, v5
	v_and_or_b32 v5, v7, s17, v2
	s_movk_i32 s2, 0x200
	buffer_store_dwordx2 v[4:5], v1, s[20:23], s2 offen
	;;#ASMSTART
	s_nop 0
	;;#ASMEND
.LBB63_24:
	s_or_b64 exec, exec, s[10:11]
	s_cmp_lt_i32 s16, 1
	s_cbranch_scc1 .LBB63_12
.LBB63_25:
	s_load_dword s2, s[4:5], 0x94
	s_waitcnt lgkmcnt(0)
	s_cmp_lg_u32 s2, 1
	s_cbranch_scc1 .LBB63_12
; %bb.26:
	s_lshl_b32 s2, s16, 1
	s_add_i32 s2, s2, 2
	v_cmp_gt_u32_e32 vcc, s16, v1
	s_and_b32 s10, s2, -4
	v_mov_b32_e32 v18, 0
	v_lshlrev_b32_e32 v1, 1, v1
	v_mov_b32_e32 v14, 0
	v_mov_b32_e32 v15, 0
	;; [unrolled: 1-line block ×8, first 2 shown]
	s_waitcnt vmcnt(1)
	v_mov_b32_e32 v6, 0
	v_mov_b32_e32 v7, 0
	;; [unrolled: 1-line block ×4, first 2 shown]
	s_waitcnt vmcnt(0)
	v_mov_b32_e32 v2, 0
	v_mov_b32_e32 v3, 0
	v_mov_b32_e32 v4, 0
	v_mov_b32_e32 v5, 0
	s_barrier
	s_and_saveexec_b64 s[2:3], vcc
	s_cbranch_execz .LBB63_28
; %bb.27:
	s_mul_hi_i32 s5, s18, s6
	s_mul_i32 s4, s18, s6
	s_and_b32 s9, s9, 0xffff
	s_lshl_b64 s[4:5], s[4:5], 1
	s_add_u32 s20, s26, s4
	s_mov_b32 s11, 0x20000
	s_addc_u32 s4, s27, s5
	s_and_b32 s21, s4, 0xffff
	s_mov_b32 s22, s10
	s_mov_b32 s23, s11
	s_movk_i32 s4, 0x400
	buffer_load_dwordx4 v[14:17], v1, s[20:23], 0 offen glc slc
	buffer_load_dwordx4 v[10:13], v1, s[20:23], s4 offen glc slc
	buffer_load_dwordx4 v[6:9], v1, s[8:11], 0 offen
	buffer_load_dwordx4 v[2:5], v1, s[8:11], s4 offen
.LBB63_28:
	s_or_b64 exec, exec, s[2:3]
	v_mov_b32_e32 v19, 0
	v_mov_b32_e32 v32, 0
	;; [unrolled: 1-line block ×15, first 2 shown]
	s_and_saveexec_b64 s[2:3], vcc
	s_cbranch_execz .LBB63_30
; %bb.29:
	s_waitcnt vmcnt(3)
	v_cvt_f32_f16_sdwa v19, v14 dst_sel:DWORD dst_unused:UNUSED_PAD src0_sel:WORD_1
	v_cvt_f32_f16_e32 v18, v14
	v_cvt_f32_f16_sdwa v33, v15 dst_sel:DWORD dst_unused:UNUSED_PAD src0_sel:WORD_1
	v_cvt_f32_f16_e32 v32, v15
	v_cvt_f32_f16_sdwa v31, v16 dst_sel:DWORD dst_unused:UNUSED_PAD src0_sel:WORD_1
	v_cvt_f32_f16_e32 v30, v16
	v_cvt_f32_f16_sdwa v29, v17 dst_sel:DWORD dst_unused:UNUSED_PAD src0_sel:WORD_1
	v_cvt_f32_f16_e32 v28, v17
	s_waitcnt vmcnt(2)
	v_cvt_f32_f16_sdwa v27, v10 dst_sel:DWORD dst_unused:UNUSED_PAD src0_sel:WORD_1
	v_cvt_f32_f16_e32 v26, v10
	v_cvt_f32_f16_sdwa v25, v11 dst_sel:DWORD dst_unused:UNUSED_PAD src0_sel:WORD_1
	v_cvt_f32_f16_e32 v24, v11
	;; [unrolled: 2-line block ×4, first 2 shown]
.LBB63_30:
	s_or_b64 exec, exec, s[2:3]
	s_waitcnt vmcnt(2)
	v_mul_f32_e32 v10, v19, v19
	v_fmac_f32_e32 v10, v18, v18
	v_fmac_f32_e32 v10, v32, v32
	;; [unrolled: 1-line block ×15, first 2 shown]
	s_nop 1
	v_mov_b32_dpp v11, v10 quad_perm:[1,0,3,2] row_mask:0xf bank_mask:0xf
	v_add_f32_e32 v10, v10, v11
	s_nop 1
	v_mov_b32_dpp v11, v10 quad_perm:[2,3,0,1] row_mask:0xf bank_mask:0xf
	v_add_f32_e32 v10, v10, v11
	s_nop 1
	v_mov_b32_dpp v11, v10 row_half_mirror row_mask:0xf bank_mask:0xf
	v_add_f32_e32 v10, v10, v11
	s_nop 1
	v_mov_b32_dpp v11, v10 row_mirror row_mask:0xf bank_mask:0xf
	v_add_f32_e32 v10, v10, v11
	s_nop 1
	v_mov_b32_dpp v11, v10 row_bcast:15 row_mask:0xf bank_mask:0xf
	v_add_f32_e32 v10, v10, v11
	s_nop 1
	v_mov_b32_dpp v11, v10 row_bcast:31 row_mask:0xf bank_mask:0xf
	s_and_saveexec_b64 s[2:3], s[0:1]
	s_cbranch_execz .LBB63_32
; %bb.31:
	v_lshrrev_b32_e32 v0, 4, v0
	v_add_f32_e32 v10, v10, v11
	v_and_b32_e32 v0, 60, v0
	ds_write_b32 v0, v10 offset:16
.LBB63_32:
	s_or_b64 exec, exec, s[2:3]
	s_waitcnt lgkmcnt(0)
	s_barrier
	ds_read_b32 v0, v34 offset:16
	s_waitcnt lgkmcnt(0)
	s_nop 0
	v_mov_b32_dpp v10, v0 quad_perm:[1,0,3,2] row_mask:0xf bank_mask:0xf
	v_add_f32_e32 v0, v0, v10
	s_nop 1
	v_mov_b32_dpp v10, v0 quad_perm:[2,3,0,1] row_mask:0xf bank_mask:0xf
	s_and_saveexec_b64 s[0:1], vcc
	s_cbranch_execz .LBB63_12
; %bb.33:
	v_cvt_f32_u32_e32 v11, s16
	v_add_f32_e32 v0, v0, v10
	s_mov_b32 s11, 0x20000
	v_div_scale_f32 v10, s[0:1], v11, v11, v0
	v_rcp_f32_e32 v12, v10
	v_div_scale_f32 v13, vcc, v0, v11, v0
	s_mov_b32 s0, 0x800000
	v_fma_f32 v14, -v10, v12, 1.0
	v_fmac_f32_e32 v12, v14, v12
	v_mul_f32_e32 v14, v13, v12
	v_fma_f32 v15, -v10, v14, v13
	v_fmac_f32_e32 v14, v15, v12
	v_fma_f32 v10, -v10, v14, v13
	v_div_fmas_f32 v10, v10, v12, v14
	v_div_fixup_f32 v0, v10, v11, v0
	v_add_f32_e32 v0, s13, v0
	v_mul_f32_e32 v10, 0x4b800000, v0
	v_cmp_gt_f32_e32 vcc, s0, v0
	v_cndmask_b32_e32 v0, v0, v10, vcc
	v_rsq_f32_e32 v0, v0
	s_mul_hi_i32 s1, s7, s6
	s_mul_i32 s0, s7, s6
	s_lshl_b64 s[0:1], s[0:1], 1
	v_mul_f32_e32 v10, 0x45800000, v0
	v_cndmask_b32_e32 v10, v0, v10, vcc
	v_mov_b32_e32 v11, v10
	;;#ASMSTART
	v_pk_mul_f32 v[12:13], v[18:19], v[10:11]
	;;#ASMEND
	;;#ASMSTART
	v_pk_mul_f32 v[14:15], v[32:33], v[10:11]
	;;#ASMEND
	;; [unrolled: 3-line block ×8, first 2 shown]
	s_waitcnt vmcnt(1)
	v_cvt_f32_f16_sdwa v21, v6 dst_sel:DWORD dst_unused:UNUSED_PAD src0_sel:WORD_1
	v_cvt_f32_f16_e32 v20, v6
	v_cvt_f32_f16_sdwa v29, v7 dst_sel:DWORD dst_unused:UNUSED_PAD src0_sel:WORD_1
	v_cvt_f32_f16_e32 v28, v7
	v_cvt_f32_f16_sdwa v7, v8 dst_sel:DWORD dst_unused:UNUSED_PAD src0_sel:WORD_1
	v_cvt_f32_f16_e32 v6, v8
	v_cvt_f32_f16_sdwa v31, v9 dst_sel:DWORD dst_unused:UNUSED_PAD src0_sel:WORD_1
	v_cvt_f32_f16_e32 v30, v9
	;;#ASMSTART
	v_pk_mul_f32 v[8:9], v[12:13], v[20:21]
	;;#ASMEND
	;;#ASMSTART
	v_pk_mul_f32 v[12:13], v[14:15], v[28:29]
	;;#ASMEND
	;; [unrolled: 3-line block ×4, first 2 shown]
	s_waitcnt vmcnt(0)
	v_cvt_f32_f16_sdwa v17, v2 dst_sel:DWORD dst_unused:UNUSED_PAD src0_sel:WORD_1
	v_cvt_f32_f16_e32 v16, v2
	v_cvt_f32_f16_sdwa v19, v3 dst_sel:DWORD dst_unused:UNUSED_PAD src0_sel:WORD_1
	v_cvt_f32_f16_e32 v18, v3
	;; [unrolled: 2-line block ×4, first 2 shown]
	;;#ASMSTART
	v_pk_mul_f32 v[16:17], v[26:27], v[16:17]
	;;#ASMEND
	;;#ASMSTART
	v_pk_mul_f32 v[18:19], v[24:25], v[18:19]
	;;#ASMEND
	;; [unrolled: 3-line block ×3, first 2 shown]
	v_cvt_f16_f32_e32 v0, v8
	v_cvt_f16_f32_e32 v2, v9
	;; [unrolled: 1-line block ×8, first 2 shown]
	s_add_u32 s8, s24, s0
	s_addc_u32 s0, s25, s1
	s_and_b32 s9, s0, 0xffff
	v_pack_b32_f16 v2, v0, v2
	v_pack_b32_f16 v3, v3, v4
	;; [unrolled: 1-line block ×4, first 2 shown]
	;;#ASMSTART
	v_pk_mul_f32 v[10:11], v[10:11], v[20:21]
	;;#ASMEND
	buffer_store_dwordx4 v[2:5], v1, s[8:11], 0 offen
	v_cvt_f16_f32_e32 v0, v16
	v_cvt_f16_f32_e32 v2, v17
	;; [unrolled: 1-line block ×8, first 2 shown]
	v_pack_b32_f16 v2, v0, v2
	v_pack_b32_f16 v3, v3, v4
	;; [unrolled: 1-line block ×4, first 2 shown]
	s_movk_i32 s0, 0x400
	;;#ASMSTART
	s_nop 0
	;;#ASMEND
	buffer_store_dwordx4 v[2:5], v1, s[8:11], s0 offen
	;;#ASMSTART
	s_nop 0
	;;#ASMEND
	s_endpgm
	.section	.rodata,"a",@progbits
	.p2align	6, 0x0
	.amdhsa_kernel _ZN5aiter35fused_qk_rmsnorm_group_quant_kernelIDF16_DB8_Li256ELi16ELi1ELb0ELb0ELb0ELb0ELb1ELb1EEEvPT0_PvPT_S6_S6_PKS5_S8_S8_S8_S8_ffiiiiiiiiiiiii
		.amdhsa_group_segment_fixed_size 48
		.amdhsa_private_segment_fixed_size 0
		.amdhsa_kernarg_size 400
		.amdhsa_user_sgpr_count 6
		.amdhsa_user_sgpr_private_segment_buffer 1
		.amdhsa_user_sgpr_dispatch_ptr 0
		.amdhsa_user_sgpr_queue_ptr 0
		.amdhsa_user_sgpr_kernarg_segment_ptr 1
		.amdhsa_user_sgpr_dispatch_id 0
		.amdhsa_user_sgpr_flat_scratch_init 0
		.amdhsa_user_sgpr_kernarg_preload_length 0
		.amdhsa_user_sgpr_kernarg_preload_offset 0
		.amdhsa_user_sgpr_private_segment_size 0
		.amdhsa_uses_dynamic_stack 0
		.amdhsa_system_sgpr_private_segment_wavefront_offset 0
		.amdhsa_system_sgpr_workgroup_id_x 1
		.amdhsa_system_sgpr_workgroup_id_y 1
		.amdhsa_system_sgpr_workgroup_id_z 0
		.amdhsa_system_sgpr_workgroup_info 0
		.amdhsa_system_vgpr_workitem_id 0
		.amdhsa_next_free_vgpr 38
		.amdhsa_next_free_sgpr 32
		.amdhsa_accum_offset 40
		.amdhsa_reserve_vcc 1
		.amdhsa_reserve_flat_scratch 0
		.amdhsa_float_round_mode_32 0
		.amdhsa_float_round_mode_16_64 0
		.amdhsa_float_denorm_mode_32 3
		.amdhsa_float_denorm_mode_16_64 3
		.amdhsa_dx10_clamp 1
		.amdhsa_ieee_mode 1
		.amdhsa_fp16_overflow 0
		.amdhsa_tg_split 0
		.amdhsa_exception_fp_ieee_invalid_op 0
		.amdhsa_exception_fp_denorm_src 0
		.amdhsa_exception_fp_ieee_div_zero 0
		.amdhsa_exception_fp_ieee_overflow 0
		.amdhsa_exception_fp_ieee_underflow 0
		.amdhsa_exception_fp_ieee_inexact 0
		.amdhsa_exception_int_div_zero 0
	.end_amdhsa_kernel
	.section	.text._ZN5aiter35fused_qk_rmsnorm_group_quant_kernelIDF16_DB8_Li256ELi16ELi1ELb0ELb0ELb0ELb0ELb1ELb1EEEvPT0_PvPT_S6_S6_PKS5_S8_S8_S8_S8_ffiiiiiiiiiiiii,"axG",@progbits,_ZN5aiter35fused_qk_rmsnorm_group_quant_kernelIDF16_DB8_Li256ELi16ELi1ELb0ELb0ELb0ELb0ELb1ELb1EEEvPT0_PvPT_S6_S6_PKS5_S8_S8_S8_S8_ffiiiiiiiiiiiii,comdat
.Lfunc_end63:
	.size	_ZN5aiter35fused_qk_rmsnorm_group_quant_kernelIDF16_DB8_Li256ELi16ELi1ELb0ELb0ELb0ELb0ELb1ELb1EEEvPT0_PvPT_S6_S6_PKS5_S8_S8_S8_S8_ffiiiiiiiiiiiii, .Lfunc_end63-_ZN5aiter35fused_qk_rmsnorm_group_quant_kernelIDF16_DB8_Li256ELi16ELi1ELb0ELb0ELb0ELb0ELb1ELb1EEEvPT0_PvPT_S6_S6_PKS5_S8_S8_S8_S8_ffiiiiiiiiiiiii
                                        ; -- End function
	.section	.AMDGPU.csdata,"",@progbits
; Kernel info:
; codeLenInByte = 3684
; NumSgprs: 36
; NumVgprs: 38
; NumAgprs: 0
; TotalNumVgprs: 38
; ScratchSize: 0
; MemoryBound: 0
; FloatMode: 240
; IeeeMode: 1
; LDSByteSize: 48 bytes/workgroup (compile time only)
; SGPRBlocks: 4
; VGPRBlocks: 4
; NumSGPRsForWavesPerEU: 36
; NumVGPRsForWavesPerEU: 38
; AccumOffset: 40
; Occupancy: 8
; WaveLimiterHint : 0
; COMPUTE_PGM_RSRC2:SCRATCH_EN: 0
; COMPUTE_PGM_RSRC2:USER_SGPR: 6
; COMPUTE_PGM_RSRC2:TRAP_HANDLER: 0
; COMPUTE_PGM_RSRC2:TGID_X_EN: 1
; COMPUTE_PGM_RSRC2:TGID_Y_EN: 1
; COMPUTE_PGM_RSRC2:TGID_Z_EN: 0
; COMPUTE_PGM_RSRC2:TIDIG_COMP_CNT: 0
; COMPUTE_PGM_RSRC3_GFX90A:ACCUM_OFFSET: 9
; COMPUTE_PGM_RSRC3_GFX90A:TG_SPLIT: 0
	.section	.text._ZN5aiter35fused_qk_rmsnorm_group_quant_kernelItDB8_Li256ELi16ELi1ELb0ELb0ELb0ELb0ELb1ELb1EEEvPT0_PvPT_S6_S6_PKS5_S8_S8_S8_S8_ffiiiiiiiiiiiii,"axG",@progbits,_ZN5aiter35fused_qk_rmsnorm_group_quant_kernelItDB8_Li256ELi16ELi1ELb0ELb0ELb0ELb0ELb1ELb1EEEvPT0_PvPT_S6_S6_PKS5_S8_S8_S8_S8_ffiiiiiiiiiiiii,comdat
	.protected	_ZN5aiter35fused_qk_rmsnorm_group_quant_kernelItDB8_Li256ELi16ELi1ELb0ELb0ELb0ELb0ELb1ELb1EEEvPT0_PvPT_S6_S6_PKS5_S8_S8_S8_S8_ffiiiiiiiiiiiii ; -- Begin function _ZN5aiter35fused_qk_rmsnorm_group_quant_kernelItDB8_Li256ELi16ELi1ELb0ELb0ELb0ELb0ELb1ELb1EEEvPT0_PvPT_S6_S6_PKS5_S8_S8_S8_S8_ffiiiiiiiiiiiii
	.globl	_ZN5aiter35fused_qk_rmsnorm_group_quant_kernelItDB8_Li256ELi16ELi1ELb0ELb0ELb0ELb0ELb1ELb1EEEvPT0_PvPT_S6_S6_PKS5_S8_S8_S8_S8_ffiiiiiiiiiiiii
	.p2align	8
	.type	_ZN5aiter35fused_qk_rmsnorm_group_quant_kernelItDB8_Li256ELi16ELi1ELb0ELb0ELb0ELb0ELb1ELb1EEEvPT0_PvPT_S6_S6_PKS5_S8_S8_S8_S8_ffiiiiiiiiiiiii,@function
_ZN5aiter35fused_qk_rmsnorm_group_quant_kernelItDB8_Li256ELi16ELi1ELb0ELb0ELb0ELb0ELb1ELb1EEEvPT0_PvPT_S6_S6_PKS5_S8_S8_S8_S8_ffiiiiiiiiiiiii: ; @_ZN5aiter35fused_qk_rmsnorm_group_quant_kernelItDB8_Li256ELi16ELi1ELb0ELb0ELb0ELb0ELb1ELb1EEEvPT0_PvPT_S6_S6_PKS5_S8_S8_S8_S8_ffiiiiiiiiiiiii
; %bb.0:
	s_load_dwordx4 s[12:15], s[4:5], 0x50
	s_waitcnt lgkmcnt(0)
	s_cmp_ge_i32 s6, s14
	s_cbranch_scc1 .LBB64_12
; %bb.1:
	s_load_dwordx2 s[8:9], s[4:5], 0x48
	s_load_dwordx2 s[26:27], s[4:5], 0x30
	s_load_dwordx4 s[16:19], s[4:5], 0x60
	s_cmp_lg_u32 s7, 0
	s_cselect_b64 s[10:11], -1, 0
	s_cmp_eq_u32 s7, 0
	s_cselect_b64 vcc, -1, 0
	s_and_b64 s[0:1], vcc, exec
	s_waitcnt lgkmcnt(0)
	s_cselect_b32 s7, s15, s16
	s_add_i32 s0, s7, 1
	s_lshr_b32 s1, s0, 31
	s_add_i32 s0, s0, s1
	s_lshl_b32 s0, s0, 1
	v_lshlrev_b32_e32 v2, 4, v0
	s_and_b32 s22, s0, -4
	v_lshlrev_b32_e32 v1, 3, v0
	v_and_b32_e32 v2, 0x3c00, v2
	s_movk_i32 s0, 0x1f8
	v_and_or_b32 v1, v1, s0, v2
	v_cmp_gt_i32_e64 s[2:3], s7, v1
	v_mov_b32_e32 v18, 0
	v_mov_b32_e32 v6, 0
	;; [unrolled: 1-line block ×17, first 2 shown]
	s_and_saveexec_b64 s[0:1], s[2:3]
	s_cbranch_execz .LBB64_3
; %bb.2:
	s_load_dwordx2 s[20:21], s[4:5], 0x28
	s_load_dwordx2 s[24:25], s[4:5], 0x40
	s_and_b64 s[28:29], vcc, exec
	s_cselect_b32 s14, s17, s18
	s_mov_b32 s23, 0x20000
	s_waitcnt lgkmcnt(0)
	s_cselect_b32 s17, s21, s27
	s_cselect_b32 s19, s20, s26
	s_mul_hi_i32 s21, s14, s6
	s_mul_i32 s20, s14, s6
	s_lshl_b64 s[20:21], s[20:21], 1
	s_add_u32 s28, s19, s20
	s_addc_u32 s14, s17, s21
	s_and_b64 s[20:21], vcc, exec
	s_cselect_b32 s20, s24, s8
	s_cselect_b32 s17, s25, s9
	s_and_b32 s29, s14, 0xffff
	s_mov_b32 s30, s22
	s_mov_b32 s31, s23
	v_lshlrev_b32_e32 v19, 1, v1
	s_and_b32 s21, s17, 0xffff
	s_movk_i32 s14, 0x400
	buffer_load_dwordx4 v[14:17], v19, s[28:31], 0 offen glc slc
	buffer_load_dwordx4 v[10:13], v19, s[28:31], s14 offen glc slc
	buffer_load_dwordx4 v[6:9], v19, s[20:23], 0 offen
	buffer_load_dwordx4 v[2:5], v19, s[20:23], s14 offen
.LBB64_3:
	s_or_b64 exec, exec, s[0:1]
	v_mov_b32_e32 v19, 0
	v_mov_b32_e32 v32, 0
	;; [unrolled: 1-line block ×15, first 2 shown]
	s_and_saveexec_b64 s[0:1], s[2:3]
	s_cbranch_execz .LBB64_5
; %bb.4:
	s_waitcnt vmcnt(3)
	v_cvt_f32_u32_sdwa v18, v14 dst_sel:DWORD dst_unused:UNUSED_PAD src0_sel:WORD_0
	v_cvt_f32_u32_sdwa v19, v14 dst_sel:DWORD dst_unused:UNUSED_PAD src0_sel:WORD_1
	v_cvt_f32_u32_sdwa v32, v15 dst_sel:DWORD dst_unused:UNUSED_PAD src0_sel:WORD_0
	v_cvt_f32_u32_sdwa v33, v15 dst_sel:DWORD dst_unused:UNUSED_PAD src0_sel:WORD_1
	;; [unrolled: 2-line block ×4, first 2 shown]
	s_waitcnt vmcnt(2)
	v_cvt_f32_u32_sdwa v30, v10 dst_sel:DWORD dst_unused:UNUSED_PAD src0_sel:WORD_0
	v_cvt_f32_u32_sdwa v31, v10 dst_sel:DWORD dst_unused:UNUSED_PAD src0_sel:WORD_1
	v_cvt_f32_u32_sdwa v26, v11 dst_sel:DWORD dst_unused:UNUSED_PAD src0_sel:WORD_0
	v_cvt_f32_u32_sdwa v27, v11 dst_sel:DWORD dst_unused:UNUSED_PAD src0_sel:WORD_1
	;; [unrolled: 2-line block ×4, first 2 shown]
.LBB64_5:
	s_or_b64 exec, exec, s[0:1]
	s_waitcnt vmcnt(2)
	v_mul_f32_e32 v10, v19, v19
	v_fmac_f32_e32 v10, v18, v18
	v_fmac_f32_e32 v10, v32, v32
	;; [unrolled: 1-line block ×15, first 2 shown]
	v_and_b32_e32 v12, 63, v0
	v_cmp_eq_u32_e64 s[0:1], 63, v12
	v_mov_b32_dpp v11, v10 quad_perm:[1,0,3,2] row_mask:0xf bank_mask:0xf
	v_add_f32_e32 v10, v10, v11
	s_nop 1
	v_mov_b32_dpp v11, v10 quad_perm:[2,3,0,1] row_mask:0xf bank_mask:0xf
	v_add_f32_e32 v10, v10, v11
	s_nop 1
	v_mov_b32_dpp v11, v10 row_half_mirror row_mask:0xf bank_mask:0xf
	v_add_f32_e32 v10, v10, v11
	s_nop 1
	v_mov_b32_dpp v11, v10 row_mirror row_mask:0xf bank_mask:0xf
	v_add_f32_e32 v10, v10, v11
	s_nop 1
	v_mov_b32_dpp v11, v10 row_bcast:15 row_mask:0xf bank_mask:0xf
	v_add_f32_e32 v10, v10, v11
	s_nop 1
	v_mov_b32_dpp v11, v10 row_bcast:31 row_mask:0xf bank_mask:0xf
	s_and_saveexec_b64 s[20:21], s[0:1]
	s_cbranch_execz .LBB64_7
; %bb.6:
	v_add_f32_e32 v10, v10, v11
	v_lshrrev_b32_e32 v11, 4, v0
	v_and_b32_e32 v11, 60, v11
	ds_write_b32 v11, v10 offset:32
.LBB64_7:
	s_or_b64 exec, exec, s[20:21]
	v_and_b32_e32 v10, 3, v0
	v_lshlrev_b32_e32 v34, 2, v10
	s_waitcnt lgkmcnt(0)
	s_barrier
	ds_read_b32 v10, v34 offset:32
	s_load_dwordx2 s[24:25], s[4:5], 0x18
	s_waitcnt lgkmcnt(0)
	v_mov_b32_dpp v11, v10 quad_perm:[1,0,3,2] row_mask:0xf bank_mask:0xf
	v_add_f32_e32 v10, v10, v11
	s_nop 1
	v_mov_b32_dpp v11, v10 quad_perm:[2,3,0,1] row_mask:0xf bank_mask:0xf
	s_and_saveexec_b64 s[20:21], s[2:3]
	s_cbranch_execz .LBB64_9
; %bb.8:
	v_cvt_f32_u32_e32 v12, s7
	v_add_f32_e32 v10, v10, v11
	v_mov_b32_e32 v14, s13
	v_mov_b32_e32 v15, s12
	v_div_scale_f32 v11, s[28:29], v12, v12, v10
	v_rcp_f32_e32 v13, v11
	v_cndmask_b32_e32 v14, v14, v15, vcc
	s_mov_b32 s7, 0x800000
	s_waitcnt vmcnt(1)
	v_cvt_f32_u32_sdwa v37, v9 dst_sel:DWORD dst_unused:UNUSED_PAD src0_sel:WORD_1
	v_fma_f32 v15, -v11, v13, 1.0
	v_fmac_f32_e32 v13, v15, v13
	v_div_scale_f32 v15, vcc, v10, v12, v10
	v_mul_f32_e32 v16, v15, v13
	v_fma_f32 v17, -v11, v16, v15
	v_fmac_f32_e32 v16, v17, v13
	v_fma_f32 v11, -v11, v16, v15
	v_div_fmas_f32 v11, v11, v13, v16
	v_div_fixup_f32 v10, v11, v12, v10
	v_add_f32_e32 v10, v14, v10
	v_mul_f32_e32 v11, 0x4b800000, v10
	v_cmp_gt_f32_e32 vcc, s7, v10
	v_cndmask_b32_e32 v10, v10, v11, vcc
	v_rsq_f32_e32 v10, v10
	v_cvt_f32_u32_sdwa v36, v9 dst_sel:DWORD dst_unused:UNUSED_PAD src0_sel:WORD_0
	s_waitcnt vmcnt(0)
	v_cvt_f32_u32_sdwa v9, v3 dst_sel:DWORD dst_unused:UNUSED_PAD src0_sel:WORD_1
	v_mul_f32_e32 v11, 0x45800000, v10
	v_cndmask_b32_e32 v10, v10, v11, vcc
	v_mov_b32_e32 v11, v10
	;;#ASMSTART
	v_pk_mul_f32 v[12:13], v[18:19], v[10:11]
	;;#ASMEND
	;;#ASMSTART
	v_pk_mul_f32 v[14:15], v[32:33], v[10:11]
	;;#ASMEND
	;; [unrolled: 3-line block ×8, first 2 shown]
	v_cvt_f32_u32_sdwa v19, v6 dst_sel:DWORD dst_unused:UNUSED_PAD src0_sel:WORD_1
	v_cvt_f32_u32_sdwa v18, v6 dst_sel:DWORD dst_unused:UNUSED_PAD src0_sel:WORD_0
	v_cvt_f32_u32_sdwa v21, v7 dst_sel:DWORD dst_unused:UNUSED_PAD src0_sel:WORD_1
	v_cvt_f32_u32_sdwa v20, v7 dst_sel:DWORD dst_unused:UNUSED_PAD src0_sel:WORD_0
	;; [unrolled: 2-line block ×3, first 2 shown]
	;;#ASMSTART
	v_pk_mul_f32 v[18:19], v[12:13], v[18:19]
	;;#ASMEND
	;;#ASMSTART
	v_pk_mul_f32 v[32:33], v[14:15], v[20:21]
	;;#ASMEND
	;; [unrolled: 3-line block ×4, first 2 shown]
	v_cvt_f32_u32_sdwa v7, v2 dst_sel:DWORD dst_unused:UNUSED_PAD src0_sel:WORD_1
	v_cvt_f32_u32_sdwa v6, v2 dst_sel:DWORD dst_unused:UNUSED_PAD src0_sel:WORD_0
	v_cvt_f32_u32_sdwa v8, v3 dst_sel:DWORD dst_unused:UNUSED_PAD src0_sel:WORD_0
	v_cvt_f32_u32_sdwa v3, v4 dst_sel:DWORD dst_unused:UNUSED_PAD src0_sel:WORD_1
	v_cvt_f32_u32_sdwa v2, v4 dst_sel:DWORD dst_unused:UNUSED_PAD src0_sel:WORD_0
	v_cvt_f32_u32_sdwa v13, v5 dst_sel:DWORD dst_unused:UNUSED_PAD src0_sel:WORD_1
	v_cvt_f32_u32_sdwa v12, v5 dst_sel:DWORD dst_unused:UNUSED_PAD src0_sel:WORD_0
	;;#ASMSTART
	v_pk_mul_f32 v[30:31], v[30:31], v[6:7]
	;;#ASMEND
	;;#ASMSTART
	v_pk_mul_f32 v[26:27], v[26:27], v[8:9]
	;;#ASMEND
	;; [unrolled: 3-line block ×4, first 2 shown]
.LBB64_9:
	s_or_b64 exec, exec, s[20:21]
	s_load_dword s7, s[4:5], 0x80
	s_mov_b64 s[20:21], -1
	s_and_b64 vcc, exec, s[10:11]
	s_cbranch_vccnz .LBB64_13
; %bb.10:
	s_andn2_b64 vcc, exec, s[20:21]
	s_cbranch_vccz .LBB64_16
.LBB64_11:
	s_cmp_lt_i32 s16, 1
	s_cbranch_scc0 .LBB64_25
.LBB64_12:
	s_endpgm
.LBB64_13:
	s_and_saveexec_b64 s[10:11], s[2:3]
	s_cbranch_execz .LBB64_15
; %bb.14:
	s_waitcnt lgkmcnt(0)
	s_mul_hi_i32 s21, s7, s6
	s_mul_i32 s20, s7, s6
	s_lshl_b64 s[20:21], s[20:21], 1
	s_add_u32 s20, s24, s20
	s_addc_u32 s12, s25, s21
	s_and_b32 s21, s12, 0xffff
	s_mov_b32 s12, 0x7060302
	s_mov_b32 s23, 0x20000
	s_waitcnt vmcnt(0)
	v_perm_b32 v5, v25, v24, s12
	v_perm_b32 v4, v29, v28, s12
	;; [unrolled: 1-line block ×4, first 2 shown]
	v_lshlrev_b32_e32 v6, 1, v1
	buffer_store_dwordx4 v[2:5], v6, s[20:23], 0 offen
	;;#ASMSTART
	s_nop 0
	;;#ASMEND
	s_nop 0
	v_perm_b32 v5, v21, v20, s12
	v_perm_b32 v4, v23, v22, s12
	;; [unrolled: 1-line block ×4, first 2 shown]
	s_movk_i32 s12, 0x400
	buffer_store_dwordx4 v[2:5], v6, s[20:23], s12 offen
	;;#ASMSTART
	s_nop 0
	;;#ASMEND
.LBB64_15:
	s_or_b64 exec, exec, s[10:11]
	s_cbranch_execnz .LBB64_11
.LBB64_16:
	s_waitcnt vmcnt(0)
	v_mov_b32_e32 v2, 0
	s_and_saveexec_b64 s[10:11], s[2:3]
	s_cbranch_execz .LBB64_18
; %bb.17:
	v_and_b32_e32 v2, 0x7fffffff, v18
	v_and_b32_e32 v3, 0x7fffffff, v19
	v_mov_b32_e32 v4, 0x2edbe6ff
	;;#ASMSTART
	v_max3_f32 v2, v4, v2, v3

	;;#ASMEND
	v_and_b32_e32 v3, 0x7fffffff, v32
	v_and_b32_e32 v4, 0x7fffffff, v33
	;;#ASMSTART
	v_max3_f32 v2, v2, v3, v4

	;;#ASMEND
	v_and_b32_e32 v3, 0x7fffffff, v28
	v_and_b32_e32 v4, 0x7fffffff, v29
	;; [unrolled: 6-line block ×7, first 2 shown]
	;;#ASMSTART
	v_max3_f32 v2, v2, v3, v4

	;;#ASMEND
.LBB64_18:
	s_or_b64 exec, exec, s[10:11]
	s_nop 0
	v_mov_b32_dpp v3, v2 quad_perm:[1,0,3,2] row_mask:0xf bank_mask:0xf
	v_cmp_gt_f32_e32 vcc, v2, v3
	v_cndmask_b32_e32 v2, v3, v2, vcc
	s_nop 1
	v_mov_b32_dpp v3, v2 quad_perm:[2,3,0,1] row_mask:0xf bank_mask:0xf
	v_cmp_gt_f32_e32 vcc, v2, v3
	v_cndmask_b32_e32 v2, v3, v2, vcc
	s_nop 1
	v_mov_b32_dpp v3, v2 row_half_mirror row_mask:0xf bank_mask:0xf
	v_cmp_gt_f32_e32 vcc, v2, v3
	v_cndmask_b32_e32 v2, v3, v2, vcc
	s_nop 1
	v_mov_b32_dpp v3, v2 row_mirror row_mask:0xf bank_mask:0xf
	v_cmp_gt_f32_e32 vcc, v2, v3
	v_cndmask_b32_e32 v2, v3, v2, vcc
	s_nop 1
	v_mov_b32_dpp v3, v2 row_bcast:15 row_mask:0xf bank_mask:0xf
	v_cmp_gt_f32_e32 vcc, v2, v3
	v_cndmask_b32_e32 v2, v3, v2, vcc
	s_nop 1
	v_mov_b32_dpp v3, v2 row_bcast:31 row_mask:0xf bank_mask:0xf
	s_and_saveexec_b64 s[10:11], s[0:1]
	s_cbranch_execz .LBB64_20
; %bb.19:
	v_cmp_gt_f32_e32 vcc, v2, v3
	v_cndmask_b32_e32 v2, v3, v2, vcc
	v_lshrrev_b32_e32 v3, 4, v0
	v_and_b32_e32 v3, 60, v3
	ds_write_b32 v3, v2
.LBB64_20:
	s_or_b64 exec, exec, s[10:11]
	s_waitcnt lgkmcnt(0)
	s_barrier
	ds_read_b32 v2, v34
	s_load_dwordx2 s[20:21], s[4:5], 0x70
	s_waitcnt lgkmcnt(0)
	v_mov_b32_dpp v3, v2 quad_perm:[1,0,3,2] row_mask:0xf bank_mask:0xf
	v_cmp_gt_f32_e32 vcc, v2, v3
	v_cndmask_b32_e32 v2, v3, v2, vcc
	s_nop 1
	v_mov_b32_dpp v3, v2 quad_perm:[2,3,0,1] row_mask:0xf bank_mask:0xf
	v_cmp_gt_f32_e32 vcc, v2, v3
	v_cndmask_b32_e32 v2, v3, v2, vcc
	v_mul_f32_e32 v2, 0x3b124925, v2
	v_cmp_eq_u32_e32 vcc, 0, v0
	s_and_saveexec_b64 s[10:11], vcc
	s_cbranch_execz .LBB64_22
; %bb.21:
	s_load_dwordx2 s[22:23], s[4:5], 0x8
	s_mul_hi_i32 s29, s21, s6
	s_mul_i32 s28, s21, s6
	s_lshl_b64 s[28:29], s[28:29], 2
	v_mov_b32_e32 v3, 0
	s_waitcnt lgkmcnt(0)
	s_add_u32 s22, s22, s28
	s_addc_u32 s23, s23, s29
	global_store_dword v3, v2, s[22:23]
.LBB64_22:
	s_or_b64 exec, exec, s[10:11]
	;;#ASMSTART
	v_rcp_f32 v2, v2
	;;#ASMEND
	s_and_saveexec_b64 s[10:11], s[2:3]
	s_cbranch_execz .LBB64_24
; %bb.23:
	s_load_dwordx2 s[2:3], s[4:5], 0x0
	s_mul_i32 s14, s20, s6
	s_mul_hi_i32 s12, s20, s6
	v_mov_b32_e32 v3, v2
	;;#ASMSTART
	v_pk_mul_f32 v[4:5], v[18:19], v[2:3]
	;;#ASMEND
	s_waitcnt lgkmcnt(0)
	s_add_u32 s20, s2, s14
	s_addc_u32 s2, s3, s12
	s_add_i32 s3, s15, 3
	s_ashr_i32 s12, s3, 31
	v_mov_b32_e32 v8, 0xc3e00000
	v_mov_b32_e32 v9, 0x43e00000
	;;#ASMSTART
	v_med3_f32 v4, v4, v8, v9
v_med3_f32 v5, v5, v8, v9
v_cvt_pk_fp8_f32 v6, v4, v5
	;;#ASMEND
	s_lshr_b32 s12, s12, 30
	;;#ASMSTART
	v_pk_mul_f32 v[4:5], v[32:33], v[2:3]
	;;#ASMEND
	s_add_i32 s3, s3, s12
	s_and_b32 s21, s2, 0xffff
	;;#ASMSTART
	v_med3_f32 v4, v4, v8, v9
v_med3_f32 v5, v5, v8, v9
v_cvt_pk_fp8_f32 v7, v4, v5
	;;#ASMEND
	s_mov_b32 s2, 0x5040100
	s_and_b32 s22, s3, -4
	v_perm_b32 v5, v7, v6, s2
	s_movk_i32 s3, 0xff
	v_and_b32_e32 v4, 0xffffff00, v7
	v_and_b32_sdwa v6, v5, s3 dst_sel:DWORD dst_unused:UNUSED_PAD src0_sel:WORD_1 src1_sel:DWORD
	s_mov_b32 s17, 0xffff
	v_or_b32_sdwa v4, v6, v4 dst_sel:WORD_1 dst_unused:UNUSED_PAD src0_sel:DWORD src1_sel:DWORD
	v_and_or_b32 v4, v5, s17, v4
	;;#ASMSTART
	v_pk_mul_f32 v[6:7], v[28:29], v[2:3]
	;;#ASMEND
	v_mov_b32_e32 v5, v6
	;;#ASMSTART
	v_med3_f32 v5, v5, v8, v9
v_med3_f32 v7, v7, v8, v9
v_cvt_pk_fp8_f32 v10, v5, v7
	;;#ASMEND
	;;#ASMSTART
	v_pk_mul_f32 v[6:7], v[24:25], v[2:3]
	;;#ASMEND
	v_mov_b32_e32 v5, v7
	;;#ASMSTART
	v_med3_f32 v6, v6, v8, v9
v_med3_f32 v5, v5, v8, v9
v_cvt_pk_fp8_f32 v7, v6, v5
	;;#ASMEND
	v_lshlrev_b32_e32 v5, 16, v7
	s_mov_b32 s23, 0x20000
	v_and_or_b32 v5, v10, s17, v5
	buffer_store_dwordx2 v[4:5], v1, s[20:23], 0 offen
	;;#ASMSTART
	s_nop 0
	;;#ASMEND
	;;#ASMSTART
	v_pk_mul_f32 v[4:5], v[30:31], v[2:3]
	;;#ASMEND
	;;#ASMSTART
	v_med3_f32 v4, v4, v8, v9
v_med3_f32 v5, v5, v8, v9
v_cvt_pk_fp8_f32 v6, v4, v5
	;;#ASMEND
	;;#ASMSTART
	v_pk_mul_f32 v[4:5], v[26:27], v[2:3]
	;;#ASMEND
	;;#ASMSTART
	v_med3_f32 v4, v4, v8, v9
v_med3_f32 v5, v5, v8, v9
v_cvt_pk_fp8_f32 v7, v4, v5
	;;#ASMEND
	v_perm_b32 v5, v7, v6, s2
	v_and_b32_e32 v4, 0xffffff00, v7
	v_and_b32_sdwa v6, v5, s3 dst_sel:DWORD dst_unused:UNUSED_PAD src0_sel:WORD_1 src1_sel:DWORD
	v_or_b32_sdwa v4, v6, v4 dst_sel:WORD_1 dst_unused:UNUSED_PAD src0_sel:DWORD src1_sel:DWORD
	v_and_or_b32 v4, v5, s17, v4
	;;#ASMSTART
	v_pk_mul_f32 v[6:7], v[22:23], v[2:3]
	;;#ASMEND
	v_mov_b32_e32 v5, v6
	;;#ASMSTART
	v_med3_f32 v5, v5, v8, v9
v_med3_f32 v7, v7, v8, v9
v_cvt_pk_fp8_f32 v6, v5, v7
	;;#ASMEND
	;;#ASMSTART
	v_pk_mul_f32 v[2:3], v[20:21], v[2:3]
	;;#ASMEND
	;;#ASMSTART
	v_med3_f32 v2, v2, v8, v9
v_med3_f32 v3, v3, v8, v9
v_cvt_pk_fp8_f32 v5, v2, v3
	;;#ASMEND
	v_lshlrev_b32_e32 v2, 16, v5
	v_and_or_b32 v5, v6, s17, v2
	s_movk_i32 s2, 0x200
	buffer_store_dwordx2 v[4:5], v1, s[20:23], s2 offen
	;;#ASMSTART
	s_nop 0
	;;#ASMEND
.LBB64_24:
	s_or_b64 exec, exec, s[10:11]
	s_cmp_lt_i32 s16, 1
	s_cbranch_scc1 .LBB64_12
.LBB64_25:
	s_load_dword s2, s[4:5], 0x94
	s_waitcnt lgkmcnt(0)
	s_cmp_lg_u32 s2, 1
	s_cbranch_scc1 .LBB64_12
; %bb.26:
	s_lshl_b32 s2, s16, 1
	s_add_i32 s2, s2, 2
	v_cmp_gt_u32_e32 vcc, s16, v1
	s_and_b32 s10, s2, -4
	v_mov_b32_e32 v18, 0
	v_lshlrev_b32_e32 v1, 1, v1
	v_mov_b32_e32 v14, 0
	v_mov_b32_e32 v15, 0
	;; [unrolled: 1-line block ×8, first 2 shown]
	s_waitcnt vmcnt(1)
	v_mov_b32_e32 v6, 0
	v_mov_b32_e32 v7, 0
	;; [unrolled: 1-line block ×4, first 2 shown]
	s_waitcnt vmcnt(0)
	v_mov_b32_e32 v2, 0
	v_mov_b32_e32 v3, 0
	;; [unrolled: 1-line block ×4, first 2 shown]
	s_barrier
	s_and_saveexec_b64 s[2:3], vcc
	s_cbranch_execz .LBB64_28
; %bb.27:
	s_mul_hi_i32 s5, s18, s6
	s_mul_i32 s4, s18, s6
	s_and_b32 s9, s9, 0xffff
	s_lshl_b64 s[4:5], s[4:5], 1
	s_add_u32 s20, s26, s4
	s_mov_b32 s11, 0x20000
	s_addc_u32 s4, s27, s5
	s_and_b32 s21, s4, 0xffff
	s_mov_b32 s22, s10
	s_mov_b32 s23, s11
	s_movk_i32 s4, 0x400
	buffer_load_dwordx4 v[14:17], v1, s[20:23], 0 offen glc slc
	buffer_load_dwordx4 v[10:13], v1, s[20:23], s4 offen glc slc
	buffer_load_dwordx4 v[6:9], v1, s[8:11], 0 offen
	buffer_load_dwordx4 v[2:5], v1, s[8:11], s4 offen
.LBB64_28:
	s_or_b64 exec, exec, s[2:3]
	v_mov_b32_e32 v19, 0
	v_mov_b32_e32 v32, 0
	;; [unrolled: 1-line block ×15, first 2 shown]
	s_and_saveexec_b64 s[2:3], vcc
	s_cbranch_execz .LBB64_30
; %bb.29:
	s_waitcnt vmcnt(3)
	v_cvt_f32_u32_sdwa v18, v14 dst_sel:DWORD dst_unused:UNUSED_PAD src0_sel:WORD_0
	v_cvt_f32_u32_sdwa v19, v14 dst_sel:DWORD dst_unused:UNUSED_PAD src0_sel:WORD_1
	v_cvt_f32_u32_sdwa v32, v15 dst_sel:DWORD dst_unused:UNUSED_PAD src0_sel:WORD_0
	v_cvt_f32_u32_sdwa v33, v15 dst_sel:DWORD dst_unused:UNUSED_PAD src0_sel:WORD_1
	;; [unrolled: 2-line block ×4, first 2 shown]
	s_waitcnt vmcnt(2)
	v_cvt_f32_u32_sdwa v26, v10 dst_sel:DWORD dst_unused:UNUSED_PAD src0_sel:WORD_0
	v_cvt_f32_u32_sdwa v27, v10 dst_sel:DWORD dst_unused:UNUSED_PAD src0_sel:WORD_1
	v_cvt_f32_u32_sdwa v24, v11 dst_sel:DWORD dst_unused:UNUSED_PAD src0_sel:WORD_0
	v_cvt_f32_u32_sdwa v25, v11 dst_sel:DWORD dst_unused:UNUSED_PAD src0_sel:WORD_1
	;; [unrolled: 2-line block ×4, first 2 shown]
.LBB64_30:
	s_or_b64 exec, exec, s[2:3]
	s_waitcnt vmcnt(2)
	v_mul_f32_e32 v10, v19, v19
	v_fmac_f32_e32 v10, v18, v18
	v_fmac_f32_e32 v10, v32, v32
	;; [unrolled: 1-line block ×15, first 2 shown]
	s_nop 1
	v_mov_b32_dpp v11, v10 quad_perm:[1,0,3,2] row_mask:0xf bank_mask:0xf
	v_add_f32_e32 v10, v10, v11
	s_nop 1
	v_mov_b32_dpp v11, v10 quad_perm:[2,3,0,1] row_mask:0xf bank_mask:0xf
	v_add_f32_e32 v10, v10, v11
	s_nop 1
	v_mov_b32_dpp v11, v10 row_half_mirror row_mask:0xf bank_mask:0xf
	v_add_f32_e32 v10, v10, v11
	s_nop 1
	v_mov_b32_dpp v11, v10 row_mirror row_mask:0xf bank_mask:0xf
	v_add_f32_e32 v10, v10, v11
	s_nop 1
	v_mov_b32_dpp v11, v10 row_bcast:15 row_mask:0xf bank_mask:0xf
	v_add_f32_e32 v10, v10, v11
	s_nop 1
	v_mov_b32_dpp v11, v10 row_bcast:31 row_mask:0xf bank_mask:0xf
	s_and_saveexec_b64 s[2:3], s[0:1]
	s_cbranch_execz .LBB64_32
; %bb.31:
	v_lshrrev_b32_e32 v0, 4, v0
	v_add_f32_e32 v10, v10, v11
	v_and_b32_e32 v0, 60, v0
	ds_write_b32 v0, v10 offset:16
.LBB64_32:
	s_or_b64 exec, exec, s[2:3]
	s_waitcnt lgkmcnt(0)
	s_barrier
	ds_read_b32 v0, v34 offset:16
	s_waitcnt lgkmcnt(0)
	s_nop 0
	v_mov_b32_dpp v10, v0 quad_perm:[1,0,3,2] row_mask:0xf bank_mask:0xf
	v_add_f32_e32 v0, v0, v10
	s_nop 1
	v_mov_b32_dpp v10, v0 quad_perm:[2,3,0,1] row_mask:0xf bank_mask:0xf
	s_and_saveexec_b64 s[0:1], vcc
	s_cbranch_execz .LBB64_12
; %bb.33:
	v_cvt_f32_u32_e32 v11, s16
	v_add_f32_e32 v0, v0, v10
	s_mov_b32 s11, 0x20000
	v_div_scale_f32 v10, s[0:1], v11, v11, v0
	v_rcp_f32_e32 v12, v10
	v_div_scale_f32 v13, vcc, v0, v11, v0
	s_mov_b32 s0, 0x800000
	v_fma_f32 v14, -v10, v12, 1.0
	v_fmac_f32_e32 v12, v14, v12
	v_mul_f32_e32 v14, v13, v12
	v_fma_f32 v15, -v10, v14, v13
	v_fmac_f32_e32 v14, v15, v12
	v_fma_f32 v10, -v10, v14, v13
	v_div_fmas_f32 v10, v10, v12, v14
	v_div_fixup_f32 v0, v10, v11, v0
	v_add_f32_e32 v0, s13, v0
	v_mul_f32_e32 v10, 0x4b800000, v0
	v_cmp_gt_f32_e32 vcc, s0, v0
	v_cndmask_b32_e32 v0, v0, v10, vcc
	v_rsq_f32_e32 v0, v0
	s_mul_hi_i32 s1, s7, s6
	s_mul_i32 s0, s7, s6
	s_lshl_b64 s[0:1], s[0:1], 1
	v_mul_f32_e32 v10, 0x45800000, v0
	v_cndmask_b32_e32 v10, v0, v10, vcc
	v_mov_b32_e32 v11, v10
	s_add_u32 s8, s24, s0
	;;#ASMSTART
	v_pk_mul_f32 v[12:13], v[18:19], v[10:11]
	;;#ASMEND
	;;#ASMSTART
	v_pk_mul_f32 v[14:15], v[32:33], v[10:11]
	;;#ASMEND
	;; [unrolled: 3-line block ×8, first 2 shown]
	s_waitcnt vmcnt(1)
	v_cvt_f32_u32_sdwa v21, v6 dst_sel:DWORD dst_unused:UNUSED_PAD src0_sel:WORD_1
	v_cvt_f32_u32_sdwa v20, v6 dst_sel:DWORD dst_unused:UNUSED_PAD src0_sel:WORD_0
	v_cvt_f32_u32_sdwa v29, v7 dst_sel:DWORD dst_unused:UNUSED_PAD src0_sel:WORD_1
	v_cvt_f32_u32_sdwa v28, v7 dst_sel:DWORD dst_unused:UNUSED_PAD src0_sel:WORD_0
	;; [unrolled: 2-line block ×3, first 2 shown]
	s_addc_u32 s0, s25, s1
	v_cvt_f32_u32_sdwa v31, v9 dst_sel:DWORD dst_unused:UNUSED_PAD src0_sel:WORD_1
	v_cvt_f32_u32_sdwa v30, v9 dst_sel:DWORD dst_unused:UNUSED_PAD src0_sel:WORD_0
	;;#ASMSTART
	v_pk_mul_f32 v[8:9], v[12:13], v[20:21]
	;;#ASMEND
	;;#ASMSTART
	v_pk_mul_f32 v[12:13], v[14:15], v[28:29]
	;;#ASMEND
	;; [unrolled: 3-line block ×4, first 2 shown]
	s_waitcnt vmcnt(0)
	v_cvt_f32_u32_sdwa v17, v2 dst_sel:DWORD dst_unused:UNUSED_PAD src0_sel:WORD_1
	v_cvt_f32_u32_sdwa v16, v2 dst_sel:DWORD dst_unused:UNUSED_PAD src0_sel:WORD_0
	v_cvt_f32_u32_sdwa v19, v3 dst_sel:DWORD dst_unused:UNUSED_PAD src0_sel:WORD_1
	v_cvt_f32_u32_sdwa v18, v3 dst_sel:DWORD dst_unused:UNUSED_PAD src0_sel:WORD_0
	;; [unrolled: 2-line block ×3, first 2 shown]
	s_and_b32 s9, s0, 0xffff
	s_mov_b32 s0, 0x7060302
	v_cvt_f32_u32_sdwa v21, v5 dst_sel:DWORD dst_unused:UNUSED_PAD src0_sel:WORD_1
	v_cvt_f32_u32_sdwa v20, v5 dst_sel:DWORD dst_unused:UNUSED_PAD src0_sel:WORD_0
	;;#ASMSTART
	v_pk_mul_f32 v[16:17], v[26:27], v[16:17]
	;;#ASMEND
	;;#ASMSTART
	v_pk_mul_f32 v[18:19], v[24:25], v[18:19]
	;;#ASMEND
	;; [unrolled: 3-line block ×3, first 2 shown]
	v_perm_b32 v2, v9, v8, s0
	v_perm_b32 v3, v13, v12, s0
	;; [unrolled: 1-line block ×4, first 2 shown]
	;;#ASMSTART
	v_pk_mul_f32 v[10:11], v[10:11], v[20:21]
	;;#ASMEND
	buffer_store_dwordx4 v[2:5], v1, s[8:11], 0 offen
	;;#ASMSTART
	s_nop 0
	;;#ASMEND
	s_nop 0
	v_perm_b32 v2, v17, v16, s0
	v_perm_b32 v3, v19, v18, s0
	;; [unrolled: 1-line block ×4, first 2 shown]
	s_movk_i32 s0, 0x400
	buffer_store_dwordx4 v[2:5], v1, s[8:11], s0 offen
	;;#ASMSTART
	s_nop 0
	;;#ASMEND
	s_endpgm
	.section	.rodata,"a",@progbits
	.p2align	6, 0x0
	.amdhsa_kernel _ZN5aiter35fused_qk_rmsnorm_group_quant_kernelItDB8_Li256ELi16ELi1ELb0ELb0ELb0ELb0ELb1ELb1EEEvPT0_PvPT_S6_S6_PKS5_S8_S8_S8_S8_ffiiiiiiiiiiiii
		.amdhsa_group_segment_fixed_size 48
		.amdhsa_private_segment_fixed_size 0
		.amdhsa_kernarg_size 400
		.amdhsa_user_sgpr_count 6
		.amdhsa_user_sgpr_private_segment_buffer 1
		.amdhsa_user_sgpr_dispatch_ptr 0
		.amdhsa_user_sgpr_queue_ptr 0
		.amdhsa_user_sgpr_kernarg_segment_ptr 1
		.amdhsa_user_sgpr_dispatch_id 0
		.amdhsa_user_sgpr_flat_scratch_init 0
		.amdhsa_user_sgpr_kernarg_preload_length 0
		.amdhsa_user_sgpr_kernarg_preload_offset 0
		.amdhsa_user_sgpr_private_segment_size 0
		.amdhsa_uses_dynamic_stack 0
		.amdhsa_system_sgpr_private_segment_wavefront_offset 0
		.amdhsa_system_sgpr_workgroup_id_x 1
		.amdhsa_system_sgpr_workgroup_id_y 1
		.amdhsa_system_sgpr_workgroup_id_z 0
		.amdhsa_system_sgpr_workgroup_info 0
		.amdhsa_system_vgpr_workitem_id 0
		.amdhsa_next_free_vgpr 38
		.amdhsa_next_free_sgpr 32
		.amdhsa_accum_offset 40
		.amdhsa_reserve_vcc 1
		.amdhsa_reserve_flat_scratch 0
		.amdhsa_float_round_mode_32 0
		.amdhsa_float_round_mode_16_64 0
		.amdhsa_float_denorm_mode_32 3
		.amdhsa_float_denorm_mode_16_64 3
		.amdhsa_dx10_clamp 1
		.amdhsa_ieee_mode 1
		.amdhsa_fp16_overflow 0
		.amdhsa_tg_split 0
		.amdhsa_exception_fp_ieee_invalid_op 0
		.amdhsa_exception_fp_denorm_src 0
		.amdhsa_exception_fp_ieee_div_zero 0
		.amdhsa_exception_fp_ieee_overflow 0
		.amdhsa_exception_fp_ieee_underflow 0
		.amdhsa_exception_fp_ieee_inexact 0
		.amdhsa_exception_int_div_zero 0
	.end_amdhsa_kernel
	.section	.text._ZN5aiter35fused_qk_rmsnorm_group_quant_kernelItDB8_Li256ELi16ELi1ELb0ELb0ELb0ELb0ELb1ELb1EEEvPT0_PvPT_S6_S6_PKS5_S8_S8_S8_S8_ffiiiiiiiiiiiii,"axG",@progbits,_ZN5aiter35fused_qk_rmsnorm_group_quant_kernelItDB8_Li256ELi16ELi1ELb0ELb0ELb0ELb0ELb1ELb1EEEvPT0_PvPT_S6_S6_PKS5_S8_S8_S8_S8_ffiiiiiiiiiiiii,comdat
.Lfunc_end64:
	.size	_ZN5aiter35fused_qk_rmsnorm_group_quant_kernelItDB8_Li256ELi16ELi1ELb0ELb0ELb0ELb0ELb1ELb1EEEvPT0_PvPT_S6_S6_PKS5_S8_S8_S8_S8_ffiiiiiiiiiiiii, .Lfunc_end64-_ZN5aiter35fused_qk_rmsnorm_group_quant_kernelItDB8_Li256ELi16ELi1ELb0ELb0ELb0ELb0ELb1ELb1EEEvPT0_PvPT_S6_S6_PKS5_S8_S8_S8_S8_ffiiiiiiiiiiiii
                                        ; -- End function
	.section	.AMDGPU.csdata,"",@progbits
; Kernel info:
; codeLenInByte = 3708
; NumSgprs: 36
; NumVgprs: 38
; NumAgprs: 0
; TotalNumVgprs: 38
; ScratchSize: 0
; MemoryBound: 0
; FloatMode: 240
; IeeeMode: 1
; LDSByteSize: 48 bytes/workgroup (compile time only)
; SGPRBlocks: 4
; VGPRBlocks: 4
; NumSGPRsForWavesPerEU: 36
; NumVGPRsForWavesPerEU: 38
; AccumOffset: 40
; Occupancy: 8
; WaveLimiterHint : 0
; COMPUTE_PGM_RSRC2:SCRATCH_EN: 0
; COMPUTE_PGM_RSRC2:USER_SGPR: 6
; COMPUTE_PGM_RSRC2:TRAP_HANDLER: 0
; COMPUTE_PGM_RSRC2:TGID_X_EN: 1
; COMPUTE_PGM_RSRC2:TGID_Y_EN: 1
; COMPUTE_PGM_RSRC2:TGID_Z_EN: 0
; COMPUTE_PGM_RSRC2:TIDIG_COMP_CNT: 0
; COMPUTE_PGM_RSRC3_GFX90A:ACCUM_OFFSET: 9
; COMPUTE_PGM_RSRC3_GFX90A:TG_SPLIT: 0
	.section	.text._ZN5aiter35fused_qk_rmsnorm_group_quant_kernelIDF16_DB8_Li256ELi24ELi1ELb1ELb1ELb1ELb0ELb1ELb1EEEvPT0_PvPT_S6_S6_PKS5_S8_S8_S8_S8_ffiiiiiiiiiiiii,"axG",@progbits,_ZN5aiter35fused_qk_rmsnorm_group_quant_kernelIDF16_DB8_Li256ELi24ELi1ELb1ELb1ELb1ELb0ELb1ELb1EEEvPT0_PvPT_S6_S6_PKS5_S8_S8_S8_S8_ffiiiiiiiiiiiii,comdat
	.protected	_ZN5aiter35fused_qk_rmsnorm_group_quant_kernelIDF16_DB8_Li256ELi24ELi1ELb1ELb1ELb1ELb0ELb1ELb1EEEvPT0_PvPT_S6_S6_PKS5_S8_S8_S8_S8_ffiiiiiiiiiiiii ; -- Begin function _ZN5aiter35fused_qk_rmsnorm_group_quant_kernelIDF16_DB8_Li256ELi24ELi1ELb1ELb1ELb1ELb0ELb1ELb1EEEvPT0_PvPT_S6_S6_PKS5_S8_S8_S8_S8_ffiiiiiiiiiiiii
	.globl	_ZN5aiter35fused_qk_rmsnorm_group_quant_kernelIDF16_DB8_Li256ELi24ELi1ELb1ELb1ELb1ELb0ELb1ELb1EEEvPT0_PvPT_S6_S6_PKS5_S8_S8_S8_S8_ffiiiiiiiiiiiii
	.p2align	8
	.type	_ZN5aiter35fused_qk_rmsnorm_group_quant_kernelIDF16_DB8_Li256ELi24ELi1ELb1ELb1ELb1ELb0ELb1ELb1EEEvPT0_PvPT_S6_S6_PKS5_S8_S8_S8_S8_ffiiiiiiiiiiiii,@function
_ZN5aiter35fused_qk_rmsnorm_group_quant_kernelIDF16_DB8_Li256ELi24ELi1ELb1ELb1ELb1ELb0ELb1ELb1EEEvPT0_PvPT_S6_S6_PKS5_S8_S8_S8_S8_ffiiiiiiiiiiiii: ; @_ZN5aiter35fused_qk_rmsnorm_group_quant_kernelIDF16_DB8_Li256ELi24ELi1ELb1ELb1ELb1ELb0ELb1ELb1EEEvPT0_PvPT_S6_S6_PKS5_S8_S8_S8_S8_ffiiiiiiiiiiiii
; %bb.0:
	s_load_dwordx8 s[12:19], s[4:5], 0x50
	s_mov_b64 s[42:43], s[2:3]
	s_mov_b64 s[40:41], s[0:1]
	s_add_u32 s40, s40, s8
	s_addc_u32 s41, s41, 0
	s_waitcnt lgkmcnt(0)
	s_cmp_ge_i32 s6, s14
	s_cbranch_scc1 .LBB65_17
; %bb.1:
	s_cmp_lg_u32 s7, 0
	s_cselect_b64 s[22:23], -1, 0
	s_cmp_eq_u32 s7, 0
	s_cselect_b64 s[8:9], -1, 0
	s_and_b64 s[0:1], s[8:9], exec
	s_cselect_b32 s7, s15, s16
	s_add_i32 s0, s7, 1
	s_load_dwordx2 s[10:11], s[4:5], 0x70
	s_load_dwordx2 s[20:21], s[4:5], 0x48
	;; [unrolled: 1-line block ×3, first 2 shown]
	s_lshr_b32 s1, s0, 31
	s_add_i32 s0, s0, s1
	s_lshl_b32 s0, s0, 1
	v_and_b32_e32 v2, 0x3c0, v0
	s_and_b32 s30, s0, -4
	v_lshlrev_b32_e32 v1, 3, v0
	v_mul_u32_u24_e32 v2, 24, v2
	s_movk_i32 s0, 0x1f8
	v_and_or_b32 v1, v1, s0, v2
	v_cmp_gt_i32_e64 s[0:1], s7, v1
	v_mov_b32_e32 v108, 0
	v_mov_b32_e32 v109, 0
	;; [unrolled: 1-line block ×24, first 2 shown]
	s_and_saveexec_b64 s[2:3], s[0:1]
	s_cbranch_execz .LBB65_3
; %bb.2:
	s_load_dwordx2 s[24:25], s[4:5], 0x28
	s_load_dwordx2 s[26:27], s[4:5], 0x40
	s_and_b64 s[28:29], s[8:9], exec
	s_cselect_b32 s14, s17, s18
	s_mov_b32 s31, 0x20000
	s_waitcnt lgkmcnt(0)
	s_cselect_b32 s17, s25, s35
	s_cselect_b32 s28, s24, s34
	s_mul_hi_i32 s25, s14, s6
	s_mul_i32 s24, s14, s6
	s_lshl_b64 s[24:25], s[24:25], 1
	s_add_u32 s24, s28, s24
	s_addc_u32 s14, s17, s25
	s_and_b64 s[28:29], s[8:9], exec
	s_cselect_b32 s17, s27, s21
	s_cselect_b32 s28, s26, s20
	s_and_b32 s29, s17, 0xffff
	s_and_b32 s25, s14, 0xffff
	s_mov_b32 s26, s30
	s_mov_b32 s27, s31
	v_lshlrev_b32_e32 v2, 1, v1
	s_movk_i32 s17, 0x800
	s_movk_i32 s14, 0x400
	buffer_load_dwordx4 v[112:115], v2, s[24:27], 0 offen glc slc
	buffer_load_dwordx4 v[116:119], v2, s[24:27], s14 offen glc slc
	buffer_load_dwordx4 v[34:37], v2, s[24:27], s17 offen glc slc
	buffer_load_dwordx4 v[108:111], v2, s[28:31], 0 offen
	buffer_load_dwordx4 v[104:107], v2, s[28:31], s14 offen
	;; [unrolled: 1-line block ×3, first 2 shown]
.LBB65_3:
	s_or_b64 exec, exec, s[2:3]
	s_load_dwordx4 s[24:27], s[4:5], 0x7c
	s_and_b64 vcc, exec, s[22:23]
	s_cbranch_vccz .LBB65_7
; %bb.4:
	v_mov_b32_e32 v21, 0
	v_mov_b32_e32 v20, 0
	buffer_store_dword v0, off, s[40:43], 0 ; 4-byte Folded Spill
	s_nop 0
	buffer_store_dword v1, off, s[40:43], 0 offset:4 ; 4-byte Folded Spill
	buffer_store_dword v2, off, s[40:43], 0 offset:8 ; 4-byte Folded Spill
	;; [unrolled: 1-line block ×31, first 2 shown]
	v_mov_b32_e32 v19, 0
	v_mov_b32_e32 v18, 0
	;; [unrolled: 1-line block ×6, first 2 shown]
	buffer_store_dword v0, off, s[40:43], 0 offset:384 ; 4-byte Folded Spill
	s_nop 0
	buffer_store_dword v1, off, s[40:43], 0 offset:388 ; 4-byte Folded Spill
	buffer_store_dword v2, off, s[40:43], 0 offset:392 ; 4-byte Folded Spill
	buffer_store_dword v3, off, s[40:43], 0 offset:396 ; 4-byte Folded Spill
	buffer_store_dword v4, off, s[40:43], 0 offset:400 ; 4-byte Folded Spill
	buffer_store_dword v5, off, s[40:43], 0 offset:404 ; 4-byte Folded Spill
	buffer_store_dword v6, off, s[40:43], 0 offset:408 ; 4-byte Folded Spill
	buffer_store_dword v7, off, s[40:43], 0 offset:412 ; 4-byte Folded Spill
	buffer_store_dword v8, off, s[40:43], 0 offset:416 ; 4-byte Folded Spill
	buffer_store_dword v9, off, s[40:43], 0 offset:420 ; 4-byte Folded Spill
	buffer_store_dword v10, off, s[40:43], 0 offset:424 ; 4-byte Folded Spill
	buffer_store_dword v11, off, s[40:43], 0 offset:428 ; 4-byte Folded Spill
	buffer_store_dword v12, off, s[40:43], 0 offset:432 ; 4-byte Folded Spill
	buffer_store_dword v13, off, s[40:43], 0 offset:436 ; 4-byte Folded Spill
	buffer_store_dword v14, off, s[40:43], 0 offset:440 ; 4-byte Folded Spill
	buffer_store_dword v15, off, s[40:43], 0 offset:444 ; 4-byte Folded Spill
	buffer_store_dword v16, off, s[40:43], 0 offset:448 ; 4-byte Folded Spill
	buffer_store_dword v17, off, s[40:43], 0 offset:452 ; 4-byte Folded Spill
	buffer_store_dword v18, off, s[40:43], 0 offset:456 ; 4-byte Folded Spill
	buffer_store_dword v19, off, s[40:43], 0 offset:460 ; 4-byte Folded Spill
	buffer_store_dword v20, off, s[40:43], 0 offset:464 ; 4-byte Folded Spill
	buffer_store_dword v21, off, s[40:43], 0 offset:468 ; 4-byte Folded Spill
	buffer_store_dword v22, off, s[40:43], 0 offset:472 ; 4-byte Folded Spill
	buffer_store_dword v23, off, s[40:43], 0 offset:476 ; 4-byte Folded Spill
	buffer_store_dword v24, off, s[40:43], 0 offset:480 ; 4-byte Folded Spill
	buffer_store_dword v25, off, s[40:43], 0 offset:484 ; 4-byte Folded Spill
	buffer_store_dword v26, off, s[40:43], 0 offset:488 ; 4-byte Folded Spill
	buffer_store_dword v27, off, s[40:43], 0 offset:492 ; 4-byte Folded Spill
	buffer_store_dword v28, off, s[40:43], 0 offset:496 ; 4-byte Folded Spill
	buffer_store_dword v29, off, s[40:43], 0 offset:500 ; 4-byte Folded Spill
	buffer_store_dword v30, off, s[40:43], 0 offset:504 ; 4-byte Folded Spill
	buffer_store_dword v31, off, s[40:43], 0 offset:508 ; 4-byte Folded Spill
	v_mov_b32_e32 v17, 0
	v_mov_b32_e32 v16, 0
	buffer_store_dword v0, off, s[40:43], 0 offset:512 ; 4-byte Folded Spill
	s_nop 0
	buffer_store_dword v1, off, s[40:43], 0 offset:516 ; 4-byte Folded Spill
	buffer_store_dword v2, off, s[40:43], 0 offset:520 ; 4-byte Folded Spill
	buffer_store_dword v3, off, s[40:43], 0 offset:524 ; 4-byte Folded Spill
	buffer_store_dword v4, off, s[40:43], 0 offset:528 ; 4-byte Folded Spill
	buffer_store_dword v5, off, s[40:43], 0 offset:532 ; 4-byte Folded Spill
	buffer_store_dword v6, off, s[40:43], 0 offset:536 ; 4-byte Folded Spill
	buffer_store_dword v7, off, s[40:43], 0 offset:540 ; 4-byte Folded Spill
	buffer_store_dword v8, off, s[40:43], 0 offset:544 ; 4-byte Folded Spill
	buffer_store_dword v9, off, s[40:43], 0 offset:548 ; 4-byte Folded Spill
	buffer_store_dword v10, off, s[40:43], 0 offset:552 ; 4-byte Folded Spill
	buffer_store_dword v11, off, s[40:43], 0 offset:556 ; 4-byte Folded Spill
	buffer_store_dword v12, off, s[40:43], 0 offset:560 ; 4-byte Folded Spill
	buffer_store_dword v13, off, s[40:43], 0 offset:564 ; 4-byte Folded Spill
	buffer_store_dword v14, off, s[40:43], 0 offset:568 ; 4-byte Folded Spill
	buffer_store_dword v15, off, s[40:43], 0 offset:572 ; 4-byte Folded Spill
	buffer_store_dword v16, off, s[40:43], 0 offset:576 ; 4-byte Folded Spill
	buffer_store_dword v17, off, s[40:43], 0 offset:580 ; 4-byte Folded Spill
	buffer_store_dword v18, off, s[40:43], 0 offset:584 ; 4-byte Folded Spill
	buffer_store_dword v19, off, s[40:43], 0 offset:588 ; 4-byte Folded Spill
	buffer_store_dword v20, off, s[40:43], 0 offset:592 ; 4-byte Folded Spill
	buffer_store_dword v21, off, s[40:43], 0 offset:596 ; 4-byte Folded Spill
	buffer_store_dword v22, off, s[40:43], 0 offset:600 ; 4-byte Folded Spill
	buffer_store_dword v23, off, s[40:43], 0 offset:604 ; 4-byte Folded Spill
	buffer_store_dword v24, off, s[40:43], 0 offset:608 ; 4-byte Folded Spill
	buffer_store_dword v25, off, s[40:43], 0 offset:612 ; 4-byte Folded Spill
	buffer_store_dword v26, off, s[40:43], 0 offset:616 ; 4-byte Folded Spill
	buffer_store_dword v27, off, s[40:43], 0 offset:620 ; 4-byte Folded Spill
	buffer_store_dword v28, off, s[40:43], 0 offset:624 ; 4-byte Folded Spill
	buffer_store_dword v29, off, s[40:43], 0 offset:628 ; 4-byte Folded Spill
	buffer_store_dword v30, off, s[40:43], 0 offset:632 ; 4-byte Folded Spill
	buffer_store_dword v31, off, s[40:43], 0 offset:636 ; 4-byte Folded Spill
	v_mov_b32_e32 v15, 0
	v_mov_b32_e32 v14, 0
	;; [unrolled: 35-line block ×8, first 2 shown]
	s_and_saveexec_b64 s[2:3], s[0:1]
	s_cbranch_execz .LBB65_6
; %bb.5:
	s_waitcnt vmcnt(62)
	v_cvt_f32_f16_sdwa v3, v112 dst_sel:DWORD dst_unused:UNUSED_PAD src0_sel:WORD_1
	v_cvt_f32_f16_e32 v2, v112
	v_cvt_f32_f16_sdwa v5, v114 dst_sel:DWORD dst_unused:UNUSED_PAD src0_sel:WORD_1
	v_cvt_f32_f16_e32 v4, v114
	buffer_store_dword v0, off, s[40:43], 0 offset:896 ; 4-byte Folded Spill
	s_nop 0
	buffer_store_dword v1, off, s[40:43], 0 offset:900 ; 4-byte Folded Spill
	buffer_store_dword v2, off, s[40:43], 0 offset:904 ; 4-byte Folded Spill
	;; [unrolled: 1-line block ×31, first 2 shown]
	v_cvt_f32_f16_sdwa v7, v115 dst_sel:DWORD dst_unused:UNUSED_PAD src0_sel:WORD_1
	v_cvt_f32_f16_e32 v6, v115
	v_cvt_f32_f16_sdwa v75, v113 dst_sel:DWORD dst_unused:UNUSED_PAD src0_sel:WORD_1
	v_cvt_f32_f16_e32 v74, v113
	v_cvt_f32_f16_sdwa v121, v37 dst_sel:DWORD dst_unused:UNUSED_PAD src0_sel:WORD_1
	v_cvt_f32_f16_e32 v120, v37
	buffer_store_dword v0, off, s[40:43], 0 offset:768 ; 4-byte Folded Spill
	s_nop 0
	buffer_store_dword v1, off, s[40:43], 0 offset:772 ; 4-byte Folded Spill
	buffer_store_dword v2, off, s[40:43], 0 offset:776 ; 4-byte Folded Spill
	buffer_store_dword v3, off, s[40:43], 0 offset:780 ; 4-byte Folded Spill
	buffer_store_dword v4, off, s[40:43], 0 offset:784 ; 4-byte Folded Spill
	buffer_store_dword v5, off, s[40:43], 0 offset:788 ; 4-byte Folded Spill
	buffer_store_dword v6, off, s[40:43], 0 offset:792 ; 4-byte Folded Spill
	buffer_store_dword v7, off, s[40:43], 0 offset:796 ; 4-byte Folded Spill
	buffer_store_dword v8, off, s[40:43], 0 offset:800 ; 4-byte Folded Spill
	buffer_store_dword v9, off, s[40:43], 0 offset:804 ; 4-byte Folded Spill
	buffer_store_dword v10, off, s[40:43], 0 offset:808 ; 4-byte Folded Spill
	buffer_store_dword v11, off, s[40:43], 0 offset:812 ; 4-byte Folded Spill
	buffer_store_dword v12, off, s[40:43], 0 offset:816 ; 4-byte Folded Spill
	buffer_store_dword v13, off, s[40:43], 0 offset:820 ; 4-byte Folded Spill
	buffer_store_dword v14, off, s[40:43], 0 offset:824 ; 4-byte Folded Spill
	buffer_store_dword v15, off, s[40:43], 0 offset:828 ; 4-byte Folded Spill
	buffer_store_dword v16, off, s[40:43], 0 offset:832 ; 4-byte Folded Spill
	buffer_store_dword v17, off, s[40:43], 0 offset:836 ; 4-byte Folded Spill
	buffer_store_dword v18, off, s[40:43], 0 offset:840 ; 4-byte Folded Spill
	buffer_store_dword v19, off, s[40:43], 0 offset:844 ; 4-byte Folded Spill
	buffer_store_dword v20, off, s[40:43], 0 offset:848 ; 4-byte Folded Spill
	buffer_store_dword v21, off, s[40:43], 0 offset:852 ; 4-byte Folded Spill
	buffer_store_dword v22, off, s[40:43], 0 offset:856 ; 4-byte Folded Spill
	buffer_store_dword v23, off, s[40:43], 0 offset:860 ; 4-byte Folded Spill
	buffer_store_dword v24, off, s[40:43], 0 offset:864 ; 4-byte Folded Spill
	buffer_store_dword v25, off, s[40:43], 0 offset:868 ; 4-byte Folded Spill
	buffer_store_dword v26, off, s[40:43], 0 offset:872 ; 4-byte Folded Spill
	buffer_store_dword v27, off, s[40:43], 0 offset:876 ; 4-byte Folded Spill
	buffer_store_dword v28, off, s[40:43], 0 offset:880 ; 4-byte Folded Spill
	buffer_store_dword v29, off, s[40:43], 0 offset:884 ; 4-byte Folded Spill
	buffer_store_dword v30, off, s[40:43], 0 offset:888 ; 4-byte Folded Spill
	buffer_store_dword v31, off, s[40:43], 0 offset:892 ; 4-byte Folded Spill
	v_cvt_f32_f16_sdwa v9, v116 dst_sel:DWORD dst_unused:UNUSED_PAD src0_sel:WORD_1
	v_cvt_f32_f16_e32 v8, v116
	buffer_store_dword v0, off, s[40:43], 0 offset:1024 ; 4-byte Folded Spill
	s_nop 0
	buffer_store_dword v1, off, s[40:43], 0 offset:1028 ; 4-byte Folded Spill
	buffer_store_dword v2, off, s[40:43], 0 offset:1032 ; 4-byte Folded Spill
	buffer_store_dword v3, off, s[40:43], 0 offset:1036 ; 4-byte Folded Spill
	buffer_store_dword v4, off, s[40:43], 0 offset:1040 ; 4-byte Folded Spill
	buffer_store_dword v5, off, s[40:43], 0 offset:1044 ; 4-byte Folded Spill
	buffer_store_dword v6, off, s[40:43], 0 offset:1048 ; 4-byte Folded Spill
	buffer_store_dword v7, off, s[40:43], 0 offset:1052 ; 4-byte Folded Spill
	buffer_store_dword v8, off, s[40:43], 0 offset:1056 ; 4-byte Folded Spill
	buffer_store_dword v9, off, s[40:43], 0 offset:1060 ; 4-byte Folded Spill
	buffer_store_dword v10, off, s[40:43], 0 offset:1064 ; 4-byte Folded Spill
	buffer_store_dword v11, off, s[40:43], 0 offset:1068 ; 4-byte Folded Spill
	buffer_store_dword v12, off, s[40:43], 0 offset:1072 ; 4-byte Folded Spill
	buffer_store_dword v13, off, s[40:43], 0 offset:1076 ; 4-byte Folded Spill
	buffer_store_dword v14, off, s[40:43], 0 offset:1080 ; 4-byte Folded Spill
	buffer_store_dword v15, off, s[40:43], 0 offset:1084 ; 4-byte Folded Spill
	buffer_store_dword v16, off, s[40:43], 0 offset:1088 ; 4-byte Folded Spill
	buffer_store_dword v17, off, s[40:43], 0 offset:1092 ; 4-byte Folded Spill
	buffer_store_dword v18, off, s[40:43], 0 offset:1096 ; 4-byte Folded Spill
	buffer_store_dword v19, off, s[40:43], 0 offset:1100 ; 4-byte Folded Spill
	buffer_store_dword v20, off, s[40:43], 0 offset:1104 ; 4-byte Folded Spill
	buffer_store_dword v21, off, s[40:43], 0 offset:1108 ; 4-byte Folded Spill
	buffer_store_dword v22, off, s[40:43], 0 offset:1112 ; 4-byte Folded Spill
	buffer_store_dword v23, off, s[40:43], 0 offset:1116 ; 4-byte Folded Spill
	buffer_store_dword v24, off, s[40:43], 0 offset:1120 ; 4-byte Folded Spill
	buffer_store_dword v25, off, s[40:43], 0 offset:1124 ; 4-byte Folded Spill
	buffer_store_dword v26, off, s[40:43], 0 offset:1128 ; 4-byte Folded Spill
	buffer_store_dword v27, off, s[40:43], 0 offset:1132 ; 4-byte Folded Spill
	buffer_store_dword v28, off, s[40:43], 0 offset:1136 ; 4-byte Folded Spill
	buffer_store_dword v29, off, s[40:43], 0 offset:1140 ; 4-byte Folded Spill
	buffer_store_dword v30, off, s[40:43], 0 offset:1144 ; 4-byte Folded Spill
	buffer_store_dword v31, off, s[40:43], 0 offset:1148 ; 4-byte Folded Spill
	v_cvt_f32_f16_sdwa v11, v117 dst_sel:DWORD dst_unused:UNUSED_PAD src0_sel:WORD_1
	v_cvt_f32_f16_e32 v10, v117
	;; [unrolled: 35-line block ×7, first 2 shown]
	buffer_store_dword v0, off, s[40:43], 0 ; 4-byte Folded Spill
	s_nop 0
	buffer_store_dword v1, off, s[40:43], 0 offset:4 ; 4-byte Folded Spill
	buffer_store_dword v2, off, s[40:43], 0 offset:8 ; 4-byte Folded Spill
	;; [unrolled: 1-line block ×31, first 2 shown]
.LBB65_6:
	s_or_b64 exec, exec, s[2:3]
	s_cbranch_execz .LBB65_8
	s_branch .LBB65_11
.LBB65_7:
                                        ; implicit-def: $vgpr38_vgpr39_vgpr40_vgpr41_vgpr42_vgpr43_vgpr44_vgpr45_vgpr46_vgpr47_vgpr48_vgpr49_vgpr50_vgpr51_vgpr52_vgpr53_vgpr54_vgpr55_vgpr56_vgpr57_vgpr58_vgpr59_vgpr60_vgpr61_vgpr62_vgpr63_vgpr64_vgpr65_vgpr66_vgpr67_vgpr68_vgpr69
                                        ; kill: killed $vgpr38_vgpr39_vgpr40_vgpr41_vgpr42_vgpr43_vgpr44_vgpr45_vgpr46_vgpr47_vgpr48_vgpr49_vgpr50_vgpr51_vgpr52_vgpr53_vgpr54_vgpr55_vgpr56_vgpr57_vgpr58_vgpr59_vgpr60_vgpr61_vgpr62_vgpr63_vgpr64_vgpr65_vgpr66_vgpr67_vgpr68_vgpr69
                                        ; implicit-def: $vgpr38_vgpr39_vgpr40_vgpr41_vgpr42_vgpr43_vgpr44_vgpr45_vgpr46_vgpr47_vgpr48_vgpr49_vgpr50_vgpr51_vgpr52_vgpr53_vgpr54_vgpr55_vgpr56_vgpr57_vgpr58_vgpr59_vgpr60_vgpr61_vgpr62_vgpr63_vgpr64_vgpr65_vgpr66_vgpr67_vgpr68_vgpr69
                                        ; kill: killed $vgpr38_vgpr39_vgpr40_vgpr41_vgpr42_vgpr43_vgpr44_vgpr45_vgpr46_vgpr47_vgpr48_vgpr49_vgpr50_vgpr51_vgpr52_vgpr53_vgpr54_vgpr55_vgpr56_vgpr57_vgpr58_vgpr59_vgpr60_vgpr61_vgpr62_vgpr63_vgpr64_vgpr65_vgpr66_vgpr67_vgpr68_vgpr69
                                        ; implicit-def: $vgpr121
                                        ; implicit-def: $vgpr2_vgpr3_vgpr4_vgpr5_vgpr6_vgpr7_vgpr8_vgpr9_vgpr10_vgpr11_vgpr12_vgpr13_vgpr14_vgpr15_vgpr16_vgpr17_vgpr18_vgpr19_vgpr20_vgpr21_vgpr22_vgpr23_vgpr24_vgpr25_vgpr26_vgpr27_vgpr28_vgpr29_vgpr30_vgpr31_vgpr32_vgpr33
                                        ; implicit-def: $vgpr72_vgpr73_vgpr74_vgpr75_vgpr76_vgpr77_vgpr78_vgpr79_vgpr80_vgpr81_vgpr82_vgpr83_vgpr84_vgpr85_vgpr86_vgpr87_vgpr88_vgpr89_vgpr90_vgpr91_vgpr92_vgpr93_vgpr94_vgpr95_vgpr96_vgpr97_vgpr98_vgpr99_vgpr100_vgpr101_vgpr102_vgpr103
                                        ; implicit-def: $vgpr38_vgpr39_vgpr40_vgpr41_vgpr42_vgpr43_vgpr44_vgpr45_vgpr46_vgpr47_vgpr48_vgpr49_vgpr50_vgpr51_vgpr52_vgpr53_vgpr54_vgpr55_vgpr56_vgpr57_vgpr58_vgpr59_vgpr60_vgpr61_vgpr62_vgpr63_vgpr64_vgpr65_vgpr66_vgpr67_vgpr68_vgpr69
                                        ; kill: killed $vgpr38_vgpr39_vgpr40_vgpr41_vgpr42_vgpr43_vgpr44_vgpr45_vgpr46_vgpr47_vgpr48_vgpr49_vgpr50_vgpr51_vgpr52_vgpr53_vgpr54_vgpr55_vgpr56_vgpr57_vgpr58_vgpr59_vgpr60_vgpr61_vgpr62_vgpr63_vgpr64_vgpr65_vgpr66_vgpr67_vgpr68_vgpr69
                                        ; implicit-def: $vgpr38_vgpr39_vgpr40_vgpr41_vgpr42_vgpr43_vgpr44_vgpr45_vgpr46_vgpr47_vgpr48_vgpr49_vgpr50_vgpr51_vgpr52_vgpr53_vgpr54_vgpr55_vgpr56_vgpr57_vgpr58_vgpr59_vgpr60_vgpr61_vgpr62_vgpr63_vgpr64_vgpr65_vgpr66_vgpr67_vgpr68_vgpr69
                                        ; kill: killed $vgpr38_vgpr39_vgpr40_vgpr41_vgpr42_vgpr43_vgpr44_vgpr45_vgpr46_vgpr47_vgpr48_vgpr49_vgpr50_vgpr51_vgpr52_vgpr53_vgpr54_vgpr55_vgpr56_vgpr57_vgpr58_vgpr59_vgpr60_vgpr61_vgpr62_vgpr63_vgpr64_vgpr65_vgpr66_vgpr67_vgpr68_vgpr69
	;; [unrolled: 2-line block ×7, first 2 shown]
.LBB65_8:
	v_mov_b32_e32 v21, 0
	v_mov_b32_e32 v20, 0
	buffer_store_dword v0, off, s[40:43], 0 ; 4-byte Folded Spill
	s_nop 0
	buffer_store_dword v1, off, s[40:43], 0 offset:4 ; 4-byte Folded Spill
	buffer_store_dword v2, off, s[40:43], 0 offset:8 ; 4-byte Folded Spill
	;; [unrolled: 1-line block ×31, first 2 shown]
	v_mov_b32_e32 v19, 0
	v_mov_b32_e32 v18, 0
	;; [unrolled: 1-line block ×6, first 2 shown]
	buffer_store_dword v0, off, s[40:43], 0 offset:384 ; 4-byte Folded Spill
	s_nop 0
	buffer_store_dword v1, off, s[40:43], 0 offset:388 ; 4-byte Folded Spill
	buffer_store_dword v2, off, s[40:43], 0 offset:392 ; 4-byte Folded Spill
	buffer_store_dword v3, off, s[40:43], 0 offset:396 ; 4-byte Folded Spill
	buffer_store_dword v4, off, s[40:43], 0 offset:400 ; 4-byte Folded Spill
	buffer_store_dword v5, off, s[40:43], 0 offset:404 ; 4-byte Folded Spill
	buffer_store_dword v6, off, s[40:43], 0 offset:408 ; 4-byte Folded Spill
	buffer_store_dword v7, off, s[40:43], 0 offset:412 ; 4-byte Folded Spill
	buffer_store_dword v8, off, s[40:43], 0 offset:416 ; 4-byte Folded Spill
	buffer_store_dword v9, off, s[40:43], 0 offset:420 ; 4-byte Folded Spill
	buffer_store_dword v10, off, s[40:43], 0 offset:424 ; 4-byte Folded Spill
	buffer_store_dword v11, off, s[40:43], 0 offset:428 ; 4-byte Folded Spill
	buffer_store_dword v12, off, s[40:43], 0 offset:432 ; 4-byte Folded Spill
	buffer_store_dword v13, off, s[40:43], 0 offset:436 ; 4-byte Folded Spill
	buffer_store_dword v14, off, s[40:43], 0 offset:440 ; 4-byte Folded Spill
	buffer_store_dword v15, off, s[40:43], 0 offset:444 ; 4-byte Folded Spill
	buffer_store_dword v16, off, s[40:43], 0 offset:448 ; 4-byte Folded Spill
	buffer_store_dword v17, off, s[40:43], 0 offset:452 ; 4-byte Folded Spill
	buffer_store_dword v18, off, s[40:43], 0 offset:456 ; 4-byte Folded Spill
	buffer_store_dword v19, off, s[40:43], 0 offset:460 ; 4-byte Folded Spill
	buffer_store_dword v20, off, s[40:43], 0 offset:464 ; 4-byte Folded Spill
	buffer_store_dword v21, off, s[40:43], 0 offset:468 ; 4-byte Folded Spill
	buffer_store_dword v22, off, s[40:43], 0 offset:472 ; 4-byte Folded Spill
	buffer_store_dword v23, off, s[40:43], 0 offset:476 ; 4-byte Folded Spill
	buffer_store_dword v24, off, s[40:43], 0 offset:480 ; 4-byte Folded Spill
	buffer_store_dword v25, off, s[40:43], 0 offset:484 ; 4-byte Folded Spill
	buffer_store_dword v26, off, s[40:43], 0 offset:488 ; 4-byte Folded Spill
	buffer_store_dword v27, off, s[40:43], 0 offset:492 ; 4-byte Folded Spill
	buffer_store_dword v28, off, s[40:43], 0 offset:496 ; 4-byte Folded Spill
	buffer_store_dword v29, off, s[40:43], 0 offset:500 ; 4-byte Folded Spill
	buffer_store_dword v30, off, s[40:43], 0 offset:504 ; 4-byte Folded Spill
	buffer_store_dword v31, off, s[40:43], 0 offset:508 ; 4-byte Folded Spill
	v_mov_b32_e32 v17, 0
	v_mov_b32_e32 v16, 0
	buffer_store_dword v0, off, s[40:43], 0 offset:512 ; 4-byte Folded Spill
	s_nop 0
	buffer_store_dword v1, off, s[40:43], 0 offset:516 ; 4-byte Folded Spill
	buffer_store_dword v2, off, s[40:43], 0 offset:520 ; 4-byte Folded Spill
	buffer_store_dword v3, off, s[40:43], 0 offset:524 ; 4-byte Folded Spill
	buffer_store_dword v4, off, s[40:43], 0 offset:528 ; 4-byte Folded Spill
	buffer_store_dword v5, off, s[40:43], 0 offset:532 ; 4-byte Folded Spill
	buffer_store_dword v6, off, s[40:43], 0 offset:536 ; 4-byte Folded Spill
	buffer_store_dword v7, off, s[40:43], 0 offset:540 ; 4-byte Folded Spill
	buffer_store_dword v8, off, s[40:43], 0 offset:544 ; 4-byte Folded Spill
	buffer_store_dword v9, off, s[40:43], 0 offset:548 ; 4-byte Folded Spill
	buffer_store_dword v10, off, s[40:43], 0 offset:552 ; 4-byte Folded Spill
	buffer_store_dword v11, off, s[40:43], 0 offset:556 ; 4-byte Folded Spill
	buffer_store_dword v12, off, s[40:43], 0 offset:560 ; 4-byte Folded Spill
	buffer_store_dword v13, off, s[40:43], 0 offset:564 ; 4-byte Folded Spill
	buffer_store_dword v14, off, s[40:43], 0 offset:568 ; 4-byte Folded Spill
	buffer_store_dword v15, off, s[40:43], 0 offset:572 ; 4-byte Folded Spill
	buffer_store_dword v16, off, s[40:43], 0 offset:576 ; 4-byte Folded Spill
	buffer_store_dword v17, off, s[40:43], 0 offset:580 ; 4-byte Folded Spill
	buffer_store_dword v18, off, s[40:43], 0 offset:584 ; 4-byte Folded Spill
	buffer_store_dword v19, off, s[40:43], 0 offset:588 ; 4-byte Folded Spill
	buffer_store_dword v20, off, s[40:43], 0 offset:592 ; 4-byte Folded Spill
	buffer_store_dword v21, off, s[40:43], 0 offset:596 ; 4-byte Folded Spill
	buffer_store_dword v22, off, s[40:43], 0 offset:600 ; 4-byte Folded Spill
	buffer_store_dword v23, off, s[40:43], 0 offset:604 ; 4-byte Folded Spill
	buffer_store_dword v24, off, s[40:43], 0 offset:608 ; 4-byte Folded Spill
	buffer_store_dword v25, off, s[40:43], 0 offset:612 ; 4-byte Folded Spill
	buffer_store_dword v26, off, s[40:43], 0 offset:616 ; 4-byte Folded Spill
	buffer_store_dword v27, off, s[40:43], 0 offset:620 ; 4-byte Folded Spill
	buffer_store_dword v28, off, s[40:43], 0 offset:624 ; 4-byte Folded Spill
	buffer_store_dword v29, off, s[40:43], 0 offset:628 ; 4-byte Folded Spill
	buffer_store_dword v30, off, s[40:43], 0 offset:632 ; 4-byte Folded Spill
	buffer_store_dword v31, off, s[40:43], 0 offset:636 ; 4-byte Folded Spill
	v_mov_b32_e32 v15, 0
	v_mov_b32_e32 v14, 0
	;; [unrolled: 35-line block ×8, first 2 shown]
	s_and_saveexec_b64 s[2:3], s[0:1]
	s_cbranch_execz .LBB65_10
; %bb.9:
	s_load_dwordx2 s[28:29], s[4:5], 0x38
	s_load_dwordx2 s[38:39], s[4:5], 0x20
	s_mul_hi_i32 s37, s19, s6
	s_mul_i32 s36, s19, s6
	s_lshl_b64 s[36:37], s[36:37], 1
	s_waitcnt lgkmcnt(0)
	s_add_u32 s28, s28, s36
	s_addc_u32 s14, s29, s37
	s_mov_b32 s31, 0x20000
	s_and_b32 s29, s14, 0xffff
	v_lshlrev_b32_e32 v52, 1, v1
	s_movk_i32 s14, 0x400
	s_movk_i32 s17, 0x800
	buffer_load_dwordx4 v[6:9], v52, s[28:31], s14 offen glc slc
	buffer_load_dwordx4 v[10:13], v52, s[28:31], s17 offen glc slc
	;; [unrolled: 1-line block ×3, first 2 shown]
	s_waitcnt vmcnt(62)
	v_cvt_f32_f16_sdwa v29, v36 dst_sel:DWORD dst_unused:UNUSED_PAD src0_sel:WORD_1
	v_cvt_f32_f16_e32 v28, v36
	v_cvt_f32_f16_sdwa v31, v37 dst_sel:DWORD dst_unused:UNUSED_PAD src0_sel:WORD_1
	v_cvt_f32_f16_e32 v30, v37
	;; [unrolled: 2-line block ×12, first 2 shown]
	s_mul_hi_i32 s27, s26, s6
	s_mul_i32 s26, s26, s6
	s_lshl_b64 s[26:27], s[26:27], 1
	s_add_u32 s28, s38, s26
	s_addc_u32 s19, s39, s27
	s_and_b32 s29, s19, 0xffff
	s_waitcnt vmcnt(1)
	v_cvt_f32_f16_e32 v46, v10
	v_cvt_f32_f16_e32 v42, v8
	v_cvt_f32_f16_sdwa v43, v8 dst_sel:DWORD dst_unused:UNUSED_PAD src0_sel:WORD_1
	v_cvt_f32_f16_e32 v44, v9
	v_cvt_f32_f16_sdwa v45, v9 dst_sel:DWORD dst_unused:UNUSED_PAD src0_sel:WORD_1
	s_waitcnt vmcnt(0)
	v_cvt_f32_f16_e32 v8, v16
	v_cvt_f32_f16_sdwa v9, v16 dst_sel:DWORD dst_unused:UNUSED_PAD src0_sel:WORD_1
	v_cvt_f32_f16_e32 v16, v17
	v_cvt_f32_f16_sdwa v17, v17 dst_sel:DWORD dst_unused:UNUSED_PAD src0_sel:WORD_1
	;; [unrolled: 2-line block ×4, first 2 shown]
	v_cvt_f32_f16_sdwa v47, v10 dst_sel:DWORD dst_unused:UNUSED_PAD src0_sel:WORD_1
	v_cvt_f32_f16_e32 v10, v11
	v_cvt_f32_f16_sdwa v11, v11 dst_sel:DWORD dst_unused:UNUSED_PAD src0_sel:WORD_1
	v_cvt_f32_f16_e32 v50, v12
	;; [unrolled: 2-line block ×5, first 2 shown]
	v_cvt_f32_f16_sdwa v7, v15 dst_sel:DWORD dst_unused:UNUSED_PAD src0_sel:WORD_1
	v_pk_add_f32 v[14:15], v[36:37], v[16:17]
	v_pk_add_f32 v[34:35], v[34:35], v[8:9]
	v_pk_mov_b32 v[16:17], v[14:15], v[14:15] op_sel:[0,1]
	v_cvt_f16_f32_e32 v8, v35
	v_cvt_f16_f32_e32 v9, v15
	buffer_store_dword v10, off, s[40:43], 0 offset:768 ; 4-byte Folded Spill
	s_nop 0
	buffer_store_dword v11, off, s[40:43], 0 offset:772 ; 4-byte Folded Spill
	buffer_store_dword v12, off, s[40:43], 0 offset:776 ; 4-byte Folded Spill
	buffer_store_dword v13, off, s[40:43], 0 offset:780 ; 4-byte Folded Spill
	buffer_store_dword v14, off, s[40:43], 0 offset:784 ; 4-byte Folded Spill
	buffer_store_dword v15, off, s[40:43], 0 offset:788 ; 4-byte Folded Spill
	buffer_store_dword v16, off, s[40:43], 0 offset:792 ; 4-byte Folded Spill
	buffer_store_dword v17, off, s[40:43], 0 offset:796 ; 4-byte Folded Spill
	buffer_store_dword v18, off, s[40:43], 0 offset:800 ; 4-byte Folded Spill
	buffer_store_dword v19, off, s[40:43], 0 offset:804 ; 4-byte Folded Spill
	buffer_store_dword v20, off, s[40:43], 0 offset:808 ; 4-byte Folded Spill
	buffer_store_dword v21, off, s[40:43], 0 offset:812 ; 4-byte Folded Spill
	buffer_store_dword v22, off, s[40:43], 0 offset:816 ; 4-byte Folded Spill
	buffer_store_dword v23, off, s[40:43], 0 offset:820 ; 4-byte Folded Spill
	buffer_store_dword v24, off, s[40:43], 0 offset:824 ; 4-byte Folded Spill
	buffer_store_dword v25, off, s[40:43], 0 offset:828 ; 4-byte Folded Spill
	buffer_store_dword v26, off, s[40:43], 0 offset:832 ; 4-byte Folded Spill
	buffer_store_dword v27, off, s[40:43], 0 offset:836 ; 4-byte Folded Spill
	buffer_store_dword v28, off, s[40:43], 0 offset:840 ; 4-byte Folded Spill
	buffer_store_dword v29, off, s[40:43], 0 offset:844 ; 4-byte Folded Spill
	buffer_store_dword v30, off, s[40:43], 0 offset:848 ; 4-byte Folded Spill
	buffer_store_dword v31, off, s[40:43], 0 offset:852 ; 4-byte Folded Spill
	buffer_store_dword v32, off, s[40:43], 0 offset:856 ; 4-byte Folded Spill
	buffer_store_dword v33, off, s[40:43], 0 offset:860 ; 4-byte Folded Spill
	buffer_store_dword v34, off, s[40:43], 0 offset:864 ; 4-byte Folded Spill
	buffer_store_dword v35, off, s[40:43], 0 offset:868 ; 4-byte Folded Spill
	buffer_store_dword v36, off, s[40:43], 0 offset:872 ; 4-byte Folded Spill
	buffer_store_dword v37, off, s[40:43], 0 offset:876 ; 4-byte Folded Spill
	buffer_store_dword v38, off, s[40:43], 0 offset:880 ; 4-byte Folded Spill
	buffer_store_dword v39, off, s[40:43], 0 offset:884 ; 4-byte Folded Spill
	buffer_store_dword v40, off, s[40:43], 0 offset:888 ; 4-byte Folded Spill
	buffer_store_dword v41, off, s[40:43], 0 offset:892 ; 4-byte Folded Spill
	v_pk_add_f32 v[2:3], v[2:3], v[48:49]
	v_cvt_f16_f32_e32 v14, v14
	v_pk_mov_b32 v[16:17], v[34:35], v[34:35] op_sel:[0,1]
	buffer_store_dword v12, off, s[40:43], 0 offset:896 ; 4-byte Folded Spill
	s_nop 0
	buffer_store_dword v13, off, s[40:43], 0 offset:900 ; 4-byte Folded Spill
	buffer_store_dword v14, off, s[40:43], 0 offset:904 ; 4-byte Folded Spill
	;; [unrolled: 1-line block ×31, first 2 shown]
	v_pk_add_f32 v[74:75], v[32:33], v[6:7]
	v_cvt_f16_f32_e32 v6, v75
	v_cvt_f16_f32_e32 v7, v74
	;; [unrolled: 1-line block ×3, first 2 shown]
	v_pack_b32_f16 v9, v14, v9
	v_cvt_f16_f32_e32 v14, v2
	v_pack_b32_f16 v7, v7, v6
	v_cvt_f16_f32_e32 v6, v3
	v_pack_b32_f16 v8, v15, v8
	v_pk_add_f32 v[22:23], v[22:23], v[42:43]
	v_pack_b32_f16 v6, v14, v6
	v_pk_add_f32 v[14:15], v[24:25], v[44:45]
	buffer_store_dwordx4 v[6:9], v52, s[28:31], 0 offen glc slc
	v_pk_mov_b32 v[16:17], v[14:15], v[14:15] op_sel:[0,1]
	v_cvt_f16_f32_e32 v6, v22
	v_cvt_f16_f32_e32 v7, v14
	buffer_store_dword v2, off, s[40:43], 0 offset:128 ; 4-byte Folded Spill
	s_nop 0
	buffer_store_dword v3, off, s[40:43], 0 offset:132 ; 4-byte Folded Spill
	buffer_store_dword v4, off, s[40:43], 0 offset:136 ; 4-byte Folded Spill
	;; [unrolled: 1-line block ×31, first 2 shown]
	v_cvt_f16_f32_e32 v8, v15
	v_pk_mov_b32 v[14:15], v[22:23], v[22:23] op_sel:[0,1]
	buffer_store_dword v2, off, s[40:43], 0 offset:256 ; 4-byte Folded Spill
	s_nop 0
	buffer_store_dword v3, off, s[40:43], 0 offset:260 ; 4-byte Folded Spill
	buffer_store_dword v4, off, s[40:43], 0 offset:264 ; 4-byte Folded Spill
	;; [unrolled: 1-line block ×31, first 2 shown]
	v_cvt_f16_f32_e32 v14, v23
	v_pack_b32_f16 v9, v7, v8
	v_pack_b32_f16 v8, v6, v14
	v_pk_add_f32 v[14:15], v[20:21], v[40:41]
	v_cvt_f16_f32_e32 v6, v14
	v_pk_mov_b32 v[16:17], v[14:15], v[14:15] op_sel:[0,1]
	buffer_store_dword v6, off, s[40:43], 0 offset:640 ; 4-byte Folded Spill
	s_nop 0
	buffer_store_dword v7, off, s[40:43], 0 offset:644 ; 4-byte Folded Spill
	buffer_store_dword v8, off, s[40:43], 0 offset:648 ; 4-byte Folded Spill
	;; [unrolled: 1-line block ×31, first 2 shown]
	v_cvt_f16_f32_e32 v7, v15
	v_pk_add_f32 v[14:15], v[18:19], v[38:39]
	v_pk_mov_b32 v[16:17], v[14:15], v[14:15] op_sel:[0,1]
	v_pack_b32_f16 v7, v6, v7
	v_cvt_f16_f32_e32 v6, v14
	buffer_store_dword v8, off, s[40:43], 0 offset:1024 ; 4-byte Folded Spill
	s_nop 0
	buffer_store_dword v9, off, s[40:43], 0 offset:1028 ; 4-byte Folded Spill
	buffer_store_dword v10, off, s[40:43], 0 offset:1032 ; 4-byte Folded Spill
	;; [unrolled: 1-line block ×31, first 2 shown]
	;;#ASMSTART
	s_nop 0
	;;#ASMEND
	v_cvt_f16_f32_e32 v14, v15
	v_pk_add_f32 v[120:121], v[30:31], v[12:13]
	v_pk_add_f32 v[20:21], v[28:29], v[50:51]
	v_pk_mov_b32 v[22:23], v[20:21], v[20:21] op_sel:[0,1]
	v_pack_b32_f16 v6, v6, v14
	buffer_store_dwordx4 v[6:9], v52, s[28:31], s14 offen glc slc
	v_cvt_f16_f32_e32 v6, v20
	v_cvt_f16_f32_e32 v7, v120
	;; [unrolled: 1-line block ×3, first 2 shown]
	buffer_store_dword v2, off, s[40:43], 0 ; 4-byte Folded Spill
	s_nop 0
	buffer_store_dword v3, off, s[40:43], 0 offset:4 ; 4-byte Folded Spill
	buffer_store_dword v4, off, s[40:43], 0 offset:8 ; 4-byte Folded Spill
	;; [unrolled: 1-line block ×31, first 2 shown]
	v_cvt_f16_f32_e32 v12, v21
	v_pk_add_f32 v[18:19], v[26:27], v[10:11]
	v_pack_b32_f16 v9, v7, v8
	v_pk_mov_b32 v[20:21], v[18:19], v[18:19] op_sel:[0,1]
	v_pack_b32_f16 v8, v6, v12
	v_cvt_f16_f32_e32 v6, v18
	buffer_store_dword v2, off, s[40:43], 0 offset:384 ; 4-byte Folded Spill
	s_nop 0
	buffer_store_dword v3, off, s[40:43], 0 offset:388 ; 4-byte Folded Spill
	buffer_store_dword v4, off, s[40:43], 0 offset:392 ; 4-byte Folded Spill
	;; [unrolled: 1-line block ×31, first 2 shown]
	v_cvt_f16_f32_e32 v7, v19
	v_pk_add_f32 v[16:17], v[4:5], v[46:47]
	v_cvt_f16_f32_e32 v4, v16
	v_pk_mov_b32 v[18:19], v[16:17], v[16:17] op_sel:[0,1]
	v_pack_b32_f16 v7, v6, v7
	buffer_store_dword v2, off, s[40:43], 0 offset:512 ; 4-byte Folded Spill
	s_nop 0
	buffer_store_dword v3, off, s[40:43], 0 offset:516 ; 4-byte Folded Spill
	buffer_store_dword v4, off, s[40:43], 0 offset:520 ; 4-byte Folded Spill
	;; [unrolled: 1-line block ×31, first 2 shown]
	;;#ASMSTART
	s_nop 0
	;;#ASMEND
	v_cvt_f16_f32_e32 v5, v17
	v_pack_b32_f16 v6, v4, v5
	buffer_store_dwordx4 v[6:9], v52, s[28:31], s17 offen glc slc
	;;#ASMSTART
	s_nop 0
	;;#ASMEND
.LBB65_10:
	s_or_b64 exec, exec, s[2:3]
.LBB65_11:
	buffer_load_dword v6, off, s[40:43], 0 offset:896 ; 4-byte Folded Reload
	buffer_load_dword v7, off, s[40:43], 0 offset:900 ; 4-byte Folded Reload
	;; [unrolled: 1-line block ×32, first 2 shown]
	v_mul_f32_e32 v4, v3, v3
	v_fmac_f32_e32 v4, v2, v2
	v_fmac_f32_e32 v4, v74, v74
	;; [unrolled: 1-line block ×3, first 2 shown]
	s_waitcnt vmcnt(26)
	v_pk_mov_b32 v[6:7], v[10:11], v[10:11] op_sel:[0,1]
	v_fmac_f32_e32 v4, v6, v6
	v_fmac_f32_e32 v4, v7, v7
	buffer_load_dword v6, off, s[40:43], 0 offset:768 ; 4-byte Folded Reload
	buffer_load_dword v7, off, s[40:43], 0 offset:772 ; 4-byte Folded Reload
	buffer_load_dword v8, off, s[40:43], 0 offset:776 ; 4-byte Folded Reload
	buffer_load_dword v9, off, s[40:43], 0 offset:780 ; 4-byte Folded Reload
	buffer_load_dword v10, off, s[40:43], 0 offset:784 ; 4-byte Folded Reload
	buffer_load_dword v11, off, s[40:43], 0 offset:788 ; 4-byte Folded Reload
	buffer_load_dword v12, off, s[40:43], 0 offset:792 ; 4-byte Folded Reload
	buffer_load_dword v13, off, s[40:43], 0 offset:796 ; 4-byte Folded Reload
	buffer_load_dword v14, off, s[40:43], 0 offset:800 ; 4-byte Folded Reload
	buffer_load_dword v15, off, s[40:43], 0 offset:804 ; 4-byte Folded Reload
	buffer_load_dword v16, off, s[40:43], 0 offset:808 ; 4-byte Folded Reload
	buffer_load_dword v17, off, s[40:43], 0 offset:812 ; 4-byte Folded Reload
	buffer_load_dword v18, off, s[40:43], 0 offset:816 ; 4-byte Folded Reload
	buffer_load_dword v19, off, s[40:43], 0 offset:820 ; 4-byte Folded Reload
	buffer_load_dword v20, off, s[40:43], 0 offset:824 ; 4-byte Folded Reload
	buffer_load_dword v21, off, s[40:43], 0 offset:828 ; 4-byte Folded Reload
	buffer_load_dword v22, off, s[40:43], 0 offset:832 ; 4-byte Folded Reload
	buffer_load_dword v23, off, s[40:43], 0 offset:836 ; 4-byte Folded Reload
	buffer_load_dword v24, off, s[40:43], 0 offset:840 ; 4-byte Folded Reload
	buffer_load_dword v25, off, s[40:43], 0 offset:844 ; 4-byte Folded Reload
	buffer_load_dword v26, off, s[40:43], 0 offset:848 ; 4-byte Folded Reload
	buffer_load_dword v27, off, s[40:43], 0 offset:852 ; 4-byte Folded Reload
	buffer_load_dword v28, off, s[40:43], 0 offset:856 ; 4-byte Folded Reload
	buffer_load_dword v29, off, s[40:43], 0 offset:860 ; 4-byte Folded Reload
	buffer_load_dword v30, off, s[40:43], 0 offset:864 ; 4-byte Folded Reload
	buffer_load_dword v31, off, s[40:43], 0 offset:868 ; 4-byte Folded Reload
	buffer_load_dword v32, off, s[40:43], 0 offset:872 ; 4-byte Folded Reload
	buffer_load_dword v33, off, s[40:43], 0 offset:876 ; 4-byte Folded Reload
	buffer_load_dword v34, off, s[40:43], 0 offset:880 ; 4-byte Folded Reload
	buffer_load_dword v35, off, s[40:43], 0 offset:884 ; 4-byte Folded Reload
	buffer_load_dword v36, off, s[40:43], 0 offset:888 ; 4-byte Folded Reload
	buffer_load_dword v37, off, s[40:43], 0 offset:892 ; 4-byte Folded Reload
	s_waitcnt vmcnt(24)
	v_pk_mov_b32 v[6:7], v[12:13], v[12:13] op_sel:[0,1]
	v_fmac_f32_e32 v4, v6, v6
	v_fmac_f32_e32 v4, v7, v7
	buffer_load_dword v6, off, s[40:43], 0 offset:1024 ; 4-byte Folded Reload
	buffer_load_dword v7, off, s[40:43], 0 offset:1028 ; 4-byte Folded Reload
	buffer_load_dword v8, off, s[40:43], 0 offset:1032 ; 4-byte Folded Reload
	buffer_load_dword v9, off, s[40:43], 0 offset:1036 ; 4-byte Folded Reload
	buffer_load_dword v10, off, s[40:43], 0 offset:1040 ; 4-byte Folded Reload
	buffer_load_dword v11, off, s[40:43], 0 offset:1044 ; 4-byte Folded Reload
	buffer_load_dword v12, off, s[40:43], 0 offset:1048 ; 4-byte Folded Reload
	buffer_load_dword v13, off, s[40:43], 0 offset:1052 ; 4-byte Folded Reload
	buffer_load_dword v14, off, s[40:43], 0 offset:1056 ; 4-byte Folded Reload
	buffer_load_dword v15, off, s[40:43], 0 offset:1060 ; 4-byte Folded Reload
	buffer_load_dword v16, off, s[40:43], 0 offset:1064 ; 4-byte Folded Reload
	buffer_load_dword v17, off, s[40:43], 0 offset:1068 ; 4-byte Folded Reload
	buffer_load_dword v18, off, s[40:43], 0 offset:1072 ; 4-byte Folded Reload
	buffer_load_dword v19, off, s[40:43], 0 offset:1076 ; 4-byte Folded Reload
	buffer_load_dword v20, off, s[40:43], 0 offset:1080 ; 4-byte Folded Reload
	buffer_load_dword v21, off, s[40:43], 0 offset:1084 ; 4-byte Folded Reload
	buffer_load_dword v22, off, s[40:43], 0 offset:1088 ; 4-byte Folded Reload
	buffer_load_dword v23, off, s[40:43], 0 offset:1092 ; 4-byte Folded Reload
	buffer_load_dword v24, off, s[40:43], 0 offset:1096 ; 4-byte Folded Reload
	buffer_load_dword v25, off, s[40:43], 0 offset:1100 ; 4-byte Folded Reload
	buffer_load_dword v26, off, s[40:43], 0 offset:1104 ; 4-byte Folded Reload
	buffer_load_dword v27, off, s[40:43], 0 offset:1108 ; 4-byte Folded Reload
	buffer_load_dword v28, off, s[40:43], 0 offset:1112 ; 4-byte Folded Reload
	buffer_load_dword v29, off, s[40:43], 0 offset:1116 ; 4-byte Folded Reload
	buffer_load_dword v30, off, s[40:43], 0 offset:1120 ; 4-byte Folded Reload
	buffer_load_dword v31, off, s[40:43], 0 offset:1124 ; 4-byte Folded Reload
	buffer_load_dword v32, off, s[40:43], 0 offset:1128 ; 4-byte Folded Reload
	buffer_load_dword v33, off, s[40:43], 0 offset:1132 ; 4-byte Folded Reload
	buffer_load_dword v34, off, s[40:43], 0 offset:1136 ; 4-byte Folded Reload
	buffer_load_dword v35, off, s[40:43], 0 offset:1140 ; 4-byte Folded Reload
	buffer_load_dword v36, off, s[40:43], 0 offset:1144 ; 4-byte Folded Reload
	buffer_load_dword v37, off, s[40:43], 0 offset:1148 ; 4-byte Folded Reload
	;; [unrolled: 36-line block ×7, first 2 shown]
	s_waitcnt vmcnt(12)
	v_pk_mov_b32 v[18:19], v[24:25], v[24:25] op_sel:[0,1]
	v_fmac_f32_e32 v4, v18, v18
	v_fmac_f32_e32 v4, v19, v19
	buffer_load_dword v6, off, s[40:43], 0  ; 4-byte Folded Reload
	buffer_load_dword v7, off, s[40:43], 0 offset:4 ; 4-byte Folded Reload
	buffer_load_dword v8, off, s[40:43], 0 offset:8 ; 4-byte Folded Reload
	;; [unrolled: 1-line block ×31, first 2 shown]
	s_waitcnt vmcnt(10)
	v_pk_mov_b32 v[20:21], v[26:27], v[26:27] op_sel:[0,1]
	v_fmac_f32_e32 v4, v20, v20
	v_fmac_f32_e32 v4, v21, v21
	;; [unrolled: 1-line block ×4, first 2 shown]
	s_nop 1
	v_mov_b32_dpp v5, v4 quad_perm:[1,0,3,2] row_mask:0xf bank_mask:0xf
	v_add_f32_e32 v4, v4, v5
	s_nop 1
	v_mov_b32_dpp v5, v4 quad_perm:[2,3,0,1] row_mask:0xf bank_mask:0xf
	v_add_f32_e32 v4, v4, v5
	s_nop 1
	v_mov_b32_dpp v5, v4 row_half_mirror row_mask:0xf bank_mask:0xf
	v_add_f32_e32 v4, v4, v5
	s_nop 1
	v_mov_b32_dpp v5, v4 row_mirror row_mask:0xf bank_mask:0xf
	v_add_f32_e32 v4, v4, v5
	s_nop 1
	v_mov_b32_dpp v5, v4 row_bcast:15 row_mask:0xf bank_mask:0xf
	v_add_f32_e32 v4, v4, v5
	v_and_b32_e32 v5, 63, v0
	v_cmp_eq_u32_e64 s[2:3], 63, v5
	s_nop 0
	v_mov_b32_dpp v5, v4 row_bcast:31 row_mask:0xf bank_mask:0xf
	s_waitcnt lgkmcnt(0)
	s_and_saveexec_b64 s[26:27], s[2:3]
	s_cbranch_execz .LBB65_13
; %bb.12:
	v_add_f32_e32 v4, v4, v5
	v_lshrrev_b32_e32 v5, 4, v0
	v_and_b32_e32 v5, 60, v5
	ds_write_b32 v5, v4 offset:32
.LBB65_13:
	s_or_b64 exec, exec, s[26:27]
	v_and_b32_e32 v4, 3, v0
	v_lshlrev_b32_e32 v50, 2, v4
	s_waitcnt lgkmcnt(0)
	s_barrier
	ds_read_b32 v4, v50 offset:32
	s_load_dwordx2 s[26:27], s[4:5], 0x18
	s_waitcnt lgkmcnt(0)
	v_mov_b32_dpp v5, v4 quad_perm:[1,0,3,2] row_mask:0xf bank_mask:0xf
	v_add_f32_e32 v4, v4, v5
	s_nop 1
	v_mov_b32_dpp v5, v4 quad_perm:[2,3,0,1] row_mask:0xf bank_mask:0xf
	s_and_saveexec_b64 s[28:29], s[0:1]
	s_cbranch_execnz .LBB65_18
; %bb.14:
	s_or_b64 exec, exec, s[28:29]
	s_mov_b64 s[8:9], -1
	s_and_b64 vcc, exec, s[22:23]
	s_cbranch_vccnz .LBB65_19
.LBB65_15:
	s_andn2_b64 vcc, exec, s[8:9]
	s_cbranch_vccz .LBB65_22
.LBB65_16:
	s_cmp_lt_i32 s16, 1
	s_cbranch_scc0 .LBB65_33
.LBB65_17:
	s_endpgm
.LBB65_18:
	v_add_f32_e32 v4, v4, v5
	v_cvt_f32_u32_e32 v5, s7
	s_mov_b32 s7, 0x800000
	v_div_scale_f32 v6, s[36:37], v5, v5, v4
	v_rcp_f32_e32 v7, v6
	v_fma_f32 v8, -v6, v7, 1.0
	v_fmac_f32_e32 v7, v8, v7
	v_div_scale_f32 v8, vcc, v4, v5, v4
	v_mul_f32_e32 v9, v8, v7
	v_fma_f32 v10, -v6, v9, v8
	v_fmac_f32_e32 v9, v10, v7
	v_fma_f32 v6, -v6, v9, v8
	v_div_fmas_f32 v6, v6, v7, v9
	v_div_fixup_f32 v4, v6, v5, v4
	v_mov_b32_e32 v5, s13
	v_mov_b32_e32 v6, s12
	v_cndmask_b32_e64 v5, v5, v6, s[8:9]
	v_add_f32_e32 v4, v5, v4
	v_mul_f32_e32 v5, 0x4b800000, v4
	v_cmp_gt_f32_e32 vcc, s7, v4
	v_cndmask_b32_e32 v4, v4, v5, vcc
	v_rsq_f32_e32 v4, v4
	v_mul_f32_e32 v5, 0x45800000, v4
	v_cndmask_b32_e32 v10, v4, v5, vcc
	v_mov_b32_e32 v11, v10
	;;#ASMSTART
	v_pk_mul_f32 v[2:3], v[2:3], v[10:11]
	;;#ASMEND
	;;#ASMSTART
	v_pk_mul_f32 v[4:5], v[74:75], v[10:11]
	;;#ASMEND
	buffer_load_dword v12, off, s[40:43], 0 offset:896 ; 4-byte Folded Reload
	buffer_load_dword v13, off, s[40:43], 0 offset:900 ; 4-byte Folded Reload
	buffer_load_dword v14, off, s[40:43], 0 offset:904 ; 4-byte Folded Reload
	buffer_load_dword v15, off, s[40:43], 0 offset:908 ; 4-byte Folded Reload
	buffer_load_dword v16, off, s[40:43], 0 offset:912 ; 4-byte Folded Reload
	buffer_load_dword v17, off, s[40:43], 0 offset:916 ; 4-byte Folded Reload
	buffer_load_dword v18, off, s[40:43], 0 offset:920 ; 4-byte Folded Reload
	buffer_load_dword v19, off, s[40:43], 0 offset:924 ; 4-byte Folded Reload
	buffer_load_dword v20, off, s[40:43], 0 offset:928 ; 4-byte Folded Reload
	buffer_load_dword v21, off, s[40:43], 0 offset:932 ; 4-byte Folded Reload
	buffer_load_dword v22, off, s[40:43], 0 offset:936 ; 4-byte Folded Reload
	buffer_load_dword v23, off, s[40:43], 0 offset:940 ; 4-byte Folded Reload
	buffer_load_dword v24, off, s[40:43], 0 offset:944 ; 4-byte Folded Reload
	buffer_load_dword v25, off, s[40:43], 0 offset:948 ; 4-byte Folded Reload
	buffer_load_dword v26, off, s[40:43], 0 offset:952 ; 4-byte Folded Reload
	buffer_load_dword v27, off, s[40:43], 0 offset:956 ; 4-byte Folded Reload
	buffer_load_dword v28, off, s[40:43], 0 offset:960 ; 4-byte Folded Reload
	buffer_load_dword v29, off, s[40:43], 0 offset:964 ; 4-byte Folded Reload
	buffer_load_dword v30, off, s[40:43], 0 offset:968 ; 4-byte Folded Reload
	buffer_load_dword v31, off, s[40:43], 0 offset:972 ; 4-byte Folded Reload
	buffer_load_dword v32, off, s[40:43], 0 offset:976 ; 4-byte Folded Reload
	buffer_load_dword v33, off, s[40:43], 0 offset:980 ; 4-byte Folded Reload
	buffer_load_dword v34, off, s[40:43], 0 offset:984 ; 4-byte Folded Reload
	buffer_load_dword v35, off, s[40:43], 0 offset:988 ; 4-byte Folded Reload
	buffer_load_dword v36, off, s[40:43], 0 offset:992 ; 4-byte Folded Reload
	buffer_load_dword v37, off, s[40:43], 0 offset:996 ; 4-byte Folded Reload
	buffer_load_dword v38, off, s[40:43], 0 offset:1000 ; 4-byte Folded Reload
	buffer_load_dword v39, off, s[40:43], 0 offset:1004 ; 4-byte Folded Reload
	buffer_load_dword v40, off, s[40:43], 0 offset:1008 ; 4-byte Folded Reload
	buffer_load_dword v41, off, s[40:43], 0 offset:1012 ; 4-byte Folded Reload
	buffer_load_dword v42, off, s[40:43], 0 offset:1016 ; 4-byte Folded Reload
	buffer_load_dword v43, off, s[40:43], 0 offset:1020 ; 4-byte Folded Reload
	s_waitcnt vmcnt(26)
	;;#ASMSTART
	v_pk_mul_f32 v[6:7], v[16:17], v[10:11]
	;;#ASMEND
	buffer_load_dword v12, off, s[40:43], 0 offset:768 ; 4-byte Folded Reload
	buffer_load_dword v13, off, s[40:43], 0 offset:772 ; 4-byte Folded Reload
	buffer_load_dword v14, off, s[40:43], 0 offset:776 ; 4-byte Folded Reload
	buffer_load_dword v15, off, s[40:43], 0 offset:780 ; 4-byte Folded Reload
	buffer_load_dword v16, off, s[40:43], 0 offset:784 ; 4-byte Folded Reload
	buffer_load_dword v17, off, s[40:43], 0 offset:788 ; 4-byte Folded Reload
	buffer_load_dword v18, off, s[40:43], 0 offset:792 ; 4-byte Folded Reload
	buffer_load_dword v19, off, s[40:43], 0 offset:796 ; 4-byte Folded Reload
	buffer_load_dword v20, off, s[40:43], 0 offset:800 ; 4-byte Folded Reload
	buffer_load_dword v21, off, s[40:43], 0 offset:804 ; 4-byte Folded Reload
	buffer_load_dword v22, off, s[40:43], 0 offset:808 ; 4-byte Folded Reload
	buffer_load_dword v23, off, s[40:43], 0 offset:812 ; 4-byte Folded Reload
	buffer_load_dword v24, off, s[40:43], 0 offset:816 ; 4-byte Folded Reload
	buffer_load_dword v25, off, s[40:43], 0 offset:820 ; 4-byte Folded Reload
	buffer_load_dword v26, off, s[40:43], 0 offset:824 ; 4-byte Folded Reload
	buffer_load_dword v27, off, s[40:43], 0 offset:828 ; 4-byte Folded Reload
	buffer_load_dword v28, off, s[40:43], 0 offset:832 ; 4-byte Folded Reload
	buffer_load_dword v29, off, s[40:43], 0 offset:836 ; 4-byte Folded Reload
	buffer_load_dword v30, off, s[40:43], 0 offset:840 ; 4-byte Folded Reload
	buffer_load_dword v31, off, s[40:43], 0 offset:844 ; 4-byte Folded Reload
	buffer_load_dword v32, off, s[40:43], 0 offset:848 ; 4-byte Folded Reload
	buffer_load_dword v33, off, s[40:43], 0 offset:852 ; 4-byte Folded Reload
	buffer_load_dword v34, off, s[40:43], 0 offset:856 ; 4-byte Folded Reload
	buffer_load_dword v35, off, s[40:43], 0 offset:860 ; 4-byte Folded Reload
	buffer_load_dword v36, off, s[40:43], 0 offset:864 ; 4-byte Folded Reload
	buffer_load_dword v37, off, s[40:43], 0 offset:868 ; 4-byte Folded Reload
	buffer_load_dword v38, off, s[40:43], 0 offset:872 ; 4-byte Folded Reload
	buffer_load_dword v39, off, s[40:43], 0 offset:876 ; 4-byte Folded Reload
	buffer_load_dword v40, off, s[40:43], 0 offset:880 ; 4-byte Folded Reload
	buffer_load_dword v41, off, s[40:43], 0 offset:884 ; 4-byte Folded Reload
	buffer_load_dword v42, off, s[40:43], 0 offset:888 ; 4-byte Folded Reload
	buffer_load_dword v43, off, s[40:43], 0 offset:892 ; 4-byte Folded Reload
	s_waitcnt vmcnt(24)
	;; [unrolled: 36-line block ×6, first 2 shown]
	v_cvt_f32_f16_sdwa v25, v108 dst_sel:DWORD dst_unused:UNUSED_PAD src0_sel:WORD_1
	v_cvt_f32_f16_e32 v24, v108
	s_waitcnt vmcnt(20)
	v_cvt_f32_f16_sdwa v29, v109 dst_sel:DWORD dst_unused:UNUSED_PAD src0_sel:WORD_1
	v_cvt_f32_f16_e32 v28, v109
	s_waitcnt vmcnt(18)
	v_cvt_f32_f16_sdwa v31, v110 dst_sel:DWORD dst_unused:UNUSED_PAD src0_sel:WORD_1
	v_cvt_f32_f16_e32 v30, v110
	v_pk_add_f32 v[24:25], v[24:25], 1.0 op_sel_hi:[1,0]
	s_waitcnt vmcnt(14)
	v_cvt_f32_f16_sdwa v35, v104 dst_sel:DWORD dst_unused:UNUSED_PAD src0_sel:WORD_1
	v_cvt_f32_f16_e32 v34, v104
	s_waitcnt vmcnt(12)
	v_cvt_f32_f16_sdwa v37, v105 dst_sel:DWORD dst_unused:UNUSED_PAD src0_sel:WORD_1
	v_cvt_f32_f16_e32 v36, v105
	;; [unrolled: 3-line block ×8, first 2 shown]
	;;#ASMSTART
	v_pk_mul_f32 v[18:19], v[32:33], v[10:11]
	;;#ASMEND
	buffer_load_dword v52, off, s[40:43], 0 offset:512 ; 4-byte Folded Reload
	buffer_load_dword v53, off, s[40:43], 0 offset:516 ; 4-byte Folded Reload
	;; [unrolled: 1-line block ×32, first 2 shown]
	v_cvt_f32_f16_sdwa v33, v111 dst_sel:DWORD dst_unused:UNUSED_PAD src0_sel:WORD_1
	v_cvt_f32_f16_e32 v32, v111
	s_waitcnt vmcnt(14)
	;;#ASMSTART
	v_pk_mul_f32 v[20:21], v[68:69], v[10:11]
	;;#ASMEND
	buffer_load_dword v52, off, s[40:43], 0 offset:384 ; 4-byte Folded Reload
	buffer_load_dword v53, off, s[40:43], 0 offset:388 ; 4-byte Folded Reload
	;; [unrolled: 1-line block ×32, first 2 shown]
	s_waitcnt vmcnt(12)
	;;#ASMSTART
	v_pk_mul_f32 v[22:23], v[70:71], v[10:11]
	;;#ASMEND
	buffer_load_dword v52, off, s[40:43], 0 ; 4-byte Folded Reload
	buffer_load_dword v53, off, s[40:43], 0 offset:4 ; 4-byte Folded Reload
	buffer_load_dword v54, off, s[40:43], 0 offset:8 ; 4-byte Folded Reload
	;; [unrolled: 1-line block ×31, first 2 shown]
	s_waitcnt vmcnt(10)
	;;#ASMSTART
	v_pk_mul_f32 v[26:27], v[72:73], v[10:11]
	;;#ASMEND
	;;#ASMSTART
	v_pk_mul_f32 v[10:11], v[120:121], v[10:11]
	;;#ASMEND
	;; [unrolled: 3-line block ×3, first 2 shown]
	v_pk_add_f32 v[24:25], v[28:29], 1.0 op_sel_hi:[1,0]
	v_pk_add_f32 v[28:29], v[30:31], 1.0 op_sel_hi:[1,0]
	;; [unrolled: 1-line block ×3, first 2 shown]
	s_waitcnt vmcnt(8)
	;;#ASMSTART
	v_pk_mul_f32 v[74:75], v[4:5], v[24:25]
	;;#ASMEND
	;;#ASMSTART
	v_pk_mul_f32 v[4:5], v[6:7], v[28:29]
	;;#ASMEND
	buffer_store_dword v0, off, s[40:43], 0 offset:896 ; 4-byte Folded Spill
	s_nop 0
	buffer_store_dword v1, off, s[40:43], 0 offset:900 ; 4-byte Folded Spill
	buffer_store_dword v2, off, s[40:43], 0 offset:904 ; 4-byte Folded Spill
	;; [unrolled: 1-line block ×31, first 2 shown]
	v_pk_add_f32 v[32:33], v[34:35], 1.0 op_sel_hi:[1,0]
	v_pk_add_f32 v[34:35], v[36:37], 1.0 op_sel_hi:[1,0]
	;; [unrolled: 1-line block ×8, first 2 shown]
	;;#ASMSTART
	v_pk_mul_f32 v[6:7], v[8:9], v[30:31]
	;;#ASMEND
	buffer_store_dword v0, off, s[40:43], 0 offset:768 ; 4-byte Folded Spill
	s_nop 0
	buffer_store_dword v1, off, s[40:43], 0 offset:772 ; 4-byte Folded Spill
	buffer_store_dword v2, off, s[40:43], 0 offset:776 ; 4-byte Folded Spill
	buffer_store_dword v3, off, s[40:43], 0 offset:780 ; 4-byte Folded Spill
	buffer_store_dword v4, off, s[40:43], 0 offset:784 ; 4-byte Folded Spill
	buffer_store_dword v5, off, s[40:43], 0 offset:788 ; 4-byte Folded Spill
	buffer_store_dword v6, off, s[40:43], 0 offset:792 ; 4-byte Folded Spill
	buffer_store_dword v7, off, s[40:43], 0 offset:796 ; 4-byte Folded Spill
	buffer_store_dword v8, off, s[40:43], 0 offset:800 ; 4-byte Folded Spill
	buffer_store_dword v9, off, s[40:43], 0 offset:804 ; 4-byte Folded Spill
	buffer_store_dword v10, off, s[40:43], 0 offset:808 ; 4-byte Folded Spill
	buffer_store_dword v11, off, s[40:43], 0 offset:812 ; 4-byte Folded Spill
	buffer_store_dword v12, off, s[40:43], 0 offset:816 ; 4-byte Folded Spill
	buffer_store_dword v13, off, s[40:43], 0 offset:820 ; 4-byte Folded Spill
	buffer_store_dword v14, off, s[40:43], 0 offset:824 ; 4-byte Folded Spill
	buffer_store_dword v15, off, s[40:43], 0 offset:828 ; 4-byte Folded Spill
	buffer_store_dword v16, off, s[40:43], 0 offset:832 ; 4-byte Folded Spill
	buffer_store_dword v17, off, s[40:43], 0 offset:836 ; 4-byte Folded Spill
	buffer_store_dword v18, off, s[40:43], 0 offset:840 ; 4-byte Folded Spill
	buffer_store_dword v19, off, s[40:43], 0 offset:844 ; 4-byte Folded Spill
	buffer_store_dword v20, off, s[40:43], 0 offset:848 ; 4-byte Folded Spill
	buffer_store_dword v21, off, s[40:43], 0 offset:852 ; 4-byte Folded Spill
	buffer_store_dword v22, off, s[40:43], 0 offset:856 ; 4-byte Folded Spill
	buffer_store_dword v23, off, s[40:43], 0 offset:860 ; 4-byte Folded Spill
	buffer_store_dword v24, off, s[40:43], 0 offset:864 ; 4-byte Folded Spill
	buffer_store_dword v25, off, s[40:43], 0 offset:868 ; 4-byte Folded Spill
	buffer_store_dword v26, off, s[40:43], 0 offset:872 ; 4-byte Folded Spill
	buffer_store_dword v27, off, s[40:43], 0 offset:876 ; 4-byte Folded Spill
	buffer_store_dword v28, off, s[40:43], 0 offset:880 ; 4-byte Folded Spill
	buffer_store_dword v29, off, s[40:43], 0 offset:884 ; 4-byte Folded Spill
	buffer_store_dword v30, off, s[40:43], 0 offset:888 ; 4-byte Folded Spill
	buffer_store_dword v31, off, s[40:43], 0 offset:892 ; 4-byte Folded Spill
	;;#ASMSTART
	v_pk_mul_f32 v[8:9], v[12:13], v[32:33]
	;;#ASMEND
	buffer_store_dword v0, off, s[40:43], 0 offset:1024 ; 4-byte Folded Spill
	s_nop 0
	buffer_store_dword v1, off, s[40:43], 0 offset:1028 ; 4-byte Folded Spill
	buffer_store_dword v2, off, s[40:43], 0 offset:1032 ; 4-byte Folded Spill
	buffer_store_dword v3, off, s[40:43], 0 offset:1036 ; 4-byte Folded Spill
	buffer_store_dword v4, off, s[40:43], 0 offset:1040 ; 4-byte Folded Spill
	buffer_store_dword v5, off, s[40:43], 0 offset:1044 ; 4-byte Folded Spill
	buffer_store_dword v6, off, s[40:43], 0 offset:1048 ; 4-byte Folded Spill
	buffer_store_dword v7, off, s[40:43], 0 offset:1052 ; 4-byte Folded Spill
	buffer_store_dword v8, off, s[40:43], 0 offset:1056 ; 4-byte Folded Spill
	buffer_store_dword v9, off, s[40:43], 0 offset:1060 ; 4-byte Folded Spill
	buffer_store_dword v10, off, s[40:43], 0 offset:1064 ; 4-byte Folded Spill
	buffer_store_dword v11, off, s[40:43], 0 offset:1068 ; 4-byte Folded Spill
	buffer_store_dword v12, off, s[40:43], 0 offset:1072 ; 4-byte Folded Spill
	buffer_store_dword v13, off, s[40:43], 0 offset:1076 ; 4-byte Folded Spill
	buffer_store_dword v14, off, s[40:43], 0 offset:1080 ; 4-byte Folded Spill
	buffer_store_dword v15, off, s[40:43], 0 offset:1084 ; 4-byte Folded Spill
	buffer_store_dword v16, off, s[40:43], 0 offset:1088 ; 4-byte Folded Spill
	buffer_store_dword v17, off, s[40:43], 0 offset:1092 ; 4-byte Folded Spill
	buffer_store_dword v18, off, s[40:43], 0 offset:1096 ; 4-byte Folded Spill
	buffer_store_dword v19, off, s[40:43], 0 offset:1100 ; 4-byte Folded Spill
	buffer_store_dword v20, off, s[40:43], 0 offset:1104 ; 4-byte Folded Spill
	buffer_store_dword v21, off, s[40:43], 0 offset:1108 ; 4-byte Folded Spill
	buffer_store_dword v22, off, s[40:43], 0 offset:1112 ; 4-byte Folded Spill
	buffer_store_dword v23, off, s[40:43], 0 offset:1116 ; 4-byte Folded Spill
	buffer_store_dword v24, off, s[40:43], 0 offset:1120 ; 4-byte Folded Spill
	buffer_store_dword v25, off, s[40:43], 0 offset:1124 ; 4-byte Folded Spill
	buffer_store_dword v26, off, s[40:43], 0 offset:1128 ; 4-byte Folded Spill
	buffer_store_dword v27, off, s[40:43], 0 offset:1132 ; 4-byte Folded Spill
	buffer_store_dword v28, off, s[40:43], 0 offset:1136 ; 4-byte Folded Spill
	buffer_store_dword v29, off, s[40:43], 0 offset:1140 ; 4-byte Folded Spill
	buffer_store_dword v30, off, s[40:43], 0 offset:1144 ; 4-byte Folded Spill
	buffer_store_dword v31, off, s[40:43], 0 offset:1148 ; 4-byte Folded Spill
	;;#ASMSTART
	v_pk_mul_f32 v[12:13], v[14:15], v[34:35]
	;;#ASMEND
	buffer_store_dword v2, off, s[40:43], 0 offset:640 ; 4-byte Folded Spill
	s_nop 0
	buffer_store_dword v3, off, s[40:43], 0 offset:644 ; 4-byte Folded Spill
	buffer_store_dword v4, off, s[40:43], 0 offset:648 ; 4-byte Folded Spill
	buffer_store_dword v5, off, s[40:43], 0 offset:652 ; 4-byte Folded Spill
	buffer_store_dword v6, off, s[40:43], 0 offset:656 ; 4-byte Folded Spill
	buffer_store_dword v7, off, s[40:43], 0 offset:660 ; 4-byte Folded Spill
	buffer_store_dword v8, off, s[40:43], 0 offset:664 ; 4-byte Folded Spill
	buffer_store_dword v9, off, s[40:43], 0 offset:668 ; 4-byte Folded Spill
	buffer_store_dword v10, off, s[40:43], 0 offset:672 ; 4-byte Folded Spill
	buffer_store_dword v11, off, s[40:43], 0 offset:676 ; 4-byte Folded Spill
	buffer_store_dword v12, off, s[40:43], 0 offset:680 ; 4-byte Folded Spill
	buffer_store_dword v13, off, s[40:43], 0 offset:684 ; 4-byte Folded Spill
	buffer_store_dword v14, off, s[40:43], 0 offset:688 ; 4-byte Folded Spill
	buffer_store_dword v15, off, s[40:43], 0 offset:692 ; 4-byte Folded Spill
	buffer_store_dword v16, off, s[40:43], 0 offset:696 ; 4-byte Folded Spill
	buffer_store_dword v17, off, s[40:43], 0 offset:700 ; 4-byte Folded Spill
	buffer_store_dword v18, off, s[40:43], 0 offset:704 ; 4-byte Folded Spill
	buffer_store_dword v19, off, s[40:43], 0 offset:708 ; 4-byte Folded Spill
	buffer_store_dword v20, off, s[40:43], 0 offset:712 ; 4-byte Folded Spill
	buffer_store_dword v21, off, s[40:43], 0 offset:716 ; 4-byte Folded Spill
	buffer_store_dword v22, off, s[40:43], 0 offset:720 ; 4-byte Folded Spill
	buffer_store_dword v23, off, s[40:43], 0 offset:724 ; 4-byte Folded Spill
	buffer_store_dword v24, off, s[40:43], 0 offset:728 ; 4-byte Folded Spill
	buffer_store_dword v25, off, s[40:43], 0 offset:732 ; 4-byte Folded Spill
	buffer_store_dword v26, off, s[40:43], 0 offset:736 ; 4-byte Folded Spill
	buffer_store_dword v27, off, s[40:43], 0 offset:740 ; 4-byte Folded Spill
	buffer_store_dword v28, off, s[40:43], 0 offset:744 ; 4-byte Folded Spill
	buffer_store_dword v29, off, s[40:43], 0 offset:748 ; 4-byte Folded Spill
	buffer_store_dword v30, off, s[40:43], 0 offset:752 ; 4-byte Folded Spill
	buffer_store_dword v31, off, s[40:43], 0 offset:756 ; 4-byte Folded Spill
	buffer_store_dword v32, off, s[40:43], 0 offset:760 ; 4-byte Folded Spill
	buffer_store_dword v33, off, s[40:43], 0 offset:764 ; 4-byte Folded Spill
	;;#ASMSTART
	v_pk_mul_f32 v[12:13], v[16:17], v[36:37]
	;;#ASMEND
	buffer_store_dword v0, off, s[40:43], 0 offset:256 ; 4-byte Folded Spill
	s_nop 0
	buffer_store_dword v1, off, s[40:43], 0 offset:260 ; 4-byte Folded Spill
	buffer_store_dword v2, off, s[40:43], 0 offset:264 ; 4-byte Folded Spill
	buffer_store_dword v3, off, s[40:43], 0 offset:268 ; 4-byte Folded Spill
	buffer_store_dword v4, off, s[40:43], 0 offset:272 ; 4-byte Folded Spill
	buffer_store_dword v5, off, s[40:43], 0 offset:276 ; 4-byte Folded Spill
	buffer_store_dword v6, off, s[40:43], 0 offset:280 ; 4-byte Folded Spill
	buffer_store_dword v7, off, s[40:43], 0 offset:284 ; 4-byte Folded Spill
	buffer_store_dword v8, off, s[40:43], 0 offset:288 ; 4-byte Folded Spill
	buffer_store_dword v9, off, s[40:43], 0 offset:292 ; 4-byte Folded Spill
	buffer_store_dword v10, off, s[40:43], 0 offset:296 ; 4-byte Folded Spill
	buffer_store_dword v11, off, s[40:43], 0 offset:300 ; 4-byte Folded Spill
	buffer_store_dword v12, off, s[40:43], 0 offset:304 ; 4-byte Folded Spill
	buffer_store_dword v13, off, s[40:43], 0 offset:308 ; 4-byte Folded Spill
	buffer_store_dword v14, off, s[40:43], 0 offset:312 ; 4-byte Folded Spill
	buffer_store_dword v15, off, s[40:43], 0 offset:316 ; 4-byte Folded Spill
	buffer_store_dword v16, off, s[40:43], 0 offset:320 ; 4-byte Folded Spill
	buffer_store_dword v17, off, s[40:43], 0 offset:324 ; 4-byte Folded Spill
	buffer_store_dword v18, off, s[40:43], 0 offset:328 ; 4-byte Folded Spill
	buffer_store_dword v19, off, s[40:43], 0 offset:332 ; 4-byte Folded Spill
	buffer_store_dword v20, off, s[40:43], 0 offset:336 ; 4-byte Folded Spill
	buffer_store_dword v21, off, s[40:43], 0 offset:340 ; 4-byte Folded Spill
	buffer_store_dword v22, off, s[40:43], 0 offset:344 ; 4-byte Folded Spill
	buffer_store_dword v23, off, s[40:43], 0 offset:348 ; 4-byte Folded Spill
	buffer_store_dword v24, off, s[40:43], 0 offset:352 ; 4-byte Folded Spill
	buffer_store_dword v25, off, s[40:43], 0 offset:356 ; 4-byte Folded Spill
	buffer_store_dword v26, off, s[40:43], 0 offset:360 ; 4-byte Folded Spill
	buffer_store_dword v27, off, s[40:43], 0 offset:364 ; 4-byte Folded Spill
	buffer_store_dword v28, off, s[40:43], 0 offset:368 ; 4-byte Folded Spill
	buffer_store_dword v29, off, s[40:43], 0 offset:372 ; 4-byte Folded Spill
	buffer_store_dword v30, off, s[40:43], 0 offset:376 ; 4-byte Folded Spill
	buffer_store_dword v31, off, s[40:43], 0 offset:380 ; 4-byte Folded Spill
	;;#ASMSTART
	v_pk_mul_f32 v[14:15], v[18:19], v[38:39]
	;;#ASMEND
	buffer_store_dword v0, off, s[40:43], 0 offset:128 ; 4-byte Folded Spill
	s_nop 0
	buffer_store_dword v1, off, s[40:43], 0 offset:132 ; 4-byte Folded Spill
	buffer_store_dword v2, off, s[40:43], 0 offset:136 ; 4-byte Folded Spill
	buffer_store_dword v3, off, s[40:43], 0 offset:140 ; 4-byte Folded Spill
	buffer_store_dword v4, off, s[40:43], 0 offset:144 ; 4-byte Folded Spill
	buffer_store_dword v5, off, s[40:43], 0 offset:148 ; 4-byte Folded Spill
	buffer_store_dword v6, off, s[40:43], 0 offset:152 ; 4-byte Folded Spill
	buffer_store_dword v7, off, s[40:43], 0 offset:156 ; 4-byte Folded Spill
	buffer_store_dword v8, off, s[40:43], 0 offset:160 ; 4-byte Folded Spill
	buffer_store_dword v9, off, s[40:43], 0 offset:164 ; 4-byte Folded Spill
	buffer_store_dword v10, off, s[40:43], 0 offset:168 ; 4-byte Folded Spill
	buffer_store_dword v11, off, s[40:43], 0 offset:172 ; 4-byte Folded Spill
	buffer_store_dword v12, off, s[40:43], 0 offset:176 ; 4-byte Folded Spill
	buffer_store_dword v13, off, s[40:43], 0 offset:180 ; 4-byte Folded Spill
	buffer_store_dword v14, off, s[40:43], 0 offset:184 ; 4-byte Folded Spill
	buffer_store_dword v15, off, s[40:43], 0 offset:188 ; 4-byte Folded Spill
	buffer_store_dword v16, off, s[40:43], 0 offset:192 ; 4-byte Folded Spill
	buffer_store_dword v17, off, s[40:43], 0 offset:196 ; 4-byte Folded Spill
	buffer_store_dword v18, off, s[40:43], 0 offset:200 ; 4-byte Folded Spill
	buffer_store_dword v19, off, s[40:43], 0 offset:204 ; 4-byte Folded Spill
	buffer_store_dword v20, off, s[40:43], 0 offset:208 ; 4-byte Folded Spill
	buffer_store_dword v21, off, s[40:43], 0 offset:212 ; 4-byte Folded Spill
	buffer_store_dword v22, off, s[40:43], 0 offset:216 ; 4-byte Folded Spill
	buffer_store_dword v23, off, s[40:43], 0 offset:220 ; 4-byte Folded Spill
	buffer_store_dword v24, off, s[40:43], 0 offset:224 ; 4-byte Folded Spill
	buffer_store_dword v25, off, s[40:43], 0 offset:228 ; 4-byte Folded Spill
	buffer_store_dword v26, off, s[40:43], 0 offset:232 ; 4-byte Folded Spill
	buffer_store_dword v27, off, s[40:43], 0 offset:236 ; 4-byte Folded Spill
	buffer_store_dword v28, off, s[40:43], 0 offset:240 ; 4-byte Folded Spill
	buffer_store_dword v29, off, s[40:43], 0 offset:244 ; 4-byte Folded Spill
	buffer_store_dword v30, off, s[40:43], 0 offset:248 ; 4-byte Folded Spill
	buffer_store_dword v31, off, s[40:43], 0 offset:252 ; 4-byte Folded Spill
	;;#ASMSTART
	v_pk_mul_f32 v[16:17], v[20:21], v[40:41]
	;;#ASMEND
	buffer_store_dword v0, off, s[40:43], 0 offset:512 ; 4-byte Folded Spill
	s_nop 0
	buffer_store_dword v1, off, s[40:43], 0 offset:516 ; 4-byte Folded Spill
	buffer_store_dword v2, off, s[40:43], 0 offset:520 ; 4-byte Folded Spill
	buffer_store_dword v3, off, s[40:43], 0 offset:524 ; 4-byte Folded Spill
	buffer_store_dword v4, off, s[40:43], 0 offset:528 ; 4-byte Folded Spill
	buffer_store_dword v5, off, s[40:43], 0 offset:532 ; 4-byte Folded Spill
	buffer_store_dword v6, off, s[40:43], 0 offset:536 ; 4-byte Folded Spill
	buffer_store_dword v7, off, s[40:43], 0 offset:540 ; 4-byte Folded Spill
	buffer_store_dword v8, off, s[40:43], 0 offset:544 ; 4-byte Folded Spill
	buffer_store_dword v9, off, s[40:43], 0 offset:548 ; 4-byte Folded Spill
	buffer_store_dword v10, off, s[40:43], 0 offset:552 ; 4-byte Folded Spill
	buffer_store_dword v11, off, s[40:43], 0 offset:556 ; 4-byte Folded Spill
	buffer_store_dword v12, off, s[40:43], 0 offset:560 ; 4-byte Folded Spill
	buffer_store_dword v13, off, s[40:43], 0 offset:564 ; 4-byte Folded Spill
	buffer_store_dword v14, off, s[40:43], 0 offset:568 ; 4-byte Folded Spill
	buffer_store_dword v15, off, s[40:43], 0 offset:572 ; 4-byte Folded Spill
	buffer_store_dword v16, off, s[40:43], 0 offset:576 ; 4-byte Folded Spill
	buffer_store_dword v17, off, s[40:43], 0 offset:580 ; 4-byte Folded Spill
	buffer_store_dword v18, off, s[40:43], 0 offset:584 ; 4-byte Folded Spill
	buffer_store_dword v19, off, s[40:43], 0 offset:588 ; 4-byte Folded Spill
	buffer_store_dword v20, off, s[40:43], 0 offset:592 ; 4-byte Folded Spill
	buffer_store_dword v21, off, s[40:43], 0 offset:596 ; 4-byte Folded Spill
	buffer_store_dword v22, off, s[40:43], 0 offset:600 ; 4-byte Folded Spill
	buffer_store_dword v23, off, s[40:43], 0 offset:604 ; 4-byte Folded Spill
	buffer_store_dword v24, off, s[40:43], 0 offset:608 ; 4-byte Folded Spill
	buffer_store_dword v25, off, s[40:43], 0 offset:612 ; 4-byte Folded Spill
	buffer_store_dword v26, off, s[40:43], 0 offset:616 ; 4-byte Folded Spill
	buffer_store_dword v27, off, s[40:43], 0 offset:620 ; 4-byte Folded Spill
	buffer_store_dword v28, off, s[40:43], 0 offset:624 ; 4-byte Folded Spill
	buffer_store_dword v29, off, s[40:43], 0 offset:628 ; 4-byte Folded Spill
	buffer_store_dword v30, off, s[40:43], 0 offset:632 ; 4-byte Folded Spill
	buffer_store_dword v31, off, s[40:43], 0 offset:636 ; 4-byte Folded Spill
	;;#ASMSTART
	v_pk_mul_f32 v[18:19], v[22:23], v[42:43]
	;;#ASMEND
	buffer_store_dword v0, off, s[40:43], 0 offset:384 ; 4-byte Folded Spill
	s_nop 0
	buffer_store_dword v1, off, s[40:43], 0 offset:388 ; 4-byte Folded Spill
	buffer_store_dword v2, off, s[40:43], 0 offset:392 ; 4-byte Folded Spill
	buffer_store_dword v3, off, s[40:43], 0 offset:396 ; 4-byte Folded Spill
	buffer_store_dword v4, off, s[40:43], 0 offset:400 ; 4-byte Folded Spill
	buffer_store_dword v5, off, s[40:43], 0 offset:404 ; 4-byte Folded Spill
	buffer_store_dword v6, off, s[40:43], 0 offset:408 ; 4-byte Folded Spill
	buffer_store_dword v7, off, s[40:43], 0 offset:412 ; 4-byte Folded Spill
	buffer_store_dword v8, off, s[40:43], 0 offset:416 ; 4-byte Folded Spill
	buffer_store_dword v9, off, s[40:43], 0 offset:420 ; 4-byte Folded Spill
	buffer_store_dword v10, off, s[40:43], 0 offset:424 ; 4-byte Folded Spill
	buffer_store_dword v11, off, s[40:43], 0 offset:428 ; 4-byte Folded Spill
	buffer_store_dword v12, off, s[40:43], 0 offset:432 ; 4-byte Folded Spill
	buffer_store_dword v13, off, s[40:43], 0 offset:436 ; 4-byte Folded Spill
	buffer_store_dword v14, off, s[40:43], 0 offset:440 ; 4-byte Folded Spill
	buffer_store_dword v15, off, s[40:43], 0 offset:444 ; 4-byte Folded Spill
	buffer_store_dword v16, off, s[40:43], 0 offset:448 ; 4-byte Folded Spill
	buffer_store_dword v17, off, s[40:43], 0 offset:452 ; 4-byte Folded Spill
	buffer_store_dword v18, off, s[40:43], 0 offset:456 ; 4-byte Folded Spill
	buffer_store_dword v19, off, s[40:43], 0 offset:460 ; 4-byte Folded Spill
	buffer_store_dword v20, off, s[40:43], 0 offset:464 ; 4-byte Folded Spill
	buffer_store_dword v21, off, s[40:43], 0 offset:468 ; 4-byte Folded Spill
	buffer_store_dword v22, off, s[40:43], 0 offset:472 ; 4-byte Folded Spill
	buffer_store_dword v23, off, s[40:43], 0 offset:476 ; 4-byte Folded Spill
	buffer_store_dword v24, off, s[40:43], 0 offset:480 ; 4-byte Folded Spill
	buffer_store_dword v25, off, s[40:43], 0 offset:484 ; 4-byte Folded Spill
	buffer_store_dword v26, off, s[40:43], 0 offset:488 ; 4-byte Folded Spill
	buffer_store_dword v27, off, s[40:43], 0 offset:492 ; 4-byte Folded Spill
	buffer_store_dword v28, off, s[40:43], 0 offset:496 ; 4-byte Folded Spill
	buffer_store_dword v29, off, s[40:43], 0 offset:500 ; 4-byte Folded Spill
	buffer_store_dword v30, off, s[40:43], 0 offset:504 ; 4-byte Folded Spill
	buffer_store_dword v31, off, s[40:43], 0 offset:508 ; 4-byte Folded Spill
	;;#ASMSTART
	v_pk_mul_f32 v[20:21], v[26:27], v[44:45]
	;;#ASMEND
	buffer_store_dword v0, off, s[40:43], 0 ; 4-byte Folded Spill
	s_nop 0
	buffer_store_dword v1, off, s[40:43], 0 offset:4 ; 4-byte Folded Spill
	buffer_store_dword v2, off, s[40:43], 0 offset:8 ; 4-byte Folded Spill
	;; [unrolled: 1-line block ×31, first 2 shown]
	;;#ASMSTART
	v_pk_mul_f32 v[120:121], v[10:11], v[46:47]
	;;#ASMEND
	s_or_b64 exec, exec, s[28:29]
	s_mov_b64 s[8:9], -1
	s_and_b64 vcc, exec, s[22:23]
	s_cbranch_vccz .LBB65_15
.LBB65_19:
	s_and_saveexec_b64 s[8:9], s[0:1]
	s_cbranch_execz .LBB65_21
; %bb.20:
	buffer_load_dword v4, off, s[40:43], 0 offset:896 ; 4-byte Folded Reload
	buffer_load_dword v5, off, s[40:43], 0 offset:900 ; 4-byte Folded Reload
	;; [unrolled: 1-line block ×32, first 2 shown]
	s_mul_hi_i32 s23, s25, s6
	s_mul_i32 s22, s25, s6
	s_lshl_b64 s[22:23], s[22:23], 1
	s_add_u32 s28, s26, s22
	s_addc_u32 s7, s27, s23
	s_and_b32 s29, s7, 0xffff
	s_mov_b32 s31, 0x20000
	s_movk_i32 s7, 0x400
	s_waitcnt vmcnt(26)
	v_pk_mov_b32 v[38:39], v[8:9], v[8:9] op_sel:[0,1]
	buffer_load_dword v6, off, s[40:43], 0 offset:768 ; 4-byte Folded Reload
	buffer_load_dword v7, off, s[40:43], 0 offset:772 ; 4-byte Folded Reload
	;; [unrolled: 1-line block ×32, first 2 shown]
	v_cvt_f16_f32_e32 v4, v38
	s_waitcnt vmcnt(29)
	v_cvt_f16_f32_e32 v8, v39
	s_waitcnt vmcnt(24)
	v_pk_mov_b32 v[6:7], v[12:13], v[12:13] op_sel:[0,1]
	v_cvt_f16_f32_e32 v5, v6
	v_cvt_f16_f32_e32 v6, v7
	v_pack_b32_f16 v7, v5, v6
	v_pack_b32_f16 v6, v4, v8
	v_cvt_f16_f32_e32 v4, v74
	v_cvt_f16_f32_e32 v5, v75
	;; [unrolled: 1-line block ×3, first 2 shown]
	v_pack_b32_f16 v5, v4, v5
	v_cvt_f16_f32_e32 v4, v2
	v_pack_b32_f16 v4, v4, v8
	v_lshlrev_b32_e32 v8, 1, v1
	buffer_store_dwordx4 v[4:7], v8, s[28:31], 0 offen
	buffer_load_dword v10, off, s[40:43], 0 offset:256 ; 4-byte Folded Reload
	buffer_load_dword v11, off, s[40:43], 0 offset:260 ; 4-byte Folded Reload
	;; [unrolled: 1-line block ×32, first 2 shown]
	s_waitcnt vmcnt(18)
	v_pk_mov_b32 v[42:43], v[22:23], v[22:23] op_sel:[0,1]
	buffer_load_dword v10, off, s[40:43], 0 offset:128 ; 4-byte Folded Reload
	buffer_load_dword v11, off, s[40:43], 0 offset:132 ; 4-byte Folded Reload
	;; [unrolled: 1-line block ×32, first 2 shown]
	v_cvt_f16_f32_e32 v4, v42
	v_cvt_f16_f32_e32 v9, v43
	s_waitcnt vmcnt(16)
	v_pk_mov_b32 v[14:15], v[24:25], v[24:25] op_sel:[0,1]
	v_cvt_f16_f32_e32 v5, v14
	v_cvt_f16_f32_e32 v6, v15
	buffer_load_dword v10, off, s[40:43], 0 offset:640 ; 4-byte Folded Reload
	buffer_load_dword v11, off, s[40:43], 0 offset:644 ; 4-byte Folded Reload
	;; [unrolled: 1-line block ×32, first 2 shown]
	v_pack_b32_f16 v7, v5, v6
	v_pack_b32_f16 v6, v4, v9
	s_waitcnt vmcnt(20)
	v_pk_mov_b32 v[10:11], v[20:21], v[20:21] op_sel:[0,1]
	v_cvt_f16_f32_e32 v4, v10
	v_cvt_f16_f32_e32 v5, v11
	buffer_load_dword v10, off, s[40:43], 0 offset:1024 ; 4-byte Folded Reload
	buffer_load_dword v11, off, s[40:43], 0 offset:1028 ; 4-byte Folded Reload
	;; [unrolled: 1-line block ×32, first 2 shown]
	;;#ASMSTART
	s_nop 0
	;;#ASMEND
	v_pack_b32_f16 v5, v4, v5
	s_waitcnt vmcnt(22)
	v_pk_mov_b32 v[10:11], v[18:19], v[18:19] op_sel:[0,1]
	v_cvt_f16_f32_e32 v4, v10
	v_cvt_f16_f32_e32 v9, v11
	v_pack_b32_f16 v4, v4, v9
	buffer_store_dwordx4 v[4:7], v8, s[28:31], s7 offen
	buffer_load_dword v76, off, s[40:43], 0 ; 4-byte Folded Reload
	buffer_load_dword v77, off, s[40:43], 0 offset:4 ; 4-byte Folded Reload
	buffer_load_dword v78, off, s[40:43], 0 offset:8 ; 4-byte Folded Reload
	;; [unrolled: 1-line block ×31, first 2 shown]
	v_cvt_f16_f32_e32 v5, v120
	v_cvt_f16_f32_e32 v6, v121
	s_movk_i32 s7, 0x800
	v_pack_b32_f16 v7, v5, v6
	s_waitcnt vmcnt(10)
	v_pk_mov_b32 v[20:21], v[96:97], v[96:97] op_sel:[0,1]
	v_cvt_f16_f32_e32 v4, v20
	v_cvt_f16_f32_e32 v9, v21
	buffer_load_dword v10, off, s[40:43], 0 offset:384 ; 4-byte Folded Reload
	buffer_load_dword v11, off, s[40:43], 0 offset:388 ; 4-byte Folded Reload
	;; [unrolled: 1-line block ×32, first 2 shown]
	v_pack_b32_f16 v6, v4, v9
	s_waitcnt vmcnt(12)
	v_pk_mov_b32 v[18:19], v[28:29], v[28:29] op_sel:[0,1]
	v_cvt_f16_f32_e32 v4, v18
	v_cvt_f16_f32_e32 v5, v19
	buffer_load_dword v10, off, s[40:43], 0 offset:512 ; 4-byte Folded Reload
	buffer_load_dword v11, off, s[40:43], 0 offset:516 ; 4-byte Folded Reload
	;; [unrolled: 1-line block ×32, first 2 shown]
	;;#ASMSTART
	s_nop 0
	;;#ASMEND
	v_pack_b32_f16 v5, v4, v5
	s_waitcnt vmcnt(14)
	v_pk_mov_b32 v[16:17], v[26:27], v[26:27] op_sel:[0,1]
	v_cvt_f16_f32_e32 v4, v16
	v_cvt_f16_f32_e32 v9, v17
	v_pack_b32_f16 v4, v4, v9
	buffer_store_dwordx4 v[4:7], v8, s[28:31], s7 offen
	;;#ASMSTART
	s_nop 0
	;;#ASMEND
.LBB65_21:
	s_or_b64 exec, exec, s[8:9]
	s_cbranch_execnz .LBB65_16
.LBB65_22:
	v_mov_b32_e32 v4, 0
	s_and_saveexec_b64 s[8:9], s[0:1]
	s_cbranch_execz .LBB65_24
; %bb.23:
	buffer_load_dword v4, off, s[40:43], 0 offset:896 ; 4-byte Folded Reload
	buffer_load_dword v5, off, s[40:43], 0 offset:900 ; 4-byte Folded Reload
	;; [unrolled: 1-line block ×32, first 2 shown]
	s_load_dwordx2 s[22:23], s[4:5], 0x10
	s_mul_hi_i32 s29, s24, s6
	s_mul_i32 s28, s24, s6
	s_lshl_b64 s[28:29], s[28:29], 1
	s_mov_b32 s31, 0x20000
	s_waitcnt lgkmcnt(0)
	s_add_u32 s28, s22, s28
	s_addc_u32 s7, s23, s29
	s_and_b32 s29, s7, 0xffff
	s_movk_i32 s7, 0x400
	s_waitcnt vmcnt(26)
	v_pk_mov_b32 v[38:39], v[8:9], v[8:9] op_sel:[0,1]
	buffer_load_dword v6, off, s[40:43], 0 offset:768 ; 4-byte Folded Reload
	buffer_load_dword v7, off, s[40:43], 0 offset:772 ; 4-byte Folded Reload
	;; [unrolled: 1-line block ×32, first 2 shown]
	v_cvt_f16_f32_e32 v4, v38
	s_waitcnt vmcnt(29)
	v_cvt_f16_f32_e32 v8, v39
	s_waitcnt vmcnt(24)
	v_pk_mov_b32 v[6:7], v[12:13], v[12:13] op_sel:[0,1]
	v_cvt_f16_f32_e32 v5, v6
	v_cvt_f16_f32_e32 v6, v7
	v_pack_b32_f16 v7, v5, v6
	v_pack_b32_f16 v6, v4, v8
	v_cvt_f16_f32_e32 v4, v74
	v_cvt_f16_f32_e32 v5, v75
	;; [unrolled: 1-line block ×3, first 2 shown]
	v_pack_b32_f16 v5, v4, v5
	v_cvt_f16_f32_e32 v4, v2
	v_pack_b32_f16 v4, v4, v8
	v_lshlrev_b32_e32 v8, 1, v1
	buffer_store_dwordx4 v[4:7], v8, s[28:31], 0 offen
	buffer_load_dword v10, off, s[40:43], 0 offset:256 ; 4-byte Folded Reload
	buffer_load_dword v11, off, s[40:43], 0 offset:260 ; 4-byte Folded Reload
	;; [unrolled: 1-line block ×32, first 2 shown]
	s_waitcnt vmcnt(18)
	v_pk_mov_b32 v[42:43], v[22:23], v[22:23] op_sel:[0,1]
	buffer_load_dword v10, off, s[40:43], 0 offset:128 ; 4-byte Folded Reload
	buffer_load_dword v11, off, s[40:43], 0 offset:132 ; 4-byte Folded Reload
	;; [unrolled: 1-line block ×32, first 2 shown]
	v_cvt_f16_f32_e32 v4, v42
	v_cvt_f16_f32_e32 v9, v43
	s_waitcnt vmcnt(16)
	v_pk_mov_b32 v[14:15], v[24:25], v[24:25] op_sel:[0,1]
	v_cvt_f16_f32_e32 v5, v14
	v_cvt_f16_f32_e32 v6, v15
	buffer_load_dword v10, off, s[40:43], 0 offset:640 ; 4-byte Folded Reload
	buffer_load_dword v11, off, s[40:43], 0 offset:644 ; 4-byte Folded Reload
	;; [unrolled: 1-line block ×32, first 2 shown]
	v_pack_b32_f16 v7, v5, v6
	v_pack_b32_f16 v6, v4, v9
	s_waitcnt vmcnt(20)
	v_pk_mov_b32 v[10:11], v[20:21], v[20:21] op_sel:[0,1]
	v_cvt_f16_f32_e32 v4, v10
	v_cvt_f16_f32_e32 v5, v11
	buffer_load_dword v10, off, s[40:43], 0 offset:1024 ; 4-byte Folded Reload
	buffer_load_dword v11, off, s[40:43], 0 offset:1028 ; 4-byte Folded Reload
	;; [unrolled: 1-line block ×32, first 2 shown]
	;;#ASMSTART
	s_nop 0
	;;#ASMEND
	v_pack_b32_f16 v5, v4, v5
	s_waitcnt vmcnt(22)
	v_pk_mov_b32 v[10:11], v[18:19], v[18:19] op_sel:[0,1]
	v_cvt_f16_f32_e32 v4, v10
	v_cvt_f16_f32_e32 v9, v11
	v_pack_b32_f16 v4, v4, v9
	buffer_store_dwordx4 v[4:7], v8, s[28:31], s7 offen
	buffer_load_dword v76, off, s[40:43], 0 ; 4-byte Folded Reload
	buffer_load_dword v77, off, s[40:43], 0 offset:4 ; 4-byte Folded Reload
	buffer_load_dword v78, off, s[40:43], 0 offset:8 ; 4-byte Folded Reload
	buffer_load_dword v79, off, s[40:43], 0 offset:12 ; 4-byte Folded Reload
	buffer_load_dword v80, off, s[40:43], 0 offset:16 ; 4-byte Folded Reload
	buffer_load_dword v81, off, s[40:43], 0 offset:20 ; 4-byte Folded Reload
	buffer_load_dword v82, off, s[40:43], 0 offset:24 ; 4-byte Folded Reload
	buffer_load_dword v83, off, s[40:43], 0 offset:28 ; 4-byte Folded Reload
	buffer_load_dword v84, off, s[40:43], 0 offset:32 ; 4-byte Folded Reload
	buffer_load_dword v85, off, s[40:43], 0 offset:36 ; 4-byte Folded Reload
	buffer_load_dword v86, off, s[40:43], 0 offset:40 ; 4-byte Folded Reload
	buffer_load_dword v87, off, s[40:43], 0 offset:44 ; 4-byte Folded Reload
	buffer_load_dword v88, off, s[40:43], 0 offset:48 ; 4-byte Folded Reload
	buffer_load_dword v89, off, s[40:43], 0 offset:52 ; 4-byte Folded Reload
	buffer_load_dword v90, off, s[40:43], 0 offset:56 ; 4-byte Folded Reload
	buffer_load_dword v91, off, s[40:43], 0 offset:60 ; 4-byte Folded Reload
	buffer_load_dword v92, off, s[40:43], 0 offset:64 ; 4-byte Folded Reload
	buffer_load_dword v93, off, s[40:43], 0 offset:68 ; 4-byte Folded Reload
	buffer_load_dword v94, off, s[40:43], 0 offset:72 ; 4-byte Folded Reload
	buffer_load_dword v95, off, s[40:43], 0 offset:76 ; 4-byte Folded Reload
	buffer_load_dword v96, off, s[40:43], 0 offset:80 ; 4-byte Folded Reload
	buffer_load_dword v97, off, s[40:43], 0 offset:84 ; 4-byte Folded Reload
	buffer_load_dword v98, off, s[40:43], 0 offset:88 ; 4-byte Folded Reload
	buffer_load_dword v99, off, s[40:43], 0 offset:92 ; 4-byte Folded Reload
	buffer_load_dword v100, off, s[40:43], 0 offset:96 ; 4-byte Folded Reload
	buffer_load_dword v101, off, s[40:43], 0 offset:100 ; 4-byte Folded Reload
	buffer_load_dword v102, off, s[40:43], 0 offset:104 ; 4-byte Folded Reload
	buffer_load_dword v103, off, s[40:43], 0 offset:108 ; 4-byte Folded Reload
	buffer_load_dword v104, off, s[40:43], 0 offset:112 ; 4-byte Folded Reload
	buffer_load_dword v105, off, s[40:43], 0 offset:116 ; 4-byte Folded Reload
	buffer_load_dword v106, off, s[40:43], 0 offset:120 ; 4-byte Folded Reload
	buffer_load_dword v107, off, s[40:43], 0 offset:124 ; 4-byte Folded Reload
	v_cvt_f16_f32_e32 v5, v120
	v_cvt_f16_f32_e32 v6, v121
	s_movk_i32 s7, 0x800
	v_pack_b32_f16 v7, v5, v6
	s_waitcnt vmcnt(10)
	v_pk_mov_b32 v[20:21], v[96:97], v[96:97] op_sel:[0,1]
	v_cvt_f16_f32_e32 v4, v20
	v_cvt_f16_f32_e32 v9, v21
	buffer_load_dword v10, off, s[40:43], 0 offset:384 ; 4-byte Folded Reload
	buffer_load_dword v11, off, s[40:43], 0 offset:388 ; 4-byte Folded Reload
	;; [unrolled: 1-line block ×32, first 2 shown]
	v_pack_b32_f16 v6, v4, v9
	s_waitcnt vmcnt(12)
	v_pk_mov_b32 v[18:19], v[28:29], v[28:29] op_sel:[0,1]
	v_cvt_f16_f32_e32 v4, v18
	v_cvt_f16_f32_e32 v5, v19
	buffer_load_dword v10, off, s[40:43], 0 offset:512 ; 4-byte Folded Reload
	buffer_load_dword v11, off, s[40:43], 0 offset:516 ; 4-byte Folded Reload
	;; [unrolled: 1-line block ×32, first 2 shown]
	;;#ASMSTART
	s_nop 0
	;;#ASMEND
	v_pack_b32_f16 v5, v4, v5
	s_waitcnt vmcnt(14)
	v_pk_mov_b32 v[16:17], v[26:27], v[26:27] op_sel:[0,1]
	v_cvt_f16_f32_e32 v4, v16
	v_cvt_f16_f32_e32 v9, v17
	v_pack_b32_f16 v4, v4, v9
	buffer_store_dwordx4 v[4:7], v8, s[28:31], s7 offen
	v_mov_b32_e32 v4, 0x2edbe6ff
	;;#ASMSTART
	s_nop 0
	;;#ASMEND
.LBB65_24:
	s_or_b64 exec, exec, s[8:9]
	s_and_saveexec_b64 s[8:9], s[0:1]
	s_cbranch_execz .LBB65_26
; %bb.25:
	v_and_b32_e32 v6, 0x7fffffff, v3
	v_and_b32_e32 v5, 0x7fffffff, v2
	;;#ASMSTART
	v_max3_f32 v4, v4, v5, v6

	;;#ASMEND
	v_and_b32_e32 v6, 0x7fffffff, v75
	v_and_b32_e32 v5, 0x7fffffff, v74
	;;#ASMSTART
	v_max3_f32 v4, v4, v5, v6

	;;#ASMEND
	buffer_load_dword v6, off, s[40:43], 0 offset:896 ; 4-byte Folded Reload
	buffer_load_dword v7, off, s[40:43], 0 offset:900 ; 4-byte Folded Reload
	buffer_load_dword v8, off, s[40:43], 0 offset:904 ; 4-byte Folded Reload
	buffer_load_dword v9, off, s[40:43], 0 offset:908 ; 4-byte Folded Reload
	buffer_load_dword v10, off, s[40:43], 0 offset:912 ; 4-byte Folded Reload
	buffer_load_dword v11, off, s[40:43], 0 offset:916 ; 4-byte Folded Reload
	buffer_load_dword v12, off, s[40:43], 0 offset:920 ; 4-byte Folded Reload
	buffer_load_dword v13, off, s[40:43], 0 offset:924 ; 4-byte Folded Reload
	buffer_load_dword v14, off, s[40:43], 0 offset:928 ; 4-byte Folded Reload
	buffer_load_dword v15, off, s[40:43], 0 offset:932 ; 4-byte Folded Reload
	buffer_load_dword v16, off, s[40:43], 0 offset:936 ; 4-byte Folded Reload
	buffer_load_dword v17, off, s[40:43], 0 offset:940 ; 4-byte Folded Reload
	buffer_load_dword v18, off, s[40:43], 0 offset:944 ; 4-byte Folded Reload
	buffer_load_dword v19, off, s[40:43], 0 offset:948 ; 4-byte Folded Reload
	buffer_load_dword v20, off, s[40:43], 0 offset:952 ; 4-byte Folded Reload
	buffer_load_dword v21, off, s[40:43], 0 offset:956 ; 4-byte Folded Reload
	buffer_load_dword v22, off, s[40:43], 0 offset:960 ; 4-byte Folded Reload
	buffer_load_dword v23, off, s[40:43], 0 offset:964 ; 4-byte Folded Reload
	buffer_load_dword v24, off, s[40:43], 0 offset:968 ; 4-byte Folded Reload
	buffer_load_dword v25, off, s[40:43], 0 offset:972 ; 4-byte Folded Reload
	buffer_load_dword v26, off, s[40:43], 0 offset:976 ; 4-byte Folded Reload
	buffer_load_dword v27, off, s[40:43], 0 offset:980 ; 4-byte Folded Reload
	buffer_load_dword v28, off, s[40:43], 0 offset:984 ; 4-byte Folded Reload
	buffer_load_dword v29, off, s[40:43], 0 offset:988 ; 4-byte Folded Reload
	buffer_load_dword v30, off, s[40:43], 0 offset:992 ; 4-byte Folded Reload
	buffer_load_dword v31, off, s[40:43], 0 offset:996 ; 4-byte Folded Reload
	buffer_load_dword v32, off, s[40:43], 0 offset:1000 ; 4-byte Folded Reload
	buffer_load_dword v33, off, s[40:43], 0 offset:1004 ; 4-byte Folded Reload
	buffer_load_dword v34, off, s[40:43], 0 offset:1008 ; 4-byte Folded Reload
	buffer_load_dword v35, off, s[40:43], 0 offset:1012 ; 4-byte Folded Reload
	buffer_load_dword v36, off, s[40:43], 0 offset:1016 ; 4-byte Folded Reload
	buffer_load_dword v37, off, s[40:43], 0 offset:1020 ; 4-byte Folded Reload
	s_waitcnt vmcnt(26)
	v_pk_mov_b32 v[6:7], v[10:11], v[10:11] op_sel:[0,1]
	v_and_b32_e32 v5, 0x7fffffff, v6
	v_and_b32_e32 v6, 0x7fffffff, v7
	;;#ASMSTART
	v_max3_f32 v4, v4, v5, v6

	;;#ASMEND
	buffer_load_dword v6, off, s[40:43], 0 offset:768 ; 4-byte Folded Reload
	buffer_load_dword v7, off, s[40:43], 0 offset:772 ; 4-byte Folded Reload
	buffer_load_dword v8, off, s[40:43], 0 offset:776 ; 4-byte Folded Reload
	buffer_load_dword v9, off, s[40:43], 0 offset:780 ; 4-byte Folded Reload
	buffer_load_dword v10, off, s[40:43], 0 offset:784 ; 4-byte Folded Reload
	buffer_load_dword v11, off, s[40:43], 0 offset:788 ; 4-byte Folded Reload
	buffer_load_dword v12, off, s[40:43], 0 offset:792 ; 4-byte Folded Reload
	buffer_load_dword v13, off, s[40:43], 0 offset:796 ; 4-byte Folded Reload
	buffer_load_dword v14, off, s[40:43], 0 offset:800 ; 4-byte Folded Reload
	buffer_load_dword v15, off, s[40:43], 0 offset:804 ; 4-byte Folded Reload
	buffer_load_dword v16, off, s[40:43], 0 offset:808 ; 4-byte Folded Reload
	buffer_load_dword v17, off, s[40:43], 0 offset:812 ; 4-byte Folded Reload
	buffer_load_dword v18, off, s[40:43], 0 offset:816 ; 4-byte Folded Reload
	buffer_load_dword v19, off, s[40:43], 0 offset:820 ; 4-byte Folded Reload
	buffer_load_dword v20, off, s[40:43], 0 offset:824 ; 4-byte Folded Reload
	buffer_load_dword v21, off, s[40:43], 0 offset:828 ; 4-byte Folded Reload
	buffer_load_dword v22, off, s[40:43], 0 offset:832 ; 4-byte Folded Reload
	buffer_load_dword v23, off, s[40:43], 0 offset:836 ; 4-byte Folded Reload
	buffer_load_dword v24, off, s[40:43], 0 offset:840 ; 4-byte Folded Reload
	buffer_load_dword v25, off, s[40:43], 0 offset:844 ; 4-byte Folded Reload
	buffer_load_dword v26, off, s[40:43], 0 offset:848 ; 4-byte Folded Reload
	buffer_load_dword v27, off, s[40:43], 0 offset:852 ; 4-byte Folded Reload
	buffer_load_dword v28, off, s[40:43], 0 offset:856 ; 4-byte Folded Reload
	buffer_load_dword v29, off, s[40:43], 0 offset:860 ; 4-byte Folded Reload
	buffer_load_dword v30, off, s[40:43], 0 offset:864 ; 4-byte Folded Reload
	buffer_load_dword v31, off, s[40:43], 0 offset:868 ; 4-byte Folded Reload
	buffer_load_dword v32, off, s[40:43], 0 offset:872 ; 4-byte Folded Reload
	buffer_load_dword v33, off, s[40:43], 0 offset:876 ; 4-byte Folded Reload
	buffer_load_dword v34, off, s[40:43], 0 offset:880 ; 4-byte Folded Reload
	buffer_load_dword v35, off, s[40:43], 0 offset:884 ; 4-byte Folded Reload
	buffer_load_dword v36, off, s[40:43], 0 offset:888 ; 4-byte Folded Reload
	buffer_load_dword v37, off, s[40:43], 0 offset:892 ; 4-byte Folded Reload
	s_waitcnt vmcnt(24)
	v_pk_mov_b32 v[6:7], v[12:13], v[12:13] op_sel:[0,1]
	;; [unrolled: 40-line block ×8, first 2 shown]
	v_and_b32_e32 v6, 0x7fffffff, v19
	v_and_b32_e32 v5, 0x7fffffff, v18
	;;#ASMSTART
	v_max3_f32 v4, v4, v5, v6

	;;#ASMEND
	buffer_load_dword v6, off, s[40:43], 0  ; 4-byte Folded Reload
	buffer_load_dword v7, off, s[40:43], 0 offset:4 ; 4-byte Folded Reload
	buffer_load_dword v8, off, s[40:43], 0 offset:8 ; 4-byte Folded Reload
	;; [unrolled: 1-line block ×31, first 2 shown]
	s_waitcnt vmcnt(10)
	v_pk_mov_b32 v[20:21], v[26:27], v[26:27] op_sel:[0,1]
	v_and_b32_e32 v5, 0x7fffffff, v20
	v_and_b32_e32 v6, 0x7fffffff, v21
	;;#ASMSTART
	v_max3_f32 v4, v4, v5, v6

	;;#ASMEND
	v_and_b32_e32 v5, 0x7fffffff, v120
	v_and_b32_e32 v6, 0x7fffffff, v121
	;;#ASMSTART
	v_max3_f32 v4, v4, v5, v6

	;;#ASMEND
.LBB65_26:
	s_or_b64 exec, exec, s[8:9]
	s_nop 0
	v_mov_b32_dpp v5, v4 quad_perm:[1,0,3,2] row_mask:0xf bank_mask:0xf
	v_cmp_gt_f32_e32 vcc, v4, v5
	v_cndmask_b32_e32 v4, v5, v4, vcc
	s_nop 1
	v_mov_b32_dpp v5, v4 quad_perm:[2,3,0,1] row_mask:0xf bank_mask:0xf
	v_cmp_gt_f32_e32 vcc, v4, v5
	v_cndmask_b32_e32 v4, v5, v4, vcc
	s_nop 1
	v_mov_b32_dpp v5, v4 row_half_mirror row_mask:0xf bank_mask:0xf
	v_cmp_gt_f32_e32 vcc, v4, v5
	v_cndmask_b32_e32 v4, v5, v4, vcc
	s_nop 1
	v_mov_b32_dpp v5, v4 row_mirror row_mask:0xf bank_mask:0xf
	v_cmp_gt_f32_e32 vcc, v4, v5
	v_cndmask_b32_e32 v4, v5, v4, vcc
	s_nop 1
	v_mov_b32_dpp v5, v4 row_bcast:15 row_mask:0xf bank_mask:0xf
	v_cmp_gt_f32_e32 vcc, v4, v5
	v_cndmask_b32_e32 v4, v5, v4, vcc
	s_nop 1
	v_mov_b32_dpp v5, v4 row_bcast:31 row_mask:0xf bank_mask:0xf
	s_and_saveexec_b64 s[8:9], s[2:3]
	s_cbranch_execz .LBB65_28
; %bb.27:
	v_cmp_gt_f32_e32 vcc, v4, v5
	v_cndmask_b32_e32 v4, v5, v4, vcc
	v_lshrrev_b32_e32 v5, 4, v0
	v_and_b32_e32 v5, 60, v5
	ds_write_b32 v5, v4
.LBB65_28:
	s_or_b64 exec, exec, s[8:9]
	s_waitcnt lgkmcnt(0)
	s_barrier
	ds_read_b32 v4, v50
	s_waitcnt lgkmcnt(0)
	s_nop 0
	v_mov_b32_dpp v5, v4 quad_perm:[1,0,3,2] row_mask:0xf bank_mask:0xf
	v_cmp_gt_f32_e32 vcc, v4, v5
	v_cndmask_b32_e32 v4, v5, v4, vcc
	s_nop 1
	v_mov_b32_dpp v5, v4 quad_perm:[2,3,0,1] row_mask:0xf bank_mask:0xf
	v_cmp_gt_f32_e32 vcc, v4, v5
	v_cndmask_b32_e32 v4, v5, v4, vcc
	v_mul_f32_e32 v4, 0x3b124925, v4
	v_cmp_eq_u32_e32 vcc, 0, v0
	s_and_saveexec_b64 s[8:9], vcc
	s_cbranch_execz .LBB65_30
; %bb.29:
	s_load_dwordx2 s[22:23], s[4:5], 0x8
	s_mul_hi_i32 s29, s11, s6
	s_mul_i32 s28, s11, s6
	s_lshl_b64 s[28:29], s[28:29], 2
	v_mov_b32_e32 v5, 0
	s_waitcnt lgkmcnt(0)
	s_add_u32 s22, s22, s28
	s_addc_u32 s23, s23, s29
	global_store_dword v5, v4, s[22:23]
.LBB65_30:
	s_or_b64 exec, exec, s[8:9]
	;;#ASMSTART
	v_rcp_f32 v4, v4
	;;#ASMEND
	s_and_saveexec_b64 s[22:23], s[0:1]
	s_cbranch_execz .LBB65_32
; %bb.31:
	v_mov_b32_e32 v5, v4
	;;#ASMSTART
	v_pk_mul_f32 v[2:3], v[2:3], v[4:5]
	;;#ASMEND
	v_mov_b32_e32 v8, 0xc3e00000
	v_mov_b32_e32 v9, 0x43e00000
	;;#ASMSTART
	v_med3_f32 v2, v2, v8, v9
v_med3_f32 v3, v3, v8, v9
v_cvt_pk_fp8_f32 v6, v2, v3
	;;#ASMEND
	;;#ASMSTART
	v_pk_mul_f32 v[2:3], v[74:75], v[4:5]
	;;#ASMEND
	;;#ASMSTART
	v_med3_f32 v2, v2, v8, v9
v_med3_f32 v3, v3, v8, v9
v_cvt_pk_fp8_f32 v7, v2, v3
	;;#ASMEND
	buffer_load_dword v10, off, s[40:43], 0 offset:896 ; 4-byte Folded Reload
	buffer_load_dword v11, off, s[40:43], 0 offset:900 ; 4-byte Folded Reload
	;; [unrolled: 1-line block ×32, first 2 shown]
	s_load_dwordx2 s[0:1], s[4:5], 0x0
	s_mul_i32 s8, s10, s6
	s_mov_b32 s7, 0x5040100
	s_mul_hi_i32 s9, s10, s6
	s_movk_i32 s12, 0xff
	s_waitcnt lgkmcnt(0)
	s_add_u32 s8, s0, s8
	s_addc_u32 s0, s1, s9
	s_add_i32 s1, s15, 3
	s_ashr_i32 s9, s1, 31
	s_mov_b32 s14, 0xffff
	s_lshr_b32 s9, s9, 30
	s_add_i32 s1, s1, s9
	s_and_b32 s10, s1, -4
	s_and_b32 s9, s0, 0xffff
	s_mov_b32 s11, 0x20000
	s_movk_i32 s0, 0x200
	s_waitcnt vmcnt(26)
	;;#ASMSTART
	v_pk_mul_f32 v[2:3], v[14:15], v[4:5]
	;;#ASMEND
	;;#ASMSTART
	v_med3_f32 v2, v2, v8, v9
v_med3_f32 v3, v3, v8, v9
v_cvt_pk_fp8_f32 v10, v2, v3
	;;#ASMEND
	buffer_load_dword v12, off, s[40:43], 0 offset:768 ; 4-byte Folded Reload
	buffer_load_dword v13, off, s[40:43], 0 offset:772 ; 4-byte Folded Reload
	buffer_load_dword v14, off, s[40:43], 0 offset:776 ; 4-byte Folded Reload
	buffer_load_dword v15, off, s[40:43], 0 offset:780 ; 4-byte Folded Reload
	buffer_load_dword v16, off, s[40:43], 0 offset:784 ; 4-byte Folded Reload
	buffer_load_dword v17, off, s[40:43], 0 offset:788 ; 4-byte Folded Reload
	buffer_load_dword v18, off, s[40:43], 0 offset:792 ; 4-byte Folded Reload
	buffer_load_dword v19, off, s[40:43], 0 offset:796 ; 4-byte Folded Reload
	buffer_load_dword v20, off, s[40:43], 0 offset:800 ; 4-byte Folded Reload
	buffer_load_dword v21, off, s[40:43], 0 offset:804 ; 4-byte Folded Reload
	buffer_load_dword v22, off, s[40:43], 0 offset:808 ; 4-byte Folded Reload
	buffer_load_dword v23, off, s[40:43], 0 offset:812 ; 4-byte Folded Reload
	buffer_load_dword v24, off, s[40:43], 0 offset:816 ; 4-byte Folded Reload
	buffer_load_dword v25, off, s[40:43], 0 offset:820 ; 4-byte Folded Reload
	buffer_load_dword v26, off, s[40:43], 0 offset:824 ; 4-byte Folded Reload
	buffer_load_dword v27, off, s[40:43], 0 offset:828 ; 4-byte Folded Reload
	buffer_load_dword v28, off, s[40:43], 0 offset:832 ; 4-byte Folded Reload
	buffer_load_dword v29, off, s[40:43], 0 offset:836 ; 4-byte Folded Reload
	buffer_load_dword v30, off, s[40:43], 0 offset:840 ; 4-byte Folded Reload
	buffer_load_dword v31, off, s[40:43], 0 offset:844 ; 4-byte Folded Reload
	buffer_load_dword v32, off, s[40:43], 0 offset:848 ; 4-byte Folded Reload
	buffer_load_dword v33, off, s[40:43], 0 offset:852 ; 4-byte Folded Reload
	buffer_load_dword v34, off, s[40:43], 0 offset:856 ; 4-byte Folded Reload
	buffer_load_dword v35, off, s[40:43], 0 offset:860 ; 4-byte Folded Reload
	buffer_load_dword v36, off, s[40:43], 0 offset:864 ; 4-byte Folded Reload
	buffer_load_dword v37, off, s[40:43], 0 offset:868 ; 4-byte Folded Reload
	buffer_load_dword v38, off, s[40:43], 0 offset:872 ; 4-byte Folded Reload
	buffer_load_dword v39, off, s[40:43], 0 offset:876 ; 4-byte Folded Reload
	buffer_load_dword v40, off, s[40:43], 0 offset:880 ; 4-byte Folded Reload
	buffer_load_dword v41, off, s[40:43], 0 offset:884 ; 4-byte Folded Reload
	buffer_load_dword v42, off, s[40:43], 0 offset:888 ; 4-byte Folded Reload
	buffer_load_dword v43, off, s[40:43], 0 offset:892 ; 4-byte Folded Reload
	s_waitcnt vmcnt(24)
	;;#ASMSTART
	v_pk_mul_f32 v[2:3], v[18:19], v[4:5]
	;;#ASMEND
	;;#ASMSTART
	v_med3_f32 v2, v2, v8, v9
v_med3_f32 v3, v3, v8, v9
v_cvt_pk_fp8_f32 v11, v2, v3
	;;#ASMEND
	v_perm_b32 v2, v7, v6, s7
	v_and_b32_e32 v3, 0xffffff00, v7
	v_and_b32_sdwa v6, v2, s12 dst_sel:DWORD dst_unused:UNUSED_PAD src0_sel:WORD_1 src1_sel:DWORD
	v_or_b32_sdwa v3, v6, v3 dst_sel:WORD_1 dst_unused:UNUSED_PAD src0_sel:DWORD src1_sel:DWORD
	v_and_or_b32 v2, v2, s14, v3
	v_lshlrev_b32_e32 v3, 16, v11
	v_and_or_b32 v3, v10, s14, v3
	buffer_store_dwordx2 v[2:3], v1, s[8:11], 0 offen
	;;#ASMSTART
	s_nop 0
	;;#ASMEND
	buffer_load_dword v10, off, s[40:43], 0 offset:1024 ; 4-byte Folded Reload
	buffer_load_dword v11, off, s[40:43], 0 offset:1028 ; 4-byte Folded Reload
	buffer_load_dword v12, off, s[40:43], 0 offset:1032 ; 4-byte Folded Reload
	buffer_load_dword v13, off, s[40:43], 0 offset:1036 ; 4-byte Folded Reload
	buffer_load_dword v14, off, s[40:43], 0 offset:1040 ; 4-byte Folded Reload
	buffer_load_dword v15, off, s[40:43], 0 offset:1044 ; 4-byte Folded Reload
	buffer_load_dword v16, off, s[40:43], 0 offset:1048 ; 4-byte Folded Reload
	buffer_load_dword v17, off, s[40:43], 0 offset:1052 ; 4-byte Folded Reload
	buffer_load_dword v18, off, s[40:43], 0 offset:1056 ; 4-byte Folded Reload
	buffer_load_dword v19, off, s[40:43], 0 offset:1060 ; 4-byte Folded Reload
	buffer_load_dword v20, off, s[40:43], 0 offset:1064 ; 4-byte Folded Reload
	buffer_load_dword v21, off, s[40:43], 0 offset:1068 ; 4-byte Folded Reload
	buffer_load_dword v22, off, s[40:43], 0 offset:1072 ; 4-byte Folded Reload
	buffer_load_dword v23, off, s[40:43], 0 offset:1076 ; 4-byte Folded Reload
	buffer_load_dword v24, off, s[40:43], 0 offset:1080 ; 4-byte Folded Reload
	buffer_load_dword v25, off, s[40:43], 0 offset:1084 ; 4-byte Folded Reload
	buffer_load_dword v26, off, s[40:43], 0 offset:1088 ; 4-byte Folded Reload
	buffer_load_dword v27, off, s[40:43], 0 offset:1092 ; 4-byte Folded Reload
	buffer_load_dword v28, off, s[40:43], 0 offset:1096 ; 4-byte Folded Reload
	buffer_load_dword v29, off, s[40:43], 0 offset:1100 ; 4-byte Folded Reload
	buffer_load_dword v30, off, s[40:43], 0 offset:1104 ; 4-byte Folded Reload
	buffer_load_dword v31, off, s[40:43], 0 offset:1108 ; 4-byte Folded Reload
	buffer_load_dword v32, off, s[40:43], 0 offset:1112 ; 4-byte Folded Reload
	buffer_load_dword v33, off, s[40:43], 0 offset:1116 ; 4-byte Folded Reload
	buffer_load_dword v34, off, s[40:43], 0 offset:1120 ; 4-byte Folded Reload
	buffer_load_dword v35, off, s[40:43], 0 offset:1124 ; 4-byte Folded Reload
	buffer_load_dword v36, off, s[40:43], 0 offset:1128 ; 4-byte Folded Reload
	buffer_load_dword v37, off, s[40:43], 0 offset:1132 ; 4-byte Folded Reload
	buffer_load_dword v38, off, s[40:43], 0 offset:1136 ; 4-byte Folded Reload
	buffer_load_dword v39, off, s[40:43], 0 offset:1140 ; 4-byte Folded Reload
	buffer_load_dword v40, off, s[40:43], 0 offset:1144 ; 4-byte Folded Reload
	buffer_load_dword v41, off, s[40:43], 0 offset:1148 ; 4-byte Folded Reload
	s_waitcnt vmcnt(22)
	;;#ASMSTART
	v_pk_mul_f32 v[2:3], v[18:19], v[4:5]
	;;#ASMEND
	;;#ASMSTART
	v_med3_f32 v2, v2, v8, v9
v_med3_f32 v3, v3, v8, v9
v_cvt_pk_fp8_f32 v6, v2, v3
	;;#ASMEND
	buffer_load_dword v10, off, s[40:43], 0 offset:640 ; 4-byte Folded Reload
	buffer_load_dword v11, off, s[40:43], 0 offset:644 ; 4-byte Folded Reload
	buffer_load_dword v12, off, s[40:43], 0 offset:648 ; 4-byte Folded Reload
	buffer_load_dword v13, off, s[40:43], 0 offset:652 ; 4-byte Folded Reload
	buffer_load_dword v14, off, s[40:43], 0 offset:656 ; 4-byte Folded Reload
	buffer_load_dword v15, off, s[40:43], 0 offset:660 ; 4-byte Folded Reload
	buffer_load_dword v16, off, s[40:43], 0 offset:664 ; 4-byte Folded Reload
	buffer_load_dword v17, off, s[40:43], 0 offset:668 ; 4-byte Folded Reload
	buffer_load_dword v18, off, s[40:43], 0 offset:672 ; 4-byte Folded Reload
	buffer_load_dword v19, off, s[40:43], 0 offset:676 ; 4-byte Folded Reload
	buffer_load_dword v20, off, s[40:43], 0 offset:680 ; 4-byte Folded Reload
	buffer_load_dword v21, off, s[40:43], 0 offset:684 ; 4-byte Folded Reload
	buffer_load_dword v22, off, s[40:43], 0 offset:688 ; 4-byte Folded Reload
	buffer_load_dword v23, off, s[40:43], 0 offset:692 ; 4-byte Folded Reload
	buffer_load_dword v24, off, s[40:43], 0 offset:696 ; 4-byte Folded Reload
	buffer_load_dword v25, off, s[40:43], 0 offset:700 ; 4-byte Folded Reload
	buffer_load_dword v26, off, s[40:43], 0 offset:704 ; 4-byte Folded Reload
	buffer_load_dword v27, off, s[40:43], 0 offset:708 ; 4-byte Folded Reload
	buffer_load_dword v28, off, s[40:43], 0 offset:712 ; 4-byte Folded Reload
	buffer_load_dword v29, off, s[40:43], 0 offset:716 ; 4-byte Folded Reload
	buffer_load_dword v30, off, s[40:43], 0 offset:720 ; 4-byte Folded Reload
	buffer_load_dword v31, off, s[40:43], 0 offset:724 ; 4-byte Folded Reload
	buffer_load_dword v32, off, s[40:43], 0 offset:728 ; 4-byte Folded Reload
	buffer_load_dword v33, off, s[40:43], 0 offset:732 ; 4-byte Folded Reload
	buffer_load_dword v34, off, s[40:43], 0 offset:736 ; 4-byte Folded Reload
	buffer_load_dword v35, off, s[40:43], 0 offset:740 ; 4-byte Folded Reload
	buffer_load_dword v36, off, s[40:43], 0 offset:744 ; 4-byte Folded Reload
	buffer_load_dword v37, off, s[40:43], 0 offset:748 ; 4-byte Folded Reload
	buffer_load_dword v38, off, s[40:43], 0 offset:752 ; 4-byte Folded Reload
	buffer_load_dword v39, off, s[40:43], 0 offset:756 ; 4-byte Folded Reload
	buffer_load_dword v40, off, s[40:43], 0 offset:760 ; 4-byte Folded Reload
	buffer_load_dword v41, off, s[40:43], 0 offset:764 ; 4-byte Folded Reload
	s_waitcnt vmcnt(20)
	;;#ASMSTART
	v_pk_mul_f32 v[2:3], v[20:21], v[4:5]
	;;#ASMEND
	;;#ASMSTART
	v_med3_f32 v2, v2, v8, v9
v_med3_f32 v3, v3, v8, v9
v_cvt_pk_fp8_f32 v7, v2, v3
	;;#ASMEND
	buffer_load_dword v10, off, s[40:43], 0 offset:256 ; 4-byte Folded Reload
	buffer_load_dword v11, off, s[40:43], 0 offset:260 ; 4-byte Folded Reload
	buffer_load_dword v12, off, s[40:43], 0 offset:264 ; 4-byte Folded Reload
	buffer_load_dword v13, off, s[40:43], 0 offset:268 ; 4-byte Folded Reload
	buffer_load_dword v14, off, s[40:43], 0 offset:272 ; 4-byte Folded Reload
	buffer_load_dword v15, off, s[40:43], 0 offset:276 ; 4-byte Folded Reload
	buffer_load_dword v16, off, s[40:43], 0 offset:280 ; 4-byte Folded Reload
	buffer_load_dword v17, off, s[40:43], 0 offset:284 ; 4-byte Folded Reload
	buffer_load_dword v18, off, s[40:43], 0 offset:288 ; 4-byte Folded Reload
	buffer_load_dword v19, off, s[40:43], 0 offset:292 ; 4-byte Folded Reload
	buffer_load_dword v20, off, s[40:43], 0 offset:296 ; 4-byte Folded Reload
	buffer_load_dword v21, off, s[40:43], 0 offset:300 ; 4-byte Folded Reload
	buffer_load_dword v22, off, s[40:43], 0 offset:304 ; 4-byte Folded Reload
	buffer_load_dword v23, off, s[40:43], 0 offset:308 ; 4-byte Folded Reload
	buffer_load_dword v24, off, s[40:43], 0 offset:312 ; 4-byte Folded Reload
	buffer_load_dword v25, off, s[40:43], 0 offset:316 ; 4-byte Folded Reload
	buffer_load_dword v26, off, s[40:43], 0 offset:320 ; 4-byte Folded Reload
	buffer_load_dword v27, off, s[40:43], 0 offset:324 ; 4-byte Folded Reload
	buffer_load_dword v28, off, s[40:43], 0 offset:328 ; 4-byte Folded Reload
	buffer_load_dword v29, off, s[40:43], 0 offset:332 ; 4-byte Folded Reload
	buffer_load_dword v30, off, s[40:43], 0 offset:336 ; 4-byte Folded Reload
	buffer_load_dword v31, off, s[40:43], 0 offset:340 ; 4-byte Folded Reload
	buffer_load_dword v32, off, s[40:43], 0 offset:344 ; 4-byte Folded Reload
	buffer_load_dword v33, off, s[40:43], 0 offset:348 ; 4-byte Folded Reload
	buffer_load_dword v34, off, s[40:43], 0 offset:352 ; 4-byte Folded Reload
	buffer_load_dword v35, off, s[40:43], 0 offset:356 ; 4-byte Folded Reload
	buffer_load_dword v36, off, s[40:43], 0 offset:360 ; 4-byte Folded Reload
	buffer_load_dword v37, off, s[40:43], 0 offset:364 ; 4-byte Folded Reload
	buffer_load_dword v38, off, s[40:43], 0 offset:368 ; 4-byte Folded Reload
	buffer_load_dword v39, off, s[40:43], 0 offset:372 ; 4-byte Folded Reload
	buffer_load_dword v40, off, s[40:43], 0 offset:376 ; 4-byte Folded Reload
	buffer_load_dword v41, off, s[40:43], 0 offset:380 ; 4-byte Folded Reload
	s_waitcnt vmcnt(18)
	;;#ASMSTART
	v_pk_mul_f32 v[2:3], v[22:23], v[4:5]
	;;#ASMEND
	;;#ASMSTART
	v_med3_f32 v2, v2, v8, v9
v_med3_f32 v3, v3, v8, v9
v_cvt_pk_fp8_f32 v10, v2, v3
	;;#ASMEND
	buffer_load_dword v12, off, s[40:43], 0 offset:128 ; 4-byte Folded Reload
	buffer_load_dword v13, off, s[40:43], 0 offset:132 ; 4-byte Folded Reload
	buffer_load_dword v14, off, s[40:43], 0 offset:136 ; 4-byte Folded Reload
	buffer_load_dword v15, off, s[40:43], 0 offset:140 ; 4-byte Folded Reload
	buffer_load_dword v16, off, s[40:43], 0 offset:144 ; 4-byte Folded Reload
	buffer_load_dword v17, off, s[40:43], 0 offset:148 ; 4-byte Folded Reload
	buffer_load_dword v18, off, s[40:43], 0 offset:152 ; 4-byte Folded Reload
	buffer_load_dword v19, off, s[40:43], 0 offset:156 ; 4-byte Folded Reload
	buffer_load_dword v20, off, s[40:43], 0 offset:160 ; 4-byte Folded Reload
	buffer_load_dword v21, off, s[40:43], 0 offset:164 ; 4-byte Folded Reload
	buffer_load_dword v22, off, s[40:43], 0 offset:168 ; 4-byte Folded Reload
	buffer_load_dword v23, off, s[40:43], 0 offset:172 ; 4-byte Folded Reload
	buffer_load_dword v24, off, s[40:43], 0 offset:176 ; 4-byte Folded Reload
	buffer_load_dword v25, off, s[40:43], 0 offset:180 ; 4-byte Folded Reload
	buffer_load_dword v26, off, s[40:43], 0 offset:184 ; 4-byte Folded Reload
	buffer_load_dword v27, off, s[40:43], 0 offset:188 ; 4-byte Folded Reload
	buffer_load_dword v28, off, s[40:43], 0 offset:192 ; 4-byte Folded Reload
	buffer_load_dword v29, off, s[40:43], 0 offset:196 ; 4-byte Folded Reload
	buffer_load_dword v30, off, s[40:43], 0 offset:200 ; 4-byte Folded Reload
	buffer_load_dword v31, off, s[40:43], 0 offset:204 ; 4-byte Folded Reload
	buffer_load_dword v32, off, s[40:43], 0 offset:208 ; 4-byte Folded Reload
	buffer_load_dword v33, off, s[40:43], 0 offset:212 ; 4-byte Folded Reload
	buffer_load_dword v34, off, s[40:43], 0 offset:216 ; 4-byte Folded Reload
	buffer_load_dword v35, off, s[40:43], 0 offset:220 ; 4-byte Folded Reload
	buffer_load_dword v36, off, s[40:43], 0 offset:224 ; 4-byte Folded Reload
	buffer_load_dword v37, off, s[40:43], 0 offset:228 ; 4-byte Folded Reload
	buffer_load_dword v38, off, s[40:43], 0 offset:232 ; 4-byte Folded Reload
	buffer_load_dword v39, off, s[40:43], 0 offset:236 ; 4-byte Folded Reload
	buffer_load_dword v40, off, s[40:43], 0 offset:240 ; 4-byte Folded Reload
	buffer_load_dword v41, off, s[40:43], 0 offset:244 ; 4-byte Folded Reload
	buffer_load_dword v42, off, s[40:43], 0 offset:248 ; 4-byte Folded Reload
	buffer_load_dword v43, off, s[40:43], 0 offset:252 ; 4-byte Folded Reload
	s_waitcnt vmcnt(16)
	;;#ASMSTART
	v_pk_mul_f32 v[2:3], v[26:27], v[4:5]
	;;#ASMEND
	;;#ASMSTART
	v_med3_f32 v2, v2, v8, v9
v_med3_f32 v3, v3, v8, v9
v_cvt_pk_fp8_f32 v11, v2, v3
	;;#ASMEND
	v_perm_b32 v2, v7, v6, s7
	v_and_b32_e32 v3, 0xffffff00, v7
	v_and_b32_sdwa v6, v2, s12 dst_sel:DWORD dst_unused:UNUSED_PAD src0_sel:WORD_1 src1_sel:DWORD
	v_or_b32_sdwa v3, v6, v3 dst_sel:WORD_1 dst_unused:UNUSED_PAD src0_sel:DWORD src1_sel:DWORD
	v_and_or_b32 v2, v2, s14, v3
	v_lshlrev_b32_e32 v3, 16, v11
	v_and_or_b32 v3, v10, s14, v3
	buffer_store_dwordx2 v[2:3], v1, s[8:11], s0 offen
	;;#ASMSTART
	s_nop 0
	;;#ASMEND
	buffer_load_dword v10, off, s[40:43], 0 offset:512 ; 4-byte Folded Reload
	buffer_load_dword v11, off, s[40:43], 0 offset:516 ; 4-byte Folded Reload
	;; [unrolled: 1-line block ×32, first 2 shown]
	s_movk_i32 s0, 0x400
	s_waitcnt vmcnt(14)
	;;#ASMSTART
	v_pk_mul_f32 v[2:3], v[26:27], v[4:5]
	;;#ASMEND
	;;#ASMSTART
	v_med3_f32 v2, v2, v8, v9
v_med3_f32 v3, v3, v8, v9
v_cvt_pk_fp8_f32 v6, v2, v3
	;;#ASMEND
	buffer_load_dword v10, off, s[40:43], 0 offset:384 ; 4-byte Folded Reload
	buffer_load_dword v11, off, s[40:43], 0 offset:388 ; 4-byte Folded Reload
	;; [unrolled: 1-line block ×32, first 2 shown]
	s_waitcnt vmcnt(12)
	;;#ASMSTART
	v_pk_mul_f32 v[2:3], v[28:29], v[4:5]
	;;#ASMEND
	;;#ASMSTART
	v_med3_f32 v2, v2, v8, v9
v_med3_f32 v3, v3, v8, v9
v_cvt_pk_fp8_f32 v7, v2, v3
	;;#ASMEND
	buffer_load_dword v52, off, s[40:43], 0 ; 4-byte Folded Reload
	buffer_load_dword v53, off, s[40:43], 0 offset:4 ; 4-byte Folded Reload
	buffer_load_dword v54, off, s[40:43], 0 offset:8 ; 4-byte Folded Reload
	;; [unrolled: 1-line block ×31, first 2 shown]
	v_perm_b32 v3, v7, v6, s7
	v_and_b32_e32 v2, 0xffffff00, v7
	v_and_b32_sdwa v6, v3, s12 dst_sel:DWORD dst_unused:UNUSED_PAD src0_sel:WORD_1 src1_sel:DWORD
	v_or_b32_sdwa v2, v6, v2 dst_sel:WORD_1 dst_unused:UNUSED_PAD src0_sel:DWORD src1_sel:DWORD
	v_and_or_b32 v2, v3, s14, v2
	s_waitcnt vmcnt(10)
	;;#ASMSTART
	v_pk_mul_f32 v[6:7], v[72:73], v[4:5]
	;;#ASMEND
	v_mov_b32_e32 v3, v6
	;;#ASMSTART
	v_med3_f32 v3, v3, v8, v9
v_med3_f32 v7, v7, v8, v9
v_cvt_pk_fp8_f32 v6, v3, v7
	;;#ASMEND
	;;#ASMSTART
	v_pk_mul_f32 v[4:5], v[120:121], v[4:5]
	;;#ASMEND
	v_mov_b32_e32 v3, v5
	;;#ASMSTART
	v_med3_f32 v4, v4, v8, v9
v_med3_f32 v3, v3, v8, v9
v_cvt_pk_fp8_f32 v5, v4, v3
	;;#ASMEND
	v_lshlrev_b32_e32 v3, 16, v5
	v_and_or_b32 v3, v6, s14, v3
	buffer_store_dwordx2 v[2:3], v1, s[8:11], s0 offen
	;;#ASMSTART
	s_nop 0
	;;#ASMEND
.LBB65_32:
	s_or_b64 exec, exec, s[22:23]
	s_cmp_lt_i32 s16, 1
	s_cbranch_scc1 .LBB65_17
.LBB65_33:
	s_load_dword s0, s[4:5], 0x94
	s_waitcnt lgkmcnt(0)
	s_cmp_lg_u32 s0, 1
	s_cbranch_scc1 .LBB65_17
; %bb.34:
	s_lshl_b32 s0, s16, 1
	s_add_i32 s0, s0, 2
	v_cmp_gt_u32_e32 vcc, s16, v1
	s_and_b32 s22, s0, -4
	v_mov_b32_e32 v26, 0
	v_lshlrev_b32_e32 v1, 1, v1
	v_mov_b32_e32 v22, 0
	v_mov_b32_e32 v23, 0
	;; [unrolled: 1-line block ×24, first 2 shown]
	s_waitcnt vmcnt(63) expcnt(7) lgkmcnt(15)
	s_barrier
	s_and_saveexec_b64 s[0:1], vcc
	s_cbranch_execz .LBB65_36
; %bb.35:
	s_mul_hi_i32 s5, s18, s6
	s_mul_i32 s4, s18, s6
	s_and_b32 s21, s21, 0xffff
	s_lshl_b64 s[4:5], s[4:5], 1
	s_add_u32 s8, s34, s4
	s_mov_b32 s23, 0x20000
	s_addc_u32 s4, s35, s5
	s_and_b32 s9, s4, 0xffff
	s_mov_b32 s10, s22
	s_mov_b32 s11, s23
	s_movk_i32 s5, 0x800
	s_movk_i32 s4, 0x400
	buffer_load_dwordx4 v[22:25], v1, s[8:11], 0 offen glc slc
	buffer_load_dwordx4 v[14:17], v1, s[8:11], s4 offen glc slc
	;; [unrolled: 1-line block ×3, first 2 shown]
	buffer_load_dwordx4 v[10:13], v1, s[20:23], 0 offen
	buffer_load_dwordx4 v[6:9], v1, s[20:23], s4 offen
	;; [unrolled: 1-line block ×3, first 2 shown]
.LBB65_36:
	s_or_b64 exec, exec, s[0:1]
	v_mov_b32_e32 v27, 0
	v_mov_b32_e32 v48, 0
	v_mov_b32_e32 v49, 0
	v_mov_b32_e32 v46, 0
	v_mov_b32_e32 v47, 0
	v_mov_b32_e32 v44, 0
	v_mov_b32_e32 v45, 0
	v_mov_b32_e32 v42, 0
	v_mov_b32_e32 v43, 0
	s_waitcnt vmcnt(2)
	v_mov_b32_e32 v40, 0
	s_waitcnt vmcnt(1)
	v_mov_b32_e32 v41, 0
	v_mov_b32_e32 v38, 0
	;; [unrolled: 1-line block ×4, first 2 shown]
	s_waitcnt vmcnt(0)
	v_mov_b32_e32 v37, 0
	v_mov_b32_e32 v34, 0
	;; [unrolled: 1-line block ×9, first 2 shown]
	s_and_saveexec_b64 s[0:1], vcc
	s_cbranch_execz .LBB65_38
; %bb.37:
	v_cvt_f32_f16_sdwa v27, v22 dst_sel:DWORD dst_unused:UNUSED_PAD src0_sel:WORD_1
	v_cvt_f32_f16_e32 v26, v22
	v_cvt_f32_f16_sdwa v49, v23 dst_sel:DWORD dst_unused:UNUSED_PAD src0_sel:WORD_1
	v_cvt_f32_f16_e32 v48, v23
	v_cvt_f32_f16_sdwa v47, v24 dst_sel:DWORD dst_unused:UNUSED_PAD src0_sel:WORD_1
	v_cvt_f32_f16_e32 v46, v24
	v_cvt_f32_f16_sdwa v45, v25 dst_sel:DWORD dst_unused:UNUSED_PAD src0_sel:WORD_1
	v_cvt_f32_f16_e32 v44, v25
	v_cvt_f32_f16_sdwa v43, v14 dst_sel:DWORD dst_unused:UNUSED_PAD src0_sel:WORD_1
	v_cvt_f32_f16_e32 v42, v14
	v_cvt_f32_f16_sdwa v41, v15 dst_sel:DWORD dst_unused:UNUSED_PAD src0_sel:WORD_1
	v_cvt_f32_f16_e32 v40, v15
	v_cvt_f32_f16_sdwa v39, v16 dst_sel:DWORD dst_unused:UNUSED_PAD src0_sel:WORD_1
	v_cvt_f32_f16_e32 v38, v16
	v_cvt_f32_f16_sdwa v37, v17 dst_sel:DWORD dst_unused:UNUSED_PAD src0_sel:WORD_1
	v_cvt_f32_f16_e32 v36, v17
	v_cvt_f32_f16_sdwa v35, v18 dst_sel:DWORD dst_unused:UNUSED_PAD src0_sel:WORD_1
	v_cvt_f32_f16_e32 v34, v18
	v_cvt_f32_f16_sdwa v33, v19 dst_sel:DWORD dst_unused:UNUSED_PAD src0_sel:WORD_1
	v_cvt_f32_f16_e32 v32, v19
	v_cvt_f32_f16_sdwa v31, v20 dst_sel:DWORD dst_unused:UNUSED_PAD src0_sel:WORD_1
	v_cvt_f32_f16_e32 v30, v20
	v_cvt_f32_f16_sdwa v29, v21 dst_sel:DWORD dst_unused:UNUSED_PAD src0_sel:WORD_1
	v_cvt_f32_f16_e32 v28, v21
.LBB65_38:
	s_or_b64 exec, exec, s[0:1]
	v_mul_f32_e32 v14, v27, v27
	v_fmac_f32_e32 v14, v26, v26
	v_fmac_f32_e32 v14, v48, v48
	;; [unrolled: 1-line block ×23, first 2 shown]
	s_nop 1
	v_mov_b32_dpp v15, v14 quad_perm:[1,0,3,2] row_mask:0xf bank_mask:0xf
	v_add_f32_e32 v14, v14, v15
	s_nop 1
	v_mov_b32_dpp v15, v14 quad_perm:[2,3,0,1] row_mask:0xf bank_mask:0xf
	v_add_f32_e32 v14, v14, v15
	s_nop 1
	v_mov_b32_dpp v15, v14 row_half_mirror row_mask:0xf bank_mask:0xf
	v_add_f32_e32 v14, v14, v15
	s_nop 1
	v_mov_b32_dpp v15, v14 row_mirror row_mask:0xf bank_mask:0xf
	v_add_f32_e32 v14, v14, v15
	s_nop 1
	v_mov_b32_dpp v15, v14 row_bcast:15 row_mask:0xf bank_mask:0xf
	v_add_f32_e32 v14, v14, v15
	s_nop 1
	v_mov_b32_dpp v15, v14 row_bcast:31 row_mask:0xf bank_mask:0xf
	s_and_saveexec_b64 s[0:1], s[2:3]
	s_cbranch_execz .LBB65_40
; %bb.39:
	v_lshrrev_b32_e32 v0, 4, v0
	v_add_f32_e32 v14, v14, v15
	v_and_b32_e32 v0, 60, v0
	ds_write_b32 v0, v14 offset:16
.LBB65_40:
	s_or_b64 exec, exec, s[0:1]
	s_waitcnt lgkmcnt(0)
	s_barrier
	ds_read_b32 v0, v50 offset:16
	s_waitcnt lgkmcnt(0)
	s_nop 0
	v_mov_b32_dpp v14, v0 quad_perm:[1,0,3,2] row_mask:0xf bank_mask:0xf
	v_add_f32_e32 v0, v0, v14
	s_nop 1
	v_mov_b32_dpp v14, v0 quad_perm:[2,3,0,1] row_mask:0xf bank_mask:0xf
	s_and_saveexec_b64 s[0:1], vcc
	s_cbranch_execz .LBB65_17
; %bb.41:
	v_cvt_f32_u32_e32 v15, s16
	v_add_f32_e32 v0, v0, v14
	s_mov_b32 s23, 0x20000
	v_div_scale_f32 v14, s[0:1], v15, v15, v0
	v_rcp_f32_e32 v16, v14
	v_div_scale_f32 v17, vcc, v0, v15, v0
	s_mov_b32 s0, 0x800000
	v_fma_f32 v18, -v14, v16, 1.0
	v_fmac_f32_e32 v16, v18, v16
	v_mul_f32_e32 v18, v17, v16
	v_fma_f32 v19, -v14, v18, v17
	v_fmac_f32_e32 v18, v19, v16
	v_fma_f32 v14, -v14, v18, v17
	v_div_fmas_f32 v14, v14, v16, v18
	v_div_fixup_f32 v0, v14, v15, v0
	v_add_f32_e32 v0, s13, v0
	v_mul_f32_e32 v14, 0x4b800000, v0
	v_cmp_gt_f32_e32 vcc, s0, v0
	v_cndmask_b32_e32 v0, v0, v14, vcc
	v_rsq_f32_e32 v0, v0
	s_mul_hi_i32 s1, s25, s6
	s_mul_i32 s0, s25, s6
	s_lshl_b64 s[0:1], s[0:1], 1
	v_mul_f32_e32 v14, 0x45800000, v0
	v_cndmask_b32_e32 v14, v0, v14, vcc
	v_mov_b32_e32 v15, v14
	;;#ASMSTART
	v_pk_mul_f32 v[16:17], v[26:27], v[14:15]
	;;#ASMEND
	;;#ASMSTART
	v_pk_mul_f32 v[18:19], v[48:49], v[14:15]
	;;#ASMEND
	;; [unrolled: 3-line block ×6, first 2 shown]
	v_cvt_f32_f16_sdwa v41, v10 dst_sel:DWORD dst_unused:UNUSED_PAD src0_sel:WORD_1
	v_cvt_f32_f16_e32 v40, v10
	v_cvt_f32_f16_sdwa v43, v11 dst_sel:DWORD dst_unused:UNUSED_PAD src0_sel:WORD_1
	v_cvt_f32_f16_e32 v42, v11
	;;#ASMSTART
	v_pk_mul_f32 v[38:39], v[38:39], v[14:15]
	;;#ASMEND
	;;#ASMSTART
	v_pk_mul_f32 v[36:37], v[36:37], v[14:15]
	;;#ASMEND
	;; [unrolled: 3-line block ×6, first 2 shown]
	v_cvt_f32_f16_sdwa v29, v12 dst_sel:DWORD dst_unused:UNUSED_PAD src0_sel:WORD_1
	v_cvt_f32_f16_e32 v28, v12
	v_pk_add_f32 v[14:15], v[40:41], 1.0 op_sel_hi:[1,0]
	;;#ASMSTART
	v_pk_mul_f32 v[14:15], v[16:17], v[14:15]
	;;#ASMEND
	v_pk_add_f32 v[16:17], v[42:43], 1.0 op_sel_hi:[1,0]
	v_cvt_f32_f16_sdwa v41, v13 dst_sel:DWORD dst_unused:UNUSED_PAD src0_sel:WORD_1
	v_cvt_f32_f16_e32 v40, v13
	;;#ASMSTART
	v_pk_mul_f32 v[12:13], v[18:19], v[16:17]
	;;#ASMEND
	v_pk_add_f32 v[16:17], v[28:29], 1.0 op_sel_hi:[1,0]
	;;#ASMSTART
	v_pk_mul_f32 v[16:17], v[20:21], v[16:17]
	;;#ASMEND
	v_cvt_f32_f16_sdwa v21, v6 dst_sel:DWORD dst_unused:UNUSED_PAD src0_sel:WORD_1
	v_cvt_f32_f16_e32 v20, v6
	v_pk_add_f32 v[18:19], v[40:41], 1.0 op_sel_hi:[1,0]
	v_cvt_f32_f16_sdwa v29, v7 dst_sel:DWORD dst_unused:UNUSED_PAD src0_sel:WORD_1
	v_cvt_f32_f16_e32 v28, v7
	;;#ASMSTART
	v_pk_mul_f32 v[6:7], v[22:23], v[18:19]
	;;#ASMEND
	v_pk_add_f32 v[18:19], v[20:21], 1.0 op_sel_hi:[1,0]
	;;#ASMSTART
	v_pk_mul_f32 v[18:19], v[24:25], v[18:19]
	;;#ASMEND
	v_cvt_f32_f16_sdwa v23, v8 dst_sel:DWORD dst_unused:UNUSED_PAD src0_sel:WORD_1
	v_cvt_f32_f16_e32 v22, v8
	v_cvt_f32_f16_sdwa v25, v9 dst_sel:DWORD dst_unused:UNUSED_PAD src0_sel:WORD_1
	v_cvt_f32_f16_e32 v24, v9
	v_pk_add_f32 v[20:21], v[28:29], 1.0 op_sel_hi:[1,0]
	;;#ASMSTART
	v_pk_mul_f32 v[8:9], v[26:27], v[20:21]
	;;#ASMEND
	v_pk_add_f32 v[20:21], v[22:23], 1.0 op_sel_hi:[1,0]
	v_pk_add_f32 v[22:23], v[24:25], 1.0 op_sel_hi:[1,0]
	v_cvt_f32_f16_sdwa v25, v2 dst_sel:DWORD dst_unused:UNUSED_PAD src0_sel:WORD_1
	v_cvt_f32_f16_e32 v24, v2
	v_cvt_f32_f16_sdwa v27, v3 dst_sel:DWORD dst_unused:UNUSED_PAD src0_sel:WORD_1
	v_cvt_f32_f16_e32 v26, v3
	;;#ASMSTART
	v_pk_mul_f32 v[20:21], v[38:39], v[20:21]
	;;#ASMEND
	v_pk_add_f32 v[2:3], v[24:25], 1.0 op_sel_hi:[1,0]
	;;#ASMSTART
	v_pk_mul_f32 v[22:23], v[36:37], v[22:23]
	;;#ASMEND
	;;#ASMSTART
	v_pk_mul_f32 v[24:25], v[34:35], v[2:3]
	;;#ASMEND
	v_pk_add_f32 v[2:3], v[26:27], 1.0 op_sel_hi:[1,0]
	v_cvt_f32_f16_sdwa v27, v4 dst_sel:DWORD dst_unused:UNUSED_PAD src0_sel:WORD_1
	v_cvt_f32_f16_e32 v26, v4
	v_cvt_f32_f16_sdwa v29, v5 dst_sel:DWORD dst_unused:UNUSED_PAD src0_sel:WORD_1
	v_cvt_f32_f16_e32 v28, v5
	;;#ASMSTART
	v_pk_mul_f32 v[32:33], v[32:33], v[2:3]
	;;#ASMEND
	v_pk_add_f32 v[2:3], v[26:27], 1.0 op_sel_hi:[1,0]
	;;#ASMSTART
	v_pk_mul_f32 v[26:27], v[30:31], v[2:3]
	;;#ASMEND
	v_pk_add_f32 v[2:3], v[28:29], 1.0 op_sel_hi:[1,0]
	;;#ASMSTART
	v_pk_mul_f32 v[10:11], v[10:11], v[2:3]
	;;#ASMEND
	v_cvt_f16_f32_e32 v0, v14
	v_cvt_f16_f32_e32 v2, v15
	;; [unrolled: 1-line block ×8, first 2 shown]
	s_add_u32 s20, s26, s0
	s_addc_u32 s0, s27, s1
	s_and_b32 s21, s0, 0xffff
	v_pack_b32_f16 v2, v0, v2
	v_pack_b32_f16 v3, v3, v4
	;; [unrolled: 1-line block ×4, first 2 shown]
	buffer_store_dwordx4 v[2:5], v1, s[20:23], 0 offen
	v_cvt_f16_f32_e32 v0, v18
	v_cvt_f16_f32_e32 v2, v19
	;; [unrolled: 1-line block ×8, first 2 shown]
	v_pack_b32_f16 v2, v0, v2
	v_pack_b32_f16 v3, v3, v4
	;; [unrolled: 1-line block ×4, first 2 shown]
	s_movk_i32 s0, 0x400
	;;#ASMSTART
	s_nop 0
	;;#ASMEND
	buffer_store_dwordx4 v[2:5], v1, s[20:23], s0 offen
	v_cvt_f16_f32_e32 v0, v24
	v_cvt_f16_f32_e32 v2, v25
	;; [unrolled: 1-line block ×8, first 2 shown]
	v_pack_b32_f16 v2, v0, v2
	v_pack_b32_f16 v3, v3, v4
	;; [unrolled: 1-line block ×4, first 2 shown]
	s_movk_i32 s0, 0x800
	;;#ASMSTART
	s_nop 0
	;;#ASMEND
	buffer_store_dwordx4 v[2:5], v1, s[20:23], s0 offen
	;;#ASMSTART
	s_nop 0
	;;#ASMEND
	s_endpgm
	.section	.rodata,"a",@progbits
	.p2align	6, 0x0
	.amdhsa_kernel _ZN5aiter35fused_qk_rmsnorm_group_quant_kernelIDF16_DB8_Li256ELi24ELi1ELb1ELb1ELb1ELb0ELb1ELb1EEEvPT0_PvPT_S6_S6_PKS5_S8_S8_S8_S8_ffiiiiiiiiiiiii
		.amdhsa_group_segment_fixed_size 48
		.amdhsa_private_segment_fixed_size 1156
		.amdhsa_kernarg_size 400
		.amdhsa_user_sgpr_count 6
		.amdhsa_user_sgpr_private_segment_buffer 1
		.amdhsa_user_sgpr_dispatch_ptr 0
		.amdhsa_user_sgpr_queue_ptr 0
		.amdhsa_user_sgpr_kernarg_segment_ptr 1
		.amdhsa_user_sgpr_dispatch_id 0
		.amdhsa_user_sgpr_flat_scratch_init 0
		.amdhsa_user_sgpr_kernarg_preload_length 0
		.amdhsa_user_sgpr_kernarg_preload_offset 0
		.amdhsa_user_sgpr_private_segment_size 0
		.amdhsa_uses_dynamic_stack 0
		.amdhsa_system_sgpr_private_segment_wavefront_offset 1
		.amdhsa_system_sgpr_workgroup_id_x 1
		.amdhsa_system_sgpr_workgroup_id_y 1
		.amdhsa_system_sgpr_workgroup_id_z 0
		.amdhsa_system_sgpr_workgroup_info 0
		.amdhsa_system_vgpr_workitem_id 0
		.amdhsa_next_free_vgpr 126
		.amdhsa_next_free_sgpr 44
		.amdhsa_accum_offset 128
		.amdhsa_reserve_vcc 1
		.amdhsa_reserve_flat_scratch 0
		.amdhsa_float_round_mode_32 0
		.amdhsa_float_round_mode_16_64 0
		.amdhsa_float_denorm_mode_32 3
		.amdhsa_float_denorm_mode_16_64 3
		.amdhsa_dx10_clamp 1
		.amdhsa_ieee_mode 1
		.amdhsa_fp16_overflow 0
		.amdhsa_tg_split 0
		.amdhsa_exception_fp_ieee_invalid_op 0
		.amdhsa_exception_fp_denorm_src 0
		.amdhsa_exception_fp_ieee_div_zero 0
		.amdhsa_exception_fp_ieee_overflow 0
		.amdhsa_exception_fp_ieee_underflow 0
		.amdhsa_exception_fp_ieee_inexact 0
		.amdhsa_exception_int_div_zero 0
	.end_amdhsa_kernel
	.section	.text._ZN5aiter35fused_qk_rmsnorm_group_quant_kernelIDF16_DB8_Li256ELi24ELi1ELb1ELb1ELb1ELb0ELb1ELb1EEEvPT0_PvPT_S6_S6_PKS5_S8_S8_S8_S8_ffiiiiiiiiiiiii,"axG",@progbits,_ZN5aiter35fused_qk_rmsnorm_group_quant_kernelIDF16_DB8_Li256ELi24ELi1ELb1ELb1ELb1ELb0ELb1ELb1EEEvPT0_PvPT_S6_S6_PKS5_S8_S8_S8_S8_ffiiiiiiiiiiiii,comdat
.Lfunc_end65:
	.size	_ZN5aiter35fused_qk_rmsnorm_group_quant_kernelIDF16_DB8_Li256ELi24ELi1ELb1ELb1ELb1ELb0ELb1ELb1EEEvPT0_PvPT_S6_S6_PKS5_S8_S8_S8_S8_ffiiiiiiiiiiiii, .Lfunc_end65-_ZN5aiter35fused_qk_rmsnorm_group_quant_kernelIDF16_DB8_Li256ELi24ELi1ELb1ELb1ELb1ELb0ELb1ELb1EEEvPT0_PvPT_S6_S6_PKS5_S8_S8_S8_S8_ffiiiiiiiiiiiii
                                        ; -- End function
	.section	.AMDGPU.csdata,"",@progbits
; Kernel info:
; codeLenInByte = 32228
; NumSgprs: 48
; NumVgprs: 126
; NumAgprs: 0
; TotalNumVgprs: 126
; ScratchSize: 1156
; MemoryBound: 0
; FloatMode: 240
; IeeeMode: 1
; LDSByteSize: 48 bytes/workgroup (compile time only)
; SGPRBlocks: 5
; VGPRBlocks: 15
; NumSGPRsForWavesPerEU: 48
; NumVGPRsForWavesPerEU: 126
; AccumOffset: 128
; Occupancy: 4
; WaveLimiterHint : 0
; COMPUTE_PGM_RSRC2:SCRATCH_EN: 1
; COMPUTE_PGM_RSRC2:USER_SGPR: 6
; COMPUTE_PGM_RSRC2:TRAP_HANDLER: 0
; COMPUTE_PGM_RSRC2:TGID_X_EN: 1
; COMPUTE_PGM_RSRC2:TGID_Y_EN: 1
; COMPUTE_PGM_RSRC2:TGID_Z_EN: 0
; COMPUTE_PGM_RSRC2:TIDIG_COMP_CNT: 0
; COMPUTE_PGM_RSRC3_GFX90A:ACCUM_OFFSET: 31
; COMPUTE_PGM_RSRC3_GFX90A:TG_SPLIT: 0
	.section	.text._ZN5aiter35fused_qk_rmsnorm_group_quant_kernelItDB8_Li256ELi24ELi1ELb1ELb1ELb1ELb0ELb1ELb1EEEvPT0_PvPT_S6_S6_PKS5_S8_S8_S8_S8_ffiiiiiiiiiiiii,"axG",@progbits,_ZN5aiter35fused_qk_rmsnorm_group_quant_kernelItDB8_Li256ELi24ELi1ELb1ELb1ELb1ELb0ELb1ELb1EEEvPT0_PvPT_S6_S6_PKS5_S8_S8_S8_S8_ffiiiiiiiiiiiii,comdat
	.protected	_ZN5aiter35fused_qk_rmsnorm_group_quant_kernelItDB8_Li256ELi24ELi1ELb1ELb1ELb1ELb0ELb1ELb1EEEvPT0_PvPT_S6_S6_PKS5_S8_S8_S8_S8_ffiiiiiiiiiiiii ; -- Begin function _ZN5aiter35fused_qk_rmsnorm_group_quant_kernelItDB8_Li256ELi24ELi1ELb1ELb1ELb1ELb0ELb1ELb1EEEvPT0_PvPT_S6_S6_PKS5_S8_S8_S8_S8_ffiiiiiiiiiiiii
	.globl	_ZN5aiter35fused_qk_rmsnorm_group_quant_kernelItDB8_Li256ELi24ELi1ELb1ELb1ELb1ELb0ELb1ELb1EEEvPT0_PvPT_S6_S6_PKS5_S8_S8_S8_S8_ffiiiiiiiiiiiii
	.p2align	8
	.type	_ZN5aiter35fused_qk_rmsnorm_group_quant_kernelItDB8_Li256ELi24ELi1ELb1ELb1ELb1ELb0ELb1ELb1EEEvPT0_PvPT_S6_S6_PKS5_S8_S8_S8_S8_ffiiiiiiiiiiiii,@function
_ZN5aiter35fused_qk_rmsnorm_group_quant_kernelItDB8_Li256ELi24ELi1ELb1ELb1ELb1ELb0ELb1ELb1EEEvPT0_PvPT_S6_S6_PKS5_S8_S8_S8_S8_ffiiiiiiiiiiiii: ; @_ZN5aiter35fused_qk_rmsnorm_group_quant_kernelItDB8_Li256ELi24ELi1ELb1ELb1ELb1ELb0ELb1ELb1EEEvPT0_PvPT_S6_S6_PKS5_S8_S8_S8_S8_ffiiiiiiiiiiiii
; %bb.0:
	s_load_dwordx8 s[12:19], s[4:5], 0x50
	s_mov_b64 s[42:43], s[2:3]
	s_mov_b64 s[40:41], s[0:1]
	s_add_u32 s40, s40, s8
	s_addc_u32 s41, s41, 0
	s_waitcnt lgkmcnt(0)
	s_cmp_ge_i32 s6, s14
	s_cbranch_scc1 .LBB66_17
; %bb.1:
	s_cmp_lg_u32 s7, 0
	s_cselect_b64 s[22:23], -1, 0
	s_cmp_eq_u32 s7, 0
	s_cselect_b64 s[8:9], -1, 0
	s_and_b64 s[0:1], s[8:9], exec
	s_cselect_b32 s7, s15, s16
	s_add_i32 s0, s7, 1
	s_load_dwordx2 s[10:11], s[4:5], 0x70
	s_load_dwordx2 s[20:21], s[4:5], 0x48
	;; [unrolled: 1-line block ×3, first 2 shown]
	s_lshr_b32 s1, s0, 31
	s_add_i32 s0, s0, s1
	s_lshl_b32 s0, s0, 1
	v_and_b32_e32 v1, 0x3c0, v0
	s_and_b32 s30, s0, -4
	v_lshlrev_b32_e32 v2, 3, v0
	v_mul_u32_u24_e32 v1, 24, v1
	s_movk_i32 s0, 0x1f8
	v_and_or_b32 v68, v2, s0, v1
	v_cmp_gt_i32_e64 s[0:1], s7, v68
	v_mov_b32_e32 v120, 0
	v_mov_b32_e32 v121, 0
	;; [unrolled: 1-line block ×24, first 2 shown]
	s_and_saveexec_b64 s[2:3], s[0:1]
	s_cbranch_execz .LBB66_3
; %bb.2:
	s_load_dwordx2 s[24:25], s[4:5], 0x28
	s_load_dwordx2 s[26:27], s[4:5], 0x40
	s_and_b64 s[28:29], s[8:9], exec
	s_cselect_b32 s14, s17, s18
	s_mov_b32 s31, 0x20000
	s_waitcnt lgkmcnt(0)
	s_cselect_b32 s17, s25, s35
	s_cselect_b32 s28, s24, s34
	s_mul_hi_i32 s25, s14, s6
	s_mul_i32 s24, s14, s6
	s_lshl_b64 s[24:25], s[24:25], 1
	s_add_u32 s24, s28, s24
	s_addc_u32 s14, s17, s25
	s_and_b64 s[28:29], s[8:9], exec
	s_cselect_b32 s17, s27, s21
	s_cselect_b32 s28, s26, s20
	s_and_b32 s29, s17, 0xffff
	s_and_b32 s25, s14, 0xffff
	s_mov_b32 s26, s30
	s_mov_b32 s27, s31
	v_lshlrev_b32_e32 v1, 1, v68
	s_movk_i32 s17, 0x800
	s_movk_i32 s14, 0x400
	buffer_load_dwordx4 v[124:127], v1, s[24:27], 0 offen glc slc
	buffer_load_dwordx4 v[108:111], v1, s[24:27], s14 offen glc slc
	;; [unrolled: 1-line block ×3, first 2 shown]
	buffer_load_dwordx4 v[120:123], v1, s[28:31], 0 offen
	buffer_load_dwordx4 v[116:119], v1, s[28:31], s14 offen
	;; [unrolled: 1-line block ×3, first 2 shown]
.LBB66_3:
	s_or_b64 exec, exec, s[2:3]
	s_load_dwordx4 s[24:27], s[4:5], 0x7c
	s_and_b64 vcc, exec, s[22:23]
	s_cbranch_vccz .LBB66_7
; %bb.4:
	v_mov_b32_e32 v29, 0
	v_mov_b32_e32 v28, 0
	;; [unrolled: 1-line block ×4, first 2 shown]
	buffer_store_dword v0, off, s[40:43], 0 offset:768 ; 4-byte Folded Spill
	s_nop 0
	buffer_store_dword v1, off, s[40:43], 0 offset:772 ; 4-byte Folded Spill
	buffer_store_dword v2, off, s[40:43], 0 offset:776 ; 4-byte Folded Spill
	;; [unrolled: 1-line block ×31, first 2 shown]
	v_mov_b32_e32 v19, 0
	v_mov_b32_e32 v18, 0
	;; [unrolled: 1-line block ×8, first 2 shown]
	buffer_store_dword v0, off, s[40:43], 0 ; 4-byte Folded Spill
	s_nop 0
	buffer_store_dword v1, off, s[40:43], 0 offset:4 ; 4-byte Folded Spill
	buffer_store_dword v2, off, s[40:43], 0 offset:8 ; 4-byte Folded Spill
	buffer_store_dword v3, off, s[40:43], 0 offset:12 ; 4-byte Folded Spill
	buffer_store_dword v4, off, s[40:43], 0 offset:16 ; 4-byte Folded Spill
	buffer_store_dword v5, off, s[40:43], 0 offset:20 ; 4-byte Folded Spill
	buffer_store_dword v6, off, s[40:43], 0 offset:24 ; 4-byte Folded Spill
	buffer_store_dword v7, off, s[40:43], 0 offset:28 ; 4-byte Folded Spill
	buffer_store_dword v8, off, s[40:43], 0 offset:32 ; 4-byte Folded Spill
	buffer_store_dword v9, off, s[40:43], 0 offset:36 ; 4-byte Folded Spill
	buffer_store_dword v10, off, s[40:43], 0 offset:40 ; 4-byte Folded Spill
	buffer_store_dword v11, off, s[40:43], 0 offset:44 ; 4-byte Folded Spill
	buffer_store_dword v12, off, s[40:43], 0 offset:48 ; 4-byte Folded Spill
	buffer_store_dword v13, off, s[40:43], 0 offset:52 ; 4-byte Folded Spill
	buffer_store_dword v14, off, s[40:43], 0 offset:56 ; 4-byte Folded Spill
	buffer_store_dword v15, off, s[40:43], 0 offset:60 ; 4-byte Folded Spill
	buffer_store_dword v16, off, s[40:43], 0 offset:64 ; 4-byte Folded Spill
	buffer_store_dword v17, off, s[40:43], 0 offset:68 ; 4-byte Folded Spill
	buffer_store_dword v18, off, s[40:43], 0 offset:72 ; 4-byte Folded Spill
	buffer_store_dword v19, off, s[40:43], 0 offset:76 ; 4-byte Folded Spill
	buffer_store_dword v20, off, s[40:43], 0 offset:80 ; 4-byte Folded Spill
	buffer_store_dword v21, off, s[40:43], 0 offset:84 ; 4-byte Folded Spill
	buffer_store_dword v22, off, s[40:43], 0 offset:88 ; 4-byte Folded Spill
	buffer_store_dword v23, off, s[40:43], 0 offset:92 ; 4-byte Folded Spill
	buffer_store_dword v24, off, s[40:43], 0 offset:96 ; 4-byte Folded Spill
	buffer_store_dword v25, off, s[40:43], 0 offset:100 ; 4-byte Folded Spill
	buffer_store_dword v26, off, s[40:43], 0 offset:104 ; 4-byte Folded Spill
	buffer_store_dword v27, off, s[40:43], 0 offset:108 ; 4-byte Folded Spill
	buffer_store_dword v28, off, s[40:43], 0 offset:112 ; 4-byte Folded Spill
	buffer_store_dword v29, off, s[40:43], 0 offset:116 ; 4-byte Folded Spill
	buffer_store_dword v30, off, s[40:43], 0 offset:120 ; 4-byte Folded Spill
	buffer_store_dword v31, off, s[40:43], 0 offset:124 ; 4-byte Folded Spill
	v_mov_b32_e32 v17, 0
	v_mov_b32_e32 v16, 0
	buffer_store_dword v0, off, s[40:43], 0 offset:256 ; 4-byte Folded Spill
	s_nop 0
	buffer_store_dword v1, off, s[40:43], 0 offset:260 ; 4-byte Folded Spill
	buffer_store_dword v2, off, s[40:43], 0 offset:264 ; 4-byte Folded Spill
	buffer_store_dword v3, off, s[40:43], 0 offset:268 ; 4-byte Folded Spill
	buffer_store_dword v4, off, s[40:43], 0 offset:272 ; 4-byte Folded Spill
	buffer_store_dword v5, off, s[40:43], 0 offset:276 ; 4-byte Folded Spill
	buffer_store_dword v6, off, s[40:43], 0 offset:280 ; 4-byte Folded Spill
	buffer_store_dword v7, off, s[40:43], 0 offset:284 ; 4-byte Folded Spill
	buffer_store_dword v8, off, s[40:43], 0 offset:288 ; 4-byte Folded Spill
	buffer_store_dword v9, off, s[40:43], 0 offset:292 ; 4-byte Folded Spill
	buffer_store_dword v10, off, s[40:43], 0 offset:296 ; 4-byte Folded Spill
	buffer_store_dword v11, off, s[40:43], 0 offset:300 ; 4-byte Folded Spill
	buffer_store_dword v12, off, s[40:43], 0 offset:304 ; 4-byte Folded Spill
	buffer_store_dword v13, off, s[40:43], 0 offset:308 ; 4-byte Folded Spill
	buffer_store_dword v14, off, s[40:43], 0 offset:312 ; 4-byte Folded Spill
	buffer_store_dword v15, off, s[40:43], 0 offset:316 ; 4-byte Folded Spill
	buffer_store_dword v16, off, s[40:43], 0 offset:320 ; 4-byte Folded Spill
	buffer_store_dword v17, off, s[40:43], 0 offset:324 ; 4-byte Folded Spill
	buffer_store_dword v18, off, s[40:43], 0 offset:328 ; 4-byte Folded Spill
	buffer_store_dword v19, off, s[40:43], 0 offset:332 ; 4-byte Folded Spill
	buffer_store_dword v20, off, s[40:43], 0 offset:336 ; 4-byte Folded Spill
	buffer_store_dword v21, off, s[40:43], 0 offset:340 ; 4-byte Folded Spill
	buffer_store_dword v22, off, s[40:43], 0 offset:344 ; 4-byte Folded Spill
	buffer_store_dword v23, off, s[40:43], 0 offset:348 ; 4-byte Folded Spill
	buffer_store_dword v24, off, s[40:43], 0 offset:352 ; 4-byte Folded Spill
	buffer_store_dword v25, off, s[40:43], 0 offset:356 ; 4-byte Folded Spill
	buffer_store_dword v26, off, s[40:43], 0 offset:360 ; 4-byte Folded Spill
	buffer_store_dword v27, off, s[40:43], 0 offset:364 ; 4-byte Folded Spill
	buffer_store_dword v28, off, s[40:43], 0 offset:368 ; 4-byte Folded Spill
	buffer_store_dword v29, off, s[40:43], 0 offset:372 ; 4-byte Folded Spill
	buffer_store_dword v30, off, s[40:43], 0 offset:376 ; 4-byte Folded Spill
	buffer_store_dword v31, off, s[40:43], 0 offset:380 ; 4-byte Folded Spill
	v_mov_b32_e32 v15, 0
	v_mov_b32_e32 v14, 0
	buffer_store_dword v0, off, s[40:43], 0 offset:128 ; 4-byte Folded Spill
	;; [unrolled: 35-line block ×5, first 2 shown]
	s_nop 0
	buffer_store_dword v1, off, s[40:43], 0 offset:644 ; 4-byte Folded Spill
	buffer_store_dword v2, off, s[40:43], 0 offset:648 ; 4-byte Folded Spill
	;; [unrolled: 1-line block ×31, first 2 shown]
	v_mov_b32_e32 v5, 0
	v_mov_b32_e32 v4, 0
	s_and_saveexec_b64 s[2:3], s[0:1]
	s_cbranch_execz .LBB66_6
; %bb.5:
	s_waitcnt vmcnt(62)
	v_cvt_f32_u32_sdwa v4, v125 dst_sel:DWORD dst_unused:UNUSED_PAD src0_sel:WORD_0
	v_cvt_f32_u32_sdwa v5, v125 dst_sel:DWORD dst_unused:UNUSED_PAD src0_sel:WORD_1
	v_cvt_f32_u32_sdwa v8, v108 dst_sel:DWORD dst_unused:UNUSED_PAD src0_sel:WORD_0
	v_cvt_f32_u32_sdwa v9, v108 dst_sel:DWORD dst_unused:UNUSED_PAD src0_sel:WORD_1
	buffer_store_dword v0, off, s[40:43], 0 offset:640 ; 4-byte Folded Spill
	s_nop 0
	buffer_store_dword v1, off, s[40:43], 0 offset:644 ; 4-byte Folded Spill
	buffer_store_dword v2, off, s[40:43], 0 offset:648 ; 4-byte Folded Spill
	;; [unrolled: 1-line block ×31, first 2 shown]
	v_cvt_f32_u32_sdwa v10, v109 dst_sel:DWORD dst_unused:UNUSED_PAD src0_sel:WORD_0
	v_cvt_f32_u32_sdwa v11, v109 dst_sel:DWORD dst_unused:UNUSED_PAD src0_sel:WORD_1
	v_cvt_f32_u32_sdwa v34, v124 dst_sel:DWORD dst_unused:UNUSED_PAD src0_sel:WORD_0
	v_cvt_f32_u32_sdwa v35, v124 dst_sel:DWORD dst_unused:UNUSED_PAD src0_sel:WORD_1
	;; [unrolled: 2-line block ×4, first 2 shown]
	buffer_store_dword v0, off, s[40:43], 0 offset:512 ; 4-byte Folded Spill
	s_nop 0
	buffer_store_dword v1, off, s[40:43], 0 offset:516 ; 4-byte Folded Spill
	buffer_store_dword v2, off, s[40:43], 0 offset:520 ; 4-byte Folded Spill
	buffer_store_dword v3, off, s[40:43], 0 offset:524 ; 4-byte Folded Spill
	buffer_store_dword v4, off, s[40:43], 0 offset:528 ; 4-byte Folded Spill
	buffer_store_dword v5, off, s[40:43], 0 offset:532 ; 4-byte Folded Spill
	buffer_store_dword v6, off, s[40:43], 0 offset:536 ; 4-byte Folded Spill
	buffer_store_dword v7, off, s[40:43], 0 offset:540 ; 4-byte Folded Spill
	buffer_store_dword v8, off, s[40:43], 0 offset:544 ; 4-byte Folded Spill
	buffer_store_dword v9, off, s[40:43], 0 offset:548 ; 4-byte Folded Spill
	buffer_store_dword v10, off, s[40:43], 0 offset:552 ; 4-byte Folded Spill
	buffer_store_dword v11, off, s[40:43], 0 offset:556 ; 4-byte Folded Spill
	buffer_store_dword v12, off, s[40:43], 0 offset:560 ; 4-byte Folded Spill
	buffer_store_dword v13, off, s[40:43], 0 offset:564 ; 4-byte Folded Spill
	buffer_store_dword v14, off, s[40:43], 0 offset:568 ; 4-byte Folded Spill
	buffer_store_dword v15, off, s[40:43], 0 offset:572 ; 4-byte Folded Spill
	buffer_store_dword v16, off, s[40:43], 0 offset:576 ; 4-byte Folded Spill
	buffer_store_dword v17, off, s[40:43], 0 offset:580 ; 4-byte Folded Spill
	buffer_store_dword v18, off, s[40:43], 0 offset:584 ; 4-byte Folded Spill
	buffer_store_dword v19, off, s[40:43], 0 offset:588 ; 4-byte Folded Spill
	buffer_store_dword v20, off, s[40:43], 0 offset:592 ; 4-byte Folded Spill
	buffer_store_dword v21, off, s[40:43], 0 offset:596 ; 4-byte Folded Spill
	buffer_store_dword v22, off, s[40:43], 0 offset:600 ; 4-byte Folded Spill
	buffer_store_dword v23, off, s[40:43], 0 offset:604 ; 4-byte Folded Spill
	buffer_store_dword v24, off, s[40:43], 0 offset:608 ; 4-byte Folded Spill
	buffer_store_dword v25, off, s[40:43], 0 offset:612 ; 4-byte Folded Spill
	buffer_store_dword v26, off, s[40:43], 0 offset:616 ; 4-byte Folded Spill
	buffer_store_dword v27, off, s[40:43], 0 offset:620 ; 4-byte Folded Spill
	buffer_store_dword v28, off, s[40:43], 0 offset:624 ; 4-byte Folded Spill
	buffer_store_dword v29, off, s[40:43], 0 offset:628 ; 4-byte Folded Spill
	buffer_store_dword v30, off, s[40:43], 0 offset:632 ; 4-byte Folded Spill
	buffer_store_dword v31, off, s[40:43], 0 offset:636 ; 4-byte Folded Spill
	v_cvt_f32_u32_sdwa v12, v110 dst_sel:DWORD dst_unused:UNUSED_PAD src0_sel:WORD_0
	v_cvt_f32_u32_sdwa v13, v110 dst_sel:DWORD dst_unused:UNUSED_PAD src0_sel:WORD_1
	buffer_store_dword v0, off, s[40:43], 0 offset:384 ; 4-byte Folded Spill
	s_nop 0
	buffer_store_dword v1, off, s[40:43], 0 offset:388 ; 4-byte Folded Spill
	buffer_store_dword v2, off, s[40:43], 0 offset:392 ; 4-byte Folded Spill
	buffer_store_dword v3, off, s[40:43], 0 offset:396 ; 4-byte Folded Spill
	buffer_store_dword v4, off, s[40:43], 0 offset:400 ; 4-byte Folded Spill
	buffer_store_dword v5, off, s[40:43], 0 offset:404 ; 4-byte Folded Spill
	buffer_store_dword v6, off, s[40:43], 0 offset:408 ; 4-byte Folded Spill
	buffer_store_dword v7, off, s[40:43], 0 offset:412 ; 4-byte Folded Spill
	buffer_store_dword v8, off, s[40:43], 0 offset:416 ; 4-byte Folded Spill
	buffer_store_dword v9, off, s[40:43], 0 offset:420 ; 4-byte Folded Spill
	buffer_store_dword v10, off, s[40:43], 0 offset:424 ; 4-byte Folded Spill
	buffer_store_dword v11, off, s[40:43], 0 offset:428 ; 4-byte Folded Spill
	buffer_store_dword v12, off, s[40:43], 0 offset:432 ; 4-byte Folded Spill
	buffer_store_dword v13, off, s[40:43], 0 offset:436 ; 4-byte Folded Spill
	buffer_store_dword v14, off, s[40:43], 0 offset:440 ; 4-byte Folded Spill
	buffer_store_dword v15, off, s[40:43], 0 offset:444 ; 4-byte Folded Spill
	buffer_store_dword v16, off, s[40:43], 0 offset:448 ; 4-byte Folded Spill
	buffer_store_dword v17, off, s[40:43], 0 offset:452 ; 4-byte Folded Spill
	buffer_store_dword v18, off, s[40:43], 0 offset:456 ; 4-byte Folded Spill
	buffer_store_dword v19, off, s[40:43], 0 offset:460 ; 4-byte Folded Spill
	buffer_store_dword v20, off, s[40:43], 0 offset:464 ; 4-byte Folded Spill
	buffer_store_dword v21, off, s[40:43], 0 offset:468 ; 4-byte Folded Spill
	buffer_store_dword v22, off, s[40:43], 0 offset:472 ; 4-byte Folded Spill
	buffer_store_dword v23, off, s[40:43], 0 offset:476 ; 4-byte Folded Spill
	buffer_store_dword v24, off, s[40:43], 0 offset:480 ; 4-byte Folded Spill
	buffer_store_dword v25, off, s[40:43], 0 offset:484 ; 4-byte Folded Spill
	buffer_store_dword v26, off, s[40:43], 0 offset:488 ; 4-byte Folded Spill
	buffer_store_dword v27, off, s[40:43], 0 offset:492 ; 4-byte Folded Spill
	buffer_store_dword v28, off, s[40:43], 0 offset:496 ; 4-byte Folded Spill
	buffer_store_dword v29, off, s[40:43], 0 offset:500 ; 4-byte Folded Spill
	buffer_store_dword v30, off, s[40:43], 0 offset:504 ; 4-byte Folded Spill
	buffer_store_dword v31, off, s[40:43], 0 offset:508 ; 4-byte Folded Spill
	v_cvt_f32_u32_sdwa v14, v111 dst_sel:DWORD dst_unused:UNUSED_PAD src0_sel:WORD_0
	v_cvt_f32_u32_sdwa v15, v111 dst_sel:DWORD dst_unused:UNUSED_PAD src0_sel:WORD_1
	;; [unrolled: 35-line block ×4, first 2 shown]
	buffer_store_dword v0, off, s[40:43], 0 ; 4-byte Folded Spill
	s_nop 0
	buffer_store_dword v1, off, s[40:43], 0 offset:4 ; 4-byte Folded Spill
	buffer_store_dword v2, off, s[40:43], 0 offset:8 ; 4-byte Folded Spill
	;; [unrolled: 1-line block ×31, first 2 shown]
	v_cvt_f32_u32_sdwa v20, v106 dst_sel:DWORD dst_unused:UNUSED_PAD src0_sel:WORD_0
	v_cvt_f32_u32_sdwa v21, v106 dst_sel:DWORD dst_unused:UNUSED_PAD src0_sel:WORD_1
	buffer_store_dword v0, off, s[40:43], 0 offset:768 ; 4-byte Folded Spill
	s_nop 0
	buffer_store_dword v1, off, s[40:43], 0 offset:772 ; 4-byte Folded Spill
	buffer_store_dword v2, off, s[40:43], 0 offset:776 ; 4-byte Folded Spill
	;; [unrolled: 1-line block ×31, first 2 shown]
	v_cvt_f32_u32_sdwa v28, v107 dst_sel:DWORD dst_unused:UNUSED_PAD src0_sel:WORD_0
	v_cvt_f32_u32_sdwa v29, v107 dst_sel:DWORD dst_unused:UNUSED_PAD src0_sel:WORD_1
.LBB66_6:
	s_or_b64 exec, exec, s[2:3]
	s_cbranch_execz .LBB66_8
	s_branch .LBB66_11
.LBB66_7:
	v_mov_b32_e32 v1, v68
                                        ; implicit-def: $vgpr34_vgpr35_vgpr36_vgpr37_vgpr38_vgpr39_vgpr40_vgpr41_vgpr42_vgpr43_vgpr44_vgpr45_vgpr46_vgpr47_vgpr48_vgpr49_vgpr50_vgpr51_vgpr52_vgpr53_vgpr54_vgpr55_vgpr56_vgpr57_vgpr58_vgpr59_vgpr60_vgpr61_vgpr62_vgpr63_vgpr64_vgpr65
                                        ; implicit-def: $vgpr66_vgpr67_vgpr68_vgpr69_vgpr70_vgpr71_vgpr72_vgpr73_vgpr74_vgpr75_vgpr76_vgpr77_vgpr78_vgpr79_vgpr80_vgpr81_vgpr82_vgpr83_vgpr84_vgpr85_vgpr86_vgpr87_vgpr88_vgpr89_vgpr90_vgpr91_vgpr92_vgpr93_vgpr94_vgpr95_vgpr96_vgpr97
                                        ; implicit-def: $vgpr36_vgpr37_vgpr38_vgpr39_vgpr40_vgpr41_vgpr42_vgpr43_vgpr44_vgpr45_vgpr46_vgpr47_vgpr48_vgpr49_vgpr50_vgpr51_vgpr52_vgpr53_vgpr54_vgpr55_vgpr56_vgpr57_vgpr58_vgpr59_vgpr60_vgpr61_vgpr62_vgpr63_vgpr64_vgpr65_vgpr66_vgpr67
                                        ; kill: killed $vgpr36_vgpr37_vgpr38_vgpr39_vgpr40_vgpr41_vgpr42_vgpr43_vgpr44_vgpr45_vgpr46_vgpr47_vgpr48_vgpr49_vgpr50_vgpr51_vgpr52_vgpr53_vgpr54_vgpr55_vgpr56_vgpr57_vgpr58_vgpr59_vgpr60_vgpr61_vgpr62_vgpr63_vgpr64_vgpr65_vgpr66_vgpr67
                                        ; implicit-def: $vgpr36_vgpr37_vgpr38_vgpr39_vgpr40_vgpr41_vgpr42_vgpr43_vgpr44_vgpr45_vgpr46_vgpr47_vgpr48_vgpr49_vgpr50_vgpr51_vgpr52_vgpr53_vgpr54_vgpr55_vgpr56_vgpr57_vgpr58_vgpr59_vgpr60_vgpr61_vgpr62_vgpr63_vgpr64_vgpr65_vgpr66_vgpr67
                                        ; kill: killed $vgpr36_vgpr37_vgpr38_vgpr39_vgpr40_vgpr41_vgpr42_vgpr43_vgpr44_vgpr45_vgpr46_vgpr47_vgpr48_vgpr49_vgpr50_vgpr51_vgpr52_vgpr53_vgpr54_vgpr55_vgpr56_vgpr57_vgpr58_vgpr59_vgpr60_vgpr61_vgpr62_vgpr63_vgpr64_vgpr65_vgpr66_vgpr67
                                        ; implicit-def: $vgpr36_vgpr37_vgpr38_vgpr39_vgpr40_vgpr41_vgpr42_vgpr43_vgpr44_vgpr45_vgpr46_vgpr47_vgpr48_vgpr49_vgpr50_vgpr51_vgpr52_vgpr53_vgpr54_vgpr55_vgpr56_vgpr57_vgpr58_vgpr59_vgpr60_vgpr61_vgpr62_vgpr63_vgpr64_vgpr65_vgpr66_vgpr67
                                        ; kill: killed $vgpr36_vgpr37_vgpr38_vgpr39_vgpr40_vgpr41_vgpr42_vgpr43_vgpr44_vgpr45_vgpr46_vgpr47_vgpr48_vgpr49_vgpr50_vgpr51_vgpr52_vgpr53_vgpr54_vgpr55_vgpr56_vgpr57_vgpr58_vgpr59_vgpr60_vgpr61_vgpr62_vgpr63_vgpr64_vgpr65_vgpr66_vgpr67
                                        ; implicit-def: $vgpr36_vgpr37_vgpr38_vgpr39_vgpr40_vgpr41_vgpr42_vgpr43_vgpr44_vgpr45_vgpr46_vgpr47_vgpr48_vgpr49_vgpr50_vgpr51_vgpr52_vgpr53_vgpr54_vgpr55_vgpr56_vgpr57_vgpr58_vgpr59_vgpr60_vgpr61_vgpr62_vgpr63_vgpr64_vgpr65_vgpr66_vgpr67
                                        ; kill: killed $vgpr36_vgpr37_vgpr38_vgpr39_vgpr40_vgpr41_vgpr42_vgpr43_vgpr44_vgpr45_vgpr46_vgpr47_vgpr48_vgpr49_vgpr50_vgpr51_vgpr52_vgpr53_vgpr54_vgpr55_vgpr56_vgpr57_vgpr58_vgpr59_vgpr60_vgpr61_vgpr62_vgpr63_vgpr64_vgpr65_vgpr66_vgpr67
                                        ; implicit-def: $vgpr36_vgpr37_vgpr38_vgpr39_vgpr40_vgpr41_vgpr42_vgpr43_vgpr44_vgpr45_vgpr46_vgpr47_vgpr48_vgpr49_vgpr50_vgpr51_vgpr52_vgpr53_vgpr54_vgpr55_vgpr56_vgpr57_vgpr58_vgpr59_vgpr60_vgpr61_vgpr62_vgpr63_vgpr64_vgpr65_vgpr66_vgpr67
                                        ; implicit-def: $vgpr2_vgpr3_vgpr4_vgpr5_vgpr6_vgpr7_vgpr8_vgpr9_vgpr10_vgpr11_vgpr12_vgpr13_vgpr14_vgpr15_vgpr16_vgpr17_vgpr18_vgpr19_vgpr20_vgpr21_vgpr22_vgpr23_vgpr24_vgpr25_vgpr26_vgpr27_vgpr28_vgpr29_vgpr30_vgpr31_vgpr32_vgpr33
	v_mov_b32_e32 v68, v1
                                        ; kill: killed $vgpr36_vgpr37_vgpr38_vgpr39_vgpr40_vgpr41_vgpr42_vgpr43_vgpr44_vgpr45_vgpr46_vgpr47_vgpr48_vgpr49_vgpr50_vgpr51_vgpr52_vgpr53_vgpr54_vgpr55_vgpr56_vgpr57_vgpr58_vgpr59_vgpr60_vgpr61_vgpr62_vgpr63_vgpr64_vgpr65_vgpr66_vgpr67
                                        ; implicit-def: $vgpr36_vgpr37_vgpr38_vgpr39_vgpr40_vgpr41_vgpr42_vgpr43_vgpr44_vgpr45_vgpr46_vgpr47_vgpr48_vgpr49_vgpr50_vgpr51_vgpr52_vgpr53_vgpr54_vgpr55_vgpr56_vgpr57_vgpr58_vgpr59_vgpr60_vgpr61_vgpr62_vgpr63_vgpr64_vgpr65_vgpr66_vgpr67
                                        ; implicit-def: $vgpr29
                                        ; implicit-def: $vgpr72_vgpr73_vgpr74_vgpr75_vgpr76_vgpr77_vgpr78_vgpr79_vgpr80_vgpr81_vgpr82_vgpr83_vgpr84_vgpr85_vgpr86_vgpr87_vgpr88_vgpr89_vgpr90_vgpr91_vgpr92_vgpr93_vgpr94_vgpr95_vgpr96_vgpr97_vgpr98_vgpr99_vgpr100_vgpr101_vgpr102_vgpr103
                                        ; kill: killed $vgpr36_vgpr37_vgpr38_vgpr39_vgpr40_vgpr41_vgpr42_vgpr43_vgpr44_vgpr45_vgpr46_vgpr47_vgpr48_vgpr49_vgpr50_vgpr51_vgpr52_vgpr53_vgpr54_vgpr55_vgpr56_vgpr57_vgpr58_vgpr59_vgpr60_vgpr61_vgpr62_vgpr63_vgpr64_vgpr65_vgpr66_vgpr67
                                        ; implicit-def: $vgpr36_vgpr37_vgpr38_vgpr39_vgpr40_vgpr41_vgpr42_vgpr43_vgpr44_vgpr45_vgpr46_vgpr47_vgpr48_vgpr49_vgpr50_vgpr51_vgpr52_vgpr53_vgpr54_vgpr55_vgpr56_vgpr57_vgpr58_vgpr59_vgpr60_vgpr61_vgpr62_vgpr63_vgpr64_vgpr65_vgpr66_vgpr67
                                        ; kill: killed $vgpr36_vgpr37_vgpr38_vgpr39_vgpr40_vgpr41_vgpr42_vgpr43_vgpr44_vgpr45_vgpr46_vgpr47_vgpr48_vgpr49_vgpr50_vgpr51_vgpr52_vgpr53_vgpr54_vgpr55_vgpr56_vgpr57_vgpr58_vgpr59_vgpr60_vgpr61_vgpr62_vgpr63_vgpr64_vgpr65_vgpr66_vgpr67
.LBB66_8:
	v_mov_b32_e32 v29, 0
	v_mov_b32_e32 v28, 0
	;; [unrolled: 1-line block ×4, first 2 shown]
	buffer_store_dword v0, off, s[40:43], 0 offset:768 ; 4-byte Folded Spill
	s_nop 0
	buffer_store_dword v1, off, s[40:43], 0 offset:772 ; 4-byte Folded Spill
	buffer_store_dword v2, off, s[40:43], 0 offset:776 ; 4-byte Folded Spill
	;; [unrolled: 1-line block ×31, first 2 shown]
	v_mov_b32_e32 v19, 0
	v_mov_b32_e32 v18, 0
	;; [unrolled: 1-line block ×8, first 2 shown]
	buffer_store_dword v0, off, s[40:43], 0 ; 4-byte Folded Spill
	s_nop 0
	buffer_store_dword v1, off, s[40:43], 0 offset:4 ; 4-byte Folded Spill
	buffer_store_dword v2, off, s[40:43], 0 offset:8 ; 4-byte Folded Spill
	buffer_store_dword v3, off, s[40:43], 0 offset:12 ; 4-byte Folded Spill
	buffer_store_dword v4, off, s[40:43], 0 offset:16 ; 4-byte Folded Spill
	buffer_store_dword v5, off, s[40:43], 0 offset:20 ; 4-byte Folded Spill
	buffer_store_dword v6, off, s[40:43], 0 offset:24 ; 4-byte Folded Spill
	buffer_store_dword v7, off, s[40:43], 0 offset:28 ; 4-byte Folded Spill
	buffer_store_dword v8, off, s[40:43], 0 offset:32 ; 4-byte Folded Spill
	buffer_store_dword v9, off, s[40:43], 0 offset:36 ; 4-byte Folded Spill
	buffer_store_dword v10, off, s[40:43], 0 offset:40 ; 4-byte Folded Spill
	buffer_store_dword v11, off, s[40:43], 0 offset:44 ; 4-byte Folded Spill
	buffer_store_dword v12, off, s[40:43], 0 offset:48 ; 4-byte Folded Spill
	buffer_store_dword v13, off, s[40:43], 0 offset:52 ; 4-byte Folded Spill
	buffer_store_dword v14, off, s[40:43], 0 offset:56 ; 4-byte Folded Spill
	buffer_store_dword v15, off, s[40:43], 0 offset:60 ; 4-byte Folded Spill
	buffer_store_dword v16, off, s[40:43], 0 offset:64 ; 4-byte Folded Spill
	buffer_store_dword v17, off, s[40:43], 0 offset:68 ; 4-byte Folded Spill
	buffer_store_dword v18, off, s[40:43], 0 offset:72 ; 4-byte Folded Spill
	buffer_store_dword v19, off, s[40:43], 0 offset:76 ; 4-byte Folded Spill
	buffer_store_dword v20, off, s[40:43], 0 offset:80 ; 4-byte Folded Spill
	buffer_store_dword v21, off, s[40:43], 0 offset:84 ; 4-byte Folded Spill
	buffer_store_dword v22, off, s[40:43], 0 offset:88 ; 4-byte Folded Spill
	buffer_store_dword v23, off, s[40:43], 0 offset:92 ; 4-byte Folded Spill
	buffer_store_dword v24, off, s[40:43], 0 offset:96 ; 4-byte Folded Spill
	buffer_store_dword v25, off, s[40:43], 0 offset:100 ; 4-byte Folded Spill
	buffer_store_dword v26, off, s[40:43], 0 offset:104 ; 4-byte Folded Spill
	buffer_store_dword v27, off, s[40:43], 0 offset:108 ; 4-byte Folded Spill
	buffer_store_dword v28, off, s[40:43], 0 offset:112 ; 4-byte Folded Spill
	buffer_store_dword v29, off, s[40:43], 0 offset:116 ; 4-byte Folded Spill
	buffer_store_dword v30, off, s[40:43], 0 offset:120 ; 4-byte Folded Spill
	buffer_store_dword v31, off, s[40:43], 0 offset:124 ; 4-byte Folded Spill
	v_mov_b32_e32 v17, 0
	v_mov_b32_e32 v16, 0
	buffer_store_dword v0, off, s[40:43], 0 offset:256 ; 4-byte Folded Spill
	s_nop 0
	buffer_store_dword v1, off, s[40:43], 0 offset:260 ; 4-byte Folded Spill
	buffer_store_dword v2, off, s[40:43], 0 offset:264 ; 4-byte Folded Spill
	buffer_store_dword v3, off, s[40:43], 0 offset:268 ; 4-byte Folded Spill
	buffer_store_dword v4, off, s[40:43], 0 offset:272 ; 4-byte Folded Spill
	buffer_store_dword v5, off, s[40:43], 0 offset:276 ; 4-byte Folded Spill
	buffer_store_dword v6, off, s[40:43], 0 offset:280 ; 4-byte Folded Spill
	buffer_store_dword v7, off, s[40:43], 0 offset:284 ; 4-byte Folded Spill
	buffer_store_dword v8, off, s[40:43], 0 offset:288 ; 4-byte Folded Spill
	buffer_store_dword v9, off, s[40:43], 0 offset:292 ; 4-byte Folded Spill
	buffer_store_dword v10, off, s[40:43], 0 offset:296 ; 4-byte Folded Spill
	buffer_store_dword v11, off, s[40:43], 0 offset:300 ; 4-byte Folded Spill
	buffer_store_dword v12, off, s[40:43], 0 offset:304 ; 4-byte Folded Spill
	buffer_store_dword v13, off, s[40:43], 0 offset:308 ; 4-byte Folded Spill
	buffer_store_dword v14, off, s[40:43], 0 offset:312 ; 4-byte Folded Spill
	buffer_store_dword v15, off, s[40:43], 0 offset:316 ; 4-byte Folded Spill
	buffer_store_dword v16, off, s[40:43], 0 offset:320 ; 4-byte Folded Spill
	buffer_store_dword v17, off, s[40:43], 0 offset:324 ; 4-byte Folded Spill
	buffer_store_dword v18, off, s[40:43], 0 offset:328 ; 4-byte Folded Spill
	buffer_store_dword v19, off, s[40:43], 0 offset:332 ; 4-byte Folded Spill
	buffer_store_dword v20, off, s[40:43], 0 offset:336 ; 4-byte Folded Spill
	buffer_store_dword v21, off, s[40:43], 0 offset:340 ; 4-byte Folded Spill
	buffer_store_dword v22, off, s[40:43], 0 offset:344 ; 4-byte Folded Spill
	buffer_store_dword v23, off, s[40:43], 0 offset:348 ; 4-byte Folded Spill
	buffer_store_dword v24, off, s[40:43], 0 offset:352 ; 4-byte Folded Spill
	buffer_store_dword v25, off, s[40:43], 0 offset:356 ; 4-byte Folded Spill
	buffer_store_dword v26, off, s[40:43], 0 offset:360 ; 4-byte Folded Spill
	buffer_store_dword v27, off, s[40:43], 0 offset:364 ; 4-byte Folded Spill
	buffer_store_dword v28, off, s[40:43], 0 offset:368 ; 4-byte Folded Spill
	buffer_store_dword v29, off, s[40:43], 0 offset:372 ; 4-byte Folded Spill
	buffer_store_dword v30, off, s[40:43], 0 offset:376 ; 4-byte Folded Spill
	buffer_store_dword v31, off, s[40:43], 0 offset:380 ; 4-byte Folded Spill
	v_mov_b32_e32 v15, 0
	v_mov_b32_e32 v14, 0
	buffer_store_dword v0, off, s[40:43], 0 offset:128 ; 4-byte Folded Spill
	;; [unrolled: 35-line block ×5, first 2 shown]
	s_nop 0
	buffer_store_dword v1, off, s[40:43], 0 offset:644 ; 4-byte Folded Spill
	buffer_store_dword v2, off, s[40:43], 0 offset:648 ; 4-byte Folded Spill
	;; [unrolled: 1-line block ×31, first 2 shown]
	v_mov_b32_e32 v5, 0
	v_mov_b32_e32 v4, 0
	s_and_saveexec_b64 s[2:3], s[0:1]
	s_cbranch_execz .LBB66_10
; %bb.9:
	s_load_dwordx2 s[38:39], s[4:5], 0x38
	s_load_dwordx2 s[36:37], s[4:5], 0x20
	s_mul_hi_i32 s29, s19, s6
	s_mul_i32 s28, s19, s6
	s_lshl_b64 s[28:29], s[28:29], 1
	s_waitcnt lgkmcnt(0)
	s_add_u32 s28, s38, s28
	s_addc_u32 s14, s39, s29
	s_mov_b32 s31, 0x20000
	s_and_b32 s29, s14, 0xffff
	v_lshlrev_b32_e32 v50, 1, v68
	s_movk_i32 s17, 0x400
	s_movk_i32 s14, 0x800
	buffer_load_dwordx4 v[10:13], v50, s[28:31], s17 offen glc slc
	buffer_load_dwordx4 v[6:9], v50, s[28:31], s14 offen glc slc
	;; [unrolled: 1-line block ×3, first 2 shown]
	s_waitcnt vmcnt(62)
	v_cvt_f32_u32_sdwa v25, v111 dst_sel:DWORD dst_unused:UNUSED_PAD src0_sel:WORD_1
	v_cvt_f32_u32_sdwa v24, v111 dst_sel:DWORD dst_unused:UNUSED_PAD src0_sel:WORD_0
	v_cvt_f32_u32_sdwa v29, v124 dst_sel:DWORD dst_unused:UNUSED_PAD src0_sel:WORD_1
	v_cvt_f32_u32_sdwa v28, v124 dst_sel:DWORD dst_unused:UNUSED_PAD src0_sel:WORD_0
	;; [unrolled: 2-line block ×5, first 2 shown]
	s_mul_hi_i32 s27, s26, s6
	s_mul_i32 s26, s26, s6
	v_cvt_f32_u32_sdwa v17, v109 dst_sel:DWORD dst_unused:UNUSED_PAD src0_sel:WORD_1
	v_cvt_f32_u32_sdwa v16, v109 dst_sel:DWORD dst_unused:UNUSED_PAD src0_sel:WORD_0
	v_cvt_f32_u32_sdwa v21, v110 dst_sel:DWORD dst_unused:UNUSED_PAD src0_sel:WORD_1
	v_cvt_f32_u32_sdwa v20, v110 dst_sel:DWORD dst_unused:UNUSED_PAD src0_sel:WORD_0
	;; [unrolled: 2-line block ×5, first 2 shown]
	v_cvt_f32_u32_sdwa v26, v107 dst_sel:DWORD dst_unused:UNUSED_PAD src0_sel:WORD_0
	v_cvt_f32_u32_sdwa v27, v107 dst_sel:DWORD dst_unused:UNUSED_PAD src0_sel:WORD_1
	s_lshl_b64 s[26:27], s[26:27], 1
	s_add_u32 s28, s36, s26
	s_mov_b32 s19, 0x7060302
	s_addc_u32 s26, s37, s27
	s_and_b32 s29, s26, 0xffff
	v_cvt_f32_u32_sdwa v53, v108 dst_sel:DWORD dst_unused:UNUSED_PAD src0_sel:WORD_1
	v_cvt_f32_u32_sdwa v52, v108 dst_sel:DWORD dst_unused:UNUSED_PAD src0_sel:WORD_0
	s_waitcnt vmcnt(1)
	v_cvt_f32_u32_sdwa v43, v7 dst_sel:DWORD dst_unused:UNUSED_PAD src0_sel:WORD_1
	v_cvt_f32_u32_sdwa v37, v10 dst_sel:DWORD dst_unused:UNUSED_PAD src0_sel:WORD_1
	v_cvt_f32_u32_sdwa v36, v10 dst_sel:DWORD dst_unused:UNUSED_PAD src0_sel:WORD_0
	v_cvt_f32_u32_sdwa v39, v11 dst_sel:DWORD dst_unused:UNUSED_PAD src0_sel:WORD_1
	v_cvt_f32_u32_sdwa v38, v11 dst_sel:DWORD dst_unused:UNUSED_PAD src0_sel:WORD_0
	;; [unrolled: 2-line block ×5, first 2 shown]
	v_cvt_f32_u32_sdwa v42, v7 dst_sel:DWORD dst_unused:UNUSED_PAD src0_sel:WORD_0
	v_cvt_f32_u32_sdwa v47, v8 dst_sel:DWORD dst_unused:UNUSED_PAD src0_sel:WORD_1
	v_cvt_f32_u32_sdwa v46, v8 dst_sel:DWORD dst_unused:UNUSED_PAD src0_sel:WORD_0
	v_cvt_f32_u32_sdwa v48, v9 dst_sel:DWORD dst_unused:UNUSED_PAD src0_sel:WORD_0
	v_cvt_f32_u32_sdwa v49, v9 dst_sel:DWORD dst_unused:UNUSED_PAD src0_sel:WORD_1
	s_waitcnt vmcnt(0)
	v_cvt_f32_u32_sdwa v45, v2 dst_sel:DWORD dst_unused:UNUSED_PAD src0_sel:WORD_1
	v_cvt_f32_u32_sdwa v44, v2 dst_sel:DWORD dst_unused:UNUSED_PAD src0_sel:WORD_0
	v_cvt_f32_u32_sdwa v7, v3 dst_sel:DWORD dst_unused:UNUSED_PAD src0_sel:WORD_1
	v_cvt_f32_u32_sdwa v9, v5 dst_sel:DWORD dst_unused:UNUSED_PAD src0_sel:WORD_1
	v_cvt_f32_u32_sdwa v8, v5 dst_sel:DWORD dst_unused:UNUSED_PAD src0_sel:WORD_0
	v_cvt_f32_u32_sdwa v5, v4 dst_sel:DWORD dst_unused:UNUSED_PAD src0_sel:WORD_1
	v_cvt_f32_u32_sdwa v4, v4 dst_sel:DWORD dst_unused:UNUSED_PAD src0_sel:WORD_0
	v_cvt_f32_u32_sdwa v6, v3 dst_sel:DWORD dst_unused:UNUSED_PAD src0_sel:WORD_0
	v_pk_add_f32 v[78:79], v[34:35], v[8:9]
	v_pk_add_f32 v[34:35], v[28:29], v[44:45]
	v_pk_add_f32 v[70:71], v[32:33], v[4:5]
	v_pk_add_f32 v[4:5], v[30:31], v[6:7]
	v_pk_add_f32 v[24:25], v[24:25], v[40:41]
	v_perm_b32 v9, v79, v78, s19
	v_perm_b32 v8, v71, v70, s19
	;; [unrolled: 1-line block ×4, first 2 shown]
	v_pk_mov_b32 v[28:29], v[24:25], v[24:25] op_sel:[0,1]
	buffer_store_dwordx4 v[6:9], v50, s[28:31], 0 offen glc slc
	buffer_store_dword v14, off, s[40:43], 0 offset:128 ; 4-byte Folded Spill
	s_nop 0
	buffer_store_dword v15, off, s[40:43], 0 offset:132 ; 4-byte Folded Spill
	buffer_store_dword v16, off, s[40:43], 0 offset:136 ; 4-byte Folded Spill
	;; [unrolled: 1-line block ×31, first 2 shown]
	v_pk_add_f32 v[20:21], v[20:21], v[10:11]
	v_perm_b32 v9, v25, v24, s19
	v_pk_mov_b32 v[24:25], v[20:21], v[20:21] op_sel:[0,1]
	buffer_store_dword v12, off, s[40:43], 0 offset:384 ; 4-byte Folded Spill
	s_nop 0
	buffer_store_dword v13, off, s[40:43], 0 offset:388 ; 4-byte Folded Spill
	buffer_store_dword v14, off, s[40:43], 0 offset:392 ; 4-byte Folded Spill
	;; [unrolled: 1-line block ×31, first 2 shown]
	v_pk_add_f32 v[10:11], v[16:17], v[38:39]
	v_perm_b32 v8, v21, v20, s19
	v_pk_mov_b32 v[16:17], v[10:11], v[10:11] op_sel:[0,1]
	buffer_store_dword v6, off, s[40:43], 0 offset:512 ; 4-byte Folded Spill
	s_nop 0
	buffer_store_dword v7, off, s[40:43], 0 offset:516 ; 4-byte Folded Spill
	buffer_store_dword v8, off, s[40:43], 0 offset:520 ; 4-byte Folded Spill
	;; [unrolled: 1-line block ×31, first 2 shown]
	v_perm_b32 v7, v11, v10, s19
	v_pk_add_f32 v[10:11], v[52:53], v[36:37]
	v_pk_mov_b32 v[16:17], v[10:11], v[10:11] op_sel:[0,1]
	buffer_store_dword v8, off, s[40:43], 0 offset:640 ; 4-byte Folded Spill
	s_nop 0
	buffer_store_dword v9, off, s[40:43], 0 offset:644 ; 4-byte Folded Spill
	buffer_store_dword v10, off, s[40:43], 0 offset:648 ; 4-byte Folded Spill
	;; [unrolled: 1-line block ×31, first 2 shown]
	;;#ASMSTART
	s_nop 0
	;;#ASMEND
	v_perm_b32 v6, v11, v10, s19
	v_pk_add_f32 v[28:29], v[26:27], v[48:49]
	v_pk_add_f32 v[20:21], v[22:23], v[46:47]
	buffer_store_dwordx4 v[6:9], v50, s[28:31], s17 offen glc slc
	v_perm_b32 v9, v29, v28, s19
	v_pk_mov_b32 v[22:23], v[20:21], v[20:21] op_sel:[0,1]
	buffer_store_dword v2, off, s[40:43], 0 offset:768 ; 4-byte Folded Spill
	s_nop 0
	buffer_store_dword v3, off, s[40:43], 0 offset:772 ; 4-byte Folded Spill
	buffer_store_dword v4, off, s[40:43], 0 offset:776 ; 4-byte Folded Spill
	;; [unrolled: 1-line block ×31, first 2 shown]
	;;#ASMSTART
	s_nop 0
	;;#ASMEND
	v_pk_add_f32 v[18:19], v[18:19], v[42:43]
	v_perm_b32 v8, v21, v20, s19
	v_pk_mov_b32 v[20:21], v[18:19], v[18:19] op_sel:[0,1]
	buffer_store_dword v2, off, s[40:43], 0 ; 4-byte Folded Spill
	s_nop 0
	buffer_store_dword v3, off, s[40:43], 0 offset:4 ; 4-byte Folded Spill
	buffer_store_dword v4, off, s[40:43], 0 offset:8 ; 4-byte Folded Spill
	;; [unrolled: 1-line block ×31, first 2 shown]
	v_pk_add_f32 v[16:17], v[14:15], v[12:13]
	v_perm_b32 v7, v19, v18, s19
	v_pk_mov_b32 v[18:19], v[16:17], v[16:17] op_sel:[0,1]
	buffer_store_dword v2, off, s[40:43], 0 offset:256 ; 4-byte Folded Spill
	s_nop 0
	buffer_store_dword v3, off, s[40:43], 0 offset:260 ; 4-byte Folded Spill
	buffer_store_dword v4, off, s[40:43], 0 offset:264 ; 4-byte Folded Spill
	;; [unrolled: 1-line block ×31, first 2 shown]
	v_perm_b32 v6, v17, v16, s19
	buffer_store_dwordx4 v[6:9], v50, s[28:31], s14 offen glc slc
	;;#ASMSTART
	s_nop 0
	;;#ASMEND
.LBB66_10:
	s_or_b64 exec, exec, s[2:3]
.LBB66_11:
	buffer_load_dword v36, off, s[40:43], 0 offset:640 ; 4-byte Folded Reload
	buffer_load_dword v37, off, s[40:43], 0 offset:644 ; 4-byte Folded Reload
	;; [unrolled: 1-line block ×32, first 2 shown]
	v_mul_f32_e32 v2, v35, v35
	v_fmac_f32_e32 v2, v34, v34
	v_fmac_f32_e32 v2, v4, v4
	;; [unrolled: 1-line block ×7, first 2 shown]
	s_waitcnt vmcnt(22)
	v_pk_mov_b32 v[8:9], v[44:45], v[44:45] op_sel:[0,1]
	buffer_load_dword v36, off, s[40:43], 0 offset:512 ; 4-byte Folded Reload
	buffer_load_dword v37, off, s[40:43], 0 offset:516 ; 4-byte Folded Reload
	buffer_load_dword v38, off, s[40:43], 0 offset:520 ; 4-byte Folded Reload
	buffer_load_dword v39, off, s[40:43], 0 offset:524 ; 4-byte Folded Reload
	buffer_load_dword v40, off, s[40:43], 0 offset:528 ; 4-byte Folded Reload
	buffer_load_dword v41, off, s[40:43], 0 offset:532 ; 4-byte Folded Reload
	buffer_load_dword v42, off, s[40:43], 0 offset:536 ; 4-byte Folded Reload
	buffer_load_dword v43, off, s[40:43], 0 offset:540 ; 4-byte Folded Reload
	buffer_load_dword v44, off, s[40:43], 0 offset:544 ; 4-byte Folded Reload
	buffer_load_dword v45, off, s[40:43], 0 offset:548 ; 4-byte Folded Reload
	buffer_load_dword v46, off, s[40:43], 0 offset:552 ; 4-byte Folded Reload
	buffer_load_dword v47, off, s[40:43], 0 offset:556 ; 4-byte Folded Reload
	buffer_load_dword v48, off, s[40:43], 0 offset:560 ; 4-byte Folded Reload
	buffer_load_dword v49, off, s[40:43], 0 offset:564 ; 4-byte Folded Reload
	buffer_load_dword v50, off, s[40:43], 0 offset:568 ; 4-byte Folded Reload
	buffer_load_dword v51, off, s[40:43], 0 offset:572 ; 4-byte Folded Reload
	buffer_load_dword v52, off, s[40:43], 0 offset:576 ; 4-byte Folded Reload
	buffer_load_dword v53, off, s[40:43], 0 offset:580 ; 4-byte Folded Reload
	buffer_load_dword v54, off, s[40:43], 0 offset:584 ; 4-byte Folded Reload
	buffer_load_dword v55, off, s[40:43], 0 offset:588 ; 4-byte Folded Reload
	buffer_load_dword v56, off, s[40:43], 0 offset:592 ; 4-byte Folded Reload
	buffer_load_dword v57, off, s[40:43], 0 offset:596 ; 4-byte Folded Reload
	buffer_load_dword v58, off, s[40:43], 0 offset:600 ; 4-byte Folded Reload
	buffer_load_dword v59, off, s[40:43], 0 offset:604 ; 4-byte Folded Reload
	buffer_load_dword v60, off, s[40:43], 0 offset:608 ; 4-byte Folded Reload
	buffer_load_dword v61, off, s[40:43], 0 offset:612 ; 4-byte Folded Reload
	buffer_load_dword v62, off, s[40:43], 0 offset:616 ; 4-byte Folded Reload
	buffer_load_dword v63, off, s[40:43], 0 offset:620 ; 4-byte Folded Reload
	buffer_load_dword v64, off, s[40:43], 0 offset:624 ; 4-byte Folded Reload
	buffer_load_dword v65, off, s[40:43], 0 offset:628 ; 4-byte Folded Reload
	buffer_load_dword v66, off, s[40:43], 0 offset:632 ; 4-byte Folded Reload
	buffer_load_dword v67, off, s[40:43], 0 offset:636 ; 4-byte Folded Reload
	v_fmac_f32_e32 v2, v8, v8
	v_fmac_f32_e32 v2, v9, v9
	s_waitcnt vmcnt(20)
	v_pk_mov_b32 v[10:11], v[46:47], v[46:47] op_sel:[0,1]
	buffer_load_dword v36, off, s[40:43], 0 offset:384 ; 4-byte Folded Reload
	buffer_load_dword v37, off, s[40:43], 0 offset:388 ; 4-byte Folded Reload
	buffer_load_dword v38, off, s[40:43], 0 offset:392 ; 4-byte Folded Reload
	buffer_load_dword v39, off, s[40:43], 0 offset:396 ; 4-byte Folded Reload
	buffer_load_dword v40, off, s[40:43], 0 offset:400 ; 4-byte Folded Reload
	buffer_load_dword v41, off, s[40:43], 0 offset:404 ; 4-byte Folded Reload
	buffer_load_dword v42, off, s[40:43], 0 offset:408 ; 4-byte Folded Reload
	buffer_load_dword v43, off, s[40:43], 0 offset:412 ; 4-byte Folded Reload
	buffer_load_dword v44, off, s[40:43], 0 offset:416 ; 4-byte Folded Reload
	buffer_load_dword v45, off, s[40:43], 0 offset:420 ; 4-byte Folded Reload
	buffer_load_dword v46, off, s[40:43], 0 offset:424 ; 4-byte Folded Reload
	buffer_load_dword v47, off, s[40:43], 0 offset:428 ; 4-byte Folded Reload
	buffer_load_dword v48, off, s[40:43], 0 offset:432 ; 4-byte Folded Reload
	buffer_load_dword v49, off, s[40:43], 0 offset:436 ; 4-byte Folded Reload
	buffer_load_dword v50, off, s[40:43], 0 offset:440 ; 4-byte Folded Reload
	buffer_load_dword v51, off, s[40:43], 0 offset:444 ; 4-byte Folded Reload
	buffer_load_dword v52, off, s[40:43], 0 offset:448 ; 4-byte Folded Reload
	buffer_load_dword v53, off, s[40:43], 0 offset:452 ; 4-byte Folded Reload
	buffer_load_dword v54, off, s[40:43], 0 offset:456 ; 4-byte Folded Reload
	buffer_load_dword v55, off, s[40:43], 0 offset:460 ; 4-byte Folded Reload
	buffer_load_dword v56, off, s[40:43], 0 offset:464 ; 4-byte Folded Reload
	buffer_load_dword v57, off, s[40:43], 0 offset:468 ; 4-byte Folded Reload
	buffer_load_dword v58, off, s[40:43], 0 offset:472 ; 4-byte Folded Reload
	buffer_load_dword v59, off, s[40:43], 0 offset:476 ; 4-byte Folded Reload
	buffer_load_dword v60, off, s[40:43], 0 offset:480 ; 4-byte Folded Reload
	buffer_load_dword v61, off, s[40:43], 0 offset:484 ; 4-byte Folded Reload
	buffer_load_dword v62, off, s[40:43], 0 offset:488 ; 4-byte Folded Reload
	buffer_load_dword v63, off, s[40:43], 0 offset:492 ; 4-byte Folded Reload
	buffer_load_dword v64, off, s[40:43], 0 offset:496 ; 4-byte Folded Reload
	buffer_load_dword v65, off, s[40:43], 0 offset:500 ; 4-byte Folded Reload
	buffer_load_dword v66, off, s[40:43], 0 offset:504 ; 4-byte Folded Reload
	buffer_load_dword v67, off, s[40:43], 0 offset:508 ; 4-byte Folded Reload
	v_fmac_f32_e32 v2, v10, v10
	v_fmac_f32_e32 v2, v11, v11
	;; [unrolled: 36-line block ×4, first 2 shown]
	s_waitcnt vmcnt(14)
	v_pk_mov_b32 v[16:17], v[52:53], v[52:53] op_sel:[0,1]
	buffer_load_dword v36, off, s[40:43], 0 ; 4-byte Folded Reload
	buffer_load_dword v37, off, s[40:43], 0 offset:4 ; 4-byte Folded Reload
	buffer_load_dword v38, off, s[40:43], 0 offset:8 ; 4-byte Folded Reload
	;; [unrolled: 1-line block ×63, first 2 shown]
	v_fmac_f32_e32 v2, v16, v16
	v_fmac_f32_e32 v2, v17, v17
	s_waitcnt vmcnt(44)
	v_pk_mov_b32 v[18:19], v[54:55], v[54:55] op_sel:[0,1]
	v_fmac_f32_e32 v2, v18, v18
	v_fmac_f32_e32 v2, v19, v19
	s_waitcnt vmcnt(10)
	v_pk_mov_b32 v[26:27], v[100:101], v[100:101] op_sel:[0,1]
	v_fmac_f32_e32 v2, v26, v26
	v_fmac_f32_e32 v2, v27, v27
	;; [unrolled: 1-line block ×4, first 2 shown]
	s_nop 1
	v_mov_b32_dpp v3, v2 quad_perm:[1,0,3,2] row_mask:0xf bank_mask:0xf
	v_add_f32_e32 v2, v2, v3
	s_nop 1
	v_mov_b32_dpp v3, v2 quad_perm:[2,3,0,1] row_mask:0xf bank_mask:0xf
	v_add_f32_e32 v2, v2, v3
	s_nop 1
	v_mov_b32_dpp v3, v2 row_half_mirror row_mask:0xf bank_mask:0xf
	v_add_f32_e32 v2, v2, v3
	s_nop 1
	v_mov_b32_dpp v3, v2 row_mirror row_mask:0xf bank_mask:0xf
	v_add_f32_e32 v2, v2, v3
	s_nop 1
	v_mov_b32_dpp v3, v2 row_bcast:15 row_mask:0xf bank_mask:0xf
	v_add_f32_e32 v2, v2, v3
	v_and_b32_e32 v3, 63, v0
	v_cmp_eq_u32_e64 s[2:3], 63, v3
	s_nop 0
	v_mov_b32_dpp v3, v2 row_bcast:31 row_mask:0xf bank_mask:0xf
	s_waitcnt lgkmcnt(0)
	s_and_saveexec_b64 s[26:27], s[2:3]
	s_cbranch_execz .LBB66_13
; %bb.12:
	v_add_f32_e32 v2, v2, v3
	v_lshrrev_b32_e32 v3, 4, v0
	v_and_b32_e32 v3, 60, v3
	ds_write_b32 v3, v2 offset:32
.LBB66_13:
	s_or_b64 exec, exec, s[26:27]
	v_and_b32_e32 v2, 3, v0
	v_lshlrev_b32_e32 v48, 2, v2
	s_waitcnt lgkmcnt(0)
	s_barrier
	ds_read_b32 v2, v48 offset:32
	s_load_dwordx2 s[26:27], s[4:5], 0x18
	s_waitcnt lgkmcnt(0)
	v_mov_b32_dpp v3, v2 quad_perm:[1,0,3,2] row_mask:0xf bank_mask:0xf
	v_add_f32_e32 v2, v2, v3
	s_nop 1
	v_mov_b32_dpp v3, v2 quad_perm:[2,3,0,1] row_mask:0xf bank_mask:0xf
	s_and_saveexec_b64 s[28:29], s[0:1]
	s_cbranch_execnz .LBB66_18
; %bb.14:
	s_or_b64 exec, exec, s[28:29]
	s_mov_b64 s[8:9], -1
	s_and_b64 vcc, exec, s[22:23]
	s_cbranch_vccnz .LBB66_19
.LBB66_15:
	s_andn2_b64 vcc, exec, s[8:9]
	s_cbranch_vccz .LBB66_22
.LBB66_16:
	s_cmp_lt_i32 s16, 1
	s_cbranch_scc0 .LBB66_33
.LBB66_17:
	s_endpgm
.LBB66_18:
	v_add_f32_e32 v2, v2, v3
	v_cvt_f32_u32_e32 v3, s7
	s_mov_b32 s7, 0x800000
	v_cvt_f32_u32_sdwa v31, v123 dst_sel:DWORD dst_unused:UNUSED_PAD src0_sel:WORD_1
	v_cvt_f32_u32_sdwa v30, v123 dst_sel:DWORD dst_unused:UNUSED_PAD src0_sel:WORD_0
	v_div_scale_f32 v6, s[36:37], v3, v3, v2
	v_rcp_f32_e32 v7, v6
	v_cvt_f32_u32_sdwa v33, v116 dst_sel:DWORD dst_unused:UNUSED_PAD src0_sel:WORD_1
	v_cvt_f32_u32_sdwa v32, v116 dst_sel:DWORD dst_unused:UNUSED_PAD src0_sel:WORD_0
	v_cvt_f32_u32_sdwa v37, v117 dst_sel:DWORD dst_unused:UNUSED_PAD src0_sel:WORD_1
	v_fma_f32 v8, -v6, v7, 1.0
	v_fmac_f32_e32 v7, v8, v7
	v_div_scale_f32 v8, vcc, v2, v3, v2
	v_mul_f32_e32 v9, v8, v7
	v_fma_f32 v10, -v6, v9, v8
	v_fmac_f32_e32 v9, v10, v7
	v_fma_f32 v6, -v6, v9, v8
	v_div_fmas_f32 v6, v6, v7, v9
	v_div_fixup_f32 v2, v6, v3, v2
	v_mov_b32_e32 v3, s13
	v_mov_b32_e32 v6, s12
	v_cndmask_b32_e64 v3, v3, v6, s[8:9]
	v_add_f32_e32 v2, v3, v2
	v_mul_f32_e32 v3, 0x4b800000, v2
	v_cmp_gt_f32_e32 vcc, s7, v2
	v_cndmask_b32_e32 v2, v2, v3, vcc
	v_rsq_f32_e32 v2, v2
	v_cvt_f32_u32_sdwa v36, v117 dst_sel:DWORD dst_unused:UNUSED_PAD src0_sel:WORD_0
	v_cvt_f32_u32_sdwa v39, v118 dst_sel:DWORD dst_unused:UNUSED_PAD src0_sel:WORD_1
	v_cvt_f32_u32_sdwa v38, v118 dst_sel:DWORD dst_unused:UNUSED_PAD src0_sel:WORD_0
	v_mul_f32_e32 v3, 0x45800000, v2
	v_cndmask_b32_e32 v10, v2, v3, vcc
	v_mov_b32_e32 v11, v10
	;;#ASMSTART
	v_pk_mul_f32 v[12:13], v[34:35], v[10:11]
	;;#ASMEND
	;;#ASMSTART
	v_pk_mul_f32 v[2:3], v[4:5], v[10:11]
	;;#ASMEND
	;; [unrolled: 3-line block ×4, first 2 shown]
	buffer_load_dword v70, off, s[40:43], 0 offset:640 ; 4-byte Folded Reload
	buffer_load_dword v71, off, s[40:43], 0 offset:644 ; 4-byte Folded Reload
	;; [unrolled: 1-line block ×32, first 2 shown]
	v_cvt_f32_u32_sdwa v5, v120 dst_sel:DWORD dst_unused:UNUSED_PAD src0_sel:WORD_1
	v_cvt_f32_u32_sdwa v4, v120 dst_sel:DWORD dst_unused:UNUSED_PAD src0_sel:WORD_0
	v_cvt_f32_u32_sdwa v41, v119 dst_sel:DWORD dst_unused:UNUSED_PAD src0_sel:WORD_1
	v_cvt_f32_u32_sdwa v40, v119 dst_sel:DWORD dst_unused:UNUSED_PAD src0_sel:WORD_0
	v_cvt_f32_u32_sdwa v43, v112 dst_sel:DWORD dst_unused:UNUSED_PAD src0_sel:WORD_1
	v_pk_add_f32 v[4:5], v[4:5], 1.0 op_sel_hi:[1,0]
	v_cvt_f32_u32_sdwa v42, v112 dst_sel:DWORD dst_unused:UNUSED_PAD src0_sel:WORD_0
	v_cvt_f32_u32_sdwa v45, v113 dst_sel:DWORD dst_unused:UNUSED_PAD src0_sel:WORD_1
	v_cvt_f32_u32_sdwa v44, v113 dst_sel:DWORD dst_unused:UNUSED_PAD src0_sel:WORD_0
	v_cvt_f32_u32_sdwa v47, v114 dst_sel:DWORD dst_unused:UNUSED_PAD src0_sel:WORD_1
	v_cvt_f32_u32_sdwa v46, v114 dst_sel:DWORD dst_unused:UNUSED_PAD src0_sel:WORD_0
	v_cvt_f32_u32_sdwa v51, v115 dst_sel:DWORD dst_unused:UNUSED_PAD src0_sel:WORD_1
	v_cvt_f32_u32_sdwa v50, v115 dst_sel:DWORD dst_unused:UNUSED_PAD src0_sel:WORD_0
	s_waitcnt vmcnt(22)
	;;#ASMSTART
	v_pk_mul_f32 v[14:15], v[78:79], v[10:11]
	;;#ASMEND
	buffer_load_dword v70, off, s[40:43], 0 offset:512 ; 4-byte Folded Reload
	buffer_load_dword v71, off, s[40:43], 0 offset:516 ; 4-byte Folded Reload
	buffer_load_dword v72, off, s[40:43], 0 offset:520 ; 4-byte Folded Reload
	buffer_load_dword v73, off, s[40:43], 0 offset:524 ; 4-byte Folded Reload
	buffer_load_dword v74, off, s[40:43], 0 offset:528 ; 4-byte Folded Reload
	buffer_load_dword v75, off, s[40:43], 0 offset:532 ; 4-byte Folded Reload
	buffer_load_dword v76, off, s[40:43], 0 offset:536 ; 4-byte Folded Reload
	buffer_load_dword v77, off, s[40:43], 0 offset:540 ; 4-byte Folded Reload
	buffer_load_dword v78, off, s[40:43], 0 offset:544 ; 4-byte Folded Reload
	buffer_load_dword v79, off, s[40:43], 0 offset:548 ; 4-byte Folded Reload
	buffer_load_dword v80, off, s[40:43], 0 offset:552 ; 4-byte Folded Reload
	buffer_load_dword v81, off, s[40:43], 0 offset:556 ; 4-byte Folded Reload
	buffer_load_dword v82, off, s[40:43], 0 offset:560 ; 4-byte Folded Reload
	buffer_load_dword v83, off, s[40:43], 0 offset:564 ; 4-byte Folded Reload
	buffer_load_dword v84, off, s[40:43], 0 offset:568 ; 4-byte Folded Reload
	buffer_load_dword v85, off, s[40:43], 0 offset:572 ; 4-byte Folded Reload
	buffer_load_dword v86, off, s[40:43], 0 offset:576 ; 4-byte Folded Reload
	buffer_load_dword v87, off, s[40:43], 0 offset:580 ; 4-byte Folded Reload
	buffer_load_dword v88, off, s[40:43], 0 offset:584 ; 4-byte Folded Reload
	buffer_load_dword v89, off, s[40:43], 0 offset:588 ; 4-byte Folded Reload
	buffer_load_dword v90, off, s[40:43], 0 offset:592 ; 4-byte Folded Reload
	buffer_load_dword v91, off, s[40:43], 0 offset:596 ; 4-byte Folded Reload
	buffer_load_dword v92, off, s[40:43], 0 offset:600 ; 4-byte Folded Reload
	buffer_load_dword v93, off, s[40:43], 0 offset:604 ; 4-byte Folded Reload
	buffer_load_dword v94, off, s[40:43], 0 offset:608 ; 4-byte Folded Reload
	buffer_load_dword v95, off, s[40:43], 0 offset:612 ; 4-byte Folded Reload
	buffer_load_dword v96, off, s[40:43], 0 offset:616 ; 4-byte Folded Reload
	buffer_load_dword v97, off, s[40:43], 0 offset:620 ; 4-byte Folded Reload
	buffer_load_dword v98, off, s[40:43], 0 offset:624 ; 4-byte Folded Reload
	buffer_load_dword v99, off, s[40:43], 0 offset:628 ; 4-byte Folded Reload
	buffer_load_dword v100, off, s[40:43], 0 offset:632 ; 4-byte Folded Reload
	buffer_load_dword v101, off, s[40:43], 0 offset:636 ; 4-byte Folded Reload
	s_waitcnt vmcnt(20)
	;;#ASMSTART
	v_pk_mul_f32 v[16:17], v[80:81], v[10:11]
	;;#ASMEND
	buffer_load_dword v70, off, s[40:43], 0 offset:384 ; 4-byte Folded Reload
	buffer_load_dword v71, off, s[40:43], 0 offset:388 ; 4-byte Folded Reload
	buffer_load_dword v72, off, s[40:43], 0 offset:392 ; 4-byte Folded Reload
	buffer_load_dword v73, off, s[40:43], 0 offset:396 ; 4-byte Folded Reload
	buffer_load_dword v74, off, s[40:43], 0 offset:400 ; 4-byte Folded Reload
	buffer_load_dword v75, off, s[40:43], 0 offset:404 ; 4-byte Folded Reload
	buffer_load_dword v76, off, s[40:43], 0 offset:408 ; 4-byte Folded Reload
	buffer_load_dword v77, off, s[40:43], 0 offset:412 ; 4-byte Folded Reload
	buffer_load_dword v78, off, s[40:43], 0 offset:416 ; 4-byte Folded Reload
	buffer_load_dword v79, off, s[40:43], 0 offset:420 ; 4-byte Folded Reload
	buffer_load_dword v80, off, s[40:43], 0 offset:424 ; 4-byte Folded Reload
	buffer_load_dword v81, off, s[40:43], 0 offset:428 ; 4-byte Folded Reload
	buffer_load_dword v82, off, s[40:43], 0 offset:432 ; 4-byte Folded Reload
	buffer_load_dword v83, off, s[40:43], 0 offset:436 ; 4-byte Folded Reload
	buffer_load_dword v84, off, s[40:43], 0 offset:440 ; 4-byte Folded Reload
	buffer_load_dword v85, off, s[40:43], 0 offset:444 ; 4-byte Folded Reload
	buffer_load_dword v86, off, s[40:43], 0 offset:448 ; 4-byte Folded Reload
	buffer_load_dword v87, off, s[40:43], 0 offset:452 ; 4-byte Folded Reload
	buffer_load_dword v88, off, s[40:43], 0 offset:456 ; 4-byte Folded Reload
	buffer_load_dword v89, off, s[40:43], 0 offset:460 ; 4-byte Folded Reload
	buffer_load_dword v90, off, s[40:43], 0 offset:464 ; 4-byte Folded Reload
	buffer_load_dword v91, off, s[40:43], 0 offset:468 ; 4-byte Folded Reload
	buffer_load_dword v92, off, s[40:43], 0 offset:472 ; 4-byte Folded Reload
	buffer_load_dword v93, off, s[40:43], 0 offset:476 ; 4-byte Folded Reload
	buffer_load_dword v94, off, s[40:43], 0 offset:480 ; 4-byte Folded Reload
	buffer_load_dword v95, off, s[40:43], 0 offset:484 ; 4-byte Folded Reload
	buffer_load_dword v96, off, s[40:43], 0 offset:488 ; 4-byte Folded Reload
	buffer_load_dword v97, off, s[40:43], 0 offset:492 ; 4-byte Folded Reload
	buffer_load_dword v98, off, s[40:43], 0 offset:496 ; 4-byte Folded Reload
	buffer_load_dword v99, off, s[40:43], 0 offset:500 ; 4-byte Folded Reload
	buffer_load_dword v100, off, s[40:43], 0 offset:504 ; 4-byte Folded Reload
	buffer_load_dword v101, off, s[40:43], 0 offset:508 ; 4-byte Folded Reload
	;; [unrolled: 36-line block ×4, first 2 shown]
	s_waitcnt vmcnt(14)
	;;#ASMSTART
	v_pk_mul_f32 v[22:23], v[86:87], v[10:11]
	;;#ASMEND
	buffer_load_dword v70, off, s[40:43], 0 ; 4-byte Folded Reload
	buffer_load_dword v71, off, s[40:43], 0 offset:4 ; 4-byte Folded Reload
	buffer_load_dword v72, off, s[40:43], 0 offset:8 ; 4-byte Folded Reload
	;; [unrolled: 1-line block ×31, first 2 shown]
	s_waitcnt vmcnt(12)
	;;#ASMSTART
	v_pk_mul_f32 v[24:25], v[88:89], v[10:11]
	;;#ASMEND
	;;#ASMSTART
	v_pk_mul_f32 v[26:27], v[26:27], v[10:11]
	;;#ASMEND
	;; [unrolled: 3-line block ×3, first 2 shown]
	v_cvt_f32_u32_sdwa v11, v121 dst_sel:DWORD dst_unused:UNUSED_PAD src0_sel:WORD_1
	v_cvt_f32_u32_sdwa v10, v121 dst_sel:DWORD dst_unused:UNUSED_PAD src0_sel:WORD_0
	v_cvt_f32_u32_sdwa v29, v122 dst_sel:DWORD dst_unused:UNUSED_PAD src0_sel:WORD_1
	v_cvt_f32_u32_sdwa v28, v122 dst_sel:DWORD dst_unused:UNUSED_PAD src0_sel:WORD_0
	;;#ASMSTART
	v_pk_mul_f32 v[34:35], v[12:13], v[4:5]
	;;#ASMEND
	v_pk_add_f32 v[4:5], v[10:11], 1.0 op_sel_hi:[1,0]
	v_pk_add_f32 v[12:13], v[30:31], 1.0 op_sel_hi:[1,0]
	;; [unrolled: 1-line block ×5, first 2 shown]
	;;#ASMSTART
	v_pk_mul_f32 v[4:5], v[2:3], v[4:5]
	;;#ASMEND
	;;#ASMSTART
	v_pk_mul_f32 v[70:71], v[6:7], v[10:11]
	;;#ASMEND
	;; [unrolled: 3-line block ×4, first 2 shown]
	buffer_store_dword v0, off, s[40:43], 0 offset:640 ; 4-byte Folded Spill
	s_nop 0
	buffer_store_dword v1, off, s[40:43], 0 offset:644 ; 4-byte Folded Spill
	buffer_store_dword v2, off, s[40:43], 0 offset:648 ; 4-byte Folded Spill
	;; [unrolled: 1-line block ×31, first 2 shown]
	v_pk_add_f32 v[32:33], v[38:39], 1.0 op_sel_hi:[1,0]
	v_pk_add_f32 v[36:37], v[40:41], 1.0 op_sel_hi:[1,0]
	;; [unrolled: 1-line block ×6, first 2 shown]
	;;#ASMSTART
	v_pk_mul_f32 v[10:11], v[16:17], v[30:31]
	;;#ASMEND
	buffer_store_dword v0, off, s[40:43], 0 offset:512 ; 4-byte Folded Spill
	s_nop 0
	buffer_store_dword v1, off, s[40:43], 0 offset:516 ; 4-byte Folded Spill
	buffer_store_dword v2, off, s[40:43], 0 offset:520 ; 4-byte Folded Spill
	buffer_store_dword v3, off, s[40:43], 0 offset:524 ; 4-byte Folded Spill
	buffer_store_dword v4, off, s[40:43], 0 offset:528 ; 4-byte Folded Spill
	buffer_store_dword v5, off, s[40:43], 0 offset:532 ; 4-byte Folded Spill
	buffer_store_dword v6, off, s[40:43], 0 offset:536 ; 4-byte Folded Spill
	buffer_store_dword v7, off, s[40:43], 0 offset:540 ; 4-byte Folded Spill
	buffer_store_dword v8, off, s[40:43], 0 offset:544 ; 4-byte Folded Spill
	buffer_store_dword v9, off, s[40:43], 0 offset:548 ; 4-byte Folded Spill
	buffer_store_dword v10, off, s[40:43], 0 offset:552 ; 4-byte Folded Spill
	buffer_store_dword v11, off, s[40:43], 0 offset:556 ; 4-byte Folded Spill
	buffer_store_dword v12, off, s[40:43], 0 offset:560 ; 4-byte Folded Spill
	buffer_store_dword v13, off, s[40:43], 0 offset:564 ; 4-byte Folded Spill
	buffer_store_dword v14, off, s[40:43], 0 offset:568 ; 4-byte Folded Spill
	buffer_store_dword v15, off, s[40:43], 0 offset:572 ; 4-byte Folded Spill
	buffer_store_dword v16, off, s[40:43], 0 offset:576 ; 4-byte Folded Spill
	buffer_store_dword v17, off, s[40:43], 0 offset:580 ; 4-byte Folded Spill
	buffer_store_dword v18, off, s[40:43], 0 offset:584 ; 4-byte Folded Spill
	buffer_store_dword v19, off, s[40:43], 0 offset:588 ; 4-byte Folded Spill
	buffer_store_dword v20, off, s[40:43], 0 offset:592 ; 4-byte Folded Spill
	buffer_store_dword v21, off, s[40:43], 0 offset:596 ; 4-byte Folded Spill
	buffer_store_dword v22, off, s[40:43], 0 offset:600 ; 4-byte Folded Spill
	buffer_store_dword v23, off, s[40:43], 0 offset:604 ; 4-byte Folded Spill
	buffer_store_dword v24, off, s[40:43], 0 offset:608 ; 4-byte Folded Spill
	buffer_store_dword v25, off, s[40:43], 0 offset:612 ; 4-byte Folded Spill
	buffer_store_dword v26, off, s[40:43], 0 offset:616 ; 4-byte Folded Spill
	buffer_store_dword v27, off, s[40:43], 0 offset:620 ; 4-byte Folded Spill
	buffer_store_dword v28, off, s[40:43], 0 offset:624 ; 4-byte Folded Spill
	buffer_store_dword v29, off, s[40:43], 0 offset:628 ; 4-byte Folded Spill
	buffer_store_dword v30, off, s[40:43], 0 offset:632 ; 4-byte Folded Spill
	buffer_store_dword v31, off, s[40:43], 0 offset:636 ; 4-byte Folded Spill
	;;#ASMSTART
	v_pk_mul_f32 v[12:13], v[18:19], v[32:33]
	;;#ASMEND
	buffer_store_dword v0, off, s[40:43], 0 offset:384 ; 4-byte Folded Spill
	s_nop 0
	buffer_store_dword v1, off, s[40:43], 0 offset:388 ; 4-byte Folded Spill
	buffer_store_dword v2, off, s[40:43], 0 offset:392 ; 4-byte Folded Spill
	buffer_store_dword v3, off, s[40:43], 0 offset:396 ; 4-byte Folded Spill
	buffer_store_dword v4, off, s[40:43], 0 offset:400 ; 4-byte Folded Spill
	buffer_store_dword v5, off, s[40:43], 0 offset:404 ; 4-byte Folded Spill
	buffer_store_dword v6, off, s[40:43], 0 offset:408 ; 4-byte Folded Spill
	buffer_store_dword v7, off, s[40:43], 0 offset:412 ; 4-byte Folded Spill
	buffer_store_dword v8, off, s[40:43], 0 offset:416 ; 4-byte Folded Spill
	buffer_store_dword v9, off, s[40:43], 0 offset:420 ; 4-byte Folded Spill
	buffer_store_dword v10, off, s[40:43], 0 offset:424 ; 4-byte Folded Spill
	buffer_store_dword v11, off, s[40:43], 0 offset:428 ; 4-byte Folded Spill
	buffer_store_dword v12, off, s[40:43], 0 offset:432 ; 4-byte Folded Spill
	buffer_store_dword v13, off, s[40:43], 0 offset:436 ; 4-byte Folded Spill
	buffer_store_dword v14, off, s[40:43], 0 offset:440 ; 4-byte Folded Spill
	buffer_store_dword v15, off, s[40:43], 0 offset:444 ; 4-byte Folded Spill
	buffer_store_dword v16, off, s[40:43], 0 offset:448 ; 4-byte Folded Spill
	buffer_store_dword v17, off, s[40:43], 0 offset:452 ; 4-byte Folded Spill
	buffer_store_dword v18, off, s[40:43], 0 offset:456 ; 4-byte Folded Spill
	buffer_store_dword v19, off, s[40:43], 0 offset:460 ; 4-byte Folded Spill
	buffer_store_dword v20, off, s[40:43], 0 offset:464 ; 4-byte Folded Spill
	buffer_store_dword v21, off, s[40:43], 0 offset:468 ; 4-byte Folded Spill
	buffer_store_dword v22, off, s[40:43], 0 offset:472 ; 4-byte Folded Spill
	buffer_store_dword v23, off, s[40:43], 0 offset:476 ; 4-byte Folded Spill
	buffer_store_dword v24, off, s[40:43], 0 offset:480 ; 4-byte Folded Spill
	buffer_store_dword v25, off, s[40:43], 0 offset:484 ; 4-byte Folded Spill
	buffer_store_dword v26, off, s[40:43], 0 offset:488 ; 4-byte Folded Spill
	buffer_store_dword v27, off, s[40:43], 0 offset:492 ; 4-byte Folded Spill
	buffer_store_dword v28, off, s[40:43], 0 offset:496 ; 4-byte Folded Spill
	buffer_store_dword v29, off, s[40:43], 0 offset:500 ; 4-byte Folded Spill
	buffer_store_dword v30, off, s[40:43], 0 offset:504 ; 4-byte Folded Spill
	buffer_store_dword v31, off, s[40:43], 0 offset:508 ; 4-byte Folded Spill
	;; [unrolled: 36-line block ×4, first 2 shown]
	;;#ASMSTART
	v_pk_mul_f32 v[18:19], v[24:25], v[40:41]
	;;#ASMEND
	buffer_store_dword v0, off, s[40:43], 0 ; 4-byte Folded Spill
	s_nop 0
	buffer_store_dword v1, off, s[40:43], 0 offset:4 ; 4-byte Folded Spill
	buffer_store_dword v2, off, s[40:43], 0 offset:8 ; 4-byte Folded Spill
	;; [unrolled: 1-line block ×31, first 2 shown]
	;;#ASMSTART
	v_pk_mul_f32 v[26:27], v[26:27], v[42:43]
	;;#ASMEND
	;;#ASMSTART
	v_pk_mul_f32 v[28:29], v[52:53], v[46:47]
	;;#ASMEND
	s_or_b64 exec, exec, s[28:29]
	s_mov_b64 s[8:9], -1
	s_and_b64 vcc, exec, s[22:23]
	s_cbranch_vccz .LBB66_15
.LBB66_19:
	s_and_saveexec_b64 s[8:9], s[0:1]
	s_cbranch_execz .LBB66_21
; %bb.20:
	s_mul_hi_i32 s23, s25, s6
	s_mul_i32 s22, s25, s6
	s_lshl_b64 s[22:23], s[22:23], 1
	s_add_u32 s28, s26, s22
	s_addc_u32 s7, s27, s23
	s_and_b32 s29, s7, 0xffff
	s_mov_b32 s7, 0x7060302
	s_mov_b32 s31, 0x20000
	v_perm_b32 v9, v79, v78, s7
	v_perm_b32 v8, v71, v70, s7
	;; [unrolled: 1-line block ×4, first 2 shown]
	v_lshlrev_b32_e32 v2, 1, v68
	buffer_store_dwordx4 v[6:9], v2, s[28:31], 0 offen
	;;#ASMSTART
	s_nop 0
	;;#ASMEND
	buffer_load_dword v80, off, s[40:43], 0 offset:128 ; 4-byte Folded Reload
	buffer_load_dword v81, off, s[40:43], 0 offset:132 ; 4-byte Folded Reload
	;; [unrolled: 1-line block ×32, first 2 shown]
	s_movk_i32 s12, 0x400
	s_waitcnt vmcnt(16)
	v_perm_b32 v9, v95, v94, s7
	buffer_load_dword v80, off, s[40:43], 0 offset:384 ; 4-byte Folded Reload
	buffer_load_dword v81, off, s[40:43], 0 offset:388 ; 4-byte Folded Reload
	buffer_load_dword v82, off, s[40:43], 0 offset:392 ; 4-byte Folded Reload
	buffer_load_dword v83, off, s[40:43], 0 offset:396 ; 4-byte Folded Reload
	buffer_load_dword v84, off, s[40:43], 0 offset:400 ; 4-byte Folded Reload
	buffer_load_dword v85, off, s[40:43], 0 offset:404 ; 4-byte Folded Reload
	buffer_load_dword v86, off, s[40:43], 0 offset:408 ; 4-byte Folded Reload
	buffer_load_dword v87, off, s[40:43], 0 offset:412 ; 4-byte Folded Reload
	buffer_load_dword v88, off, s[40:43], 0 offset:416 ; 4-byte Folded Reload
	buffer_load_dword v89, off, s[40:43], 0 offset:420 ; 4-byte Folded Reload
	buffer_load_dword v90, off, s[40:43], 0 offset:424 ; 4-byte Folded Reload
	buffer_load_dword v91, off, s[40:43], 0 offset:428 ; 4-byte Folded Reload
	buffer_load_dword v92, off, s[40:43], 0 offset:432 ; 4-byte Folded Reload
	buffer_load_dword v93, off, s[40:43], 0 offset:436 ; 4-byte Folded Reload
	buffer_load_dword v94, off, s[40:43], 0 offset:440 ; 4-byte Folded Reload
	buffer_load_dword v95, off, s[40:43], 0 offset:444 ; 4-byte Folded Reload
	buffer_load_dword v96, off, s[40:43], 0 offset:448 ; 4-byte Folded Reload
	buffer_load_dword v97, off, s[40:43], 0 offset:452 ; 4-byte Folded Reload
	buffer_load_dword v98, off, s[40:43], 0 offset:456 ; 4-byte Folded Reload
	buffer_load_dword v99, off, s[40:43], 0 offset:460 ; 4-byte Folded Reload
	buffer_load_dword v100, off, s[40:43], 0 offset:464 ; 4-byte Folded Reload
	buffer_load_dword v101, off, s[40:43], 0 offset:468 ; 4-byte Folded Reload
	buffer_load_dword v102, off, s[40:43], 0 offset:472 ; 4-byte Folded Reload
	buffer_load_dword v103, off, s[40:43], 0 offset:476 ; 4-byte Folded Reload
	buffer_load_dword v104, off, s[40:43], 0 offset:480 ; 4-byte Folded Reload
	buffer_load_dword v105, off, s[40:43], 0 offset:484 ; 4-byte Folded Reload
	buffer_load_dword v106, off, s[40:43], 0 offset:488 ; 4-byte Folded Reload
	buffer_load_dword v107, off, s[40:43], 0 offset:492 ; 4-byte Folded Reload
	buffer_load_dword v108, off, s[40:43], 0 offset:496 ; 4-byte Folded Reload
	buffer_load_dword v109, off, s[40:43], 0 offset:500 ; 4-byte Folded Reload
	buffer_load_dword v110, off, s[40:43], 0 offset:504 ; 4-byte Folded Reload
	buffer_load_dword v111, off, s[40:43], 0 offset:508 ; 4-byte Folded Reload
	s_waitcnt vmcnt(18)
	v_perm_b32 v8, v93, v92, s7
	buffer_load_dword v80, off, s[40:43], 0 offset:512 ; 4-byte Folded Reload
	buffer_load_dword v81, off, s[40:43], 0 offset:516 ; 4-byte Folded Reload
	buffer_load_dword v82, off, s[40:43], 0 offset:520 ; 4-byte Folded Reload
	buffer_load_dword v83, off, s[40:43], 0 offset:524 ; 4-byte Folded Reload
	buffer_load_dword v84, off, s[40:43], 0 offset:528 ; 4-byte Folded Reload
	buffer_load_dword v85, off, s[40:43], 0 offset:532 ; 4-byte Folded Reload
	buffer_load_dword v86, off, s[40:43], 0 offset:536 ; 4-byte Folded Reload
	buffer_load_dword v87, off, s[40:43], 0 offset:540 ; 4-byte Folded Reload
	buffer_load_dword v88, off, s[40:43], 0 offset:544 ; 4-byte Folded Reload
	buffer_load_dword v89, off, s[40:43], 0 offset:548 ; 4-byte Folded Reload
	buffer_load_dword v90, off, s[40:43], 0 offset:552 ; 4-byte Folded Reload
	buffer_load_dword v91, off, s[40:43], 0 offset:556 ; 4-byte Folded Reload
	buffer_load_dword v92, off, s[40:43], 0 offset:560 ; 4-byte Folded Reload
	buffer_load_dword v93, off, s[40:43], 0 offset:564 ; 4-byte Folded Reload
	buffer_load_dword v94, off, s[40:43], 0 offset:568 ; 4-byte Folded Reload
	buffer_load_dword v95, off, s[40:43], 0 offset:572 ; 4-byte Folded Reload
	buffer_load_dword v96, off, s[40:43], 0 offset:576 ; 4-byte Folded Reload
	buffer_load_dword v97, off, s[40:43], 0 offset:580 ; 4-byte Folded Reload
	buffer_load_dword v98, off, s[40:43], 0 offset:584 ; 4-byte Folded Reload
	buffer_load_dword v99, off, s[40:43], 0 offset:588 ; 4-byte Folded Reload
	buffer_load_dword v100, off, s[40:43], 0 offset:592 ; 4-byte Folded Reload
	buffer_load_dword v101, off, s[40:43], 0 offset:596 ; 4-byte Folded Reload
	buffer_load_dword v102, off, s[40:43], 0 offset:600 ; 4-byte Folded Reload
	buffer_load_dword v103, off, s[40:43], 0 offset:604 ; 4-byte Folded Reload
	buffer_load_dword v104, off, s[40:43], 0 offset:608 ; 4-byte Folded Reload
	buffer_load_dword v105, off, s[40:43], 0 offset:612 ; 4-byte Folded Reload
	buffer_load_dword v106, off, s[40:43], 0 offset:616 ; 4-byte Folded Reload
	buffer_load_dword v107, off, s[40:43], 0 offset:620 ; 4-byte Folded Reload
	buffer_load_dword v108, off, s[40:43], 0 offset:624 ; 4-byte Folded Reload
	buffer_load_dword v109, off, s[40:43], 0 offset:628 ; 4-byte Folded Reload
	buffer_load_dword v110, off, s[40:43], 0 offset:632 ; 4-byte Folded Reload
	buffer_load_dword v111, off, s[40:43], 0 offset:636 ; 4-byte Folded Reload
	;; [unrolled: 34-line block ×3, first 2 shown]
	s_waitcnt vmcnt(22)
	v_perm_b32 v6, v89, v88, s7
	buffer_store_dwordx4 v[6:9], v2, s[28:31], s12 offen
	;;#ASMSTART
	s_nop 0
	;;#ASMEND
	buffer_load_dword v80, off, s[40:43], 0 ; 4-byte Folded Reload
	buffer_load_dword v81, off, s[40:43], 0 offset:4 ; 4-byte Folded Reload
	buffer_load_dword v82, off, s[40:43], 0 offset:8 ; 4-byte Folded Reload
	;; [unrolled: 1-line block ×31, first 2 shown]
	v_perm_b32 v9, v29, v28, s7
	v_perm_b32 v8, v27, v26, s7
	s_waitcnt vmcnt(12)
	v_perm_b32 v7, v99, v98, s7
	buffer_load_dword v80, off, s[40:43], 0 offset:256 ; 4-byte Folded Reload
	buffer_load_dword v81, off, s[40:43], 0 offset:260 ; 4-byte Folded Reload
	;; [unrolled: 1-line block ×32, first 2 shown]
	s_waitcnt vmcnt(14)
	v_perm_b32 v6, v97, v96, s7
	s_movk_i32 s7, 0x800
	buffer_store_dwordx4 v[6:9], v2, s[28:31], s7 offen
	;;#ASMSTART
	s_nop 0
	;;#ASMEND
.LBB66_21:
	s_or_b64 exec, exec, s[8:9]
	s_cbranch_execnz .LBB66_16
.LBB66_22:
	v_mov_b32_e32 v2, 0
	s_and_saveexec_b64 s[8:9], s[0:1]
	s_cbranch_execz .LBB66_24
; %bb.23:
	s_load_dwordx2 s[22:23], s[4:5], 0x10
	s_mul_hi_i32 s29, s24, s6
	s_mul_i32 s28, s24, s6
	s_lshl_b64 s[28:29], s[28:29], 1
	s_mov_b32 s31, 0x20000
	s_waitcnt lgkmcnt(0)
	s_add_u32 s28, s22, s28
	s_addc_u32 s7, s23, s29
	s_and_b32 s29, s7, 0xffff
	s_mov_b32 s7, 0x7060302
	v_perm_b32 v9, v79, v78, s7
	v_perm_b32 v8, v71, v70, s7
	;; [unrolled: 1-line block ×4, first 2 shown]
	v_lshlrev_b32_e32 v2, 1, v68
	buffer_store_dwordx4 v[6:9], v2, s[28:31], 0 offen
	;;#ASMSTART
	s_nop 0
	;;#ASMEND
	buffer_load_dword v80, off, s[40:43], 0 offset:128 ; 4-byte Folded Reload
	buffer_load_dword v81, off, s[40:43], 0 offset:132 ; 4-byte Folded Reload
	;; [unrolled: 1-line block ×32, first 2 shown]
	s_movk_i32 s12, 0x400
	s_waitcnt vmcnt(16)
	v_perm_b32 v9, v95, v94, s7
	buffer_load_dword v80, off, s[40:43], 0 offset:384 ; 4-byte Folded Reload
	buffer_load_dword v81, off, s[40:43], 0 offset:388 ; 4-byte Folded Reload
	buffer_load_dword v82, off, s[40:43], 0 offset:392 ; 4-byte Folded Reload
	buffer_load_dword v83, off, s[40:43], 0 offset:396 ; 4-byte Folded Reload
	buffer_load_dword v84, off, s[40:43], 0 offset:400 ; 4-byte Folded Reload
	buffer_load_dword v85, off, s[40:43], 0 offset:404 ; 4-byte Folded Reload
	buffer_load_dword v86, off, s[40:43], 0 offset:408 ; 4-byte Folded Reload
	buffer_load_dword v87, off, s[40:43], 0 offset:412 ; 4-byte Folded Reload
	buffer_load_dword v88, off, s[40:43], 0 offset:416 ; 4-byte Folded Reload
	buffer_load_dword v89, off, s[40:43], 0 offset:420 ; 4-byte Folded Reload
	buffer_load_dword v90, off, s[40:43], 0 offset:424 ; 4-byte Folded Reload
	buffer_load_dword v91, off, s[40:43], 0 offset:428 ; 4-byte Folded Reload
	buffer_load_dword v92, off, s[40:43], 0 offset:432 ; 4-byte Folded Reload
	buffer_load_dword v93, off, s[40:43], 0 offset:436 ; 4-byte Folded Reload
	buffer_load_dword v94, off, s[40:43], 0 offset:440 ; 4-byte Folded Reload
	buffer_load_dword v95, off, s[40:43], 0 offset:444 ; 4-byte Folded Reload
	buffer_load_dword v96, off, s[40:43], 0 offset:448 ; 4-byte Folded Reload
	buffer_load_dword v97, off, s[40:43], 0 offset:452 ; 4-byte Folded Reload
	buffer_load_dword v98, off, s[40:43], 0 offset:456 ; 4-byte Folded Reload
	buffer_load_dword v99, off, s[40:43], 0 offset:460 ; 4-byte Folded Reload
	buffer_load_dword v100, off, s[40:43], 0 offset:464 ; 4-byte Folded Reload
	buffer_load_dword v101, off, s[40:43], 0 offset:468 ; 4-byte Folded Reload
	buffer_load_dword v102, off, s[40:43], 0 offset:472 ; 4-byte Folded Reload
	buffer_load_dword v103, off, s[40:43], 0 offset:476 ; 4-byte Folded Reload
	buffer_load_dword v104, off, s[40:43], 0 offset:480 ; 4-byte Folded Reload
	buffer_load_dword v105, off, s[40:43], 0 offset:484 ; 4-byte Folded Reload
	buffer_load_dword v106, off, s[40:43], 0 offset:488 ; 4-byte Folded Reload
	buffer_load_dword v107, off, s[40:43], 0 offset:492 ; 4-byte Folded Reload
	buffer_load_dword v108, off, s[40:43], 0 offset:496 ; 4-byte Folded Reload
	buffer_load_dword v109, off, s[40:43], 0 offset:500 ; 4-byte Folded Reload
	buffer_load_dword v110, off, s[40:43], 0 offset:504 ; 4-byte Folded Reload
	buffer_load_dword v111, off, s[40:43], 0 offset:508 ; 4-byte Folded Reload
	s_waitcnt vmcnt(18)
	v_perm_b32 v8, v93, v92, s7
	buffer_load_dword v80, off, s[40:43], 0 offset:512 ; 4-byte Folded Reload
	buffer_load_dword v81, off, s[40:43], 0 offset:516 ; 4-byte Folded Reload
	buffer_load_dword v82, off, s[40:43], 0 offset:520 ; 4-byte Folded Reload
	buffer_load_dword v83, off, s[40:43], 0 offset:524 ; 4-byte Folded Reload
	buffer_load_dword v84, off, s[40:43], 0 offset:528 ; 4-byte Folded Reload
	buffer_load_dword v85, off, s[40:43], 0 offset:532 ; 4-byte Folded Reload
	buffer_load_dword v86, off, s[40:43], 0 offset:536 ; 4-byte Folded Reload
	buffer_load_dword v87, off, s[40:43], 0 offset:540 ; 4-byte Folded Reload
	buffer_load_dword v88, off, s[40:43], 0 offset:544 ; 4-byte Folded Reload
	buffer_load_dword v89, off, s[40:43], 0 offset:548 ; 4-byte Folded Reload
	buffer_load_dword v90, off, s[40:43], 0 offset:552 ; 4-byte Folded Reload
	buffer_load_dword v91, off, s[40:43], 0 offset:556 ; 4-byte Folded Reload
	buffer_load_dword v92, off, s[40:43], 0 offset:560 ; 4-byte Folded Reload
	buffer_load_dword v93, off, s[40:43], 0 offset:564 ; 4-byte Folded Reload
	buffer_load_dword v94, off, s[40:43], 0 offset:568 ; 4-byte Folded Reload
	buffer_load_dword v95, off, s[40:43], 0 offset:572 ; 4-byte Folded Reload
	buffer_load_dword v96, off, s[40:43], 0 offset:576 ; 4-byte Folded Reload
	buffer_load_dword v97, off, s[40:43], 0 offset:580 ; 4-byte Folded Reload
	buffer_load_dword v98, off, s[40:43], 0 offset:584 ; 4-byte Folded Reload
	buffer_load_dword v99, off, s[40:43], 0 offset:588 ; 4-byte Folded Reload
	buffer_load_dword v100, off, s[40:43], 0 offset:592 ; 4-byte Folded Reload
	buffer_load_dword v101, off, s[40:43], 0 offset:596 ; 4-byte Folded Reload
	buffer_load_dword v102, off, s[40:43], 0 offset:600 ; 4-byte Folded Reload
	buffer_load_dword v103, off, s[40:43], 0 offset:604 ; 4-byte Folded Reload
	buffer_load_dword v104, off, s[40:43], 0 offset:608 ; 4-byte Folded Reload
	buffer_load_dword v105, off, s[40:43], 0 offset:612 ; 4-byte Folded Reload
	buffer_load_dword v106, off, s[40:43], 0 offset:616 ; 4-byte Folded Reload
	buffer_load_dword v107, off, s[40:43], 0 offset:620 ; 4-byte Folded Reload
	buffer_load_dword v108, off, s[40:43], 0 offset:624 ; 4-byte Folded Reload
	buffer_load_dword v109, off, s[40:43], 0 offset:628 ; 4-byte Folded Reload
	buffer_load_dword v110, off, s[40:43], 0 offset:632 ; 4-byte Folded Reload
	buffer_load_dword v111, off, s[40:43], 0 offset:636 ; 4-byte Folded Reload
	;; [unrolled: 34-line block ×3, first 2 shown]
	s_waitcnt vmcnt(22)
	v_perm_b32 v6, v89, v88, s7
	buffer_store_dwordx4 v[6:9], v2, s[28:31], s12 offen
	;;#ASMSTART
	s_nop 0
	;;#ASMEND
	buffer_load_dword v80, off, s[40:43], 0 ; 4-byte Folded Reload
	buffer_load_dword v81, off, s[40:43], 0 offset:4 ; 4-byte Folded Reload
	buffer_load_dword v82, off, s[40:43], 0 offset:8 ; 4-byte Folded Reload
	buffer_load_dword v83, off, s[40:43], 0 offset:12 ; 4-byte Folded Reload
	buffer_load_dword v84, off, s[40:43], 0 offset:16 ; 4-byte Folded Reload
	buffer_load_dword v85, off, s[40:43], 0 offset:20 ; 4-byte Folded Reload
	buffer_load_dword v86, off, s[40:43], 0 offset:24 ; 4-byte Folded Reload
	buffer_load_dword v87, off, s[40:43], 0 offset:28 ; 4-byte Folded Reload
	buffer_load_dword v88, off, s[40:43], 0 offset:32 ; 4-byte Folded Reload
	buffer_load_dword v89, off, s[40:43], 0 offset:36 ; 4-byte Folded Reload
	buffer_load_dword v90, off, s[40:43], 0 offset:40 ; 4-byte Folded Reload
	buffer_load_dword v91, off, s[40:43], 0 offset:44 ; 4-byte Folded Reload
	buffer_load_dword v92, off, s[40:43], 0 offset:48 ; 4-byte Folded Reload
	buffer_load_dword v93, off, s[40:43], 0 offset:52 ; 4-byte Folded Reload
	buffer_load_dword v94, off, s[40:43], 0 offset:56 ; 4-byte Folded Reload
	buffer_load_dword v95, off, s[40:43], 0 offset:60 ; 4-byte Folded Reload
	buffer_load_dword v96, off, s[40:43], 0 offset:64 ; 4-byte Folded Reload
	buffer_load_dword v97, off, s[40:43], 0 offset:68 ; 4-byte Folded Reload
	buffer_load_dword v98, off, s[40:43], 0 offset:72 ; 4-byte Folded Reload
	buffer_load_dword v99, off, s[40:43], 0 offset:76 ; 4-byte Folded Reload
	buffer_load_dword v100, off, s[40:43], 0 offset:80 ; 4-byte Folded Reload
	buffer_load_dword v101, off, s[40:43], 0 offset:84 ; 4-byte Folded Reload
	buffer_load_dword v102, off, s[40:43], 0 offset:88 ; 4-byte Folded Reload
	buffer_load_dword v103, off, s[40:43], 0 offset:92 ; 4-byte Folded Reload
	buffer_load_dword v104, off, s[40:43], 0 offset:96 ; 4-byte Folded Reload
	buffer_load_dword v105, off, s[40:43], 0 offset:100 ; 4-byte Folded Reload
	buffer_load_dword v106, off, s[40:43], 0 offset:104 ; 4-byte Folded Reload
	buffer_load_dword v107, off, s[40:43], 0 offset:108 ; 4-byte Folded Reload
	buffer_load_dword v108, off, s[40:43], 0 offset:112 ; 4-byte Folded Reload
	buffer_load_dword v109, off, s[40:43], 0 offset:116 ; 4-byte Folded Reload
	buffer_load_dword v110, off, s[40:43], 0 offset:120 ; 4-byte Folded Reload
	buffer_load_dword v111, off, s[40:43], 0 offset:124 ; 4-byte Folded Reload
	v_perm_b32 v9, v29, v28, s7
	v_perm_b32 v8, v27, v26, s7
	s_waitcnt vmcnt(12)
	v_perm_b32 v7, v99, v98, s7
	buffer_load_dword v80, off, s[40:43], 0 offset:256 ; 4-byte Folded Reload
	buffer_load_dword v81, off, s[40:43], 0 offset:260 ; 4-byte Folded Reload
	;; [unrolled: 1-line block ×32, first 2 shown]
	s_waitcnt vmcnt(14)
	v_perm_b32 v6, v97, v96, s7
	s_movk_i32 s7, 0x800
	buffer_store_dwordx4 v[6:9], v2, s[28:31], s7 offen
	v_mov_b32_e32 v2, 0x2edbe6ff
	;;#ASMSTART
	s_nop 0
	;;#ASMEND
.LBB66_24:
	s_or_b64 exec, exec, s[8:9]
	s_and_saveexec_b64 s[8:9], s[0:1]
	s_cbranch_execz .LBB66_26
; %bb.25:
	v_and_b32_e32 v3, 0x7fffffff, v34
	v_and_b32_e32 v6, 0x7fffffff, v35
	;;#ASMSTART
	v_max3_f32 v2, v2, v3, v6

	;;#ASMEND
	v_and_b32_e32 v3, 0x7fffffff, v4
	v_and_b32_e32 v6, 0x7fffffff, v5
	;;#ASMSTART
	v_max3_f32 v2, v2, v3, v6

	;;#ASMEND
	;; [unrolled: 6-line block ×4, first 2 shown]
	buffer_load_dword v80, off, s[40:43], 0 offset:640 ; 4-byte Folded Reload
	buffer_load_dword v81, off, s[40:43], 0 offset:644 ; 4-byte Folded Reload
	buffer_load_dword v82, off, s[40:43], 0 offset:648 ; 4-byte Folded Reload
	buffer_load_dword v83, off, s[40:43], 0 offset:652 ; 4-byte Folded Reload
	buffer_load_dword v84, off, s[40:43], 0 offset:656 ; 4-byte Folded Reload
	buffer_load_dword v85, off, s[40:43], 0 offset:660 ; 4-byte Folded Reload
	buffer_load_dword v86, off, s[40:43], 0 offset:664 ; 4-byte Folded Reload
	buffer_load_dword v87, off, s[40:43], 0 offset:668 ; 4-byte Folded Reload
	buffer_load_dword v88, off, s[40:43], 0 offset:672 ; 4-byte Folded Reload
	buffer_load_dword v89, off, s[40:43], 0 offset:676 ; 4-byte Folded Reload
	buffer_load_dword v90, off, s[40:43], 0 offset:680 ; 4-byte Folded Reload
	buffer_load_dword v91, off, s[40:43], 0 offset:684 ; 4-byte Folded Reload
	buffer_load_dword v92, off, s[40:43], 0 offset:688 ; 4-byte Folded Reload
	buffer_load_dword v93, off, s[40:43], 0 offset:692 ; 4-byte Folded Reload
	buffer_load_dword v94, off, s[40:43], 0 offset:696 ; 4-byte Folded Reload
	buffer_load_dword v95, off, s[40:43], 0 offset:700 ; 4-byte Folded Reload
	buffer_load_dword v96, off, s[40:43], 0 offset:704 ; 4-byte Folded Reload
	buffer_load_dword v97, off, s[40:43], 0 offset:708 ; 4-byte Folded Reload
	buffer_load_dword v98, off, s[40:43], 0 offset:712 ; 4-byte Folded Reload
	buffer_load_dword v99, off, s[40:43], 0 offset:716 ; 4-byte Folded Reload
	buffer_load_dword v100, off, s[40:43], 0 offset:720 ; 4-byte Folded Reload
	buffer_load_dword v101, off, s[40:43], 0 offset:724 ; 4-byte Folded Reload
	buffer_load_dword v102, off, s[40:43], 0 offset:728 ; 4-byte Folded Reload
	buffer_load_dword v103, off, s[40:43], 0 offset:732 ; 4-byte Folded Reload
	buffer_load_dword v104, off, s[40:43], 0 offset:736 ; 4-byte Folded Reload
	buffer_load_dword v105, off, s[40:43], 0 offset:740 ; 4-byte Folded Reload
	buffer_load_dword v106, off, s[40:43], 0 offset:744 ; 4-byte Folded Reload
	buffer_load_dword v107, off, s[40:43], 0 offset:748 ; 4-byte Folded Reload
	buffer_load_dword v108, off, s[40:43], 0 offset:752 ; 4-byte Folded Reload
	buffer_load_dword v109, off, s[40:43], 0 offset:756 ; 4-byte Folded Reload
	buffer_load_dword v110, off, s[40:43], 0 offset:760 ; 4-byte Folded Reload
	buffer_load_dword v111, off, s[40:43], 0 offset:764 ; 4-byte Folded Reload
	s_waitcnt vmcnt(22)
	v_pk_mov_b32 v[8:9], v[88:89], v[88:89] op_sel:[0,1]
	v_and_b32_e32 v3, 0x7fffffff, v8
	v_and_b32_e32 v6, 0x7fffffff, v9
	;;#ASMSTART
	v_max3_f32 v2, v2, v3, v6

	;;#ASMEND
	buffer_load_dword v80, off, s[40:43], 0 offset:512 ; 4-byte Folded Reload
	buffer_load_dword v81, off, s[40:43], 0 offset:516 ; 4-byte Folded Reload
	buffer_load_dword v82, off, s[40:43], 0 offset:520 ; 4-byte Folded Reload
	buffer_load_dword v83, off, s[40:43], 0 offset:524 ; 4-byte Folded Reload
	buffer_load_dword v84, off, s[40:43], 0 offset:528 ; 4-byte Folded Reload
	buffer_load_dword v85, off, s[40:43], 0 offset:532 ; 4-byte Folded Reload
	buffer_load_dword v86, off, s[40:43], 0 offset:536 ; 4-byte Folded Reload
	buffer_load_dword v87, off, s[40:43], 0 offset:540 ; 4-byte Folded Reload
	buffer_load_dword v88, off, s[40:43], 0 offset:544 ; 4-byte Folded Reload
	buffer_load_dword v89, off, s[40:43], 0 offset:548 ; 4-byte Folded Reload
	buffer_load_dword v90, off, s[40:43], 0 offset:552 ; 4-byte Folded Reload
	buffer_load_dword v91, off, s[40:43], 0 offset:556 ; 4-byte Folded Reload
	buffer_load_dword v92, off, s[40:43], 0 offset:560 ; 4-byte Folded Reload
	buffer_load_dword v93, off, s[40:43], 0 offset:564 ; 4-byte Folded Reload
	buffer_load_dword v94, off, s[40:43], 0 offset:568 ; 4-byte Folded Reload
	buffer_load_dword v95, off, s[40:43], 0 offset:572 ; 4-byte Folded Reload
	buffer_load_dword v96, off, s[40:43], 0 offset:576 ; 4-byte Folded Reload
	buffer_load_dword v97, off, s[40:43], 0 offset:580 ; 4-byte Folded Reload
	buffer_load_dword v98, off, s[40:43], 0 offset:584 ; 4-byte Folded Reload
	buffer_load_dword v99, off, s[40:43], 0 offset:588 ; 4-byte Folded Reload
	buffer_load_dword v100, off, s[40:43], 0 offset:592 ; 4-byte Folded Reload
	buffer_load_dword v101, off, s[40:43], 0 offset:596 ; 4-byte Folded Reload
	buffer_load_dword v102, off, s[40:43], 0 offset:600 ; 4-byte Folded Reload
	buffer_load_dword v103, off, s[40:43], 0 offset:604 ; 4-byte Folded Reload
	buffer_load_dword v104, off, s[40:43], 0 offset:608 ; 4-byte Folded Reload
	buffer_load_dword v105, off, s[40:43], 0 offset:612 ; 4-byte Folded Reload
	buffer_load_dword v106, off, s[40:43], 0 offset:616 ; 4-byte Folded Reload
	buffer_load_dword v107, off, s[40:43], 0 offset:620 ; 4-byte Folded Reload
	buffer_load_dword v108, off, s[40:43], 0 offset:624 ; 4-byte Folded Reload
	buffer_load_dword v109, off, s[40:43], 0 offset:628 ; 4-byte Folded Reload
	buffer_load_dword v110, off, s[40:43], 0 offset:632 ; 4-byte Folded Reload
	buffer_load_dword v111, off, s[40:43], 0 offset:636 ; 4-byte Folded Reload
	s_waitcnt vmcnt(20)
	v_pk_mov_b32 v[10:11], v[90:91], v[90:91] op_sel:[0,1]
	v_and_b32_e32 v3, 0x7fffffff, v10
	v_and_b32_e32 v6, 0x7fffffff, v11
	;;#ASMSTART
	v_max3_f32 v2, v2, v3, v6

	;;#ASMEND
	;; [unrolled: 40-line block ×5, first 2 shown]
	buffer_load_dword v80, off, s[40:43], 0 ; 4-byte Folded Reload
	buffer_load_dword v81, off, s[40:43], 0 offset:4 ; 4-byte Folded Reload
	buffer_load_dword v82, off, s[40:43], 0 offset:8 ; 4-byte Folded Reload
	;; [unrolled: 1-line block ×31, first 2 shown]
	s_waitcnt vmcnt(12)
	v_pk_mov_b32 v[18:19], v[98:99], v[98:99] op_sel:[0,1]
	v_and_b32_e32 v3, 0x7fffffff, v18
	v_and_b32_e32 v6, 0x7fffffff, v19
	;;#ASMSTART
	v_max3_f32 v2, v2, v3, v6

	;;#ASMEND
	v_and_b32_e32 v3, 0x7fffffff, v26
	v_and_b32_e32 v6, 0x7fffffff, v27
	;;#ASMSTART
	v_max3_f32 v2, v2, v3, v6

	;;#ASMEND
	;; [unrolled: 6-line block ×3, first 2 shown]
.LBB66_26:
	s_or_b64 exec, exec, s[8:9]
	s_nop 0
	v_mov_b32_dpp v3, v2 quad_perm:[1,0,3,2] row_mask:0xf bank_mask:0xf
	v_cmp_gt_f32_e32 vcc, v2, v3
	v_cndmask_b32_e32 v2, v3, v2, vcc
	s_nop 1
	v_mov_b32_dpp v3, v2 quad_perm:[2,3,0,1] row_mask:0xf bank_mask:0xf
	v_cmp_gt_f32_e32 vcc, v2, v3
	v_cndmask_b32_e32 v2, v3, v2, vcc
	s_nop 1
	v_mov_b32_dpp v3, v2 row_half_mirror row_mask:0xf bank_mask:0xf
	v_cmp_gt_f32_e32 vcc, v2, v3
	v_cndmask_b32_e32 v2, v3, v2, vcc
	s_nop 1
	v_mov_b32_dpp v3, v2 row_mirror row_mask:0xf bank_mask:0xf
	v_cmp_gt_f32_e32 vcc, v2, v3
	v_cndmask_b32_e32 v2, v3, v2, vcc
	s_nop 1
	v_mov_b32_dpp v3, v2 row_bcast:15 row_mask:0xf bank_mask:0xf
	v_cmp_gt_f32_e32 vcc, v2, v3
	v_cndmask_b32_e32 v2, v3, v2, vcc
	s_nop 1
	v_mov_b32_dpp v3, v2 row_bcast:31 row_mask:0xf bank_mask:0xf
	s_and_saveexec_b64 s[8:9], s[2:3]
	s_cbranch_execz .LBB66_28
; %bb.27:
	v_cmp_gt_f32_e32 vcc, v2, v3
	v_cndmask_b32_e32 v2, v3, v2, vcc
	v_lshrrev_b32_e32 v3, 4, v0
	v_and_b32_e32 v3, 60, v3
	ds_write_b32 v3, v2
.LBB66_28:
	s_or_b64 exec, exec, s[8:9]
	s_waitcnt lgkmcnt(0)
	s_barrier
	ds_read_b32 v2, v48
	s_waitcnt lgkmcnt(0)
	s_nop 0
	v_mov_b32_dpp v3, v2 quad_perm:[1,0,3,2] row_mask:0xf bank_mask:0xf
	v_cmp_gt_f32_e32 vcc, v2, v3
	v_cndmask_b32_e32 v2, v3, v2, vcc
	s_nop 1
	v_mov_b32_dpp v3, v2 quad_perm:[2,3,0,1] row_mask:0xf bank_mask:0xf
	v_cmp_gt_f32_e32 vcc, v2, v3
	v_cndmask_b32_e32 v2, v3, v2, vcc
	v_mul_f32_e32 v2, 0x3b124925, v2
	v_cmp_eq_u32_e32 vcc, 0, v0
	s_and_saveexec_b64 s[8:9], vcc
	s_cbranch_execz .LBB66_30
; %bb.29:
	s_load_dwordx2 s[22:23], s[4:5], 0x8
	s_mul_hi_i32 s29, s11, s6
	s_mul_i32 s28, s11, s6
	s_lshl_b64 s[28:29], s[28:29], 2
	v_mov_b32_e32 v3, 0
	s_waitcnt lgkmcnt(0)
	s_add_u32 s22, s22, s28
	s_addc_u32 s23, s23, s29
	global_store_dword v3, v2, s[22:23]
.LBB66_30:
	s_or_b64 exec, exec, s[8:9]
	;;#ASMSTART
	v_rcp_f32 v2, v2
	;;#ASMEND
	s_and_saveexec_b64 s[22:23], s[0:1]
	s_cbranch_execz .LBB66_32
; %bb.31:
	v_mov_b32_e32 v3, v2
	;;#ASMSTART
	v_pk_mul_f32 v[6:7], v[34:35], v[2:3]
	;;#ASMEND
	v_mov_b32_e32 v8, 0xc3e00000
	v_mov_b32_e32 v9, 0x43e00000
	;;#ASMSTART
	v_med3_f32 v6, v6, v8, v9
v_med3_f32 v7, v7, v8, v9
v_cvt_pk_fp8_f32 v10, v6, v7
	;;#ASMEND
	;;#ASMSTART
	v_pk_mul_f32 v[4:5], v[4:5], v[2:3]
	;;#ASMEND
	s_load_dwordx2 s[0:1], s[4:5], 0x0
	;;#ASMSTART
	v_med3_f32 v4, v4, v8, v9
v_med3_f32 v5, v5, v8, v9
v_cvt_pk_fp8_f32 v6, v4, v5
	;;#ASMEND
	;;#ASMSTART
	v_pk_mul_f32 v[4:5], v[70:71], v[2:3]
	;;#ASMEND
	;;#ASMSTART
	v_med3_f32 v4, v4, v8, v9
v_med3_f32 v5, v5, v8, v9
v_cvt_pk_fp8_f32 v7, v4, v5
	;;#ASMEND
	;;#ASMSTART
	v_pk_mul_f32 v[4:5], v[78:79], v[2:3]
	;;#ASMEND
	s_mul_i32 s8, s10, s6
	;;#ASMSTART
	v_med3_f32 v4, v4, v8, v9
v_med3_f32 v5, v5, v8, v9
v_cvt_pk_fp8_f32 v11, v4, v5
	;;#ASMEND
	s_mov_b32 s7, 0x5040100
	s_mul_hi_i32 s9, s10, s6
	s_waitcnt lgkmcnt(0)
	s_add_u32 s8, s0, s8
	v_perm_b32 v4, v6, v10, s7
	s_movk_i32 s12, 0xff
	s_addc_u32 s0, s1, s9
	s_add_i32 s1, s15, 3
	v_and_b32_e32 v5, 0xffffff00, v6
	v_and_b32_sdwa v6, v4, s12 dst_sel:DWORD dst_unused:UNUSED_PAD src0_sel:WORD_1 src1_sel:DWORD
	s_ashr_i32 s9, s1, 31
	v_or_b32_sdwa v5, v6, v5 dst_sel:WORD_1 dst_unused:UNUSED_PAD src0_sel:DWORD src1_sel:DWORD
	s_mov_b32 s14, 0xffff
	s_lshr_b32 s9, s9, 30
	v_and_or_b32 v4, v4, s14, v5
	v_lshlrev_b32_e32 v5, 16, v11
	s_add_i32 s1, s1, s9
	v_and_or_b32 v5, v7, s14, v5
	s_and_b32 s10, s1, -4
	s_and_b32 s9, s0, 0xffff
	s_mov_b32 s11, 0x20000
	buffer_store_dwordx2 v[4:5], v68, s[8:11], 0 offen
	;;#ASMSTART
	s_nop 0
	;;#ASMEND
	buffer_load_dword v70, off, s[40:43], 0 offset:640 ; 4-byte Folded Reload
	buffer_load_dword v71, off, s[40:43], 0 offset:644 ; 4-byte Folded Reload
	;; [unrolled: 1-line block ×32, first 2 shown]
	s_movk_i32 s0, 0x200
	s_waitcnt vmcnt(22)
	;;#ASMSTART
	v_pk_mul_f32 v[4:5], v[78:79], v[2:3]
	;;#ASMEND
	;;#ASMSTART
	v_med3_f32 v4, v4, v8, v9
v_med3_f32 v5, v5, v8, v9
v_cvt_pk_fp8_f32 v6, v4, v5
	;;#ASMEND
	buffer_load_dword v70, off, s[40:43], 0 offset:512 ; 4-byte Folded Reload
	buffer_load_dword v71, off, s[40:43], 0 offset:516 ; 4-byte Folded Reload
	buffer_load_dword v72, off, s[40:43], 0 offset:520 ; 4-byte Folded Reload
	buffer_load_dword v73, off, s[40:43], 0 offset:524 ; 4-byte Folded Reload
	buffer_load_dword v74, off, s[40:43], 0 offset:528 ; 4-byte Folded Reload
	buffer_load_dword v75, off, s[40:43], 0 offset:532 ; 4-byte Folded Reload
	buffer_load_dword v76, off, s[40:43], 0 offset:536 ; 4-byte Folded Reload
	buffer_load_dword v77, off, s[40:43], 0 offset:540 ; 4-byte Folded Reload
	buffer_load_dword v78, off, s[40:43], 0 offset:544 ; 4-byte Folded Reload
	buffer_load_dword v79, off, s[40:43], 0 offset:548 ; 4-byte Folded Reload
	buffer_load_dword v80, off, s[40:43], 0 offset:552 ; 4-byte Folded Reload
	buffer_load_dword v81, off, s[40:43], 0 offset:556 ; 4-byte Folded Reload
	buffer_load_dword v82, off, s[40:43], 0 offset:560 ; 4-byte Folded Reload
	buffer_load_dword v83, off, s[40:43], 0 offset:564 ; 4-byte Folded Reload
	buffer_load_dword v84, off, s[40:43], 0 offset:568 ; 4-byte Folded Reload
	buffer_load_dword v85, off, s[40:43], 0 offset:572 ; 4-byte Folded Reload
	buffer_load_dword v86, off, s[40:43], 0 offset:576 ; 4-byte Folded Reload
	buffer_load_dword v87, off, s[40:43], 0 offset:580 ; 4-byte Folded Reload
	buffer_load_dword v88, off, s[40:43], 0 offset:584 ; 4-byte Folded Reload
	buffer_load_dword v89, off, s[40:43], 0 offset:588 ; 4-byte Folded Reload
	buffer_load_dword v90, off, s[40:43], 0 offset:592 ; 4-byte Folded Reload
	buffer_load_dword v91, off, s[40:43], 0 offset:596 ; 4-byte Folded Reload
	buffer_load_dword v92, off, s[40:43], 0 offset:600 ; 4-byte Folded Reload
	buffer_load_dword v93, off, s[40:43], 0 offset:604 ; 4-byte Folded Reload
	buffer_load_dword v94, off, s[40:43], 0 offset:608 ; 4-byte Folded Reload
	buffer_load_dword v95, off, s[40:43], 0 offset:612 ; 4-byte Folded Reload
	buffer_load_dword v96, off, s[40:43], 0 offset:616 ; 4-byte Folded Reload
	buffer_load_dword v97, off, s[40:43], 0 offset:620 ; 4-byte Folded Reload
	buffer_load_dword v98, off, s[40:43], 0 offset:624 ; 4-byte Folded Reload
	buffer_load_dword v99, off, s[40:43], 0 offset:628 ; 4-byte Folded Reload
	buffer_load_dword v100, off, s[40:43], 0 offset:632 ; 4-byte Folded Reload
	buffer_load_dword v101, off, s[40:43], 0 offset:636 ; 4-byte Folded Reload
	s_waitcnt vmcnt(20)
	;;#ASMSTART
	v_pk_mul_f32 v[4:5], v[80:81], v[2:3]
	;;#ASMEND
	;;#ASMSTART
	v_med3_f32 v4, v4, v8, v9
v_med3_f32 v5, v5, v8, v9
v_cvt_pk_fp8_f32 v7, v4, v5
	;;#ASMEND
	buffer_load_dword v70, off, s[40:43], 0 offset:384 ; 4-byte Folded Reload
	buffer_load_dword v71, off, s[40:43], 0 offset:388 ; 4-byte Folded Reload
	buffer_load_dword v72, off, s[40:43], 0 offset:392 ; 4-byte Folded Reload
	buffer_load_dword v73, off, s[40:43], 0 offset:396 ; 4-byte Folded Reload
	buffer_load_dword v74, off, s[40:43], 0 offset:400 ; 4-byte Folded Reload
	buffer_load_dword v75, off, s[40:43], 0 offset:404 ; 4-byte Folded Reload
	buffer_load_dword v76, off, s[40:43], 0 offset:408 ; 4-byte Folded Reload
	buffer_load_dword v77, off, s[40:43], 0 offset:412 ; 4-byte Folded Reload
	buffer_load_dword v78, off, s[40:43], 0 offset:416 ; 4-byte Folded Reload
	buffer_load_dword v79, off, s[40:43], 0 offset:420 ; 4-byte Folded Reload
	buffer_load_dword v80, off, s[40:43], 0 offset:424 ; 4-byte Folded Reload
	buffer_load_dword v81, off, s[40:43], 0 offset:428 ; 4-byte Folded Reload
	buffer_load_dword v82, off, s[40:43], 0 offset:432 ; 4-byte Folded Reload
	buffer_load_dword v83, off, s[40:43], 0 offset:436 ; 4-byte Folded Reload
	buffer_load_dword v84, off, s[40:43], 0 offset:440 ; 4-byte Folded Reload
	buffer_load_dword v85, off, s[40:43], 0 offset:444 ; 4-byte Folded Reload
	buffer_load_dword v86, off, s[40:43], 0 offset:448 ; 4-byte Folded Reload
	buffer_load_dword v87, off, s[40:43], 0 offset:452 ; 4-byte Folded Reload
	buffer_load_dword v88, off, s[40:43], 0 offset:456 ; 4-byte Folded Reload
	buffer_load_dword v89, off, s[40:43], 0 offset:460 ; 4-byte Folded Reload
	buffer_load_dword v90, off, s[40:43], 0 offset:464 ; 4-byte Folded Reload
	buffer_load_dword v91, off, s[40:43], 0 offset:468 ; 4-byte Folded Reload
	buffer_load_dword v92, off, s[40:43], 0 offset:472 ; 4-byte Folded Reload
	buffer_load_dword v93, off, s[40:43], 0 offset:476 ; 4-byte Folded Reload
	buffer_load_dword v94, off, s[40:43], 0 offset:480 ; 4-byte Folded Reload
	buffer_load_dword v95, off, s[40:43], 0 offset:484 ; 4-byte Folded Reload
	buffer_load_dword v96, off, s[40:43], 0 offset:488 ; 4-byte Folded Reload
	buffer_load_dword v97, off, s[40:43], 0 offset:492 ; 4-byte Folded Reload
	buffer_load_dword v98, off, s[40:43], 0 offset:496 ; 4-byte Folded Reload
	buffer_load_dword v99, off, s[40:43], 0 offset:500 ; 4-byte Folded Reload
	buffer_load_dword v100, off, s[40:43], 0 offset:504 ; 4-byte Folded Reload
	buffer_load_dword v101, off, s[40:43], 0 offset:508 ; 4-byte Folded Reload
	;; [unrolled: 41-line block ×3, first 2 shown]
	s_waitcnt vmcnt(16)
	;;#ASMSTART
	v_pk_mul_f32 v[4:5], v[84:85], v[2:3]
	;;#ASMEND
	;;#ASMSTART
	v_med3_f32 v4, v4, v8, v9
v_med3_f32 v5, v5, v8, v9
v_cvt_pk_fp8_f32 v11, v4, v5
	;;#ASMEND
	v_perm_b32 v4, v7, v6, s7
	v_and_b32_e32 v5, 0xffffff00, v7
	v_and_b32_sdwa v6, v4, s12 dst_sel:DWORD dst_unused:UNUSED_PAD src0_sel:WORD_1 src1_sel:DWORD
	v_or_b32_sdwa v5, v6, v5 dst_sel:WORD_1 dst_unused:UNUSED_PAD src0_sel:DWORD src1_sel:DWORD
	v_and_or_b32 v4, v4, s14, v5
	v_lshlrev_b32_e32 v5, 16, v11
	v_and_or_b32 v5, v10, s14, v5
	buffer_store_dwordx2 v[4:5], v68, s[8:11], s0 offen
	;;#ASMSTART
	s_nop 0
	;;#ASMEND
	buffer_load_dword v70, off, s[40:43], 0 offset:256 ; 4-byte Folded Reload
	buffer_load_dword v71, off, s[40:43], 0 offset:260 ; 4-byte Folded Reload
	;; [unrolled: 1-line block ×32, first 2 shown]
	s_movk_i32 s0, 0x400
	s_waitcnt vmcnt(14)
	;;#ASMSTART
	v_pk_mul_f32 v[4:5], v[86:87], v[2:3]
	;;#ASMEND
	;;#ASMSTART
	v_med3_f32 v4, v4, v8, v9
v_med3_f32 v5, v5, v8, v9
v_cvt_pk_fp8_f32 v6, v4, v5
	;;#ASMEND
	buffer_load_dword v70, off, s[40:43], 0 ; 4-byte Folded Reload
	buffer_load_dword v71, off, s[40:43], 0 offset:4 ; 4-byte Folded Reload
	buffer_load_dword v72, off, s[40:43], 0 offset:8 ; 4-byte Folded Reload
	;; [unrolled: 1-line block ×31, first 2 shown]
	s_waitcnt vmcnt(12)
	;;#ASMSTART
	v_pk_mul_f32 v[4:5], v[88:89], v[2:3]
	;;#ASMEND
	;;#ASMSTART
	v_med3_f32 v4, v4, v8, v9
v_med3_f32 v5, v5, v8, v9
v_cvt_pk_fp8_f32 v7, v4, v5
	;;#ASMEND
	v_perm_b32 v5, v7, v6, s7
	v_and_b32_e32 v4, 0xffffff00, v7
	v_and_b32_sdwa v6, v5, s12 dst_sel:DWORD dst_unused:UNUSED_PAD src0_sel:WORD_1 src1_sel:DWORD
	v_or_b32_sdwa v4, v6, v4 dst_sel:WORD_1 dst_unused:UNUSED_PAD src0_sel:DWORD src1_sel:DWORD
	v_and_or_b32 v4, v5, s14, v4
	;;#ASMSTART
	v_pk_mul_f32 v[6:7], v[26:27], v[2:3]
	;;#ASMEND
	v_mov_b32_e32 v5, v7
	;;#ASMSTART
	v_med3_f32 v6, v6, v8, v9
v_med3_f32 v5, v5, v8, v9
v_cvt_pk_fp8_f32 v7, v6, v5
	;;#ASMEND
	;;#ASMSTART
	v_pk_mul_f32 v[10:11], v[28:29], v[2:3]
	;;#ASMEND
	v_mov_b32_e32 v1, v11
	;;#ASMSTART
	v_med3_f32 v10, v10, v8, v9
v_med3_f32 v1, v1, v8, v9
v_cvt_pk_fp8_f32 v2, v10, v1
	;;#ASMEND
	v_lshlrev_b32_e32 v1, 16, v2
	v_and_or_b32 v5, v7, s14, v1
	buffer_store_dwordx2 v[4:5], v68, s[8:11], s0 offen
	;;#ASMSTART
	s_nop 0
	;;#ASMEND
.LBB66_32:
	s_or_b64 exec, exec, s[22:23]
	s_cmp_lt_i32 s16, 1
	s_cbranch_scc1 .LBB66_17
.LBB66_33:
	s_load_dword s0, s[4:5], 0x94
	s_waitcnt lgkmcnt(0)
	s_cmp_lg_u32 s0, 1
	s_cbranch_scc1 .LBB66_17
; %bb.34:
	s_lshl_b32 s0, s16, 1
	s_add_i32 s0, s0, 2
	v_cmp_gt_u32_e32 vcc, s16, v68
	s_and_b32 s22, s0, -4
	v_mov_b32_e32 v50, 0
	v_lshlrev_b32_e32 v49, 1, v68
	v_mov_b32_e32 v22, 0
	v_mov_b32_e32 v23, 0
	;; [unrolled: 1-line block ×24, first 2 shown]
	s_waitcnt vmcnt(63) expcnt(7) lgkmcnt(15)
	s_barrier
	s_and_saveexec_b64 s[0:1], vcc
	s_cbranch_execz .LBB66_36
; %bb.35:
	s_mul_hi_i32 s5, s18, s6
	s_mul_i32 s4, s18, s6
	s_and_b32 s21, s21, 0xffff
	s_lshl_b64 s[4:5], s[4:5], 1
	s_add_u32 s8, s34, s4
	s_mov_b32 s23, 0x20000
	s_addc_u32 s4, s35, s5
	s_and_b32 s9, s4, 0xffff
	s_mov_b32 s10, s22
	s_mov_b32 s11, s23
	s_movk_i32 s5, 0x800
	s_movk_i32 s4, 0x400
	buffer_load_dwordx4 v[22:25], v49, s[8:11], 0 offen glc slc
	buffer_load_dwordx4 v[14:17], v49, s[8:11], s4 offen glc slc
	;; [unrolled: 1-line block ×3, first 2 shown]
	buffer_load_dwordx4 v[10:13], v49, s[20:23], 0 offen
	buffer_load_dwordx4 v[6:9], v49, s[20:23], s4 offen
	;; [unrolled: 1-line block ×3, first 2 shown]
.LBB66_36:
	s_or_b64 exec, exec, s[0:1]
	v_mov_b32_e32 v51, 0
	v_mov_b32_e32 v46, 0
	;; [unrolled: 1-line block ×23, first 2 shown]
	s_and_saveexec_b64 s[0:1], vcc
	s_cbranch_execz .LBB66_38
; %bb.37:
	s_waitcnt vmcnt(5)
	v_cvt_f32_u32_sdwa v50, v22 dst_sel:DWORD dst_unused:UNUSED_PAD src0_sel:WORD_0
	v_cvt_f32_u32_sdwa v51, v22 dst_sel:DWORD dst_unused:UNUSED_PAD src0_sel:WORD_1
	v_cvt_f32_u32_sdwa v46, v23 dst_sel:DWORD dst_unused:UNUSED_PAD src0_sel:WORD_0
	v_cvt_f32_u32_sdwa v47, v23 dst_sel:DWORD dst_unused:UNUSED_PAD src0_sel:WORD_1
	v_cvt_f32_u32_sdwa v44, v24 dst_sel:DWORD dst_unused:UNUSED_PAD src0_sel:WORD_0
	v_cvt_f32_u32_sdwa v45, v24 dst_sel:DWORD dst_unused:UNUSED_PAD src0_sel:WORD_1
	v_cvt_f32_u32_sdwa v42, v25 dst_sel:DWORD dst_unused:UNUSED_PAD src0_sel:WORD_0
	v_cvt_f32_u32_sdwa v43, v25 dst_sel:DWORD dst_unused:UNUSED_PAD src0_sel:WORD_1
	s_waitcnt vmcnt(4)
	v_cvt_f32_u32_sdwa v40, v14 dst_sel:DWORD dst_unused:UNUSED_PAD src0_sel:WORD_0
	v_cvt_f32_u32_sdwa v41, v14 dst_sel:DWORD dst_unused:UNUSED_PAD src0_sel:WORD_1
	v_cvt_f32_u32_sdwa v38, v15 dst_sel:DWORD dst_unused:UNUSED_PAD src0_sel:WORD_0
	v_cvt_f32_u32_sdwa v39, v15 dst_sel:DWORD dst_unused:UNUSED_PAD src0_sel:WORD_1
	v_cvt_f32_u32_sdwa v36, v16 dst_sel:DWORD dst_unused:UNUSED_PAD src0_sel:WORD_0
	v_cvt_f32_u32_sdwa v37, v16 dst_sel:DWORD dst_unused:UNUSED_PAD src0_sel:WORD_1
	v_cvt_f32_u32_sdwa v34, v17 dst_sel:DWORD dst_unused:UNUSED_PAD src0_sel:WORD_0
	v_cvt_f32_u32_sdwa v35, v17 dst_sel:DWORD dst_unused:UNUSED_PAD src0_sel:WORD_1
	;; [unrolled: 9-line block ×3, first 2 shown]
.LBB66_38:
	s_or_b64 exec, exec, s[0:1]
	s_waitcnt vmcnt(4)
	v_mul_f32_e32 v14, v51, v51
	v_fmac_f32_e32 v14, v50, v50
	v_fmac_f32_e32 v14, v46, v46
	;; [unrolled: 1-line block ×23, first 2 shown]
	s_nop 1
	v_mov_b32_dpp v15, v14 quad_perm:[1,0,3,2] row_mask:0xf bank_mask:0xf
	v_add_f32_e32 v14, v14, v15
	s_nop 1
	v_mov_b32_dpp v15, v14 quad_perm:[2,3,0,1] row_mask:0xf bank_mask:0xf
	v_add_f32_e32 v14, v14, v15
	s_nop 1
	v_mov_b32_dpp v15, v14 row_half_mirror row_mask:0xf bank_mask:0xf
	v_add_f32_e32 v14, v14, v15
	s_nop 1
	v_mov_b32_dpp v15, v14 row_mirror row_mask:0xf bank_mask:0xf
	v_add_f32_e32 v14, v14, v15
	s_nop 1
	v_mov_b32_dpp v15, v14 row_bcast:15 row_mask:0xf bank_mask:0xf
	v_add_f32_e32 v14, v14, v15
	s_nop 1
	v_mov_b32_dpp v15, v14 row_bcast:31 row_mask:0xf bank_mask:0xf
	s_and_saveexec_b64 s[0:1], s[2:3]
	s_cbranch_execz .LBB66_40
; %bb.39:
	v_add_f32_e32 v14, v14, v15
	v_lshrrev_b32_e32 v15, 4, v0
	v_and_b32_e32 v15, 60, v15
	ds_write_b32 v15, v14 offset:16
.LBB66_40:
	s_or_b64 exec, exec, s[0:1]
	s_waitcnt lgkmcnt(0)
	s_barrier
	ds_read_b32 v14, v48 offset:16
	s_waitcnt lgkmcnt(0)
	s_nop 0
	v_mov_b32_dpp v15, v14 quad_perm:[1,0,3,2] row_mask:0xf bank_mask:0xf
	v_add_f32_e32 v14, v14, v15
	s_nop 1
	v_mov_b32_dpp v15, v14 quad_perm:[2,3,0,1] row_mask:0xf bank_mask:0xf
	s_and_saveexec_b64 s[0:1], vcc
	s_cbranch_execz .LBB66_17
; %bb.41:
	v_cvt_f32_u32_e32 v16, s16
	v_add_f32_e32 v14, v14, v15
	s_mov_b32 s23, 0x20000
	v_div_scale_f32 v15, s[0:1], v16, v16, v14
	v_rcp_f32_e32 v17, v15
	s_waitcnt vmcnt(3)
	v_div_scale_f32 v18, vcc, v14, v16, v14
	s_mov_b32 s0, 0x800000
	v_fma_f32 v19, -v15, v17, 1.0
	v_fmac_f32_e32 v17, v19, v17
	v_mul_f32_e32 v19, v18, v17
	v_fma_f32 v20, -v15, v19, v18
	v_fmac_f32_e32 v19, v20, v17
	v_fma_f32 v15, -v15, v19, v18
	v_div_fmas_f32 v15, v15, v17, v19
	v_div_fixup_f32 v14, v15, v16, v14
	v_add_f32_e32 v14, s13, v14
	v_mul_f32_e32 v15, 0x4b800000, v14
	v_cmp_gt_f32_e32 vcc, s0, v14
	v_cndmask_b32_e32 v14, v14, v15, vcc
	v_rsq_f32_e32 v14, v14
	s_mul_hi_i32 s1, s25, s6
	s_mul_i32 s0, s25, s6
	s_lshl_b64 s[0:1], s[0:1], 1
	v_mul_f32_e32 v15, 0x45800000, v14
	v_cndmask_b32_e32 v14, v14, v15, vcc
	v_mov_b32_e32 v15, v14
	;;#ASMSTART
	v_pk_mul_f32 v[0:1], v[50:51], v[14:15]
	;;#ASMEND
	;;#ASMSTART
	v_pk_mul_f32 v[16:17], v[46:47], v[14:15]
	;;#ASMEND
	;;#ASMSTART
	v_pk_mul_f32 v[18:19], v[44:45], v[14:15]
	;;#ASMEND
	;;#ASMSTART
	v_pk_mul_f32 v[20:21], v[42:43], v[14:15]
	;;#ASMEND
	;;#ASMSTART
	v_pk_mul_f32 v[22:23], v[40:41], v[14:15]
	;;#ASMEND
	;;#ASMSTART
	v_pk_mul_f32 v[24:25], v[38:39], v[14:15]
	;;#ASMEND
	s_waitcnt vmcnt(2)
	v_cvt_f32_u32_sdwa v39, v10 dst_sel:DWORD dst_unused:UNUSED_PAD src0_sel:WORD_1
	v_cvt_f32_u32_sdwa v38, v10 dst_sel:DWORD dst_unused:UNUSED_PAD src0_sel:WORD_0
	v_cvt_f32_u32_sdwa v41, v11 dst_sel:DWORD dst_unused:UNUSED_PAD src0_sel:WORD_1
	v_cvt_f32_u32_sdwa v40, v11 dst_sel:DWORD dst_unused:UNUSED_PAD src0_sel:WORD_0
	;;#ASMSTART
	v_pk_mul_f32 v[36:37], v[36:37], v[14:15]
	;;#ASMEND
	;;#ASMSTART
	v_pk_mul_f32 v[34:35], v[34:35], v[14:15]
	;;#ASMEND
	;; [unrolled: 3-line block ×6, first 2 shown]
	v_cvt_f32_u32_sdwa v27, v12 dst_sel:DWORD dst_unused:UNUSED_PAD src0_sel:WORD_1
	v_cvt_f32_u32_sdwa v26, v12 dst_sel:DWORD dst_unused:UNUSED_PAD src0_sel:WORD_0
	v_pk_add_f32 v[14:15], v[38:39], 1.0 op_sel_hi:[1,0]
	;;#ASMSTART
	v_pk_mul_f32 v[0:1], v[0:1], v[14:15]
	;;#ASMEND
	v_pk_add_f32 v[14:15], v[40:41], 1.0 op_sel_hi:[1,0]
	v_cvt_f32_u32_sdwa v39, v13 dst_sel:DWORD dst_unused:UNUSED_PAD src0_sel:WORD_1
	v_cvt_f32_u32_sdwa v38, v13 dst_sel:DWORD dst_unused:UNUSED_PAD src0_sel:WORD_0
	;;#ASMSTART
	v_pk_mul_f32 v[12:13], v[16:17], v[14:15]
	;;#ASMEND
	v_pk_add_f32 v[14:15], v[26:27], 1.0 op_sel_hi:[1,0]
	;;#ASMSTART
	v_pk_mul_f32 v[14:15], v[18:19], v[14:15]
	;;#ASMEND
	s_waitcnt vmcnt(1)
	v_cvt_f32_u32_sdwa v19, v6 dst_sel:DWORD dst_unused:UNUSED_PAD src0_sel:WORD_1
	v_cvt_f32_u32_sdwa v18, v6 dst_sel:DWORD dst_unused:UNUSED_PAD src0_sel:WORD_0
	v_pk_add_f32 v[16:17], v[38:39], 1.0 op_sel_hi:[1,0]
	v_cvt_f32_u32_sdwa v27, v7 dst_sel:DWORD dst_unused:UNUSED_PAD src0_sel:WORD_1
	v_cvt_f32_u32_sdwa v26, v7 dst_sel:DWORD dst_unused:UNUSED_PAD src0_sel:WORD_0
	;;#ASMSTART
	v_pk_mul_f32 v[6:7], v[20:21], v[16:17]
	;;#ASMEND
	v_pk_add_f32 v[16:17], v[18:19], 1.0 op_sel_hi:[1,0]
	;;#ASMSTART
	v_pk_mul_f32 v[16:17], v[22:23], v[16:17]
	;;#ASMEND
	v_cvt_f32_u32_sdwa v21, v8 dst_sel:DWORD dst_unused:UNUSED_PAD src0_sel:WORD_1
	v_cvt_f32_u32_sdwa v20, v8 dst_sel:DWORD dst_unused:UNUSED_PAD src0_sel:WORD_0
	v_cvt_f32_u32_sdwa v23, v9 dst_sel:DWORD dst_unused:UNUSED_PAD src0_sel:WORD_1
	v_cvt_f32_u32_sdwa v22, v9 dst_sel:DWORD dst_unused:UNUSED_PAD src0_sel:WORD_0
	v_pk_add_f32 v[18:19], v[26:27], 1.0 op_sel_hi:[1,0]
	;;#ASMSTART
	v_pk_mul_f32 v[8:9], v[24:25], v[18:19]
	;;#ASMEND
	v_pk_add_f32 v[18:19], v[20:21], 1.0 op_sel_hi:[1,0]
	v_pk_add_f32 v[20:21], v[22:23], 1.0 op_sel_hi:[1,0]
	s_waitcnt vmcnt(0)
	v_cvt_f32_u32_sdwa v23, v2 dst_sel:DWORD dst_unused:UNUSED_PAD src0_sel:WORD_1
	v_cvt_f32_u32_sdwa v22, v2 dst_sel:DWORD dst_unused:UNUSED_PAD src0_sel:WORD_0
	v_cvt_f32_u32_sdwa v25, v3 dst_sel:DWORD dst_unused:UNUSED_PAD src0_sel:WORD_1
	v_cvt_f32_u32_sdwa v24, v3 dst_sel:DWORD dst_unused:UNUSED_PAD src0_sel:WORD_0
	;;#ASMSTART
	v_pk_mul_f32 v[18:19], v[36:37], v[18:19]
	;;#ASMEND
	v_pk_add_f32 v[2:3], v[22:23], 1.0 op_sel_hi:[1,0]
	;;#ASMSTART
	v_pk_mul_f32 v[20:21], v[34:35], v[20:21]
	;;#ASMEND
	;;#ASMSTART
	v_pk_mul_f32 v[22:23], v[32:33], v[2:3]
	;;#ASMEND
	v_pk_add_f32 v[2:3], v[24:25], 1.0 op_sel_hi:[1,0]
	v_cvt_f32_u32_sdwa v25, v4 dst_sel:DWORD dst_unused:UNUSED_PAD src0_sel:WORD_1
	v_cvt_f32_u32_sdwa v24, v4 dst_sel:DWORD dst_unused:UNUSED_PAD src0_sel:WORD_0
	v_cvt_f32_u32_sdwa v27, v5 dst_sel:DWORD dst_unused:UNUSED_PAD src0_sel:WORD_1
	v_cvt_f32_u32_sdwa v26, v5 dst_sel:DWORD dst_unused:UNUSED_PAD src0_sel:WORD_0
	s_add_u32 s20, s26, s0
	;;#ASMSTART
	v_pk_mul_f32 v[4:5], v[30:31], v[2:3]
	;;#ASMEND
	v_pk_add_f32 v[2:3], v[24:25], 1.0 op_sel_hi:[1,0]
	s_addc_u32 s0, s27, s1
	;;#ASMSTART
	v_pk_mul_f32 v[24:25], v[28:29], v[2:3]
	;;#ASMEND
	v_pk_add_f32 v[2:3], v[26:27], 1.0 op_sel_hi:[1,0]
	s_and_b32 s21, s0, 0xffff
	s_mov_b32 s0, 0x7060302
	;;#ASMSTART
	v_pk_mul_f32 v[10:11], v[10:11], v[2:3]
	;;#ASMEND
	v_perm_b32 v0, v1, v0, s0
	v_perm_b32 v1, v13, v12, s0
	;; [unrolled: 1-line block ×4, first 2 shown]
	buffer_store_dwordx4 v[0:3], v49, s[20:23], 0 offen
	s_movk_i32 s1, 0x400
	v_perm_b32 v0, v17, v16, s0
	v_perm_b32 v1, v9, v8, s0
	v_perm_b32 v2, v19, v18, s0
	v_perm_b32 v3, v21, v20, s0
	;;#ASMSTART
	s_nop 0
	;;#ASMEND
	buffer_store_dwordx4 v[0:3], v49, s[20:23], s1 offen
	v_perm_b32 v0, v23, v22, s0
	v_perm_b32 v1, v5, v4, s0
	v_perm_b32 v2, v25, v24, s0
	v_perm_b32 v3, v11, v10, s0
	s_movk_i32 s0, 0x800
	;;#ASMSTART
	s_nop 0
	;;#ASMEND
	buffer_store_dwordx4 v[0:3], v49, s[20:23], s0 offen
	;;#ASMSTART
	s_nop 0
	;;#ASMEND
	s_endpgm
	.section	.rodata,"a",@progbits
	.p2align	6, 0x0
	.amdhsa_kernel _ZN5aiter35fused_qk_rmsnorm_group_quant_kernelItDB8_Li256ELi24ELi1ELb1ELb1ELb1ELb0ELb1ELb1EEEvPT0_PvPT_S6_S6_PKS5_S8_S8_S8_S8_ffiiiiiiiiiiiii
		.amdhsa_group_segment_fixed_size 48
		.amdhsa_private_segment_fixed_size 900
		.amdhsa_kernarg_size 400
		.amdhsa_user_sgpr_count 6
		.amdhsa_user_sgpr_private_segment_buffer 1
		.amdhsa_user_sgpr_dispatch_ptr 0
		.amdhsa_user_sgpr_queue_ptr 0
		.amdhsa_user_sgpr_kernarg_segment_ptr 1
		.amdhsa_user_sgpr_dispatch_id 0
		.amdhsa_user_sgpr_flat_scratch_init 0
		.amdhsa_user_sgpr_kernarg_preload_length 0
		.amdhsa_user_sgpr_kernarg_preload_offset 0
		.amdhsa_user_sgpr_private_segment_size 0
		.amdhsa_uses_dynamic_stack 0
		.amdhsa_system_sgpr_private_segment_wavefront_offset 1
		.amdhsa_system_sgpr_workgroup_id_x 1
		.amdhsa_system_sgpr_workgroup_id_y 1
		.amdhsa_system_sgpr_workgroup_id_z 0
		.amdhsa_system_sgpr_workgroup_info 0
		.amdhsa_system_vgpr_workitem_id 0
		.amdhsa_next_free_vgpr 128
		.amdhsa_next_free_sgpr 44
		.amdhsa_accum_offset 128
		.amdhsa_reserve_vcc 1
		.amdhsa_reserve_flat_scratch 0
		.amdhsa_float_round_mode_32 0
		.amdhsa_float_round_mode_16_64 0
		.amdhsa_float_denorm_mode_32 3
		.amdhsa_float_denorm_mode_16_64 3
		.amdhsa_dx10_clamp 1
		.amdhsa_ieee_mode 1
		.amdhsa_fp16_overflow 0
		.amdhsa_tg_split 0
		.amdhsa_exception_fp_ieee_invalid_op 0
		.amdhsa_exception_fp_denorm_src 0
		.amdhsa_exception_fp_ieee_div_zero 0
		.amdhsa_exception_fp_ieee_overflow 0
		.amdhsa_exception_fp_ieee_underflow 0
		.amdhsa_exception_fp_ieee_inexact 0
		.amdhsa_exception_int_div_zero 0
	.end_amdhsa_kernel
	.section	.text._ZN5aiter35fused_qk_rmsnorm_group_quant_kernelItDB8_Li256ELi24ELi1ELb1ELb1ELb1ELb0ELb1ELb1EEEvPT0_PvPT_S6_S6_PKS5_S8_S8_S8_S8_ffiiiiiiiiiiiii,"axG",@progbits,_ZN5aiter35fused_qk_rmsnorm_group_quant_kernelItDB8_Li256ELi24ELi1ELb1ELb1ELb1ELb0ELb1ELb1EEEvPT0_PvPT_S6_S6_PKS5_S8_S8_S8_S8_ffiiiiiiiiiiiii,comdat
.Lfunc_end66:
	.size	_ZN5aiter35fused_qk_rmsnorm_group_quant_kernelItDB8_Li256ELi24ELi1ELb1ELb1ELb1ELb0ELb1ELb1EEEvPT0_PvPT_S6_S6_PKS5_S8_S8_S8_S8_ffiiiiiiiiiiiii, .Lfunc_end66-_ZN5aiter35fused_qk_rmsnorm_group_quant_kernelItDB8_Li256ELi24ELi1ELb1ELb1ELb1ELb0ELb1ELb1EEEvPT0_PvPT_S6_S6_PKS5_S8_S8_S8_S8_ffiiiiiiiiiiiii
                                        ; -- End function
	.section	.AMDGPU.csdata,"",@progbits
; Kernel info:
; codeLenInByte = 24660
; NumSgprs: 48
; NumVgprs: 128
; NumAgprs: 0
; TotalNumVgprs: 128
; ScratchSize: 900
; MemoryBound: 0
; FloatMode: 240
; IeeeMode: 1
; LDSByteSize: 48 bytes/workgroup (compile time only)
; SGPRBlocks: 5
; VGPRBlocks: 15
; NumSGPRsForWavesPerEU: 48
; NumVGPRsForWavesPerEU: 128
; AccumOffset: 128
; Occupancy: 4
; WaveLimiterHint : 0
; COMPUTE_PGM_RSRC2:SCRATCH_EN: 1
; COMPUTE_PGM_RSRC2:USER_SGPR: 6
; COMPUTE_PGM_RSRC2:TRAP_HANDLER: 0
; COMPUTE_PGM_RSRC2:TGID_X_EN: 1
; COMPUTE_PGM_RSRC2:TGID_Y_EN: 1
; COMPUTE_PGM_RSRC2:TGID_Z_EN: 0
; COMPUTE_PGM_RSRC2:TIDIG_COMP_CNT: 0
; COMPUTE_PGM_RSRC3_GFX90A:ACCUM_OFFSET: 31
; COMPUTE_PGM_RSRC3_GFX90A:TG_SPLIT: 0
	.section	.text._ZN5aiter35fused_qk_rmsnorm_group_quant_kernelIDF16_DB8_Li256ELi24ELi1ELb1ELb1ELb0ELb0ELb1ELb1EEEvPT0_PvPT_S6_S6_PKS5_S8_S8_S8_S8_ffiiiiiiiiiiiii,"axG",@progbits,_ZN5aiter35fused_qk_rmsnorm_group_quant_kernelIDF16_DB8_Li256ELi24ELi1ELb1ELb1ELb0ELb0ELb1ELb1EEEvPT0_PvPT_S6_S6_PKS5_S8_S8_S8_S8_ffiiiiiiiiiiiii,comdat
	.protected	_ZN5aiter35fused_qk_rmsnorm_group_quant_kernelIDF16_DB8_Li256ELi24ELi1ELb1ELb1ELb0ELb0ELb1ELb1EEEvPT0_PvPT_S6_S6_PKS5_S8_S8_S8_S8_ffiiiiiiiiiiiii ; -- Begin function _ZN5aiter35fused_qk_rmsnorm_group_quant_kernelIDF16_DB8_Li256ELi24ELi1ELb1ELb1ELb0ELb0ELb1ELb1EEEvPT0_PvPT_S6_S6_PKS5_S8_S8_S8_S8_ffiiiiiiiiiiiii
	.globl	_ZN5aiter35fused_qk_rmsnorm_group_quant_kernelIDF16_DB8_Li256ELi24ELi1ELb1ELb1ELb0ELb0ELb1ELb1EEEvPT0_PvPT_S6_S6_PKS5_S8_S8_S8_S8_ffiiiiiiiiiiiii
	.p2align	8
	.type	_ZN5aiter35fused_qk_rmsnorm_group_quant_kernelIDF16_DB8_Li256ELi24ELi1ELb1ELb1ELb0ELb0ELb1ELb1EEEvPT0_PvPT_S6_S6_PKS5_S8_S8_S8_S8_ffiiiiiiiiiiiii,@function
_ZN5aiter35fused_qk_rmsnorm_group_quant_kernelIDF16_DB8_Li256ELi24ELi1ELb1ELb1ELb0ELb0ELb1ELb1EEEvPT0_PvPT_S6_S6_PKS5_S8_S8_S8_S8_ffiiiiiiiiiiiii: ; @_ZN5aiter35fused_qk_rmsnorm_group_quant_kernelIDF16_DB8_Li256ELi24ELi1ELb1ELb1ELb0ELb0ELb1ELb1EEEvPT0_PvPT_S6_S6_PKS5_S8_S8_S8_S8_ffiiiiiiiiiiiii
; %bb.0:
	s_load_dwordx8 s[12:19], s[4:5], 0x50
	s_mov_b64 s[42:43], s[2:3]
	s_mov_b64 s[40:41], s[0:1]
	s_add_u32 s40, s40, s8
	s_addc_u32 s41, s41, 0
	s_waitcnt lgkmcnt(0)
	s_cmp_ge_i32 s6, s14
	s_cbranch_scc1 .LBB67_17
; %bb.1:
	s_cmp_lg_u32 s7, 0
	s_cselect_b64 s[22:23], -1, 0
	s_cmp_eq_u32 s7, 0
	s_cselect_b64 s[8:9], -1, 0
	s_and_b64 s[0:1], s[8:9], exec
	s_cselect_b32 s7, s15, s16
	s_add_i32 s0, s7, 1
	s_load_dwordx2 s[10:11], s[4:5], 0x70
	s_load_dwordx2 s[20:21], s[4:5], 0x48
	;; [unrolled: 1-line block ×3, first 2 shown]
	s_lshr_b32 s1, s0, 31
	s_add_i32 s0, s0, s1
	s_lshl_b32 s0, s0, 1
	v_and_b32_e32 v2, 0x3c0, v0
	s_and_b32 s30, s0, -4
	v_lshlrev_b32_e32 v1, 3, v0
	v_mul_u32_u24_e32 v2, 24, v2
	s_movk_i32 s0, 0x1f8
	v_and_or_b32 v1, v1, s0, v2
	v_cmp_gt_i32_e64 s[0:1], s7, v1
	v_mov_b32_e32 v108, 0
	v_mov_b32_e32 v109, 0
	;; [unrolled: 1-line block ×24, first 2 shown]
	s_and_saveexec_b64 s[2:3], s[0:1]
	s_cbranch_execz .LBB67_3
; %bb.2:
	s_load_dwordx2 s[24:25], s[4:5], 0x28
	s_load_dwordx2 s[26:27], s[4:5], 0x40
	s_and_b64 s[28:29], s[8:9], exec
	s_cselect_b32 s14, s17, s18
	s_mov_b32 s31, 0x20000
	s_waitcnt lgkmcnt(0)
	s_cselect_b32 s17, s25, s35
	s_cselect_b32 s28, s24, s34
	s_mul_hi_i32 s25, s14, s6
	s_mul_i32 s24, s14, s6
	s_lshl_b64 s[24:25], s[24:25], 1
	s_add_u32 s24, s28, s24
	s_addc_u32 s14, s17, s25
	s_and_b64 s[28:29], s[8:9], exec
	s_cselect_b32 s17, s27, s21
	s_cselect_b32 s28, s26, s20
	s_and_b32 s29, s17, 0xffff
	s_and_b32 s25, s14, 0xffff
	s_mov_b32 s26, s30
	s_mov_b32 s27, s31
	v_lshlrev_b32_e32 v2, 1, v1
	s_movk_i32 s17, 0x800
	s_movk_i32 s14, 0x400
	buffer_load_dwordx4 v[112:115], v2, s[24:27], 0 offen glc slc
	buffer_load_dwordx4 v[116:119], v2, s[24:27], s14 offen glc slc
	;; [unrolled: 1-line block ×3, first 2 shown]
	buffer_load_dwordx4 v[108:111], v2, s[28:31], 0 offen
	buffer_load_dwordx4 v[104:107], v2, s[28:31], s14 offen
	;; [unrolled: 1-line block ×3, first 2 shown]
.LBB67_3:
	s_or_b64 exec, exec, s[2:3]
	s_load_dwordx4 s[24:27], s[4:5], 0x7c
	s_and_b64 vcc, exec, s[22:23]
	s_cbranch_vccz .LBB67_7
; %bb.4:
	v_mov_b32_e32 v21, 0
	v_mov_b32_e32 v20, 0
	buffer_store_dword v0, off, s[40:43], 0 ; 4-byte Folded Spill
	s_nop 0
	buffer_store_dword v1, off, s[40:43], 0 offset:4 ; 4-byte Folded Spill
	buffer_store_dword v2, off, s[40:43], 0 offset:8 ; 4-byte Folded Spill
	;; [unrolled: 1-line block ×31, first 2 shown]
	v_mov_b32_e32 v19, 0
	v_mov_b32_e32 v18, 0
	;; [unrolled: 1-line block ×6, first 2 shown]
	buffer_store_dword v0, off, s[40:43], 0 offset:384 ; 4-byte Folded Spill
	s_nop 0
	buffer_store_dword v1, off, s[40:43], 0 offset:388 ; 4-byte Folded Spill
	buffer_store_dword v2, off, s[40:43], 0 offset:392 ; 4-byte Folded Spill
	buffer_store_dword v3, off, s[40:43], 0 offset:396 ; 4-byte Folded Spill
	buffer_store_dword v4, off, s[40:43], 0 offset:400 ; 4-byte Folded Spill
	buffer_store_dword v5, off, s[40:43], 0 offset:404 ; 4-byte Folded Spill
	buffer_store_dword v6, off, s[40:43], 0 offset:408 ; 4-byte Folded Spill
	buffer_store_dword v7, off, s[40:43], 0 offset:412 ; 4-byte Folded Spill
	buffer_store_dword v8, off, s[40:43], 0 offset:416 ; 4-byte Folded Spill
	buffer_store_dword v9, off, s[40:43], 0 offset:420 ; 4-byte Folded Spill
	buffer_store_dword v10, off, s[40:43], 0 offset:424 ; 4-byte Folded Spill
	buffer_store_dword v11, off, s[40:43], 0 offset:428 ; 4-byte Folded Spill
	buffer_store_dword v12, off, s[40:43], 0 offset:432 ; 4-byte Folded Spill
	buffer_store_dword v13, off, s[40:43], 0 offset:436 ; 4-byte Folded Spill
	buffer_store_dword v14, off, s[40:43], 0 offset:440 ; 4-byte Folded Spill
	buffer_store_dword v15, off, s[40:43], 0 offset:444 ; 4-byte Folded Spill
	buffer_store_dword v16, off, s[40:43], 0 offset:448 ; 4-byte Folded Spill
	buffer_store_dword v17, off, s[40:43], 0 offset:452 ; 4-byte Folded Spill
	buffer_store_dword v18, off, s[40:43], 0 offset:456 ; 4-byte Folded Spill
	buffer_store_dword v19, off, s[40:43], 0 offset:460 ; 4-byte Folded Spill
	buffer_store_dword v20, off, s[40:43], 0 offset:464 ; 4-byte Folded Spill
	buffer_store_dword v21, off, s[40:43], 0 offset:468 ; 4-byte Folded Spill
	buffer_store_dword v22, off, s[40:43], 0 offset:472 ; 4-byte Folded Spill
	buffer_store_dword v23, off, s[40:43], 0 offset:476 ; 4-byte Folded Spill
	buffer_store_dword v24, off, s[40:43], 0 offset:480 ; 4-byte Folded Spill
	buffer_store_dword v25, off, s[40:43], 0 offset:484 ; 4-byte Folded Spill
	buffer_store_dword v26, off, s[40:43], 0 offset:488 ; 4-byte Folded Spill
	buffer_store_dword v27, off, s[40:43], 0 offset:492 ; 4-byte Folded Spill
	buffer_store_dword v28, off, s[40:43], 0 offset:496 ; 4-byte Folded Spill
	buffer_store_dword v29, off, s[40:43], 0 offset:500 ; 4-byte Folded Spill
	buffer_store_dword v30, off, s[40:43], 0 offset:504 ; 4-byte Folded Spill
	buffer_store_dword v31, off, s[40:43], 0 offset:508 ; 4-byte Folded Spill
	v_mov_b32_e32 v17, 0
	v_mov_b32_e32 v16, 0
	buffer_store_dword v0, off, s[40:43], 0 offset:512 ; 4-byte Folded Spill
	s_nop 0
	buffer_store_dword v1, off, s[40:43], 0 offset:516 ; 4-byte Folded Spill
	buffer_store_dword v2, off, s[40:43], 0 offset:520 ; 4-byte Folded Spill
	buffer_store_dword v3, off, s[40:43], 0 offset:524 ; 4-byte Folded Spill
	buffer_store_dword v4, off, s[40:43], 0 offset:528 ; 4-byte Folded Spill
	buffer_store_dword v5, off, s[40:43], 0 offset:532 ; 4-byte Folded Spill
	buffer_store_dword v6, off, s[40:43], 0 offset:536 ; 4-byte Folded Spill
	buffer_store_dword v7, off, s[40:43], 0 offset:540 ; 4-byte Folded Spill
	buffer_store_dword v8, off, s[40:43], 0 offset:544 ; 4-byte Folded Spill
	buffer_store_dword v9, off, s[40:43], 0 offset:548 ; 4-byte Folded Spill
	buffer_store_dword v10, off, s[40:43], 0 offset:552 ; 4-byte Folded Spill
	buffer_store_dword v11, off, s[40:43], 0 offset:556 ; 4-byte Folded Spill
	buffer_store_dword v12, off, s[40:43], 0 offset:560 ; 4-byte Folded Spill
	buffer_store_dword v13, off, s[40:43], 0 offset:564 ; 4-byte Folded Spill
	buffer_store_dword v14, off, s[40:43], 0 offset:568 ; 4-byte Folded Spill
	buffer_store_dword v15, off, s[40:43], 0 offset:572 ; 4-byte Folded Spill
	buffer_store_dword v16, off, s[40:43], 0 offset:576 ; 4-byte Folded Spill
	buffer_store_dword v17, off, s[40:43], 0 offset:580 ; 4-byte Folded Spill
	buffer_store_dword v18, off, s[40:43], 0 offset:584 ; 4-byte Folded Spill
	buffer_store_dword v19, off, s[40:43], 0 offset:588 ; 4-byte Folded Spill
	buffer_store_dword v20, off, s[40:43], 0 offset:592 ; 4-byte Folded Spill
	buffer_store_dword v21, off, s[40:43], 0 offset:596 ; 4-byte Folded Spill
	buffer_store_dword v22, off, s[40:43], 0 offset:600 ; 4-byte Folded Spill
	buffer_store_dword v23, off, s[40:43], 0 offset:604 ; 4-byte Folded Spill
	buffer_store_dword v24, off, s[40:43], 0 offset:608 ; 4-byte Folded Spill
	buffer_store_dword v25, off, s[40:43], 0 offset:612 ; 4-byte Folded Spill
	buffer_store_dword v26, off, s[40:43], 0 offset:616 ; 4-byte Folded Spill
	buffer_store_dword v27, off, s[40:43], 0 offset:620 ; 4-byte Folded Spill
	buffer_store_dword v28, off, s[40:43], 0 offset:624 ; 4-byte Folded Spill
	buffer_store_dword v29, off, s[40:43], 0 offset:628 ; 4-byte Folded Spill
	buffer_store_dword v30, off, s[40:43], 0 offset:632 ; 4-byte Folded Spill
	buffer_store_dword v31, off, s[40:43], 0 offset:636 ; 4-byte Folded Spill
	v_mov_b32_e32 v15, 0
	v_mov_b32_e32 v14, 0
	;; [unrolled: 35-line block ×8, first 2 shown]
	s_and_saveexec_b64 s[2:3], s[0:1]
	s_cbranch_execz .LBB67_6
; %bb.5:
	s_waitcnt vmcnt(62)
	v_cvt_f32_f16_sdwa v3, v112 dst_sel:DWORD dst_unused:UNUSED_PAD src0_sel:WORD_1
	v_cvt_f32_f16_e32 v2, v112
	v_cvt_f32_f16_sdwa v5, v114 dst_sel:DWORD dst_unused:UNUSED_PAD src0_sel:WORD_1
	v_cvt_f32_f16_e32 v4, v114
	buffer_store_dword v0, off, s[40:43], 0 offset:896 ; 4-byte Folded Spill
	s_nop 0
	buffer_store_dword v1, off, s[40:43], 0 offset:900 ; 4-byte Folded Spill
	buffer_store_dword v2, off, s[40:43], 0 offset:904 ; 4-byte Folded Spill
	;; [unrolled: 1-line block ×31, first 2 shown]
	v_cvt_f32_f16_sdwa v7, v115 dst_sel:DWORD dst_unused:UNUSED_PAD src0_sel:WORD_1
	v_cvt_f32_f16_e32 v6, v115
	v_cvt_f32_f16_sdwa v75, v113 dst_sel:DWORD dst_unused:UNUSED_PAD src0_sel:WORD_1
	v_cvt_f32_f16_e32 v74, v113
	v_cvt_f32_f16_sdwa v121, v37 dst_sel:DWORD dst_unused:UNUSED_PAD src0_sel:WORD_1
	v_cvt_f32_f16_e32 v120, v37
	buffer_store_dword v0, off, s[40:43], 0 offset:768 ; 4-byte Folded Spill
	s_nop 0
	buffer_store_dword v1, off, s[40:43], 0 offset:772 ; 4-byte Folded Spill
	buffer_store_dword v2, off, s[40:43], 0 offset:776 ; 4-byte Folded Spill
	buffer_store_dword v3, off, s[40:43], 0 offset:780 ; 4-byte Folded Spill
	buffer_store_dword v4, off, s[40:43], 0 offset:784 ; 4-byte Folded Spill
	buffer_store_dword v5, off, s[40:43], 0 offset:788 ; 4-byte Folded Spill
	buffer_store_dword v6, off, s[40:43], 0 offset:792 ; 4-byte Folded Spill
	buffer_store_dword v7, off, s[40:43], 0 offset:796 ; 4-byte Folded Spill
	buffer_store_dword v8, off, s[40:43], 0 offset:800 ; 4-byte Folded Spill
	buffer_store_dword v9, off, s[40:43], 0 offset:804 ; 4-byte Folded Spill
	buffer_store_dword v10, off, s[40:43], 0 offset:808 ; 4-byte Folded Spill
	buffer_store_dword v11, off, s[40:43], 0 offset:812 ; 4-byte Folded Spill
	buffer_store_dword v12, off, s[40:43], 0 offset:816 ; 4-byte Folded Spill
	buffer_store_dword v13, off, s[40:43], 0 offset:820 ; 4-byte Folded Spill
	buffer_store_dword v14, off, s[40:43], 0 offset:824 ; 4-byte Folded Spill
	buffer_store_dword v15, off, s[40:43], 0 offset:828 ; 4-byte Folded Spill
	buffer_store_dword v16, off, s[40:43], 0 offset:832 ; 4-byte Folded Spill
	buffer_store_dword v17, off, s[40:43], 0 offset:836 ; 4-byte Folded Spill
	buffer_store_dword v18, off, s[40:43], 0 offset:840 ; 4-byte Folded Spill
	buffer_store_dword v19, off, s[40:43], 0 offset:844 ; 4-byte Folded Spill
	buffer_store_dword v20, off, s[40:43], 0 offset:848 ; 4-byte Folded Spill
	buffer_store_dword v21, off, s[40:43], 0 offset:852 ; 4-byte Folded Spill
	buffer_store_dword v22, off, s[40:43], 0 offset:856 ; 4-byte Folded Spill
	buffer_store_dword v23, off, s[40:43], 0 offset:860 ; 4-byte Folded Spill
	buffer_store_dword v24, off, s[40:43], 0 offset:864 ; 4-byte Folded Spill
	buffer_store_dword v25, off, s[40:43], 0 offset:868 ; 4-byte Folded Spill
	buffer_store_dword v26, off, s[40:43], 0 offset:872 ; 4-byte Folded Spill
	buffer_store_dword v27, off, s[40:43], 0 offset:876 ; 4-byte Folded Spill
	buffer_store_dword v28, off, s[40:43], 0 offset:880 ; 4-byte Folded Spill
	buffer_store_dword v29, off, s[40:43], 0 offset:884 ; 4-byte Folded Spill
	buffer_store_dword v30, off, s[40:43], 0 offset:888 ; 4-byte Folded Spill
	buffer_store_dword v31, off, s[40:43], 0 offset:892 ; 4-byte Folded Spill
	v_cvt_f32_f16_sdwa v9, v116 dst_sel:DWORD dst_unused:UNUSED_PAD src0_sel:WORD_1
	v_cvt_f32_f16_e32 v8, v116
	buffer_store_dword v0, off, s[40:43], 0 offset:1024 ; 4-byte Folded Spill
	s_nop 0
	buffer_store_dword v1, off, s[40:43], 0 offset:1028 ; 4-byte Folded Spill
	buffer_store_dword v2, off, s[40:43], 0 offset:1032 ; 4-byte Folded Spill
	buffer_store_dword v3, off, s[40:43], 0 offset:1036 ; 4-byte Folded Spill
	buffer_store_dword v4, off, s[40:43], 0 offset:1040 ; 4-byte Folded Spill
	buffer_store_dword v5, off, s[40:43], 0 offset:1044 ; 4-byte Folded Spill
	buffer_store_dword v6, off, s[40:43], 0 offset:1048 ; 4-byte Folded Spill
	buffer_store_dword v7, off, s[40:43], 0 offset:1052 ; 4-byte Folded Spill
	buffer_store_dword v8, off, s[40:43], 0 offset:1056 ; 4-byte Folded Spill
	buffer_store_dword v9, off, s[40:43], 0 offset:1060 ; 4-byte Folded Spill
	buffer_store_dword v10, off, s[40:43], 0 offset:1064 ; 4-byte Folded Spill
	buffer_store_dword v11, off, s[40:43], 0 offset:1068 ; 4-byte Folded Spill
	buffer_store_dword v12, off, s[40:43], 0 offset:1072 ; 4-byte Folded Spill
	buffer_store_dword v13, off, s[40:43], 0 offset:1076 ; 4-byte Folded Spill
	buffer_store_dword v14, off, s[40:43], 0 offset:1080 ; 4-byte Folded Spill
	buffer_store_dword v15, off, s[40:43], 0 offset:1084 ; 4-byte Folded Spill
	buffer_store_dword v16, off, s[40:43], 0 offset:1088 ; 4-byte Folded Spill
	buffer_store_dword v17, off, s[40:43], 0 offset:1092 ; 4-byte Folded Spill
	buffer_store_dword v18, off, s[40:43], 0 offset:1096 ; 4-byte Folded Spill
	buffer_store_dword v19, off, s[40:43], 0 offset:1100 ; 4-byte Folded Spill
	buffer_store_dword v20, off, s[40:43], 0 offset:1104 ; 4-byte Folded Spill
	buffer_store_dword v21, off, s[40:43], 0 offset:1108 ; 4-byte Folded Spill
	buffer_store_dword v22, off, s[40:43], 0 offset:1112 ; 4-byte Folded Spill
	buffer_store_dword v23, off, s[40:43], 0 offset:1116 ; 4-byte Folded Spill
	buffer_store_dword v24, off, s[40:43], 0 offset:1120 ; 4-byte Folded Spill
	buffer_store_dword v25, off, s[40:43], 0 offset:1124 ; 4-byte Folded Spill
	buffer_store_dword v26, off, s[40:43], 0 offset:1128 ; 4-byte Folded Spill
	buffer_store_dword v27, off, s[40:43], 0 offset:1132 ; 4-byte Folded Spill
	buffer_store_dword v28, off, s[40:43], 0 offset:1136 ; 4-byte Folded Spill
	buffer_store_dword v29, off, s[40:43], 0 offset:1140 ; 4-byte Folded Spill
	buffer_store_dword v30, off, s[40:43], 0 offset:1144 ; 4-byte Folded Spill
	buffer_store_dword v31, off, s[40:43], 0 offset:1148 ; 4-byte Folded Spill
	v_cvt_f32_f16_sdwa v11, v117 dst_sel:DWORD dst_unused:UNUSED_PAD src0_sel:WORD_1
	v_cvt_f32_f16_e32 v10, v117
	;; [unrolled: 35-line block ×7, first 2 shown]
	buffer_store_dword v0, off, s[40:43], 0 ; 4-byte Folded Spill
	s_nop 0
	buffer_store_dword v1, off, s[40:43], 0 offset:4 ; 4-byte Folded Spill
	buffer_store_dword v2, off, s[40:43], 0 offset:8 ; 4-byte Folded Spill
	buffer_store_dword v3, off, s[40:43], 0 offset:12 ; 4-byte Folded Spill
	buffer_store_dword v4, off, s[40:43], 0 offset:16 ; 4-byte Folded Spill
	buffer_store_dword v5, off, s[40:43], 0 offset:20 ; 4-byte Folded Spill
	buffer_store_dword v6, off, s[40:43], 0 offset:24 ; 4-byte Folded Spill
	buffer_store_dword v7, off, s[40:43], 0 offset:28 ; 4-byte Folded Spill
	buffer_store_dword v8, off, s[40:43], 0 offset:32 ; 4-byte Folded Spill
	buffer_store_dword v9, off, s[40:43], 0 offset:36 ; 4-byte Folded Spill
	buffer_store_dword v10, off, s[40:43], 0 offset:40 ; 4-byte Folded Spill
	buffer_store_dword v11, off, s[40:43], 0 offset:44 ; 4-byte Folded Spill
	buffer_store_dword v12, off, s[40:43], 0 offset:48 ; 4-byte Folded Spill
	buffer_store_dword v13, off, s[40:43], 0 offset:52 ; 4-byte Folded Spill
	buffer_store_dword v14, off, s[40:43], 0 offset:56 ; 4-byte Folded Spill
	buffer_store_dword v15, off, s[40:43], 0 offset:60 ; 4-byte Folded Spill
	buffer_store_dword v16, off, s[40:43], 0 offset:64 ; 4-byte Folded Spill
	buffer_store_dword v17, off, s[40:43], 0 offset:68 ; 4-byte Folded Spill
	buffer_store_dword v18, off, s[40:43], 0 offset:72 ; 4-byte Folded Spill
	buffer_store_dword v19, off, s[40:43], 0 offset:76 ; 4-byte Folded Spill
	buffer_store_dword v20, off, s[40:43], 0 offset:80 ; 4-byte Folded Spill
	buffer_store_dword v21, off, s[40:43], 0 offset:84 ; 4-byte Folded Spill
	buffer_store_dword v22, off, s[40:43], 0 offset:88 ; 4-byte Folded Spill
	buffer_store_dword v23, off, s[40:43], 0 offset:92 ; 4-byte Folded Spill
	buffer_store_dword v24, off, s[40:43], 0 offset:96 ; 4-byte Folded Spill
	buffer_store_dword v25, off, s[40:43], 0 offset:100 ; 4-byte Folded Spill
	buffer_store_dword v26, off, s[40:43], 0 offset:104 ; 4-byte Folded Spill
	buffer_store_dword v27, off, s[40:43], 0 offset:108 ; 4-byte Folded Spill
	buffer_store_dword v28, off, s[40:43], 0 offset:112 ; 4-byte Folded Spill
	buffer_store_dword v29, off, s[40:43], 0 offset:116 ; 4-byte Folded Spill
	buffer_store_dword v30, off, s[40:43], 0 offset:120 ; 4-byte Folded Spill
	buffer_store_dword v31, off, s[40:43], 0 offset:124 ; 4-byte Folded Spill
.LBB67_6:
	s_or_b64 exec, exec, s[2:3]
	s_cbranch_execz .LBB67_8
	s_branch .LBB67_11
.LBB67_7:
                                        ; implicit-def: $vgpr38_vgpr39_vgpr40_vgpr41_vgpr42_vgpr43_vgpr44_vgpr45_vgpr46_vgpr47_vgpr48_vgpr49_vgpr50_vgpr51_vgpr52_vgpr53_vgpr54_vgpr55_vgpr56_vgpr57_vgpr58_vgpr59_vgpr60_vgpr61_vgpr62_vgpr63_vgpr64_vgpr65_vgpr66_vgpr67_vgpr68_vgpr69
                                        ; kill: killed $vgpr38_vgpr39_vgpr40_vgpr41_vgpr42_vgpr43_vgpr44_vgpr45_vgpr46_vgpr47_vgpr48_vgpr49_vgpr50_vgpr51_vgpr52_vgpr53_vgpr54_vgpr55_vgpr56_vgpr57_vgpr58_vgpr59_vgpr60_vgpr61_vgpr62_vgpr63_vgpr64_vgpr65_vgpr66_vgpr67_vgpr68_vgpr69
                                        ; implicit-def: $vgpr38_vgpr39_vgpr40_vgpr41_vgpr42_vgpr43_vgpr44_vgpr45_vgpr46_vgpr47_vgpr48_vgpr49_vgpr50_vgpr51_vgpr52_vgpr53_vgpr54_vgpr55_vgpr56_vgpr57_vgpr58_vgpr59_vgpr60_vgpr61_vgpr62_vgpr63_vgpr64_vgpr65_vgpr66_vgpr67_vgpr68_vgpr69
                                        ; kill: killed $vgpr38_vgpr39_vgpr40_vgpr41_vgpr42_vgpr43_vgpr44_vgpr45_vgpr46_vgpr47_vgpr48_vgpr49_vgpr50_vgpr51_vgpr52_vgpr53_vgpr54_vgpr55_vgpr56_vgpr57_vgpr58_vgpr59_vgpr60_vgpr61_vgpr62_vgpr63_vgpr64_vgpr65_vgpr66_vgpr67_vgpr68_vgpr69
                                        ; implicit-def: $vgpr121
                                        ; implicit-def: $vgpr2_vgpr3_vgpr4_vgpr5_vgpr6_vgpr7_vgpr8_vgpr9_vgpr10_vgpr11_vgpr12_vgpr13_vgpr14_vgpr15_vgpr16_vgpr17_vgpr18_vgpr19_vgpr20_vgpr21_vgpr22_vgpr23_vgpr24_vgpr25_vgpr26_vgpr27_vgpr28_vgpr29_vgpr30_vgpr31_vgpr32_vgpr33
                                        ; implicit-def: $vgpr72_vgpr73_vgpr74_vgpr75_vgpr76_vgpr77_vgpr78_vgpr79_vgpr80_vgpr81_vgpr82_vgpr83_vgpr84_vgpr85_vgpr86_vgpr87_vgpr88_vgpr89_vgpr90_vgpr91_vgpr92_vgpr93_vgpr94_vgpr95_vgpr96_vgpr97_vgpr98_vgpr99_vgpr100_vgpr101_vgpr102_vgpr103
                                        ; implicit-def: $vgpr38_vgpr39_vgpr40_vgpr41_vgpr42_vgpr43_vgpr44_vgpr45_vgpr46_vgpr47_vgpr48_vgpr49_vgpr50_vgpr51_vgpr52_vgpr53_vgpr54_vgpr55_vgpr56_vgpr57_vgpr58_vgpr59_vgpr60_vgpr61_vgpr62_vgpr63_vgpr64_vgpr65_vgpr66_vgpr67_vgpr68_vgpr69
                                        ; kill: killed $vgpr38_vgpr39_vgpr40_vgpr41_vgpr42_vgpr43_vgpr44_vgpr45_vgpr46_vgpr47_vgpr48_vgpr49_vgpr50_vgpr51_vgpr52_vgpr53_vgpr54_vgpr55_vgpr56_vgpr57_vgpr58_vgpr59_vgpr60_vgpr61_vgpr62_vgpr63_vgpr64_vgpr65_vgpr66_vgpr67_vgpr68_vgpr69
                                        ; implicit-def: $vgpr38_vgpr39_vgpr40_vgpr41_vgpr42_vgpr43_vgpr44_vgpr45_vgpr46_vgpr47_vgpr48_vgpr49_vgpr50_vgpr51_vgpr52_vgpr53_vgpr54_vgpr55_vgpr56_vgpr57_vgpr58_vgpr59_vgpr60_vgpr61_vgpr62_vgpr63_vgpr64_vgpr65_vgpr66_vgpr67_vgpr68_vgpr69
                                        ; kill: killed $vgpr38_vgpr39_vgpr40_vgpr41_vgpr42_vgpr43_vgpr44_vgpr45_vgpr46_vgpr47_vgpr48_vgpr49_vgpr50_vgpr51_vgpr52_vgpr53_vgpr54_vgpr55_vgpr56_vgpr57_vgpr58_vgpr59_vgpr60_vgpr61_vgpr62_vgpr63_vgpr64_vgpr65_vgpr66_vgpr67_vgpr68_vgpr69
	;; [unrolled: 2-line block ×7, first 2 shown]
.LBB67_8:
	v_mov_b32_e32 v21, 0
	v_mov_b32_e32 v20, 0
	buffer_store_dword v0, off, s[40:43], 0 ; 4-byte Folded Spill
	s_nop 0
	buffer_store_dword v1, off, s[40:43], 0 offset:4 ; 4-byte Folded Spill
	buffer_store_dword v2, off, s[40:43], 0 offset:8 ; 4-byte Folded Spill
	;; [unrolled: 1-line block ×31, first 2 shown]
	v_mov_b32_e32 v19, 0
	v_mov_b32_e32 v18, 0
	;; [unrolled: 1-line block ×6, first 2 shown]
	buffer_store_dword v0, off, s[40:43], 0 offset:384 ; 4-byte Folded Spill
	s_nop 0
	buffer_store_dword v1, off, s[40:43], 0 offset:388 ; 4-byte Folded Spill
	buffer_store_dword v2, off, s[40:43], 0 offset:392 ; 4-byte Folded Spill
	buffer_store_dword v3, off, s[40:43], 0 offset:396 ; 4-byte Folded Spill
	buffer_store_dword v4, off, s[40:43], 0 offset:400 ; 4-byte Folded Spill
	buffer_store_dword v5, off, s[40:43], 0 offset:404 ; 4-byte Folded Spill
	buffer_store_dword v6, off, s[40:43], 0 offset:408 ; 4-byte Folded Spill
	buffer_store_dword v7, off, s[40:43], 0 offset:412 ; 4-byte Folded Spill
	buffer_store_dword v8, off, s[40:43], 0 offset:416 ; 4-byte Folded Spill
	buffer_store_dword v9, off, s[40:43], 0 offset:420 ; 4-byte Folded Spill
	buffer_store_dword v10, off, s[40:43], 0 offset:424 ; 4-byte Folded Spill
	buffer_store_dword v11, off, s[40:43], 0 offset:428 ; 4-byte Folded Spill
	buffer_store_dword v12, off, s[40:43], 0 offset:432 ; 4-byte Folded Spill
	buffer_store_dword v13, off, s[40:43], 0 offset:436 ; 4-byte Folded Spill
	buffer_store_dword v14, off, s[40:43], 0 offset:440 ; 4-byte Folded Spill
	buffer_store_dword v15, off, s[40:43], 0 offset:444 ; 4-byte Folded Spill
	buffer_store_dword v16, off, s[40:43], 0 offset:448 ; 4-byte Folded Spill
	buffer_store_dword v17, off, s[40:43], 0 offset:452 ; 4-byte Folded Spill
	buffer_store_dword v18, off, s[40:43], 0 offset:456 ; 4-byte Folded Spill
	buffer_store_dword v19, off, s[40:43], 0 offset:460 ; 4-byte Folded Spill
	buffer_store_dword v20, off, s[40:43], 0 offset:464 ; 4-byte Folded Spill
	buffer_store_dword v21, off, s[40:43], 0 offset:468 ; 4-byte Folded Spill
	buffer_store_dword v22, off, s[40:43], 0 offset:472 ; 4-byte Folded Spill
	buffer_store_dword v23, off, s[40:43], 0 offset:476 ; 4-byte Folded Spill
	buffer_store_dword v24, off, s[40:43], 0 offset:480 ; 4-byte Folded Spill
	buffer_store_dword v25, off, s[40:43], 0 offset:484 ; 4-byte Folded Spill
	buffer_store_dword v26, off, s[40:43], 0 offset:488 ; 4-byte Folded Spill
	buffer_store_dword v27, off, s[40:43], 0 offset:492 ; 4-byte Folded Spill
	buffer_store_dword v28, off, s[40:43], 0 offset:496 ; 4-byte Folded Spill
	buffer_store_dword v29, off, s[40:43], 0 offset:500 ; 4-byte Folded Spill
	buffer_store_dword v30, off, s[40:43], 0 offset:504 ; 4-byte Folded Spill
	buffer_store_dword v31, off, s[40:43], 0 offset:508 ; 4-byte Folded Spill
	v_mov_b32_e32 v17, 0
	v_mov_b32_e32 v16, 0
	buffer_store_dword v0, off, s[40:43], 0 offset:512 ; 4-byte Folded Spill
	s_nop 0
	buffer_store_dword v1, off, s[40:43], 0 offset:516 ; 4-byte Folded Spill
	buffer_store_dword v2, off, s[40:43], 0 offset:520 ; 4-byte Folded Spill
	buffer_store_dword v3, off, s[40:43], 0 offset:524 ; 4-byte Folded Spill
	buffer_store_dword v4, off, s[40:43], 0 offset:528 ; 4-byte Folded Spill
	buffer_store_dword v5, off, s[40:43], 0 offset:532 ; 4-byte Folded Spill
	buffer_store_dword v6, off, s[40:43], 0 offset:536 ; 4-byte Folded Spill
	buffer_store_dword v7, off, s[40:43], 0 offset:540 ; 4-byte Folded Spill
	buffer_store_dword v8, off, s[40:43], 0 offset:544 ; 4-byte Folded Spill
	buffer_store_dword v9, off, s[40:43], 0 offset:548 ; 4-byte Folded Spill
	buffer_store_dword v10, off, s[40:43], 0 offset:552 ; 4-byte Folded Spill
	buffer_store_dword v11, off, s[40:43], 0 offset:556 ; 4-byte Folded Spill
	buffer_store_dword v12, off, s[40:43], 0 offset:560 ; 4-byte Folded Spill
	buffer_store_dword v13, off, s[40:43], 0 offset:564 ; 4-byte Folded Spill
	buffer_store_dword v14, off, s[40:43], 0 offset:568 ; 4-byte Folded Spill
	buffer_store_dword v15, off, s[40:43], 0 offset:572 ; 4-byte Folded Spill
	buffer_store_dword v16, off, s[40:43], 0 offset:576 ; 4-byte Folded Spill
	buffer_store_dword v17, off, s[40:43], 0 offset:580 ; 4-byte Folded Spill
	buffer_store_dword v18, off, s[40:43], 0 offset:584 ; 4-byte Folded Spill
	buffer_store_dword v19, off, s[40:43], 0 offset:588 ; 4-byte Folded Spill
	buffer_store_dword v20, off, s[40:43], 0 offset:592 ; 4-byte Folded Spill
	buffer_store_dword v21, off, s[40:43], 0 offset:596 ; 4-byte Folded Spill
	buffer_store_dword v22, off, s[40:43], 0 offset:600 ; 4-byte Folded Spill
	buffer_store_dword v23, off, s[40:43], 0 offset:604 ; 4-byte Folded Spill
	buffer_store_dword v24, off, s[40:43], 0 offset:608 ; 4-byte Folded Spill
	buffer_store_dword v25, off, s[40:43], 0 offset:612 ; 4-byte Folded Spill
	buffer_store_dword v26, off, s[40:43], 0 offset:616 ; 4-byte Folded Spill
	buffer_store_dword v27, off, s[40:43], 0 offset:620 ; 4-byte Folded Spill
	buffer_store_dword v28, off, s[40:43], 0 offset:624 ; 4-byte Folded Spill
	buffer_store_dword v29, off, s[40:43], 0 offset:628 ; 4-byte Folded Spill
	buffer_store_dword v30, off, s[40:43], 0 offset:632 ; 4-byte Folded Spill
	buffer_store_dword v31, off, s[40:43], 0 offset:636 ; 4-byte Folded Spill
	v_mov_b32_e32 v15, 0
	v_mov_b32_e32 v14, 0
	;; [unrolled: 35-line block ×8, first 2 shown]
	s_and_saveexec_b64 s[2:3], s[0:1]
	s_cbranch_execz .LBB67_10
; %bb.9:
	s_load_dwordx2 s[28:29], s[4:5], 0x38
	s_load_dwordx2 s[38:39], s[4:5], 0x20
	s_mul_hi_i32 s37, s19, s6
	s_mul_i32 s36, s19, s6
	s_lshl_b64 s[36:37], s[36:37], 1
	s_waitcnt lgkmcnt(0)
	s_add_u32 s28, s28, s36
	s_addc_u32 s14, s29, s37
	s_mov_b32 s31, 0x20000
	s_and_b32 s29, s14, 0xffff
	v_lshlrev_b32_e32 v52, 1, v1
	s_movk_i32 s14, 0x400
	s_movk_i32 s17, 0x800
	buffer_load_dwordx4 v[6:9], v52, s[28:31], s14 offen glc slc
	buffer_load_dwordx4 v[10:13], v52, s[28:31], s17 offen glc slc
	;; [unrolled: 1-line block ×3, first 2 shown]
	s_waitcnt vmcnt(62)
	v_cvt_f32_f16_sdwa v29, v36 dst_sel:DWORD dst_unused:UNUSED_PAD src0_sel:WORD_1
	v_cvt_f32_f16_e32 v28, v36
	v_cvt_f32_f16_sdwa v31, v37 dst_sel:DWORD dst_unused:UNUSED_PAD src0_sel:WORD_1
	v_cvt_f32_f16_e32 v30, v37
	v_cvt_f32_f16_sdwa v37, v115 dst_sel:DWORD dst_unused:UNUSED_PAD src0_sel:WORD_1
	v_cvt_f32_f16_e32 v36, v115
	v_cvt_f32_f16_sdwa v5, v34 dst_sel:DWORD dst_unused:UNUSED_PAD src0_sel:WORD_1
	v_cvt_f32_f16_e32 v4, v34
	v_cvt_f32_f16_sdwa v27, v35 dst_sel:DWORD dst_unused:UNUSED_PAD src0_sel:WORD_1
	v_cvt_f32_f16_e32 v26, v35
	v_cvt_f32_f16_sdwa v35, v114 dst_sel:DWORD dst_unused:UNUSED_PAD src0_sel:WORD_1
	v_cvt_f32_f16_e32 v34, v114
	v_cvt_f32_f16_sdwa v19, v116 dst_sel:DWORD dst_unused:UNUSED_PAD src0_sel:WORD_1
	v_cvt_f32_f16_e32 v18, v116
	v_cvt_f32_f16_sdwa v21, v117 dst_sel:DWORD dst_unused:UNUSED_PAD src0_sel:WORD_1
	v_cvt_f32_f16_e32 v20, v117
	v_cvt_f32_f16_sdwa v23, v118 dst_sel:DWORD dst_unused:UNUSED_PAD src0_sel:WORD_1
	v_cvt_f32_f16_e32 v22, v118
	v_cvt_f32_f16_sdwa v25, v119 dst_sel:DWORD dst_unused:UNUSED_PAD src0_sel:WORD_1
	v_cvt_f32_f16_e32 v24, v119
	v_cvt_f32_f16_sdwa v33, v113 dst_sel:DWORD dst_unused:UNUSED_PAD src0_sel:WORD_1
	v_cvt_f32_f16_e32 v32, v113
	v_cvt_f32_f16_sdwa v3, v112 dst_sel:DWORD dst_unused:UNUSED_PAD src0_sel:WORD_1
	v_cvt_f32_f16_e32 v2, v112
	s_mul_hi_i32 s27, s26, s6
	s_mul_i32 s26, s26, s6
	s_lshl_b64 s[26:27], s[26:27], 1
	s_add_u32 s28, s38, s26
	s_addc_u32 s19, s39, s27
	s_and_b32 s29, s19, 0xffff
	s_waitcnt vmcnt(1)
	v_cvt_f32_f16_e32 v46, v10
	v_cvt_f32_f16_e32 v42, v8
	v_cvt_f32_f16_sdwa v43, v8 dst_sel:DWORD dst_unused:UNUSED_PAD src0_sel:WORD_1
	v_cvt_f32_f16_e32 v44, v9
	v_cvt_f32_f16_sdwa v45, v9 dst_sel:DWORD dst_unused:UNUSED_PAD src0_sel:WORD_1
	s_waitcnt vmcnt(0)
	v_cvt_f32_f16_e32 v8, v16
	v_cvt_f32_f16_sdwa v9, v16 dst_sel:DWORD dst_unused:UNUSED_PAD src0_sel:WORD_1
	v_cvt_f32_f16_e32 v16, v17
	v_cvt_f32_f16_sdwa v17, v17 dst_sel:DWORD dst_unused:UNUSED_PAD src0_sel:WORD_1
	;; [unrolled: 2-line block ×4, first 2 shown]
	v_cvt_f32_f16_sdwa v47, v10 dst_sel:DWORD dst_unused:UNUSED_PAD src0_sel:WORD_1
	v_cvt_f32_f16_e32 v10, v11
	v_cvt_f32_f16_sdwa v11, v11 dst_sel:DWORD dst_unused:UNUSED_PAD src0_sel:WORD_1
	v_cvt_f32_f16_e32 v50, v12
	;; [unrolled: 2-line block ×5, first 2 shown]
	v_cvt_f32_f16_sdwa v7, v15 dst_sel:DWORD dst_unused:UNUSED_PAD src0_sel:WORD_1
	v_pk_add_f32 v[14:15], v[36:37], v[16:17]
	v_pk_add_f32 v[34:35], v[34:35], v[8:9]
	v_pk_mov_b32 v[16:17], v[14:15], v[14:15] op_sel:[0,1]
	v_cvt_f16_f32_e32 v8, v35
	v_cvt_f16_f32_e32 v9, v15
	buffer_store_dword v10, off, s[40:43], 0 offset:768 ; 4-byte Folded Spill
	s_nop 0
	buffer_store_dword v11, off, s[40:43], 0 offset:772 ; 4-byte Folded Spill
	buffer_store_dword v12, off, s[40:43], 0 offset:776 ; 4-byte Folded Spill
	;; [unrolled: 1-line block ×31, first 2 shown]
	v_pk_add_f32 v[2:3], v[2:3], v[48:49]
	v_cvt_f16_f32_e32 v14, v14
	v_pk_mov_b32 v[16:17], v[34:35], v[34:35] op_sel:[0,1]
	buffer_store_dword v12, off, s[40:43], 0 offset:896 ; 4-byte Folded Spill
	s_nop 0
	buffer_store_dword v13, off, s[40:43], 0 offset:900 ; 4-byte Folded Spill
	buffer_store_dword v14, off, s[40:43], 0 offset:904 ; 4-byte Folded Spill
	;; [unrolled: 1-line block ×31, first 2 shown]
	v_pk_add_f32 v[74:75], v[32:33], v[6:7]
	v_cvt_f16_f32_e32 v6, v75
	v_cvt_f16_f32_e32 v7, v74
	;; [unrolled: 1-line block ×3, first 2 shown]
	v_pack_b32_f16 v9, v14, v9
	v_cvt_f16_f32_e32 v14, v2
	v_pack_b32_f16 v7, v7, v6
	v_cvt_f16_f32_e32 v6, v3
	v_pack_b32_f16 v8, v15, v8
	v_pk_add_f32 v[22:23], v[22:23], v[42:43]
	v_pack_b32_f16 v6, v14, v6
	v_pk_add_f32 v[14:15], v[24:25], v[44:45]
	buffer_store_dwordx4 v[6:9], v52, s[28:31], 0 offen glc slc
	v_pk_mov_b32 v[16:17], v[14:15], v[14:15] op_sel:[0,1]
	v_cvt_f16_f32_e32 v6, v22
	v_cvt_f16_f32_e32 v7, v14
	buffer_store_dword v2, off, s[40:43], 0 offset:128 ; 4-byte Folded Spill
	s_nop 0
	buffer_store_dword v3, off, s[40:43], 0 offset:132 ; 4-byte Folded Spill
	buffer_store_dword v4, off, s[40:43], 0 offset:136 ; 4-byte Folded Spill
	;; [unrolled: 1-line block ×31, first 2 shown]
	v_cvt_f16_f32_e32 v8, v15
	v_pk_mov_b32 v[14:15], v[22:23], v[22:23] op_sel:[0,1]
	buffer_store_dword v2, off, s[40:43], 0 offset:256 ; 4-byte Folded Spill
	s_nop 0
	buffer_store_dword v3, off, s[40:43], 0 offset:260 ; 4-byte Folded Spill
	buffer_store_dword v4, off, s[40:43], 0 offset:264 ; 4-byte Folded Spill
	;; [unrolled: 1-line block ×31, first 2 shown]
	v_cvt_f16_f32_e32 v14, v23
	v_pack_b32_f16 v9, v7, v8
	v_pack_b32_f16 v8, v6, v14
	v_pk_add_f32 v[14:15], v[20:21], v[40:41]
	v_cvt_f16_f32_e32 v6, v14
	v_pk_mov_b32 v[16:17], v[14:15], v[14:15] op_sel:[0,1]
	buffer_store_dword v6, off, s[40:43], 0 offset:640 ; 4-byte Folded Spill
	s_nop 0
	buffer_store_dword v7, off, s[40:43], 0 offset:644 ; 4-byte Folded Spill
	buffer_store_dword v8, off, s[40:43], 0 offset:648 ; 4-byte Folded Spill
	buffer_store_dword v9, off, s[40:43], 0 offset:652 ; 4-byte Folded Spill
	buffer_store_dword v10, off, s[40:43], 0 offset:656 ; 4-byte Folded Spill
	buffer_store_dword v11, off, s[40:43], 0 offset:660 ; 4-byte Folded Spill
	buffer_store_dword v12, off, s[40:43], 0 offset:664 ; 4-byte Folded Spill
	buffer_store_dword v13, off, s[40:43], 0 offset:668 ; 4-byte Folded Spill
	buffer_store_dword v14, off, s[40:43], 0 offset:672 ; 4-byte Folded Spill
	buffer_store_dword v15, off, s[40:43], 0 offset:676 ; 4-byte Folded Spill
	buffer_store_dword v16, off, s[40:43], 0 offset:680 ; 4-byte Folded Spill
	buffer_store_dword v17, off, s[40:43], 0 offset:684 ; 4-byte Folded Spill
	buffer_store_dword v18, off, s[40:43], 0 offset:688 ; 4-byte Folded Spill
	buffer_store_dword v19, off, s[40:43], 0 offset:692 ; 4-byte Folded Spill
	buffer_store_dword v20, off, s[40:43], 0 offset:696 ; 4-byte Folded Spill
	buffer_store_dword v21, off, s[40:43], 0 offset:700 ; 4-byte Folded Spill
	buffer_store_dword v22, off, s[40:43], 0 offset:704 ; 4-byte Folded Spill
	buffer_store_dword v23, off, s[40:43], 0 offset:708 ; 4-byte Folded Spill
	buffer_store_dword v24, off, s[40:43], 0 offset:712 ; 4-byte Folded Spill
	buffer_store_dword v25, off, s[40:43], 0 offset:716 ; 4-byte Folded Spill
	buffer_store_dword v26, off, s[40:43], 0 offset:720 ; 4-byte Folded Spill
	buffer_store_dword v27, off, s[40:43], 0 offset:724 ; 4-byte Folded Spill
	buffer_store_dword v28, off, s[40:43], 0 offset:728 ; 4-byte Folded Spill
	buffer_store_dword v29, off, s[40:43], 0 offset:732 ; 4-byte Folded Spill
	buffer_store_dword v30, off, s[40:43], 0 offset:736 ; 4-byte Folded Spill
	buffer_store_dword v31, off, s[40:43], 0 offset:740 ; 4-byte Folded Spill
	buffer_store_dword v32, off, s[40:43], 0 offset:744 ; 4-byte Folded Spill
	buffer_store_dword v33, off, s[40:43], 0 offset:748 ; 4-byte Folded Spill
	buffer_store_dword v34, off, s[40:43], 0 offset:752 ; 4-byte Folded Spill
	buffer_store_dword v35, off, s[40:43], 0 offset:756 ; 4-byte Folded Spill
	buffer_store_dword v36, off, s[40:43], 0 offset:760 ; 4-byte Folded Spill
	buffer_store_dword v37, off, s[40:43], 0 offset:764 ; 4-byte Folded Spill
	v_cvt_f16_f32_e32 v7, v15
	v_pk_add_f32 v[14:15], v[18:19], v[38:39]
	v_pk_mov_b32 v[16:17], v[14:15], v[14:15] op_sel:[0,1]
	v_pack_b32_f16 v7, v6, v7
	v_cvt_f16_f32_e32 v6, v14
	buffer_store_dword v8, off, s[40:43], 0 offset:1024 ; 4-byte Folded Spill
	s_nop 0
	buffer_store_dword v9, off, s[40:43], 0 offset:1028 ; 4-byte Folded Spill
	buffer_store_dword v10, off, s[40:43], 0 offset:1032 ; 4-byte Folded Spill
	;; [unrolled: 1-line block ×31, first 2 shown]
	;;#ASMSTART
	s_nop 0
	;;#ASMEND
	v_cvt_f16_f32_e32 v14, v15
	v_pk_add_f32 v[120:121], v[30:31], v[12:13]
	v_pk_add_f32 v[20:21], v[28:29], v[50:51]
	v_pk_mov_b32 v[22:23], v[20:21], v[20:21] op_sel:[0,1]
	v_pack_b32_f16 v6, v6, v14
	buffer_store_dwordx4 v[6:9], v52, s[28:31], s14 offen glc slc
	v_cvt_f16_f32_e32 v6, v20
	v_cvt_f16_f32_e32 v7, v120
	;; [unrolled: 1-line block ×3, first 2 shown]
	buffer_store_dword v2, off, s[40:43], 0 ; 4-byte Folded Spill
	s_nop 0
	buffer_store_dword v3, off, s[40:43], 0 offset:4 ; 4-byte Folded Spill
	buffer_store_dword v4, off, s[40:43], 0 offset:8 ; 4-byte Folded Spill
	;; [unrolled: 1-line block ×31, first 2 shown]
	v_cvt_f16_f32_e32 v12, v21
	v_pk_add_f32 v[18:19], v[26:27], v[10:11]
	v_pack_b32_f16 v9, v7, v8
	v_pk_mov_b32 v[20:21], v[18:19], v[18:19] op_sel:[0,1]
	v_pack_b32_f16 v8, v6, v12
	v_cvt_f16_f32_e32 v6, v18
	buffer_store_dword v2, off, s[40:43], 0 offset:384 ; 4-byte Folded Spill
	s_nop 0
	buffer_store_dword v3, off, s[40:43], 0 offset:388 ; 4-byte Folded Spill
	buffer_store_dword v4, off, s[40:43], 0 offset:392 ; 4-byte Folded Spill
	;; [unrolled: 1-line block ×31, first 2 shown]
	v_cvt_f16_f32_e32 v7, v19
	v_pk_add_f32 v[16:17], v[4:5], v[46:47]
	v_cvt_f16_f32_e32 v4, v16
	v_pk_mov_b32 v[18:19], v[16:17], v[16:17] op_sel:[0,1]
	v_pack_b32_f16 v7, v6, v7
	buffer_store_dword v2, off, s[40:43], 0 offset:512 ; 4-byte Folded Spill
	s_nop 0
	buffer_store_dword v3, off, s[40:43], 0 offset:516 ; 4-byte Folded Spill
	buffer_store_dword v4, off, s[40:43], 0 offset:520 ; 4-byte Folded Spill
	;; [unrolled: 1-line block ×31, first 2 shown]
	;;#ASMSTART
	s_nop 0
	;;#ASMEND
	v_cvt_f16_f32_e32 v5, v17
	v_pack_b32_f16 v6, v4, v5
	buffer_store_dwordx4 v[6:9], v52, s[28:31], s17 offen glc slc
	;;#ASMSTART
	s_nop 0
	;;#ASMEND
.LBB67_10:
	s_or_b64 exec, exec, s[2:3]
.LBB67_11:
	buffer_load_dword v6, off, s[40:43], 0 offset:896 ; 4-byte Folded Reload
	buffer_load_dword v7, off, s[40:43], 0 offset:900 ; 4-byte Folded Reload
	;; [unrolled: 1-line block ×32, first 2 shown]
	v_mul_f32_e32 v4, v3, v3
	v_fmac_f32_e32 v4, v2, v2
	v_fmac_f32_e32 v4, v74, v74
	;; [unrolled: 1-line block ×3, first 2 shown]
	s_waitcnt vmcnt(26)
	v_pk_mov_b32 v[6:7], v[10:11], v[10:11] op_sel:[0,1]
	v_fmac_f32_e32 v4, v6, v6
	v_fmac_f32_e32 v4, v7, v7
	buffer_load_dword v6, off, s[40:43], 0 offset:768 ; 4-byte Folded Reload
	buffer_load_dword v7, off, s[40:43], 0 offset:772 ; 4-byte Folded Reload
	buffer_load_dword v8, off, s[40:43], 0 offset:776 ; 4-byte Folded Reload
	buffer_load_dword v9, off, s[40:43], 0 offset:780 ; 4-byte Folded Reload
	buffer_load_dword v10, off, s[40:43], 0 offset:784 ; 4-byte Folded Reload
	buffer_load_dword v11, off, s[40:43], 0 offset:788 ; 4-byte Folded Reload
	buffer_load_dword v12, off, s[40:43], 0 offset:792 ; 4-byte Folded Reload
	buffer_load_dword v13, off, s[40:43], 0 offset:796 ; 4-byte Folded Reload
	buffer_load_dword v14, off, s[40:43], 0 offset:800 ; 4-byte Folded Reload
	buffer_load_dword v15, off, s[40:43], 0 offset:804 ; 4-byte Folded Reload
	buffer_load_dword v16, off, s[40:43], 0 offset:808 ; 4-byte Folded Reload
	buffer_load_dword v17, off, s[40:43], 0 offset:812 ; 4-byte Folded Reload
	buffer_load_dword v18, off, s[40:43], 0 offset:816 ; 4-byte Folded Reload
	buffer_load_dword v19, off, s[40:43], 0 offset:820 ; 4-byte Folded Reload
	buffer_load_dword v20, off, s[40:43], 0 offset:824 ; 4-byte Folded Reload
	buffer_load_dword v21, off, s[40:43], 0 offset:828 ; 4-byte Folded Reload
	buffer_load_dword v22, off, s[40:43], 0 offset:832 ; 4-byte Folded Reload
	buffer_load_dword v23, off, s[40:43], 0 offset:836 ; 4-byte Folded Reload
	buffer_load_dword v24, off, s[40:43], 0 offset:840 ; 4-byte Folded Reload
	buffer_load_dword v25, off, s[40:43], 0 offset:844 ; 4-byte Folded Reload
	buffer_load_dword v26, off, s[40:43], 0 offset:848 ; 4-byte Folded Reload
	buffer_load_dword v27, off, s[40:43], 0 offset:852 ; 4-byte Folded Reload
	buffer_load_dword v28, off, s[40:43], 0 offset:856 ; 4-byte Folded Reload
	buffer_load_dword v29, off, s[40:43], 0 offset:860 ; 4-byte Folded Reload
	buffer_load_dword v30, off, s[40:43], 0 offset:864 ; 4-byte Folded Reload
	buffer_load_dword v31, off, s[40:43], 0 offset:868 ; 4-byte Folded Reload
	buffer_load_dword v32, off, s[40:43], 0 offset:872 ; 4-byte Folded Reload
	buffer_load_dword v33, off, s[40:43], 0 offset:876 ; 4-byte Folded Reload
	buffer_load_dword v34, off, s[40:43], 0 offset:880 ; 4-byte Folded Reload
	buffer_load_dword v35, off, s[40:43], 0 offset:884 ; 4-byte Folded Reload
	buffer_load_dword v36, off, s[40:43], 0 offset:888 ; 4-byte Folded Reload
	buffer_load_dword v37, off, s[40:43], 0 offset:892 ; 4-byte Folded Reload
	s_waitcnt vmcnt(24)
	v_pk_mov_b32 v[6:7], v[12:13], v[12:13] op_sel:[0,1]
	v_fmac_f32_e32 v4, v6, v6
	v_fmac_f32_e32 v4, v7, v7
	buffer_load_dword v6, off, s[40:43], 0 offset:1024 ; 4-byte Folded Reload
	buffer_load_dword v7, off, s[40:43], 0 offset:1028 ; 4-byte Folded Reload
	buffer_load_dword v8, off, s[40:43], 0 offset:1032 ; 4-byte Folded Reload
	buffer_load_dword v9, off, s[40:43], 0 offset:1036 ; 4-byte Folded Reload
	buffer_load_dword v10, off, s[40:43], 0 offset:1040 ; 4-byte Folded Reload
	buffer_load_dword v11, off, s[40:43], 0 offset:1044 ; 4-byte Folded Reload
	buffer_load_dword v12, off, s[40:43], 0 offset:1048 ; 4-byte Folded Reload
	buffer_load_dword v13, off, s[40:43], 0 offset:1052 ; 4-byte Folded Reload
	buffer_load_dword v14, off, s[40:43], 0 offset:1056 ; 4-byte Folded Reload
	buffer_load_dword v15, off, s[40:43], 0 offset:1060 ; 4-byte Folded Reload
	buffer_load_dword v16, off, s[40:43], 0 offset:1064 ; 4-byte Folded Reload
	buffer_load_dword v17, off, s[40:43], 0 offset:1068 ; 4-byte Folded Reload
	buffer_load_dword v18, off, s[40:43], 0 offset:1072 ; 4-byte Folded Reload
	buffer_load_dword v19, off, s[40:43], 0 offset:1076 ; 4-byte Folded Reload
	buffer_load_dword v20, off, s[40:43], 0 offset:1080 ; 4-byte Folded Reload
	buffer_load_dword v21, off, s[40:43], 0 offset:1084 ; 4-byte Folded Reload
	buffer_load_dword v22, off, s[40:43], 0 offset:1088 ; 4-byte Folded Reload
	buffer_load_dword v23, off, s[40:43], 0 offset:1092 ; 4-byte Folded Reload
	buffer_load_dword v24, off, s[40:43], 0 offset:1096 ; 4-byte Folded Reload
	buffer_load_dword v25, off, s[40:43], 0 offset:1100 ; 4-byte Folded Reload
	buffer_load_dword v26, off, s[40:43], 0 offset:1104 ; 4-byte Folded Reload
	buffer_load_dword v27, off, s[40:43], 0 offset:1108 ; 4-byte Folded Reload
	buffer_load_dword v28, off, s[40:43], 0 offset:1112 ; 4-byte Folded Reload
	buffer_load_dword v29, off, s[40:43], 0 offset:1116 ; 4-byte Folded Reload
	buffer_load_dword v30, off, s[40:43], 0 offset:1120 ; 4-byte Folded Reload
	buffer_load_dword v31, off, s[40:43], 0 offset:1124 ; 4-byte Folded Reload
	buffer_load_dword v32, off, s[40:43], 0 offset:1128 ; 4-byte Folded Reload
	buffer_load_dword v33, off, s[40:43], 0 offset:1132 ; 4-byte Folded Reload
	buffer_load_dword v34, off, s[40:43], 0 offset:1136 ; 4-byte Folded Reload
	buffer_load_dword v35, off, s[40:43], 0 offset:1140 ; 4-byte Folded Reload
	buffer_load_dword v36, off, s[40:43], 0 offset:1144 ; 4-byte Folded Reload
	buffer_load_dword v37, off, s[40:43], 0 offset:1148 ; 4-byte Folded Reload
	;; [unrolled: 36-line block ×7, first 2 shown]
	s_waitcnt vmcnt(12)
	v_pk_mov_b32 v[18:19], v[24:25], v[24:25] op_sel:[0,1]
	v_fmac_f32_e32 v4, v18, v18
	v_fmac_f32_e32 v4, v19, v19
	buffer_load_dword v6, off, s[40:43], 0  ; 4-byte Folded Reload
	buffer_load_dword v7, off, s[40:43], 0 offset:4 ; 4-byte Folded Reload
	buffer_load_dword v8, off, s[40:43], 0 offset:8 ; 4-byte Folded Reload
	;; [unrolled: 1-line block ×31, first 2 shown]
	s_waitcnt vmcnt(10)
	v_pk_mov_b32 v[20:21], v[26:27], v[26:27] op_sel:[0,1]
	v_fmac_f32_e32 v4, v20, v20
	v_fmac_f32_e32 v4, v21, v21
	;; [unrolled: 1-line block ×4, first 2 shown]
	s_nop 1
	v_mov_b32_dpp v5, v4 quad_perm:[1,0,3,2] row_mask:0xf bank_mask:0xf
	v_add_f32_e32 v4, v4, v5
	s_nop 1
	v_mov_b32_dpp v5, v4 quad_perm:[2,3,0,1] row_mask:0xf bank_mask:0xf
	v_add_f32_e32 v4, v4, v5
	s_nop 1
	v_mov_b32_dpp v5, v4 row_half_mirror row_mask:0xf bank_mask:0xf
	v_add_f32_e32 v4, v4, v5
	s_nop 1
	v_mov_b32_dpp v5, v4 row_mirror row_mask:0xf bank_mask:0xf
	v_add_f32_e32 v4, v4, v5
	s_nop 1
	v_mov_b32_dpp v5, v4 row_bcast:15 row_mask:0xf bank_mask:0xf
	v_add_f32_e32 v4, v4, v5
	v_and_b32_e32 v5, 63, v0
	v_cmp_eq_u32_e64 s[2:3], 63, v5
	s_nop 0
	v_mov_b32_dpp v5, v4 row_bcast:31 row_mask:0xf bank_mask:0xf
	s_waitcnt lgkmcnt(0)
	s_and_saveexec_b64 s[26:27], s[2:3]
	s_cbranch_execz .LBB67_13
; %bb.12:
	v_add_f32_e32 v4, v4, v5
	v_lshrrev_b32_e32 v5, 4, v0
	v_and_b32_e32 v5, 60, v5
	ds_write_b32 v5, v4 offset:32
.LBB67_13:
	s_or_b64 exec, exec, s[26:27]
	v_and_b32_e32 v4, 3, v0
	v_lshlrev_b32_e32 v50, 2, v4
	s_waitcnt lgkmcnt(0)
	s_barrier
	ds_read_b32 v4, v50 offset:32
	s_load_dwordx2 s[26:27], s[4:5], 0x18
	s_waitcnt lgkmcnt(0)
	v_mov_b32_dpp v5, v4 quad_perm:[1,0,3,2] row_mask:0xf bank_mask:0xf
	v_add_f32_e32 v4, v4, v5
	s_nop 1
	v_mov_b32_dpp v5, v4 quad_perm:[2,3,0,1] row_mask:0xf bank_mask:0xf
	s_and_saveexec_b64 s[28:29], s[0:1]
	s_cbranch_execnz .LBB67_18
; %bb.14:
	s_or_b64 exec, exec, s[28:29]
	s_mov_b64 s[8:9], -1
	s_and_b64 vcc, exec, s[22:23]
	s_cbranch_vccnz .LBB67_19
.LBB67_15:
	s_andn2_b64 vcc, exec, s[8:9]
	s_cbranch_vccz .LBB67_22
.LBB67_16:
	s_cmp_lt_i32 s16, 1
	s_cbranch_scc0 .LBB67_33
.LBB67_17:
	s_endpgm
.LBB67_18:
	v_add_f32_e32 v4, v4, v5
	v_cvt_f32_u32_e32 v5, s7
	s_mov_b32 s7, 0x800000
	v_div_scale_f32 v6, s[36:37], v5, v5, v4
	v_rcp_f32_e32 v7, v6
	v_fma_f32 v8, -v6, v7, 1.0
	v_fmac_f32_e32 v7, v8, v7
	v_div_scale_f32 v8, vcc, v4, v5, v4
	v_mul_f32_e32 v9, v8, v7
	v_fma_f32 v10, -v6, v9, v8
	v_fmac_f32_e32 v9, v10, v7
	v_fma_f32 v6, -v6, v9, v8
	v_div_fmas_f32 v6, v6, v7, v9
	v_div_fixup_f32 v4, v6, v5, v4
	v_mov_b32_e32 v5, s13
	v_mov_b32_e32 v6, s12
	v_cndmask_b32_e64 v5, v5, v6, s[8:9]
	v_add_f32_e32 v4, v5, v4
	v_mul_f32_e32 v5, 0x4b800000, v4
	v_cmp_gt_f32_e32 vcc, s7, v4
	v_cndmask_b32_e32 v4, v4, v5, vcc
	v_rsq_f32_e32 v4, v4
	v_mul_f32_e32 v5, 0x45800000, v4
	v_cndmask_b32_e32 v4, v4, v5, vcc
	v_mov_b32_e32 v5, v4
	;;#ASMSTART
	v_pk_mul_f32 v[2:3], v[2:3], v[4:5]
	;;#ASMEND
	;;#ASMSTART
	v_pk_mul_f32 v[6:7], v[74:75], v[4:5]
	;;#ASMEND
	buffer_load_dword v8, off, s[40:43], 0 offset:896 ; 4-byte Folded Reload
	buffer_load_dword v9, off, s[40:43], 0 offset:900 ; 4-byte Folded Reload
	buffer_load_dword v10, off, s[40:43], 0 offset:904 ; 4-byte Folded Reload
	buffer_load_dword v11, off, s[40:43], 0 offset:908 ; 4-byte Folded Reload
	buffer_load_dword v12, off, s[40:43], 0 offset:912 ; 4-byte Folded Reload
	buffer_load_dword v13, off, s[40:43], 0 offset:916 ; 4-byte Folded Reload
	buffer_load_dword v14, off, s[40:43], 0 offset:920 ; 4-byte Folded Reload
	buffer_load_dword v15, off, s[40:43], 0 offset:924 ; 4-byte Folded Reload
	buffer_load_dword v16, off, s[40:43], 0 offset:928 ; 4-byte Folded Reload
	buffer_load_dword v17, off, s[40:43], 0 offset:932 ; 4-byte Folded Reload
	buffer_load_dword v18, off, s[40:43], 0 offset:936 ; 4-byte Folded Reload
	buffer_load_dword v19, off, s[40:43], 0 offset:940 ; 4-byte Folded Reload
	buffer_load_dword v20, off, s[40:43], 0 offset:944 ; 4-byte Folded Reload
	buffer_load_dword v21, off, s[40:43], 0 offset:948 ; 4-byte Folded Reload
	buffer_load_dword v22, off, s[40:43], 0 offset:952 ; 4-byte Folded Reload
	buffer_load_dword v23, off, s[40:43], 0 offset:956 ; 4-byte Folded Reload
	buffer_load_dword v24, off, s[40:43], 0 offset:960 ; 4-byte Folded Reload
	buffer_load_dword v25, off, s[40:43], 0 offset:964 ; 4-byte Folded Reload
	buffer_load_dword v26, off, s[40:43], 0 offset:968 ; 4-byte Folded Reload
	buffer_load_dword v27, off, s[40:43], 0 offset:972 ; 4-byte Folded Reload
	buffer_load_dword v28, off, s[40:43], 0 offset:976 ; 4-byte Folded Reload
	buffer_load_dword v29, off, s[40:43], 0 offset:980 ; 4-byte Folded Reload
	buffer_load_dword v30, off, s[40:43], 0 offset:984 ; 4-byte Folded Reload
	buffer_load_dword v31, off, s[40:43], 0 offset:988 ; 4-byte Folded Reload
	buffer_load_dword v32, off, s[40:43], 0 offset:992 ; 4-byte Folded Reload
	buffer_load_dword v33, off, s[40:43], 0 offset:996 ; 4-byte Folded Reload
	buffer_load_dword v34, off, s[40:43], 0 offset:1000 ; 4-byte Folded Reload
	buffer_load_dword v35, off, s[40:43], 0 offset:1004 ; 4-byte Folded Reload
	buffer_load_dword v36, off, s[40:43], 0 offset:1008 ; 4-byte Folded Reload
	buffer_load_dword v37, off, s[40:43], 0 offset:1012 ; 4-byte Folded Reload
	buffer_load_dword v38, off, s[40:43], 0 offset:1016 ; 4-byte Folded Reload
	buffer_load_dword v39, off, s[40:43], 0 offset:1020 ; 4-byte Folded Reload
	s_waitcnt vmcnt(26)
	;;#ASMSTART
	v_pk_mul_f32 v[8:9], v[12:13], v[4:5]
	;;#ASMEND
	buffer_load_dword v10, off, s[40:43], 0 offset:768 ; 4-byte Folded Reload
	buffer_load_dword v11, off, s[40:43], 0 offset:772 ; 4-byte Folded Reload
	buffer_load_dword v12, off, s[40:43], 0 offset:776 ; 4-byte Folded Reload
	buffer_load_dword v13, off, s[40:43], 0 offset:780 ; 4-byte Folded Reload
	buffer_load_dword v14, off, s[40:43], 0 offset:784 ; 4-byte Folded Reload
	buffer_load_dword v15, off, s[40:43], 0 offset:788 ; 4-byte Folded Reload
	buffer_load_dword v16, off, s[40:43], 0 offset:792 ; 4-byte Folded Reload
	buffer_load_dword v17, off, s[40:43], 0 offset:796 ; 4-byte Folded Reload
	buffer_load_dword v18, off, s[40:43], 0 offset:800 ; 4-byte Folded Reload
	buffer_load_dword v19, off, s[40:43], 0 offset:804 ; 4-byte Folded Reload
	buffer_load_dword v20, off, s[40:43], 0 offset:808 ; 4-byte Folded Reload
	buffer_load_dword v21, off, s[40:43], 0 offset:812 ; 4-byte Folded Reload
	buffer_load_dword v22, off, s[40:43], 0 offset:816 ; 4-byte Folded Reload
	buffer_load_dword v23, off, s[40:43], 0 offset:820 ; 4-byte Folded Reload
	buffer_load_dword v24, off, s[40:43], 0 offset:824 ; 4-byte Folded Reload
	buffer_load_dword v25, off, s[40:43], 0 offset:828 ; 4-byte Folded Reload
	buffer_load_dword v26, off, s[40:43], 0 offset:832 ; 4-byte Folded Reload
	buffer_load_dword v27, off, s[40:43], 0 offset:836 ; 4-byte Folded Reload
	buffer_load_dword v28, off, s[40:43], 0 offset:840 ; 4-byte Folded Reload
	buffer_load_dword v29, off, s[40:43], 0 offset:844 ; 4-byte Folded Reload
	buffer_load_dword v30, off, s[40:43], 0 offset:848 ; 4-byte Folded Reload
	buffer_load_dword v31, off, s[40:43], 0 offset:852 ; 4-byte Folded Reload
	buffer_load_dword v32, off, s[40:43], 0 offset:856 ; 4-byte Folded Reload
	buffer_load_dword v33, off, s[40:43], 0 offset:860 ; 4-byte Folded Reload
	buffer_load_dword v34, off, s[40:43], 0 offset:864 ; 4-byte Folded Reload
	buffer_load_dword v35, off, s[40:43], 0 offset:868 ; 4-byte Folded Reload
	buffer_load_dword v36, off, s[40:43], 0 offset:872 ; 4-byte Folded Reload
	buffer_load_dword v37, off, s[40:43], 0 offset:876 ; 4-byte Folded Reload
	buffer_load_dword v38, off, s[40:43], 0 offset:880 ; 4-byte Folded Reload
	buffer_load_dword v39, off, s[40:43], 0 offset:884 ; 4-byte Folded Reload
	buffer_load_dword v40, off, s[40:43], 0 offset:888 ; 4-byte Folded Reload
	buffer_load_dword v41, off, s[40:43], 0 offset:892 ; 4-byte Folded Reload
	s_waitcnt vmcnt(24)
	;; [unrolled: 36-line block ×6, first 2 shown]
	v_cvt_f32_f16_sdwa v27, v108 dst_sel:DWORD dst_unused:UNUSED_PAD src0_sel:WORD_1
	v_cvt_f32_f16_e32 v26, v108
	s_waitcnt vmcnt(20)
	v_cvt_f32_f16_sdwa v29, v109 dst_sel:DWORD dst_unused:UNUSED_PAD src0_sel:WORD_1
	v_cvt_f32_f16_e32 v28, v109
	s_waitcnt vmcnt(18)
	;; [unrolled: 3-line block ×9, first 2 shown]
	v_cvt_f32_f16_sdwa v47, v124 dst_sel:DWORD dst_unused:UNUSED_PAD src0_sel:WORD_1
	v_cvt_f32_f16_e32 v46, v124
	;;#ASMSTART
	v_pk_mul_f32 v[18:19], v[32:33], v[4:5]
	;;#ASMEND
	buffer_load_dword v52, off, s[40:43], 0 offset:512 ; 4-byte Folded Reload
	buffer_load_dword v53, off, s[40:43], 0 offset:516 ; 4-byte Folded Reload
	;; [unrolled: 1-line block ×32, first 2 shown]
	v_cvt_f32_f16_sdwa v33, v111 dst_sel:DWORD dst_unused:UNUSED_PAD src0_sel:WORD_1
	v_cvt_f32_f16_e32 v32, v111
	s_waitcnt vmcnt(14)
	;;#ASMSTART
	v_pk_mul_f32 v[20:21], v[68:69], v[4:5]
	;;#ASMEND
	buffer_load_dword v52, off, s[40:43], 0 offset:384 ; 4-byte Folded Reload
	buffer_load_dword v53, off, s[40:43], 0 offset:388 ; 4-byte Folded Reload
	;; [unrolled: 1-line block ×32, first 2 shown]
	s_waitcnt vmcnt(12)
	;;#ASMSTART
	v_pk_mul_f32 v[22:23], v[70:71], v[4:5]
	;;#ASMEND
	buffer_load_dword v52, off, s[40:43], 0 ; 4-byte Folded Reload
	buffer_load_dword v53, off, s[40:43], 0 offset:4 ; 4-byte Folded Reload
	buffer_load_dword v54, off, s[40:43], 0 offset:8 ; 4-byte Folded Reload
	;; [unrolled: 1-line block ×31, first 2 shown]
	s_waitcnt vmcnt(30)
	v_cvt_f32_f16_sdwa v53, v125 dst_sel:DWORD dst_unused:UNUSED_PAD src0_sel:WORD_1
	v_cvt_f32_f16_e32 v52, v125
	s_waitcnt vmcnt(10)
	;;#ASMSTART
	v_pk_mul_f32 v[24:25], v[72:73], v[4:5]
	;;#ASMEND
	;;#ASMSTART
	v_pk_mul_f32 v[4:5], v[120:121], v[4:5]
	;;#ASMEND
	;; [unrolled: 3-line block ×3, first 2 shown]
	s_waitcnt vmcnt(8)
	;;#ASMSTART
	v_pk_mul_f32 v[74:75], v[6:7], v[28:29]
	;;#ASMEND
	;;#ASMSTART
	v_pk_mul_f32 v[6:7], v[8:9], v[30:31]
	;;#ASMEND
	buffer_store_dword v2, off, s[40:43], 0 offset:896 ; 4-byte Folded Spill
	s_nop 0
	buffer_store_dword v3, off, s[40:43], 0 offset:900 ; 4-byte Folded Spill
	buffer_store_dword v4, off, s[40:43], 0 offset:904 ; 4-byte Folded Spill
	buffer_store_dword v5, off, s[40:43], 0 offset:908 ; 4-byte Folded Spill
	buffer_store_dword v6, off, s[40:43], 0 offset:912 ; 4-byte Folded Spill
	buffer_store_dword v7, off, s[40:43], 0 offset:916 ; 4-byte Folded Spill
	buffer_store_dword v8, off, s[40:43], 0 offset:920 ; 4-byte Folded Spill
	buffer_store_dword v9, off, s[40:43], 0 offset:924 ; 4-byte Folded Spill
	buffer_store_dword v10, off, s[40:43], 0 offset:928 ; 4-byte Folded Spill
	buffer_store_dword v11, off, s[40:43], 0 offset:932 ; 4-byte Folded Spill
	buffer_store_dword v12, off, s[40:43], 0 offset:936 ; 4-byte Folded Spill
	buffer_store_dword v13, off, s[40:43], 0 offset:940 ; 4-byte Folded Spill
	buffer_store_dword v14, off, s[40:43], 0 offset:944 ; 4-byte Folded Spill
	buffer_store_dword v15, off, s[40:43], 0 offset:948 ; 4-byte Folded Spill
	buffer_store_dword v16, off, s[40:43], 0 offset:952 ; 4-byte Folded Spill
	buffer_store_dword v17, off, s[40:43], 0 offset:956 ; 4-byte Folded Spill
	buffer_store_dword v18, off, s[40:43], 0 offset:960 ; 4-byte Folded Spill
	buffer_store_dword v19, off, s[40:43], 0 offset:964 ; 4-byte Folded Spill
	buffer_store_dword v20, off, s[40:43], 0 offset:968 ; 4-byte Folded Spill
	buffer_store_dword v21, off, s[40:43], 0 offset:972 ; 4-byte Folded Spill
	buffer_store_dword v22, off, s[40:43], 0 offset:976 ; 4-byte Folded Spill
	buffer_store_dword v23, off, s[40:43], 0 offset:980 ; 4-byte Folded Spill
	buffer_store_dword v24, off, s[40:43], 0 offset:984 ; 4-byte Folded Spill
	buffer_store_dword v25, off, s[40:43], 0 offset:988 ; 4-byte Folded Spill
	buffer_store_dword v26, off, s[40:43], 0 offset:992 ; 4-byte Folded Spill
	buffer_store_dword v27, off, s[40:43], 0 offset:996 ; 4-byte Folded Spill
	buffer_store_dword v28, off, s[40:43], 0 offset:1000 ; 4-byte Folded Spill
	buffer_store_dword v29, off, s[40:43], 0 offset:1004 ; 4-byte Folded Spill
	buffer_store_dword v30, off, s[40:43], 0 offset:1008 ; 4-byte Folded Spill
	buffer_store_dword v31, off, s[40:43], 0 offset:1012 ; 4-byte Folded Spill
	buffer_store_dword v32, off, s[40:43], 0 offset:1016 ; 4-byte Folded Spill
	buffer_store_dword v33, off, s[40:43], 0 offset:1020 ; 4-byte Folded Spill
	;;#ASMSTART
	v_pk_mul_f32 v[6:7], v[10:11], v[32:33]
	;;#ASMEND
	buffer_store_dword v0, off, s[40:43], 0 offset:768 ; 4-byte Folded Spill
	s_nop 0
	buffer_store_dword v1, off, s[40:43], 0 offset:772 ; 4-byte Folded Spill
	buffer_store_dword v2, off, s[40:43], 0 offset:776 ; 4-byte Folded Spill
	buffer_store_dword v3, off, s[40:43], 0 offset:780 ; 4-byte Folded Spill
	buffer_store_dword v4, off, s[40:43], 0 offset:784 ; 4-byte Folded Spill
	buffer_store_dword v5, off, s[40:43], 0 offset:788 ; 4-byte Folded Spill
	buffer_store_dword v6, off, s[40:43], 0 offset:792 ; 4-byte Folded Spill
	buffer_store_dword v7, off, s[40:43], 0 offset:796 ; 4-byte Folded Spill
	buffer_store_dword v8, off, s[40:43], 0 offset:800 ; 4-byte Folded Spill
	buffer_store_dword v9, off, s[40:43], 0 offset:804 ; 4-byte Folded Spill
	buffer_store_dword v10, off, s[40:43], 0 offset:808 ; 4-byte Folded Spill
	buffer_store_dword v11, off, s[40:43], 0 offset:812 ; 4-byte Folded Spill
	buffer_store_dword v12, off, s[40:43], 0 offset:816 ; 4-byte Folded Spill
	buffer_store_dword v13, off, s[40:43], 0 offset:820 ; 4-byte Folded Spill
	buffer_store_dword v14, off, s[40:43], 0 offset:824 ; 4-byte Folded Spill
	buffer_store_dword v15, off, s[40:43], 0 offset:828 ; 4-byte Folded Spill
	buffer_store_dword v16, off, s[40:43], 0 offset:832 ; 4-byte Folded Spill
	buffer_store_dword v17, off, s[40:43], 0 offset:836 ; 4-byte Folded Spill
	buffer_store_dword v18, off, s[40:43], 0 offset:840 ; 4-byte Folded Spill
	buffer_store_dword v19, off, s[40:43], 0 offset:844 ; 4-byte Folded Spill
	buffer_store_dword v20, off, s[40:43], 0 offset:848 ; 4-byte Folded Spill
	buffer_store_dword v21, off, s[40:43], 0 offset:852 ; 4-byte Folded Spill
	buffer_store_dword v22, off, s[40:43], 0 offset:856 ; 4-byte Folded Spill
	buffer_store_dword v23, off, s[40:43], 0 offset:860 ; 4-byte Folded Spill
	buffer_store_dword v24, off, s[40:43], 0 offset:864 ; 4-byte Folded Spill
	buffer_store_dword v25, off, s[40:43], 0 offset:868 ; 4-byte Folded Spill
	buffer_store_dword v26, off, s[40:43], 0 offset:872 ; 4-byte Folded Spill
	buffer_store_dword v27, off, s[40:43], 0 offset:876 ; 4-byte Folded Spill
	buffer_store_dword v28, off, s[40:43], 0 offset:880 ; 4-byte Folded Spill
	buffer_store_dword v29, off, s[40:43], 0 offset:884 ; 4-byte Folded Spill
	buffer_store_dword v30, off, s[40:43], 0 offset:888 ; 4-byte Folded Spill
	buffer_store_dword v31, off, s[40:43], 0 offset:892 ; 4-byte Folded Spill
	;; [unrolled: 36-line block ×8, first 2 shown]
	;;#ASMSTART
	v_pk_mul_f32 v[20:21], v[24:25], v[46:47]
	;;#ASMEND
	buffer_store_dword v0, off, s[40:43], 0 ; 4-byte Folded Spill
	s_nop 0
	buffer_store_dword v1, off, s[40:43], 0 offset:4 ; 4-byte Folded Spill
	buffer_store_dword v2, off, s[40:43], 0 offset:8 ; 4-byte Folded Spill
	;; [unrolled: 1-line block ×31, first 2 shown]
	;;#ASMSTART
	v_pk_mul_f32 v[120:121], v[4:5], v[52:53]
	;;#ASMEND
	s_or_b64 exec, exec, s[28:29]
	s_mov_b64 s[8:9], -1
	s_and_b64 vcc, exec, s[22:23]
	s_cbranch_vccz .LBB67_15
.LBB67_19:
	s_and_saveexec_b64 s[8:9], s[0:1]
	s_cbranch_execz .LBB67_21
; %bb.20:
	buffer_load_dword v4, off, s[40:43], 0 offset:896 ; 4-byte Folded Reload
	buffer_load_dword v5, off, s[40:43], 0 offset:900 ; 4-byte Folded Reload
	;; [unrolled: 1-line block ×32, first 2 shown]
	s_mul_hi_i32 s23, s25, s6
	s_mul_i32 s22, s25, s6
	s_lshl_b64 s[22:23], s[22:23], 1
	s_add_u32 s28, s26, s22
	s_addc_u32 s7, s27, s23
	s_and_b32 s29, s7, 0xffff
	s_mov_b32 s31, 0x20000
	s_movk_i32 s7, 0x400
	s_waitcnt vmcnt(26)
	v_pk_mov_b32 v[38:39], v[8:9], v[8:9] op_sel:[0,1]
	buffer_load_dword v6, off, s[40:43], 0 offset:768 ; 4-byte Folded Reload
	buffer_load_dword v7, off, s[40:43], 0 offset:772 ; 4-byte Folded Reload
	;; [unrolled: 1-line block ×32, first 2 shown]
	v_cvt_f16_f32_e32 v4, v38
	s_waitcnt vmcnt(29)
	v_cvt_f16_f32_e32 v8, v39
	s_waitcnt vmcnt(24)
	v_pk_mov_b32 v[6:7], v[12:13], v[12:13] op_sel:[0,1]
	v_cvt_f16_f32_e32 v5, v6
	v_cvt_f16_f32_e32 v6, v7
	v_pack_b32_f16 v7, v5, v6
	v_pack_b32_f16 v6, v4, v8
	v_cvt_f16_f32_e32 v4, v74
	v_cvt_f16_f32_e32 v5, v75
	;; [unrolled: 1-line block ×3, first 2 shown]
	v_pack_b32_f16 v5, v4, v5
	v_cvt_f16_f32_e32 v4, v2
	v_pack_b32_f16 v4, v4, v8
	v_lshlrev_b32_e32 v8, 1, v1
	buffer_store_dwordx4 v[4:7], v8, s[28:31], 0 offen
	buffer_load_dword v10, off, s[40:43], 0 offset:256 ; 4-byte Folded Reload
	buffer_load_dword v11, off, s[40:43], 0 offset:260 ; 4-byte Folded Reload
	;; [unrolled: 1-line block ×32, first 2 shown]
	s_waitcnt vmcnt(18)
	v_pk_mov_b32 v[42:43], v[22:23], v[22:23] op_sel:[0,1]
	buffer_load_dword v10, off, s[40:43], 0 offset:128 ; 4-byte Folded Reload
	buffer_load_dword v11, off, s[40:43], 0 offset:132 ; 4-byte Folded Reload
	;; [unrolled: 1-line block ×32, first 2 shown]
	v_cvt_f16_f32_e32 v4, v42
	v_cvt_f16_f32_e32 v9, v43
	s_waitcnt vmcnt(16)
	v_pk_mov_b32 v[14:15], v[24:25], v[24:25] op_sel:[0,1]
	v_cvt_f16_f32_e32 v5, v14
	v_cvt_f16_f32_e32 v6, v15
	buffer_load_dword v10, off, s[40:43], 0 offset:640 ; 4-byte Folded Reload
	buffer_load_dword v11, off, s[40:43], 0 offset:644 ; 4-byte Folded Reload
	;; [unrolled: 1-line block ×32, first 2 shown]
	v_pack_b32_f16 v7, v5, v6
	v_pack_b32_f16 v6, v4, v9
	s_waitcnt vmcnt(20)
	v_pk_mov_b32 v[10:11], v[20:21], v[20:21] op_sel:[0,1]
	v_cvt_f16_f32_e32 v4, v10
	v_cvt_f16_f32_e32 v5, v11
	buffer_load_dword v10, off, s[40:43], 0 offset:1024 ; 4-byte Folded Reload
	buffer_load_dword v11, off, s[40:43], 0 offset:1028 ; 4-byte Folded Reload
	;; [unrolled: 1-line block ×32, first 2 shown]
	;;#ASMSTART
	s_nop 0
	;;#ASMEND
	v_pack_b32_f16 v5, v4, v5
	s_waitcnt vmcnt(22)
	v_pk_mov_b32 v[10:11], v[18:19], v[18:19] op_sel:[0,1]
	v_cvt_f16_f32_e32 v4, v10
	v_cvt_f16_f32_e32 v9, v11
	v_pack_b32_f16 v4, v4, v9
	buffer_store_dwordx4 v[4:7], v8, s[28:31], s7 offen
	buffer_load_dword v76, off, s[40:43], 0 ; 4-byte Folded Reload
	buffer_load_dword v77, off, s[40:43], 0 offset:4 ; 4-byte Folded Reload
	buffer_load_dword v78, off, s[40:43], 0 offset:8 ; 4-byte Folded Reload
	;; [unrolled: 1-line block ×31, first 2 shown]
	v_cvt_f16_f32_e32 v5, v120
	v_cvt_f16_f32_e32 v6, v121
	s_movk_i32 s7, 0x800
	v_pack_b32_f16 v7, v5, v6
	s_waitcnt vmcnt(10)
	v_pk_mov_b32 v[20:21], v[96:97], v[96:97] op_sel:[0,1]
	v_cvt_f16_f32_e32 v4, v20
	v_cvt_f16_f32_e32 v9, v21
	buffer_load_dword v10, off, s[40:43], 0 offset:384 ; 4-byte Folded Reload
	buffer_load_dword v11, off, s[40:43], 0 offset:388 ; 4-byte Folded Reload
	;; [unrolled: 1-line block ×32, first 2 shown]
	v_pack_b32_f16 v6, v4, v9
	s_waitcnt vmcnt(12)
	v_pk_mov_b32 v[18:19], v[28:29], v[28:29] op_sel:[0,1]
	v_cvt_f16_f32_e32 v4, v18
	v_cvt_f16_f32_e32 v5, v19
	buffer_load_dword v10, off, s[40:43], 0 offset:512 ; 4-byte Folded Reload
	buffer_load_dword v11, off, s[40:43], 0 offset:516 ; 4-byte Folded Reload
	;; [unrolled: 1-line block ×32, first 2 shown]
	;;#ASMSTART
	s_nop 0
	;;#ASMEND
	v_pack_b32_f16 v5, v4, v5
	s_waitcnt vmcnt(14)
	v_pk_mov_b32 v[16:17], v[26:27], v[26:27] op_sel:[0,1]
	v_cvt_f16_f32_e32 v4, v16
	v_cvt_f16_f32_e32 v9, v17
	v_pack_b32_f16 v4, v4, v9
	buffer_store_dwordx4 v[4:7], v8, s[28:31], s7 offen
	;;#ASMSTART
	s_nop 0
	;;#ASMEND
.LBB67_21:
	s_or_b64 exec, exec, s[8:9]
	s_cbranch_execnz .LBB67_16
.LBB67_22:
	v_mov_b32_e32 v4, 0
	s_and_saveexec_b64 s[8:9], s[0:1]
	s_cbranch_execz .LBB67_24
; %bb.23:
	buffer_load_dword v4, off, s[40:43], 0 offset:896 ; 4-byte Folded Reload
	buffer_load_dword v5, off, s[40:43], 0 offset:900 ; 4-byte Folded Reload
	;; [unrolled: 1-line block ×32, first 2 shown]
	s_load_dwordx2 s[22:23], s[4:5], 0x10
	s_mul_hi_i32 s29, s24, s6
	s_mul_i32 s28, s24, s6
	s_lshl_b64 s[28:29], s[28:29], 1
	s_mov_b32 s31, 0x20000
	s_waitcnt lgkmcnt(0)
	s_add_u32 s28, s22, s28
	s_addc_u32 s7, s23, s29
	s_and_b32 s29, s7, 0xffff
	s_movk_i32 s7, 0x400
	s_waitcnt vmcnt(26)
	v_pk_mov_b32 v[38:39], v[8:9], v[8:9] op_sel:[0,1]
	buffer_load_dword v6, off, s[40:43], 0 offset:768 ; 4-byte Folded Reload
	buffer_load_dword v7, off, s[40:43], 0 offset:772 ; 4-byte Folded Reload
	;; [unrolled: 1-line block ×32, first 2 shown]
	v_cvt_f16_f32_e32 v4, v38
	s_waitcnt vmcnt(29)
	v_cvt_f16_f32_e32 v8, v39
	s_waitcnt vmcnt(24)
	v_pk_mov_b32 v[6:7], v[12:13], v[12:13] op_sel:[0,1]
	v_cvt_f16_f32_e32 v5, v6
	v_cvt_f16_f32_e32 v6, v7
	v_pack_b32_f16 v7, v5, v6
	v_pack_b32_f16 v6, v4, v8
	v_cvt_f16_f32_e32 v4, v74
	v_cvt_f16_f32_e32 v5, v75
	;; [unrolled: 1-line block ×3, first 2 shown]
	v_pack_b32_f16 v5, v4, v5
	v_cvt_f16_f32_e32 v4, v2
	v_pack_b32_f16 v4, v4, v8
	v_lshlrev_b32_e32 v8, 1, v1
	buffer_store_dwordx4 v[4:7], v8, s[28:31], 0 offen
	buffer_load_dword v10, off, s[40:43], 0 offset:256 ; 4-byte Folded Reload
	buffer_load_dword v11, off, s[40:43], 0 offset:260 ; 4-byte Folded Reload
	;; [unrolled: 1-line block ×32, first 2 shown]
	s_waitcnt vmcnt(18)
	v_pk_mov_b32 v[42:43], v[22:23], v[22:23] op_sel:[0,1]
	buffer_load_dword v10, off, s[40:43], 0 offset:128 ; 4-byte Folded Reload
	buffer_load_dword v11, off, s[40:43], 0 offset:132 ; 4-byte Folded Reload
	buffer_load_dword v12, off, s[40:43], 0 offset:136 ; 4-byte Folded Reload
	buffer_load_dword v13, off, s[40:43], 0 offset:140 ; 4-byte Folded Reload
	buffer_load_dword v14, off, s[40:43], 0 offset:144 ; 4-byte Folded Reload
	buffer_load_dword v15, off, s[40:43], 0 offset:148 ; 4-byte Folded Reload
	buffer_load_dword v16, off, s[40:43], 0 offset:152 ; 4-byte Folded Reload
	buffer_load_dword v17, off, s[40:43], 0 offset:156 ; 4-byte Folded Reload
	buffer_load_dword v18, off, s[40:43], 0 offset:160 ; 4-byte Folded Reload
	buffer_load_dword v19, off, s[40:43], 0 offset:164 ; 4-byte Folded Reload
	buffer_load_dword v20, off, s[40:43], 0 offset:168 ; 4-byte Folded Reload
	buffer_load_dword v21, off, s[40:43], 0 offset:172 ; 4-byte Folded Reload
	buffer_load_dword v22, off, s[40:43], 0 offset:176 ; 4-byte Folded Reload
	buffer_load_dword v23, off, s[40:43], 0 offset:180 ; 4-byte Folded Reload
	buffer_load_dword v24, off, s[40:43], 0 offset:184 ; 4-byte Folded Reload
	buffer_load_dword v25, off, s[40:43], 0 offset:188 ; 4-byte Folded Reload
	buffer_load_dword v26, off, s[40:43], 0 offset:192 ; 4-byte Folded Reload
	buffer_load_dword v27, off, s[40:43], 0 offset:196 ; 4-byte Folded Reload
	buffer_load_dword v28, off, s[40:43], 0 offset:200 ; 4-byte Folded Reload
	buffer_load_dword v29, off, s[40:43], 0 offset:204 ; 4-byte Folded Reload
	buffer_load_dword v30, off, s[40:43], 0 offset:208 ; 4-byte Folded Reload
	buffer_load_dword v31, off, s[40:43], 0 offset:212 ; 4-byte Folded Reload
	buffer_load_dword v32, off, s[40:43], 0 offset:216 ; 4-byte Folded Reload
	buffer_load_dword v33, off, s[40:43], 0 offset:220 ; 4-byte Folded Reload
	buffer_load_dword v34, off, s[40:43], 0 offset:224 ; 4-byte Folded Reload
	buffer_load_dword v35, off, s[40:43], 0 offset:228 ; 4-byte Folded Reload
	buffer_load_dword v36, off, s[40:43], 0 offset:232 ; 4-byte Folded Reload
	buffer_load_dword v37, off, s[40:43], 0 offset:236 ; 4-byte Folded Reload
	buffer_load_dword v38, off, s[40:43], 0 offset:240 ; 4-byte Folded Reload
	buffer_load_dword v39, off, s[40:43], 0 offset:244 ; 4-byte Folded Reload
	buffer_load_dword v40, off, s[40:43], 0 offset:248 ; 4-byte Folded Reload
	buffer_load_dword v41, off, s[40:43], 0 offset:252 ; 4-byte Folded Reload
	v_cvt_f16_f32_e32 v4, v42
	v_cvt_f16_f32_e32 v9, v43
	s_waitcnt vmcnt(16)
	v_pk_mov_b32 v[14:15], v[24:25], v[24:25] op_sel:[0,1]
	v_cvt_f16_f32_e32 v5, v14
	v_cvt_f16_f32_e32 v6, v15
	buffer_load_dword v10, off, s[40:43], 0 offset:640 ; 4-byte Folded Reload
	buffer_load_dword v11, off, s[40:43], 0 offset:644 ; 4-byte Folded Reload
	;; [unrolled: 1-line block ×32, first 2 shown]
	v_pack_b32_f16 v7, v5, v6
	v_pack_b32_f16 v6, v4, v9
	s_waitcnt vmcnt(20)
	v_pk_mov_b32 v[10:11], v[20:21], v[20:21] op_sel:[0,1]
	v_cvt_f16_f32_e32 v4, v10
	v_cvt_f16_f32_e32 v5, v11
	buffer_load_dword v10, off, s[40:43], 0 offset:1024 ; 4-byte Folded Reload
	buffer_load_dword v11, off, s[40:43], 0 offset:1028 ; 4-byte Folded Reload
	;; [unrolled: 1-line block ×32, first 2 shown]
	;;#ASMSTART
	s_nop 0
	;;#ASMEND
	v_pack_b32_f16 v5, v4, v5
	s_waitcnt vmcnt(22)
	v_pk_mov_b32 v[10:11], v[18:19], v[18:19] op_sel:[0,1]
	v_cvt_f16_f32_e32 v4, v10
	v_cvt_f16_f32_e32 v9, v11
	v_pack_b32_f16 v4, v4, v9
	buffer_store_dwordx4 v[4:7], v8, s[28:31], s7 offen
	buffer_load_dword v76, off, s[40:43], 0 ; 4-byte Folded Reload
	buffer_load_dword v77, off, s[40:43], 0 offset:4 ; 4-byte Folded Reload
	buffer_load_dword v78, off, s[40:43], 0 offset:8 ; 4-byte Folded Reload
	;; [unrolled: 1-line block ×31, first 2 shown]
	v_cvt_f16_f32_e32 v5, v120
	v_cvt_f16_f32_e32 v6, v121
	s_movk_i32 s7, 0x800
	v_pack_b32_f16 v7, v5, v6
	s_waitcnt vmcnt(10)
	v_pk_mov_b32 v[20:21], v[96:97], v[96:97] op_sel:[0,1]
	v_cvt_f16_f32_e32 v4, v20
	v_cvt_f16_f32_e32 v9, v21
	buffer_load_dword v10, off, s[40:43], 0 offset:384 ; 4-byte Folded Reload
	buffer_load_dword v11, off, s[40:43], 0 offset:388 ; 4-byte Folded Reload
	;; [unrolled: 1-line block ×32, first 2 shown]
	v_pack_b32_f16 v6, v4, v9
	s_waitcnt vmcnt(12)
	v_pk_mov_b32 v[18:19], v[28:29], v[28:29] op_sel:[0,1]
	v_cvt_f16_f32_e32 v4, v18
	v_cvt_f16_f32_e32 v5, v19
	buffer_load_dword v10, off, s[40:43], 0 offset:512 ; 4-byte Folded Reload
	buffer_load_dword v11, off, s[40:43], 0 offset:516 ; 4-byte Folded Reload
	;; [unrolled: 1-line block ×32, first 2 shown]
	;;#ASMSTART
	s_nop 0
	;;#ASMEND
	v_pack_b32_f16 v5, v4, v5
	s_waitcnt vmcnt(14)
	v_pk_mov_b32 v[16:17], v[26:27], v[26:27] op_sel:[0,1]
	v_cvt_f16_f32_e32 v4, v16
	v_cvt_f16_f32_e32 v9, v17
	v_pack_b32_f16 v4, v4, v9
	buffer_store_dwordx4 v[4:7], v8, s[28:31], s7 offen
	v_mov_b32_e32 v4, 0x2edbe6ff
	;;#ASMSTART
	s_nop 0
	;;#ASMEND
.LBB67_24:
	s_or_b64 exec, exec, s[8:9]
	s_and_saveexec_b64 s[8:9], s[0:1]
	s_cbranch_execz .LBB67_26
; %bb.25:
	v_and_b32_e32 v6, 0x7fffffff, v3
	v_and_b32_e32 v5, 0x7fffffff, v2
	;;#ASMSTART
	v_max3_f32 v4, v4, v5, v6

	;;#ASMEND
	v_and_b32_e32 v6, 0x7fffffff, v75
	v_and_b32_e32 v5, 0x7fffffff, v74
	;;#ASMSTART
	v_max3_f32 v4, v4, v5, v6

	;;#ASMEND
	buffer_load_dword v6, off, s[40:43], 0 offset:896 ; 4-byte Folded Reload
	buffer_load_dword v7, off, s[40:43], 0 offset:900 ; 4-byte Folded Reload
	buffer_load_dword v8, off, s[40:43], 0 offset:904 ; 4-byte Folded Reload
	buffer_load_dword v9, off, s[40:43], 0 offset:908 ; 4-byte Folded Reload
	buffer_load_dword v10, off, s[40:43], 0 offset:912 ; 4-byte Folded Reload
	buffer_load_dword v11, off, s[40:43], 0 offset:916 ; 4-byte Folded Reload
	buffer_load_dword v12, off, s[40:43], 0 offset:920 ; 4-byte Folded Reload
	buffer_load_dword v13, off, s[40:43], 0 offset:924 ; 4-byte Folded Reload
	buffer_load_dword v14, off, s[40:43], 0 offset:928 ; 4-byte Folded Reload
	buffer_load_dword v15, off, s[40:43], 0 offset:932 ; 4-byte Folded Reload
	buffer_load_dword v16, off, s[40:43], 0 offset:936 ; 4-byte Folded Reload
	buffer_load_dword v17, off, s[40:43], 0 offset:940 ; 4-byte Folded Reload
	buffer_load_dword v18, off, s[40:43], 0 offset:944 ; 4-byte Folded Reload
	buffer_load_dword v19, off, s[40:43], 0 offset:948 ; 4-byte Folded Reload
	buffer_load_dword v20, off, s[40:43], 0 offset:952 ; 4-byte Folded Reload
	buffer_load_dword v21, off, s[40:43], 0 offset:956 ; 4-byte Folded Reload
	buffer_load_dword v22, off, s[40:43], 0 offset:960 ; 4-byte Folded Reload
	buffer_load_dword v23, off, s[40:43], 0 offset:964 ; 4-byte Folded Reload
	buffer_load_dword v24, off, s[40:43], 0 offset:968 ; 4-byte Folded Reload
	buffer_load_dword v25, off, s[40:43], 0 offset:972 ; 4-byte Folded Reload
	buffer_load_dword v26, off, s[40:43], 0 offset:976 ; 4-byte Folded Reload
	buffer_load_dword v27, off, s[40:43], 0 offset:980 ; 4-byte Folded Reload
	buffer_load_dword v28, off, s[40:43], 0 offset:984 ; 4-byte Folded Reload
	buffer_load_dword v29, off, s[40:43], 0 offset:988 ; 4-byte Folded Reload
	buffer_load_dword v30, off, s[40:43], 0 offset:992 ; 4-byte Folded Reload
	buffer_load_dword v31, off, s[40:43], 0 offset:996 ; 4-byte Folded Reload
	buffer_load_dword v32, off, s[40:43], 0 offset:1000 ; 4-byte Folded Reload
	buffer_load_dword v33, off, s[40:43], 0 offset:1004 ; 4-byte Folded Reload
	buffer_load_dword v34, off, s[40:43], 0 offset:1008 ; 4-byte Folded Reload
	buffer_load_dword v35, off, s[40:43], 0 offset:1012 ; 4-byte Folded Reload
	buffer_load_dword v36, off, s[40:43], 0 offset:1016 ; 4-byte Folded Reload
	buffer_load_dword v37, off, s[40:43], 0 offset:1020 ; 4-byte Folded Reload
	s_waitcnt vmcnt(26)
	v_pk_mov_b32 v[6:7], v[10:11], v[10:11] op_sel:[0,1]
	v_and_b32_e32 v5, 0x7fffffff, v6
	v_and_b32_e32 v6, 0x7fffffff, v7
	;;#ASMSTART
	v_max3_f32 v4, v4, v5, v6

	;;#ASMEND
	buffer_load_dword v6, off, s[40:43], 0 offset:768 ; 4-byte Folded Reload
	buffer_load_dword v7, off, s[40:43], 0 offset:772 ; 4-byte Folded Reload
	buffer_load_dword v8, off, s[40:43], 0 offset:776 ; 4-byte Folded Reload
	buffer_load_dword v9, off, s[40:43], 0 offset:780 ; 4-byte Folded Reload
	buffer_load_dword v10, off, s[40:43], 0 offset:784 ; 4-byte Folded Reload
	buffer_load_dword v11, off, s[40:43], 0 offset:788 ; 4-byte Folded Reload
	buffer_load_dword v12, off, s[40:43], 0 offset:792 ; 4-byte Folded Reload
	buffer_load_dword v13, off, s[40:43], 0 offset:796 ; 4-byte Folded Reload
	buffer_load_dword v14, off, s[40:43], 0 offset:800 ; 4-byte Folded Reload
	buffer_load_dword v15, off, s[40:43], 0 offset:804 ; 4-byte Folded Reload
	buffer_load_dword v16, off, s[40:43], 0 offset:808 ; 4-byte Folded Reload
	buffer_load_dword v17, off, s[40:43], 0 offset:812 ; 4-byte Folded Reload
	buffer_load_dword v18, off, s[40:43], 0 offset:816 ; 4-byte Folded Reload
	buffer_load_dword v19, off, s[40:43], 0 offset:820 ; 4-byte Folded Reload
	buffer_load_dword v20, off, s[40:43], 0 offset:824 ; 4-byte Folded Reload
	buffer_load_dword v21, off, s[40:43], 0 offset:828 ; 4-byte Folded Reload
	buffer_load_dword v22, off, s[40:43], 0 offset:832 ; 4-byte Folded Reload
	buffer_load_dword v23, off, s[40:43], 0 offset:836 ; 4-byte Folded Reload
	buffer_load_dword v24, off, s[40:43], 0 offset:840 ; 4-byte Folded Reload
	buffer_load_dword v25, off, s[40:43], 0 offset:844 ; 4-byte Folded Reload
	buffer_load_dword v26, off, s[40:43], 0 offset:848 ; 4-byte Folded Reload
	buffer_load_dword v27, off, s[40:43], 0 offset:852 ; 4-byte Folded Reload
	buffer_load_dword v28, off, s[40:43], 0 offset:856 ; 4-byte Folded Reload
	buffer_load_dword v29, off, s[40:43], 0 offset:860 ; 4-byte Folded Reload
	buffer_load_dword v30, off, s[40:43], 0 offset:864 ; 4-byte Folded Reload
	buffer_load_dword v31, off, s[40:43], 0 offset:868 ; 4-byte Folded Reload
	buffer_load_dword v32, off, s[40:43], 0 offset:872 ; 4-byte Folded Reload
	buffer_load_dword v33, off, s[40:43], 0 offset:876 ; 4-byte Folded Reload
	buffer_load_dword v34, off, s[40:43], 0 offset:880 ; 4-byte Folded Reload
	buffer_load_dword v35, off, s[40:43], 0 offset:884 ; 4-byte Folded Reload
	buffer_load_dword v36, off, s[40:43], 0 offset:888 ; 4-byte Folded Reload
	buffer_load_dword v37, off, s[40:43], 0 offset:892 ; 4-byte Folded Reload
	s_waitcnt vmcnt(24)
	v_pk_mov_b32 v[6:7], v[12:13], v[12:13] op_sel:[0,1]
	;; [unrolled: 40-line block ×8, first 2 shown]
	v_and_b32_e32 v6, 0x7fffffff, v19
	v_and_b32_e32 v5, 0x7fffffff, v18
	;;#ASMSTART
	v_max3_f32 v4, v4, v5, v6

	;;#ASMEND
	buffer_load_dword v6, off, s[40:43], 0  ; 4-byte Folded Reload
	buffer_load_dword v7, off, s[40:43], 0 offset:4 ; 4-byte Folded Reload
	buffer_load_dword v8, off, s[40:43], 0 offset:8 ; 4-byte Folded Reload
	;; [unrolled: 1-line block ×31, first 2 shown]
	s_waitcnt vmcnt(10)
	v_pk_mov_b32 v[20:21], v[26:27], v[26:27] op_sel:[0,1]
	v_and_b32_e32 v5, 0x7fffffff, v20
	v_and_b32_e32 v6, 0x7fffffff, v21
	;;#ASMSTART
	v_max3_f32 v4, v4, v5, v6

	;;#ASMEND
	v_and_b32_e32 v5, 0x7fffffff, v120
	v_and_b32_e32 v6, 0x7fffffff, v121
	;;#ASMSTART
	v_max3_f32 v4, v4, v5, v6

	;;#ASMEND
.LBB67_26:
	s_or_b64 exec, exec, s[8:9]
	s_nop 0
	v_mov_b32_dpp v5, v4 quad_perm:[1,0,3,2] row_mask:0xf bank_mask:0xf
	v_cmp_gt_f32_e32 vcc, v4, v5
	v_cndmask_b32_e32 v4, v5, v4, vcc
	s_nop 1
	v_mov_b32_dpp v5, v4 quad_perm:[2,3,0,1] row_mask:0xf bank_mask:0xf
	v_cmp_gt_f32_e32 vcc, v4, v5
	v_cndmask_b32_e32 v4, v5, v4, vcc
	s_nop 1
	v_mov_b32_dpp v5, v4 row_half_mirror row_mask:0xf bank_mask:0xf
	v_cmp_gt_f32_e32 vcc, v4, v5
	v_cndmask_b32_e32 v4, v5, v4, vcc
	s_nop 1
	v_mov_b32_dpp v5, v4 row_mirror row_mask:0xf bank_mask:0xf
	v_cmp_gt_f32_e32 vcc, v4, v5
	v_cndmask_b32_e32 v4, v5, v4, vcc
	s_nop 1
	v_mov_b32_dpp v5, v4 row_bcast:15 row_mask:0xf bank_mask:0xf
	v_cmp_gt_f32_e32 vcc, v4, v5
	v_cndmask_b32_e32 v4, v5, v4, vcc
	s_nop 1
	v_mov_b32_dpp v5, v4 row_bcast:31 row_mask:0xf bank_mask:0xf
	s_and_saveexec_b64 s[8:9], s[2:3]
	s_cbranch_execz .LBB67_28
; %bb.27:
	v_cmp_gt_f32_e32 vcc, v4, v5
	v_cndmask_b32_e32 v4, v5, v4, vcc
	v_lshrrev_b32_e32 v5, 4, v0
	v_and_b32_e32 v5, 60, v5
	ds_write_b32 v5, v4
.LBB67_28:
	s_or_b64 exec, exec, s[8:9]
	s_waitcnt lgkmcnt(0)
	s_barrier
	ds_read_b32 v4, v50
	s_waitcnt lgkmcnt(0)
	s_nop 0
	v_mov_b32_dpp v5, v4 quad_perm:[1,0,3,2] row_mask:0xf bank_mask:0xf
	v_cmp_gt_f32_e32 vcc, v4, v5
	v_cndmask_b32_e32 v4, v5, v4, vcc
	s_nop 1
	v_mov_b32_dpp v5, v4 quad_perm:[2,3,0,1] row_mask:0xf bank_mask:0xf
	v_cmp_gt_f32_e32 vcc, v4, v5
	v_cndmask_b32_e32 v4, v5, v4, vcc
	v_mul_f32_e32 v4, 0x3b124925, v4
	v_cmp_eq_u32_e32 vcc, 0, v0
	s_and_saveexec_b64 s[8:9], vcc
	s_cbranch_execz .LBB67_30
; %bb.29:
	s_load_dwordx2 s[22:23], s[4:5], 0x8
	s_mul_hi_i32 s29, s11, s6
	s_mul_i32 s28, s11, s6
	s_lshl_b64 s[28:29], s[28:29], 2
	v_mov_b32_e32 v5, 0
	s_waitcnt lgkmcnt(0)
	s_add_u32 s22, s22, s28
	s_addc_u32 s23, s23, s29
	global_store_dword v5, v4, s[22:23]
.LBB67_30:
	s_or_b64 exec, exec, s[8:9]
	;;#ASMSTART
	v_rcp_f32 v4, v4
	;;#ASMEND
	s_and_saveexec_b64 s[22:23], s[0:1]
	s_cbranch_execz .LBB67_32
; %bb.31:
	v_mov_b32_e32 v5, v4
	;;#ASMSTART
	v_pk_mul_f32 v[2:3], v[2:3], v[4:5]
	;;#ASMEND
	v_mov_b32_e32 v8, 0xc3e00000
	v_mov_b32_e32 v9, 0x43e00000
	;;#ASMSTART
	v_med3_f32 v2, v2, v8, v9
v_med3_f32 v3, v3, v8, v9
v_cvt_pk_fp8_f32 v6, v2, v3
	;;#ASMEND
	;;#ASMSTART
	v_pk_mul_f32 v[2:3], v[74:75], v[4:5]
	;;#ASMEND
	;;#ASMSTART
	v_med3_f32 v2, v2, v8, v9
v_med3_f32 v3, v3, v8, v9
v_cvt_pk_fp8_f32 v7, v2, v3
	;;#ASMEND
	buffer_load_dword v10, off, s[40:43], 0 offset:896 ; 4-byte Folded Reload
	buffer_load_dword v11, off, s[40:43], 0 offset:900 ; 4-byte Folded Reload
	;; [unrolled: 1-line block ×32, first 2 shown]
	s_load_dwordx2 s[0:1], s[4:5], 0x0
	s_mul_i32 s8, s10, s6
	s_mov_b32 s7, 0x5040100
	s_mul_hi_i32 s9, s10, s6
	s_movk_i32 s12, 0xff
	s_waitcnt lgkmcnt(0)
	s_add_u32 s8, s0, s8
	s_addc_u32 s0, s1, s9
	s_add_i32 s1, s15, 3
	s_ashr_i32 s9, s1, 31
	s_mov_b32 s14, 0xffff
	s_lshr_b32 s9, s9, 30
	s_add_i32 s1, s1, s9
	s_and_b32 s10, s1, -4
	s_and_b32 s9, s0, 0xffff
	s_mov_b32 s11, 0x20000
	s_movk_i32 s0, 0x200
	s_waitcnt vmcnt(26)
	;;#ASMSTART
	v_pk_mul_f32 v[2:3], v[14:15], v[4:5]
	;;#ASMEND
	;;#ASMSTART
	v_med3_f32 v2, v2, v8, v9
v_med3_f32 v3, v3, v8, v9
v_cvt_pk_fp8_f32 v10, v2, v3
	;;#ASMEND
	buffer_load_dword v12, off, s[40:43], 0 offset:768 ; 4-byte Folded Reload
	buffer_load_dword v13, off, s[40:43], 0 offset:772 ; 4-byte Folded Reload
	;; [unrolled: 1-line block ×32, first 2 shown]
	s_waitcnt vmcnt(24)
	;;#ASMSTART
	v_pk_mul_f32 v[2:3], v[18:19], v[4:5]
	;;#ASMEND
	;;#ASMSTART
	v_med3_f32 v2, v2, v8, v9
v_med3_f32 v3, v3, v8, v9
v_cvt_pk_fp8_f32 v11, v2, v3
	;;#ASMEND
	v_perm_b32 v2, v7, v6, s7
	v_and_b32_e32 v3, 0xffffff00, v7
	v_and_b32_sdwa v6, v2, s12 dst_sel:DWORD dst_unused:UNUSED_PAD src0_sel:WORD_1 src1_sel:DWORD
	v_or_b32_sdwa v3, v6, v3 dst_sel:WORD_1 dst_unused:UNUSED_PAD src0_sel:DWORD src1_sel:DWORD
	v_and_or_b32 v2, v2, s14, v3
	v_lshlrev_b32_e32 v3, 16, v11
	v_and_or_b32 v3, v10, s14, v3
	buffer_store_dwordx2 v[2:3], v1, s[8:11], 0 offen
	;;#ASMSTART
	s_nop 0
	;;#ASMEND
	buffer_load_dword v10, off, s[40:43], 0 offset:1024 ; 4-byte Folded Reload
	buffer_load_dword v11, off, s[40:43], 0 offset:1028 ; 4-byte Folded Reload
	buffer_load_dword v12, off, s[40:43], 0 offset:1032 ; 4-byte Folded Reload
	buffer_load_dword v13, off, s[40:43], 0 offset:1036 ; 4-byte Folded Reload
	buffer_load_dword v14, off, s[40:43], 0 offset:1040 ; 4-byte Folded Reload
	buffer_load_dword v15, off, s[40:43], 0 offset:1044 ; 4-byte Folded Reload
	buffer_load_dword v16, off, s[40:43], 0 offset:1048 ; 4-byte Folded Reload
	buffer_load_dword v17, off, s[40:43], 0 offset:1052 ; 4-byte Folded Reload
	buffer_load_dword v18, off, s[40:43], 0 offset:1056 ; 4-byte Folded Reload
	buffer_load_dword v19, off, s[40:43], 0 offset:1060 ; 4-byte Folded Reload
	buffer_load_dword v20, off, s[40:43], 0 offset:1064 ; 4-byte Folded Reload
	buffer_load_dword v21, off, s[40:43], 0 offset:1068 ; 4-byte Folded Reload
	buffer_load_dword v22, off, s[40:43], 0 offset:1072 ; 4-byte Folded Reload
	buffer_load_dword v23, off, s[40:43], 0 offset:1076 ; 4-byte Folded Reload
	buffer_load_dword v24, off, s[40:43], 0 offset:1080 ; 4-byte Folded Reload
	buffer_load_dword v25, off, s[40:43], 0 offset:1084 ; 4-byte Folded Reload
	buffer_load_dword v26, off, s[40:43], 0 offset:1088 ; 4-byte Folded Reload
	buffer_load_dword v27, off, s[40:43], 0 offset:1092 ; 4-byte Folded Reload
	buffer_load_dword v28, off, s[40:43], 0 offset:1096 ; 4-byte Folded Reload
	buffer_load_dword v29, off, s[40:43], 0 offset:1100 ; 4-byte Folded Reload
	buffer_load_dword v30, off, s[40:43], 0 offset:1104 ; 4-byte Folded Reload
	buffer_load_dword v31, off, s[40:43], 0 offset:1108 ; 4-byte Folded Reload
	buffer_load_dword v32, off, s[40:43], 0 offset:1112 ; 4-byte Folded Reload
	buffer_load_dword v33, off, s[40:43], 0 offset:1116 ; 4-byte Folded Reload
	buffer_load_dword v34, off, s[40:43], 0 offset:1120 ; 4-byte Folded Reload
	buffer_load_dword v35, off, s[40:43], 0 offset:1124 ; 4-byte Folded Reload
	buffer_load_dword v36, off, s[40:43], 0 offset:1128 ; 4-byte Folded Reload
	buffer_load_dword v37, off, s[40:43], 0 offset:1132 ; 4-byte Folded Reload
	buffer_load_dword v38, off, s[40:43], 0 offset:1136 ; 4-byte Folded Reload
	buffer_load_dword v39, off, s[40:43], 0 offset:1140 ; 4-byte Folded Reload
	buffer_load_dword v40, off, s[40:43], 0 offset:1144 ; 4-byte Folded Reload
	buffer_load_dword v41, off, s[40:43], 0 offset:1148 ; 4-byte Folded Reload
	s_waitcnt vmcnt(22)
	;;#ASMSTART
	v_pk_mul_f32 v[2:3], v[18:19], v[4:5]
	;;#ASMEND
	;;#ASMSTART
	v_med3_f32 v2, v2, v8, v9
v_med3_f32 v3, v3, v8, v9
v_cvt_pk_fp8_f32 v6, v2, v3
	;;#ASMEND
	buffer_load_dword v10, off, s[40:43], 0 offset:640 ; 4-byte Folded Reload
	buffer_load_dword v11, off, s[40:43], 0 offset:644 ; 4-byte Folded Reload
	buffer_load_dword v12, off, s[40:43], 0 offset:648 ; 4-byte Folded Reload
	buffer_load_dword v13, off, s[40:43], 0 offset:652 ; 4-byte Folded Reload
	buffer_load_dword v14, off, s[40:43], 0 offset:656 ; 4-byte Folded Reload
	buffer_load_dword v15, off, s[40:43], 0 offset:660 ; 4-byte Folded Reload
	buffer_load_dword v16, off, s[40:43], 0 offset:664 ; 4-byte Folded Reload
	buffer_load_dword v17, off, s[40:43], 0 offset:668 ; 4-byte Folded Reload
	buffer_load_dword v18, off, s[40:43], 0 offset:672 ; 4-byte Folded Reload
	buffer_load_dword v19, off, s[40:43], 0 offset:676 ; 4-byte Folded Reload
	buffer_load_dword v20, off, s[40:43], 0 offset:680 ; 4-byte Folded Reload
	buffer_load_dword v21, off, s[40:43], 0 offset:684 ; 4-byte Folded Reload
	buffer_load_dword v22, off, s[40:43], 0 offset:688 ; 4-byte Folded Reload
	buffer_load_dword v23, off, s[40:43], 0 offset:692 ; 4-byte Folded Reload
	buffer_load_dword v24, off, s[40:43], 0 offset:696 ; 4-byte Folded Reload
	buffer_load_dword v25, off, s[40:43], 0 offset:700 ; 4-byte Folded Reload
	buffer_load_dword v26, off, s[40:43], 0 offset:704 ; 4-byte Folded Reload
	buffer_load_dword v27, off, s[40:43], 0 offset:708 ; 4-byte Folded Reload
	buffer_load_dword v28, off, s[40:43], 0 offset:712 ; 4-byte Folded Reload
	buffer_load_dword v29, off, s[40:43], 0 offset:716 ; 4-byte Folded Reload
	buffer_load_dword v30, off, s[40:43], 0 offset:720 ; 4-byte Folded Reload
	buffer_load_dword v31, off, s[40:43], 0 offset:724 ; 4-byte Folded Reload
	buffer_load_dword v32, off, s[40:43], 0 offset:728 ; 4-byte Folded Reload
	buffer_load_dword v33, off, s[40:43], 0 offset:732 ; 4-byte Folded Reload
	buffer_load_dword v34, off, s[40:43], 0 offset:736 ; 4-byte Folded Reload
	buffer_load_dword v35, off, s[40:43], 0 offset:740 ; 4-byte Folded Reload
	buffer_load_dword v36, off, s[40:43], 0 offset:744 ; 4-byte Folded Reload
	buffer_load_dword v37, off, s[40:43], 0 offset:748 ; 4-byte Folded Reload
	buffer_load_dword v38, off, s[40:43], 0 offset:752 ; 4-byte Folded Reload
	buffer_load_dword v39, off, s[40:43], 0 offset:756 ; 4-byte Folded Reload
	buffer_load_dword v40, off, s[40:43], 0 offset:760 ; 4-byte Folded Reload
	buffer_load_dword v41, off, s[40:43], 0 offset:764 ; 4-byte Folded Reload
	s_waitcnt vmcnt(20)
	;;#ASMSTART
	v_pk_mul_f32 v[2:3], v[20:21], v[4:5]
	;;#ASMEND
	;;#ASMSTART
	v_med3_f32 v2, v2, v8, v9
v_med3_f32 v3, v3, v8, v9
v_cvt_pk_fp8_f32 v7, v2, v3
	;; [unrolled: 41-line block ×4, first 2 shown]
	;;#ASMEND
	v_perm_b32 v2, v7, v6, s7
	v_and_b32_e32 v3, 0xffffff00, v7
	v_and_b32_sdwa v6, v2, s12 dst_sel:DWORD dst_unused:UNUSED_PAD src0_sel:WORD_1 src1_sel:DWORD
	v_or_b32_sdwa v3, v6, v3 dst_sel:WORD_1 dst_unused:UNUSED_PAD src0_sel:DWORD src1_sel:DWORD
	v_and_or_b32 v2, v2, s14, v3
	v_lshlrev_b32_e32 v3, 16, v11
	v_and_or_b32 v3, v10, s14, v3
	buffer_store_dwordx2 v[2:3], v1, s[8:11], s0 offen
	;;#ASMSTART
	s_nop 0
	;;#ASMEND
	buffer_load_dword v10, off, s[40:43], 0 offset:512 ; 4-byte Folded Reload
	buffer_load_dword v11, off, s[40:43], 0 offset:516 ; 4-byte Folded Reload
	buffer_load_dword v12, off, s[40:43], 0 offset:520 ; 4-byte Folded Reload
	buffer_load_dword v13, off, s[40:43], 0 offset:524 ; 4-byte Folded Reload
	buffer_load_dword v14, off, s[40:43], 0 offset:528 ; 4-byte Folded Reload
	buffer_load_dword v15, off, s[40:43], 0 offset:532 ; 4-byte Folded Reload
	buffer_load_dword v16, off, s[40:43], 0 offset:536 ; 4-byte Folded Reload
	buffer_load_dword v17, off, s[40:43], 0 offset:540 ; 4-byte Folded Reload
	buffer_load_dword v18, off, s[40:43], 0 offset:544 ; 4-byte Folded Reload
	buffer_load_dword v19, off, s[40:43], 0 offset:548 ; 4-byte Folded Reload
	buffer_load_dword v20, off, s[40:43], 0 offset:552 ; 4-byte Folded Reload
	buffer_load_dword v21, off, s[40:43], 0 offset:556 ; 4-byte Folded Reload
	buffer_load_dword v22, off, s[40:43], 0 offset:560 ; 4-byte Folded Reload
	buffer_load_dword v23, off, s[40:43], 0 offset:564 ; 4-byte Folded Reload
	buffer_load_dword v24, off, s[40:43], 0 offset:568 ; 4-byte Folded Reload
	buffer_load_dword v25, off, s[40:43], 0 offset:572 ; 4-byte Folded Reload
	buffer_load_dword v26, off, s[40:43], 0 offset:576 ; 4-byte Folded Reload
	buffer_load_dword v27, off, s[40:43], 0 offset:580 ; 4-byte Folded Reload
	buffer_load_dword v28, off, s[40:43], 0 offset:584 ; 4-byte Folded Reload
	buffer_load_dword v29, off, s[40:43], 0 offset:588 ; 4-byte Folded Reload
	buffer_load_dword v30, off, s[40:43], 0 offset:592 ; 4-byte Folded Reload
	buffer_load_dword v31, off, s[40:43], 0 offset:596 ; 4-byte Folded Reload
	buffer_load_dword v32, off, s[40:43], 0 offset:600 ; 4-byte Folded Reload
	buffer_load_dword v33, off, s[40:43], 0 offset:604 ; 4-byte Folded Reload
	buffer_load_dword v34, off, s[40:43], 0 offset:608 ; 4-byte Folded Reload
	buffer_load_dword v35, off, s[40:43], 0 offset:612 ; 4-byte Folded Reload
	buffer_load_dword v36, off, s[40:43], 0 offset:616 ; 4-byte Folded Reload
	buffer_load_dword v37, off, s[40:43], 0 offset:620 ; 4-byte Folded Reload
	buffer_load_dword v38, off, s[40:43], 0 offset:624 ; 4-byte Folded Reload
	buffer_load_dword v39, off, s[40:43], 0 offset:628 ; 4-byte Folded Reload
	buffer_load_dword v40, off, s[40:43], 0 offset:632 ; 4-byte Folded Reload
	buffer_load_dword v41, off, s[40:43], 0 offset:636 ; 4-byte Folded Reload
	s_movk_i32 s0, 0x400
	s_waitcnt vmcnt(14)
	;;#ASMSTART
	v_pk_mul_f32 v[2:3], v[26:27], v[4:5]
	;;#ASMEND
	;;#ASMSTART
	v_med3_f32 v2, v2, v8, v9
v_med3_f32 v3, v3, v8, v9
v_cvt_pk_fp8_f32 v6, v2, v3
	;;#ASMEND
	buffer_load_dword v10, off, s[40:43], 0 offset:384 ; 4-byte Folded Reload
	buffer_load_dword v11, off, s[40:43], 0 offset:388 ; 4-byte Folded Reload
	;; [unrolled: 1-line block ×32, first 2 shown]
	s_waitcnt vmcnt(12)
	;;#ASMSTART
	v_pk_mul_f32 v[2:3], v[28:29], v[4:5]
	;;#ASMEND
	;;#ASMSTART
	v_med3_f32 v2, v2, v8, v9
v_med3_f32 v3, v3, v8, v9
v_cvt_pk_fp8_f32 v7, v2, v3
	;;#ASMEND
	buffer_load_dword v52, off, s[40:43], 0 ; 4-byte Folded Reload
	buffer_load_dword v53, off, s[40:43], 0 offset:4 ; 4-byte Folded Reload
	buffer_load_dword v54, off, s[40:43], 0 offset:8 ; 4-byte Folded Reload
	buffer_load_dword v55, off, s[40:43], 0 offset:12 ; 4-byte Folded Reload
	buffer_load_dword v56, off, s[40:43], 0 offset:16 ; 4-byte Folded Reload
	buffer_load_dword v57, off, s[40:43], 0 offset:20 ; 4-byte Folded Reload
	buffer_load_dword v58, off, s[40:43], 0 offset:24 ; 4-byte Folded Reload
	buffer_load_dword v59, off, s[40:43], 0 offset:28 ; 4-byte Folded Reload
	buffer_load_dword v60, off, s[40:43], 0 offset:32 ; 4-byte Folded Reload
	buffer_load_dword v61, off, s[40:43], 0 offset:36 ; 4-byte Folded Reload
	buffer_load_dword v62, off, s[40:43], 0 offset:40 ; 4-byte Folded Reload
	buffer_load_dword v63, off, s[40:43], 0 offset:44 ; 4-byte Folded Reload
	buffer_load_dword v64, off, s[40:43], 0 offset:48 ; 4-byte Folded Reload
	buffer_load_dword v65, off, s[40:43], 0 offset:52 ; 4-byte Folded Reload
	buffer_load_dword v66, off, s[40:43], 0 offset:56 ; 4-byte Folded Reload
	buffer_load_dword v67, off, s[40:43], 0 offset:60 ; 4-byte Folded Reload
	buffer_load_dword v68, off, s[40:43], 0 offset:64 ; 4-byte Folded Reload
	buffer_load_dword v69, off, s[40:43], 0 offset:68 ; 4-byte Folded Reload
	buffer_load_dword v70, off, s[40:43], 0 offset:72 ; 4-byte Folded Reload
	buffer_load_dword v71, off, s[40:43], 0 offset:76 ; 4-byte Folded Reload
	buffer_load_dword v72, off, s[40:43], 0 offset:80 ; 4-byte Folded Reload
	buffer_load_dword v73, off, s[40:43], 0 offset:84 ; 4-byte Folded Reload
	buffer_load_dword v74, off, s[40:43], 0 offset:88 ; 4-byte Folded Reload
	buffer_load_dword v75, off, s[40:43], 0 offset:92 ; 4-byte Folded Reload
	buffer_load_dword v76, off, s[40:43], 0 offset:96 ; 4-byte Folded Reload
	buffer_load_dword v77, off, s[40:43], 0 offset:100 ; 4-byte Folded Reload
	buffer_load_dword v78, off, s[40:43], 0 offset:104 ; 4-byte Folded Reload
	buffer_load_dword v79, off, s[40:43], 0 offset:108 ; 4-byte Folded Reload
	buffer_load_dword v80, off, s[40:43], 0 offset:112 ; 4-byte Folded Reload
	buffer_load_dword v81, off, s[40:43], 0 offset:116 ; 4-byte Folded Reload
	buffer_load_dword v82, off, s[40:43], 0 offset:120 ; 4-byte Folded Reload
	buffer_load_dword v83, off, s[40:43], 0 offset:124 ; 4-byte Folded Reload
	v_perm_b32 v3, v7, v6, s7
	v_and_b32_e32 v2, 0xffffff00, v7
	v_and_b32_sdwa v6, v3, s12 dst_sel:DWORD dst_unused:UNUSED_PAD src0_sel:WORD_1 src1_sel:DWORD
	v_or_b32_sdwa v2, v6, v2 dst_sel:WORD_1 dst_unused:UNUSED_PAD src0_sel:DWORD src1_sel:DWORD
	v_and_or_b32 v2, v3, s14, v2
	s_waitcnt vmcnt(10)
	;;#ASMSTART
	v_pk_mul_f32 v[6:7], v[72:73], v[4:5]
	;;#ASMEND
	v_mov_b32_e32 v3, v6
	;;#ASMSTART
	v_med3_f32 v3, v3, v8, v9
v_med3_f32 v7, v7, v8, v9
v_cvt_pk_fp8_f32 v6, v3, v7
	;;#ASMEND
	;;#ASMSTART
	v_pk_mul_f32 v[4:5], v[120:121], v[4:5]
	;;#ASMEND
	v_mov_b32_e32 v3, v5
	;;#ASMSTART
	v_med3_f32 v4, v4, v8, v9
v_med3_f32 v3, v3, v8, v9
v_cvt_pk_fp8_f32 v5, v4, v3
	;;#ASMEND
	v_lshlrev_b32_e32 v3, 16, v5
	v_and_or_b32 v3, v6, s14, v3
	buffer_store_dwordx2 v[2:3], v1, s[8:11], s0 offen
	;;#ASMSTART
	s_nop 0
	;;#ASMEND
.LBB67_32:
	s_or_b64 exec, exec, s[22:23]
	s_cmp_lt_i32 s16, 1
	s_cbranch_scc1 .LBB67_17
.LBB67_33:
	s_load_dword s0, s[4:5], 0x94
	s_waitcnt lgkmcnt(0)
	s_cmp_lg_u32 s0, 1
	s_cbranch_scc1 .LBB67_17
; %bb.34:
	s_lshl_b32 s0, s16, 1
	s_add_i32 s0, s0, 2
	v_cmp_gt_u32_e32 vcc, s16, v1
	s_and_b32 s22, s0, -4
	v_mov_b32_e32 v26, 0
	v_lshlrev_b32_e32 v1, 1, v1
	v_mov_b32_e32 v22, 0
	v_mov_b32_e32 v23, 0
	;; [unrolled: 1-line block ×24, first 2 shown]
	s_waitcnt vmcnt(63) expcnt(7) lgkmcnt(15)
	s_barrier
	s_and_saveexec_b64 s[0:1], vcc
	s_cbranch_execz .LBB67_36
; %bb.35:
	s_mul_hi_i32 s5, s18, s6
	s_mul_i32 s4, s18, s6
	s_and_b32 s21, s21, 0xffff
	s_lshl_b64 s[4:5], s[4:5], 1
	s_add_u32 s8, s34, s4
	s_mov_b32 s23, 0x20000
	s_addc_u32 s4, s35, s5
	s_and_b32 s9, s4, 0xffff
	s_mov_b32 s10, s22
	s_mov_b32 s11, s23
	s_movk_i32 s5, 0x800
	s_movk_i32 s4, 0x400
	buffer_load_dwordx4 v[22:25], v1, s[8:11], 0 offen glc slc
	buffer_load_dwordx4 v[14:17], v1, s[8:11], s4 offen glc slc
	;; [unrolled: 1-line block ×3, first 2 shown]
	buffer_load_dwordx4 v[10:13], v1, s[20:23], 0 offen
	buffer_load_dwordx4 v[6:9], v1, s[20:23], s4 offen
	;; [unrolled: 1-line block ×3, first 2 shown]
.LBB67_36:
	s_or_b64 exec, exec, s[0:1]
	v_mov_b32_e32 v27, 0
	v_mov_b32_e32 v48, 0
	;; [unrolled: 1-line block ×9, first 2 shown]
	s_waitcnt vmcnt(2)
	v_mov_b32_e32 v40, 0
	s_waitcnt vmcnt(1)
	v_mov_b32_e32 v41, 0
	v_mov_b32_e32 v38, 0
	;; [unrolled: 1-line block ×4, first 2 shown]
	s_waitcnt vmcnt(0)
	v_mov_b32_e32 v37, 0
	v_mov_b32_e32 v34, 0
	;; [unrolled: 1-line block ×9, first 2 shown]
	s_and_saveexec_b64 s[0:1], vcc
	s_cbranch_execz .LBB67_38
; %bb.37:
	v_cvt_f32_f16_sdwa v27, v22 dst_sel:DWORD dst_unused:UNUSED_PAD src0_sel:WORD_1
	v_cvt_f32_f16_e32 v26, v22
	v_cvt_f32_f16_sdwa v49, v23 dst_sel:DWORD dst_unused:UNUSED_PAD src0_sel:WORD_1
	v_cvt_f32_f16_e32 v48, v23
	;; [unrolled: 2-line block ×12, first 2 shown]
.LBB67_38:
	s_or_b64 exec, exec, s[0:1]
	v_mul_f32_e32 v14, v27, v27
	v_fmac_f32_e32 v14, v26, v26
	v_fmac_f32_e32 v14, v48, v48
	;; [unrolled: 1-line block ×23, first 2 shown]
	s_nop 1
	v_mov_b32_dpp v15, v14 quad_perm:[1,0,3,2] row_mask:0xf bank_mask:0xf
	v_add_f32_e32 v14, v14, v15
	s_nop 1
	v_mov_b32_dpp v15, v14 quad_perm:[2,3,0,1] row_mask:0xf bank_mask:0xf
	v_add_f32_e32 v14, v14, v15
	s_nop 1
	v_mov_b32_dpp v15, v14 row_half_mirror row_mask:0xf bank_mask:0xf
	v_add_f32_e32 v14, v14, v15
	s_nop 1
	v_mov_b32_dpp v15, v14 row_mirror row_mask:0xf bank_mask:0xf
	v_add_f32_e32 v14, v14, v15
	s_nop 1
	v_mov_b32_dpp v15, v14 row_bcast:15 row_mask:0xf bank_mask:0xf
	v_add_f32_e32 v14, v14, v15
	s_nop 1
	v_mov_b32_dpp v15, v14 row_bcast:31 row_mask:0xf bank_mask:0xf
	s_and_saveexec_b64 s[0:1], s[2:3]
	s_cbranch_execz .LBB67_40
; %bb.39:
	v_lshrrev_b32_e32 v0, 4, v0
	v_add_f32_e32 v14, v14, v15
	v_and_b32_e32 v0, 60, v0
	ds_write_b32 v0, v14 offset:16
.LBB67_40:
	s_or_b64 exec, exec, s[0:1]
	s_waitcnt lgkmcnt(0)
	s_barrier
	ds_read_b32 v0, v50 offset:16
	s_waitcnt lgkmcnt(0)
	s_nop 0
	v_mov_b32_dpp v14, v0 quad_perm:[1,0,3,2] row_mask:0xf bank_mask:0xf
	v_add_f32_e32 v0, v0, v14
	s_nop 1
	v_mov_b32_dpp v14, v0 quad_perm:[2,3,0,1] row_mask:0xf bank_mask:0xf
	s_and_saveexec_b64 s[0:1], vcc
	s_cbranch_execz .LBB67_17
; %bb.41:
	v_cvt_f32_u32_e32 v15, s16
	v_add_f32_e32 v0, v0, v14
	s_mov_b32 s23, 0x20000
	v_div_scale_f32 v14, s[0:1], v15, v15, v0
	v_rcp_f32_e32 v16, v14
	v_div_scale_f32 v17, vcc, v0, v15, v0
	s_mov_b32 s0, 0x800000
	v_fma_f32 v18, -v14, v16, 1.0
	v_fmac_f32_e32 v16, v18, v16
	v_mul_f32_e32 v18, v17, v16
	v_fma_f32 v19, -v14, v18, v17
	v_fmac_f32_e32 v18, v19, v16
	v_fma_f32 v14, -v14, v18, v17
	v_div_fmas_f32 v14, v14, v16, v18
	v_div_fixup_f32 v0, v14, v15, v0
	v_add_f32_e32 v0, s13, v0
	v_mul_f32_e32 v14, 0x4b800000, v0
	v_cmp_gt_f32_e32 vcc, s0, v0
	v_cndmask_b32_e32 v0, v0, v14, vcc
	v_rsq_f32_e32 v0, v0
	s_mul_hi_i32 s1, s25, s6
	s_mul_i32 s0, s25, s6
	s_lshl_b64 s[0:1], s[0:1], 1
	v_mul_f32_e32 v14, 0x45800000, v0
	v_cndmask_b32_e32 v14, v0, v14, vcc
	v_mov_b32_e32 v15, v14
	;;#ASMSTART
	v_pk_mul_f32 v[16:17], v[26:27], v[14:15]
	;;#ASMEND
	;;#ASMSTART
	v_pk_mul_f32 v[18:19], v[48:49], v[14:15]
	;;#ASMEND
	;; [unrolled: 3-line block ×12, first 2 shown]
	v_cvt_f32_f16_sdwa v29, v10 dst_sel:DWORD dst_unused:UNUSED_PAD src0_sel:WORD_1
	v_cvt_f32_f16_e32 v28, v10
	v_cvt_f32_f16_sdwa v41, v11 dst_sel:DWORD dst_unused:UNUSED_PAD src0_sel:WORD_1
	v_cvt_f32_f16_e32 v40, v11
	;; [unrolled: 2-line block ×4, first 2 shown]
	;;#ASMSTART
	v_pk_mul_f32 v[12:13], v[16:17], v[28:29]
	;;#ASMEND
	;;#ASMSTART
	v_pk_mul_f32 v[16:17], v[18:19], v[40:41]
	;;#ASMEND
	;; [unrolled: 3-line block ×3, first 2 shown]
	v_cvt_f32_f16_sdwa v21, v6 dst_sel:DWORD dst_unused:UNUSED_PAD src0_sel:WORD_1
	v_cvt_f32_f16_e32 v20, v6
	;;#ASMSTART
	v_pk_mul_f32 v[18:19], v[22:23], v[42:43]
	;;#ASMEND
	v_cvt_f32_f16_sdwa v23, v7 dst_sel:DWORD dst_unused:UNUSED_PAD src0_sel:WORD_1
	v_cvt_f32_f16_e32 v22, v7
	v_cvt_f32_f16_sdwa v7, v8 dst_sel:DWORD dst_unused:UNUSED_PAD src0_sel:WORD_1
	v_cvt_f32_f16_e32 v6, v8
	;; [unrolled: 2-line block ×3, first 2 shown]
	;;#ASMSTART
	v_pk_mul_f32 v[8:9], v[24:25], v[20:21]
	;;#ASMEND
	;;#ASMSTART
	v_pk_mul_f32 v[20:21], v[26:27], v[22:23]
	;;#ASMEND
	v_cvt_f32_f16_sdwa v25, v2 dst_sel:DWORD dst_unused:UNUSED_PAD src0_sel:WORD_1
	v_cvt_f32_f16_e32 v24, v2
	v_cvt_f32_f16_sdwa v27, v3 dst_sel:DWORD dst_unused:UNUSED_PAD src0_sel:WORD_1
	v_cvt_f32_f16_e32 v26, v3
	;; [unrolled: 2-line block ×3, first 2 shown]
	;;#ASMSTART
	v_pk_mul_f32 v[6:7], v[38:39], v[6:7]
	;;#ASMEND
	;;#ASMSTART
	v_pk_mul_f32 v[22:23], v[36:37], v[28:29]
	;;#ASMEND
	v_cvt_f32_f16_sdwa v29, v5 dst_sel:DWORD dst_unused:UNUSED_PAD src0_sel:WORD_1
	v_cvt_f32_f16_e32 v28, v5
	;;#ASMSTART
	v_pk_mul_f32 v[24:25], v[34:35], v[24:25]
	;;#ASMEND
	;;#ASMSTART
	v_pk_mul_f32 v[26:27], v[32:33], v[26:27]
	;;#ASMEND
	;; [unrolled: 3-line block ×3, first 2 shown]
	v_cvt_f16_f32_e32 v0, v12
	v_cvt_f16_f32_e32 v2, v13
	;; [unrolled: 1-line block ×8, first 2 shown]
	s_add_u32 s20, s26, s0
	s_addc_u32 s0, s27, s1
	s_and_b32 s21, s0, 0xffff
	v_pack_b32_f16 v2, v0, v2
	v_pack_b32_f16 v3, v3, v4
	;; [unrolled: 1-line block ×4, first 2 shown]
	;;#ASMSTART
	v_pk_mul_f32 v[14:15], v[14:15], v[28:29]
	;;#ASMEND
	buffer_store_dwordx4 v[2:5], v1, s[20:23], 0 offen
	v_cvt_f16_f32_e32 v0, v8
	v_cvt_f16_f32_e32 v2, v9
	;; [unrolled: 1-line block ×8, first 2 shown]
	v_pack_b32_f16 v2, v0, v2
	v_pack_b32_f16 v3, v3, v4
	;; [unrolled: 1-line block ×4, first 2 shown]
	s_movk_i32 s0, 0x400
	;;#ASMSTART
	s_nop 0
	;;#ASMEND
	buffer_store_dwordx4 v[2:5], v1, s[20:23], s0 offen
	v_cvt_f16_f32_e32 v0, v24
	v_cvt_f16_f32_e32 v2, v25
	;; [unrolled: 1-line block ×8, first 2 shown]
	v_pack_b32_f16 v2, v0, v2
	v_pack_b32_f16 v3, v3, v4
	;; [unrolled: 1-line block ×4, first 2 shown]
	s_movk_i32 s0, 0x800
	;;#ASMSTART
	s_nop 0
	;;#ASMEND
	buffer_store_dwordx4 v[2:5], v1, s[20:23], s0 offen
	;;#ASMSTART
	s_nop 0
	;;#ASMEND
	s_endpgm
	.section	.rodata,"a",@progbits
	.p2align	6, 0x0
	.amdhsa_kernel _ZN5aiter35fused_qk_rmsnorm_group_quant_kernelIDF16_DB8_Li256ELi24ELi1ELb1ELb1ELb0ELb0ELb1ELb1EEEvPT0_PvPT_S6_S6_PKS5_S8_S8_S8_S8_ffiiiiiiiiiiiii
		.amdhsa_group_segment_fixed_size 48
		.amdhsa_private_segment_fixed_size 1156
		.amdhsa_kernarg_size 400
		.amdhsa_user_sgpr_count 6
		.amdhsa_user_sgpr_private_segment_buffer 1
		.amdhsa_user_sgpr_dispatch_ptr 0
		.amdhsa_user_sgpr_queue_ptr 0
		.amdhsa_user_sgpr_kernarg_segment_ptr 1
		.amdhsa_user_sgpr_dispatch_id 0
		.amdhsa_user_sgpr_flat_scratch_init 0
		.amdhsa_user_sgpr_kernarg_preload_length 0
		.amdhsa_user_sgpr_kernarg_preload_offset 0
		.amdhsa_user_sgpr_private_segment_size 0
		.amdhsa_uses_dynamic_stack 0
		.amdhsa_system_sgpr_private_segment_wavefront_offset 1
		.amdhsa_system_sgpr_workgroup_id_x 1
		.amdhsa_system_sgpr_workgroup_id_y 1
		.amdhsa_system_sgpr_workgroup_id_z 0
		.amdhsa_system_sgpr_workgroup_info 0
		.amdhsa_system_vgpr_workitem_id 0
		.amdhsa_next_free_vgpr 126
		.amdhsa_next_free_sgpr 44
		.amdhsa_accum_offset 128
		.amdhsa_reserve_vcc 1
		.amdhsa_reserve_flat_scratch 0
		.amdhsa_float_round_mode_32 0
		.amdhsa_float_round_mode_16_64 0
		.amdhsa_float_denorm_mode_32 3
		.amdhsa_float_denorm_mode_16_64 3
		.amdhsa_dx10_clamp 1
		.amdhsa_ieee_mode 1
		.amdhsa_fp16_overflow 0
		.amdhsa_tg_split 0
		.amdhsa_exception_fp_ieee_invalid_op 0
		.amdhsa_exception_fp_denorm_src 0
		.amdhsa_exception_fp_ieee_div_zero 0
		.amdhsa_exception_fp_ieee_overflow 0
		.amdhsa_exception_fp_ieee_underflow 0
		.amdhsa_exception_fp_ieee_inexact 0
		.amdhsa_exception_int_div_zero 0
	.end_amdhsa_kernel
	.section	.text._ZN5aiter35fused_qk_rmsnorm_group_quant_kernelIDF16_DB8_Li256ELi24ELi1ELb1ELb1ELb0ELb0ELb1ELb1EEEvPT0_PvPT_S6_S6_PKS5_S8_S8_S8_S8_ffiiiiiiiiiiiii,"axG",@progbits,_ZN5aiter35fused_qk_rmsnorm_group_quant_kernelIDF16_DB8_Li256ELi24ELi1ELb1ELb1ELb0ELb0ELb1ELb1EEEvPT0_PvPT_S6_S6_PKS5_S8_S8_S8_S8_ffiiiiiiiiiiiii,comdat
.Lfunc_end67:
	.size	_ZN5aiter35fused_qk_rmsnorm_group_quant_kernelIDF16_DB8_Li256ELi24ELi1ELb1ELb1ELb0ELb0ELb1ELb1EEEvPT0_PvPT_S6_S6_PKS5_S8_S8_S8_S8_ffiiiiiiiiiiiii, .Lfunc_end67-_ZN5aiter35fused_qk_rmsnorm_group_quant_kernelIDF16_DB8_Li256ELi24ELi1ELb1ELb1ELb0ELb0ELb1ELb1EEEvPT0_PvPT_S6_S6_PKS5_S8_S8_S8_S8_ffiiiiiiiiiiiii
                                        ; -- End function
	.section	.AMDGPU.csdata,"",@progbits
; Kernel info:
; codeLenInByte = 32036
; NumSgprs: 48
; NumVgprs: 126
; NumAgprs: 0
; TotalNumVgprs: 126
; ScratchSize: 1156
; MemoryBound: 0
; FloatMode: 240
; IeeeMode: 1
; LDSByteSize: 48 bytes/workgroup (compile time only)
; SGPRBlocks: 5
; VGPRBlocks: 15
; NumSGPRsForWavesPerEU: 48
; NumVGPRsForWavesPerEU: 126
; AccumOffset: 128
; Occupancy: 4
; WaveLimiterHint : 0
; COMPUTE_PGM_RSRC2:SCRATCH_EN: 1
; COMPUTE_PGM_RSRC2:USER_SGPR: 6
; COMPUTE_PGM_RSRC2:TRAP_HANDLER: 0
; COMPUTE_PGM_RSRC2:TGID_X_EN: 1
; COMPUTE_PGM_RSRC2:TGID_Y_EN: 1
; COMPUTE_PGM_RSRC2:TGID_Z_EN: 0
; COMPUTE_PGM_RSRC2:TIDIG_COMP_CNT: 0
; COMPUTE_PGM_RSRC3_GFX90A:ACCUM_OFFSET: 31
; COMPUTE_PGM_RSRC3_GFX90A:TG_SPLIT: 0
	.section	.text._ZN5aiter35fused_qk_rmsnorm_group_quant_kernelItDB8_Li256ELi24ELi1ELb1ELb1ELb0ELb0ELb1ELb1EEEvPT0_PvPT_S6_S6_PKS5_S8_S8_S8_S8_ffiiiiiiiiiiiii,"axG",@progbits,_ZN5aiter35fused_qk_rmsnorm_group_quant_kernelItDB8_Li256ELi24ELi1ELb1ELb1ELb0ELb0ELb1ELb1EEEvPT0_PvPT_S6_S6_PKS5_S8_S8_S8_S8_ffiiiiiiiiiiiii,comdat
	.protected	_ZN5aiter35fused_qk_rmsnorm_group_quant_kernelItDB8_Li256ELi24ELi1ELb1ELb1ELb0ELb0ELb1ELb1EEEvPT0_PvPT_S6_S6_PKS5_S8_S8_S8_S8_ffiiiiiiiiiiiii ; -- Begin function _ZN5aiter35fused_qk_rmsnorm_group_quant_kernelItDB8_Li256ELi24ELi1ELb1ELb1ELb0ELb0ELb1ELb1EEEvPT0_PvPT_S6_S6_PKS5_S8_S8_S8_S8_ffiiiiiiiiiiiii
	.globl	_ZN5aiter35fused_qk_rmsnorm_group_quant_kernelItDB8_Li256ELi24ELi1ELb1ELb1ELb0ELb0ELb1ELb1EEEvPT0_PvPT_S6_S6_PKS5_S8_S8_S8_S8_ffiiiiiiiiiiiii
	.p2align	8
	.type	_ZN5aiter35fused_qk_rmsnorm_group_quant_kernelItDB8_Li256ELi24ELi1ELb1ELb1ELb0ELb0ELb1ELb1EEEvPT0_PvPT_S6_S6_PKS5_S8_S8_S8_S8_ffiiiiiiiiiiiii,@function
_ZN5aiter35fused_qk_rmsnorm_group_quant_kernelItDB8_Li256ELi24ELi1ELb1ELb1ELb0ELb0ELb1ELb1EEEvPT0_PvPT_S6_S6_PKS5_S8_S8_S8_S8_ffiiiiiiiiiiiii: ; @_ZN5aiter35fused_qk_rmsnorm_group_quant_kernelItDB8_Li256ELi24ELi1ELb1ELb1ELb0ELb0ELb1ELb1EEEvPT0_PvPT_S6_S6_PKS5_S8_S8_S8_S8_ffiiiiiiiiiiiii
; %bb.0:
	s_load_dwordx8 s[12:19], s[4:5], 0x50
	s_mov_b64 s[42:43], s[2:3]
	s_mov_b64 s[40:41], s[0:1]
	s_add_u32 s40, s40, s8
	s_addc_u32 s41, s41, 0
	s_waitcnt lgkmcnt(0)
	s_cmp_ge_i32 s6, s14
	s_cbranch_scc1 .LBB68_17
; %bb.1:
	s_cmp_lg_u32 s7, 0
	s_cselect_b64 s[22:23], -1, 0
	s_cmp_eq_u32 s7, 0
	s_cselect_b64 s[8:9], -1, 0
	s_and_b64 s[0:1], s[8:9], exec
	s_cselect_b32 s7, s15, s16
	s_add_i32 s0, s7, 1
	s_load_dwordx2 s[10:11], s[4:5], 0x70
	s_load_dwordx2 s[20:21], s[4:5], 0x48
	;; [unrolled: 1-line block ×3, first 2 shown]
	s_lshr_b32 s1, s0, 31
	s_add_i32 s0, s0, s1
	s_lshl_b32 s0, s0, 1
	v_and_b32_e32 v1, 0x3c0, v0
	s_and_b32 s30, s0, -4
	v_lshlrev_b32_e32 v2, 3, v0
	v_mul_u32_u24_e32 v1, 24, v1
	s_movk_i32 s0, 0x1f8
	v_and_or_b32 v68, v2, s0, v1
	v_cmp_gt_i32_e64 s[0:1], s7, v68
	v_mov_b32_e32 v120, 0
	v_mov_b32_e32 v121, 0
	v_mov_b32_e32 v122, 0
	v_mov_b32_e32 v123, 0
	v_mov_b32_e32 v116, 0
	v_mov_b32_e32 v117, 0
	v_mov_b32_e32 v118, 0
	v_mov_b32_e32 v119, 0
	v_mov_b32_e32 v112, 0
	v_mov_b32_e32 v113, 0
	v_mov_b32_e32 v114, 0
	v_mov_b32_e32 v115, 0
	v_mov_b32_e32 v124, 0
	v_mov_b32_e32 v125, 0
	v_mov_b32_e32 v126, 0
	v_mov_b32_e32 v127, 0
	v_mov_b32_e32 v108, 0
	v_mov_b32_e32 v109, 0
	v_mov_b32_e32 v110, 0
	v_mov_b32_e32 v111, 0
	v_mov_b32_e32 v104, 0
	v_mov_b32_e32 v105, 0
	v_mov_b32_e32 v106, 0
	v_mov_b32_e32 v107, 0
	s_and_saveexec_b64 s[2:3], s[0:1]
	s_cbranch_execz .LBB68_3
; %bb.2:
	s_load_dwordx2 s[24:25], s[4:5], 0x28
	s_load_dwordx2 s[26:27], s[4:5], 0x40
	s_and_b64 s[28:29], s[8:9], exec
	s_cselect_b32 s14, s17, s18
	s_mov_b32 s31, 0x20000
	s_waitcnt lgkmcnt(0)
	s_cselect_b32 s17, s25, s35
	s_cselect_b32 s28, s24, s34
	s_mul_hi_i32 s25, s14, s6
	s_mul_i32 s24, s14, s6
	s_lshl_b64 s[24:25], s[24:25], 1
	s_add_u32 s24, s28, s24
	s_addc_u32 s14, s17, s25
	s_and_b64 s[28:29], s[8:9], exec
	s_cselect_b32 s17, s27, s21
	s_cselect_b32 s28, s26, s20
	s_and_b32 s29, s17, 0xffff
	s_and_b32 s25, s14, 0xffff
	s_mov_b32 s26, s30
	s_mov_b32 s27, s31
	v_lshlrev_b32_e32 v1, 1, v68
	s_movk_i32 s17, 0x800
	s_movk_i32 s14, 0x400
	buffer_load_dwordx4 v[124:127], v1, s[24:27], 0 offen glc slc
	buffer_load_dwordx4 v[108:111], v1, s[24:27], s14 offen glc slc
	buffer_load_dwordx4 v[104:107], v1, s[24:27], s17 offen glc slc
	buffer_load_dwordx4 v[120:123], v1, s[28:31], 0 offen
	buffer_load_dwordx4 v[116:119], v1, s[28:31], s14 offen
	;; [unrolled: 1-line block ×3, first 2 shown]
.LBB68_3:
	s_or_b64 exec, exec, s[2:3]
	s_load_dwordx4 s[24:27], s[4:5], 0x7c
	s_and_b64 vcc, exec, s[22:23]
	s_cbranch_vccz .LBB68_7
; %bb.4:
	v_mov_b32_e32 v27, 0
	v_mov_b32_e32 v26, 0
	;; [unrolled: 1-line block ×4, first 2 shown]
	buffer_store_dword v0, off, s[40:43], 0 offset:768 ; 4-byte Folded Spill
	s_nop 0
	buffer_store_dword v1, off, s[40:43], 0 offset:772 ; 4-byte Folded Spill
	buffer_store_dword v2, off, s[40:43], 0 offset:776 ; 4-byte Folded Spill
	;; [unrolled: 1-line block ×31, first 2 shown]
	v_mov_b32_e32 v19, 0
	v_mov_b32_e32 v18, 0
	;; [unrolled: 1-line block ×8, first 2 shown]
	buffer_store_dword v0, off, s[40:43], 0 ; 4-byte Folded Spill
	s_nop 0
	buffer_store_dword v1, off, s[40:43], 0 offset:4 ; 4-byte Folded Spill
	buffer_store_dword v2, off, s[40:43], 0 offset:8 ; 4-byte Folded Spill
	buffer_store_dword v3, off, s[40:43], 0 offset:12 ; 4-byte Folded Spill
	buffer_store_dword v4, off, s[40:43], 0 offset:16 ; 4-byte Folded Spill
	buffer_store_dword v5, off, s[40:43], 0 offset:20 ; 4-byte Folded Spill
	buffer_store_dword v6, off, s[40:43], 0 offset:24 ; 4-byte Folded Spill
	buffer_store_dword v7, off, s[40:43], 0 offset:28 ; 4-byte Folded Spill
	buffer_store_dword v8, off, s[40:43], 0 offset:32 ; 4-byte Folded Spill
	buffer_store_dword v9, off, s[40:43], 0 offset:36 ; 4-byte Folded Spill
	buffer_store_dword v10, off, s[40:43], 0 offset:40 ; 4-byte Folded Spill
	buffer_store_dword v11, off, s[40:43], 0 offset:44 ; 4-byte Folded Spill
	buffer_store_dword v12, off, s[40:43], 0 offset:48 ; 4-byte Folded Spill
	buffer_store_dword v13, off, s[40:43], 0 offset:52 ; 4-byte Folded Spill
	buffer_store_dword v14, off, s[40:43], 0 offset:56 ; 4-byte Folded Spill
	buffer_store_dword v15, off, s[40:43], 0 offset:60 ; 4-byte Folded Spill
	buffer_store_dword v16, off, s[40:43], 0 offset:64 ; 4-byte Folded Spill
	buffer_store_dword v17, off, s[40:43], 0 offset:68 ; 4-byte Folded Spill
	buffer_store_dword v18, off, s[40:43], 0 offset:72 ; 4-byte Folded Spill
	buffer_store_dword v19, off, s[40:43], 0 offset:76 ; 4-byte Folded Spill
	buffer_store_dword v20, off, s[40:43], 0 offset:80 ; 4-byte Folded Spill
	buffer_store_dword v21, off, s[40:43], 0 offset:84 ; 4-byte Folded Spill
	buffer_store_dword v22, off, s[40:43], 0 offset:88 ; 4-byte Folded Spill
	buffer_store_dword v23, off, s[40:43], 0 offset:92 ; 4-byte Folded Spill
	buffer_store_dword v24, off, s[40:43], 0 offset:96 ; 4-byte Folded Spill
	buffer_store_dword v25, off, s[40:43], 0 offset:100 ; 4-byte Folded Spill
	buffer_store_dword v26, off, s[40:43], 0 offset:104 ; 4-byte Folded Spill
	buffer_store_dword v27, off, s[40:43], 0 offset:108 ; 4-byte Folded Spill
	buffer_store_dword v28, off, s[40:43], 0 offset:112 ; 4-byte Folded Spill
	buffer_store_dword v29, off, s[40:43], 0 offset:116 ; 4-byte Folded Spill
	buffer_store_dword v30, off, s[40:43], 0 offset:120 ; 4-byte Folded Spill
	buffer_store_dword v31, off, s[40:43], 0 offset:124 ; 4-byte Folded Spill
	v_mov_b32_e32 v17, 0
	v_mov_b32_e32 v16, 0
	buffer_store_dword v0, off, s[40:43], 0 offset:256 ; 4-byte Folded Spill
	s_nop 0
	buffer_store_dword v1, off, s[40:43], 0 offset:260 ; 4-byte Folded Spill
	buffer_store_dword v2, off, s[40:43], 0 offset:264 ; 4-byte Folded Spill
	buffer_store_dword v3, off, s[40:43], 0 offset:268 ; 4-byte Folded Spill
	buffer_store_dword v4, off, s[40:43], 0 offset:272 ; 4-byte Folded Spill
	buffer_store_dword v5, off, s[40:43], 0 offset:276 ; 4-byte Folded Spill
	buffer_store_dword v6, off, s[40:43], 0 offset:280 ; 4-byte Folded Spill
	buffer_store_dword v7, off, s[40:43], 0 offset:284 ; 4-byte Folded Spill
	buffer_store_dword v8, off, s[40:43], 0 offset:288 ; 4-byte Folded Spill
	buffer_store_dword v9, off, s[40:43], 0 offset:292 ; 4-byte Folded Spill
	buffer_store_dword v10, off, s[40:43], 0 offset:296 ; 4-byte Folded Spill
	buffer_store_dword v11, off, s[40:43], 0 offset:300 ; 4-byte Folded Spill
	buffer_store_dword v12, off, s[40:43], 0 offset:304 ; 4-byte Folded Spill
	buffer_store_dword v13, off, s[40:43], 0 offset:308 ; 4-byte Folded Spill
	buffer_store_dword v14, off, s[40:43], 0 offset:312 ; 4-byte Folded Spill
	buffer_store_dword v15, off, s[40:43], 0 offset:316 ; 4-byte Folded Spill
	buffer_store_dword v16, off, s[40:43], 0 offset:320 ; 4-byte Folded Spill
	buffer_store_dword v17, off, s[40:43], 0 offset:324 ; 4-byte Folded Spill
	buffer_store_dword v18, off, s[40:43], 0 offset:328 ; 4-byte Folded Spill
	buffer_store_dword v19, off, s[40:43], 0 offset:332 ; 4-byte Folded Spill
	buffer_store_dword v20, off, s[40:43], 0 offset:336 ; 4-byte Folded Spill
	buffer_store_dword v21, off, s[40:43], 0 offset:340 ; 4-byte Folded Spill
	buffer_store_dword v22, off, s[40:43], 0 offset:344 ; 4-byte Folded Spill
	buffer_store_dword v23, off, s[40:43], 0 offset:348 ; 4-byte Folded Spill
	buffer_store_dword v24, off, s[40:43], 0 offset:352 ; 4-byte Folded Spill
	buffer_store_dword v25, off, s[40:43], 0 offset:356 ; 4-byte Folded Spill
	buffer_store_dword v26, off, s[40:43], 0 offset:360 ; 4-byte Folded Spill
	buffer_store_dword v27, off, s[40:43], 0 offset:364 ; 4-byte Folded Spill
	buffer_store_dword v28, off, s[40:43], 0 offset:368 ; 4-byte Folded Spill
	buffer_store_dword v29, off, s[40:43], 0 offset:372 ; 4-byte Folded Spill
	buffer_store_dword v30, off, s[40:43], 0 offset:376 ; 4-byte Folded Spill
	buffer_store_dword v31, off, s[40:43], 0 offset:380 ; 4-byte Folded Spill
	v_mov_b32_e32 v15, 0
	v_mov_b32_e32 v14, 0
	buffer_store_dword v0, off, s[40:43], 0 offset:128 ; 4-byte Folded Spill
	;; [unrolled: 35-line block ×5, first 2 shown]
	s_nop 0
	buffer_store_dword v1, off, s[40:43], 0 offset:644 ; 4-byte Folded Spill
	buffer_store_dword v2, off, s[40:43], 0 offset:648 ; 4-byte Folded Spill
	;; [unrolled: 1-line block ×31, first 2 shown]
	v_mov_b32_e32 v5, 0
	v_mov_b32_e32 v4, 0
	s_and_saveexec_b64 s[2:3], s[0:1]
	s_cbranch_execz .LBB68_6
; %bb.5:
	s_waitcnt vmcnt(62)
	v_cvt_f32_u32_sdwa v4, v125 dst_sel:DWORD dst_unused:UNUSED_PAD src0_sel:WORD_0
	v_cvt_f32_u32_sdwa v5, v125 dst_sel:DWORD dst_unused:UNUSED_PAD src0_sel:WORD_1
	v_cvt_f32_u32_sdwa v8, v108 dst_sel:DWORD dst_unused:UNUSED_PAD src0_sel:WORD_0
	v_cvt_f32_u32_sdwa v9, v108 dst_sel:DWORD dst_unused:UNUSED_PAD src0_sel:WORD_1
	buffer_store_dword v0, off, s[40:43], 0 offset:640 ; 4-byte Folded Spill
	s_nop 0
	buffer_store_dword v1, off, s[40:43], 0 offset:644 ; 4-byte Folded Spill
	buffer_store_dword v2, off, s[40:43], 0 offset:648 ; 4-byte Folded Spill
	;; [unrolled: 1-line block ×31, first 2 shown]
	v_cvt_f32_u32_sdwa v10, v109 dst_sel:DWORD dst_unused:UNUSED_PAD src0_sel:WORD_0
	v_cvt_f32_u32_sdwa v11, v109 dst_sel:DWORD dst_unused:UNUSED_PAD src0_sel:WORD_1
	v_cvt_f32_u32_sdwa v34, v124 dst_sel:DWORD dst_unused:UNUSED_PAD src0_sel:WORD_0
	v_cvt_f32_u32_sdwa v35, v124 dst_sel:DWORD dst_unused:UNUSED_PAD src0_sel:WORD_1
	;; [unrolled: 2-line block ×4, first 2 shown]
	buffer_store_dword v0, off, s[40:43], 0 offset:512 ; 4-byte Folded Spill
	s_nop 0
	buffer_store_dword v1, off, s[40:43], 0 offset:516 ; 4-byte Folded Spill
	buffer_store_dword v2, off, s[40:43], 0 offset:520 ; 4-byte Folded Spill
	buffer_store_dword v3, off, s[40:43], 0 offset:524 ; 4-byte Folded Spill
	buffer_store_dword v4, off, s[40:43], 0 offset:528 ; 4-byte Folded Spill
	buffer_store_dword v5, off, s[40:43], 0 offset:532 ; 4-byte Folded Spill
	buffer_store_dword v6, off, s[40:43], 0 offset:536 ; 4-byte Folded Spill
	buffer_store_dword v7, off, s[40:43], 0 offset:540 ; 4-byte Folded Spill
	buffer_store_dword v8, off, s[40:43], 0 offset:544 ; 4-byte Folded Spill
	buffer_store_dword v9, off, s[40:43], 0 offset:548 ; 4-byte Folded Spill
	buffer_store_dword v10, off, s[40:43], 0 offset:552 ; 4-byte Folded Spill
	buffer_store_dword v11, off, s[40:43], 0 offset:556 ; 4-byte Folded Spill
	buffer_store_dword v12, off, s[40:43], 0 offset:560 ; 4-byte Folded Spill
	buffer_store_dword v13, off, s[40:43], 0 offset:564 ; 4-byte Folded Spill
	buffer_store_dword v14, off, s[40:43], 0 offset:568 ; 4-byte Folded Spill
	buffer_store_dword v15, off, s[40:43], 0 offset:572 ; 4-byte Folded Spill
	buffer_store_dword v16, off, s[40:43], 0 offset:576 ; 4-byte Folded Spill
	buffer_store_dword v17, off, s[40:43], 0 offset:580 ; 4-byte Folded Spill
	buffer_store_dword v18, off, s[40:43], 0 offset:584 ; 4-byte Folded Spill
	buffer_store_dword v19, off, s[40:43], 0 offset:588 ; 4-byte Folded Spill
	buffer_store_dword v20, off, s[40:43], 0 offset:592 ; 4-byte Folded Spill
	buffer_store_dword v21, off, s[40:43], 0 offset:596 ; 4-byte Folded Spill
	buffer_store_dword v22, off, s[40:43], 0 offset:600 ; 4-byte Folded Spill
	buffer_store_dword v23, off, s[40:43], 0 offset:604 ; 4-byte Folded Spill
	buffer_store_dword v24, off, s[40:43], 0 offset:608 ; 4-byte Folded Spill
	buffer_store_dword v25, off, s[40:43], 0 offset:612 ; 4-byte Folded Spill
	buffer_store_dword v26, off, s[40:43], 0 offset:616 ; 4-byte Folded Spill
	buffer_store_dword v27, off, s[40:43], 0 offset:620 ; 4-byte Folded Spill
	buffer_store_dword v28, off, s[40:43], 0 offset:624 ; 4-byte Folded Spill
	buffer_store_dword v29, off, s[40:43], 0 offset:628 ; 4-byte Folded Spill
	buffer_store_dword v30, off, s[40:43], 0 offset:632 ; 4-byte Folded Spill
	buffer_store_dword v31, off, s[40:43], 0 offset:636 ; 4-byte Folded Spill
	v_cvt_f32_u32_sdwa v12, v110 dst_sel:DWORD dst_unused:UNUSED_PAD src0_sel:WORD_0
	v_cvt_f32_u32_sdwa v13, v110 dst_sel:DWORD dst_unused:UNUSED_PAD src0_sel:WORD_1
	buffer_store_dword v0, off, s[40:43], 0 offset:384 ; 4-byte Folded Spill
	s_nop 0
	buffer_store_dword v1, off, s[40:43], 0 offset:388 ; 4-byte Folded Spill
	buffer_store_dword v2, off, s[40:43], 0 offset:392 ; 4-byte Folded Spill
	buffer_store_dword v3, off, s[40:43], 0 offset:396 ; 4-byte Folded Spill
	buffer_store_dword v4, off, s[40:43], 0 offset:400 ; 4-byte Folded Spill
	buffer_store_dword v5, off, s[40:43], 0 offset:404 ; 4-byte Folded Spill
	buffer_store_dword v6, off, s[40:43], 0 offset:408 ; 4-byte Folded Spill
	buffer_store_dword v7, off, s[40:43], 0 offset:412 ; 4-byte Folded Spill
	buffer_store_dword v8, off, s[40:43], 0 offset:416 ; 4-byte Folded Spill
	buffer_store_dword v9, off, s[40:43], 0 offset:420 ; 4-byte Folded Spill
	buffer_store_dword v10, off, s[40:43], 0 offset:424 ; 4-byte Folded Spill
	buffer_store_dword v11, off, s[40:43], 0 offset:428 ; 4-byte Folded Spill
	buffer_store_dword v12, off, s[40:43], 0 offset:432 ; 4-byte Folded Spill
	buffer_store_dword v13, off, s[40:43], 0 offset:436 ; 4-byte Folded Spill
	buffer_store_dword v14, off, s[40:43], 0 offset:440 ; 4-byte Folded Spill
	buffer_store_dword v15, off, s[40:43], 0 offset:444 ; 4-byte Folded Spill
	buffer_store_dword v16, off, s[40:43], 0 offset:448 ; 4-byte Folded Spill
	buffer_store_dword v17, off, s[40:43], 0 offset:452 ; 4-byte Folded Spill
	buffer_store_dword v18, off, s[40:43], 0 offset:456 ; 4-byte Folded Spill
	buffer_store_dword v19, off, s[40:43], 0 offset:460 ; 4-byte Folded Spill
	buffer_store_dword v20, off, s[40:43], 0 offset:464 ; 4-byte Folded Spill
	buffer_store_dword v21, off, s[40:43], 0 offset:468 ; 4-byte Folded Spill
	buffer_store_dword v22, off, s[40:43], 0 offset:472 ; 4-byte Folded Spill
	buffer_store_dword v23, off, s[40:43], 0 offset:476 ; 4-byte Folded Spill
	buffer_store_dword v24, off, s[40:43], 0 offset:480 ; 4-byte Folded Spill
	buffer_store_dword v25, off, s[40:43], 0 offset:484 ; 4-byte Folded Spill
	buffer_store_dword v26, off, s[40:43], 0 offset:488 ; 4-byte Folded Spill
	buffer_store_dword v27, off, s[40:43], 0 offset:492 ; 4-byte Folded Spill
	buffer_store_dword v28, off, s[40:43], 0 offset:496 ; 4-byte Folded Spill
	buffer_store_dword v29, off, s[40:43], 0 offset:500 ; 4-byte Folded Spill
	buffer_store_dword v30, off, s[40:43], 0 offset:504 ; 4-byte Folded Spill
	buffer_store_dword v31, off, s[40:43], 0 offset:508 ; 4-byte Folded Spill
	v_cvt_f32_u32_sdwa v14, v111 dst_sel:DWORD dst_unused:UNUSED_PAD src0_sel:WORD_0
	v_cvt_f32_u32_sdwa v15, v111 dst_sel:DWORD dst_unused:UNUSED_PAD src0_sel:WORD_1
	;; [unrolled: 35-line block ×4, first 2 shown]
	buffer_store_dword v0, off, s[40:43], 0 ; 4-byte Folded Spill
	s_nop 0
	buffer_store_dword v1, off, s[40:43], 0 offset:4 ; 4-byte Folded Spill
	buffer_store_dword v2, off, s[40:43], 0 offset:8 ; 4-byte Folded Spill
	;; [unrolled: 1-line block ×31, first 2 shown]
	v_cvt_f32_u32_sdwa v20, v106 dst_sel:DWORD dst_unused:UNUSED_PAD src0_sel:WORD_0
	v_cvt_f32_u32_sdwa v21, v106 dst_sel:DWORD dst_unused:UNUSED_PAD src0_sel:WORD_1
	buffer_store_dword v0, off, s[40:43], 0 offset:768 ; 4-byte Folded Spill
	s_nop 0
	buffer_store_dword v1, off, s[40:43], 0 offset:772 ; 4-byte Folded Spill
	buffer_store_dword v2, off, s[40:43], 0 offset:776 ; 4-byte Folded Spill
	;; [unrolled: 1-line block ×31, first 2 shown]
	v_cvt_f32_u32_sdwa v26, v107 dst_sel:DWORD dst_unused:UNUSED_PAD src0_sel:WORD_0
	v_cvt_f32_u32_sdwa v27, v107 dst_sel:DWORD dst_unused:UNUSED_PAD src0_sel:WORD_1
.LBB68_6:
	s_or_b64 exec, exec, s[2:3]
	s_cbranch_execz .LBB68_8
	s_branch .LBB68_11
.LBB68_7:
	v_mov_b32_e32 v1, v68
                                        ; implicit-def: $vgpr34_vgpr35_vgpr36_vgpr37_vgpr38_vgpr39_vgpr40_vgpr41_vgpr42_vgpr43_vgpr44_vgpr45_vgpr46_vgpr47_vgpr48_vgpr49_vgpr50_vgpr51_vgpr52_vgpr53_vgpr54_vgpr55_vgpr56_vgpr57_vgpr58_vgpr59_vgpr60_vgpr61_vgpr62_vgpr63_vgpr64_vgpr65
                                        ; implicit-def: $vgpr66_vgpr67_vgpr68_vgpr69_vgpr70_vgpr71_vgpr72_vgpr73_vgpr74_vgpr75_vgpr76_vgpr77_vgpr78_vgpr79_vgpr80_vgpr81_vgpr82_vgpr83_vgpr84_vgpr85_vgpr86_vgpr87_vgpr88_vgpr89_vgpr90_vgpr91_vgpr92_vgpr93_vgpr94_vgpr95_vgpr96_vgpr97
                                        ; implicit-def: $vgpr36_vgpr37_vgpr38_vgpr39_vgpr40_vgpr41_vgpr42_vgpr43_vgpr44_vgpr45_vgpr46_vgpr47_vgpr48_vgpr49_vgpr50_vgpr51_vgpr52_vgpr53_vgpr54_vgpr55_vgpr56_vgpr57_vgpr58_vgpr59_vgpr60_vgpr61_vgpr62_vgpr63_vgpr64_vgpr65_vgpr66_vgpr67
                                        ; kill: killed $vgpr36_vgpr37_vgpr38_vgpr39_vgpr40_vgpr41_vgpr42_vgpr43_vgpr44_vgpr45_vgpr46_vgpr47_vgpr48_vgpr49_vgpr50_vgpr51_vgpr52_vgpr53_vgpr54_vgpr55_vgpr56_vgpr57_vgpr58_vgpr59_vgpr60_vgpr61_vgpr62_vgpr63_vgpr64_vgpr65_vgpr66_vgpr67
                                        ; implicit-def: $vgpr36_vgpr37_vgpr38_vgpr39_vgpr40_vgpr41_vgpr42_vgpr43_vgpr44_vgpr45_vgpr46_vgpr47_vgpr48_vgpr49_vgpr50_vgpr51_vgpr52_vgpr53_vgpr54_vgpr55_vgpr56_vgpr57_vgpr58_vgpr59_vgpr60_vgpr61_vgpr62_vgpr63_vgpr64_vgpr65_vgpr66_vgpr67
                                        ; kill: killed $vgpr36_vgpr37_vgpr38_vgpr39_vgpr40_vgpr41_vgpr42_vgpr43_vgpr44_vgpr45_vgpr46_vgpr47_vgpr48_vgpr49_vgpr50_vgpr51_vgpr52_vgpr53_vgpr54_vgpr55_vgpr56_vgpr57_vgpr58_vgpr59_vgpr60_vgpr61_vgpr62_vgpr63_vgpr64_vgpr65_vgpr66_vgpr67
	;; [unrolled: 2-line block ×4, first 2 shown]
                                        ; implicit-def: $vgpr36_vgpr37_vgpr38_vgpr39_vgpr40_vgpr41_vgpr42_vgpr43_vgpr44_vgpr45_vgpr46_vgpr47_vgpr48_vgpr49_vgpr50_vgpr51_vgpr52_vgpr53_vgpr54_vgpr55_vgpr56_vgpr57_vgpr58_vgpr59_vgpr60_vgpr61_vgpr62_vgpr63_vgpr64_vgpr65_vgpr66_vgpr67
                                        ; implicit-def: $vgpr2_vgpr3_vgpr4_vgpr5_vgpr6_vgpr7_vgpr8_vgpr9_vgpr10_vgpr11_vgpr12_vgpr13_vgpr14_vgpr15_vgpr16_vgpr17_vgpr18_vgpr19_vgpr20_vgpr21_vgpr22_vgpr23_vgpr24_vgpr25_vgpr26_vgpr27_vgpr28_vgpr29_vgpr30_vgpr31_vgpr32_vgpr33
	v_mov_b32_e32 v68, v1
                                        ; kill: killed $vgpr36_vgpr37_vgpr38_vgpr39_vgpr40_vgpr41_vgpr42_vgpr43_vgpr44_vgpr45_vgpr46_vgpr47_vgpr48_vgpr49_vgpr50_vgpr51_vgpr52_vgpr53_vgpr54_vgpr55_vgpr56_vgpr57_vgpr58_vgpr59_vgpr60_vgpr61_vgpr62_vgpr63_vgpr64_vgpr65_vgpr66_vgpr67
                                        ; implicit-def: $vgpr36_vgpr37_vgpr38_vgpr39_vgpr40_vgpr41_vgpr42_vgpr43_vgpr44_vgpr45_vgpr46_vgpr47_vgpr48_vgpr49_vgpr50_vgpr51_vgpr52_vgpr53_vgpr54_vgpr55_vgpr56_vgpr57_vgpr58_vgpr59_vgpr60_vgpr61_vgpr62_vgpr63_vgpr64_vgpr65_vgpr66_vgpr67
                                        ; implicit-def: $vgpr27
                                        ; implicit-def: $vgpr72_vgpr73_vgpr74_vgpr75_vgpr76_vgpr77_vgpr78_vgpr79_vgpr80_vgpr81_vgpr82_vgpr83_vgpr84_vgpr85_vgpr86_vgpr87_vgpr88_vgpr89_vgpr90_vgpr91_vgpr92_vgpr93_vgpr94_vgpr95_vgpr96_vgpr97_vgpr98_vgpr99_vgpr100_vgpr101_vgpr102_vgpr103
                                        ; kill: killed $vgpr36_vgpr37_vgpr38_vgpr39_vgpr40_vgpr41_vgpr42_vgpr43_vgpr44_vgpr45_vgpr46_vgpr47_vgpr48_vgpr49_vgpr50_vgpr51_vgpr52_vgpr53_vgpr54_vgpr55_vgpr56_vgpr57_vgpr58_vgpr59_vgpr60_vgpr61_vgpr62_vgpr63_vgpr64_vgpr65_vgpr66_vgpr67
                                        ; implicit-def: $vgpr36_vgpr37_vgpr38_vgpr39_vgpr40_vgpr41_vgpr42_vgpr43_vgpr44_vgpr45_vgpr46_vgpr47_vgpr48_vgpr49_vgpr50_vgpr51_vgpr52_vgpr53_vgpr54_vgpr55_vgpr56_vgpr57_vgpr58_vgpr59_vgpr60_vgpr61_vgpr62_vgpr63_vgpr64_vgpr65_vgpr66_vgpr67
                                        ; kill: killed $vgpr36_vgpr37_vgpr38_vgpr39_vgpr40_vgpr41_vgpr42_vgpr43_vgpr44_vgpr45_vgpr46_vgpr47_vgpr48_vgpr49_vgpr50_vgpr51_vgpr52_vgpr53_vgpr54_vgpr55_vgpr56_vgpr57_vgpr58_vgpr59_vgpr60_vgpr61_vgpr62_vgpr63_vgpr64_vgpr65_vgpr66_vgpr67
.LBB68_8:
	v_mov_b32_e32 v27, 0
	v_mov_b32_e32 v26, 0
	;; [unrolled: 1-line block ×4, first 2 shown]
	buffer_store_dword v0, off, s[40:43], 0 offset:768 ; 4-byte Folded Spill
	s_nop 0
	buffer_store_dword v1, off, s[40:43], 0 offset:772 ; 4-byte Folded Spill
	buffer_store_dword v2, off, s[40:43], 0 offset:776 ; 4-byte Folded Spill
	buffer_store_dword v3, off, s[40:43], 0 offset:780 ; 4-byte Folded Spill
	buffer_store_dword v4, off, s[40:43], 0 offset:784 ; 4-byte Folded Spill
	buffer_store_dword v5, off, s[40:43], 0 offset:788 ; 4-byte Folded Spill
	buffer_store_dword v6, off, s[40:43], 0 offset:792 ; 4-byte Folded Spill
	buffer_store_dword v7, off, s[40:43], 0 offset:796 ; 4-byte Folded Spill
	buffer_store_dword v8, off, s[40:43], 0 offset:800 ; 4-byte Folded Spill
	buffer_store_dword v9, off, s[40:43], 0 offset:804 ; 4-byte Folded Spill
	buffer_store_dword v10, off, s[40:43], 0 offset:808 ; 4-byte Folded Spill
	buffer_store_dword v11, off, s[40:43], 0 offset:812 ; 4-byte Folded Spill
	buffer_store_dword v12, off, s[40:43], 0 offset:816 ; 4-byte Folded Spill
	buffer_store_dword v13, off, s[40:43], 0 offset:820 ; 4-byte Folded Spill
	buffer_store_dword v14, off, s[40:43], 0 offset:824 ; 4-byte Folded Spill
	buffer_store_dword v15, off, s[40:43], 0 offset:828 ; 4-byte Folded Spill
	buffer_store_dword v16, off, s[40:43], 0 offset:832 ; 4-byte Folded Spill
	buffer_store_dword v17, off, s[40:43], 0 offset:836 ; 4-byte Folded Spill
	buffer_store_dword v18, off, s[40:43], 0 offset:840 ; 4-byte Folded Spill
	buffer_store_dword v19, off, s[40:43], 0 offset:844 ; 4-byte Folded Spill
	buffer_store_dword v20, off, s[40:43], 0 offset:848 ; 4-byte Folded Spill
	buffer_store_dword v21, off, s[40:43], 0 offset:852 ; 4-byte Folded Spill
	buffer_store_dword v22, off, s[40:43], 0 offset:856 ; 4-byte Folded Spill
	buffer_store_dword v23, off, s[40:43], 0 offset:860 ; 4-byte Folded Spill
	buffer_store_dword v24, off, s[40:43], 0 offset:864 ; 4-byte Folded Spill
	buffer_store_dword v25, off, s[40:43], 0 offset:868 ; 4-byte Folded Spill
	buffer_store_dword v26, off, s[40:43], 0 offset:872 ; 4-byte Folded Spill
	buffer_store_dword v27, off, s[40:43], 0 offset:876 ; 4-byte Folded Spill
	buffer_store_dword v28, off, s[40:43], 0 offset:880 ; 4-byte Folded Spill
	buffer_store_dword v29, off, s[40:43], 0 offset:884 ; 4-byte Folded Spill
	buffer_store_dword v30, off, s[40:43], 0 offset:888 ; 4-byte Folded Spill
	buffer_store_dword v31, off, s[40:43], 0 offset:892 ; 4-byte Folded Spill
	v_mov_b32_e32 v19, 0
	v_mov_b32_e32 v18, 0
	;; [unrolled: 1-line block ×8, first 2 shown]
	buffer_store_dword v0, off, s[40:43], 0 ; 4-byte Folded Spill
	s_nop 0
	buffer_store_dword v1, off, s[40:43], 0 offset:4 ; 4-byte Folded Spill
	buffer_store_dword v2, off, s[40:43], 0 offset:8 ; 4-byte Folded Spill
	buffer_store_dword v3, off, s[40:43], 0 offset:12 ; 4-byte Folded Spill
	buffer_store_dword v4, off, s[40:43], 0 offset:16 ; 4-byte Folded Spill
	buffer_store_dword v5, off, s[40:43], 0 offset:20 ; 4-byte Folded Spill
	buffer_store_dword v6, off, s[40:43], 0 offset:24 ; 4-byte Folded Spill
	buffer_store_dword v7, off, s[40:43], 0 offset:28 ; 4-byte Folded Spill
	buffer_store_dword v8, off, s[40:43], 0 offset:32 ; 4-byte Folded Spill
	buffer_store_dword v9, off, s[40:43], 0 offset:36 ; 4-byte Folded Spill
	buffer_store_dword v10, off, s[40:43], 0 offset:40 ; 4-byte Folded Spill
	buffer_store_dword v11, off, s[40:43], 0 offset:44 ; 4-byte Folded Spill
	buffer_store_dword v12, off, s[40:43], 0 offset:48 ; 4-byte Folded Spill
	buffer_store_dword v13, off, s[40:43], 0 offset:52 ; 4-byte Folded Spill
	buffer_store_dword v14, off, s[40:43], 0 offset:56 ; 4-byte Folded Spill
	buffer_store_dword v15, off, s[40:43], 0 offset:60 ; 4-byte Folded Spill
	buffer_store_dword v16, off, s[40:43], 0 offset:64 ; 4-byte Folded Spill
	buffer_store_dword v17, off, s[40:43], 0 offset:68 ; 4-byte Folded Spill
	buffer_store_dword v18, off, s[40:43], 0 offset:72 ; 4-byte Folded Spill
	buffer_store_dword v19, off, s[40:43], 0 offset:76 ; 4-byte Folded Spill
	buffer_store_dword v20, off, s[40:43], 0 offset:80 ; 4-byte Folded Spill
	buffer_store_dword v21, off, s[40:43], 0 offset:84 ; 4-byte Folded Spill
	buffer_store_dword v22, off, s[40:43], 0 offset:88 ; 4-byte Folded Spill
	buffer_store_dword v23, off, s[40:43], 0 offset:92 ; 4-byte Folded Spill
	buffer_store_dword v24, off, s[40:43], 0 offset:96 ; 4-byte Folded Spill
	buffer_store_dword v25, off, s[40:43], 0 offset:100 ; 4-byte Folded Spill
	buffer_store_dword v26, off, s[40:43], 0 offset:104 ; 4-byte Folded Spill
	buffer_store_dword v27, off, s[40:43], 0 offset:108 ; 4-byte Folded Spill
	buffer_store_dword v28, off, s[40:43], 0 offset:112 ; 4-byte Folded Spill
	buffer_store_dword v29, off, s[40:43], 0 offset:116 ; 4-byte Folded Spill
	buffer_store_dword v30, off, s[40:43], 0 offset:120 ; 4-byte Folded Spill
	buffer_store_dword v31, off, s[40:43], 0 offset:124 ; 4-byte Folded Spill
	v_mov_b32_e32 v17, 0
	v_mov_b32_e32 v16, 0
	buffer_store_dword v0, off, s[40:43], 0 offset:256 ; 4-byte Folded Spill
	s_nop 0
	buffer_store_dword v1, off, s[40:43], 0 offset:260 ; 4-byte Folded Spill
	buffer_store_dword v2, off, s[40:43], 0 offset:264 ; 4-byte Folded Spill
	buffer_store_dword v3, off, s[40:43], 0 offset:268 ; 4-byte Folded Spill
	buffer_store_dword v4, off, s[40:43], 0 offset:272 ; 4-byte Folded Spill
	buffer_store_dword v5, off, s[40:43], 0 offset:276 ; 4-byte Folded Spill
	buffer_store_dword v6, off, s[40:43], 0 offset:280 ; 4-byte Folded Spill
	buffer_store_dword v7, off, s[40:43], 0 offset:284 ; 4-byte Folded Spill
	buffer_store_dword v8, off, s[40:43], 0 offset:288 ; 4-byte Folded Spill
	buffer_store_dword v9, off, s[40:43], 0 offset:292 ; 4-byte Folded Spill
	buffer_store_dword v10, off, s[40:43], 0 offset:296 ; 4-byte Folded Spill
	buffer_store_dword v11, off, s[40:43], 0 offset:300 ; 4-byte Folded Spill
	buffer_store_dword v12, off, s[40:43], 0 offset:304 ; 4-byte Folded Spill
	buffer_store_dword v13, off, s[40:43], 0 offset:308 ; 4-byte Folded Spill
	buffer_store_dword v14, off, s[40:43], 0 offset:312 ; 4-byte Folded Spill
	buffer_store_dword v15, off, s[40:43], 0 offset:316 ; 4-byte Folded Spill
	buffer_store_dword v16, off, s[40:43], 0 offset:320 ; 4-byte Folded Spill
	buffer_store_dword v17, off, s[40:43], 0 offset:324 ; 4-byte Folded Spill
	buffer_store_dword v18, off, s[40:43], 0 offset:328 ; 4-byte Folded Spill
	buffer_store_dword v19, off, s[40:43], 0 offset:332 ; 4-byte Folded Spill
	buffer_store_dword v20, off, s[40:43], 0 offset:336 ; 4-byte Folded Spill
	buffer_store_dword v21, off, s[40:43], 0 offset:340 ; 4-byte Folded Spill
	buffer_store_dword v22, off, s[40:43], 0 offset:344 ; 4-byte Folded Spill
	buffer_store_dword v23, off, s[40:43], 0 offset:348 ; 4-byte Folded Spill
	buffer_store_dword v24, off, s[40:43], 0 offset:352 ; 4-byte Folded Spill
	buffer_store_dword v25, off, s[40:43], 0 offset:356 ; 4-byte Folded Spill
	buffer_store_dword v26, off, s[40:43], 0 offset:360 ; 4-byte Folded Spill
	buffer_store_dword v27, off, s[40:43], 0 offset:364 ; 4-byte Folded Spill
	buffer_store_dword v28, off, s[40:43], 0 offset:368 ; 4-byte Folded Spill
	buffer_store_dword v29, off, s[40:43], 0 offset:372 ; 4-byte Folded Spill
	buffer_store_dword v30, off, s[40:43], 0 offset:376 ; 4-byte Folded Spill
	buffer_store_dword v31, off, s[40:43], 0 offset:380 ; 4-byte Folded Spill
	v_mov_b32_e32 v15, 0
	v_mov_b32_e32 v14, 0
	buffer_store_dword v0, off, s[40:43], 0 offset:128 ; 4-byte Folded Spill
	;; [unrolled: 35-line block ×5, first 2 shown]
	s_nop 0
	buffer_store_dword v1, off, s[40:43], 0 offset:644 ; 4-byte Folded Spill
	buffer_store_dword v2, off, s[40:43], 0 offset:648 ; 4-byte Folded Spill
	;; [unrolled: 1-line block ×31, first 2 shown]
	v_mov_b32_e32 v5, 0
	v_mov_b32_e32 v4, 0
	s_and_saveexec_b64 s[2:3], s[0:1]
	s_cbranch_execz .LBB68_10
; %bb.9:
	s_load_dwordx2 s[38:39], s[4:5], 0x38
	s_load_dwordx2 s[36:37], s[4:5], 0x20
	s_mul_hi_i32 s29, s19, s6
	s_mul_i32 s28, s19, s6
	s_lshl_b64 s[28:29], s[28:29], 1
	s_waitcnt lgkmcnt(0)
	s_add_u32 s28, s38, s28
	s_addc_u32 s14, s39, s29
	s_mov_b32 s31, 0x20000
	s_and_b32 s29, s14, 0xffff
	v_lshlrev_b32_e32 v50, 1, v68
	s_movk_i32 s17, 0x400
	s_movk_i32 s14, 0x800
	buffer_load_dwordx4 v[10:13], v50, s[28:31], s17 offen glc slc
	buffer_load_dwordx4 v[6:9], v50, s[28:31], s14 offen glc slc
	;; [unrolled: 1-line block ×3, first 2 shown]
	s_waitcnt vmcnt(62)
	v_cvt_f32_u32_sdwa v25, v111 dst_sel:DWORD dst_unused:UNUSED_PAD src0_sel:WORD_1
	v_cvt_f32_u32_sdwa v24, v111 dst_sel:DWORD dst_unused:UNUSED_PAD src0_sel:WORD_0
	v_cvt_f32_u32_sdwa v29, v124 dst_sel:DWORD dst_unused:UNUSED_PAD src0_sel:WORD_1
	v_cvt_f32_u32_sdwa v28, v124 dst_sel:DWORD dst_unused:UNUSED_PAD src0_sel:WORD_0
	;; [unrolled: 2-line block ×5, first 2 shown]
	s_mul_hi_i32 s27, s26, s6
	s_mul_i32 s26, s26, s6
	v_cvt_f32_u32_sdwa v17, v109 dst_sel:DWORD dst_unused:UNUSED_PAD src0_sel:WORD_1
	v_cvt_f32_u32_sdwa v16, v109 dst_sel:DWORD dst_unused:UNUSED_PAD src0_sel:WORD_0
	v_cvt_f32_u32_sdwa v21, v110 dst_sel:DWORD dst_unused:UNUSED_PAD src0_sel:WORD_1
	v_cvt_f32_u32_sdwa v20, v110 dst_sel:DWORD dst_unused:UNUSED_PAD src0_sel:WORD_0
	;; [unrolled: 2-line block ×5, first 2 shown]
	v_cvt_f32_u32_sdwa v26, v107 dst_sel:DWORD dst_unused:UNUSED_PAD src0_sel:WORD_0
	v_cvt_f32_u32_sdwa v27, v107 dst_sel:DWORD dst_unused:UNUSED_PAD src0_sel:WORD_1
	s_lshl_b64 s[26:27], s[26:27], 1
	s_add_u32 s28, s36, s26
	s_mov_b32 s19, 0x7060302
	s_addc_u32 s26, s37, s27
	s_and_b32 s29, s26, 0xffff
	v_cvt_f32_u32_sdwa v53, v108 dst_sel:DWORD dst_unused:UNUSED_PAD src0_sel:WORD_1
	v_cvt_f32_u32_sdwa v52, v108 dst_sel:DWORD dst_unused:UNUSED_PAD src0_sel:WORD_0
	s_waitcnt vmcnt(1)
	v_cvt_f32_u32_sdwa v43, v7 dst_sel:DWORD dst_unused:UNUSED_PAD src0_sel:WORD_1
	v_cvt_f32_u32_sdwa v37, v10 dst_sel:DWORD dst_unused:UNUSED_PAD src0_sel:WORD_1
	v_cvt_f32_u32_sdwa v36, v10 dst_sel:DWORD dst_unused:UNUSED_PAD src0_sel:WORD_0
	v_cvt_f32_u32_sdwa v39, v11 dst_sel:DWORD dst_unused:UNUSED_PAD src0_sel:WORD_1
	v_cvt_f32_u32_sdwa v38, v11 dst_sel:DWORD dst_unused:UNUSED_PAD src0_sel:WORD_0
	v_cvt_f32_u32_sdwa v11, v12 dst_sel:DWORD dst_unused:UNUSED_PAD src0_sel:WORD_1
	v_cvt_f32_u32_sdwa v10, v12 dst_sel:DWORD dst_unused:UNUSED_PAD src0_sel:WORD_0
	v_cvt_f32_u32_sdwa v41, v13 dst_sel:DWORD dst_unused:UNUSED_PAD src0_sel:WORD_1
	v_cvt_f32_u32_sdwa v40, v13 dst_sel:DWORD dst_unused:UNUSED_PAD src0_sel:WORD_0
	v_cvt_f32_u32_sdwa v13, v6 dst_sel:DWORD dst_unused:UNUSED_PAD src0_sel:WORD_1
	v_cvt_f32_u32_sdwa v12, v6 dst_sel:DWORD dst_unused:UNUSED_PAD src0_sel:WORD_0
	v_cvt_f32_u32_sdwa v42, v7 dst_sel:DWORD dst_unused:UNUSED_PAD src0_sel:WORD_0
	v_cvt_f32_u32_sdwa v47, v8 dst_sel:DWORD dst_unused:UNUSED_PAD src0_sel:WORD_1
	v_cvt_f32_u32_sdwa v46, v8 dst_sel:DWORD dst_unused:UNUSED_PAD src0_sel:WORD_0
	v_cvt_f32_u32_sdwa v48, v9 dst_sel:DWORD dst_unused:UNUSED_PAD src0_sel:WORD_0
	v_cvt_f32_u32_sdwa v49, v9 dst_sel:DWORD dst_unused:UNUSED_PAD src0_sel:WORD_1
	s_waitcnt vmcnt(0)
	v_cvt_f32_u32_sdwa v45, v2 dst_sel:DWORD dst_unused:UNUSED_PAD src0_sel:WORD_1
	v_cvt_f32_u32_sdwa v44, v2 dst_sel:DWORD dst_unused:UNUSED_PAD src0_sel:WORD_0
	v_cvt_f32_u32_sdwa v7, v3 dst_sel:DWORD dst_unused:UNUSED_PAD src0_sel:WORD_1
	v_cvt_f32_u32_sdwa v9, v5 dst_sel:DWORD dst_unused:UNUSED_PAD src0_sel:WORD_1
	v_cvt_f32_u32_sdwa v8, v5 dst_sel:DWORD dst_unused:UNUSED_PAD src0_sel:WORD_0
	v_cvt_f32_u32_sdwa v5, v4 dst_sel:DWORD dst_unused:UNUSED_PAD src0_sel:WORD_1
	v_cvt_f32_u32_sdwa v4, v4 dst_sel:DWORD dst_unused:UNUSED_PAD src0_sel:WORD_0
	v_cvt_f32_u32_sdwa v6, v3 dst_sel:DWORD dst_unused:UNUSED_PAD src0_sel:WORD_0
	v_pk_add_f32 v[78:79], v[34:35], v[8:9]
	v_pk_add_f32 v[34:35], v[28:29], v[44:45]
	;; [unrolled: 1-line block ×5, first 2 shown]
	v_perm_b32 v9, v79, v78, s19
	v_perm_b32 v8, v71, v70, s19
	;; [unrolled: 1-line block ×4, first 2 shown]
	v_pk_mov_b32 v[28:29], v[24:25], v[24:25] op_sel:[0,1]
	buffer_store_dwordx4 v[6:9], v50, s[28:31], 0 offen glc slc
	buffer_store_dword v14, off, s[40:43], 0 offset:128 ; 4-byte Folded Spill
	s_nop 0
	buffer_store_dword v15, off, s[40:43], 0 offset:132 ; 4-byte Folded Spill
	buffer_store_dword v16, off, s[40:43], 0 offset:136 ; 4-byte Folded Spill
	;; [unrolled: 1-line block ×31, first 2 shown]
	v_pk_add_f32 v[20:21], v[20:21], v[10:11]
	v_perm_b32 v9, v25, v24, s19
	v_pk_mov_b32 v[24:25], v[20:21], v[20:21] op_sel:[0,1]
	buffer_store_dword v12, off, s[40:43], 0 offset:384 ; 4-byte Folded Spill
	s_nop 0
	buffer_store_dword v13, off, s[40:43], 0 offset:388 ; 4-byte Folded Spill
	buffer_store_dword v14, off, s[40:43], 0 offset:392 ; 4-byte Folded Spill
	buffer_store_dword v15, off, s[40:43], 0 offset:396 ; 4-byte Folded Spill
	buffer_store_dword v16, off, s[40:43], 0 offset:400 ; 4-byte Folded Spill
	buffer_store_dword v17, off, s[40:43], 0 offset:404 ; 4-byte Folded Spill
	buffer_store_dword v18, off, s[40:43], 0 offset:408 ; 4-byte Folded Spill
	buffer_store_dword v19, off, s[40:43], 0 offset:412 ; 4-byte Folded Spill
	buffer_store_dword v20, off, s[40:43], 0 offset:416 ; 4-byte Folded Spill
	buffer_store_dword v21, off, s[40:43], 0 offset:420 ; 4-byte Folded Spill
	buffer_store_dword v22, off, s[40:43], 0 offset:424 ; 4-byte Folded Spill
	buffer_store_dword v23, off, s[40:43], 0 offset:428 ; 4-byte Folded Spill
	buffer_store_dword v24, off, s[40:43], 0 offset:432 ; 4-byte Folded Spill
	buffer_store_dword v25, off, s[40:43], 0 offset:436 ; 4-byte Folded Spill
	buffer_store_dword v26, off, s[40:43], 0 offset:440 ; 4-byte Folded Spill
	buffer_store_dword v27, off, s[40:43], 0 offset:444 ; 4-byte Folded Spill
	buffer_store_dword v28, off, s[40:43], 0 offset:448 ; 4-byte Folded Spill
	buffer_store_dword v29, off, s[40:43], 0 offset:452 ; 4-byte Folded Spill
	buffer_store_dword v30, off, s[40:43], 0 offset:456 ; 4-byte Folded Spill
	buffer_store_dword v31, off, s[40:43], 0 offset:460 ; 4-byte Folded Spill
	buffer_store_dword v32, off, s[40:43], 0 offset:464 ; 4-byte Folded Spill
	buffer_store_dword v33, off, s[40:43], 0 offset:468 ; 4-byte Folded Spill
	buffer_store_dword v34, off, s[40:43], 0 offset:472 ; 4-byte Folded Spill
	buffer_store_dword v35, off, s[40:43], 0 offset:476 ; 4-byte Folded Spill
	buffer_store_dword v36, off, s[40:43], 0 offset:480 ; 4-byte Folded Spill
	buffer_store_dword v37, off, s[40:43], 0 offset:484 ; 4-byte Folded Spill
	buffer_store_dword v38, off, s[40:43], 0 offset:488 ; 4-byte Folded Spill
	buffer_store_dword v39, off, s[40:43], 0 offset:492 ; 4-byte Folded Spill
	buffer_store_dword v40, off, s[40:43], 0 offset:496 ; 4-byte Folded Spill
	buffer_store_dword v41, off, s[40:43], 0 offset:500 ; 4-byte Folded Spill
	buffer_store_dword v42, off, s[40:43], 0 offset:504 ; 4-byte Folded Spill
	buffer_store_dword v43, off, s[40:43], 0 offset:508 ; 4-byte Folded Spill
	v_pk_add_f32 v[10:11], v[16:17], v[38:39]
	v_perm_b32 v8, v21, v20, s19
	v_pk_mov_b32 v[16:17], v[10:11], v[10:11] op_sel:[0,1]
	buffer_store_dword v6, off, s[40:43], 0 offset:512 ; 4-byte Folded Spill
	s_nop 0
	buffer_store_dword v7, off, s[40:43], 0 offset:516 ; 4-byte Folded Spill
	buffer_store_dword v8, off, s[40:43], 0 offset:520 ; 4-byte Folded Spill
	;; [unrolled: 1-line block ×31, first 2 shown]
	v_perm_b32 v7, v11, v10, s19
	v_pk_add_f32 v[10:11], v[52:53], v[36:37]
	v_pk_mov_b32 v[16:17], v[10:11], v[10:11] op_sel:[0,1]
	buffer_store_dword v8, off, s[40:43], 0 offset:640 ; 4-byte Folded Spill
	s_nop 0
	buffer_store_dword v9, off, s[40:43], 0 offset:644 ; 4-byte Folded Spill
	buffer_store_dword v10, off, s[40:43], 0 offset:648 ; 4-byte Folded Spill
	;; [unrolled: 1-line block ×31, first 2 shown]
	;;#ASMSTART
	s_nop 0
	;;#ASMEND
	v_perm_b32 v6, v11, v10, s19
	v_pk_add_f32 v[26:27], v[26:27], v[48:49]
	v_pk_add_f32 v[20:21], v[22:23], v[46:47]
	buffer_store_dwordx4 v[6:9], v50, s[28:31], s17 offen glc slc
	v_perm_b32 v9, v27, v26, s19
	v_pk_mov_b32 v[22:23], v[20:21], v[20:21] op_sel:[0,1]
	buffer_store_dword v2, off, s[40:43], 0 offset:768 ; 4-byte Folded Spill
	s_nop 0
	buffer_store_dword v3, off, s[40:43], 0 offset:772 ; 4-byte Folded Spill
	buffer_store_dword v4, off, s[40:43], 0 offset:776 ; 4-byte Folded Spill
	;; [unrolled: 1-line block ×31, first 2 shown]
	;;#ASMSTART
	s_nop 0
	;;#ASMEND
	v_pk_add_f32 v[18:19], v[18:19], v[42:43]
	v_perm_b32 v8, v21, v20, s19
	v_pk_mov_b32 v[20:21], v[18:19], v[18:19] op_sel:[0,1]
	buffer_store_dword v2, off, s[40:43], 0 ; 4-byte Folded Spill
	s_nop 0
	buffer_store_dword v3, off, s[40:43], 0 offset:4 ; 4-byte Folded Spill
	buffer_store_dword v4, off, s[40:43], 0 offset:8 ; 4-byte Folded Spill
	buffer_store_dword v5, off, s[40:43], 0 offset:12 ; 4-byte Folded Spill
	buffer_store_dword v6, off, s[40:43], 0 offset:16 ; 4-byte Folded Spill
	buffer_store_dword v7, off, s[40:43], 0 offset:20 ; 4-byte Folded Spill
	buffer_store_dword v8, off, s[40:43], 0 offset:24 ; 4-byte Folded Spill
	buffer_store_dword v9, off, s[40:43], 0 offset:28 ; 4-byte Folded Spill
	buffer_store_dword v10, off, s[40:43], 0 offset:32 ; 4-byte Folded Spill
	buffer_store_dword v11, off, s[40:43], 0 offset:36 ; 4-byte Folded Spill
	buffer_store_dword v12, off, s[40:43], 0 offset:40 ; 4-byte Folded Spill
	buffer_store_dword v13, off, s[40:43], 0 offset:44 ; 4-byte Folded Spill
	buffer_store_dword v14, off, s[40:43], 0 offset:48 ; 4-byte Folded Spill
	buffer_store_dword v15, off, s[40:43], 0 offset:52 ; 4-byte Folded Spill
	buffer_store_dword v16, off, s[40:43], 0 offset:56 ; 4-byte Folded Spill
	buffer_store_dword v17, off, s[40:43], 0 offset:60 ; 4-byte Folded Spill
	buffer_store_dword v18, off, s[40:43], 0 offset:64 ; 4-byte Folded Spill
	buffer_store_dword v19, off, s[40:43], 0 offset:68 ; 4-byte Folded Spill
	buffer_store_dword v20, off, s[40:43], 0 offset:72 ; 4-byte Folded Spill
	buffer_store_dword v21, off, s[40:43], 0 offset:76 ; 4-byte Folded Spill
	buffer_store_dword v22, off, s[40:43], 0 offset:80 ; 4-byte Folded Spill
	buffer_store_dword v23, off, s[40:43], 0 offset:84 ; 4-byte Folded Spill
	buffer_store_dword v24, off, s[40:43], 0 offset:88 ; 4-byte Folded Spill
	buffer_store_dword v25, off, s[40:43], 0 offset:92 ; 4-byte Folded Spill
	buffer_store_dword v26, off, s[40:43], 0 offset:96 ; 4-byte Folded Spill
	buffer_store_dword v27, off, s[40:43], 0 offset:100 ; 4-byte Folded Spill
	buffer_store_dword v28, off, s[40:43], 0 offset:104 ; 4-byte Folded Spill
	buffer_store_dword v29, off, s[40:43], 0 offset:108 ; 4-byte Folded Spill
	buffer_store_dword v30, off, s[40:43], 0 offset:112 ; 4-byte Folded Spill
	buffer_store_dword v31, off, s[40:43], 0 offset:116 ; 4-byte Folded Spill
	buffer_store_dword v32, off, s[40:43], 0 offset:120 ; 4-byte Folded Spill
	buffer_store_dword v33, off, s[40:43], 0 offset:124 ; 4-byte Folded Spill
	v_pk_add_f32 v[16:17], v[14:15], v[12:13]
	v_perm_b32 v7, v19, v18, s19
	v_pk_mov_b32 v[18:19], v[16:17], v[16:17] op_sel:[0,1]
	buffer_store_dword v2, off, s[40:43], 0 offset:256 ; 4-byte Folded Spill
	s_nop 0
	buffer_store_dword v3, off, s[40:43], 0 offset:260 ; 4-byte Folded Spill
	buffer_store_dword v4, off, s[40:43], 0 offset:264 ; 4-byte Folded Spill
	;; [unrolled: 1-line block ×31, first 2 shown]
	v_perm_b32 v6, v17, v16, s19
	buffer_store_dwordx4 v[6:9], v50, s[28:31], s14 offen glc slc
	;;#ASMSTART
	s_nop 0
	;;#ASMEND
.LBB68_10:
	s_or_b64 exec, exec, s[2:3]
.LBB68_11:
	buffer_load_dword v36, off, s[40:43], 0 offset:640 ; 4-byte Folded Reload
	buffer_load_dword v37, off, s[40:43], 0 offset:644 ; 4-byte Folded Reload
	;; [unrolled: 1-line block ×32, first 2 shown]
	v_mul_f32_e32 v2, v35, v35
	v_fmac_f32_e32 v2, v34, v34
	v_fmac_f32_e32 v2, v4, v4
	;; [unrolled: 1-line block ×7, first 2 shown]
	s_waitcnt vmcnt(22)
	v_pk_mov_b32 v[8:9], v[44:45], v[44:45] op_sel:[0,1]
	buffer_load_dword v36, off, s[40:43], 0 offset:512 ; 4-byte Folded Reload
	buffer_load_dword v37, off, s[40:43], 0 offset:516 ; 4-byte Folded Reload
	buffer_load_dword v38, off, s[40:43], 0 offset:520 ; 4-byte Folded Reload
	buffer_load_dword v39, off, s[40:43], 0 offset:524 ; 4-byte Folded Reload
	buffer_load_dword v40, off, s[40:43], 0 offset:528 ; 4-byte Folded Reload
	buffer_load_dword v41, off, s[40:43], 0 offset:532 ; 4-byte Folded Reload
	buffer_load_dword v42, off, s[40:43], 0 offset:536 ; 4-byte Folded Reload
	buffer_load_dword v43, off, s[40:43], 0 offset:540 ; 4-byte Folded Reload
	buffer_load_dword v44, off, s[40:43], 0 offset:544 ; 4-byte Folded Reload
	buffer_load_dword v45, off, s[40:43], 0 offset:548 ; 4-byte Folded Reload
	buffer_load_dword v46, off, s[40:43], 0 offset:552 ; 4-byte Folded Reload
	buffer_load_dword v47, off, s[40:43], 0 offset:556 ; 4-byte Folded Reload
	buffer_load_dword v48, off, s[40:43], 0 offset:560 ; 4-byte Folded Reload
	buffer_load_dword v49, off, s[40:43], 0 offset:564 ; 4-byte Folded Reload
	buffer_load_dword v50, off, s[40:43], 0 offset:568 ; 4-byte Folded Reload
	buffer_load_dword v51, off, s[40:43], 0 offset:572 ; 4-byte Folded Reload
	buffer_load_dword v52, off, s[40:43], 0 offset:576 ; 4-byte Folded Reload
	buffer_load_dword v53, off, s[40:43], 0 offset:580 ; 4-byte Folded Reload
	buffer_load_dword v54, off, s[40:43], 0 offset:584 ; 4-byte Folded Reload
	buffer_load_dword v55, off, s[40:43], 0 offset:588 ; 4-byte Folded Reload
	buffer_load_dword v56, off, s[40:43], 0 offset:592 ; 4-byte Folded Reload
	buffer_load_dword v57, off, s[40:43], 0 offset:596 ; 4-byte Folded Reload
	buffer_load_dword v58, off, s[40:43], 0 offset:600 ; 4-byte Folded Reload
	buffer_load_dword v59, off, s[40:43], 0 offset:604 ; 4-byte Folded Reload
	buffer_load_dword v60, off, s[40:43], 0 offset:608 ; 4-byte Folded Reload
	buffer_load_dword v61, off, s[40:43], 0 offset:612 ; 4-byte Folded Reload
	buffer_load_dword v62, off, s[40:43], 0 offset:616 ; 4-byte Folded Reload
	buffer_load_dword v63, off, s[40:43], 0 offset:620 ; 4-byte Folded Reload
	buffer_load_dword v64, off, s[40:43], 0 offset:624 ; 4-byte Folded Reload
	buffer_load_dword v65, off, s[40:43], 0 offset:628 ; 4-byte Folded Reload
	buffer_load_dword v66, off, s[40:43], 0 offset:632 ; 4-byte Folded Reload
	buffer_load_dword v67, off, s[40:43], 0 offset:636 ; 4-byte Folded Reload
	v_fmac_f32_e32 v2, v8, v8
	v_fmac_f32_e32 v2, v9, v9
	s_waitcnt vmcnt(20)
	v_pk_mov_b32 v[10:11], v[46:47], v[46:47] op_sel:[0,1]
	buffer_load_dword v36, off, s[40:43], 0 offset:384 ; 4-byte Folded Reload
	buffer_load_dword v37, off, s[40:43], 0 offset:388 ; 4-byte Folded Reload
	buffer_load_dword v38, off, s[40:43], 0 offset:392 ; 4-byte Folded Reload
	buffer_load_dword v39, off, s[40:43], 0 offset:396 ; 4-byte Folded Reload
	buffer_load_dword v40, off, s[40:43], 0 offset:400 ; 4-byte Folded Reload
	buffer_load_dword v41, off, s[40:43], 0 offset:404 ; 4-byte Folded Reload
	buffer_load_dword v42, off, s[40:43], 0 offset:408 ; 4-byte Folded Reload
	buffer_load_dword v43, off, s[40:43], 0 offset:412 ; 4-byte Folded Reload
	buffer_load_dword v44, off, s[40:43], 0 offset:416 ; 4-byte Folded Reload
	buffer_load_dword v45, off, s[40:43], 0 offset:420 ; 4-byte Folded Reload
	buffer_load_dword v46, off, s[40:43], 0 offset:424 ; 4-byte Folded Reload
	buffer_load_dword v47, off, s[40:43], 0 offset:428 ; 4-byte Folded Reload
	buffer_load_dword v48, off, s[40:43], 0 offset:432 ; 4-byte Folded Reload
	buffer_load_dword v49, off, s[40:43], 0 offset:436 ; 4-byte Folded Reload
	buffer_load_dword v50, off, s[40:43], 0 offset:440 ; 4-byte Folded Reload
	buffer_load_dword v51, off, s[40:43], 0 offset:444 ; 4-byte Folded Reload
	buffer_load_dword v52, off, s[40:43], 0 offset:448 ; 4-byte Folded Reload
	buffer_load_dword v53, off, s[40:43], 0 offset:452 ; 4-byte Folded Reload
	buffer_load_dword v54, off, s[40:43], 0 offset:456 ; 4-byte Folded Reload
	buffer_load_dword v55, off, s[40:43], 0 offset:460 ; 4-byte Folded Reload
	buffer_load_dword v56, off, s[40:43], 0 offset:464 ; 4-byte Folded Reload
	buffer_load_dword v57, off, s[40:43], 0 offset:468 ; 4-byte Folded Reload
	buffer_load_dword v58, off, s[40:43], 0 offset:472 ; 4-byte Folded Reload
	buffer_load_dword v59, off, s[40:43], 0 offset:476 ; 4-byte Folded Reload
	buffer_load_dword v60, off, s[40:43], 0 offset:480 ; 4-byte Folded Reload
	buffer_load_dword v61, off, s[40:43], 0 offset:484 ; 4-byte Folded Reload
	buffer_load_dword v62, off, s[40:43], 0 offset:488 ; 4-byte Folded Reload
	buffer_load_dword v63, off, s[40:43], 0 offset:492 ; 4-byte Folded Reload
	buffer_load_dword v64, off, s[40:43], 0 offset:496 ; 4-byte Folded Reload
	buffer_load_dword v65, off, s[40:43], 0 offset:500 ; 4-byte Folded Reload
	buffer_load_dword v66, off, s[40:43], 0 offset:504 ; 4-byte Folded Reload
	buffer_load_dword v67, off, s[40:43], 0 offset:508 ; 4-byte Folded Reload
	v_fmac_f32_e32 v2, v10, v10
	v_fmac_f32_e32 v2, v11, v11
	s_waitcnt vmcnt(18)
	v_pk_mov_b32 v[12:13], v[48:49], v[48:49] op_sel:[0,1]
	buffer_load_dword v36, off, s[40:43], 0 offset:128 ; 4-byte Folded Reload
	buffer_load_dword v37, off, s[40:43], 0 offset:132 ; 4-byte Folded Reload
	buffer_load_dword v38, off, s[40:43], 0 offset:136 ; 4-byte Folded Reload
	buffer_load_dword v39, off, s[40:43], 0 offset:140 ; 4-byte Folded Reload
	buffer_load_dword v40, off, s[40:43], 0 offset:144 ; 4-byte Folded Reload
	buffer_load_dword v41, off, s[40:43], 0 offset:148 ; 4-byte Folded Reload
	buffer_load_dword v42, off, s[40:43], 0 offset:152 ; 4-byte Folded Reload
	buffer_load_dword v43, off, s[40:43], 0 offset:156 ; 4-byte Folded Reload
	buffer_load_dword v44, off, s[40:43], 0 offset:160 ; 4-byte Folded Reload
	buffer_load_dword v45, off, s[40:43], 0 offset:164 ; 4-byte Folded Reload
	buffer_load_dword v46, off, s[40:43], 0 offset:168 ; 4-byte Folded Reload
	buffer_load_dword v47, off, s[40:43], 0 offset:172 ; 4-byte Folded Reload
	buffer_load_dword v48, off, s[40:43], 0 offset:176 ; 4-byte Folded Reload
	buffer_load_dword v49, off, s[40:43], 0 offset:180 ; 4-byte Folded Reload
	buffer_load_dword v50, off, s[40:43], 0 offset:184 ; 4-byte Folded Reload
	buffer_load_dword v51, off, s[40:43], 0 offset:188 ; 4-byte Folded Reload
	buffer_load_dword v52, off, s[40:43], 0 offset:192 ; 4-byte Folded Reload
	buffer_load_dword v53, off, s[40:43], 0 offset:196 ; 4-byte Folded Reload
	buffer_load_dword v54, off, s[40:43], 0 offset:200 ; 4-byte Folded Reload
	buffer_load_dword v55, off, s[40:43], 0 offset:204 ; 4-byte Folded Reload
	buffer_load_dword v56, off, s[40:43], 0 offset:208 ; 4-byte Folded Reload
	buffer_load_dword v57, off, s[40:43], 0 offset:212 ; 4-byte Folded Reload
	buffer_load_dword v58, off, s[40:43], 0 offset:216 ; 4-byte Folded Reload
	buffer_load_dword v59, off, s[40:43], 0 offset:220 ; 4-byte Folded Reload
	buffer_load_dword v60, off, s[40:43], 0 offset:224 ; 4-byte Folded Reload
	buffer_load_dword v61, off, s[40:43], 0 offset:228 ; 4-byte Folded Reload
	buffer_load_dword v62, off, s[40:43], 0 offset:232 ; 4-byte Folded Reload
	buffer_load_dword v63, off, s[40:43], 0 offset:236 ; 4-byte Folded Reload
	buffer_load_dword v64, off, s[40:43], 0 offset:240 ; 4-byte Folded Reload
	buffer_load_dword v65, off, s[40:43], 0 offset:244 ; 4-byte Folded Reload
	buffer_load_dword v66, off, s[40:43], 0 offset:248 ; 4-byte Folded Reload
	buffer_load_dword v67, off, s[40:43], 0 offset:252 ; 4-byte Folded Reload
	v_fmac_f32_e32 v2, v12, v12
	v_fmac_f32_e32 v2, v13, v13
	s_waitcnt vmcnt(16)
	v_pk_mov_b32 v[14:15], v[50:51], v[50:51] op_sel:[0,1]
	buffer_load_dword v36, off, s[40:43], 0 offset:256 ; 4-byte Folded Reload
	buffer_load_dword v37, off, s[40:43], 0 offset:260 ; 4-byte Folded Reload
	buffer_load_dword v38, off, s[40:43], 0 offset:264 ; 4-byte Folded Reload
	buffer_load_dword v39, off, s[40:43], 0 offset:268 ; 4-byte Folded Reload
	buffer_load_dword v40, off, s[40:43], 0 offset:272 ; 4-byte Folded Reload
	buffer_load_dword v41, off, s[40:43], 0 offset:276 ; 4-byte Folded Reload
	buffer_load_dword v42, off, s[40:43], 0 offset:280 ; 4-byte Folded Reload
	buffer_load_dword v43, off, s[40:43], 0 offset:284 ; 4-byte Folded Reload
	buffer_load_dword v44, off, s[40:43], 0 offset:288 ; 4-byte Folded Reload
	buffer_load_dword v45, off, s[40:43], 0 offset:292 ; 4-byte Folded Reload
	buffer_load_dword v46, off, s[40:43], 0 offset:296 ; 4-byte Folded Reload
	buffer_load_dword v47, off, s[40:43], 0 offset:300 ; 4-byte Folded Reload
	buffer_load_dword v48, off, s[40:43], 0 offset:304 ; 4-byte Folded Reload
	buffer_load_dword v49, off, s[40:43], 0 offset:308 ; 4-byte Folded Reload
	buffer_load_dword v50, off, s[40:43], 0 offset:312 ; 4-byte Folded Reload
	buffer_load_dword v51, off, s[40:43], 0 offset:316 ; 4-byte Folded Reload
	buffer_load_dword v52, off, s[40:43], 0 offset:320 ; 4-byte Folded Reload
	buffer_load_dword v53, off, s[40:43], 0 offset:324 ; 4-byte Folded Reload
	buffer_load_dword v54, off, s[40:43], 0 offset:328 ; 4-byte Folded Reload
	buffer_load_dword v55, off, s[40:43], 0 offset:332 ; 4-byte Folded Reload
	buffer_load_dword v56, off, s[40:43], 0 offset:336 ; 4-byte Folded Reload
	buffer_load_dword v57, off, s[40:43], 0 offset:340 ; 4-byte Folded Reload
	buffer_load_dword v58, off, s[40:43], 0 offset:344 ; 4-byte Folded Reload
	buffer_load_dword v59, off, s[40:43], 0 offset:348 ; 4-byte Folded Reload
	buffer_load_dword v60, off, s[40:43], 0 offset:352 ; 4-byte Folded Reload
	buffer_load_dword v61, off, s[40:43], 0 offset:356 ; 4-byte Folded Reload
	buffer_load_dword v62, off, s[40:43], 0 offset:360 ; 4-byte Folded Reload
	buffer_load_dword v63, off, s[40:43], 0 offset:364 ; 4-byte Folded Reload
	buffer_load_dword v64, off, s[40:43], 0 offset:368 ; 4-byte Folded Reload
	buffer_load_dword v65, off, s[40:43], 0 offset:372 ; 4-byte Folded Reload
	buffer_load_dword v66, off, s[40:43], 0 offset:376 ; 4-byte Folded Reload
	buffer_load_dword v67, off, s[40:43], 0 offset:380 ; 4-byte Folded Reload
	v_fmac_f32_e32 v2, v14, v14
	v_fmac_f32_e32 v2, v15, v15
	s_waitcnt vmcnt(14)
	v_pk_mov_b32 v[16:17], v[52:53], v[52:53] op_sel:[0,1]
	buffer_load_dword v36, off, s[40:43], 0 ; 4-byte Folded Reload
	buffer_load_dword v37, off, s[40:43], 0 offset:4 ; 4-byte Folded Reload
	buffer_load_dword v38, off, s[40:43], 0 offset:8 ; 4-byte Folded Reload
	;; [unrolled: 1-line block ×63, first 2 shown]
	v_fmac_f32_e32 v2, v16, v16
	v_fmac_f32_e32 v2, v17, v17
	s_waitcnt vmcnt(44)
	v_pk_mov_b32 v[18:19], v[54:55], v[54:55] op_sel:[0,1]
	v_fmac_f32_e32 v2, v18, v18
	v_fmac_f32_e32 v2, v19, v19
	s_waitcnt vmcnt(10)
	v_pk_mov_b32 v[24:25], v[100:101], v[100:101] op_sel:[0,1]
	v_fmac_f32_e32 v2, v24, v24
	v_fmac_f32_e32 v2, v25, v25
	;; [unrolled: 1-line block ×4, first 2 shown]
	s_nop 1
	v_mov_b32_dpp v3, v2 quad_perm:[1,0,3,2] row_mask:0xf bank_mask:0xf
	v_add_f32_e32 v2, v2, v3
	s_nop 1
	v_mov_b32_dpp v3, v2 quad_perm:[2,3,0,1] row_mask:0xf bank_mask:0xf
	v_add_f32_e32 v2, v2, v3
	s_nop 1
	v_mov_b32_dpp v3, v2 row_half_mirror row_mask:0xf bank_mask:0xf
	v_add_f32_e32 v2, v2, v3
	s_nop 1
	v_mov_b32_dpp v3, v2 row_mirror row_mask:0xf bank_mask:0xf
	v_add_f32_e32 v2, v2, v3
	s_nop 1
	v_mov_b32_dpp v3, v2 row_bcast:15 row_mask:0xf bank_mask:0xf
	v_add_f32_e32 v2, v2, v3
	v_and_b32_e32 v3, 63, v0
	v_cmp_eq_u32_e64 s[2:3], 63, v3
	s_nop 0
	v_mov_b32_dpp v3, v2 row_bcast:31 row_mask:0xf bank_mask:0xf
	s_waitcnt lgkmcnt(0)
	s_and_saveexec_b64 s[26:27], s[2:3]
	s_cbranch_execz .LBB68_13
; %bb.12:
	v_add_f32_e32 v2, v2, v3
	v_lshrrev_b32_e32 v3, 4, v0
	v_and_b32_e32 v3, 60, v3
	ds_write_b32 v3, v2 offset:32
.LBB68_13:
	s_or_b64 exec, exec, s[26:27]
	v_and_b32_e32 v2, 3, v0
	v_lshlrev_b32_e32 v48, 2, v2
	s_waitcnt lgkmcnt(0)
	s_barrier
	ds_read_b32 v2, v48 offset:32
	s_load_dwordx2 s[26:27], s[4:5], 0x18
	s_waitcnt lgkmcnt(0)
	v_mov_b32_dpp v3, v2 quad_perm:[1,0,3,2] row_mask:0xf bank_mask:0xf
	v_add_f32_e32 v2, v2, v3
	s_nop 1
	v_mov_b32_dpp v3, v2 quad_perm:[2,3,0,1] row_mask:0xf bank_mask:0xf
	s_and_saveexec_b64 s[28:29], s[0:1]
	s_cbranch_execnz .LBB68_18
; %bb.14:
	s_or_b64 exec, exec, s[28:29]
	s_mov_b64 s[8:9], -1
	s_and_b64 vcc, exec, s[22:23]
	s_cbranch_vccnz .LBB68_19
.LBB68_15:
	s_andn2_b64 vcc, exec, s[8:9]
	s_cbranch_vccz .LBB68_22
.LBB68_16:
	s_cmp_lt_i32 s16, 1
	s_cbranch_scc0 .LBB68_33
.LBB68_17:
	s_endpgm
.LBB68_18:
	v_add_f32_e32 v2, v2, v3
	v_cvt_f32_u32_e32 v3, s7
	s_mov_b32 s7, 0x800000
	v_cvt_f32_u32_sdwa v29, v122 dst_sel:DWORD dst_unused:UNUSED_PAD src0_sel:WORD_1
	v_cvt_f32_u32_sdwa v28, v122 dst_sel:DWORD dst_unused:UNUSED_PAD src0_sel:WORD_0
	v_div_scale_f32 v6, s[36:37], v3, v3, v2
	v_rcp_f32_e32 v7, v6
	v_cvt_f32_u32_sdwa v31, v123 dst_sel:DWORD dst_unused:UNUSED_PAD src0_sel:WORD_1
	v_cvt_f32_u32_sdwa v30, v123 dst_sel:DWORD dst_unused:UNUSED_PAD src0_sel:WORD_0
	v_cvt_f32_u32_sdwa v33, v116 dst_sel:DWORD dst_unused:UNUSED_PAD src0_sel:WORD_1
	v_fma_f32 v8, -v6, v7, 1.0
	v_fmac_f32_e32 v7, v8, v7
	v_div_scale_f32 v8, vcc, v2, v3, v2
	v_mul_f32_e32 v9, v8, v7
	v_fma_f32 v10, -v6, v9, v8
	v_fmac_f32_e32 v9, v10, v7
	v_fma_f32 v6, -v6, v9, v8
	v_div_fmas_f32 v6, v6, v7, v9
	v_div_fixup_f32 v2, v6, v3, v2
	v_mov_b32_e32 v3, s13
	v_mov_b32_e32 v6, s12
	v_cndmask_b32_e64 v3, v3, v6, s[8:9]
	v_add_f32_e32 v2, v3, v2
	v_mul_f32_e32 v3, 0x4b800000, v2
	v_cmp_gt_f32_e32 vcc, s7, v2
	v_cndmask_b32_e32 v2, v2, v3, vcc
	v_rsq_f32_e32 v2, v2
	v_cvt_f32_u32_sdwa v32, v116 dst_sel:DWORD dst_unused:UNUSED_PAD src0_sel:WORD_0
	v_cvt_f32_u32_sdwa v37, v117 dst_sel:DWORD dst_unused:UNUSED_PAD src0_sel:WORD_1
	v_cvt_f32_u32_sdwa v36, v117 dst_sel:DWORD dst_unused:UNUSED_PAD src0_sel:WORD_0
	v_mul_f32_e32 v3, 0x45800000, v2
	v_cndmask_b32_e32 v2, v2, v3, vcc
	v_mov_b32_e32 v3, v2
	;;#ASMSTART
	v_pk_mul_f32 v[6:7], v[34:35], v[2:3]
	;;#ASMEND
	;;#ASMSTART
	v_pk_mul_f32 v[4:5], v[4:5], v[2:3]
	;;#ASMEND
	;; [unrolled: 3-line block ×4, first 2 shown]
	buffer_load_dword v70, off, s[40:43], 0 offset:640 ; 4-byte Folded Reload
	buffer_load_dword v71, off, s[40:43], 0 offset:644 ; 4-byte Folded Reload
	;; [unrolled: 1-line block ×32, first 2 shown]
	v_cvt_f32_u32_sdwa v39, v118 dst_sel:DWORD dst_unused:UNUSED_PAD src0_sel:WORD_1
	v_cvt_f32_u32_sdwa v38, v118 dst_sel:DWORD dst_unused:UNUSED_PAD src0_sel:WORD_0
	v_cvt_f32_u32_sdwa v41, v119 dst_sel:DWORD dst_unused:UNUSED_PAD src0_sel:WORD_1
	v_cvt_f32_u32_sdwa v40, v119 dst_sel:DWORD dst_unused:UNUSED_PAD src0_sel:WORD_0
	;; [unrolled: 2-line block ×6, first 2 shown]
	s_waitcnt vmcnt(22)
	;;#ASMSTART
	v_pk_mul_f32 v[12:13], v[78:79], v[2:3]
	;;#ASMEND
	buffer_load_dword v70, off, s[40:43], 0 offset:512 ; 4-byte Folded Reload
	buffer_load_dword v71, off, s[40:43], 0 offset:516 ; 4-byte Folded Reload
	buffer_load_dword v72, off, s[40:43], 0 offset:520 ; 4-byte Folded Reload
	buffer_load_dword v73, off, s[40:43], 0 offset:524 ; 4-byte Folded Reload
	buffer_load_dword v74, off, s[40:43], 0 offset:528 ; 4-byte Folded Reload
	buffer_load_dword v75, off, s[40:43], 0 offset:532 ; 4-byte Folded Reload
	buffer_load_dword v76, off, s[40:43], 0 offset:536 ; 4-byte Folded Reload
	buffer_load_dword v77, off, s[40:43], 0 offset:540 ; 4-byte Folded Reload
	buffer_load_dword v78, off, s[40:43], 0 offset:544 ; 4-byte Folded Reload
	buffer_load_dword v79, off, s[40:43], 0 offset:548 ; 4-byte Folded Reload
	buffer_load_dword v80, off, s[40:43], 0 offset:552 ; 4-byte Folded Reload
	buffer_load_dword v81, off, s[40:43], 0 offset:556 ; 4-byte Folded Reload
	buffer_load_dword v82, off, s[40:43], 0 offset:560 ; 4-byte Folded Reload
	buffer_load_dword v83, off, s[40:43], 0 offset:564 ; 4-byte Folded Reload
	buffer_load_dword v84, off, s[40:43], 0 offset:568 ; 4-byte Folded Reload
	buffer_load_dword v85, off, s[40:43], 0 offset:572 ; 4-byte Folded Reload
	buffer_load_dword v86, off, s[40:43], 0 offset:576 ; 4-byte Folded Reload
	buffer_load_dword v87, off, s[40:43], 0 offset:580 ; 4-byte Folded Reload
	buffer_load_dword v88, off, s[40:43], 0 offset:584 ; 4-byte Folded Reload
	buffer_load_dword v89, off, s[40:43], 0 offset:588 ; 4-byte Folded Reload
	buffer_load_dword v90, off, s[40:43], 0 offset:592 ; 4-byte Folded Reload
	buffer_load_dword v91, off, s[40:43], 0 offset:596 ; 4-byte Folded Reload
	buffer_load_dword v92, off, s[40:43], 0 offset:600 ; 4-byte Folded Reload
	buffer_load_dword v93, off, s[40:43], 0 offset:604 ; 4-byte Folded Reload
	buffer_load_dword v94, off, s[40:43], 0 offset:608 ; 4-byte Folded Reload
	buffer_load_dword v95, off, s[40:43], 0 offset:612 ; 4-byte Folded Reload
	buffer_load_dword v96, off, s[40:43], 0 offset:616 ; 4-byte Folded Reload
	buffer_load_dword v97, off, s[40:43], 0 offset:620 ; 4-byte Folded Reload
	buffer_load_dword v98, off, s[40:43], 0 offset:624 ; 4-byte Folded Reload
	buffer_load_dword v99, off, s[40:43], 0 offset:628 ; 4-byte Folded Reload
	buffer_load_dword v100, off, s[40:43], 0 offset:632 ; 4-byte Folded Reload
	buffer_load_dword v101, off, s[40:43], 0 offset:636 ; 4-byte Folded Reload
	s_waitcnt vmcnt(20)
	;;#ASMSTART
	v_pk_mul_f32 v[14:15], v[80:81], v[2:3]
	;;#ASMEND
	buffer_load_dword v70, off, s[40:43], 0 offset:384 ; 4-byte Folded Reload
	buffer_load_dword v71, off, s[40:43], 0 offset:388 ; 4-byte Folded Reload
	buffer_load_dword v72, off, s[40:43], 0 offset:392 ; 4-byte Folded Reload
	buffer_load_dword v73, off, s[40:43], 0 offset:396 ; 4-byte Folded Reload
	buffer_load_dword v74, off, s[40:43], 0 offset:400 ; 4-byte Folded Reload
	buffer_load_dword v75, off, s[40:43], 0 offset:404 ; 4-byte Folded Reload
	buffer_load_dword v76, off, s[40:43], 0 offset:408 ; 4-byte Folded Reload
	buffer_load_dword v77, off, s[40:43], 0 offset:412 ; 4-byte Folded Reload
	buffer_load_dword v78, off, s[40:43], 0 offset:416 ; 4-byte Folded Reload
	buffer_load_dword v79, off, s[40:43], 0 offset:420 ; 4-byte Folded Reload
	buffer_load_dword v80, off, s[40:43], 0 offset:424 ; 4-byte Folded Reload
	buffer_load_dword v81, off, s[40:43], 0 offset:428 ; 4-byte Folded Reload
	buffer_load_dword v82, off, s[40:43], 0 offset:432 ; 4-byte Folded Reload
	buffer_load_dword v83, off, s[40:43], 0 offset:436 ; 4-byte Folded Reload
	buffer_load_dword v84, off, s[40:43], 0 offset:440 ; 4-byte Folded Reload
	buffer_load_dword v85, off, s[40:43], 0 offset:444 ; 4-byte Folded Reload
	buffer_load_dword v86, off, s[40:43], 0 offset:448 ; 4-byte Folded Reload
	buffer_load_dword v87, off, s[40:43], 0 offset:452 ; 4-byte Folded Reload
	buffer_load_dword v88, off, s[40:43], 0 offset:456 ; 4-byte Folded Reload
	buffer_load_dword v89, off, s[40:43], 0 offset:460 ; 4-byte Folded Reload
	buffer_load_dword v90, off, s[40:43], 0 offset:464 ; 4-byte Folded Reload
	buffer_load_dword v91, off, s[40:43], 0 offset:468 ; 4-byte Folded Reload
	buffer_load_dword v92, off, s[40:43], 0 offset:472 ; 4-byte Folded Reload
	buffer_load_dword v93, off, s[40:43], 0 offset:476 ; 4-byte Folded Reload
	buffer_load_dword v94, off, s[40:43], 0 offset:480 ; 4-byte Folded Reload
	buffer_load_dword v95, off, s[40:43], 0 offset:484 ; 4-byte Folded Reload
	buffer_load_dword v96, off, s[40:43], 0 offset:488 ; 4-byte Folded Reload
	buffer_load_dword v97, off, s[40:43], 0 offset:492 ; 4-byte Folded Reload
	buffer_load_dword v98, off, s[40:43], 0 offset:496 ; 4-byte Folded Reload
	buffer_load_dword v99, off, s[40:43], 0 offset:500 ; 4-byte Folded Reload
	buffer_load_dword v100, off, s[40:43], 0 offset:504 ; 4-byte Folded Reload
	buffer_load_dword v101, off, s[40:43], 0 offset:508 ; 4-byte Folded Reload
	;; [unrolled: 36-line block ×4, first 2 shown]
	s_waitcnt vmcnt(14)
	;;#ASMSTART
	v_pk_mul_f32 v[20:21], v[86:87], v[2:3]
	;;#ASMEND
	buffer_load_dword v70, off, s[40:43], 0 ; 4-byte Folded Reload
	buffer_load_dword v71, off, s[40:43], 0 offset:4 ; 4-byte Folded Reload
	buffer_load_dword v72, off, s[40:43], 0 offset:8 ; 4-byte Folded Reload
	;; [unrolled: 1-line block ×31, first 2 shown]
	s_waitcnt vmcnt(12)
	;;#ASMSTART
	v_pk_mul_f32 v[22:23], v[88:89], v[2:3]
	;;#ASMEND
	;;#ASMSTART
	v_pk_mul_f32 v[24:25], v[24:25], v[2:3]
	;;#ASMEND
	;; [unrolled: 3-line block ×3, first 2 shown]
	v_cvt_f32_u32_sdwa v3, v120 dst_sel:DWORD dst_unused:UNUSED_PAD src0_sel:WORD_1
	v_cvt_f32_u32_sdwa v2, v120 dst_sel:DWORD dst_unused:UNUSED_PAD src0_sel:WORD_0
	v_cvt_f32_u32_sdwa v27, v121 dst_sel:DWORD dst_unused:UNUSED_PAD src0_sel:WORD_1
	v_cvt_f32_u32_sdwa v26, v121 dst_sel:DWORD dst_unused:UNUSED_PAD src0_sel:WORD_0
	;;#ASMSTART
	v_pk_mul_f32 v[34:35], v[6:7], v[2:3]
	;;#ASMEND
	;;#ASMSTART
	v_pk_mul_f32 v[4:5], v[4:5], v[26:27]
	;;#ASMEND
	;; [unrolled: 3-line block ×5, first 2 shown]
	buffer_store_dword v0, off, s[40:43], 0 offset:640 ; 4-byte Folded Spill
	s_nop 0
	buffer_store_dword v1, off, s[40:43], 0 offset:644 ; 4-byte Folded Spill
	buffer_store_dword v2, off, s[40:43], 0 offset:648 ; 4-byte Folded Spill
	buffer_store_dword v3, off, s[40:43], 0 offset:652 ; 4-byte Folded Spill
	buffer_store_dword v4, off, s[40:43], 0 offset:656 ; 4-byte Folded Spill
	buffer_store_dword v5, off, s[40:43], 0 offset:660 ; 4-byte Folded Spill
	buffer_store_dword v6, off, s[40:43], 0 offset:664 ; 4-byte Folded Spill
	buffer_store_dword v7, off, s[40:43], 0 offset:668 ; 4-byte Folded Spill
	buffer_store_dword v8, off, s[40:43], 0 offset:672 ; 4-byte Folded Spill
	buffer_store_dword v9, off, s[40:43], 0 offset:676 ; 4-byte Folded Spill
	buffer_store_dword v10, off, s[40:43], 0 offset:680 ; 4-byte Folded Spill
	buffer_store_dword v11, off, s[40:43], 0 offset:684 ; 4-byte Folded Spill
	buffer_store_dword v12, off, s[40:43], 0 offset:688 ; 4-byte Folded Spill
	buffer_store_dword v13, off, s[40:43], 0 offset:692 ; 4-byte Folded Spill
	buffer_store_dword v14, off, s[40:43], 0 offset:696 ; 4-byte Folded Spill
	buffer_store_dword v15, off, s[40:43], 0 offset:700 ; 4-byte Folded Spill
	buffer_store_dword v16, off, s[40:43], 0 offset:704 ; 4-byte Folded Spill
	buffer_store_dword v17, off, s[40:43], 0 offset:708 ; 4-byte Folded Spill
	buffer_store_dword v18, off, s[40:43], 0 offset:712 ; 4-byte Folded Spill
	buffer_store_dword v19, off, s[40:43], 0 offset:716 ; 4-byte Folded Spill
	buffer_store_dword v20, off, s[40:43], 0 offset:720 ; 4-byte Folded Spill
	buffer_store_dword v21, off, s[40:43], 0 offset:724 ; 4-byte Folded Spill
	buffer_store_dword v22, off, s[40:43], 0 offset:728 ; 4-byte Folded Spill
	buffer_store_dword v23, off, s[40:43], 0 offset:732 ; 4-byte Folded Spill
	buffer_store_dword v24, off, s[40:43], 0 offset:736 ; 4-byte Folded Spill
	buffer_store_dword v25, off, s[40:43], 0 offset:740 ; 4-byte Folded Spill
	buffer_store_dword v26, off, s[40:43], 0 offset:744 ; 4-byte Folded Spill
	buffer_store_dword v27, off, s[40:43], 0 offset:748 ; 4-byte Folded Spill
	buffer_store_dword v28, off, s[40:43], 0 offset:752 ; 4-byte Folded Spill
	buffer_store_dword v29, off, s[40:43], 0 offset:756 ; 4-byte Folded Spill
	buffer_store_dword v30, off, s[40:43], 0 offset:760 ; 4-byte Folded Spill
	buffer_store_dword v31, off, s[40:43], 0 offset:764 ; 4-byte Folded Spill
	;;#ASMSTART
	v_pk_mul_f32 v[10:11], v[14:15], v[36:37]
	;;#ASMEND
	buffer_store_dword v0, off, s[40:43], 0 offset:512 ; 4-byte Folded Spill
	s_nop 0
	buffer_store_dword v1, off, s[40:43], 0 offset:516 ; 4-byte Folded Spill
	buffer_store_dword v2, off, s[40:43], 0 offset:520 ; 4-byte Folded Spill
	buffer_store_dword v3, off, s[40:43], 0 offset:524 ; 4-byte Folded Spill
	buffer_store_dword v4, off, s[40:43], 0 offset:528 ; 4-byte Folded Spill
	buffer_store_dword v5, off, s[40:43], 0 offset:532 ; 4-byte Folded Spill
	buffer_store_dword v6, off, s[40:43], 0 offset:536 ; 4-byte Folded Spill
	buffer_store_dword v7, off, s[40:43], 0 offset:540 ; 4-byte Folded Spill
	buffer_store_dword v8, off, s[40:43], 0 offset:544 ; 4-byte Folded Spill
	buffer_store_dword v9, off, s[40:43], 0 offset:548 ; 4-byte Folded Spill
	buffer_store_dword v10, off, s[40:43], 0 offset:552 ; 4-byte Folded Spill
	buffer_store_dword v11, off, s[40:43], 0 offset:556 ; 4-byte Folded Spill
	buffer_store_dword v12, off, s[40:43], 0 offset:560 ; 4-byte Folded Spill
	buffer_store_dword v13, off, s[40:43], 0 offset:564 ; 4-byte Folded Spill
	buffer_store_dword v14, off, s[40:43], 0 offset:568 ; 4-byte Folded Spill
	buffer_store_dword v15, off, s[40:43], 0 offset:572 ; 4-byte Folded Spill
	buffer_store_dword v16, off, s[40:43], 0 offset:576 ; 4-byte Folded Spill
	buffer_store_dword v17, off, s[40:43], 0 offset:580 ; 4-byte Folded Spill
	buffer_store_dword v18, off, s[40:43], 0 offset:584 ; 4-byte Folded Spill
	buffer_store_dword v19, off, s[40:43], 0 offset:588 ; 4-byte Folded Spill
	buffer_store_dword v20, off, s[40:43], 0 offset:592 ; 4-byte Folded Spill
	buffer_store_dword v21, off, s[40:43], 0 offset:596 ; 4-byte Folded Spill
	buffer_store_dword v22, off, s[40:43], 0 offset:600 ; 4-byte Folded Spill
	buffer_store_dword v23, off, s[40:43], 0 offset:604 ; 4-byte Folded Spill
	buffer_store_dword v24, off, s[40:43], 0 offset:608 ; 4-byte Folded Spill
	buffer_store_dword v25, off, s[40:43], 0 offset:612 ; 4-byte Folded Spill
	buffer_store_dword v26, off, s[40:43], 0 offset:616 ; 4-byte Folded Spill
	buffer_store_dword v27, off, s[40:43], 0 offset:620 ; 4-byte Folded Spill
	buffer_store_dword v28, off, s[40:43], 0 offset:624 ; 4-byte Folded Spill
	buffer_store_dword v29, off, s[40:43], 0 offset:628 ; 4-byte Folded Spill
	buffer_store_dword v30, off, s[40:43], 0 offset:632 ; 4-byte Folded Spill
	buffer_store_dword v31, off, s[40:43], 0 offset:636 ; 4-byte Folded Spill
	;;#ASMSTART
	v_pk_mul_f32 v[12:13], v[16:17], v[38:39]
	;;#ASMEND
	;; [unrolled: 36-line block ×5, first 2 shown]
	buffer_store_dword v0, off, s[40:43], 0 ; 4-byte Folded Spill
	s_nop 0
	buffer_store_dword v1, off, s[40:43], 0 offset:4 ; 4-byte Folded Spill
	buffer_store_dword v2, off, s[40:43], 0 offset:8 ; 4-byte Folded Spill
	;; [unrolled: 1-line block ×31, first 2 shown]
	;;#ASMSTART
	v_pk_mul_f32 v[24:25], v[24:25], v[50:51]
	;;#ASMEND
	;;#ASMSTART
	v_pk_mul_f32 v[26:27], v[54:55], v[52:53]
	;;#ASMEND
	s_or_b64 exec, exec, s[28:29]
	s_mov_b64 s[8:9], -1
	s_and_b64 vcc, exec, s[22:23]
	s_cbranch_vccz .LBB68_15
.LBB68_19:
	s_and_saveexec_b64 s[8:9], s[0:1]
	s_cbranch_execz .LBB68_21
; %bb.20:
	s_mul_hi_i32 s23, s25, s6
	s_mul_i32 s22, s25, s6
	s_lshl_b64 s[22:23], s[22:23], 1
	s_add_u32 s28, s26, s22
	s_addc_u32 s7, s27, s23
	s_and_b32 s29, s7, 0xffff
	s_mov_b32 s7, 0x7060302
	s_mov_b32 s31, 0x20000
	v_perm_b32 v9, v79, v78, s7
	v_perm_b32 v8, v71, v70, s7
	;; [unrolled: 1-line block ×4, first 2 shown]
	v_lshlrev_b32_e32 v2, 1, v68
	buffer_store_dwordx4 v[6:9], v2, s[28:31], 0 offen
	;;#ASMSTART
	s_nop 0
	;;#ASMEND
	buffer_load_dword v80, off, s[40:43], 0 offset:128 ; 4-byte Folded Reload
	buffer_load_dword v81, off, s[40:43], 0 offset:132 ; 4-byte Folded Reload
	;; [unrolled: 1-line block ×32, first 2 shown]
	s_movk_i32 s12, 0x400
	s_waitcnt vmcnt(16)
	v_perm_b32 v9, v95, v94, s7
	buffer_load_dword v80, off, s[40:43], 0 offset:384 ; 4-byte Folded Reload
	buffer_load_dword v81, off, s[40:43], 0 offset:388 ; 4-byte Folded Reload
	buffer_load_dword v82, off, s[40:43], 0 offset:392 ; 4-byte Folded Reload
	buffer_load_dword v83, off, s[40:43], 0 offset:396 ; 4-byte Folded Reload
	buffer_load_dword v84, off, s[40:43], 0 offset:400 ; 4-byte Folded Reload
	buffer_load_dword v85, off, s[40:43], 0 offset:404 ; 4-byte Folded Reload
	buffer_load_dword v86, off, s[40:43], 0 offset:408 ; 4-byte Folded Reload
	buffer_load_dword v87, off, s[40:43], 0 offset:412 ; 4-byte Folded Reload
	buffer_load_dword v88, off, s[40:43], 0 offset:416 ; 4-byte Folded Reload
	buffer_load_dword v89, off, s[40:43], 0 offset:420 ; 4-byte Folded Reload
	buffer_load_dword v90, off, s[40:43], 0 offset:424 ; 4-byte Folded Reload
	buffer_load_dword v91, off, s[40:43], 0 offset:428 ; 4-byte Folded Reload
	buffer_load_dword v92, off, s[40:43], 0 offset:432 ; 4-byte Folded Reload
	buffer_load_dword v93, off, s[40:43], 0 offset:436 ; 4-byte Folded Reload
	buffer_load_dword v94, off, s[40:43], 0 offset:440 ; 4-byte Folded Reload
	buffer_load_dword v95, off, s[40:43], 0 offset:444 ; 4-byte Folded Reload
	buffer_load_dword v96, off, s[40:43], 0 offset:448 ; 4-byte Folded Reload
	buffer_load_dword v97, off, s[40:43], 0 offset:452 ; 4-byte Folded Reload
	buffer_load_dword v98, off, s[40:43], 0 offset:456 ; 4-byte Folded Reload
	buffer_load_dword v99, off, s[40:43], 0 offset:460 ; 4-byte Folded Reload
	buffer_load_dword v100, off, s[40:43], 0 offset:464 ; 4-byte Folded Reload
	buffer_load_dword v101, off, s[40:43], 0 offset:468 ; 4-byte Folded Reload
	buffer_load_dword v102, off, s[40:43], 0 offset:472 ; 4-byte Folded Reload
	buffer_load_dword v103, off, s[40:43], 0 offset:476 ; 4-byte Folded Reload
	buffer_load_dword v104, off, s[40:43], 0 offset:480 ; 4-byte Folded Reload
	buffer_load_dword v105, off, s[40:43], 0 offset:484 ; 4-byte Folded Reload
	buffer_load_dword v106, off, s[40:43], 0 offset:488 ; 4-byte Folded Reload
	buffer_load_dword v107, off, s[40:43], 0 offset:492 ; 4-byte Folded Reload
	buffer_load_dword v108, off, s[40:43], 0 offset:496 ; 4-byte Folded Reload
	buffer_load_dword v109, off, s[40:43], 0 offset:500 ; 4-byte Folded Reload
	buffer_load_dword v110, off, s[40:43], 0 offset:504 ; 4-byte Folded Reload
	buffer_load_dword v111, off, s[40:43], 0 offset:508 ; 4-byte Folded Reload
	s_waitcnt vmcnt(18)
	v_perm_b32 v8, v93, v92, s7
	buffer_load_dword v80, off, s[40:43], 0 offset:512 ; 4-byte Folded Reload
	buffer_load_dword v81, off, s[40:43], 0 offset:516 ; 4-byte Folded Reload
	buffer_load_dword v82, off, s[40:43], 0 offset:520 ; 4-byte Folded Reload
	buffer_load_dword v83, off, s[40:43], 0 offset:524 ; 4-byte Folded Reload
	buffer_load_dword v84, off, s[40:43], 0 offset:528 ; 4-byte Folded Reload
	buffer_load_dword v85, off, s[40:43], 0 offset:532 ; 4-byte Folded Reload
	buffer_load_dword v86, off, s[40:43], 0 offset:536 ; 4-byte Folded Reload
	buffer_load_dword v87, off, s[40:43], 0 offset:540 ; 4-byte Folded Reload
	buffer_load_dword v88, off, s[40:43], 0 offset:544 ; 4-byte Folded Reload
	buffer_load_dword v89, off, s[40:43], 0 offset:548 ; 4-byte Folded Reload
	buffer_load_dword v90, off, s[40:43], 0 offset:552 ; 4-byte Folded Reload
	buffer_load_dword v91, off, s[40:43], 0 offset:556 ; 4-byte Folded Reload
	buffer_load_dword v92, off, s[40:43], 0 offset:560 ; 4-byte Folded Reload
	buffer_load_dword v93, off, s[40:43], 0 offset:564 ; 4-byte Folded Reload
	buffer_load_dword v94, off, s[40:43], 0 offset:568 ; 4-byte Folded Reload
	buffer_load_dword v95, off, s[40:43], 0 offset:572 ; 4-byte Folded Reload
	buffer_load_dword v96, off, s[40:43], 0 offset:576 ; 4-byte Folded Reload
	buffer_load_dword v97, off, s[40:43], 0 offset:580 ; 4-byte Folded Reload
	buffer_load_dword v98, off, s[40:43], 0 offset:584 ; 4-byte Folded Reload
	buffer_load_dword v99, off, s[40:43], 0 offset:588 ; 4-byte Folded Reload
	buffer_load_dword v100, off, s[40:43], 0 offset:592 ; 4-byte Folded Reload
	buffer_load_dword v101, off, s[40:43], 0 offset:596 ; 4-byte Folded Reload
	buffer_load_dword v102, off, s[40:43], 0 offset:600 ; 4-byte Folded Reload
	buffer_load_dword v103, off, s[40:43], 0 offset:604 ; 4-byte Folded Reload
	buffer_load_dword v104, off, s[40:43], 0 offset:608 ; 4-byte Folded Reload
	buffer_load_dword v105, off, s[40:43], 0 offset:612 ; 4-byte Folded Reload
	buffer_load_dword v106, off, s[40:43], 0 offset:616 ; 4-byte Folded Reload
	buffer_load_dword v107, off, s[40:43], 0 offset:620 ; 4-byte Folded Reload
	buffer_load_dword v108, off, s[40:43], 0 offset:624 ; 4-byte Folded Reload
	buffer_load_dword v109, off, s[40:43], 0 offset:628 ; 4-byte Folded Reload
	buffer_load_dword v110, off, s[40:43], 0 offset:632 ; 4-byte Folded Reload
	buffer_load_dword v111, off, s[40:43], 0 offset:636 ; 4-byte Folded Reload
	;; [unrolled: 34-line block ×3, first 2 shown]
	s_waitcnt vmcnt(22)
	v_perm_b32 v6, v89, v88, s7
	buffer_store_dwordx4 v[6:9], v2, s[28:31], s12 offen
	;;#ASMSTART
	s_nop 0
	;;#ASMEND
	buffer_load_dword v80, off, s[40:43], 0 ; 4-byte Folded Reload
	buffer_load_dword v81, off, s[40:43], 0 offset:4 ; 4-byte Folded Reload
	buffer_load_dword v82, off, s[40:43], 0 offset:8 ; 4-byte Folded Reload
	;; [unrolled: 1-line block ×31, first 2 shown]
	v_perm_b32 v9, v27, v26, s7
	v_perm_b32 v8, v25, v24, s7
	s_waitcnt vmcnt(12)
	v_perm_b32 v7, v99, v98, s7
	buffer_load_dword v80, off, s[40:43], 0 offset:256 ; 4-byte Folded Reload
	buffer_load_dword v81, off, s[40:43], 0 offset:260 ; 4-byte Folded Reload
	;; [unrolled: 1-line block ×32, first 2 shown]
	s_waitcnt vmcnt(14)
	v_perm_b32 v6, v97, v96, s7
	s_movk_i32 s7, 0x800
	buffer_store_dwordx4 v[6:9], v2, s[28:31], s7 offen
	;;#ASMSTART
	s_nop 0
	;;#ASMEND
.LBB68_21:
	s_or_b64 exec, exec, s[8:9]
	s_cbranch_execnz .LBB68_16
.LBB68_22:
	v_mov_b32_e32 v2, 0
	s_and_saveexec_b64 s[8:9], s[0:1]
	s_cbranch_execz .LBB68_24
; %bb.23:
	s_load_dwordx2 s[22:23], s[4:5], 0x10
	s_mul_hi_i32 s29, s24, s6
	s_mul_i32 s28, s24, s6
	s_lshl_b64 s[28:29], s[28:29], 1
	s_mov_b32 s31, 0x20000
	s_waitcnt lgkmcnt(0)
	s_add_u32 s28, s22, s28
	s_addc_u32 s7, s23, s29
	s_and_b32 s29, s7, 0xffff
	s_mov_b32 s7, 0x7060302
	v_perm_b32 v9, v79, v78, s7
	v_perm_b32 v8, v71, v70, s7
	v_perm_b32 v7, v5, v4, s7
	v_perm_b32 v6, v35, v34, s7
	v_lshlrev_b32_e32 v2, 1, v68
	buffer_store_dwordx4 v[6:9], v2, s[28:31], 0 offen
	;;#ASMSTART
	s_nop 0
	;;#ASMEND
	buffer_load_dword v80, off, s[40:43], 0 offset:128 ; 4-byte Folded Reload
	buffer_load_dword v81, off, s[40:43], 0 offset:132 ; 4-byte Folded Reload
	;; [unrolled: 1-line block ×32, first 2 shown]
	s_movk_i32 s12, 0x400
	s_waitcnt vmcnt(16)
	v_perm_b32 v9, v95, v94, s7
	buffer_load_dword v80, off, s[40:43], 0 offset:384 ; 4-byte Folded Reload
	buffer_load_dword v81, off, s[40:43], 0 offset:388 ; 4-byte Folded Reload
	buffer_load_dword v82, off, s[40:43], 0 offset:392 ; 4-byte Folded Reload
	buffer_load_dword v83, off, s[40:43], 0 offset:396 ; 4-byte Folded Reload
	buffer_load_dword v84, off, s[40:43], 0 offset:400 ; 4-byte Folded Reload
	buffer_load_dword v85, off, s[40:43], 0 offset:404 ; 4-byte Folded Reload
	buffer_load_dword v86, off, s[40:43], 0 offset:408 ; 4-byte Folded Reload
	buffer_load_dword v87, off, s[40:43], 0 offset:412 ; 4-byte Folded Reload
	buffer_load_dword v88, off, s[40:43], 0 offset:416 ; 4-byte Folded Reload
	buffer_load_dword v89, off, s[40:43], 0 offset:420 ; 4-byte Folded Reload
	buffer_load_dword v90, off, s[40:43], 0 offset:424 ; 4-byte Folded Reload
	buffer_load_dword v91, off, s[40:43], 0 offset:428 ; 4-byte Folded Reload
	buffer_load_dword v92, off, s[40:43], 0 offset:432 ; 4-byte Folded Reload
	buffer_load_dword v93, off, s[40:43], 0 offset:436 ; 4-byte Folded Reload
	buffer_load_dword v94, off, s[40:43], 0 offset:440 ; 4-byte Folded Reload
	buffer_load_dword v95, off, s[40:43], 0 offset:444 ; 4-byte Folded Reload
	buffer_load_dword v96, off, s[40:43], 0 offset:448 ; 4-byte Folded Reload
	buffer_load_dword v97, off, s[40:43], 0 offset:452 ; 4-byte Folded Reload
	buffer_load_dword v98, off, s[40:43], 0 offset:456 ; 4-byte Folded Reload
	buffer_load_dword v99, off, s[40:43], 0 offset:460 ; 4-byte Folded Reload
	buffer_load_dword v100, off, s[40:43], 0 offset:464 ; 4-byte Folded Reload
	buffer_load_dword v101, off, s[40:43], 0 offset:468 ; 4-byte Folded Reload
	buffer_load_dword v102, off, s[40:43], 0 offset:472 ; 4-byte Folded Reload
	buffer_load_dword v103, off, s[40:43], 0 offset:476 ; 4-byte Folded Reload
	buffer_load_dword v104, off, s[40:43], 0 offset:480 ; 4-byte Folded Reload
	buffer_load_dword v105, off, s[40:43], 0 offset:484 ; 4-byte Folded Reload
	buffer_load_dword v106, off, s[40:43], 0 offset:488 ; 4-byte Folded Reload
	buffer_load_dword v107, off, s[40:43], 0 offset:492 ; 4-byte Folded Reload
	buffer_load_dword v108, off, s[40:43], 0 offset:496 ; 4-byte Folded Reload
	buffer_load_dword v109, off, s[40:43], 0 offset:500 ; 4-byte Folded Reload
	buffer_load_dword v110, off, s[40:43], 0 offset:504 ; 4-byte Folded Reload
	buffer_load_dword v111, off, s[40:43], 0 offset:508 ; 4-byte Folded Reload
	s_waitcnt vmcnt(18)
	v_perm_b32 v8, v93, v92, s7
	buffer_load_dword v80, off, s[40:43], 0 offset:512 ; 4-byte Folded Reload
	buffer_load_dword v81, off, s[40:43], 0 offset:516 ; 4-byte Folded Reload
	buffer_load_dword v82, off, s[40:43], 0 offset:520 ; 4-byte Folded Reload
	buffer_load_dword v83, off, s[40:43], 0 offset:524 ; 4-byte Folded Reload
	buffer_load_dword v84, off, s[40:43], 0 offset:528 ; 4-byte Folded Reload
	buffer_load_dword v85, off, s[40:43], 0 offset:532 ; 4-byte Folded Reload
	buffer_load_dword v86, off, s[40:43], 0 offset:536 ; 4-byte Folded Reload
	buffer_load_dword v87, off, s[40:43], 0 offset:540 ; 4-byte Folded Reload
	buffer_load_dword v88, off, s[40:43], 0 offset:544 ; 4-byte Folded Reload
	buffer_load_dword v89, off, s[40:43], 0 offset:548 ; 4-byte Folded Reload
	buffer_load_dword v90, off, s[40:43], 0 offset:552 ; 4-byte Folded Reload
	buffer_load_dword v91, off, s[40:43], 0 offset:556 ; 4-byte Folded Reload
	buffer_load_dword v92, off, s[40:43], 0 offset:560 ; 4-byte Folded Reload
	buffer_load_dword v93, off, s[40:43], 0 offset:564 ; 4-byte Folded Reload
	buffer_load_dword v94, off, s[40:43], 0 offset:568 ; 4-byte Folded Reload
	buffer_load_dword v95, off, s[40:43], 0 offset:572 ; 4-byte Folded Reload
	buffer_load_dword v96, off, s[40:43], 0 offset:576 ; 4-byte Folded Reload
	buffer_load_dword v97, off, s[40:43], 0 offset:580 ; 4-byte Folded Reload
	buffer_load_dword v98, off, s[40:43], 0 offset:584 ; 4-byte Folded Reload
	buffer_load_dword v99, off, s[40:43], 0 offset:588 ; 4-byte Folded Reload
	buffer_load_dword v100, off, s[40:43], 0 offset:592 ; 4-byte Folded Reload
	buffer_load_dword v101, off, s[40:43], 0 offset:596 ; 4-byte Folded Reload
	buffer_load_dword v102, off, s[40:43], 0 offset:600 ; 4-byte Folded Reload
	buffer_load_dword v103, off, s[40:43], 0 offset:604 ; 4-byte Folded Reload
	buffer_load_dword v104, off, s[40:43], 0 offset:608 ; 4-byte Folded Reload
	buffer_load_dword v105, off, s[40:43], 0 offset:612 ; 4-byte Folded Reload
	buffer_load_dword v106, off, s[40:43], 0 offset:616 ; 4-byte Folded Reload
	buffer_load_dword v107, off, s[40:43], 0 offset:620 ; 4-byte Folded Reload
	buffer_load_dword v108, off, s[40:43], 0 offset:624 ; 4-byte Folded Reload
	buffer_load_dword v109, off, s[40:43], 0 offset:628 ; 4-byte Folded Reload
	buffer_load_dword v110, off, s[40:43], 0 offset:632 ; 4-byte Folded Reload
	buffer_load_dword v111, off, s[40:43], 0 offset:636 ; 4-byte Folded Reload
	;; [unrolled: 34-line block ×3, first 2 shown]
	s_waitcnt vmcnt(22)
	v_perm_b32 v6, v89, v88, s7
	buffer_store_dwordx4 v[6:9], v2, s[28:31], s12 offen
	;;#ASMSTART
	s_nop 0
	;;#ASMEND
	buffer_load_dword v80, off, s[40:43], 0 ; 4-byte Folded Reload
	buffer_load_dword v81, off, s[40:43], 0 offset:4 ; 4-byte Folded Reload
	buffer_load_dword v82, off, s[40:43], 0 offset:8 ; 4-byte Folded Reload
	;; [unrolled: 1-line block ×31, first 2 shown]
	v_perm_b32 v9, v27, v26, s7
	v_perm_b32 v8, v25, v24, s7
	s_waitcnt vmcnt(12)
	v_perm_b32 v7, v99, v98, s7
	buffer_load_dword v80, off, s[40:43], 0 offset:256 ; 4-byte Folded Reload
	buffer_load_dword v81, off, s[40:43], 0 offset:260 ; 4-byte Folded Reload
	;; [unrolled: 1-line block ×32, first 2 shown]
	s_waitcnt vmcnt(14)
	v_perm_b32 v6, v97, v96, s7
	s_movk_i32 s7, 0x800
	buffer_store_dwordx4 v[6:9], v2, s[28:31], s7 offen
	v_mov_b32_e32 v2, 0x2edbe6ff
	;;#ASMSTART
	s_nop 0
	;;#ASMEND
.LBB68_24:
	s_or_b64 exec, exec, s[8:9]
	s_and_saveexec_b64 s[8:9], s[0:1]
	s_cbranch_execz .LBB68_26
; %bb.25:
	v_and_b32_e32 v3, 0x7fffffff, v34
	v_and_b32_e32 v6, 0x7fffffff, v35
	;;#ASMSTART
	v_max3_f32 v2, v2, v3, v6

	;;#ASMEND
	v_and_b32_e32 v3, 0x7fffffff, v4
	v_and_b32_e32 v6, 0x7fffffff, v5
	;;#ASMSTART
	v_max3_f32 v2, v2, v3, v6

	;;#ASMEND
	;; [unrolled: 6-line block ×4, first 2 shown]
	buffer_load_dword v80, off, s[40:43], 0 offset:640 ; 4-byte Folded Reload
	buffer_load_dword v81, off, s[40:43], 0 offset:644 ; 4-byte Folded Reload
	buffer_load_dword v82, off, s[40:43], 0 offset:648 ; 4-byte Folded Reload
	buffer_load_dword v83, off, s[40:43], 0 offset:652 ; 4-byte Folded Reload
	buffer_load_dword v84, off, s[40:43], 0 offset:656 ; 4-byte Folded Reload
	buffer_load_dword v85, off, s[40:43], 0 offset:660 ; 4-byte Folded Reload
	buffer_load_dword v86, off, s[40:43], 0 offset:664 ; 4-byte Folded Reload
	buffer_load_dword v87, off, s[40:43], 0 offset:668 ; 4-byte Folded Reload
	buffer_load_dword v88, off, s[40:43], 0 offset:672 ; 4-byte Folded Reload
	buffer_load_dword v89, off, s[40:43], 0 offset:676 ; 4-byte Folded Reload
	buffer_load_dword v90, off, s[40:43], 0 offset:680 ; 4-byte Folded Reload
	buffer_load_dword v91, off, s[40:43], 0 offset:684 ; 4-byte Folded Reload
	buffer_load_dword v92, off, s[40:43], 0 offset:688 ; 4-byte Folded Reload
	buffer_load_dword v93, off, s[40:43], 0 offset:692 ; 4-byte Folded Reload
	buffer_load_dword v94, off, s[40:43], 0 offset:696 ; 4-byte Folded Reload
	buffer_load_dword v95, off, s[40:43], 0 offset:700 ; 4-byte Folded Reload
	buffer_load_dword v96, off, s[40:43], 0 offset:704 ; 4-byte Folded Reload
	buffer_load_dword v97, off, s[40:43], 0 offset:708 ; 4-byte Folded Reload
	buffer_load_dword v98, off, s[40:43], 0 offset:712 ; 4-byte Folded Reload
	buffer_load_dword v99, off, s[40:43], 0 offset:716 ; 4-byte Folded Reload
	buffer_load_dword v100, off, s[40:43], 0 offset:720 ; 4-byte Folded Reload
	buffer_load_dword v101, off, s[40:43], 0 offset:724 ; 4-byte Folded Reload
	buffer_load_dword v102, off, s[40:43], 0 offset:728 ; 4-byte Folded Reload
	buffer_load_dword v103, off, s[40:43], 0 offset:732 ; 4-byte Folded Reload
	buffer_load_dword v104, off, s[40:43], 0 offset:736 ; 4-byte Folded Reload
	buffer_load_dword v105, off, s[40:43], 0 offset:740 ; 4-byte Folded Reload
	buffer_load_dword v106, off, s[40:43], 0 offset:744 ; 4-byte Folded Reload
	buffer_load_dword v107, off, s[40:43], 0 offset:748 ; 4-byte Folded Reload
	buffer_load_dword v108, off, s[40:43], 0 offset:752 ; 4-byte Folded Reload
	buffer_load_dword v109, off, s[40:43], 0 offset:756 ; 4-byte Folded Reload
	buffer_load_dword v110, off, s[40:43], 0 offset:760 ; 4-byte Folded Reload
	buffer_load_dword v111, off, s[40:43], 0 offset:764 ; 4-byte Folded Reload
	s_waitcnt vmcnt(22)
	v_pk_mov_b32 v[8:9], v[88:89], v[88:89] op_sel:[0,1]
	v_and_b32_e32 v3, 0x7fffffff, v8
	v_and_b32_e32 v6, 0x7fffffff, v9
	;;#ASMSTART
	v_max3_f32 v2, v2, v3, v6

	;;#ASMEND
	buffer_load_dword v80, off, s[40:43], 0 offset:512 ; 4-byte Folded Reload
	buffer_load_dword v81, off, s[40:43], 0 offset:516 ; 4-byte Folded Reload
	buffer_load_dword v82, off, s[40:43], 0 offset:520 ; 4-byte Folded Reload
	buffer_load_dword v83, off, s[40:43], 0 offset:524 ; 4-byte Folded Reload
	buffer_load_dword v84, off, s[40:43], 0 offset:528 ; 4-byte Folded Reload
	buffer_load_dword v85, off, s[40:43], 0 offset:532 ; 4-byte Folded Reload
	buffer_load_dword v86, off, s[40:43], 0 offset:536 ; 4-byte Folded Reload
	buffer_load_dword v87, off, s[40:43], 0 offset:540 ; 4-byte Folded Reload
	buffer_load_dword v88, off, s[40:43], 0 offset:544 ; 4-byte Folded Reload
	buffer_load_dword v89, off, s[40:43], 0 offset:548 ; 4-byte Folded Reload
	buffer_load_dword v90, off, s[40:43], 0 offset:552 ; 4-byte Folded Reload
	buffer_load_dword v91, off, s[40:43], 0 offset:556 ; 4-byte Folded Reload
	buffer_load_dword v92, off, s[40:43], 0 offset:560 ; 4-byte Folded Reload
	buffer_load_dword v93, off, s[40:43], 0 offset:564 ; 4-byte Folded Reload
	buffer_load_dword v94, off, s[40:43], 0 offset:568 ; 4-byte Folded Reload
	buffer_load_dword v95, off, s[40:43], 0 offset:572 ; 4-byte Folded Reload
	buffer_load_dword v96, off, s[40:43], 0 offset:576 ; 4-byte Folded Reload
	buffer_load_dword v97, off, s[40:43], 0 offset:580 ; 4-byte Folded Reload
	buffer_load_dword v98, off, s[40:43], 0 offset:584 ; 4-byte Folded Reload
	buffer_load_dword v99, off, s[40:43], 0 offset:588 ; 4-byte Folded Reload
	buffer_load_dword v100, off, s[40:43], 0 offset:592 ; 4-byte Folded Reload
	buffer_load_dword v101, off, s[40:43], 0 offset:596 ; 4-byte Folded Reload
	buffer_load_dword v102, off, s[40:43], 0 offset:600 ; 4-byte Folded Reload
	buffer_load_dword v103, off, s[40:43], 0 offset:604 ; 4-byte Folded Reload
	buffer_load_dword v104, off, s[40:43], 0 offset:608 ; 4-byte Folded Reload
	buffer_load_dword v105, off, s[40:43], 0 offset:612 ; 4-byte Folded Reload
	buffer_load_dword v106, off, s[40:43], 0 offset:616 ; 4-byte Folded Reload
	buffer_load_dword v107, off, s[40:43], 0 offset:620 ; 4-byte Folded Reload
	buffer_load_dword v108, off, s[40:43], 0 offset:624 ; 4-byte Folded Reload
	buffer_load_dword v109, off, s[40:43], 0 offset:628 ; 4-byte Folded Reload
	buffer_load_dword v110, off, s[40:43], 0 offset:632 ; 4-byte Folded Reload
	buffer_load_dword v111, off, s[40:43], 0 offset:636 ; 4-byte Folded Reload
	s_waitcnt vmcnt(20)
	v_pk_mov_b32 v[10:11], v[90:91], v[90:91] op_sel:[0,1]
	v_and_b32_e32 v3, 0x7fffffff, v10
	v_and_b32_e32 v6, 0x7fffffff, v11
	;;#ASMSTART
	v_max3_f32 v2, v2, v3, v6

	;;#ASMEND
	;; [unrolled: 40-line block ×5, first 2 shown]
	buffer_load_dword v80, off, s[40:43], 0 ; 4-byte Folded Reload
	buffer_load_dword v81, off, s[40:43], 0 offset:4 ; 4-byte Folded Reload
	buffer_load_dword v82, off, s[40:43], 0 offset:8 ; 4-byte Folded Reload
	;; [unrolled: 1-line block ×31, first 2 shown]
	s_waitcnt vmcnt(12)
	v_pk_mov_b32 v[18:19], v[98:99], v[98:99] op_sel:[0,1]
	v_and_b32_e32 v3, 0x7fffffff, v18
	v_and_b32_e32 v6, 0x7fffffff, v19
	;;#ASMSTART
	v_max3_f32 v2, v2, v3, v6

	;;#ASMEND
	v_and_b32_e32 v3, 0x7fffffff, v24
	v_and_b32_e32 v6, 0x7fffffff, v25
	;;#ASMSTART
	v_max3_f32 v2, v2, v3, v6

	;;#ASMEND
	;; [unrolled: 6-line block ×3, first 2 shown]
.LBB68_26:
	s_or_b64 exec, exec, s[8:9]
	s_nop 0
	v_mov_b32_dpp v3, v2 quad_perm:[1,0,3,2] row_mask:0xf bank_mask:0xf
	v_cmp_gt_f32_e32 vcc, v2, v3
	v_cndmask_b32_e32 v2, v3, v2, vcc
	s_nop 1
	v_mov_b32_dpp v3, v2 quad_perm:[2,3,0,1] row_mask:0xf bank_mask:0xf
	v_cmp_gt_f32_e32 vcc, v2, v3
	v_cndmask_b32_e32 v2, v3, v2, vcc
	s_nop 1
	v_mov_b32_dpp v3, v2 row_half_mirror row_mask:0xf bank_mask:0xf
	v_cmp_gt_f32_e32 vcc, v2, v3
	v_cndmask_b32_e32 v2, v3, v2, vcc
	s_nop 1
	v_mov_b32_dpp v3, v2 row_mirror row_mask:0xf bank_mask:0xf
	v_cmp_gt_f32_e32 vcc, v2, v3
	v_cndmask_b32_e32 v2, v3, v2, vcc
	s_nop 1
	v_mov_b32_dpp v3, v2 row_bcast:15 row_mask:0xf bank_mask:0xf
	v_cmp_gt_f32_e32 vcc, v2, v3
	v_cndmask_b32_e32 v2, v3, v2, vcc
	s_nop 1
	v_mov_b32_dpp v3, v2 row_bcast:31 row_mask:0xf bank_mask:0xf
	s_and_saveexec_b64 s[8:9], s[2:3]
	s_cbranch_execz .LBB68_28
; %bb.27:
	v_cmp_gt_f32_e32 vcc, v2, v3
	v_cndmask_b32_e32 v2, v3, v2, vcc
	v_lshrrev_b32_e32 v3, 4, v0
	v_and_b32_e32 v3, 60, v3
	ds_write_b32 v3, v2
.LBB68_28:
	s_or_b64 exec, exec, s[8:9]
	s_waitcnt lgkmcnt(0)
	s_barrier
	ds_read_b32 v2, v48
	s_waitcnt lgkmcnt(0)
	s_nop 0
	v_mov_b32_dpp v3, v2 quad_perm:[1,0,3,2] row_mask:0xf bank_mask:0xf
	v_cmp_gt_f32_e32 vcc, v2, v3
	v_cndmask_b32_e32 v2, v3, v2, vcc
	s_nop 1
	v_mov_b32_dpp v3, v2 quad_perm:[2,3,0,1] row_mask:0xf bank_mask:0xf
	v_cmp_gt_f32_e32 vcc, v2, v3
	v_cndmask_b32_e32 v2, v3, v2, vcc
	v_mul_f32_e32 v2, 0x3b124925, v2
	v_cmp_eq_u32_e32 vcc, 0, v0
	s_and_saveexec_b64 s[8:9], vcc
	s_cbranch_execz .LBB68_30
; %bb.29:
	s_load_dwordx2 s[22:23], s[4:5], 0x8
	s_mul_hi_i32 s29, s11, s6
	s_mul_i32 s28, s11, s6
	s_lshl_b64 s[28:29], s[28:29], 2
	v_mov_b32_e32 v3, 0
	s_waitcnt lgkmcnt(0)
	s_add_u32 s22, s22, s28
	s_addc_u32 s23, s23, s29
	global_store_dword v3, v2, s[22:23]
.LBB68_30:
	s_or_b64 exec, exec, s[8:9]
	;;#ASMSTART
	v_rcp_f32 v2, v2
	;;#ASMEND
	s_and_saveexec_b64 s[22:23], s[0:1]
	s_cbranch_execz .LBB68_32
; %bb.31:
	v_mov_b32_e32 v3, v2
	;;#ASMSTART
	v_pk_mul_f32 v[6:7], v[34:35], v[2:3]
	;;#ASMEND
	v_mov_b32_e32 v8, 0xc3e00000
	v_mov_b32_e32 v9, 0x43e00000
	;;#ASMSTART
	v_med3_f32 v6, v6, v8, v9
v_med3_f32 v7, v7, v8, v9
v_cvt_pk_fp8_f32 v10, v6, v7
	;;#ASMEND
	;;#ASMSTART
	v_pk_mul_f32 v[4:5], v[4:5], v[2:3]
	;;#ASMEND
	s_load_dwordx2 s[0:1], s[4:5], 0x0
	;;#ASMSTART
	v_med3_f32 v4, v4, v8, v9
v_med3_f32 v5, v5, v8, v9
v_cvt_pk_fp8_f32 v6, v4, v5
	;;#ASMEND
	;;#ASMSTART
	v_pk_mul_f32 v[4:5], v[70:71], v[2:3]
	;;#ASMEND
	;;#ASMSTART
	v_med3_f32 v4, v4, v8, v9
v_med3_f32 v5, v5, v8, v9
v_cvt_pk_fp8_f32 v7, v4, v5
	;;#ASMEND
	;;#ASMSTART
	v_pk_mul_f32 v[4:5], v[78:79], v[2:3]
	;;#ASMEND
	s_mul_i32 s8, s10, s6
	;;#ASMSTART
	v_med3_f32 v4, v4, v8, v9
v_med3_f32 v5, v5, v8, v9
v_cvt_pk_fp8_f32 v11, v4, v5
	;;#ASMEND
	s_mov_b32 s7, 0x5040100
	s_mul_hi_i32 s9, s10, s6
	s_waitcnt lgkmcnt(0)
	s_add_u32 s8, s0, s8
	v_perm_b32 v4, v6, v10, s7
	s_movk_i32 s12, 0xff
	s_addc_u32 s0, s1, s9
	s_add_i32 s1, s15, 3
	v_and_b32_e32 v5, 0xffffff00, v6
	v_and_b32_sdwa v6, v4, s12 dst_sel:DWORD dst_unused:UNUSED_PAD src0_sel:WORD_1 src1_sel:DWORD
	s_ashr_i32 s9, s1, 31
	v_or_b32_sdwa v5, v6, v5 dst_sel:WORD_1 dst_unused:UNUSED_PAD src0_sel:DWORD src1_sel:DWORD
	s_mov_b32 s14, 0xffff
	s_lshr_b32 s9, s9, 30
	v_and_or_b32 v4, v4, s14, v5
	v_lshlrev_b32_e32 v5, 16, v11
	s_add_i32 s1, s1, s9
	v_and_or_b32 v5, v7, s14, v5
	s_and_b32 s10, s1, -4
	s_and_b32 s9, s0, 0xffff
	s_mov_b32 s11, 0x20000
	buffer_store_dwordx2 v[4:5], v68, s[8:11], 0 offen
	;;#ASMSTART
	s_nop 0
	;;#ASMEND
	buffer_load_dword v70, off, s[40:43], 0 offset:640 ; 4-byte Folded Reload
	buffer_load_dword v71, off, s[40:43], 0 offset:644 ; 4-byte Folded Reload
	buffer_load_dword v72, off, s[40:43], 0 offset:648 ; 4-byte Folded Reload
	buffer_load_dword v73, off, s[40:43], 0 offset:652 ; 4-byte Folded Reload
	buffer_load_dword v74, off, s[40:43], 0 offset:656 ; 4-byte Folded Reload
	buffer_load_dword v75, off, s[40:43], 0 offset:660 ; 4-byte Folded Reload
	buffer_load_dword v76, off, s[40:43], 0 offset:664 ; 4-byte Folded Reload
	buffer_load_dword v77, off, s[40:43], 0 offset:668 ; 4-byte Folded Reload
	buffer_load_dword v78, off, s[40:43], 0 offset:672 ; 4-byte Folded Reload
	buffer_load_dword v79, off, s[40:43], 0 offset:676 ; 4-byte Folded Reload
	buffer_load_dword v80, off, s[40:43], 0 offset:680 ; 4-byte Folded Reload
	buffer_load_dword v81, off, s[40:43], 0 offset:684 ; 4-byte Folded Reload
	buffer_load_dword v82, off, s[40:43], 0 offset:688 ; 4-byte Folded Reload
	buffer_load_dword v83, off, s[40:43], 0 offset:692 ; 4-byte Folded Reload
	buffer_load_dword v84, off, s[40:43], 0 offset:696 ; 4-byte Folded Reload
	buffer_load_dword v85, off, s[40:43], 0 offset:700 ; 4-byte Folded Reload
	buffer_load_dword v86, off, s[40:43], 0 offset:704 ; 4-byte Folded Reload
	buffer_load_dword v87, off, s[40:43], 0 offset:708 ; 4-byte Folded Reload
	buffer_load_dword v88, off, s[40:43], 0 offset:712 ; 4-byte Folded Reload
	buffer_load_dword v89, off, s[40:43], 0 offset:716 ; 4-byte Folded Reload
	buffer_load_dword v90, off, s[40:43], 0 offset:720 ; 4-byte Folded Reload
	buffer_load_dword v91, off, s[40:43], 0 offset:724 ; 4-byte Folded Reload
	buffer_load_dword v92, off, s[40:43], 0 offset:728 ; 4-byte Folded Reload
	buffer_load_dword v93, off, s[40:43], 0 offset:732 ; 4-byte Folded Reload
	buffer_load_dword v94, off, s[40:43], 0 offset:736 ; 4-byte Folded Reload
	buffer_load_dword v95, off, s[40:43], 0 offset:740 ; 4-byte Folded Reload
	buffer_load_dword v96, off, s[40:43], 0 offset:744 ; 4-byte Folded Reload
	buffer_load_dword v97, off, s[40:43], 0 offset:748 ; 4-byte Folded Reload
	buffer_load_dword v98, off, s[40:43], 0 offset:752 ; 4-byte Folded Reload
	buffer_load_dword v99, off, s[40:43], 0 offset:756 ; 4-byte Folded Reload
	buffer_load_dword v100, off, s[40:43], 0 offset:760 ; 4-byte Folded Reload
	buffer_load_dword v101, off, s[40:43], 0 offset:764 ; 4-byte Folded Reload
	s_movk_i32 s0, 0x200
	s_waitcnt vmcnt(22)
	;;#ASMSTART
	v_pk_mul_f32 v[4:5], v[78:79], v[2:3]
	;;#ASMEND
	;;#ASMSTART
	v_med3_f32 v4, v4, v8, v9
v_med3_f32 v5, v5, v8, v9
v_cvt_pk_fp8_f32 v6, v4, v5
	;;#ASMEND
	buffer_load_dword v70, off, s[40:43], 0 offset:512 ; 4-byte Folded Reload
	buffer_load_dword v71, off, s[40:43], 0 offset:516 ; 4-byte Folded Reload
	buffer_load_dword v72, off, s[40:43], 0 offset:520 ; 4-byte Folded Reload
	buffer_load_dword v73, off, s[40:43], 0 offset:524 ; 4-byte Folded Reload
	buffer_load_dword v74, off, s[40:43], 0 offset:528 ; 4-byte Folded Reload
	buffer_load_dword v75, off, s[40:43], 0 offset:532 ; 4-byte Folded Reload
	buffer_load_dword v76, off, s[40:43], 0 offset:536 ; 4-byte Folded Reload
	buffer_load_dword v77, off, s[40:43], 0 offset:540 ; 4-byte Folded Reload
	buffer_load_dword v78, off, s[40:43], 0 offset:544 ; 4-byte Folded Reload
	buffer_load_dword v79, off, s[40:43], 0 offset:548 ; 4-byte Folded Reload
	buffer_load_dword v80, off, s[40:43], 0 offset:552 ; 4-byte Folded Reload
	buffer_load_dword v81, off, s[40:43], 0 offset:556 ; 4-byte Folded Reload
	buffer_load_dword v82, off, s[40:43], 0 offset:560 ; 4-byte Folded Reload
	buffer_load_dword v83, off, s[40:43], 0 offset:564 ; 4-byte Folded Reload
	buffer_load_dword v84, off, s[40:43], 0 offset:568 ; 4-byte Folded Reload
	buffer_load_dword v85, off, s[40:43], 0 offset:572 ; 4-byte Folded Reload
	buffer_load_dword v86, off, s[40:43], 0 offset:576 ; 4-byte Folded Reload
	buffer_load_dword v87, off, s[40:43], 0 offset:580 ; 4-byte Folded Reload
	buffer_load_dword v88, off, s[40:43], 0 offset:584 ; 4-byte Folded Reload
	buffer_load_dword v89, off, s[40:43], 0 offset:588 ; 4-byte Folded Reload
	buffer_load_dword v90, off, s[40:43], 0 offset:592 ; 4-byte Folded Reload
	buffer_load_dword v91, off, s[40:43], 0 offset:596 ; 4-byte Folded Reload
	buffer_load_dword v92, off, s[40:43], 0 offset:600 ; 4-byte Folded Reload
	buffer_load_dword v93, off, s[40:43], 0 offset:604 ; 4-byte Folded Reload
	buffer_load_dword v94, off, s[40:43], 0 offset:608 ; 4-byte Folded Reload
	buffer_load_dword v95, off, s[40:43], 0 offset:612 ; 4-byte Folded Reload
	buffer_load_dword v96, off, s[40:43], 0 offset:616 ; 4-byte Folded Reload
	buffer_load_dword v97, off, s[40:43], 0 offset:620 ; 4-byte Folded Reload
	buffer_load_dword v98, off, s[40:43], 0 offset:624 ; 4-byte Folded Reload
	buffer_load_dword v99, off, s[40:43], 0 offset:628 ; 4-byte Folded Reload
	buffer_load_dword v100, off, s[40:43], 0 offset:632 ; 4-byte Folded Reload
	buffer_load_dword v101, off, s[40:43], 0 offset:636 ; 4-byte Folded Reload
	s_waitcnt vmcnt(20)
	;;#ASMSTART
	v_pk_mul_f32 v[4:5], v[80:81], v[2:3]
	;;#ASMEND
	;;#ASMSTART
	v_med3_f32 v4, v4, v8, v9
v_med3_f32 v5, v5, v8, v9
v_cvt_pk_fp8_f32 v7, v4, v5
	;;#ASMEND
	buffer_load_dword v70, off, s[40:43], 0 offset:384 ; 4-byte Folded Reload
	buffer_load_dword v71, off, s[40:43], 0 offset:388 ; 4-byte Folded Reload
	buffer_load_dword v72, off, s[40:43], 0 offset:392 ; 4-byte Folded Reload
	buffer_load_dword v73, off, s[40:43], 0 offset:396 ; 4-byte Folded Reload
	buffer_load_dword v74, off, s[40:43], 0 offset:400 ; 4-byte Folded Reload
	buffer_load_dword v75, off, s[40:43], 0 offset:404 ; 4-byte Folded Reload
	buffer_load_dword v76, off, s[40:43], 0 offset:408 ; 4-byte Folded Reload
	buffer_load_dword v77, off, s[40:43], 0 offset:412 ; 4-byte Folded Reload
	buffer_load_dword v78, off, s[40:43], 0 offset:416 ; 4-byte Folded Reload
	buffer_load_dword v79, off, s[40:43], 0 offset:420 ; 4-byte Folded Reload
	buffer_load_dword v80, off, s[40:43], 0 offset:424 ; 4-byte Folded Reload
	buffer_load_dword v81, off, s[40:43], 0 offset:428 ; 4-byte Folded Reload
	buffer_load_dword v82, off, s[40:43], 0 offset:432 ; 4-byte Folded Reload
	buffer_load_dword v83, off, s[40:43], 0 offset:436 ; 4-byte Folded Reload
	buffer_load_dword v84, off, s[40:43], 0 offset:440 ; 4-byte Folded Reload
	buffer_load_dword v85, off, s[40:43], 0 offset:444 ; 4-byte Folded Reload
	buffer_load_dword v86, off, s[40:43], 0 offset:448 ; 4-byte Folded Reload
	buffer_load_dword v87, off, s[40:43], 0 offset:452 ; 4-byte Folded Reload
	buffer_load_dword v88, off, s[40:43], 0 offset:456 ; 4-byte Folded Reload
	buffer_load_dword v89, off, s[40:43], 0 offset:460 ; 4-byte Folded Reload
	buffer_load_dword v90, off, s[40:43], 0 offset:464 ; 4-byte Folded Reload
	buffer_load_dword v91, off, s[40:43], 0 offset:468 ; 4-byte Folded Reload
	buffer_load_dword v92, off, s[40:43], 0 offset:472 ; 4-byte Folded Reload
	buffer_load_dword v93, off, s[40:43], 0 offset:476 ; 4-byte Folded Reload
	buffer_load_dword v94, off, s[40:43], 0 offset:480 ; 4-byte Folded Reload
	buffer_load_dword v95, off, s[40:43], 0 offset:484 ; 4-byte Folded Reload
	buffer_load_dword v96, off, s[40:43], 0 offset:488 ; 4-byte Folded Reload
	buffer_load_dword v97, off, s[40:43], 0 offset:492 ; 4-byte Folded Reload
	buffer_load_dword v98, off, s[40:43], 0 offset:496 ; 4-byte Folded Reload
	buffer_load_dword v99, off, s[40:43], 0 offset:500 ; 4-byte Folded Reload
	buffer_load_dword v100, off, s[40:43], 0 offset:504 ; 4-byte Folded Reload
	buffer_load_dword v101, off, s[40:43], 0 offset:508 ; 4-byte Folded Reload
	;; [unrolled: 41-line block ×3, first 2 shown]
	s_waitcnt vmcnt(16)
	;;#ASMSTART
	v_pk_mul_f32 v[4:5], v[84:85], v[2:3]
	;;#ASMEND
	;;#ASMSTART
	v_med3_f32 v4, v4, v8, v9
v_med3_f32 v5, v5, v8, v9
v_cvt_pk_fp8_f32 v11, v4, v5
	;;#ASMEND
	v_perm_b32 v4, v7, v6, s7
	v_and_b32_e32 v5, 0xffffff00, v7
	v_and_b32_sdwa v6, v4, s12 dst_sel:DWORD dst_unused:UNUSED_PAD src0_sel:WORD_1 src1_sel:DWORD
	v_or_b32_sdwa v5, v6, v5 dst_sel:WORD_1 dst_unused:UNUSED_PAD src0_sel:DWORD src1_sel:DWORD
	v_and_or_b32 v4, v4, s14, v5
	v_lshlrev_b32_e32 v5, 16, v11
	v_and_or_b32 v5, v10, s14, v5
	buffer_store_dwordx2 v[4:5], v68, s[8:11], s0 offen
	;;#ASMSTART
	s_nop 0
	;;#ASMEND
	buffer_load_dword v70, off, s[40:43], 0 offset:256 ; 4-byte Folded Reload
	buffer_load_dword v71, off, s[40:43], 0 offset:260 ; 4-byte Folded Reload
	;; [unrolled: 1-line block ×32, first 2 shown]
	s_movk_i32 s0, 0x400
	s_waitcnt vmcnt(14)
	;;#ASMSTART
	v_pk_mul_f32 v[4:5], v[86:87], v[2:3]
	;;#ASMEND
	;;#ASMSTART
	v_med3_f32 v4, v4, v8, v9
v_med3_f32 v5, v5, v8, v9
v_cvt_pk_fp8_f32 v6, v4, v5
	;;#ASMEND
	buffer_load_dword v70, off, s[40:43], 0 ; 4-byte Folded Reload
	buffer_load_dword v71, off, s[40:43], 0 offset:4 ; 4-byte Folded Reload
	buffer_load_dword v72, off, s[40:43], 0 offset:8 ; 4-byte Folded Reload
	;; [unrolled: 1-line block ×31, first 2 shown]
	s_waitcnt vmcnt(12)
	;;#ASMSTART
	v_pk_mul_f32 v[4:5], v[88:89], v[2:3]
	;;#ASMEND
	;;#ASMSTART
	v_med3_f32 v4, v4, v8, v9
v_med3_f32 v5, v5, v8, v9
v_cvt_pk_fp8_f32 v7, v4, v5
	;;#ASMEND
	v_perm_b32 v5, v7, v6, s7
	v_and_b32_e32 v4, 0xffffff00, v7
	v_and_b32_sdwa v6, v5, s12 dst_sel:DWORD dst_unused:UNUSED_PAD src0_sel:WORD_1 src1_sel:DWORD
	v_or_b32_sdwa v4, v6, v4 dst_sel:WORD_1 dst_unused:UNUSED_PAD src0_sel:DWORD src1_sel:DWORD
	v_and_or_b32 v4, v5, s14, v4
	;;#ASMSTART
	v_pk_mul_f32 v[6:7], v[24:25], v[2:3]
	;;#ASMEND
	v_mov_b32_e32 v5, v7
	;;#ASMSTART
	v_med3_f32 v6, v6, v8, v9
v_med3_f32 v5, v5, v8, v9
v_cvt_pk_fp8_f32 v7, v6, v5
	;;#ASMEND
	;;#ASMSTART
	v_pk_mul_f32 v[10:11], v[26:27], v[2:3]
	;;#ASMEND
	v_mov_b32_e32 v1, v11
	;;#ASMSTART
	v_med3_f32 v10, v10, v8, v9
v_med3_f32 v1, v1, v8, v9
v_cvt_pk_fp8_f32 v2, v10, v1
	;;#ASMEND
	v_lshlrev_b32_e32 v1, 16, v2
	v_and_or_b32 v5, v7, s14, v1
	buffer_store_dwordx2 v[4:5], v68, s[8:11], s0 offen
	;;#ASMSTART
	s_nop 0
	;;#ASMEND
.LBB68_32:
	s_or_b64 exec, exec, s[22:23]
	s_cmp_lt_i32 s16, 1
	s_cbranch_scc1 .LBB68_17
.LBB68_33:
	s_load_dword s0, s[4:5], 0x94
	s_waitcnt lgkmcnt(0)
	s_cmp_lg_u32 s0, 1
	s_cbranch_scc1 .LBB68_17
; %bb.34:
	s_lshl_b32 s0, s16, 1
	s_add_i32 s0, s0, 2
	v_cmp_gt_u32_e32 vcc, s16, v68
	s_and_b32 s22, s0, -4
	v_mov_b32_e32 v50, 0
	v_lshlrev_b32_e32 v49, 1, v68
	v_mov_b32_e32 v22, 0
	v_mov_b32_e32 v23, 0
	;; [unrolled: 1-line block ×24, first 2 shown]
	s_waitcnt vmcnt(63) expcnt(7) lgkmcnt(15)
	s_barrier
	s_and_saveexec_b64 s[0:1], vcc
	s_cbranch_execz .LBB68_36
; %bb.35:
	s_mul_hi_i32 s5, s18, s6
	s_mul_i32 s4, s18, s6
	s_and_b32 s21, s21, 0xffff
	s_lshl_b64 s[4:5], s[4:5], 1
	s_add_u32 s8, s34, s4
	s_mov_b32 s23, 0x20000
	s_addc_u32 s4, s35, s5
	s_and_b32 s9, s4, 0xffff
	s_mov_b32 s10, s22
	s_mov_b32 s11, s23
	s_movk_i32 s5, 0x800
	s_movk_i32 s4, 0x400
	buffer_load_dwordx4 v[22:25], v49, s[8:11], 0 offen glc slc
	buffer_load_dwordx4 v[14:17], v49, s[8:11], s4 offen glc slc
	;; [unrolled: 1-line block ×3, first 2 shown]
	buffer_load_dwordx4 v[10:13], v49, s[20:23], 0 offen
	buffer_load_dwordx4 v[6:9], v49, s[20:23], s4 offen
	;; [unrolled: 1-line block ×3, first 2 shown]
.LBB68_36:
	s_or_b64 exec, exec, s[0:1]
	v_mov_b32_e32 v51, 0
	v_mov_b32_e32 v46, 0
	v_mov_b32_e32 v47, 0
	v_mov_b32_e32 v44, 0
	v_mov_b32_e32 v45, 0
	v_mov_b32_e32 v42, 0
	v_mov_b32_e32 v43, 0
	v_mov_b32_e32 v40, 0
	v_mov_b32_e32 v41, 0
	v_mov_b32_e32 v38, 0
	v_mov_b32_e32 v39, 0
	v_mov_b32_e32 v36, 0
	v_mov_b32_e32 v37, 0
	v_mov_b32_e32 v34, 0
	v_mov_b32_e32 v35, 0
	v_mov_b32_e32 v32, 0
	v_mov_b32_e32 v33, 0
	v_mov_b32_e32 v30, 0
	v_mov_b32_e32 v31, 0
	v_mov_b32_e32 v28, 0
	v_mov_b32_e32 v29, 0
	v_mov_b32_e32 v26, 0
	v_mov_b32_e32 v27, 0
	s_and_saveexec_b64 s[0:1], vcc
	s_cbranch_execz .LBB68_38
; %bb.37:
	s_waitcnt vmcnt(5)
	v_cvt_f32_u32_sdwa v50, v22 dst_sel:DWORD dst_unused:UNUSED_PAD src0_sel:WORD_0
	v_cvt_f32_u32_sdwa v51, v22 dst_sel:DWORD dst_unused:UNUSED_PAD src0_sel:WORD_1
	v_cvt_f32_u32_sdwa v46, v23 dst_sel:DWORD dst_unused:UNUSED_PAD src0_sel:WORD_0
	v_cvt_f32_u32_sdwa v47, v23 dst_sel:DWORD dst_unused:UNUSED_PAD src0_sel:WORD_1
	v_cvt_f32_u32_sdwa v44, v24 dst_sel:DWORD dst_unused:UNUSED_PAD src0_sel:WORD_0
	v_cvt_f32_u32_sdwa v45, v24 dst_sel:DWORD dst_unused:UNUSED_PAD src0_sel:WORD_1
	v_cvt_f32_u32_sdwa v42, v25 dst_sel:DWORD dst_unused:UNUSED_PAD src0_sel:WORD_0
	v_cvt_f32_u32_sdwa v43, v25 dst_sel:DWORD dst_unused:UNUSED_PAD src0_sel:WORD_1
	s_waitcnt vmcnt(4)
	v_cvt_f32_u32_sdwa v40, v14 dst_sel:DWORD dst_unused:UNUSED_PAD src0_sel:WORD_0
	v_cvt_f32_u32_sdwa v41, v14 dst_sel:DWORD dst_unused:UNUSED_PAD src0_sel:WORD_1
	v_cvt_f32_u32_sdwa v38, v15 dst_sel:DWORD dst_unused:UNUSED_PAD src0_sel:WORD_0
	v_cvt_f32_u32_sdwa v39, v15 dst_sel:DWORD dst_unused:UNUSED_PAD src0_sel:WORD_1
	v_cvt_f32_u32_sdwa v36, v16 dst_sel:DWORD dst_unused:UNUSED_PAD src0_sel:WORD_0
	v_cvt_f32_u32_sdwa v37, v16 dst_sel:DWORD dst_unused:UNUSED_PAD src0_sel:WORD_1
	v_cvt_f32_u32_sdwa v34, v17 dst_sel:DWORD dst_unused:UNUSED_PAD src0_sel:WORD_0
	v_cvt_f32_u32_sdwa v35, v17 dst_sel:DWORD dst_unused:UNUSED_PAD src0_sel:WORD_1
	;; [unrolled: 9-line block ×3, first 2 shown]
.LBB68_38:
	s_or_b64 exec, exec, s[0:1]
	s_waitcnt vmcnt(4)
	v_mul_f32_e32 v14, v51, v51
	v_fmac_f32_e32 v14, v50, v50
	v_fmac_f32_e32 v14, v46, v46
	;; [unrolled: 1-line block ×23, first 2 shown]
	s_nop 1
	v_mov_b32_dpp v15, v14 quad_perm:[1,0,3,2] row_mask:0xf bank_mask:0xf
	v_add_f32_e32 v14, v14, v15
	s_nop 1
	v_mov_b32_dpp v15, v14 quad_perm:[2,3,0,1] row_mask:0xf bank_mask:0xf
	v_add_f32_e32 v14, v14, v15
	s_nop 1
	v_mov_b32_dpp v15, v14 row_half_mirror row_mask:0xf bank_mask:0xf
	v_add_f32_e32 v14, v14, v15
	s_nop 1
	v_mov_b32_dpp v15, v14 row_mirror row_mask:0xf bank_mask:0xf
	v_add_f32_e32 v14, v14, v15
	s_nop 1
	v_mov_b32_dpp v15, v14 row_bcast:15 row_mask:0xf bank_mask:0xf
	v_add_f32_e32 v14, v14, v15
	s_nop 1
	v_mov_b32_dpp v15, v14 row_bcast:31 row_mask:0xf bank_mask:0xf
	s_and_saveexec_b64 s[0:1], s[2:3]
	s_cbranch_execz .LBB68_40
; %bb.39:
	v_add_f32_e32 v14, v14, v15
	v_lshrrev_b32_e32 v15, 4, v0
	v_and_b32_e32 v15, 60, v15
	ds_write_b32 v15, v14 offset:16
.LBB68_40:
	s_or_b64 exec, exec, s[0:1]
	s_waitcnt lgkmcnt(0)
	s_barrier
	ds_read_b32 v14, v48 offset:16
	s_waitcnt lgkmcnt(0)
	s_nop 0
	v_mov_b32_dpp v15, v14 quad_perm:[1,0,3,2] row_mask:0xf bank_mask:0xf
	v_add_f32_e32 v14, v14, v15
	s_nop 1
	v_mov_b32_dpp v15, v14 quad_perm:[2,3,0,1] row_mask:0xf bank_mask:0xf
	s_and_saveexec_b64 s[0:1], vcc
	s_cbranch_execz .LBB68_17
; %bb.41:
	v_cvt_f32_u32_e32 v16, s16
	v_add_f32_e32 v14, v14, v15
	s_mov_b32 s23, 0x20000
	v_div_scale_f32 v15, s[0:1], v16, v16, v14
	v_rcp_f32_e32 v17, v15
	s_waitcnt vmcnt(3)
	v_div_scale_f32 v18, vcc, v14, v16, v14
	s_mov_b32 s0, 0x800000
	v_fma_f32 v19, -v15, v17, 1.0
	v_fmac_f32_e32 v17, v19, v17
	v_mul_f32_e32 v19, v18, v17
	v_fma_f32 v20, -v15, v19, v18
	v_fmac_f32_e32 v19, v20, v17
	v_fma_f32 v15, -v15, v19, v18
	v_div_fmas_f32 v15, v15, v17, v19
	v_div_fixup_f32 v14, v15, v16, v14
	v_add_f32_e32 v14, s13, v14
	v_mul_f32_e32 v15, 0x4b800000, v14
	v_cmp_gt_f32_e32 vcc, s0, v14
	v_cndmask_b32_e32 v14, v14, v15, vcc
	v_rsq_f32_e32 v14, v14
	s_mul_hi_i32 s1, s25, s6
	s_mul_i32 s0, s25, s6
	s_lshl_b64 s[0:1], s[0:1], 1
	v_mul_f32_e32 v15, 0x45800000, v14
	v_cndmask_b32_e32 v14, v14, v15, vcc
	v_mov_b32_e32 v15, v14
	;;#ASMSTART
	v_pk_mul_f32 v[0:1], v[50:51], v[14:15]
	;;#ASMEND
	;;#ASMSTART
	v_pk_mul_f32 v[16:17], v[46:47], v[14:15]
	;;#ASMEND
	;;#ASMSTART
	v_pk_mul_f32 v[18:19], v[44:45], v[14:15]
	;;#ASMEND
	;;#ASMSTART
	v_pk_mul_f32 v[20:21], v[42:43], v[14:15]
	;;#ASMEND
	;;#ASMSTART
	v_pk_mul_f32 v[22:23], v[40:41], v[14:15]
	;;#ASMEND
	;;#ASMSTART
	v_pk_mul_f32 v[24:25], v[38:39], v[14:15]
	;;#ASMEND
	;;#ASMSTART
	v_pk_mul_f32 v[36:37], v[36:37], v[14:15]
	;;#ASMEND
	;;#ASMSTART
	v_pk_mul_f32 v[34:35], v[34:35], v[14:15]
	;;#ASMEND
	;;#ASMSTART
	v_pk_mul_f32 v[32:33], v[32:33], v[14:15]
	;;#ASMEND
	;;#ASMSTART
	v_pk_mul_f32 v[30:31], v[30:31], v[14:15]
	;;#ASMEND
	;;#ASMSTART
	v_pk_mul_f32 v[28:29], v[28:29], v[14:15]
	;;#ASMEND
	;;#ASMSTART
	v_pk_mul_f32 v[14:15], v[26:27], v[14:15]
	;;#ASMEND
	s_waitcnt vmcnt(2)
	v_cvt_f32_u32_sdwa v27, v10 dst_sel:DWORD dst_unused:UNUSED_PAD src0_sel:WORD_1
	v_cvt_f32_u32_sdwa v26, v10 dst_sel:DWORD dst_unused:UNUSED_PAD src0_sel:WORD_0
	v_cvt_f32_u32_sdwa v39, v11 dst_sel:DWORD dst_unused:UNUSED_PAD src0_sel:WORD_1
	v_cvt_f32_u32_sdwa v38, v11 dst_sel:DWORD dst_unused:UNUSED_PAD src0_sel:WORD_0
	;; [unrolled: 2-line block ×3, first 2 shown]
	s_add_u32 s20, s26, s0
	v_cvt_f32_u32_sdwa v41, v13 dst_sel:DWORD dst_unused:UNUSED_PAD src0_sel:WORD_1
	v_cvt_f32_u32_sdwa v40, v13 dst_sel:DWORD dst_unused:UNUSED_PAD src0_sel:WORD_0
	;;#ASMSTART
	v_pk_mul_f32 v[0:1], v[0:1], v[26:27]
	;;#ASMEND
	;;#ASMSTART
	v_pk_mul_f32 v[12:13], v[16:17], v[38:39]
	;;#ASMEND
	;; [unrolled: 3-line block ×3, first 2 shown]
	s_waitcnt vmcnt(1)
	v_cvt_f32_u32_sdwa v19, v6 dst_sel:DWORD dst_unused:UNUSED_PAD src0_sel:WORD_1
	v_cvt_f32_u32_sdwa v18, v6 dst_sel:DWORD dst_unused:UNUSED_PAD src0_sel:WORD_0
	s_addc_u32 s0, s27, s1
	;;#ASMSTART
	v_pk_mul_f32 v[16:17], v[20:21], v[40:41]
	;;#ASMEND
	v_cvt_f32_u32_sdwa v21, v7 dst_sel:DWORD dst_unused:UNUSED_PAD src0_sel:WORD_1
	v_cvt_f32_u32_sdwa v20, v7 dst_sel:DWORD dst_unused:UNUSED_PAD src0_sel:WORD_0
	v_cvt_f32_u32_sdwa v7, v8 dst_sel:DWORD dst_unused:UNUSED_PAD src0_sel:WORD_1
	v_cvt_f32_u32_sdwa v6, v8 dst_sel:DWORD dst_unused:UNUSED_PAD src0_sel:WORD_0
	v_cvt_f32_u32_sdwa v27, v9 dst_sel:DWORD dst_unused:UNUSED_PAD src0_sel:WORD_1
	v_cvt_f32_u32_sdwa v26, v9 dst_sel:DWORD dst_unused:UNUSED_PAD src0_sel:WORD_0
	;;#ASMSTART
	v_pk_mul_f32 v[8:9], v[22:23], v[18:19]
	;;#ASMEND
	;;#ASMSTART
	v_pk_mul_f32 v[18:19], v[24:25], v[20:21]
	;;#ASMEND
	s_waitcnt vmcnt(0)
	v_cvt_f32_u32_sdwa v23, v2 dst_sel:DWORD dst_unused:UNUSED_PAD src0_sel:WORD_1
	v_cvt_f32_u32_sdwa v22, v2 dst_sel:DWORD dst_unused:UNUSED_PAD src0_sel:WORD_0
	v_cvt_f32_u32_sdwa v25, v3 dst_sel:DWORD dst_unused:UNUSED_PAD src0_sel:WORD_1
	v_cvt_f32_u32_sdwa v24, v3 dst_sel:DWORD dst_unused:UNUSED_PAD src0_sel:WORD_0
	;; [unrolled: 2-line block ×3, first 2 shown]
	s_and_b32 s21, s0, 0xffff
	s_mov_b32 s0, 0x7060302
	;;#ASMSTART
	v_pk_mul_f32 v[6:7], v[36:37], v[6:7]
	;;#ASMEND
	;;#ASMSTART
	v_pk_mul_f32 v[20:21], v[34:35], v[26:27]
	;;#ASMEND
	v_cvt_f32_u32_sdwa v27, v5 dst_sel:DWORD dst_unused:UNUSED_PAD src0_sel:WORD_1
	v_cvt_f32_u32_sdwa v26, v5 dst_sel:DWORD dst_unused:UNUSED_PAD src0_sel:WORD_0
	;;#ASMSTART
	v_pk_mul_f32 v[4:5], v[32:33], v[22:23]
	;;#ASMEND
	;;#ASMSTART
	v_pk_mul_f32 v[22:23], v[30:31], v[24:25]
	;;#ASMEND
	;; [unrolled: 3-line block ×3, first 2 shown]
	v_perm_b32 v0, v1, v0, s0
	v_perm_b32 v1, v13, v12, s0
	;; [unrolled: 1-line block ×4, first 2 shown]
	;;#ASMSTART
	v_pk_mul_f32 v[14:15], v[14:15], v[26:27]
	;;#ASMEND
	buffer_store_dwordx4 v[0:3], v49, s[20:23], 0 offen
	s_movk_i32 s1, 0x400
	v_perm_b32 v0, v9, v8, s0
	v_perm_b32 v1, v19, v18, s0
	;; [unrolled: 1-line block ×4, first 2 shown]
	;;#ASMSTART
	s_nop 0
	;;#ASMEND
	buffer_store_dwordx4 v[0:3], v49, s[20:23], s1 offen
	v_perm_b32 v0, v5, v4, s0
	v_perm_b32 v1, v23, v22, s0
	;; [unrolled: 1-line block ×4, first 2 shown]
	s_movk_i32 s0, 0x800
	;;#ASMSTART
	s_nop 0
	;;#ASMEND
	buffer_store_dwordx4 v[0:3], v49, s[20:23], s0 offen
	;;#ASMSTART
	s_nop 0
	;;#ASMEND
	s_endpgm
	.section	.rodata,"a",@progbits
	.p2align	6, 0x0
	.amdhsa_kernel _ZN5aiter35fused_qk_rmsnorm_group_quant_kernelItDB8_Li256ELi24ELi1ELb1ELb1ELb0ELb0ELb1ELb1EEEvPT0_PvPT_S6_S6_PKS5_S8_S8_S8_S8_ffiiiiiiiiiiiii
		.amdhsa_group_segment_fixed_size 48
		.amdhsa_private_segment_fixed_size 900
		.amdhsa_kernarg_size 400
		.amdhsa_user_sgpr_count 6
		.amdhsa_user_sgpr_private_segment_buffer 1
		.amdhsa_user_sgpr_dispatch_ptr 0
		.amdhsa_user_sgpr_queue_ptr 0
		.amdhsa_user_sgpr_kernarg_segment_ptr 1
		.amdhsa_user_sgpr_dispatch_id 0
		.amdhsa_user_sgpr_flat_scratch_init 0
		.amdhsa_user_sgpr_kernarg_preload_length 0
		.amdhsa_user_sgpr_kernarg_preload_offset 0
		.amdhsa_user_sgpr_private_segment_size 0
		.amdhsa_uses_dynamic_stack 0
		.amdhsa_system_sgpr_private_segment_wavefront_offset 1
		.amdhsa_system_sgpr_workgroup_id_x 1
		.amdhsa_system_sgpr_workgroup_id_y 1
		.amdhsa_system_sgpr_workgroup_id_z 0
		.amdhsa_system_sgpr_workgroup_info 0
		.amdhsa_system_vgpr_workitem_id 0
		.amdhsa_next_free_vgpr 128
		.amdhsa_next_free_sgpr 44
		.amdhsa_accum_offset 128
		.amdhsa_reserve_vcc 1
		.amdhsa_reserve_flat_scratch 0
		.amdhsa_float_round_mode_32 0
		.amdhsa_float_round_mode_16_64 0
		.amdhsa_float_denorm_mode_32 3
		.amdhsa_float_denorm_mode_16_64 3
		.amdhsa_dx10_clamp 1
		.amdhsa_ieee_mode 1
		.amdhsa_fp16_overflow 0
		.amdhsa_tg_split 0
		.amdhsa_exception_fp_ieee_invalid_op 0
		.amdhsa_exception_fp_denorm_src 0
		.amdhsa_exception_fp_ieee_div_zero 0
		.amdhsa_exception_fp_ieee_overflow 0
		.amdhsa_exception_fp_ieee_underflow 0
		.amdhsa_exception_fp_ieee_inexact 0
		.amdhsa_exception_int_div_zero 0
	.end_amdhsa_kernel
	.section	.text._ZN5aiter35fused_qk_rmsnorm_group_quant_kernelItDB8_Li256ELi24ELi1ELb1ELb1ELb0ELb0ELb1ELb1EEEvPT0_PvPT_S6_S6_PKS5_S8_S8_S8_S8_ffiiiiiiiiiiiii,"axG",@progbits,_ZN5aiter35fused_qk_rmsnorm_group_quant_kernelItDB8_Li256ELi24ELi1ELb1ELb1ELb0ELb0ELb1ELb1EEEvPT0_PvPT_S6_S6_PKS5_S8_S8_S8_S8_ffiiiiiiiiiiiii,comdat
.Lfunc_end68:
	.size	_ZN5aiter35fused_qk_rmsnorm_group_quant_kernelItDB8_Li256ELi24ELi1ELb1ELb1ELb0ELb0ELb1ELb1EEEvPT0_PvPT_S6_S6_PKS5_S8_S8_S8_S8_ffiiiiiiiiiiiii, .Lfunc_end68-_ZN5aiter35fused_qk_rmsnorm_group_quant_kernelItDB8_Li256ELi24ELi1ELb1ELb1ELb0ELb0ELb1ELb1EEEvPT0_PvPT_S6_S6_PKS5_S8_S8_S8_S8_ffiiiiiiiiiiiii
                                        ; -- End function
	.section	.AMDGPU.csdata,"",@progbits
; Kernel info:
; codeLenInByte = 24468
; NumSgprs: 48
; NumVgprs: 128
; NumAgprs: 0
; TotalNumVgprs: 128
; ScratchSize: 900
; MemoryBound: 0
; FloatMode: 240
; IeeeMode: 1
; LDSByteSize: 48 bytes/workgroup (compile time only)
; SGPRBlocks: 5
; VGPRBlocks: 15
; NumSGPRsForWavesPerEU: 48
; NumVGPRsForWavesPerEU: 128
; AccumOffset: 128
; Occupancy: 4
; WaveLimiterHint : 0
; COMPUTE_PGM_RSRC2:SCRATCH_EN: 1
; COMPUTE_PGM_RSRC2:USER_SGPR: 6
; COMPUTE_PGM_RSRC2:TRAP_HANDLER: 0
; COMPUTE_PGM_RSRC2:TGID_X_EN: 1
; COMPUTE_PGM_RSRC2:TGID_Y_EN: 1
; COMPUTE_PGM_RSRC2:TGID_Z_EN: 0
; COMPUTE_PGM_RSRC2:TIDIG_COMP_CNT: 0
; COMPUTE_PGM_RSRC3_GFX90A:ACCUM_OFFSET: 31
; COMPUTE_PGM_RSRC3_GFX90A:TG_SPLIT: 0
	.section	.text._ZN5aiter35fused_qk_rmsnorm_group_quant_kernelIDF16_DB8_Li256ELi24ELi1ELb1ELb0ELb1ELb0ELb1ELb1EEEvPT0_PvPT_S6_S6_PKS5_S8_S8_S8_S8_ffiiiiiiiiiiiii,"axG",@progbits,_ZN5aiter35fused_qk_rmsnorm_group_quant_kernelIDF16_DB8_Li256ELi24ELi1ELb1ELb0ELb1ELb0ELb1ELb1EEEvPT0_PvPT_S6_S6_PKS5_S8_S8_S8_S8_ffiiiiiiiiiiiii,comdat
	.protected	_ZN5aiter35fused_qk_rmsnorm_group_quant_kernelIDF16_DB8_Li256ELi24ELi1ELb1ELb0ELb1ELb0ELb1ELb1EEEvPT0_PvPT_S6_S6_PKS5_S8_S8_S8_S8_ffiiiiiiiiiiiii ; -- Begin function _ZN5aiter35fused_qk_rmsnorm_group_quant_kernelIDF16_DB8_Li256ELi24ELi1ELb1ELb0ELb1ELb0ELb1ELb1EEEvPT0_PvPT_S6_S6_PKS5_S8_S8_S8_S8_ffiiiiiiiiiiiii
	.globl	_ZN5aiter35fused_qk_rmsnorm_group_quant_kernelIDF16_DB8_Li256ELi24ELi1ELb1ELb0ELb1ELb0ELb1ELb1EEEvPT0_PvPT_S6_S6_PKS5_S8_S8_S8_S8_ffiiiiiiiiiiiii
	.p2align	8
	.type	_ZN5aiter35fused_qk_rmsnorm_group_quant_kernelIDF16_DB8_Li256ELi24ELi1ELb1ELb0ELb1ELb0ELb1ELb1EEEvPT0_PvPT_S6_S6_PKS5_S8_S8_S8_S8_ffiiiiiiiiiiiii,@function
_ZN5aiter35fused_qk_rmsnorm_group_quant_kernelIDF16_DB8_Li256ELi24ELi1ELb1ELb0ELb1ELb0ELb1ELb1EEEvPT0_PvPT_S6_S6_PKS5_S8_S8_S8_S8_ffiiiiiiiiiiiii: ; @_ZN5aiter35fused_qk_rmsnorm_group_quant_kernelIDF16_DB8_Li256ELi24ELi1ELb1ELb0ELb1ELb0ELb1ELb1EEEvPT0_PvPT_S6_S6_PKS5_S8_S8_S8_S8_ffiiiiiiiiiiiii
; %bb.0:
	s_load_dwordx8 s[12:19], s[4:5], 0x50
	s_mov_b64 s[42:43], s[2:3]
	s_mov_b64 s[40:41], s[0:1]
	s_add_u32 s40, s40, s8
	s_addc_u32 s41, s41, 0
	s_waitcnt lgkmcnt(0)
	s_cmp_ge_i32 s6, s14
	s_cbranch_scc1 .LBB69_17
; %bb.1:
	s_cmp_lg_u32 s7, 0
	s_cselect_b64 s[22:23], -1, 0
	s_cmp_eq_u32 s7, 0
	s_cselect_b64 s[8:9], -1, 0
	s_and_b64 s[0:1], s[8:9], exec
	s_cselect_b32 s7, s15, s16
	s_add_i32 s0, s7, 1
	s_load_dwordx2 s[10:11], s[4:5], 0x70
	s_load_dwordx2 s[20:21], s[4:5], 0x48
	;; [unrolled: 1-line block ×3, first 2 shown]
	s_lshr_b32 s1, s0, 31
	s_add_i32 s0, s0, s1
	s_lshl_b32 s0, s0, 1
	v_and_b32_e32 v2, 0x3c0, v0
	s_and_b32 s26, s0, -4
	v_lshlrev_b32_e32 v1, 3, v0
	v_mul_u32_u24_e32 v2, 24, v2
	s_movk_i32 s0, 0x1f8
	v_and_or_b32 v1, v1, s0, v2
	v_cmp_gt_i32_e64 s[0:1], s7, v1
	v_mov_b32_e32 v108, 0
	v_mov_b32_e32 v109, 0
	;; [unrolled: 1-line block ×24, first 2 shown]
	s_and_saveexec_b64 s[2:3], s[0:1]
	s_cbranch_execz .LBB69_3
; %bb.2:
	s_load_dwordx2 s[24:25], s[4:5], 0x28
	s_load_dwordx2 s[30:31], s[4:5], 0x40
	s_and_b64 s[28:29], s[8:9], exec
	s_cselect_b32 s14, s17, s18
	v_lshlrev_b32_e32 v2, 1, v1
	s_waitcnt lgkmcnt(0)
	s_cselect_b32 s17, s25, s35
	s_cselect_b32 s27, s24, s34
	s_mul_hi_i32 s25, s14, s6
	s_mul_i32 s24, s14, s6
	s_lshl_b64 s[24:25], s[24:25], 1
	s_add_u32 s28, s27, s24
	s_addc_u32 s14, s17, s25
	s_and_b64 s[24:25], s[8:9], exec
	s_cselect_b32 s17, s31, s21
	s_mov_b32 s27, 0x20000
	s_cselect_b32 s24, s30, s20
	s_and_b32 s25, s17, 0xffff
	s_and_b32 s29, s14, 0xffff
	s_mov_b32 s30, s26
	s_mov_b32 s31, s27
	s_movk_i32 s17, 0x800
	s_movk_i32 s14, 0x400
	buffer_load_dwordx4 v[112:115], v2, s[28:31], 0 offen glc slc
	buffer_load_dwordx4 v[116:119], v2, s[28:31], s14 offen glc slc
	;; [unrolled: 1-line block ×3, first 2 shown]
	buffer_load_dwordx4 v[108:111], v2, s[24:27], 0 offen
	buffer_load_dwordx4 v[104:107], v2, s[24:27], s14 offen
	;; [unrolled: 1-line block ×3, first 2 shown]
.LBB69_3:
	s_or_b64 exec, exec, s[2:3]
	s_load_dwordx2 s[28:29], s[4:5], 0x80
	s_and_b64 vcc, exec, s[22:23]
	s_cbranch_vccz .LBB69_7
; %bb.4:
	v_mov_b32_e32 v21, 0
	v_mov_b32_e32 v20, 0
	buffer_store_dword v0, off, s[40:43], 0 ; 4-byte Folded Spill
	s_nop 0
	buffer_store_dword v1, off, s[40:43], 0 offset:4 ; 4-byte Folded Spill
	buffer_store_dword v2, off, s[40:43], 0 offset:8 ; 4-byte Folded Spill
	;; [unrolled: 1-line block ×31, first 2 shown]
	v_mov_b32_e32 v19, 0
	v_mov_b32_e32 v18, 0
	;; [unrolled: 1-line block ×6, first 2 shown]
	buffer_store_dword v0, off, s[40:43], 0 offset:384 ; 4-byte Folded Spill
	s_nop 0
	buffer_store_dword v1, off, s[40:43], 0 offset:388 ; 4-byte Folded Spill
	buffer_store_dword v2, off, s[40:43], 0 offset:392 ; 4-byte Folded Spill
	buffer_store_dword v3, off, s[40:43], 0 offset:396 ; 4-byte Folded Spill
	buffer_store_dword v4, off, s[40:43], 0 offset:400 ; 4-byte Folded Spill
	buffer_store_dword v5, off, s[40:43], 0 offset:404 ; 4-byte Folded Spill
	buffer_store_dword v6, off, s[40:43], 0 offset:408 ; 4-byte Folded Spill
	buffer_store_dword v7, off, s[40:43], 0 offset:412 ; 4-byte Folded Spill
	buffer_store_dword v8, off, s[40:43], 0 offset:416 ; 4-byte Folded Spill
	buffer_store_dword v9, off, s[40:43], 0 offset:420 ; 4-byte Folded Spill
	buffer_store_dword v10, off, s[40:43], 0 offset:424 ; 4-byte Folded Spill
	buffer_store_dword v11, off, s[40:43], 0 offset:428 ; 4-byte Folded Spill
	buffer_store_dword v12, off, s[40:43], 0 offset:432 ; 4-byte Folded Spill
	buffer_store_dword v13, off, s[40:43], 0 offset:436 ; 4-byte Folded Spill
	buffer_store_dword v14, off, s[40:43], 0 offset:440 ; 4-byte Folded Spill
	buffer_store_dword v15, off, s[40:43], 0 offset:444 ; 4-byte Folded Spill
	buffer_store_dword v16, off, s[40:43], 0 offset:448 ; 4-byte Folded Spill
	buffer_store_dword v17, off, s[40:43], 0 offset:452 ; 4-byte Folded Spill
	buffer_store_dword v18, off, s[40:43], 0 offset:456 ; 4-byte Folded Spill
	buffer_store_dword v19, off, s[40:43], 0 offset:460 ; 4-byte Folded Spill
	buffer_store_dword v20, off, s[40:43], 0 offset:464 ; 4-byte Folded Spill
	buffer_store_dword v21, off, s[40:43], 0 offset:468 ; 4-byte Folded Spill
	buffer_store_dword v22, off, s[40:43], 0 offset:472 ; 4-byte Folded Spill
	buffer_store_dword v23, off, s[40:43], 0 offset:476 ; 4-byte Folded Spill
	buffer_store_dword v24, off, s[40:43], 0 offset:480 ; 4-byte Folded Spill
	buffer_store_dword v25, off, s[40:43], 0 offset:484 ; 4-byte Folded Spill
	buffer_store_dword v26, off, s[40:43], 0 offset:488 ; 4-byte Folded Spill
	buffer_store_dword v27, off, s[40:43], 0 offset:492 ; 4-byte Folded Spill
	buffer_store_dword v28, off, s[40:43], 0 offset:496 ; 4-byte Folded Spill
	buffer_store_dword v29, off, s[40:43], 0 offset:500 ; 4-byte Folded Spill
	buffer_store_dword v30, off, s[40:43], 0 offset:504 ; 4-byte Folded Spill
	buffer_store_dword v31, off, s[40:43], 0 offset:508 ; 4-byte Folded Spill
	v_mov_b32_e32 v17, 0
	v_mov_b32_e32 v16, 0
	buffer_store_dword v0, off, s[40:43], 0 offset:512 ; 4-byte Folded Spill
	s_nop 0
	buffer_store_dword v1, off, s[40:43], 0 offset:516 ; 4-byte Folded Spill
	buffer_store_dword v2, off, s[40:43], 0 offset:520 ; 4-byte Folded Spill
	buffer_store_dword v3, off, s[40:43], 0 offset:524 ; 4-byte Folded Spill
	buffer_store_dword v4, off, s[40:43], 0 offset:528 ; 4-byte Folded Spill
	buffer_store_dword v5, off, s[40:43], 0 offset:532 ; 4-byte Folded Spill
	buffer_store_dword v6, off, s[40:43], 0 offset:536 ; 4-byte Folded Spill
	buffer_store_dword v7, off, s[40:43], 0 offset:540 ; 4-byte Folded Spill
	buffer_store_dword v8, off, s[40:43], 0 offset:544 ; 4-byte Folded Spill
	buffer_store_dword v9, off, s[40:43], 0 offset:548 ; 4-byte Folded Spill
	buffer_store_dword v10, off, s[40:43], 0 offset:552 ; 4-byte Folded Spill
	buffer_store_dword v11, off, s[40:43], 0 offset:556 ; 4-byte Folded Spill
	buffer_store_dword v12, off, s[40:43], 0 offset:560 ; 4-byte Folded Spill
	buffer_store_dword v13, off, s[40:43], 0 offset:564 ; 4-byte Folded Spill
	buffer_store_dword v14, off, s[40:43], 0 offset:568 ; 4-byte Folded Spill
	buffer_store_dword v15, off, s[40:43], 0 offset:572 ; 4-byte Folded Spill
	buffer_store_dword v16, off, s[40:43], 0 offset:576 ; 4-byte Folded Spill
	buffer_store_dword v17, off, s[40:43], 0 offset:580 ; 4-byte Folded Spill
	buffer_store_dword v18, off, s[40:43], 0 offset:584 ; 4-byte Folded Spill
	buffer_store_dword v19, off, s[40:43], 0 offset:588 ; 4-byte Folded Spill
	buffer_store_dword v20, off, s[40:43], 0 offset:592 ; 4-byte Folded Spill
	buffer_store_dword v21, off, s[40:43], 0 offset:596 ; 4-byte Folded Spill
	buffer_store_dword v22, off, s[40:43], 0 offset:600 ; 4-byte Folded Spill
	buffer_store_dword v23, off, s[40:43], 0 offset:604 ; 4-byte Folded Spill
	buffer_store_dword v24, off, s[40:43], 0 offset:608 ; 4-byte Folded Spill
	buffer_store_dword v25, off, s[40:43], 0 offset:612 ; 4-byte Folded Spill
	buffer_store_dword v26, off, s[40:43], 0 offset:616 ; 4-byte Folded Spill
	buffer_store_dword v27, off, s[40:43], 0 offset:620 ; 4-byte Folded Spill
	buffer_store_dword v28, off, s[40:43], 0 offset:624 ; 4-byte Folded Spill
	buffer_store_dword v29, off, s[40:43], 0 offset:628 ; 4-byte Folded Spill
	buffer_store_dword v30, off, s[40:43], 0 offset:632 ; 4-byte Folded Spill
	buffer_store_dword v31, off, s[40:43], 0 offset:636 ; 4-byte Folded Spill
	v_mov_b32_e32 v15, 0
	v_mov_b32_e32 v14, 0
	;; [unrolled: 35-line block ×8, first 2 shown]
	s_and_saveexec_b64 s[2:3], s[0:1]
	s_cbranch_execz .LBB69_6
; %bb.5:
	s_waitcnt vmcnt(62)
	v_cvt_f32_f16_sdwa v3, v112 dst_sel:DWORD dst_unused:UNUSED_PAD src0_sel:WORD_1
	v_cvt_f32_f16_e32 v2, v112
	v_cvt_f32_f16_sdwa v5, v114 dst_sel:DWORD dst_unused:UNUSED_PAD src0_sel:WORD_1
	v_cvt_f32_f16_e32 v4, v114
	buffer_store_dword v0, off, s[40:43], 0 offset:896 ; 4-byte Folded Spill
	s_nop 0
	buffer_store_dword v1, off, s[40:43], 0 offset:900 ; 4-byte Folded Spill
	buffer_store_dword v2, off, s[40:43], 0 offset:904 ; 4-byte Folded Spill
	;; [unrolled: 1-line block ×31, first 2 shown]
	v_cvt_f32_f16_sdwa v7, v115 dst_sel:DWORD dst_unused:UNUSED_PAD src0_sel:WORD_1
	v_cvt_f32_f16_e32 v6, v115
	v_cvt_f32_f16_sdwa v75, v113 dst_sel:DWORD dst_unused:UNUSED_PAD src0_sel:WORD_1
	v_cvt_f32_f16_e32 v74, v113
	;; [unrolled: 2-line block ×3, first 2 shown]
	buffer_store_dword v0, off, s[40:43], 0 offset:768 ; 4-byte Folded Spill
	s_nop 0
	buffer_store_dword v1, off, s[40:43], 0 offset:772 ; 4-byte Folded Spill
	buffer_store_dword v2, off, s[40:43], 0 offset:776 ; 4-byte Folded Spill
	buffer_store_dword v3, off, s[40:43], 0 offset:780 ; 4-byte Folded Spill
	buffer_store_dword v4, off, s[40:43], 0 offset:784 ; 4-byte Folded Spill
	buffer_store_dword v5, off, s[40:43], 0 offset:788 ; 4-byte Folded Spill
	buffer_store_dword v6, off, s[40:43], 0 offset:792 ; 4-byte Folded Spill
	buffer_store_dword v7, off, s[40:43], 0 offset:796 ; 4-byte Folded Spill
	buffer_store_dword v8, off, s[40:43], 0 offset:800 ; 4-byte Folded Spill
	buffer_store_dword v9, off, s[40:43], 0 offset:804 ; 4-byte Folded Spill
	buffer_store_dword v10, off, s[40:43], 0 offset:808 ; 4-byte Folded Spill
	buffer_store_dword v11, off, s[40:43], 0 offset:812 ; 4-byte Folded Spill
	buffer_store_dword v12, off, s[40:43], 0 offset:816 ; 4-byte Folded Spill
	buffer_store_dword v13, off, s[40:43], 0 offset:820 ; 4-byte Folded Spill
	buffer_store_dword v14, off, s[40:43], 0 offset:824 ; 4-byte Folded Spill
	buffer_store_dword v15, off, s[40:43], 0 offset:828 ; 4-byte Folded Spill
	buffer_store_dword v16, off, s[40:43], 0 offset:832 ; 4-byte Folded Spill
	buffer_store_dword v17, off, s[40:43], 0 offset:836 ; 4-byte Folded Spill
	buffer_store_dword v18, off, s[40:43], 0 offset:840 ; 4-byte Folded Spill
	buffer_store_dword v19, off, s[40:43], 0 offset:844 ; 4-byte Folded Spill
	buffer_store_dword v20, off, s[40:43], 0 offset:848 ; 4-byte Folded Spill
	buffer_store_dword v21, off, s[40:43], 0 offset:852 ; 4-byte Folded Spill
	buffer_store_dword v22, off, s[40:43], 0 offset:856 ; 4-byte Folded Spill
	buffer_store_dword v23, off, s[40:43], 0 offset:860 ; 4-byte Folded Spill
	buffer_store_dword v24, off, s[40:43], 0 offset:864 ; 4-byte Folded Spill
	buffer_store_dword v25, off, s[40:43], 0 offset:868 ; 4-byte Folded Spill
	buffer_store_dword v26, off, s[40:43], 0 offset:872 ; 4-byte Folded Spill
	buffer_store_dword v27, off, s[40:43], 0 offset:876 ; 4-byte Folded Spill
	buffer_store_dword v28, off, s[40:43], 0 offset:880 ; 4-byte Folded Spill
	buffer_store_dword v29, off, s[40:43], 0 offset:884 ; 4-byte Folded Spill
	buffer_store_dword v30, off, s[40:43], 0 offset:888 ; 4-byte Folded Spill
	buffer_store_dword v31, off, s[40:43], 0 offset:892 ; 4-byte Folded Spill
	v_cvt_f32_f16_sdwa v9, v116 dst_sel:DWORD dst_unused:UNUSED_PAD src0_sel:WORD_1
	v_cvt_f32_f16_e32 v8, v116
	buffer_store_dword v0, off, s[40:43], 0 offset:1024 ; 4-byte Folded Spill
	s_nop 0
	buffer_store_dword v1, off, s[40:43], 0 offset:1028 ; 4-byte Folded Spill
	buffer_store_dword v2, off, s[40:43], 0 offset:1032 ; 4-byte Folded Spill
	buffer_store_dword v3, off, s[40:43], 0 offset:1036 ; 4-byte Folded Spill
	buffer_store_dword v4, off, s[40:43], 0 offset:1040 ; 4-byte Folded Spill
	buffer_store_dword v5, off, s[40:43], 0 offset:1044 ; 4-byte Folded Spill
	buffer_store_dword v6, off, s[40:43], 0 offset:1048 ; 4-byte Folded Spill
	buffer_store_dword v7, off, s[40:43], 0 offset:1052 ; 4-byte Folded Spill
	buffer_store_dword v8, off, s[40:43], 0 offset:1056 ; 4-byte Folded Spill
	buffer_store_dword v9, off, s[40:43], 0 offset:1060 ; 4-byte Folded Spill
	buffer_store_dword v10, off, s[40:43], 0 offset:1064 ; 4-byte Folded Spill
	buffer_store_dword v11, off, s[40:43], 0 offset:1068 ; 4-byte Folded Spill
	buffer_store_dword v12, off, s[40:43], 0 offset:1072 ; 4-byte Folded Spill
	buffer_store_dword v13, off, s[40:43], 0 offset:1076 ; 4-byte Folded Spill
	buffer_store_dword v14, off, s[40:43], 0 offset:1080 ; 4-byte Folded Spill
	buffer_store_dword v15, off, s[40:43], 0 offset:1084 ; 4-byte Folded Spill
	buffer_store_dword v16, off, s[40:43], 0 offset:1088 ; 4-byte Folded Spill
	buffer_store_dword v17, off, s[40:43], 0 offset:1092 ; 4-byte Folded Spill
	buffer_store_dword v18, off, s[40:43], 0 offset:1096 ; 4-byte Folded Spill
	buffer_store_dword v19, off, s[40:43], 0 offset:1100 ; 4-byte Folded Spill
	buffer_store_dword v20, off, s[40:43], 0 offset:1104 ; 4-byte Folded Spill
	buffer_store_dword v21, off, s[40:43], 0 offset:1108 ; 4-byte Folded Spill
	buffer_store_dword v22, off, s[40:43], 0 offset:1112 ; 4-byte Folded Spill
	buffer_store_dword v23, off, s[40:43], 0 offset:1116 ; 4-byte Folded Spill
	buffer_store_dword v24, off, s[40:43], 0 offset:1120 ; 4-byte Folded Spill
	buffer_store_dword v25, off, s[40:43], 0 offset:1124 ; 4-byte Folded Spill
	buffer_store_dword v26, off, s[40:43], 0 offset:1128 ; 4-byte Folded Spill
	buffer_store_dword v27, off, s[40:43], 0 offset:1132 ; 4-byte Folded Spill
	buffer_store_dword v28, off, s[40:43], 0 offset:1136 ; 4-byte Folded Spill
	buffer_store_dword v29, off, s[40:43], 0 offset:1140 ; 4-byte Folded Spill
	buffer_store_dword v30, off, s[40:43], 0 offset:1144 ; 4-byte Folded Spill
	buffer_store_dword v31, off, s[40:43], 0 offset:1148 ; 4-byte Folded Spill
	v_cvt_f32_f16_sdwa v11, v117 dst_sel:DWORD dst_unused:UNUSED_PAD src0_sel:WORD_1
	v_cvt_f32_f16_e32 v10, v117
	buffer_store_dword v0, off, s[40:43], 0 offset:640 ; 4-byte Folded Spill
	s_nop 0
	buffer_store_dword v1, off, s[40:43], 0 offset:644 ; 4-byte Folded Spill
	buffer_store_dword v2, off, s[40:43], 0 offset:648 ; 4-byte Folded Spill
	buffer_store_dword v3, off, s[40:43], 0 offset:652 ; 4-byte Folded Spill
	buffer_store_dword v4, off, s[40:43], 0 offset:656 ; 4-byte Folded Spill
	buffer_store_dword v5, off, s[40:43], 0 offset:660 ; 4-byte Folded Spill
	buffer_store_dword v6, off, s[40:43], 0 offset:664 ; 4-byte Folded Spill
	buffer_store_dword v7, off, s[40:43], 0 offset:668 ; 4-byte Folded Spill
	buffer_store_dword v8, off, s[40:43], 0 offset:672 ; 4-byte Folded Spill
	buffer_store_dword v9, off, s[40:43], 0 offset:676 ; 4-byte Folded Spill
	buffer_store_dword v10, off, s[40:43], 0 offset:680 ; 4-byte Folded Spill
	buffer_store_dword v11, off, s[40:43], 0 offset:684 ; 4-byte Folded Spill
	buffer_store_dword v12, off, s[40:43], 0 offset:688 ; 4-byte Folded Spill
	buffer_store_dword v13, off, s[40:43], 0 offset:692 ; 4-byte Folded Spill
	buffer_store_dword v14, off, s[40:43], 0 offset:696 ; 4-byte Folded Spill
	buffer_store_dword v15, off, s[40:43], 0 offset:700 ; 4-byte Folded Spill
	buffer_store_dword v16, off, s[40:43], 0 offset:704 ; 4-byte Folded Spill
	buffer_store_dword v17, off, s[40:43], 0 offset:708 ; 4-byte Folded Spill
	buffer_store_dword v18, off, s[40:43], 0 offset:712 ; 4-byte Folded Spill
	buffer_store_dword v19, off, s[40:43], 0 offset:716 ; 4-byte Folded Spill
	buffer_store_dword v20, off, s[40:43], 0 offset:720 ; 4-byte Folded Spill
	buffer_store_dword v21, off, s[40:43], 0 offset:724 ; 4-byte Folded Spill
	buffer_store_dword v22, off, s[40:43], 0 offset:728 ; 4-byte Folded Spill
	buffer_store_dword v23, off, s[40:43], 0 offset:732 ; 4-byte Folded Spill
	buffer_store_dword v24, off, s[40:43], 0 offset:736 ; 4-byte Folded Spill
	buffer_store_dword v25, off, s[40:43], 0 offset:740 ; 4-byte Folded Spill
	buffer_store_dword v26, off, s[40:43], 0 offset:744 ; 4-byte Folded Spill
	buffer_store_dword v27, off, s[40:43], 0 offset:748 ; 4-byte Folded Spill
	buffer_store_dword v28, off, s[40:43], 0 offset:752 ; 4-byte Folded Spill
	buffer_store_dword v29, off, s[40:43], 0 offset:756 ; 4-byte Folded Spill
	buffer_store_dword v30, off, s[40:43], 0 offset:760 ; 4-byte Folded Spill
	buffer_store_dword v31, off, s[40:43], 0 offset:764 ; 4-byte Folded Spill
	v_cvt_f32_f16_sdwa v13, v118 dst_sel:DWORD dst_unused:UNUSED_PAD src0_sel:WORD_1
	v_cvt_f32_f16_e32 v12, v118
	buffer_store_dword v0, off, s[40:43], 0 offset:256 ; 4-byte Folded Spill
	s_nop 0
	buffer_store_dword v1, off, s[40:43], 0 offset:260 ; 4-byte Folded Spill
	buffer_store_dword v2, off, s[40:43], 0 offset:264 ; 4-byte Folded Spill
	buffer_store_dword v3, off, s[40:43], 0 offset:268 ; 4-byte Folded Spill
	buffer_store_dword v4, off, s[40:43], 0 offset:272 ; 4-byte Folded Spill
	buffer_store_dword v5, off, s[40:43], 0 offset:276 ; 4-byte Folded Spill
	buffer_store_dword v6, off, s[40:43], 0 offset:280 ; 4-byte Folded Spill
	buffer_store_dword v7, off, s[40:43], 0 offset:284 ; 4-byte Folded Spill
	buffer_store_dword v8, off, s[40:43], 0 offset:288 ; 4-byte Folded Spill
	buffer_store_dword v9, off, s[40:43], 0 offset:292 ; 4-byte Folded Spill
	buffer_store_dword v10, off, s[40:43], 0 offset:296 ; 4-byte Folded Spill
	buffer_store_dword v11, off, s[40:43], 0 offset:300 ; 4-byte Folded Spill
	buffer_store_dword v12, off, s[40:43], 0 offset:304 ; 4-byte Folded Spill
	buffer_store_dword v13, off, s[40:43], 0 offset:308 ; 4-byte Folded Spill
	buffer_store_dword v14, off, s[40:43], 0 offset:312 ; 4-byte Folded Spill
	buffer_store_dword v15, off, s[40:43], 0 offset:316 ; 4-byte Folded Spill
	buffer_store_dword v16, off, s[40:43], 0 offset:320 ; 4-byte Folded Spill
	buffer_store_dword v17, off, s[40:43], 0 offset:324 ; 4-byte Folded Spill
	buffer_store_dword v18, off, s[40:43], 0 offset:328 ; 4-byte Folded Spill
	buffer_store_dword v19, off, s[40:43], 0 offset:332 ; 4-byte Folded Spill
	buffer_store_dword v20, off, s[40:43], 0 offset:336 ; 4-byte Folded Spill
	buffer_store_dword v21, off, s[40:43], 0 offset:340 ; 4-byte Folded Spill
	buffer_store_dword v22, off, s[40:43], 0 offset:344 ; 4-byte Folded Spill
	buffer_store_dword v23, off, s[40:43], 0 offset:348 ; 4-byte Folded Spill
	buffer_store_dword v24, off, s[40:43], 0 offset:352 ; 4-byte Folded Spill
	buffer_store_dword v25, off, s[40:43], 0 offset:356 ; 4-byte Folded Spill
	buffer_store_dword v26, off, s[40:43], 0 offset:360 ; 4-byte Folded Spill
	buffer_store_dword v27, off, s[40:43], 0 offset:364 ; 4-byte Folded Spill
	buffer_store_dword v28, off, s[40:43], 0 offset:368 ; 4-byte Folded Spill
	buffer_store_dword v29, off, s[40:43], 0 offset:372 ; 4-byte Folded Spill
	buffer_store_dword v30, off, s[40:43], 0 offset:376 ; 4-byte Folded Spill
	buffer_store_dword v31, off, s[40:43], 0 offset:380 ; 4-byte Folded Spill
	v_cvt_f32_f16_sdwa v15, v119 dst_sel:DWORD dst_unused:UNUSED_PAD src0_sel:WORD_1
	v_cvt_f32_f16_e32 v14, v119
	buffer_store_dword v0, off, s[40:43], 0 offset:128 ; 4-byte Folded Spill
	s_nop 0
	buffer_store_dword v1, off, s[40:43], 0 offset:132 ; 4-byte Folded Spill
	buffer_store_dword v2, off, s[40:43], 0 offset:136 ; 4-byte Folded Spill
	buffer_store_dword v3, off, s[40:43], 0 offset:140 ; 4-byte Folded Spill
	buffer_store_dword v4, off, s[40:43], 0 offset:144 ; 4-byte Folded Spill
	buffer_store_dword v5, off, s[40:43], 0 offset:148 ; 4-byte Folded Spill
	buffer_store_dword v6, off, s[40:43], 0 offset:152 ; 4-byte Folded Spill
	buffer_store_dword v7, off, s[40:43], 0 offset:156 ; 4-byte Folded Spill
	buffer_store_dword v8, off, s[40:43], 0 offset:160 ; 4-byte Folded Spill
	buffer_store_dword v9, off, s[40:43], 0 offset:164 ; 4-byte Folded Spill
	buffer_store_dword v10, off, s[40:43], 0 offset:168 ; 4-byte Folded Spill
	buffer_store_dword v11, off, s[40:43], 0 offset:172 ; 4-byte Folded Spill
	buffer_store_dword v12, off, s[40:43], 0 offset:176 ; 4-byte Folded Spill
	buffer_store_dword v13, off, s[40:43], 0 offset:180 ; 4-byte Folded Spill
	buffer_store_dword v14, off, s[40:43], 0 offset:184 ; 4-byte Folded Spill
	buffer_store_dword v15, off, s[40:43], 0 offset:188 ; 4-byte Folded Spill
	buffer_store_dword v16, off, s[40:43], 0 offset:192 ; 4-byte Folded Spill
	buffer_store_dword v17, off, s[40:43], 0 offset:196 ; 4-byte Folded Spill
	buffer_store_dword v18, off, s[40:43], 0 offset:200 ; 4-byte Folded Spill
	buffer_store_dword v19, off, s[40:43], 0 offset:204 ; 4-byte Folded Spill
	buffer_store_dword v20, off, s[40:43], 0 offset:208 ; 4-byte Folded Spill
	buffer_store_dword v21, off, s[40:43], 0 offset:212 ; 4-byte Folded Spill
	buffer_store_dword v22, off, s[40:43], 0 offset:216 ; 4-byte Folded Spill
	buffer_store_dword v23, off, s[40:43], 0 offset:220 ; 4-byte Folded Spill
	buffer_store_dword v24, off, s[40:43], 0 offset:224 ; 4-byte Folded Spill
	buffer_store_dword v25, off, s[40:43], 0 offset:228 ; 4-byte Folded Spill
	buffer_store_dword v26, off, s[40:43], 0 offset:232 ; 4-byte Folded Spill
	buffer_store_dword v27, off, s[40:43], 0 offset:236 ; 4-byte Folded Spill
	buffer_store_dword v28, off, s[40:43], 0 offset:240 ; 4-byte Folded Spill
	buffer_store_dword v29, off, s[40:43], 0 offset:244 ; 4-byte Folded Spill
	buffer_store_dword v30, off, s[40:43], 0 offset:248 ; 4-byte Folded Spill
	buffer_store_dword v31, off, s[40:43], 0 offset:252 ; 4-byte Folded Spill
	v_cvt_f32_f16_sdwa v17, v34 dst_sel:DWORD dst_unused:UNUSED_PAD src0_sel:WORD_1
	v_cvt_f32_f16_e32 v16, v34
	buffer_store_dword v0, off, s[40:43], 0 offset:512 ; 4-byte Folded Spill
	s_nop 0
	buffer_store_dword v1, off, s[40:43], 0 offset:516 ; 4-byte Folded Spill
	buffer_store_dword v2, off, s[40:43], 0 offset:520 ; 4-byte Folded Spill
	buffer_store_dword v3, off, s[40:43], 0 offset:524 ; 4-byte Folded Spill
	buffer_store_dword v4, off, s[40:43], 0 offset:528 ; 4-byte Folded Spill
	buffer_store_dword v5, off, s[40:43], 0 offset:532 ; 4-byte Folded Spill
	buffer_store_dword v6, off, s[40:43], 0 offset:536 ; 4-byte Folded Spill
	buffer_store_dword v7, off, s[40:43], 0 offset:540 ; 4-byte Folded Spill
	buffer_store_dword v8, off, s[40:43], 0 offset:544 ; 4-byte Folded Spill
	buffer_store_dword v9, off, s[40:43], 0 offset:548 ; 4-byte Folded Spill
	buffer_store_dword v10, off, s[40:43], 0 offset:552 ; 4-byte Folded Spill
	buffer_store_dword v11, off, s[40:43], 0 offset:556 ; 4-byte Folded Spill
	buffer_store_dword v12, off, s[40:43], 0 offset:560 ; 4-byte Folded Spill
	buffer_store_dword v13, off, s[40:43], 0 offset:564 ; 4-byte Folded Spill
	buffer_store_dword v14, off, s[40:43], 0 offset:568 ; 4-byte Folded Spill
	buffer_store_dword v15, off, s[40:43], 0 offset:572 ; 4-byte Folded Spill
	buffer_store_dword v16, off, s[40:43], 0 offset:576 ; 4-byte Folded Spill
	buffer_store_dword v17, off, s[40:43], 0 offset:580 ; 4-byte Folded Spill
	buffer_store_dword v18, off, s[40:43], 0 offset:584 ; 4-byte Folded Spill
	buffer_store_dword v19, off, s[40:43], 0 offset:588 ; 4-byte Folded Spill
	buffer_store_dword v20, off, s[40:43], 0 offset:592 ; 4-byte Folded Spill
	buffer_store_dword v21, off, s[40:43], 0 offset:596 ; 4-byte Folded Spill
	buffer_store_dword v22, off, s[40:43], 0 offset:600 ; 4-byte Folded Spill
	buffer_store_dword v23, off, s[40:43], 0 offset:604 ; 4-byte Folded Spill
	buffer_store_dword v24, off, s[40:43], 0 offset:608 ; 4-byte Folded Spill
	buffer_store_dword v25, off, s[40:43], 0 offset:612 ; 4-byte Folded Spill
	buffer_store_dword v26, off, s[40:43], 0 offset:616 ; 4-byte Folded Spill
	buffer_store_dword v27, off, s[40:43], 0 offset:620 ; 4-byte Folded Spill
	buffer_store_dword v28, off, s[40:43], 0 offset:624 ; 4-byte Folded Spill
	buffer_store_dword v29, off, s[40:43], 0 offset:628 ; 4-byte Folded Spill
	buffer_store_dword v30, off, s[40:43], 0 offset:632 ; 4-byte Folded Spill
	buffer_store_dword v31, off, s[40:43], 0 offset:636 ; 4-byte Folded Spill
	v_cvt_f32_f16_sdwa v19, v35 dst_sel:DWORD dst_unused:UNUSED_PAD src0_sel:WORD_1
	v_cvt_f32_f16_e32 v18, v35
	buffer_store_dword v0, off, s[40:43], 0 offset:384 ; 4-byte Folded Spill
	s_nop 0
	buffer_store_dword v1, off, s[40:43], 0 offset:388 ; 4-byte Folded Spill
	buffer_store_dword v2, off, s[40:43], 0 offset:392 ; 4-byte Folded Spill
	buffer_store_dword v3, off, s[40:43], 0 offset:396 ; 4-byte Folded Spill
	buffer_store_dword v4, off, s[40:43], 0 offset:400 ; 4-byte Folded Spill
	buffer_store_dword v5, off, s[40:43], 0 offset:404 ; 4-byte Folded Spill
	buffer_store_dword v6, off, s[40:43], 0 offset:408 ; 4-byte Folded Spill
	buffer_store_dword v7, off, s[40:43], 0 offset:412 ; 4-byte Folded Spill
	buffer_store_dword v8, off, s[40:43], 0 offset:416 ; 4-byte Folded Spill
	buffer_store_dword v9, off, s[40:43], 0 offset:420 ; 4-byte Folded Spill
	buffer_store_dword v10, off, s[40:43], 0 offset:424 ; 4-byte Folded Spill
	buffer_store_dword v11, off, s[40:43], 0 offset:428 ; 4-byte Folded Spill
	buffer_store_dword v12, off, s[40:43], 0 offset:432 ; 4-byte Folded Spill
	buffer_store_dword v13, off, s[40:43], 0 offset:436 ; 4-byte Folded Spill
	buffer_store_dword v14, off, s[40:43], 0 offset:440 ; 4-byte Folded Spill
	buffer_store_dword v15, off, s[40:43], 0 offset:444 ; 4-byte Folded Spill
	buffer_store_dword v16, off, s[40:43], 0 offset:448 ; 4-byte Folded Spill
	buffer_store_dword v17, off, s[40:43], 0 offset:452 ; 4-byte Folded Spill
	buffer_store_dword v18, off, s[40:43], 0 offset:456 ; 4-byte Folded Spill
	buffer_store_dword v19, off, s[40:43], 0 offset:460 ; 4-byte Folded Spill
	buffer_store_dword v20, off, s[40:43], 0 offset:464 ; 4-byte Folded Spill
	buffer_store_dword v21, off, s[40:43], 0 offset:468 ; 4-byte Folded Spill
	buffer_store_dword v22, off, s[40:43], 0 offset:472 ; 4-byte Folded Spill
	buffer_store_dword v23, off, s[40:43], 0 offset:476 ; 4-byte Folded Spill
	buffer_store_dword v24, off, s[40:43], 0 offset:480 ; 4-byte Folded Spill
	buffer_store_dword v25, off, s[40:43], 0 offset:484 ; 4-byte Folded Spill
	buffer_store_dword v26, off, s[40:43], 0 offset:488 ; 4-byte Folded Spill
	buffer_store_dword v27, off, s[40:43], 0 offset:492 ; 4-byte Folded Spill
	buffer_store_dword v28, off, s[40:43], 0 offset:496 ; 4-byte Folded Spill
	buffer_store_dword v29, off, s[40:43], 0 offset:500 ; 4-byte Folded Spill
	buffer_store_dword v30, off, s[40:43], 0 offset:504 ; 4-byte Folded Spill
	buffer_store_dword v31, off, s[40:43], 0 offset:508 ; 4-byte Folded Spill
	v_cvt_f32_f16_sdwa v21, v36 dst_sel:DWORD dst_unused:UNUSED_PAD src0_sel:WORD_1
	v_cvt_f32_f16_e32 v20, v36
	buffer_store_dword v0, off, s[40:43], 0 ; 4-byte Folded Spill
	s_nop 0
	buffer_store_dword v1, off, s[40:43], 0 offset:4 ; 4-byte Folded Spill
	buffer_store_dword v2, off, s[40:43], 0 offset:8 ; 4-byte Folded Spill
	;; [unrolled: 1-line block ×31, first 2 shown]
.LBB69_6:
	s_or_b64 exec, exec, s[2:3]
	s_cbranch_execz .LBB69_8
	s_branch .LBB69_11
.LBB69_7:
                                        ; implicit-def: $vgpr38_vgpr39_vgpr40_vgpr41_vgpr42_vgpr43_vgpr44_vgpr45_vgpr46_vgpr47_vgpr48_vgpr49_vgpr50_vgpr51_vgpr52_vgpr53_vgpr54_vgpr55_vgpr56_vgpr57_vgpr58_vgpr59_vgpr60_vgpr61_vgpr62_vgpr63_vgpr64_vgpr65_vgpr66_vgpr67_vgpr68_vgpr69
                                        ; kill: killed $vgpr38_vgpr39_vgpr40_vgpr41_vgpr42_vgpr43_vgpr44_vgpr45_vgpr46_vgpr47_vgpr48_vgpr49_vgpr50_vgpr51_vgpr52_vgpr53_vgpr54_vgpr55_vgpr56_vgpr57_vgpr58_vgpr59_vgpr60_vgpr61_vgpr62_vgpr63_vgpr64_vgpr65_vgpr66_vgpr67_vgpr68_vgpr69
                                        ; implicit-def: $vgpr38_vgpr39_vgpr40_vgpr41_vgpr42_vgpr43_vgpr44_vgpr45_vgpr46_vgpr47_vgpr48_vgpr49_vgpr50_vgpr51_vgpr52_vgpr53_vgpr54_vgpr55_vgpr56_vgpr57_vgpr58_vgpr59_vgpr60_vgpr61_vgpr62_vgpr63_vgpr64_vgpr65_vgpr66_vgpr67_vgpr68_vgpr69
                                        ; kill: killed $vgpr38_vgpr39_vgpr40_vgpr41_vgpr42_vgpr43_vgpr44_vgpr45_vgpr46_vgpr47_vgpr48_vgpr49_vgpr50_vgpr51_vgpr52_vgpr53_vgpr54_vgpr55_vgpr56_vgpr57_vgpr58_vgpr59_vgpr60_vgpr61_vgpr62_vgpr63_vgpr64_vgpr65_vgpr66_vgpr67_vgpr68_vgpr69
                                        ; implicit-def: $vgpr121
                                        ; implicit-def: $vgpr2_vgpr3_vgpr4_vgpr5_vgpr6_vgpr7_vgpr8_vgpr9_vgpr10_vgpr11_vgpr12_vgpr13_vgpr14_vgpr15_vgpr16_vgpr17_vgpr18_vgpr19_vgpr20_vgpr21_vgpr22_vgpr23_vgpr24_vgpr25_vgpr26_vgpr27_vgpr28_vgpr29_vgpr30_vgpr31_vgpr32_vgpr33
                                        ; implicit-def: $vgpr72_vgpr73_vgpr74_vgpr75_vgpr76_vgpr77_vgpr78_vgpr79_vgpr80_vgpr81_vgpr82_vgpr83_vgpr84_vgpr85_vgpr86_vgpr87_vgpr88_vgpr89_vgpr90_vgpr91_vgpr92_vgpr93_vgpr94_vgpr95_vgpr96_vgpr97_vgpr98_vgpr99_vgpr100_vgpr101_vgpr102_vgpr103
                                        ; implicit-def: $vgpr38_vgpr39_vgpr40_vgpr41_vgpr42_vgpr43_vgpr44_vgpr45_vgpr46_vgpr47_vgpr48_vgpr49_vgpr50_vgpr51_vgpr52_vgpr53_vgpr54_vgpr55_vgpr56_vgpr57_vgpr58_vgpr59_vgpr60_vgpr61_vgpr62_vgpr63_vgpr64_vgpr65_vgpr66_vgpr67_vgpr68_vgpr69
                                        ; kill: killed $vgpr38_vgpr39_vgpr40_vgpr41_vgpr42_vgpr43_vgpr44_vgpr45_vgpr46_vgpr47_vgpr48_vgpr49_vgpr50_vgpr51_vgpr52_vgpr53_vgpr54_vgpr55_vgpr56_vgpr57_vgpr58_vgpr59_vgpr60_vgpr61_vgpr62_vgpr63_vgpr64_vgpr65_vgpr66_vgpr67_vgpr68_vgpr69
                                        ; implicit-def: $vgpr38_vgpr39_vgpr40_vgpr41_vgpr42_vgpr43_vgpr44_vgpr45_vgpr46_vgpr47_vgpr48_vgpr49_vgpr50_vgpr51_vgpr52_vgpr53_vgpr54_vgpr55_vgpr56_vgpr57_vgpr58_vgpr59_vgpr60_vgpr61_vgpr62_vgpr63_vgpr64_vgpr65_vgpr66_vgpr67_vgpr68_vgpr69
                                        ; kill: killed $vgpr38_vgpr39_vgpr40_vgpr41_vgpr42_vgpr43_vgpr44_vgpr45_vgpr46_vgpr47_vgpr48_vgpr49_vgpr50_vgpr51_vgpr52_vgpr53_vgpr54_vgpr55_vgpr56_vgpr57_vgpr58_vgpr59_vgpr60_vgpr61_vgpr62_vgpr63_vgpr64_vgpr65_vgpr66_vgpr67_vgpr68_vgpr69
                                        ; implicit-def: $vgpr38_vgpr39_vgpr40_vgpr41_vgpr42_vgpr43_vgpr44_vgpr45_vgpr46_vgpr47_vgpr48_vgpr49_vgpr50_vgpr51_vgpr52_vgpr53_vgpr54_vgpr55_vgpr56_vgpr57_vgpr58_vgpr59_vgpr60_vgpr61_vgpr62_vgpr63_vgpr64_vgpr65_vgpr66_vgpr67_vgpr68_vgpr69
                                        ; kill: killed $vgpr38_vgpr39_vgpr40_vgpr41_vgpr42_vgpr43_vgpr44_vgpr45_vgpr46_vgpr47_vgpr48_vgpr49_vgpr50_vgpr51_vgpr52_vgpr53_vgpr54_vgpr55_vgpr56_vgpr57_vgpr58_vgpr59_vgpr60_vgpr61_vgpr62_vgpr63_vgpr64_vgpr65_vgpr66_vgpr67_vgpr68_vgpr69
                                        ; implicit-def: $vgpr38_vgpr39_vgpr40_vgpr41_vgpr42_vgpr43_vgpr44_vgpr45_vgpr46_vgpr47_vgpr48_vgpr49_vgpr50_vgpr51_vgpr52_vgpr53_vgpr54_vgpr55_vgpr56_vgpr57_vgpr58_vgpr59_vgpr60_vgpr61_vgpr62_vgpr63_vgpr64_vgpr65_vgpr66_vgpr67_vgpr68_vgpr69
                                        ; kill: killed $vgpr38_vgpr39_vgpr40_vgpr41_vgpr42_vgpr43_vgpr44_vgpr45_vgpr46_vgpr47_vgpr48_vgpr49_vgpr50_vgpr51_vgpr52_vgpr53_vgpr54_vgpr55_vgpr56_vgpr57_vgpr58_vgpr59_vgpr60_vgpr61_vgpr62_vgpr63_vgpr64_vgpr65_vgpr66_vgpr67_vgpr68_vgpr69
                                        ; implicit-def: $vgpr38_vgpr39_vgpr40_vgpr41_vgpr42_vgpr43_vgpr44_vgpr45_vgpr46_vgpr47_vgpr48_vgpr49_vgpr50_vgpr51_vgpr52_vgpr53_vgpr54_vgpr55_vgpr56_vgpr57_vgpr58_vgpr59_vgpr60_vgpr61_vgpr62_vgpr63_vgpr64_vgpr65_vgpr66_vgpr67_vgpr68_vgpr69
                                        ; kill: killed $vgpr38_vgpr39_vgpr40_vgpr41_vgpr42_vgpr43_vgpr44_vgpr45_vgpr46_vgpr47_vgpr48_vgpr49_vgpr50_vgpr51_vgpr52_vgpr53_vgpr54_vgpr55_vgpr56_vgpr57_vgpr58_vgpr59_vgpr60_vgpr61_vgpr62_vgpr63_vgpr64_vgpr65_vgpr66_vgpr67_vgpr68_vgpr69
                                        ; implicit-def: $vgpr38_vgpr39_vgpr40_vgpr41_vgpr42_vgpr43_vgpr44_vgpr45_vgpr46_vgpr47_vgpr48_vgpr49_vgpr50_vgpr51_vgpr52_vgpr53_vgpr54_vgpr55_vgpr56_vgpr57_vgpr58_vgpr59_vgpr60_vgpr61_vgpr62_vgpr63_vgpr64_vgpr65_vgpr66_vgpr67_vgpr68_vgpr69
                                        ; kill: killed $vgpr38_vgpr39_vgpr40_vgpr41_vgpr42_vgpr43_vgpr44_vgpr45_vgpr46_vgpr47_vgpr48_vgpr49_vgpr50_vgpr51_vgpr52_vgpr53_vgpr54_vgpr55_vgpr56_vgpr57_vgpr58_vgpr59_vgpr60_vgpr61_vgpr62_vgpr63_vgpr64_vgpr65_vgpr66_vgpr67_vgpr68_vgpr69
                                        ; implicit-def: $vgpr38_vgpr39_vgpr40_vgpr41_vgpr42_vgpr43_vgpr44_vgpr45_vgpr46_vgpr47_vgpr48_vgpr49_vgpr50_vgpr51_vgpr52_vgpr53_vgpr54_vgpr55_vgpr56_vgpr57_vgpr58_vgpr59_vgpr60_vgpr61_vgpr62_vgpr63_vgpr64_vgpr65_vgpr66_vgpr67_vgpr68_vgpr69
                                        ; kill: killed $vgpr38_vgpr39_vgpr40_vgpr41_vgpr42_vgpr43_vgpr44_vgpr45_vgpr46_vgpr47_vgpr48_vgpr49_vgpr50_vgpr51_vgpr52_vgpr53_vgpr54_vgpr55_vgpr56_vgpr57_vgpr58_vgpr59_vgpr60_vgpr61_vgpr62_vgpr63_vgpr64_vgpr65_vgpr66_vgpr67_vgpr68_vgpr69
.LBB69_8:
	v_mov_b32_e32 v21, 0
	v_mov_b32_e32 v20, 0
	buffer_store_dword v0, off, s[40:43], 0 ; 4-byte Folded Spill
	s_nop 0
	buffer_store_dword v1, off, s[40:43], 0 offset:4 ; 4-byte Folded Spill
	buffer_store_dword v2, off, s[40:43], 0 offset:8 ; 4-byte Folded Spill
	;; [unrolled: 1-line block ×31, first 2 shown]
	v_mov_b32_e32 v19, 0
	v_mov_b32_e32 v18, 0
	;; [unrolled: 1-line block ×6, first 2 shown]
	buffer_store_dword v0, off, s[40:43], 0 offset:384 ; 4-byte Folded Spill
	s_nop 0
	buffer_store_dword v1, off, s[40:43], 0 offset:388 ; 4-byte Folded Spill
	buffer_store_dword v2, off, s[40:43], 0 offset:392 ; 4-byte Folded Spill
	buffer_store_dword v3, off, s[40:43], 0 offset:396 ; 4-byte Folded Spill
	buffer_store_dword v4, off, s[40:43], 0 offset:400 ; 4-byte Folded Spill
	buffer_store_dword v5, off, s[40:43], 0 offset:404 ; 4-byte Folded Spill
	buffer_store_dword v6, off, s[40:43], 0 offset:408 ; 4-byte Folded Spill
	buffer_store_dword v7, off, s[40:43], 0 offset:412 ; 4-byte Folded Spill
	buffer_store_dword v8, off, s[40:43], 0 offset:416 ; 4-byte Folded Spill
	buffer_store_dword v9, off, s[40:43], 0 offset:420 ; 4-byte Folded Spill
	buffer_store_dword v10, off, s[40:43], 0 offset:424 ; 4-byte Folded Spill
	buffer_store_dword v11, off, s[40:43], 0 offset:428 ; 4-byte Folded Spill
	buffer_store_dword v12, off, s[40:43], 0 offset:432 ; 4-byte Folded Spill
	buffer_store_dword v13, off, s[40:43], 0 offset:436 ; 4-byte Folded Spill
	buffer_store_dword v14, off, s[40:43], 0 offset:440 ; 4-byte Folded Spill
	buffer_store_dword v15, off, s[40:43], 0 offset:444 ; 4-byte Folded Spill
	buffer_store_dword v16, off, s[40:43], 0 offset:448 ; 4-byte Folded Spill
	buffer_store_dword v17, off, s[40:43], 0 offset:452 ; 4-byte Folded Spill
	buffer_store_dword v18, off, s[40:43], 0 offset:456 ; 4-byte Folded Spill
	buffer_store_dword v19, off, s[40:43], 0 offset:460 ; 4-byte Folded Spill
	buffer_store_dword v20, off, s[40:43], 0 offset:464 ; 4-byte Folded Spill
	buffer_store_dword v21, off, s[40:43], 0 offset:468 ; 4-byte Folded Spill
	buffer_store_dword v22, off, s[40:43], 0 offset:472 ; 4-byte Folded Spill
	buffer_store_dword v23, off, s[40:43], 0 offset:476 ; 4-byte Folded Spill
	buffer_store_dword v24, off, s[40:43], 0 offset:480 ; 4-byte Folded Spill
	buffer_store_dword v25, off, s[40:43], 0 offset:484 ; 4-byte Folded Spill
	buffer_store_dword v26, off, s[40:43], 0 offset:488 ; 4-byte Folded Spill
	buffer_store_dword v27, off, s[40:43], 0 offset:492 ; 4-byte Folded Spill
	buffer_store_dword v28, off, s[40:43], 0 offset:496 ; 4-byte Folded Spill
	buffer_store_dword v29, off, s[40:43], 0 offset:500 ; 4-byte Folded Spill
	buffer_store_dword v30, off, s[40:43], 0 offset:504 ; 4-byte Folded Spill
	buffer_store_dword v31, off, s[40:43], 0 offset:508 ; 4-byte Folded Spill
	v_mov_b32_e32 v17, 0
	v_mov_b32_e32 v16, 0
	buffer_store_dword v0, off, s[40:43], 0 offset:512 ; 4-byte Folded Spill
	s_nop 0
	buffer_store_dword v1, off, s[40:43], 0 offset:516 ; 4-byte Folded Spill
	buffer_store_dword v2, off, s[40:43], 0 offset:520 ; 4-byte Folded Spill
	buffer_store_dword v3, off, s[40:43], 0 offset:524 ; 4-byte Folded Spill
	buffer_store_dword v4, off, s[40:43], 0 offset:528 ; 4-byte Folded Spill
	buffer_store_dword v5, off, s[40:43], 0 offset:532 ; 4-byte Folded Spill
	buffer_store_dword v6, off, s[40:43], 0 offset:536 ; 4-byte Folded Spill
	buffer_store_dword v7, off, s[40:43], 0 offset:540 ; 4-byte Folded Spill
	buffer_store_dword v8, off, s[40:43], 0 offset:544 ; 4-byte Folded Spill
	buffer_store_dword v9, off, s[40:43], 0 offset:548 ; 4-byte Folded Spill
	buffer_store_dword v10, off, s[40:43], 0 offset:552 ; 4-byte Folded Spill
	buffer_store_dword v11, off, s[40:43], 0 offset:556 ; 4-byte Folded Spill
	buffer_store_dword v12, off, s[40:43], 0 offset:560 ; 4-byte Folded Spill
	buffer_store_dword v13, off, s[40:43], 0 offset:564 ; 4-byte Folded Spill
	buffer_store_dword v14, off, s[40:43], 0 offset:568 ; 4-byte Folded Spill
	buffer_store_dword v15, off, s[40:43], 0 offset:572 ; 4-byte Folded Spill
	buffer_store_dword v16, off, s[40:43], 0 offset:576 ; 4-byte Folded Spill
	buffer_store_dword v17, off, s[40:43], 0 offset:580 ; 4-byte Folded Spill
	buffer_store_dword v18, off, s[40:43], 0 offset:584 ; 4-byte Folded Spill
	buffer_store_dword v19, off, s[40:43], 0 offset:588 ; 4-byte Folded Spill
	buffer_store_dword v20, off, s[40:43], 0 offset:592 ; 4-byte Folded Spill
	buffer_store_dword v21, off, s[40:43], 0 offset:596 ; 4-byte Folded Spill
	buffer_store_dword v22, off, s[40:43], 0 offset:600 ; 4-byte Folded Spill
	buffer_store_dword v23, off, s[40:43], 0 offset:604 ; 4-byte Folded Spill
	buffer_store_dword v24, off, s[40:43], 0 offset:608 ; 4-byte Folded Spill
	buffer_store_dword v25, off, s[40:43], 0 offset:612 ; 4-byte Folded Spill
	buffer_store_dword v26, off, s[40:43], 0 offset:616 ; 4-byte Folded Spill
	buffer_store_dword v27, off, s[40:43], 0 offset:620 ; 4-byte Folded Spill
	buffer_store_dword v28, off, s[40:43], 0 offset:624 ; 4-byte Folded Spill
	buffer_store_dword v29, off, s[40:43], 0 offset:628 ; 4-byte Folded Spill
	buffer_store_dword v30, off, s[40:43], 0 offset:632 ; 4-byte Folded Spill
	buffer_store_dword v31, off, s[40:43], 0 offset:636 ; 4-byte Folded Spill
	v_mov_b32_e32 v15, 0
	v_mov_b32_e32 v14, 0
	;; [unrolled: 35-line block ×8, first 2 shown]
	s_and_saveexec_b64 s[2:3], s[0:1]
	s_cbranch_execz .LBB69_10
; %bb.9:
	s_load_dwordx2 s[24:25], s[4:5], 0x38
	s_load_dwordx2 s[36:37], s[4:5], 0x20
	s_mul_hi_i32 s31, s19, s6
	s_mul_i32 s30, s19, s6
	s_lshl_b64 s[30:31], s[30:31], 1
	s_waitcnt lgkmcnt(0)
	s_add_u32 s24, s24, s30
	s_addc_u32 s14, s25, s31
	s_mov_b32 s27, 0x20000
	s_and_b32 s25, s14, 0xffff
	v_lshlrev_b32_e32 v52, 1, v1
	s_movk_i32 s14, 0x400
	s_movk_i32 s17, 0x800
	buffer_load_dwordx4 v[6:9], v52, s[24:27], s14 offen glc slc
	buffer_load_dwordx4 v[10:13], v52, s[24:27], s17 offen glc slc
	;; [unrolled: 1-line block ×3, first 2 shown]
	s_waitcnt vmcnt(62)
	v_cvt_f32_f16_sdwa v29, v36 dst_sel:DWORD dst_unused:UNUSED_PAD src0_sel:WORD_1
	v_cvt_f32_f16_e32 v28, v36
	v_cvt_f32_f16_sdwa v31, v37 dst_sel:DWORD dst_unused:UNUSED_PAD src0_sel:WORD_1
	v_cvt_f32_f16_e32 v30, v37
	;; [unrolled: 2-line block ×12, first 2 shown]
	s_mul_hi_i32 s25, s29, s6
	s_mul_i32 s24, s29, s6
	s_lshl_b64 s[24:25], s[24:25], 1
	s_add_u32 s24, s36, s24
	s_addc_u32 s19, s37, s25
	s_and_b32 s25, s19, 0xffff
	s_waitcnt vmcnt(1)
	v_cvt_f32_f16_e32 v46, v10
	v_cvt_f32_f16_e32 v42, v8
	v_cvt_f32_f16_sdwa v43, v8 dst_sel:DWORD dst_unused:UNUSED_PAD src0_sel:WORD_1
	v_cvt_f32_f16_e32 v44, v9
	v_cvt_f32_f16_sdwa v45, v9 dst_sel:DWORD dst_unused:UNUSED_PAD src0_sel:WORD_1
	s_waitcnt vmcnt(0)
	v_cvt_f32_f16_e32 v8, v16
	v_cvt_f32_f16_sdwa v9, v16 dst_sel:DWORD dst_unused:UNUSED_PAD src0_sel:WORD_1
	v_cvt_f32_f16_e32 v16, v17
	v_cvt_f32_f16_sdwa v17, v17 dst_sel:DWORD dst_unused:UNUSED_PAD src0_sel:WORD_1
	;; [unrolled: 2-line block ×4, first 2 shown]
	v_cvt_f32_f16_sdwa v47, v10 dst_sel:DWORD dst_unused:UNUSED_PAD src0_sel:WORD_1
	v_cvt_f32_f16_e32 v10, v11
	v_cvt_f32_f16_sdwa v11, v11 dst_sel:DWORD dst_unused:UNUSED_PAD src0_sel:WORD_1
	v_cvt_f32_f16_e32 v50, v12
	;; [unrolled: 2-line block ×5, first 2 shown]
	v_cvt_f32_f16_sdwa v7, v15 dst_sel:DWORD dst_unused:UNUSED_PAD src0_sel:WORD_1
	v_pk_add_f32 v[14:15], v[36:37], v[16:17]
	v_pk_add_f32 v[34:35], v[34:35], v[8:9]
	v_pk_mov_b32 v[16:17], v[14:15], v[14:15] op_sel:[0,1]
	v_cvt_f16_f32_e32 v8, v35
	v_cvt_f16_f32_e32 v9, v15
	buffer_store_dword v10, off, s[40:43], 0 offset:768 ; 4-byte Folded Spill
	s_nop 0
	buffer_store_dword v11, off, s[40:43], 0 offset:772 ; 4-byte Folded Spill
	buffer_store_dword v12, off, s[40:43], 0 offset:776 ; 4-byte Folded Spill
	;; [unrolled: 1-line block ×31, first 2 shown]
	v_pk_add_f32 v[2:3], v[2:3], v[48:49]
	v_cvt_f16_f32_e32 v14, v14
	v_pk_mov_b32 v[16:17], v[34:35], v[34:35] op_sel:[0,1]
	buffer_store_dword v12, off, s[40:43], 0 offset:896 ; 4-byte Folded Spill
	s_nop 0
	buffer_store_dword v13, off, s[40:43], 0 offset:900 ; 4-byte Folded Spill
	buffer_store_dword v14, off, s[40:43], 0 offset:904 ; 4-byte Folded Spill
	;; [unrolled: 1-line block ×31, first 2 shown]
	v_pk_add_f32 v[74:75], v[32:33], v[6:7]
	v_cvt_f16_f32_e32 v6, v75
	v_cvt_f16_f32_e32 v7, v74
	;; [unrolled: 1-line block ×3, first 2 shown]
	v_pack_b32_f16 v9, v14, v9
	v_cvt_f16_f32_e32 v14, v2
	v_pack_b32_f16 v7, v7, v6
	v_cvt_f16_f32_e32 v6, v3
	v_pack_b32_f16 v8, v15, v8
	v_pk_add_f32 v[22:23], v[22:23], v[42:43]
	v_pack_b32_f16 v6, v14, v6
	v_pk_add_f32 v[14:15], v[24:25], v[44:45]
	buffer_store_dwordx4 v[6:9], v52, s[24:27], 0 offen glc slc
	v_pk_mov_b32 v[16:17], v[14:15], v[14:15] op_sel:[0,1]
	v_cvt_f16_f32_e32 v6, v22
	v_cvt_f16_f32_e32 v7, v14
	buffer_store_dword v2, off, s[40:43], 0 offset:128 ; 4-byte Folded Spill
	s_nop 0
	buffer_store_dword v3, off, s[40:43], 0 offset:132 ; 4-byte Folded Spill
	buffer_store_dword v4, off, s[40:43], 0 offset:136 ; 4-byte Folded Spill
	;; [unrolled: 1-line block ×31, first 2 shown]
	v_cvt_f16_f32_e32 v8, v15
	v_pk_mov_b32 v[14:15], v[22:23], v[22:23] op_sel:[0,1]
	buffer_store_dword v2, off, s[40:43], 0 offset:256 ; 4-byte Folded Spill
	s_nop 0
	buffer_store_dword v3, off, s[40:43], 0 offset:260 ; 4-byte Folded Spill
	buffer_store_dword v4, off, s[40:43], 0 offset:264 ; 4-byte Folded Spill
	;; [unrolled: 1-line block ×31, first 2 shown]
	v_cvt_f16_f32_e32 v14, v23
	v_pack_b32_f16 v9, v7, v8
	v_pack_b32_f16 v8, v6, v14
	v_pk_add_f32 v[14:15], v[20:21], v[40:41]
	v_cvt_f16_f32_e32 v6, v14
	v_pk_mov_b32 v[16:17], v[14:15], v[14:15] op_sel:[0,1]
	buffer_store_dword v6, off, s[40:43], 0 offset:640 ; 4-byte Folded Spill
	s_nop 0
	buffer_store_dword v7, off, s[40:43], 0 offset:644 ; 4-byte Folded Spill
	buffer_store_dword v8, off, s[40:43], 0 offset:648 ; 4-byte Folded Spill
	;; [unrolled: 1-line block ×31, first 2 shown]
	v_cvt_f16_f32_e32 v7, v15
	v_pk_add_f32 v[14:15], v[18:19], v[38:39]
	v_pk_mov_b32 v[16:17], v[14:15], v[14:15] op_sel:[0,1]
	v_pack_b32_f16 v7, v6, v7
	v_cvt_f16_f32_e32 v6, v14
	buffer_store_dword v8, off, s[40:43], 0 offset:1024 ; 4-byte Folded Spill
	s_nop 0
	buffer_store_dword v9, off, s[40:43], 0 offset:1028 ; 4-byte Folded Spill
	buffer_store_dword v10, off, s[40:43], 0 offset:1032 ; 4-byte Folded Spill
	;; [unrolled: 1-line block ×31, first 2 shown]
	;;#ASMSTART
	s_nop 0
	;;#ASMEND
	v_cvt_f16_f32_e32 v14, v15
	v_pk_add_f32 v[120:121], v[30:31], v[12:13]
	v_pk_add_f32 v[20:21], v[28:29], v[50:51]
	v_pk_mov_b32 v[22:23], v[20:21], v[20:21] op_sel:[0,1]
	v_pack_b32_f16 v6, v6, v14
	buffer_store_dwordx4 v[6:9], v52, s[24:27], s14 offen glc slc
	v_cvt_f16_f32_e32 v6, v20
	v_cvt_f16_f32_e32 v7, v120
	;; [unrolled: 1-line block ×3, first 2 shown]
	buffer_store_dword v2, off, s[40:43], 0 ; 4-byte Folded Spill
	s_nop 0
	buffer_store_dword v3, off, s[40:43], 0 offset:4 ; 4-byte Folded Spill
	buffer_store_dword v4, off, s[40:43], 0 offset:8 ; 4-byte Folded Spill
	;; [unrolled: 1-line block ×31, first 2 shown]
	v_cvt_f16_f32_e32 v12, v21
	v_pk_add_f32 v[18:19], v[26:27], v[10:11]
	v_pack_b32_f16 v9, v7, v8
	v_pk_mov_b32 v[20:21], v[18:19], v[18:19] op_sel:[0,1]
	v_pack_b32_f16 v8, v6, v12
	v_cvt_f16_f32_e32 v6, v18
	buffer_store_dword v2, off, s[40:43], 0 offset:384 ; 4-byte Folded Spill
	s_nop 0
	buffer_store_dword v3, off, s[40:43], 0 offset:388 ; 4-byte Folded Spill
	buffer_store_dword v4, off, s[40:43], 0 offset:392 ; 4-byte Folded Spill
	;; [unrolled: 1-line block ×31, first 2 shown]
	v_cvt_f16_f32_e32 v7, v19
	v_pk_add_f32 v[16:17], v[4:5], v[46:47]
	v_cvt_f16_f32_e32 v4, v16
	v_pk_mov_b32 v[18:19], v[16:17], v[16:17] op_sel:[0,1]
	v_pack_b32_f16 v7, v6, v7
	buffer_store_dword v2, off, s[40:43], 0 offset:512 ; 4-byte Folded Spill
	s_nop 0
	buffer_store_dword v3, off, s[40:43], 0 offset:516 ; 4-byte Folded Spill
	buffer_store_dword v4, off, s[40:43], 0 offset:520 ; 4-byte Folded Spill
	;; [unrolled: 1-line block ×31, first 2 shown]
	;;#ASMSTART
	s_nop 0
	;;#ASMEND
	v_cvt_f16_f32_e32 v5, v17
	v_pack_b32_f16 v6, v4, v5
	buffer_store_dwordx4 v[6:9], v52, s[24:27], s17 offen glc slc
	;;#ASMSTART
	s_nop 0
	;;#ASMEND
.LBB69_10:
	s_or_b64 exec, exec, s[2:3]
.LBB69_11:
	buffer_load_dword v6, off, s[40:43], 0 offset:896 ; 4-byte Folded Reload
	buffer_load_dword v7, off, s[40:43], 0 offset:900 ; 4-byte Folded Reload
	;; [unrolled: 1-line block ×32, first 2 shown]
	v_mul_f32_e32 v4, v3, v3
	v_fmac_f32_e32 v4, v2, v2
	v_fmac_f32_e32 v4, v74, v74
	;; [unrolled: 1-line block ×3, first 2 shown]
	s_waitcnt vmcnt(26)
	v_pk_mov_b32 v[6:7], v[10:11], v[10:11] op_sel:[0,1]
	v_fmac_f32_e32 v4, v6, v6
	v_fmac_f32_e32 v4, v7, v7
	buffer_load_dword v6, off, s[40:43], 0 offset:768 ; 4-byte Folded Reload
	buffer_load_dword v7, off, s[40:43], 0 offset:772 ; 4-byte Folded Reload
	buffer_load_dword v8, off, s[40:43], 0 offset:776 ; 4-byte Folded Reload
	buffer_load_dword v9, off, s[40:43], 0 offset:780 ; 4-byte Folded Reload
	buffer_load_dword v10, off, s[40:43], 0 offset:784 ; 4-byte Folded Reload
	buffer_load_dword v11, off, s[40:43], 0 offset:788 ; 4-byte Folded Reload
	buffer_load_dword v12, off, s[40:43], 0 offset:792 ; 4-byte Folded Reload
	buffer_load_dword v13, off, s[40:43], 0 offset:796 ; 4-byte Folded Reload
	buffer_load_dword v14, off, s[40:43], 0 offset:800 ; 4-byte Folded Reload
	buffer_load_dword v15, off, s[40:43], 0 offset:804 ; 4-byte Folded Reload
	buffer_load_dword v16, off, s[40:43], 0 offset:808 ; 4-byte Folded Reload
	buffer_load_dword v17, off, s[40:43], 0 offset:812 ; 4-byte Folded Reload
	buffer_load_dword v18, off, s[40:43], 0 offset:816 ; 4-byte Folded Reload
	buffer_load_dword v19, off, s[40:43], 0 offset:820 ; 4-byte Folded Reload
	buffer_load_dword v20, off, s[40:43], 0 offset:824 ; 4-byte Folded Reload
	buffer_load_dword v21, off, s[40:43], 0 offset:828 ; 4-byte Folded Reload
	buffer_load_dword v22, off, s[40:43], 0 offset:832 ; 4-byte Folded Reload
	buffer_load_dword v23, off, s[40:43], 0 offset:836 ; 4-byte Folded Reload
	buffer_load_dword v24, off, s[40:43], 0 offset:840 ; 4-byte Folded Reload
	buffer_load_dword v25, off, s[40:43], 0 offset:844 ; 4-byte Folded Reload
	buffer_load_dword v26, off, s[40:43], 0 offset:848 ; 4-byte Folded Reload
	buffer_load_dword v27, off, s[40:43], 0 offset:852 ; 4-byte Folded Reload
	buffer_load_dword v28, off, s[40:43], 0 offset:856 ; 4-byte Folded Reload
	buffer_load_dword v29, off, s[40:43], 0 offset:860 ; 4-byte Folded Reload
	buffer_load_dword v30, off, s[40:43], 0 offset:864 ; 4-byte Folded Reload
	buffer_load_dword v31, off, s[40:43], 0 offset:868 ; 4-byte Folded Reload
	buffer_load_dword v32, off, s[40:43], 0 offset:872 ; 4-byte Folded Reload
	buffer_load_dword v33, off, s[40:43], 0 offset:876 ; 4-byte Folded Reload
	buffer_load_dword v34, off, s[40:43], 0 offset:880 ; 4-byte Folded Reload
	buffer_load_dword v35, off, s[40:43], 0 offset:884 ; 4-byte Folded Reload
	buffer_load_dword v36, off, s[40:43], 0 offset:888 ; 4-byte Folded Reload
	buffer_load_dword v37, off, s[40:43], 0 offset:892 ; 4-byte Folded Reload
	s_waitcnt vmcnt(24)
	v_pk_mov_b32 v[6:7], v[12:13], v[12:13] op_sel:[0,1]
	v_fmac_f32_e32 v4, v6, v6
	v_fmac_f32_e32 v4, v7, v7
	buffer_load_dword v6, off, s[40:43], 0 offset:1024 ; 4-byte Folded Reload
	buffer_load_dword v7, off, s[40:43], 0 offset:1028 ; 4-byte Folded Reload
	buffer_load_dword v8, off, s[40:43], 0 offset:1032 ; 4-byte Folded Reload
	buffer_load_dword v9, off, s[40:43], 0 offset:1036 ; 4-byte Folded Reload
	buffer_load_dword v10, off, s[40:43], 0 offset:1040 ; 4-byte Folded Reload
	buffer_load_dword v11, off, s[40:43], 0 offset:1044 ; 4-byte Folded Reload
	buffer_load_dword v12, off, s[40:43], 0 offset:1048 ; 4-byte Folded Reload
	buffer_load_dword v13, off, s[40:43], 0 offset:1052 ; 4-byte Folded Reload
	buffer_load_dword v14, off, s[40:43], 0 offset:1056 ; 4-byte Folded Reload
	buffer_load_dword v15, off, s[40:43], 0 offset:1060 ; 4-byte Folded Reload
	buffer_load_dword v16, off, s[40:43], 0 offset:1064 ; 4-byte Folded Reload
	buffer_load_dword v17, off, s[40:43], 0 offset:1068 ; 4-byte Folded Reload
	buffer_load_dword v18, off, s[40:43], 0 offset:1072 ; 4-byte Folded Reload
	buffer_load_dword v19, off, s[40:43], 0 offset:1076 ; 4-byte Folded Reload
	buffer_load_dword v20, off, s[40:43], 0 offset:1080 ; 4-byte Folded Reload
	buffer_load_dword v21, off, s[40:43], 0 offset:1084 ; 4-byte Folded Reload
	buffer_load_dword v22, off, s[40:43], 0 offset:1088 ; 4-byte Folded Reload
	buffer_load_dword v23, off, s[40:43], 0 offset:1092 ; 4-byte Folded Reload
	buffer_load_dword v24, off, s[40:43], 0 offset:1096 ; 4-byte Folded Reload
	buffer_load_dword v25, off, s[40:43], 0 offset:1100 ; 4-byte Folded Reload
	buffer_load_dword v26, off, s[40:43], 0 offset:1104 ; 4-byte Folded Reload
	buffer_load_dword v27, off, s[40:43], 0 offset:1108 ; 4-byte Folded Reload
	buffer_load_dword v28, off, s[40:43], 0 offset:1112 ; 4-byte Folded Reload
	buffer_load_dword v29, off, s[40:43], 0 offset:1116 ; 4-byte Folded Reload
	buffer_load_dword v30, off, s[40:43], 0 offset:1120 ; 4-byte Folded Reload
	buffer_load_dword v31, off, s[40:43], 0 offset:1124 ; 4-byte Folded Reload
	buffer_load_dword v32, off, s[40:43], 0 offset:1128 ; 4-byte Folded Reload
	buffer_load_dword v33, off, s[40:43], 0 offset:1132 ; 4-byte Folded Reload
	buffer_load_dword v34, off, s[40:43], 0 offset:1136 ; 4-byte Folded Reload
	buffer_load_dword v35, off, s[40:43], 0 offset:1140 ; 4-byte Folded Reload
	buffer_load_dword v36, off, s[40:43], 0 offset:1144 ; 4-byte Folded Reload
	buffer_load_dword v37, off, s[40:43], 0 offset:1148 ; 4-byte Folded Reload
	;; [unrolled: 36-line block ×7, first 2 shown]
	s_waitcnt vmcnt(12)
	v_pk_mov_b32 v[18:19], v[24:25], v[24:25] op_sel:[0,1]
	v_fmac_f32_e32 v4, v18, v18
	v_fmac_f32_e32 v4, v19, v19
	buffer_load_dword v6, off, s[40:43], 0  ; 4-byte Folded Reload
	buffer_load_dword v7, off, s[40:43], 0 offset:4 ; 4-byte Folded Reload
	buffer_load_dword v8, off, s[40:43], 0 offset:8 ; 4-byte Folded Reload
	;; [unrolled: 1-line block ×31, first 2 shown]
	s_waitcnt vmcnt(10)
	v_pk_mov_b32 v[20:21], v[26:27], v[26:27] op_sel:[0,1]
	v_fmac_f32_e32 v4, v20, v20
	v_fmac_f32_e32 v4, v21, v21
	;; [unrolled: 1-line block ×4, first 2 shown]
	s_nop 1
	v_mov_b32_dpp v5, v4 quad_perm:[1,0,3,2] row_mask:0xf bank_mask:0xf
	v_add_f32_e32 v4, v4, v5
	s_nop 1
	v_mov_b32_dpp v5, v4 quad_perm:[2,3,0,1] row_mask:0xf bank_mask:0xf
	v_add_f32_e32 v4, v4, v5
	s_nop 1
	v_mov_b32_dpp v5, v4 row_half_mirror row_mask:0xf bank_mask:0xf
	v_add_f32_e32 v4, v4, v5
	s_nop 1
	v_mov_b32_dpp v5, v4 row_mirror row_mask:0xf bank_mask:0xf
	v_add_f32_e32 v4, v4, v5
	s_nop 1
	v_mov_b32_dpp v5, v4 row_bcast:15 row_mask:0xf bank_mask:0xf
	v_add_f32_e32 v4, v4, v5
	v_and_b32_e32 v5, 63, v0
	v_cmp_eq_u32_e64 s[2:3], 63, v5
	s_nop 0
	v_mov_b32_dpp v5, v4 row_bcast:31 row_mask:0xf bank_mask:0xf
	s_and_saveexec_b64 s[24:25], s[2:3]
	s_cbranch_execz .LBB69_13
; %bb.12:
	v_add_f32_e32 v4, v4, v5
	v_lshrrev_b32_e32 v5, 4, v0
	v_and_b32_e32 v5, 60, v5
	ds_write_b32 v5, v4 offset:32
.LBB69_13:
	s_or_b64 exec, exec, s[24:25]
	v_and_b32_e32 v4, 3, v0
	v_lshlrev_b32_e32 v50, 2, v4
	s_waitcnt lgkmcnt(0)
	s_barrier
	ds_read_b32 v4, v50 offset:32
	s_load_dwordx2 s[30:31], s[4:5], 0x18
	s_waitcnt lgkmcnt(0)
	v_mov_b32_dpp v5, v4 quad_perm:[1,0,3,2] row_mask:0xf bank_mask:0xf
	v_add_f32_e32 v4, v4, v5
	s_nop 1
	v_mov_b32_dpp v5, v4 quad_perm:[2,3,0,1] row_mask:0xf bank_mask:0xf
	s_and_saveexec_b64 s[24:25], s[0:1]
	s_cbranch_execnz .LBB69_18
; %bb.14:
	s_or_b64 exec, exec, s[24:25]
	s_mov_b64 s[8:9], -1
	s_and_b64 vcc, exec, s[22:23]
	s_cbranch_vccnz .LBB69_19
.LBB69_15:
	s_andn2_b64 vcc, exec, s[8:9]
	s_cbranch_vccz .LBB69_22
.LBB69_16:
	s_cmp_lt_i32 s16, 1
	s_cbranch_scc0 .LBB69_31
.LBB69_17:
	s_endpgm
.LBB69_18:
	v_add_f32_e32 v4, v4, v5
	v_cvt_f32_u32_e32 v5, s7
	s_mov_b32 s7, 0x800000
	v_div_scale_f32 v6, s[36:37], v5, v5, v4
	v_rcp_f32_e32 v7, v6
	v_fma_f32 v8, -v6, v7, 1.0
	v_fmac_f32_e32 v7, v8, v7
	v_div_scale_f32 v8, vcc, v4, v5, v4
	v_mul_f32_e32 v9, v8, v7
	v_fma_f32 v10, -v6, v9, v8
	v_fmac_f32_e32 v9, v10, v7
	v_fma_f32 v6, -v6, v9, v8
	v_div_fmas_f32 v6, v6, v7, v9
	v_div_fixup_f32 v4, v6, v5, v4
	v_mov_b32_e32 v5, s13
	v_mov_b32_e32 v6, s12
	v_cndmask_b32_e64 v5, v5, v6, s[8:9]
	v_add_f32_e32 v4, v5, v4
	v_mul_f32_e32 v5, 0x4b800000, v4
	v_cmp_gt_f32_e32 vcc, s7, v4
	v_cndmask_b32_e32 v4, v4, v5, vcc
	v_rsq_f32_e32 v4, v4
	v_mul_f32_e32 v5, 0x45800000, v4
	v_cndmask_b32_e32 v10, v4, v5, vcc
	v_mov_b32_e32 v11, v10
	;;#ASMSTART
	v_pk_mul_f32 v[2:3], v[2:3], v[10:11]
	;;#ASMEND
	;;#ASMSTART
	v_pk_mul_f32 v[4:5], v[74:75], v[10:11]
	;;#ASMEND
	buffer_load_dword v12, off, s[40:43], 0 offset:896 ; 4-byte Folded Reload
	buffer_load_dword v13, off, s[40:43], 0 offset:900 ; 4-byte Folded Reload
	buffer_load_dword v14, off, s[40:43], 0 offset:904 ; 4-byte Folded Reload
	buffer_load_dword v15, off, s[40:43], 0 offset:908 ; 4-byte Folded Reload
	buffer_load_dword v16, off, s[40:43], 0 offset:912 ; 4-byte Folded Reload
	buffer_load_dword v17, off, s[40:43], 0 offset:916 ; 4-byte Folded Reload
	buffer_load_dword v18, off, s[40:43], 0 offset:920 ; 4-byte Folded Reload
	buffer_load_dword v19, off, s[40:43], 0 offset:924 ; 4-byte Folded Reload
	buffer_load_dword v20, off, s[40:43], 0 offset:928 ; 4-byte Folded Reload
	buffer_load_dword v21, off, s[40:43], 0 offset:932 ; 4-byte Folded Reload
	buffer_load_dword v22, off, s[40:43], 0 offset:936 ; 4-byte Folded Reload
	buffer_load_dword v23, off, s[40:43], 0 offset:940 ; 4-byte Folded Reload
	buffer_load_dword v24, off, s[40:43], 0 offset:944 ; 4-byte Folded Reload
	buffer_load_dword v25, off, s[40:43], 0 offset:948 ; 4-byte Folded Reload
	buffer_load_dword v26, off, s[40:43], 0 offset:952 ; 4-byte Folded Reload
	buffer_load_dword v27, off, s[40:43], 0 offset:956 ; 4-byte Folded Reload
	buffer_load_dword v28, off, s[40:43], 0 offset:960 ; 4-byte Folded Reload
	buffer_load_dword v29, off, s[40:43], 0 offset:964 ; 4-byte Folded Reload
	buffer_load_dword v30, off, s[40:43], 0 offset:968 ; 4-byte Folded Reload
	buffer_load_dword v31, off, s[40:43], 0 offset:972 ; 4-byte Folded Reload
	buffer_load_dword v32, off, s[40:43], 0 offset:976 ; 4-byte Folded Reload
	buffer_load_dword v33, off, s[40:43], 0 offset:980 ; 4-byte Folded Reload
	buffer_load_dword v34, off, s[40:43], 0 offset:984 ; 4-byte Folded Reload
	buffer_load_dword v35, off, s[40:43], 0 offset:988 ; 4-byte Folded Reload
	buffer_load_dword v36, off, s[40:43], 0 offset:992 ; 4-byte Folded Reload
	buffer_load_dword v37, off, s[40:43], 0 offset:996 ; 4-byte Folded Reload
	buffer_load_dword v38, off, s[40:43], 0 offset:1000 ; 4-byte Folded Reload
	buffer_load_dword v39, off, s[40:43], 0 offset:1004 ; 4-byte Folded Reload
	buffer_load_dword v40, off, s[40:43], 0 offset:1008 ; 4-byte Folded Reload
	buffer_load_dword v41, off, s[40:43], 0 offset:1012 ; 4-byte Folded Reload
	buffer_load_dword v42, off, s[40:43], 0 offset:1016 ; 4-byte Folded Reload
	buffer_load_dword v43, off, s[40:43], 0 offset:1020 ; 4-byte Folded Reload
	s_waitcnt vmcnt(26)
	;;#ASMSTART
	v_pk_mul_f32 v[6:7], v[16:17], v[10:11]
	;;#ASMEND
	buffer_load_dword v12, off, s[40:43], 0 offset:768 ; 4-byte Folded Reload
	buffer_load_dword v13, off, s[40:43], 0 offset:772 ; 4-byte Folded Reload
	buffer_load_dword v14, off, s[40:43], 0 offset:776 ; 4-byte Folded Reload
	buffer_load_dword v15, off, s[40:43], 0 offset:780 ; 4-byte Folded Reload
	buffer_load_dword v16, off, s[40:43], 0 offset:784 ; 4-byte Folded Reload
	buffer_load_dword v17, off, s[40:43], 0 offset:788 ; 4-byte Folded Reload
	buffer_load_dword v18, off, s[40:43], 0 offset:792 ; 4-byte Folded Reload
	buffer_load_dword v19, off, s[40:43], 0 offset:796 ; 4-byte Folded Reload
	buffer_load_dword v20, off, s[40:43], 0 offset:800 ; 4-byte Folded Reload
	buffer_load_dword v21, off, s[40:43], 0 offset:804 ; 4-byte Folded Reload
	buffer_load_dword v22, off, s[40:43], 0 offset:808 ; 4-byte Folded Reload
	buffer_load_dword v23, off, s[40:43], 0 offset:812 ; 4-byte Folded Reload
	buffer_load_dword v24, off, s[40:43], 0 offset:816 ; 4-byte Folded Reload
	buffer_load_dword v25, off, s[40:43], 0 offset:820 ; 4-byte Folded Reload
	buffer_load_dword v26, off, s[40:43], 0 offset:824 ; 4-byte Folded Reload
	buffer_load_dword v27, off, s[40:43], 0 offset:828 ; 4-byte Folded Reload
	buffer_load_dword v28, off, s[40:43], 0 offset:832 ; 4-byte Folded Reload
	buffer_load_dword v29, off, s[40:43], 0 offset:836 ; 4-byte Folded Reload
	buffer_load_dword v30, off, s[40:43], 0 offset:840 ; 4-byte Folded Reload
	buffer_load_dword v31, off, s[40:43], 0 offset:844 ; 4-byte Folded Reload
	buffer_load_dword v32, off, s[40:43], 0 offset:848 ; 4-byte Folded Reload
	buffer_load_dword v33, off, s[40:43], 0 offset:852 ; 4-byte Folded Reload
	buffer_load_dword v34, off, s[40:43], 0 offset:856 ; 4-byte Folded Reload
	buffer_load_dword v35, off, s[40:43], 0 offset:860 ; 4-byte Folded Reload
	buffer_load_dword v36, off, s[40:43], 0 offset:864 ; 4-byte Folded Reload
	buffer_load_dword v37, off, s[40:43], 0 offset:868 ; 4-byte Folded Reload
	buffer_load_dword v38, off, s[40:43], 0 offset:872 ; 4-byte Folded Reload
	buffer_load_dword v39, off, s[40:43], 0 offset:876 ; 4-byte Folded Reload
	buffer_load_dword v40, off, s[40:43], 0 offset:880 ; 4-byte Folded Reload
	buffer_load_dword v41, off, s[40:43], 0 offset:884 ; 4-byte Folded Reload
	buffer_load_dword v42, off, s[40:43], 0 offset:888 ; 4-byte Folded Reload
	buffer_load_dword v43, off, s[40:43], 0 offset:892 ; 4-byte Folded Reload
	s_waitcnt vmcnt(24)
	;;#ASMSTART
	v_pk_mul_f32 v[8:9], v[18:19], v[10:11]
	;;#ASMEND
	buffer_load_dword v12, off, s[40:43], 0 offset:1024 ; 4-byte Folded Reload
	buffer_load_dword v13, off, s[40:43], 0 offset:1028 ; 4-byte Folded Reload
	buffer_load_dword v14, off, s[40:43], 0 offset:1032 ; 4-byte Folded Reload
	buffer_load_dword v15, off, s[40:43], 0 offset:1036 ; 4-byte Folded Reload
	buffer_load_dword v16, off, s[40:43], 0 offset:1040 ; 4-byte Folded Reload
	buffer_load_dword v17, off, s[40:43], 0 offset:1044 ; 4-byte Folded Reload
	buffer_load_dword v18, off, s[40:43], 0 offset:1048 ; 4-byte Folded Reload
	buffer_load_dword v19, off, s[40:43], 0 offset:1052 ; 4-byte Folded Reload
	buffer_load_dword v20, off, s[40:43], 0 offset:1056 ; 4-byte Folded Reload
	buffer_load_dword v21, off, s[40:43], 0 offset:1060 ; 4-byte Folded Reload
	buffer_load_dword v22, off, s[40:43], 0 offset:1064 ; 4-byte Folded Reload
	buffer_load_dword v23, off, s[40:43], 0 offset:1068 ; 4-byte Folded Reload
	buffer_load_dword v24, off, s[40:43], 0 offset:1072 ; 4-byte Folded Reload
	buffer_load_dword v25, off, s[40:43], 0 offset:1076 ; 4-byte Folded Reload
	buffer_load_dword v26, off, s[40:43], 0 offset:1080 ; 4-byte Folded Reload
	buffer_load_dword v27, off, s[40:43], 0 offset:1084 ; 4-byte Folded Reload
	buffer_load_dword v28, off, s[40:43], 0 offset:1088 ; 4-byte Folded Reload
	buffer_load_dword v29, off, s[40:43], 0 offset:1092 ; 4-byte Folded Reload
	buffer_load_dword v30, off, s[40:43], 0 offset:1096 ; 4-byte Folded Reload
	buffer_load_dword v31, off, s[40:43], 0 offset:1100 ; 4-byte Folded Reload
	buffer_load_dword v32, off, s[40:43], 0 offset:1104 ; 4-byte Folded Reload
	buffer_load_dword v33, off, s[40:43], 0 offset:1108 ; 4-byte Folded Reload
	buffer_load_dword v34, off, s[40:43], 0 offset:1112 ; 4-byte Folded Reload
	buffer_load_dword v35, off, s[40:43], 0 offset:1116 ; 4-byte Folded Reload
	buffer_load_dword v36, off, s[40:43], 0 offset:1120 ; 4-byte Folded Reload
	buffer_load_dword v37, off, s[40:43], 0 offset:1124 ; 4-byte Folded Reload
	buffer_load_dword v38, off, s[40:43], 0 offset:1128 ; 4-byte Folded Reload
	buffer_load_dword v39, off, s[40:43], 0 offset:1132 ; 4-byte Folded Reload
	buffer_load_dword v40, off, s[40:43], 0 offset:1136 ; 4-byte Folded Reload
	buffer_load_dword v41, off, s[40:43], 0 offset:1140 ; 4-byte Folded Reload
	buffer_load_dword v42, off, s[40:43], 0 offset:1144 ; 4-byte Folded Reload
	buffer_load_dword v43, off, s[40:43], 0 offset:1148 ; 4-byte Folded Reload
	s_waitcnt vmcnt(22)
	;;#ASMSTART
	v_pk_mul_f32 v[12:13], v[20:21], v[10:11]
	;;#ASMEND
	buffer_load_dword v14, off, s[40:43], 0 offset:640 ; 4-byte Folded Reload
	buffer_load_dword v15, off, s[40:43], 0 offset:644 ; 4-byte Folded Reload
	buffer_load_dword v16, off, s[40:43], 0 offset:648 ; 4-byte Folded Reload
	buffer_load_dword v17, off, s[40:43], 0 offset:652 ; 4-byte Folded Reload
	buffer_load_dword v18, off, s[40:43], 0 offset:656 ; 4-byte Folded Reload
	buffer_load_dword v19, off, s[40:43], 0 offset:660 ; 4-byte Folded Reload
	buffer_load_dword v20, off, s[40:43], 0 offset:664 ; 4-byte Folded Reload
	buffer_load_dword v21, off, s[40:43], 0 offset:668 ; 4-byte Folded Reload
	buffer_load_dword v22, off, s[40:43], 0 offset:672 ; 4-byte Folded Reload
	buffer_load_dword v23, off, s[40:43], 0 offset:676 ; 4-byte Folded Reload
	buffer_load_dword v24, off, s[40:43], 0 offset:680 ; 4-byte Folded Reload
	buffer_load_dword v25, off, s[40:43], 0 offset:684 ; 4-byte Folded Reload
	buffer_load_dword v26, off, s[40:43], 0 offset:688 ; 4-byte Folded Reload
	buffer_load_dword v27, off, s[40:43], 0 offset:692 ; 4-byte Folded Reload
	buffer_load_dword v28, off, s[40:43], 0 offset:696 ; 4-byte Folded Reload
	buffer_load_dword v29, off, s[40:43], 0 offset:700 ; 4-byte Folded Reload
	buffer_load_dword v30, off, s[40:43], 0 offset:704 ; 4-byte Folded Reload
	buffer_load_dword v31, off, s[40:43], 0 offset:708 ; 4-byte Folded Reload
	buffer_load_dword v32, off, s[40:43], 0 offset:712 ; 4-byte Folded Reload
	buffer_load_dword v33, off, s[40:43], 0 offset:716 ; 4-byte Folded Reload
	buffer_load_dword v34, off, s[40:43], 0 offset:720 ; 4-byte Folded Reload
	buffer_load_dword v35, off, s[40:43], 0 offset:724 ; 4-byte Folded Reload
	buffer_load_dword v36, off, s[40:43], 0 offset:728 ; 4-byte Folded Reload
	buffer_load_dword v37, off, s[40:43], 0 offset:732 ; 4-byte Folded Reload
	buffer_load_dword v38, off, s[40:43], 0 offset:736 ; 4-byte Folded Reload
	buffer_load_dword v39, off, s[40:43], 0 offset:740 ; 4-byte Folded Reload
	buffer_load_dword v40, off, s[40:43], 0 offset:744 ; 4-byte Folded Reload
	buffer_load_dword v41, off, s[40:43], 0 offset:748 ; 4-byte Folded Reload
	buffer_load_dword v42, off, s[40:43], 0 offset:752 ; 4-byte Folded Reload
	buffer_load_dword v43, off, s[40:43], 0 offset:756 ; 4-byte Folded Reload
	buffer_load_dword v44, off, s[40:43], 0 offset:760 ; 4-byte Folded Reload
	buffer_load_dword v45, off, s[40:43], 0 offset:764 ; 4-byte Folded Reload
	s_waitcnt vmcnt(20)
	;;#ASMSTART
	v_pk_mul_f32 v[14:15], v[24:25], v[10:11]
	;;#ASMEND
	buffer_load_dword v16, off, s[40:43], 0 offset:256 ; 4-byte Folded Reload
	buffer_load_dword v17, off, s[40:43], 0 offset:260 ; 4-byte Folded Reload
	buffer_load_dword v18, off, s[40:43], 0 offset:264 ; 4-byte Folded Reload
	buffer_load_dword v19, off, s[40:43], 0 offset:268 ; 4-byte Folded Reload
	buffer_load_dword v20, off, s[40:43], 0 offset:272 ; 4-byte Folded Reload
	buffer_load_dword v21, off, s[40:43], 0 offset:276 ; 4-byte Folded Reload
	buffer_load_dword v22, off, s[40:43], 0 offset:280 ; 4-byte Folded Reload
	buffer_load_dword v23, off, s[40:43], 0 offset:284 ; 4-byte Folded Reload
	buffer_load_dword v24, off, s[40:43], 0 offset:288 ; 4-byte Folded Reload
	buffer_load_dword v25, off, s[40:43], 0 offset:292 ; 4-byte Folded Reload
	buffer_load_dword v26, off, s[40:43], 0 offset:296 ; 4-byte Folded Reload
	buffer_load_dword v27, off, s[40:43], 0 offset:300 ; 4-byte Folded Reload
	buffer_load_dword v28, off, s[40:43], 0 offset:304 ; 4-byte Folded Reload
	buffer_load_dword v29, off, s[40:43], 0 offset:308 ; 4-byte Folded Reload
	buffer_load_dword v30, off, s[40:43], 0 offset:312 ; 4-byte Folded Reload
	buffer_load_dword v31, off, s[40:43], 0 offset:316 ; 4-byte Folded Reload
	buffer_load_dword v32, off, s[40:43], 0 offset:320 ; 4-byte Folded Reload
	buffer_load_dword v33, off, s[40:43], 0 offset:324 ; 4-byte Folded Reload
	buffer_load_dword v34, off, s[40:43], 0 offset:328 ; 4-byte Folded Reload
	buffer_load_dword v35, off, s[40:43], 0 offset:332 ; 4-byte Folded Reload
	buffer_load_dword v36, off, s[40:43], 0 offset:336 ; 4-byte Folded Reload
	buffer_load_dword v37, off, s[40:43], 0 offset:340 ; 4-byte Folded Reload
	buffer_load_dword v38, off, s[40:43], 0 offset:344 ; 4-byte Folded Reload
	buffer_load_dword v39, off, s[40:43], 0 offset:348 ; 4-byte Folded Reload
	buffer_load_dword v40, off, s[40:43], 0 offset:352 ; 4-byte Folded Reload
	buffer_load_dword v41, off, s[40:43], 0 offset:356 ; 4-byte Folded Reload
	buffer_load_dword v42, off, s[40:43], 0 offset:360 ; 4-byte Folded Reload
	buffer_load_dword v43, off, s[40:43], 0 offset:364 ; 4-byte Folded Reload
	buffer_load_dword v44, off, s[40:43], 0 offset:368 ; 4-byte Folded Reload
	buffer_load_dword v45, off, s[40:43], 0 offset:372 ; 4-byte Folded Reload
	buffer_load_dword v46, off, s[40:43], 0 offset:376 ; 4-byte Folded Reload
	buffer_load_dword v47, off, s[40:43], 0 offset:380 ; 4-byte Folded Reload
	s_waitcnt vmcnt(18)
	;;#ASMSTART
	v_pk_mul_f32 v[16:17], v[28:29], v[10:11]
	;;#ASMEND
	buffer_load_dword v18, off, s[40:43], 0 offset:128 ; 4-byte Folded Reload
	buffer_load_dword v19, off, s[40:43], 0 offset:132 ; 4-byte Folded Reload
	buffer_load_dword v20, off, s[40:43], 0 offset:136 ; 4-byte Folded Reload
	buffer_load_dword v21, off, s[40:43], 0 offset:140 ; 4-byte Folded Reload
	buffer_load_dword v22, off, s[40:43], 0 offset:144 ; 4-byte Folded Reload
	buffer_load_dword v23, off, s[40:43], 0 offset:148 ; 4-byte Folded Reload
	buffer_load_dword v24, off, s[40:43], 0 offset:152 ; 4-byte Folded Reload
	buffer_load_dword v25, off, s[40:43], 0 offset:156 ; 4-byte Folded Reload
	buffer_load_dword v26, off, s[40:43], 0 offset:160 ; 4-byte Folded Reload
	buffer_load_dword v27, off, s[40:43], 0 offset:164 ; 4-byte Folded Reload
	buffer_load_dword v28, off, s[40:43], 0 offset:168 ; 4-byte Folded Reload
	buffer_load_dword v29, off, s[40:43], 0 offset:172 ; 4-byte Folded Reload
	buffer_load_dword v30, off, s[40:43], 0 offset:176 ; 4-byte Folded Reload
	buffer_load_dword v31, off, s[40:43], 0 offset:180 ; 4-byte Folded Reload
	buffer_load_dword v32, off, s[40:43], 0 offset:184 ; 4-byte Folded Reload
	buffer_load_dword v33, off, s[40:43], 0 offset:188 ; 4-byte Folded Reload
	buffer_load_dword v34, off, s[40:43], 0 offset:192 ; 4-byte Folded Reload
	buffer_load_dword v35, off, s[40:43], 0 offset:196 ; 4-byte Folded Reload
	buffer_load_dword v36, off, s[40:43], 0 offset:200 ; 4-byte Folded Reload
	buffer_load_dword v37, off, s[40:43], 0 offset:204 ; 4-byte Folded Reload
	buffer_load_dword v38, off, s[40:43], 0 offset:208 ; 4-byte Folded Reload
	buffer_load_dword v39, off, s[40:43], 0 offset:212 ; 4-byte Folded Reload
	buffer_load_dword v40, off, s[40:43], 0 offset:216 ; 4-byte Folded Reload
	buffer_load_dword v41, off, s[40:43], 0 offset:220 ; 4-byte Folded Reload
	buffer_load_dword v42, off, s[40:43], 0 offset:224 ; 4-byte Folded Reload
	buffer_load_dword v43, off, s[40:43], 0 offset:228 ; 4-byte Folded Reload
	buffer_load_dword v44, off, s[40:43], 0 offset:232 ; 4-byte Folded Reload
	buffer_load_dword v45, off, s[40:43], 0 offset:236 ; 4-byte Folded Reload
	buffer_load_dword v46, off, s[40:43], 0 offset:240 ; 4-byte Folded Reload
	buffer_load_dword v47, off, s[40:43], 0 offset:244 ; 4-byte Folded Reload
	buffer_load_dword v48, off, s[40:43], 0 offset:248 ; 4-byte Folded Reload
	buffer_load_dword v49, off, s[40:43], 0 offset:252 ; 4-byte Folded Reload
	s_waitcnt vmcnt(24)
	v_cvt_f32_f16_sdwa v25, v108 dst_sel:DWORD dst_unused:UNUSED_PAD src0_sel:WORD_1
	v_cvt_f32_f16_e32 v24, v108
	s_waitcnt vmcnt(20)
	v_cvt_f32_f16_sdwa v29, v109 dst_sel:DWORD dst_unused:UNUSED_PAD src0_sel:WORD_1
	v_cvt_f32_f16_e32 v28, v109
	s_waitcnt vmcnt(18)
	v_cvt_f32_f16_sdwa v31, v110 dst_sel:DWORD dst_unused:UNUSED_PAD src0_sel:WORD_1
	v_cvt_f32_f16_e32 v30, v110
	v_pk_add_f32 v[24:25], v[24:25], 1.0 op_sel_hi:[1,0]
	s_waitcnt vmcnt(14)
	v_cvt_f32_f16_sdwa v35, v104 dst_sel:DWORD dst_unused:UNUSED_PAD src0_sel:WORD_1
	v_cvt_f32_f16_e32 v34, v104
	s_waitcnt vmcnt(12)
	v_cvt_f32_f16_sdwa v37, v105 dst_sel:DWORD dst_unused:UNUSED_PAD src0_sel:WORD_1
	v_cvt_f32_f16_e32 v36, v105
	;; [unrolled: 3-line block ×8, first 2 shown]
	;;#ASMSTART
	v_pk_mul_f32 v[18:19], v[32:33], v[10:11]
	;;#ASMEND
	buffer_load_dword v52, off, s[40:43], 0 offset:512 ; 4-byte Folded Reload
	buffer_load_dword v53, off, s[40:43], 0 offset:516 ; 4-byte Folded Reload
	;; [unrolled: 1-line block ×32, first 2 shown]
	v_cvt_f32_f16_sdwa v33, v111 dst_sel:DWORD dst_unused:UNUSED_PAD src0_sel:WORD_1
	v_cvt_f32_f16_e32 v32, v111
	s_waitcnt vmcnt(14)
	;;#ASMSTART
	v_pk_mul_f32 v[20:21], v[68:69], v[10:11]
	;;#ASMEND
	buffer_load_dword v52, off, s[40:43], 0 offset:384 ; 4-byte Folded Reload
	buffer_load_dword v53, off, s[40:43], 0 offset:388 ; 4-byte Folded Reload
	;; [unrolled: 1-line block ×32, first 2 shown]
	s_waitcnt vmcnt(12)
	;;#ASMSTART
	v_pk_mul_f32 v[22:23], v[70:71], v[10:11]
	;;#ASMEND
	buffer_load_dword v52, off, s[40:43], 0 ; 4-byte Folded Reload
	buffer_load_dword v53, off, s[40:43], 0 offset:4 ; 4-byte Folded Reload
	buffer_load_dword v54, off, s[40:43], 0 offset:8 ; 4-byte Folded Reload
	;; [unrolled: 1-line block ×31, first 2 shown]
	s_waitcnt vmcnt(10)
	;;#ASMSTART
	v_pk_mul_f32 v[26:27], v[72:73], v[10:11]
	;;#ASMEND
	;;#ASMSTART
	v_pk_mul_f32 v[10:11], v[120:121], v[10:11]
	;;#ASMEND
	;; [unrolled: 3-line block ×3, first 2 shown]
	v_pk_add_f32 v[24:25], v[28:29], 1.0 op_sel_hi:[1,0]
	v_pk_add_f32 v[28:29], v[30:31], 1.0 op_sel_hi:[1,0]
	;; [unrolled: 1-line block ×3, first 2 shown]
	s_waitcnt vmcnt(8)
	;;#ASMSTART
	v_pk_mul_f32 v[74:75], v[4:5], v[24:25]
	;;#ASMEND
	;;#ASMSTART
	v_pk_mul_f32 v[4:5], v[6:7], v[28:29]
	;;#ASMEND
	buffer_store_dword v0, off, s[40:43], 0 offset:896 ; 4-byte Folded Spill
	s_nop 0
	buffer_store_dword v1, off, s[40:43], 0 offset:900 ; 4-byte Folded Spill
	buffer_store_dword v2, off, s[40:43], 0 offset:904 ; 4-byte Folded Spill
	;; [unrolled: 1-line block ×31, first 2 shown]
	v_pk_add_f32 v[32:33], v[34:35], 1.0 op_sel_hi:[1,0]
	v_pk_add_f32 v[34:35], v[36:37], 1.0 op_sel_hi:[1,0]
	;; [unrolled: 1-line block ×8, first 2 shown]
	;;#ASMSTART
	v_pk_mul_f32 v[6:7], v[8:9], v[30:31]
	;;#ASMEND
	buffer_store_dword v0, off, s[40:43], 0 offset:768 ; 4-byte Folded Spill
	s_nop 0
	buffer_store_dword v1, off, s[40:43], 0 offset:772 ; 4-byte Folded Spill
	buffer_store_dword v2, off, s[40:43], 0 offset:776 ; 4-byte Folded Spill
	buffer_store_dword v3, off, s[40:43], 0 offset:780 ; 4-byte Folded Spill
	buffer_store_dword v4, off, s[40:43], 0 offset:784 ; 4-byte Folded Spill
	buffer_store_dword v5, off, s[40:43], 0 offset:788 ; 4-byte Folded Spill
	buffer_store_dword v6, off, s[40:43], 0 offset:792 ; 4-byte Folded Spill
	buffer_store_dword v7, off, s[40:43], 0 offset:796 ; 4-byte Folded Spill
	buffer_store_dword v8, off, s[40:43], 0 offset:800 ; 4-byte Folded Spill
	buffer_store_dword v9, off, s[40:43], 0 offset:804 ; 4-byte Folded Spill
	buffer_store_dword v10, off, s[40:43], 0 offset:808 ; 4-byte Folded Spill
	buffer_store_dword v11, off, s[40:43], 0 offset:812 ; 4-byte Folded Spill
	buffer_store_dword v12, off, s[40:43], 0 offset:816 ; 4-byte Folded Spill
	buffer_store_dword v13, off, s[40:43], 0 offset:820 ; 4-byte Folded Spill
	buffer_store_dword v14, off, s[40:43], 0 offset:824 ; 4-byte Folded Spill
	buffer_store_dword v15, off, s[40:43], 0 offset:828 ; 4-byte Folded Spill
	buffer_store_dword v16, off, s[40:43], 0 offset:832 ; 4-byte Folded Spill
	buffer_store_dword v17, off, s[40:43], 0 offset:836 ; 4-byte Folded Spill
	buffer_store_dword v18, off, s[40:43], 0 offset:840 ; 4-byte Folded Spill
	buffer_store_dword v19, off, s[40:43], 0 offset:844 ; 4-byte Folded Spill
	buffer_store_dword v20, off, s[40:43], 0 offset:848 ; 4-byte Folded Spill
	buffer_store_dword v21, off, s[40:43], 0 offset:852 ; 4-byte Folded Spill
	buffer_store_dword v22, off, s[40:43], 0 offset:856 ; 4-byte Folded Spill
	buffer_store_dword v23, off, s[40:43], 0 offset:860 ; 4-byte Folded Spill
	buffer_store_dword v24, off, s[40:43], 0 offset:864 ; 4-byte Folded Spill
	buffer_store_dword v25, off, s[40:43], 0 offset:868 ; 4-byte Folded Spill
	buffer_store_dword v26, off, s[40:43], 0 offset:872 ; 4-byte Folded Spill
	buffer_store_dword v27, off, s[40:43], 0 offset:876 ; 4-byte Folded Spill
	buffer_store_dword v28, off, s[40:43], 0 offset:880 ; 4-byte Folded Spill
	buffer_store_dword v29, off, s[40:43], 0 offset:884 ; 4-byte Folded Spill
	buffer_store_dword v30, off, s[40:43], 0 offset:888 ; 4-byte Folded Spill
	buffer_store_dword v31, off, s[40:43], 0 offset:892 ; 4-byte Folded Spill
	;;#ASMSTART
	v_pk_mul_f32 v[8:9], v[12:13], v[32:33]
	;;#ASMEND
	buffer_store_dword v0, off, s[40:43], 0 offset:1024 ; 4-byte Folded Spill
	s_nop 0
	buffer_store_dword v1, off, s[40:43], 0 offset:1028 ; 4-byte Folded Spill
	buffer_store_dword v2, off, s[40:43], 0 offset:1032 ; 4-byte Folded Spill
	buffer_store_dword v3, off, s[40:43], 0 offset:1036 ; 4-byte Folded Spill
	buffer_store_dword v4, off, s[40:43], 0 offset:1040 ; 4-byte Folded Spill
	buffer_store_dword v5, off, s[40:43], 0 offset:1044 ; 4-byte Folded Spill
	buffer_store_dword v6, off, s[40:43], 0 offset:1048 ; 4-byte Folded Spill
	buffer_store_dword v7, off, s[40:43], 0 offset:1052 ; 4-byte Folded Spill
	buffer_store_dword v8, off, s[40:43], 0 offset:1056 ; 4-byte Folded Spill
	buffer_store_dword v9, off, s[40:43], 0 offset:1060 ; 4-byte Folded Spill
	buffer_store_dword v10, off, s[40:43], 0 offset:1064 ; 4-byte Folded Spill
	buffer_store_dword v11, off, s[40:43], 0 offset:1068 ; 4-byte Folded Spill
	buffer_store_dword v12, off, s[40:43], 0 offset:1072 ; 4-byte Folded Spill
	buffer_store_dword v13, off, s[40:43], 0 offset:1076 ; 4-byte Folded Spill
	buffer_store_dword v14, off, s[40:43], 0 offset:1080 ; 4-byte Folded Spill
	buffer_store_dword v15, off, s[40:43], 0 offset:1084 ; 4-byte Folded Spill
	buffer_store_dword v16, off, s[40:43], 0 offset:1088 ; 4-byte Folded Spill
	buffer_store_dword v17, off, s[40:43], 0 offset:1092 ; 4-byte Folded Spill
	buffer_store_dword v18, off, s[40:43], 0 offset:1096 ; 4-byte Folded Spill
	buffer_store_dword v19, off, s[40:43], 0 offset:1100 ; 4-byte Folded Spill
	buffer_store_dword v20, off, s[40:43], 0 offset:1104 ; 4-byte Folded Spill
	buffer_store_dword v21, off, s[40:43], 0 offset:1108 ; 4-byte Folded Spill
	buffer_store_dword v22, off, s[40:43], 0 offset:1112 ; 4-byte Folded Spill
	buffer_store_dword v23, off, s[40:43], 0 offset:1116 ; 4-byte Folded Spill
	buffer_store_dword v24, off, s[40:43], 0 offset:1120 ; 4-byte Folded Spill
	buffer_store_dword v25, off, s[40:43], 0 offset:1124 ; 4-byte Folded Spill
	buffer_store_dword v26, off, s[40:43], 0 offset:1128 ; 4-byte Folded Spill
	buffer_store_dword v27, off, s[40:43], 0 offset:1132 ; 4-byte Folded Spill
	buffer_store_dword v28, off, s[40:43], 0 offset:1136 ; 4-byte Folded Spill
	buffer_store_dword v29, off, s[40:43], 0 offset:1140 ; 4-byte Folded Spill
	buffer_store_dword v30, off, s[40:43], 0 offset:1144 ; 4-byte Folded Spill
	buffer_store_dword v31, off, s[40:43], 0 offset:1148 ; 4-byte Folded Spill
	;; [unrolled: 36-line block ×7, first 2 shown]
	;;#ASMSTART
	v_pk_mul_f32 v[20:21], v[26:27], v[44:45]
	;;#ASMEND
	buffer_store_dword v0, off, s[40:43], 0 ; 4-byte Folded Spill
	s_nop 0
	buffer_store_dword v1, off, s[40:43], 0 offset:4 ; 4-byte Folded Spill
	buffer_store_dword v2, off, s[40:43], 0 offset:8 ; 4-byte Folded Spill
	;; [unrolled: 1-line block ×31, first 2 shown]
	;;#ASMSTART
	v_pk_mul_f32 v[120:121], v[10:11], v[46:47]
	;;#ASMEND
	s_or_b64 exec, exec, s[24:25]
	s_mov_b64 s[8:9], -1
	s_and_b64 vcc, exec, s[22:23]
	s_cbranch_vccz .LBB69_15
.LBB69_19:
	s_and_saveexec_b64 s[8:9], s[0:1]
	s_cbranch_execz .LBB69_21
; %bb.20:
	buffer_load_dword v4, off, s[40:43], 0 offset:896 ; 4-byte Folded Reload
	buffer_load_dword v5, off, s[40:43], 0 offset:900 ; 4-byte Folded Reload
	;; [unrolled: 1-line block ×32, first 2 shown]
	s_mul_hi_i32 s23, s28, s6
	s_mul_i32 s22, s28, s6
	s_lshl_b64 s[22:23], s[22:23], 1
	s_add_u32 s24, s30, s22
	s_addc_u32 s7, s31, s23
	s_and_b32 s25, s7, 0xffff
	s_mov_b32 s27, 0x20000
	s_movk_i32 s7, 0x400
	s_waitcnt vmcnt(26)
	v_pk_mov_b32 v[38:39], v[8:9], v[8:9] op_sel:[0,1]
	buffer_load_dword v6, off, s[40:43], 0 offset:768 ; 4-byte Folded Reload
	buffer_load_dword v7, off, s[40:43], 0 offset:772 ; 4-byte Folded Reload
	;; [unrolled: 1-line block ×32, first 2 shown]
	v_cvt_f16_f32_e32 v4, v38
	s_waitcnt vmcnt(29)
	v_cvt_f16_f32_e32 v8, v39
	s_waitcnt vmcnt(24)
	v_pk_mov_b32 v[6:7], v[12:13], v[12:13] op_sel:[0,1]
	v_cvt_f16_f32_e32 v5, v6
	v_cvt_f16_f32_e32 v6, v7
	v_pack_b32_f16 v7, v5, v6
	v_pack_b32_f16 v6, v4, v8
	v_cvt_f16_f32_e32 v4, v74
	v_cvt_f16_f32_e32 v5, v75
	;; [unrolled: 1-line block ×3, first 2 shown]
	v_pack_b32_f16 v5, v4, v5
	v_cvt_f16_f32_e32 v4, v2
	v_pack_b32_f16 v4, v4, v8
	v_lshlrev_b32_e32 v8, 1, v1
	buffer_store_dwordx4 v[4:7], v8, s[24:27], 0 offen
	buffer_load_dword v10, off, s[40:43], 0 offset:256 ; 4-byte Folded Reload
	buffer_load_dword v11, off, s[40:43], 0 offset:260 ; 4-byte Folded Reload
	buffer_load_dword v12, off, s[40:43], 0 offset:264 ; 4-byte Folded Reload
	buffer_load_dword v13, off, s[40:43], 0 offset:268 ; 4-byte Folded Reload
	buffer_load_dword v14, off, s[40:43], 0 offset:272 ; 4-byte Folded Reload
	buffer_load_dword v15, off, s[40:43], 0 offset:276 ; 4-byte Folded Reload
	buffer_load_dword v16, off, s[40:43], 0 offset:280 ; 4-byte Folded Reload
	buffer_load_dword v17, off, s[40:43], 0 offset:284 ; 4-byte Folded Reload
	buffer_load_dword v18, off, s[40:43], 0 offset:288 ; 4-byte Folded Reload
	buffer_load_dword v19, off, s[40:43], 0 offset:292 ; 4-byte Folded Reload
	buffer_load_dword v20, off, s[40:43], 0 offset:296 ; 4-byte Folded Reload
	buffer_load_dword v21, off, s[40:43], 0 offset:300 ; 4-byte Folded Reload
	buffer_load_dword v22, off, s[40:43], 0 offset:304 ; 4-byte Folded Reload
	buffer_load_dword v23, off, s[40:43], 0 offset:308 ; 4-byte Folded Reload
	buffer_load_dword v24, off, s[40:43], 0 offset:312 ; 4-byte Folded Reload
	buffer_load_dword v25, off, s[40:43], 0 offset:316 ; 4-byte Folded Reload
	buffer_load_dword v26, off, s[40:43], 0 offset:320 ; 4-byte Folded Reload
	buffer_load_dword v27, off, s[40:43], 0 offset:324 ; 4-byte Folded Reload
	buffer_load_dword v28, off, s[40:43], 0 offset:328 ; 4-byte Folded Reload
	buffer_load_dword v29, off, s[40:43], 0 offset:332 ; 4-byte Folded Reload
	buffer_load_dword v30, off, s[40:43], 0 offset:336 ; 4-byte Folded Reload
	buffer_load_dword v31, off, s[40:43], 0 offset:340 ; 4-byte Folded Reload
	buffer_load_dword v32, off, s[40:43], 0 offset:344 ; 4-byte Folded Reload
	buffer_load_dword v33, off, s[40:43], 0 offset:348 ; 4-byte Folded Reload
	buffer_load_dword v34, off, s[40:43], 0 offset:352 ; 4-byte Folded Reload
	buffer_load_dword v35, off, s[40:43], 0 offset:356 ; 4-byte Folded Reload
	buffer_load_dword v36, off, s[40:43], 0 offset:360 ; 4-byte Folded Reload
	buffer_load_dword v37, off, s[40:43], 0 offset:364 ; 4-byte Folded Reload
	buffer_load_dword v38, off, s[40:43], 0 offset:368 ; 4-byte Folded Reload
	buffer_load_dword v39, off, s[40:43], 0 offset:372 ; 4-byte Folded Reload
	buffer_load_dword v40, off, s[40:43], 0 offset:376 ; 4-byte Folded Reload
	buffer_load_dword v41, off, s[40:43], 0 offset:380 ; 4-byte Folded Reload
	s_waitcnt vmcnt(18)
	v_pk_mov_b32 v[42:43], v[22:23], v[22:23] op_sel:[0,1]
	buffer_load_dword v10, off, s[40:43], 0 offset:128 ; 4-byte Folded Reload
	buffer_load_dword v11, off, s[40:43], 0 offset:132 ; 4-byte Folded Reload
	;; [unrolled: 1-line block ×32, first 2 shown]
	v_cvt_f16_f32_e32 v4, v42
	v_cvt_f16_f32_e32 v9, v43
	s_waitcnt vmcnt(16)
	v_pk_mov_b32 v[14:15], v[24:25], v[24:25] op_sel:[0,1]
	v_cvt_f16_f32_e32 v5, v14
	v_cvt_f16_f32_e32 v6, v15
	buffer_load_dword v10, off, s[40:43], 0 offset:640 ; 4-byte Folded Reload
	buffer_load_dword v11, off, s[40:43], 0 offset:644 ; 4-byte Folded Reload
	;; [unrolled: 1-line block ×32, first 2 shown]
	v_pack_b32_f16 v7, v5, v6
	v_pack_b32_f16 v6, v4, v9
	s_waitcnt vmcnt(20)
	v_pk_mov_b32 v[10:11], v[20:21], v[20:21] op_sel:[0,1]
	v_cvt_f16_f32_e32 v4, v10
	v_cvt_f16_f32_e32 v5, v11
	buffer_load_dword v10, off, s[40:43], 0 offset:1024 ; 4-byte Folded Reload
	buffer_load_dword v11, off, s[40:43], 0 offset:1028 ; 4-byte Folded Reload
	;; [unrolled: 1-line block ×32, first 2 shown]
	;;#ASMSTART
	s_nop 0
	;;#ASMEND
	v_pack_b32_f16 v5, v4, v5
	s_waitcnt vmcnt(22)
	v_pk_mov_b32 v[10:11], v[18:19], v[18:19] op_sel:[0,1]
	v_cvt_f16_f32_e32 v4, v10
	v_cvt_f16_f32_e32 v9, v11
	v_pack_b32_f16 v4, v4, v9
	buffer_store_dwordx4 v[4:7], v8, s[24:27], s7 offen
	buffer_load_dword v76, off, s[40:43], 0 ; 4-byte Folded Reload
	buffer_load_dword v77, off, s[40:43], 0 offset:4 ; 4-byte Folded Reload
	buffer_load_dword v78, off, s[40:43], 0 offset:8 ; 4-byte Folded Reload
	;; [unrolled: 1-line block ×31, first 2 shown]
	v_cvt_f16_f32_e32 v5, v120
	v_cvt_f16_f32_e32 v6, v121
	s_movk_i32 s7, 0x800
	v_pack_b32_f16 v7, v5, v6
	s_waitcnt vmcnt(10)
	v_pk_mov_b32 v[20:21], v[96:97], v[96:97] op_sel:[0,1]
	v_cvt_f16_f32_e32 v4, v20
	v_cvt_f16_f32_e32 v9, v21
	buffer_load_dword v10, off, s[40:43], 0 offset:384 ; 4-byte Folded Reload
	buffer_load_dword v11, off, s[40:43], 0 offset:388 ; 4-byte Folded Reload
	;; [unrolled: 1-line block ×32, first 2 shown]
	v_pack_b32_f16 v6, v4, v9
	s_waitcnt vmcnt(12)
	v_pk_mov_b32 v[18:19], v[28:29], v[28:29] op_sel:[0,1]
	v_cvt_f16_f32_e32 v4, v18
	v_cvt_f16_f32_e32 v5, v19
	buffer_load_dword v10, off, s[40:43], 0 offset:512 ; 4-byte Folded Reload
	buffer_load_dword v11, off, s[40:43], 0 offset:516 ; 4-byte Folded Reload
	;; [unrolled: 1-line block ×32, first 2 shown]
	;;#ASMSTART
	s_nop 0
	;;#ASMEND
	v_pack_b32_f16 v5, v4, v5
	s_waitcnt vmcnt(14)
	v_pk_mov_b32 v[16:17], v[26:27], v[26:27] op_sel:[0,1]
	v_cvt_f16_f32_e32 v4, v16
	v_cvt_f16_f32_e32 v9, v17
	v_pack_b32_f16 v4, v4, v9
	buffer_store_dwordx4 v[4:7], v8, s[24:27], s7 offen
	;;#ASMSTART
	s_nop 0
	;;#ASMEND
.LBB69_21:
	s_or_b64 exec, exec, s[8:9]
	s_cbranch_execnz .LBB69_16
.LBB69_22:
	v_mov_b32_e32 v4, 0
	s_and_saveexec_b64 s[8:9], s[0:1]
	s_cbranch_execz .LBB69_24
; %bb.23:
	v_and_b32_e32 v4, 0x7fffffff, v2
	v_mov_b32_e32 v6, 0x2edbe6ff
	v_and_b32_e32 v5, 0x7fffffff, v3
	;;#ASMSTART
	v_max3_f32 v4, v6, v4, v5

	;;#ASMEND
	v_and_b32_e32 v6, 0x7fffffff, v75
	v_and_b32_e32 v5, 0x7fffffff, v74
	;;#ASMSTART
	v_max3_f32 v4, v4, v5, v6

	;;#ASMEND
	buffer_load_dword v6, off, s[40:43], 0 offset:896 ; 4-byte Folded Reload
	buffer_load_dword v7, off, s[40:43], 0 offset:900 ; 4-byte Folded Reload
	buffer_load_dword v8, off, s[40:43], 0 offset:904 ; 4-byte Folded Reload
	buffer_load_dword v9, off, s[40:43], 0 offset:908 ; 4-byte Folded Reload
	buffer_load_dword v10, off, s[40:43], 0 offset:912 ; 4-byte Folded Reload
	buffer_load_dword v11, off, s[40:43], 0 offset:916 ; 4-byte Folded Reload
	buffer_load_dword v12, off, s[40:43], 0 offset:920 ; 4-byte Folded Reload
	buffer_load_dword v13, off, s[40:43], 0 offset:924 ; 4-byte Folded Reload
	buffer_load_dword v14, off, s[40:43], 0 offset:928 ; 4-byte Folded Reload
	buffer_load_dword v15, off, s[40:43], 0 offset:932 ; 4-byte Folded Reload
	buffer_load_dword v16, off, s[40:43], 0 offset:936 ; 4-byte Folded Reload
	buffer_load_dword v17, off, s[40:43], 0 offset:940 ; 4-byte Folded Reload
	buffer_load_dword v18, off, s[40:43], 0 offset:944 ; 4-byte Folded Reload
	buffer_load_dword v19, off, s[40:43], 0 offset:948 ; 4-byte Folded Reload
	buffer_load_dword v20, off, s[40:43], 0 offset:952 ; 4-byte Folded Reload
	buffer_load_dword v21, off, s[40:43], 0 offset:956 ; 4-byte Folded Reload
	buffer_load_dword v22, off, s[40:43], 0 offset:960 ; 4-byte Folded Reload
	buffer_load_dword v23, off, s[40:43], 0 offset:964 ; 4-byte Folded Reload
	buffer_load_dword v24, off, s[40:43], 0 offset:968 ; 4-byte Folded Reload
	buffer_load_dword v25, off, s[40:43], 0 offset:972 ; 4-byte Folded Reload
	buffer_load_dword v26, off, s[40:43], 0 offset:976 ; 4-byte Folded Reload
	buffer_load_dword v27, off, s[40:43], 0 offset:980 ; 4-byte Folded Reload
	buffer_load_dword v28, off, s[40:43], 0 offset:984 ; 4-byte Folded Reload
	buffer_load_dword v29, off, s[40:43], 0 offset:988 ; 4-byte Folded Reload
	buffer_load_dword v30, off, s[40:43], 0 offset:992 ; 4-byte Folded Reload
	buffer_load_dword v31, off, s[40:43], 0 offset:996 ; 4-byte Folded Reload
	buffer_load_dword v32, off, s[40:43], 0 offset:1000 ; 4-byte Folded Reload
	buffer_load_dword v33, off, s[40:43], 0 offset:1004 ; 4-byte Folded Reload
	buffer_load_dword v34, off, s[40:43], 0 offset:1008 ; 4-byte Folded Reload
	buffer_load_dword v35, off, s[40:43], 0 offset:1012 ; 4-byte Folded Reload
	buffer_load_dword v36, off, s[40:43], 0 offset:1016 ; 4-byte Folded Reload
	buffer_load_dword v37, off, s[40:43], 0 offset:1020 ; 4-byte Folded Reload
	s_waitcnt vmcnt(26)
	v_pk_mov_b32 v[6:7], v[10:11], v[10:11] op_sel:[0,1]
	v_and_b32_e32 v5, 0x7fffffff, v6
	v_and_b32_e32 v6, 0x7fffffff, v7
	;;#ASMSTART
	v_max3_f32 v4, v4, v5, v6

	;;#ASMEND
	buffer_load_dword v6, off, s[40:43], 0 offset:768 ; 4-byte Folded Reload
	buffer_load_dword v7, off, s[40:43], 0 offset:772 ; 4-byte Folded Reload
	buffer_load_dword v8, off, s[40:43], 0 offset:776 ; 4-byte Folded Reload
	buffer_load_dword v9, off, s[40:43], 0 offset:780 ; 4-byte Folded Reload
	buffer_load_dword v10, off, s[40:43], 0 offset:784 ; 4-byte Folded Reload
	buffer_load_dword v11, off, s[40:43], 0 offset:788 ; 4-byte Folded Reload
	buffer_load_dword v12, off, s[40:43], 0 offset:792 ; 4-byte Folded Reload
	buffer_load_dword v13, off, s[40:43], 0 offset:796 ; 4-byte Folded Reload
	buffer_load_dword v14, off, s[40:43], 0 offset:800 ; 4-byte Folded Reload
	buffer_load_dword v15, off, s[40:43], 0 offset:804 ; 4-byte Folded Reload
	buffer_load_dword v16, off, s[40:43], 0 offset:808 ; 4-byte Folded Reload
	buffer_load_dword v17, off, s[40:43], 0 offset:812 ; 4-byte Folded Reload
	buffer_load_dword v18, off, s[40:43], 0 offset:816 ; 4-byte Folded Reload
	buffer_load_dword v19, off, s[40:43], 0 offset:820 ; 4-byte Folded Reload
	buffer_load_dword v20, off, s[40:43], 0 offset:824 ; 4-byte Folded Reload
	buffer_load_dword v21, off, s[40:43], 0 offset:828 ; 4-byte Folded Reload
	buffer_load_dword v22, off, s[40:43], 0 offset:832 ; 4-byte Folded Reload
	buffer_load_dword v23, off, s[40:43], 0 offset:836 ; 4-byte Folded Reload
	buffer_load_dword v24, off, s[40:43], 0 offset:840 ; 4-byte Folded Reload
	buffer_load_dword v25, off, s[40:43], 0 offset:844 ; 4-byte Folded Reload
	buffer_load_dword v26, off, s[40:43], 0 offset:848 ; 4-byte Folded Reload
	buffer_load_dword v27, off, s[40:43], 0 offset:852 ; 4-byte Folded Reload
	buffer_load_dword v28, off, s[40:43], 0 offset:856 ; 4-byte Folded Reload
	buffer_load_dword v29, off, s[40:43], 0 offset:860 ; 4-byte Folded Reload
	buffer_load_dword v30, off, s[40:43], 0 offset:864 ; 4-byte Folded Reload
	buffer_load_dword v31, off, s[40:43], 0 offset:868 ; 4-byte Folded Reload
	buffer_load_dword v32, off, s[40:43], 0 offset:872 ; 4-byte Folded Reload
	buffer_load_dword v33, off, s[40:43], 0 offset:876 ; 4-byte Folded Reload
	buffer_load_dword v34, off, s[40:43], 0 offset:880 ; 4-byte Folded Reload
	buffer_load_dword v35, off, s[40:43], 0 offset:884 ; 4-byte Folded Reload
	buffer_load_dword v36, off, s[40:43], 0 offset:888 ; 4-byte Folded Reload
	buffer_load_dword v37, off, s[40:43], 0 offset:892 ; 4-byte Folded Reload
	s_waitcnt vmcnt(24)
	v_pk_mov_b32 v[6:7], v[12:13], v[12:13] op_sel:[0,1]
	;; [unrolled: 40-line block ×8, first 2 shown]
	v_and_b32_e32 v6, 0x7fffffff, v19
	v_and_b32_e32 v5, 0x7fffffff, v18
	;;#ASMSTART
	v_max3_f32 v4, v4, v5, v6

	;;#ASMEND
	buffer_load_dword v6, off, s[40:43], 0  ; 4-byte Folded Reload
	buffer_load_dword v7, off, s[40:43], 0 offset:4 ; 4-byte Folded Reload
	buffer_load_dword v8, off, s[40:43], 0 offset:8 ; 4-byte Folded Reload
	;; [unrolled: 1-line block ×31, first 2 shown]
	s_waitcnt vmcnt(10)
	v_pk_mov_b32 v[20:21], v[26:27], v[26:27] op_sel:[0,1]
	v_and_b32_e32 v5, 0x7fffffff, v20
	v_and_b32_e32 v6, 0x7fffffff, v21
	;;#ASMSTART
	v_max3_f32 v4, v4, v5, v6

	;;#ASMEND
	v_and_b32_e32 v5, 0x7fffffff, v120
	v_and_b32_e32 v6, 0x7fffffff, v121
	;;#ASMSTART
	v_max3_f32 v4, v4, v5, v6

	;;#ASMEND
.LBB69_24:
	s_or_b64 exec, exec, s[8:9]
	s_nop 0
	v_mov_b32_dpp v5, v4 quad_perm:[1,0,3,2] row_mask:0xf bank_mask:0xf
	v_cmp_gt_f32_e32 vcc, v4, v5
	v_cndmask_b32_e32 v4, v5, v4, vcc
	s_nop 1
	v_mov_b32_dpp v5, v4 quad_perm:[2,3,0,1] row_mask:0xf bank_mask:0xf
	v_cmp_gt_f32_e32 vcc, v4, v5
	v_cndmask_b32_e32 v4, v5, v4, vcc
	s_nop 1
	v_mov_b32_dpp v5, v4 row_half_mirror row_mask:0xf bank_mask:0xf
	v_cmp_gt_f32_e32 vcc, v4, v5
	v_cndmask_b32_e32 v4, v5, v4, vcc
	s_nop 1
	v_mov_b32_dpp v5, v4 row_mirror row_mask:0xf bank_mask:0xf
	v_cmp_gt_f32_e32 vcc, v4, v5
	v_cndmask_b32_e32 v4, v5, v4, vcc
	s_nop 1
	v_mov_b32_dpp v5, v4 row_bcast:15 row_mask:0xf bank_mask:0xf
	v_cmp_gt_f32_e32 vcc, v4, v5
	v_cndmask_b32_e32 v4, v5, v4, vcc
	s_nop 1
	v_mov_b32_dpp v5, v4 row_bcast:31 row_mask:0xf bank_mask:0xf
	s_and_saveexec_b64 s[8:9], s[2:3]
	s_cbranch_execz .LBB69_26
; %bb.25:
	v_cmp_gt_f32_e32 vcc, v4, v5
	v_cndmask_b32_e32 v4, v5, v4, vcc
	v_lshrrev_b32_e32 v5, 4, v0
	v_and_b32_e32 v5, 60, v5
	ds_write_b32 v5, v4
.LBB69_26:
	s_or_b64 exec, exec, s[8:9]
	s_waitcnt lgkmcnt(0)
	s_barrier
	ds_read_b32 v4, v50
	s_waitcnt lgkmcnt(0)
	s_nop 0
	v_mov_b32_dpp v5, v4 quad_perm:[1,0,3,2] row_mask:0xf bank_mask:0xf
	v_cmp_gt_f32_e32 vcc, v4, v5
	v_cndmask_b32_e32 v4, v5, v4, vcc
	s_nop 1
	v_mov_b32_dpp v5, v4 quad_perm:[2,3,0,1] row_mask:0xf bank_mask:0xf
	v_cmp_gt_f32_e32 vcc, v4, v5
	v_cndmask_b32_e32 v4, v5, v4, vcc
	v_mul_f32_e32 v4, 0x3b124925, v4
	v_cmp_eq_u32_e32 vcc, 0, v0
	s_and_saveexec_b64 s[8:9], vcc
	s_cbranch_execz .LBB69_28
; %bb.27:
	s_load_dwordx2 s[22:23], s[4:5], 0x8
	s_mul_hi_i32 s25, s11, s6
	s_mul_i32 s24, s11, s6
	s_lshl_b64 s[24:25], s[24:25], 2
	v_mov_b32_e32 v5, 0
	s_waitcnt lgkmcnt(0)
	s_add_u32 s22, s22, s24
	s_addc_u32 s23, s23, s25
	global_store_dword v5, v4, s[22:23]
.LBB69_28:
	s_or_b64 exec, exec, s[8:9]
	;;#ASMSTART
	v_rcp_f32 v4, v4
	;;#ASMEND
	s_and_saveexec_b64 s[22:23], s[0:1]
	s_cbranch_execz .LBB69_30
; %bb.29:
	v_mov_b32_e32 v5, v4
	;;#ASMSTART
	v_pk_mul_f32 v[2:3], v[2:3], v[4:5]
	;;#ASMEND
	v_mov_b32_e32 v8, 0xc3e00000
	v_mov_b32_e32 v9, 0x43e00000
	;;#ASMSTART
	v_med3_f32 v2, v2, v8, v9
v_med3_f32 v3, v3, v8, v9
v_cvt_pk_fp8_f32 v6, v2, v3
	;;#ASMEND
	;;#ASMSTART
	v_pk_mul_f32 v[2:3], v[74:75], v[4:5]
	;;#ASMEND
	;;#ASMSTART
	v_med3_f32 v2, v2, v8, v9
v_med3_f32 v3, v3, v8, v9
v_cvt_pk_fp8_f32 v7, v2, v3
	;;#ASMEND
	buffer_load_dword v10, off, s[40:43], 0 offset:896 ; 4-byte Folded Reload
	buffer_load_dword v11, off, s[40:43], 0 offset:900 ; 4-byte Folded Reload
	;; [unrolled: 1-line block ×32, first 2 shown]
	s_load_dwordx2 s[0:1], s[4:5], 0x0
	s_mul_i32 s8, s10, s6
	s_mov_b32 s7, 0x5040100
	s_mul_hi_i32 s9, s10, s6
	s_movk_i32 s12, 0xff
	s_waitcnt lgkmcnt(0)
	s_add_u32 s8, s0, s8
	s_addc_u32 s0, s1, s9
	s_add_i32 s1, s15, 3
	s_ashr_i32 s9, s1, 31
	s_mov_b32 s14, 0xffff
	s_lshr_b32 s9, s9, 30
	s_add_i32 s1, s1, s9
	s_and_b32 s10, s1, -4
	s_and_b32 s9, s0, 0xffff
	s_mov_b32 s11, 0x20000
	s_movk_i32 s0, 0x200
	s_waitcnt vmcnt(26)
	;;#ASMSTART
	v_pk_mul_f32 v[2:3], v[14:15], v[4:5]
	;;#ASMEND
	;;#ASMSTART
	v_med3_f32 v2, v2, v8, v9
v_med3_f32 v3, v3, v8, v9
v_cvt_pk_fp8_f32 v10, v2, v3
	;;#ASMEND
	buffer_load_dword v12, off, s[40:43], 0 offset:768 ; 4-byte Folded Reload
	buffer_load_dword v13, off, s[40:43], 0 offset:772 ; 4-byte Folded Reload
	;; [unrolled: 1-line block ×32, first 2 shown]
	s_waitcnt vmcnt(24)
	;;#ASMSTART
	v_pk_mul_f32 v[2:3], v[18:19], v[4:5]
	;;#ASMEND
	;;#ASMSTART
	v_med3_f32 v2, v2, v8, v9
v_med3_f32 v3, v3, v8, v9
v_cvt_pk_fp8_f32 v11, v2, v3
	;;#ASMEND
	v_perm_b32 v2, v7, v6, s7
	v_and_b32_e32 v3, 0xffffff00, v7
	v_and_b32_sdwa v6, v2, s12 dst_sel:DWORD dst_unused:UNUSED_PAD src0_sel:WORD_1 src1_sel:DWORD
	v_or_b32_sdwa v3, v6, v3 dst_sel:WORD_1 dst_unused:UNUSED_PAD src0_sel:DWORD src1_sel:DWORD
	v_and_or_b32 v2, v2, s14, v3
	v_lshlrev_b32_e32 v3, 16, v11
	v_and_or_b32 v3, v10, s14, v3
	buffer_store_dwordx2 v[2:3], v1, s[8:11], 0 offen
	;;#ASMSTART
	s_nop 0
	;;#ASMEND
	buffer_load_dword v10, off, s[40:43], 0 offset:1024 ; 4-byte Folded Reload
	buffer_load_dword v11, off, s[40:43], 0 offset:1028 ; 4-byte Folded Reload
	buffer_load_dword v12, off, s[40:43], 0 offset:1032 ; 4-byte Folded Reload
	buffer_load_dword v13, off, s[40:43], 0 offset:1036 ; 4-byte Folded Reload
	buffer_load_dword v14, off, s[40:43], 0 offset:1040 ; 4-byte Folded Reload
	buffer_load_dword v15, off, s[40:43], 0 offset:1044 ; 4-byte Folded Reload
	buffer_load_dword v16, off, s[40:43], 0 offset:1048 ; 4-byte Folded Reload
	buffer_load_dword v17, off, s[40:43], 0 offset:1052 ; 4-byte Folded Reload
	buffer_load_dword v18, off, s[40:43], 0 offset:1056 ; 4-byte Folded Reload
	buffer_load_dword v19, off, s[40:43], 0 offset:1060 ; 4-byte Folded Reload
	buffer_load_dword v20, off, s[40:43], 0 offset:1064 ; 4-byte Folded Reload
	buffer_load_dword v21, off, s[40:43], 0 offset:1068 ; 4-byte Folded Reload
	buffer_load_dword v22, off, s[40:43], 0 offset:1072 ; 4-byte Folded Reload
	buffer_load_dword v23, off, s[40:43], 0 offset:1076 ; 4-byte Folded Reload
	buffer_load_dword v24, off, s[40:43], 0 offset:1080 ; 4-byte Folded Reload
	buffer_load_dword v25, off, s[40:43], 0 offset:1084 ; 4-byte Folded Reload
	buffer_load_dword v26, off, s[40:43], 0 offset:1088 ; 4-byte Folded Reload
	buffer_load_dword v27, off, s[40:43], 0 offset:1092 ; 4-byte Folded Reload
	buffer_load_dword v28, off, s[40:43], 0 offset:1096 ; 4-byte Folded Reload
	buffer_load_dword v29, off, s[40:43], 0 offset:1100 ; 4-byte Folded Reload
	buffer_load_dword v30, off, s[40:43], 0 offset:1104 ; 4-byte Folded Reload
	buffer_load_dword v31, off, s[40:43], 0 offset:1108 ; 4-byte Folded Reload
	buffer_load_dword v32, off, s[40:43], 0 offset:1112 ; 4-byte Folded Reload
	buffer_load_dword v33, off, s[40:43], 0 offset:1116 ; 4-byte Folded Reload
	buffer_load_dword v34, off, s[40:43], 0 offset:1120 ; 4-byte Folded Reload
	buffer_load_dword v35, off, s[40:43], 0 offset:1124 ; 4-byte Folded Reload
	buffer_load_dword v36, off, s[40:43], 0 offset:1128 ; 4-byte Folded Reload
	buffer_load_dword v37, off, s[40:43], 0 offset:1132 ; 4-byte Folded Reload
	buffer_load_dword v38, off, s[40:43], 0 offset:1136 ; 4-byte Folded Reload
	buffer_load_dword v39, off, s[40:43], 0 offset:1140 ; 4-byte Folded Reload
	buffer_load_dword v40, off, s[40:43], 0 offset:1144 ; 4-byte Folded Reload
	buffer_load_dword v41, off, s[40:43], 0 offset:1148 ; 4-byte Folded Reload
	s_waitcnt vmcnt(22)
	;;#ASMSTART
	v_pk_mul_f32 v[2:3], v[18:19], v[4:5]
	;;#ASMEND
	;;#ASMSTART
	v_med3_f32 v2, v2, v8, v9
v_med3_f32 v3, v3, v8, v9
v_cvt_pk_fp8_f32 v6, v2, v3
	;;#ASMEND
	buffer_load_dword v10, off, s[40:43], 0 offset:640 ; 4-byte Folded Reload
	buffer_load_dword v11, off, s[40:43], 0 offset:644 ; 4-byte Folded Reload
	buffer_load_dword v12, off, s[40:43], 0 offset:648 ; 4-byte Folded Reload
	buffer_load_dword v13, off, s[40:43], 0 offset:652 ; 4-byte Folded Reload
	buffer_load_dword v14, off, s[40:43], 0 offset:656 ; 4-byte Folded Reload
	buffer_load_dword v15, off, s[40:43], 0 offset:660 ; 4-byte Folded Reload
	buffer_load_dword v16, off, s[40:43], 0 offset:664 ; 4-byte Folded Reload
	buffer_load_dword v17, off, s[40:43], 0 offset:668 ; 4-byte Folded Reload
	buffer_load_dword v18, off, s[40:43], 0 offset:672 ; 4-byte Folded Reload
	buffer_load_dword v19, off, s[40:43], 0 offset:676 ; 4-byte Folded Reload
	buffer_load_dword v20, off, s[40:43], 0 offset:680 ; 4-byte Folded Reload
	buffer_load_dword v21, off, s[40:43], 0 offset:684 ; 4-byte Folded Reload
	buffer_load_dword v22, off, s[40:43], 0 offset:688 ; 4-byte Folded Reload
	buffer_load_dword v23, off, s[40:43], 0 offset:692 ; 4-byte Folded Reload
	buffer_load_dword v24, off, s[40:43], 0 offset:696 ; 4-byte Folded Reload
	buffer_load_dword v25, off, s[40:43], 0 offset:700 ; 4-byte Folded Reload
	buffer_load_dword v26, off, s[40:43], 0 offset:704 ; 4-byte Folded Reload
	buffer_load_dword v27, off, s[40:43], 0 offset:708 ; 4-byte Folded Reload
	buffer_load_dword v28, off, s[40:43], 0 offset:712 ; 4-byte Folded Reload
	buffer_load_dword v29, off, s[40:43], 0 offset:716 ; 4-byte Folded Reload
	buffer_load_dword v30, off, s[40:43], 0 offset:720 ; 4-byte Folded Reload
	buffer_load_dword v31, off, s[40:43], 0 offset:724 ; 4-byte Folded Reload
	buffer_load_dword v32, off, s[40:43], 0 offset:728 ; 4-byte Folded Reload
	buffer_load_dword v33, off, s[40:43], 0 offset:732 ; 4-byte Folded Reload
	buffer_load_dword v34, off, s[40:43], 0 offset:736 ; 4-byte Folded Reload
	buffer_load_dword v35, off, s[40:43], 0 offset:740 ; 4-byte Folded Reload
	buffer_load_dword v36, off, s[40:43], 0 offset:744 ; 4-byte Folded Reload
	buffer_load_dword v37, off, s[40:43], 0 offset:748 ; 4-byte Folded Reload
	buffer_load_dword v38, off, s[40:43], 0 offset:752 ; 4-byte Folded Reload
	buffer_load_dword v39, off, s[40:43], 0 offset:756 ; 4-byte Folded Reload
	buffer_load_dword v40, off, s[40:43], 0 offset:760 ; 4-byte Folded Reload
	buffer_load_dword v41, off, s[40:43], 0 offset:764 ; 4-byte Folded Reload
	s_waitcnt vmcnt(20)
	;;#ASMSTART
	v_pk_mul_f32 v[2:3], v[20:21], v[4:5]
	;;#ASMEND
	;;#ASMSTART
	v_med3_f32 v2, v2, v8, v9
v_med3_f32 v3, v3, v8, v9
v_cvt_pk_fp8_f32 v7, v2, v3
	;; [unrolled: 41-line block ×4, first 2 shown]
	;;#ASMEND
	v_perm_b32 v2, v7, v6, s7
	v_and_b32_e32 v3, 0xffffff00, v7
	v_and_b32_sdwa v6, v2, s12 dst_sel:DWORD dst_unused:UNUSED_PAD src0_sel:WORD_1 src1_sel:DWORD
	v_or_b32_sdwa v3, v6, v3 dst_sel:WORD_1 dst_unused:UNUSED_PAD src0_sel:DWORD src1_sel:DWORD
	v_and_or_b32 v2, v2, s14, v3
	v_lshlrev_b32_e32 v3, 16, v11
	v_and_or_b32 v3, v10, s14, v3
	buffer_store_dwordx2 v[2:3], v1, s[8:11], s0 offen
	;;#ASMSTART
	s_nop 0
	;;#ASMEND
	buffer_load_dword v10, off, s[40:43], 0 offset:512 ; 4-byte Folded Reload
	buffer_load_dword v11, off, s[40:43], 0 offset:516 ; 4-byte Folded Reload
	;; [unrolled: 1-line block ×32, first 2 shown]
	s_movk_i32 s0, 0x400
	s_waitcnt vmcnt(14)
	;;#ASMSTART
	v_pk_mul_f32 v[2:3], v[26:27], v[4:5]
	;;#ASMEND
	;;#ASMSTART
	v_med3_f32 v2, v2, v8, v9
v_med3_f32 v3, v3, v8, v9
v_cvt_pk_fp8_f32 v6, v2, v3
	;;#ASMEND
	buffer_load_dword v10, off, s[40:43], 0 offset:384 ; 4-byte Folded Reload
	buffer_load_dword v11, off, s[40:43], 0 offset:388 ; 4-byte Folded Reload
	;; [unrolled: 1-line block ×32, first 2 shown]
	s_waitcnt vmcnt(12)
	;;#ASMSTART
	v_pk_mul_f32 v[2:3], v[28:29], v[4:5]
	;;#ASMEND
	;;#ASMSTART
	v_med3_f32 v2, v2, v8, v9
v_med3_f32 v3, v3, v8, v9
v_cvt_pk_fp8_f32 v7, v2, v3
	;;#ASMEND
	buffer_load_dword v52, off, s[40:43], 0 ; 4-byte Folded Reload
	buffer_load_dword v53, off, s[40:43], 0 offset:4 ; 4-byte Folded Reload
	buffer_load_dword v54, off, s[40:43], 0 offset:8 ; 4-byte Folded Reload
	;; [unrolled: 1-line block ×31, first 2 shown]
	v_perm_b32 v3, v7, v6, s7
	v_and_b32_e32 v2, 0xffffff00, v7
	v_and_b32_sdwa v6, v3, s12 dst_sel:DWORD dst_unused:UNUSED_PAD src0_sel:WORD_1 src1_sel:DWORD
	v_or_b32_sdwa v2, v6, v2 dst_sel:WORD_1 dst_unused:UNUSED_PAD src0_sel:DWORD src1_sel:DWORD
	v_and_or_b32 v2, v3, s14, v2
	s_waitcnt vmcnt(10)
	;;#ASMSTART
	v_pk_mul_f32 v[6:7], v[72:73], v[4:5]
	;;#ASMEND
	v_mov_b32_e32 v3, v7
	;;#ASMSTART
	v_med3_f32 v6, v6, v8, v9
v_med3_f32 v3, v3, v8, v9
v_cvt_pk_fp8_f32 v7, v6, v3
	;;#ASMEND
	;;#ASMSTART
	v_pk_mul_f32 v[4:5], v[120:121], v[4:5]
	;;#ASMEND
	v_mov_b32_e32 v3, v5
	;;#ASMSTART
	v_med3_f32 v4, v4, v8, v9
v_med3_f32 v3, v3, v8, v9
v_cvt_pk_fp8_f32 v5, v4, v3
	;;#ASMEND
	v_lshlrev_b32_e32 v3, 16, v5
	v_and_or_b32 v3, v7, s14, v3
	buffer_store_dwordx2 v[2:3], v1, s[8:11], s0 offen
	;;#ASMSTART
	s_nop 0
	;;#ASMEND
.LBB69_30:
	s_or_b64 exec, exec, s[22:23]
	s_cmp_lt_i32 s16, 1
	s_cbranch_scc1 .LBB69_17
.LBB69_31:
	s_load_dword s0, s[4:5], 0x94
	s_waitcnt lgkmcnt(0)
	s_cmp_lg_u32 s0, 1
	s_cbranch_scc1 .LBB69_17
; %bb.32:
	s_lshl_b32 s0, s16, 1
	s_add_i32 s0, s0, 2
	v_cmp_gt_u32_e32 vcc, s16, v1
	s_and_b32 s22, s0, -4
	v_mov_b32_e32 v26, 0
	v_lshlrev_b32_e32 v1, 1, v1
	v_mov_b32_e32 v22, 0
	v_mov_b32_e32 v23, 0
	v_mov_b32_e32 v24, 0
	v_mov_b32_e32 v25, 0
	v_mov_b32_e32 v14, 0
	v_mov_b32_e32 v15, 0
	v_mov_b32_e32 v16, 0
	v_mov_b32_e32 v17, 0
	v_mov_b32_e32 v18, 0
	v_mov_b32_e32 v19, 0
	v_mov_b32_e32 v20, 0
	v_mov_b32_e32 v21, 0
	v_mov_b32_e32 v10, 0
	v_mov_b32_e32 v11, 0
	v_mov_b32_e32 v12, 0
	v_mov_b32_e32 v13, 0
	v_mov_b32_e32 v6, 0
	v_mov_b32_e32 v7, 0
	v_mov_b32_e32 v8, 0
	v_mov_b32_e32 v9, 0
	v_mov_b32_e32 v2, 0
	v_mov_b32_e32 v3, 0
	v_mov_b32_e32 v4, 0
	v_mov_b32_e32 v5, 0
	s_waitcnt vmcnt(63) expcnt(7) lgkmcnt(15)
	s_barrier
	s_and_saveexec_b64 s[0:1], vcc
	s_cbranch_execz .LBB69_34
; %bb.33:
	s_mul_hi_i32 s5, s18, s6
	s_mul_i32 s4, s18, s6
	s_and_b32 s21, s21, 0xffff
	s_lshl_b64 s[4:5], s[4:5], 1
	s_add_u32 s8, s34, s4
	s_mov_b32 s23, 0x20000
	s_addc_u32 s4, s35, s5
	s_and_b32 s9, s4, 0xffff
	s_mov_b32 s10, s22
	s_mov_b32 s11, s23
	s_movk_i32 s5, 0x800
	s_movk_i32 s4, 0x400
	buffer_load_dwordx4 v[22:25], v1, s[8:11], 0 offen glc slc
	buffer_load_dwordx4 v[14:17], v1, s[8:11], s4 offen glc slc
	;; [unrolled: 1-line block ×3, first 2 shown]
	buffer_load_dwordx4 v[10:13], v1, s[20:23], 0 offen
	buffer_load_dwordx4 v[6:9], v1, s[20:23], s4 offen
	;; [unrolled: 1-line block ×3, first 2 shown]
.LBB69_34:
	s_or_b64 exec, exec, s[0:1]
	v_mov_b32_e32 v27, 0
	v_mov_b32_e32 v48, 0
	;; [unrolled: 1-line block ×9, first 2 shown]
	s_waitcnt vmcnt(2)
	v_mov_b32_e32 v40, 0
	s_waitcnt vmcnt(1)
	v_mov_b32_e32 v41, 0
	v_mov_b32_e32 v38, 0
	;; [unrolled: 1-line block ×4, first 2 shown]
	s_waitcnt vmcnt(0)
	v_mov_b32_e32 v37, 0
	v_mov_b32_e32 v34, 0
	;; [unrolled: 1-line block ×9, first 2 shown]
	s_and_saveexec_b64 s[0:1], vcc
	s_cbranch_execz .LBB69_36
; %bb.35:
	v_cvt_f32_f16_sdwa v27, v22 dst_sel:DWORD dst_unused:UNUSED_PAD src0_sel:WORD_1
	v_cvt_f32_f16_e32 v26, v22
	v_cvt_f32_f16_sdwa v49, v23 dst_sel:DWORD dst_unused:UNUSED_PAD src0_sel:WORD_1
	v_cvt_f32_f16_e32 v48, v23
	;; [unrolled: 2-line block ×12, first 2 shown]
.LBB69_36:
	s_or_b64 exec, exec, s[0:1]
	v_mul_f32_e32 v14, v27, v27
	v_fmac_f32_e32 v14, v26, v26
	v_fmac_f32_e32 v14, v48, v48
	;; [unrolled: 1-line block ×23, first 2 shown]
	s_nop 1
	v_mov_b32_dpp v15, v14 quad_perm:[1,0,3,2] row_mask:0xf bank_mask:0xf
	v_add_f32_e32 v14, v14, v15
	s_nop 1
	v_mov_b32_dpp v15, v14 quad_perm:[2,3,0,1] row_mask:0xf bank_mask:0xf
	v_add_f32_e32 v14, v14, v15
	s_nop 1
	v_mov_b32_dpp v15, v14 row_half_mirror row_mask:0xf bank_mask:0xf
	v_add_f32_e32 v14, v14, v15
	s_nop 1
	v_mov_b32_dpp v15, v14 row_mirror row_mask:0xf bank_mask:0xf
	v_add_f32_e32 v14, v14, v15
	s_nop 1
	v_mov_b32_dpp v15, v14 row_bcast:15 row_mask:0xf bank_mask:0xf
	v_add_f32_e32 v14, v14, v15
	s_nop 1
	v_mov_b32_dpp v15, v14 row_bcast:31 row_mask:0xf bank_mask:0xf
	s_and_saveexec_b64 s[0:1], s[2:3]
	s_cbranch_execz .LBB69_38
; %bb.37:
	v_lshrrev_b32_e32 v0, 4, v0
	v_add_f32_e32 v14, v14, v15
	v_and_b32_e32 v0, 60, v0
	ds_write_b32 v0, v14 offset:16
.LBB69_38:
	s_or_b64 exec, exec, s[0:1]
	s_waitcnt lgkmcnt(0)
	s_barrier
	ds_read_b32 v0, v50 offset:16
	s_waitcnt lgkmcnt(0)
	s_nop 0
	v_mov_b32_dpp v14, v0 quad_perm:[1,0,3,2] row_mask:0xf bank_mask:0xf
	v_add_f32_e32 v0, v0, v14
	s_nop 1
	v_mov_b32_dpp v14, v0 quad_perm:[2,3,0,1] row_mask:0xf bank_mask:0xf
	s_and_saveexec_b64 s[0:1], vcc
	s_cbranch_execz .LBB69_17
; %bb.39:
	v_cvt_f32_u32_e32 v15, s16
	v_add_f32_e32 v0, v0, v14
	s_mov_b32 s23, 0x20000
	v_div_scale_f32 v14, s[0:1], v15, v15, v0
	v_rcp_f32_e32 v16, v14
	v_div_scale_f32 v17, vcc, v0, v15, v0
	s_mov_b32 s0, 0x800000
	v_fma_f32 v18, -v14, v16, 1.0
	v_fmac_f32_e32 v16, v18, v16
	v_mul_f32_e32 v18, v17, v16
	v_fma_f32 v19, -v14, v18, v17
	v_fmac_f32_e32 v18, v19, v16
	v_fma_f32 v14, -v14, v18, v17
	v_div_fmas_f32 v14, v14, v16, v18
	v_div_fixup_f32 v0, v14, v15, v0
	v_add_f32_e32 v0, s13, v0
	v_mul_f32_e32 v14, 0x4b800000, v0
	v_cmp_gt_f32_e32 vcc, s0, v0
	v_cndmask_b32_e32 v0, v0, v14, vcc
	v_rsq_f32_e32 v0, v0
	s_mul_hi_i32 s1, s28, s6
	s_mul_i32 s0, s28, s6
	s_lshl_b64 s[0:1], s[0:1], 1
	v_mul_f32_e32 v14, 0x45800000, v0
	v_cndmask_b32_e32 v14, v0, v14, vcc
	v_mov_b32_e32 v15, v14
	;;#ASMSTART
	v_pk_mul_f32 v[16:17], v[26:27], v[14:15]
	;;#ASMEND
	;;#ASMSTART
	v_pk_mul_f32 v[18:19], v[48:49], v[14:15]
	;;#ASMEND
	;; [unrolled: 3-line block ×6, first 2 shown]
	v_cvt_f32_f16_sdwa v41, v10 dst_sel:DWORD dst_unused:UNUSED_PAD src0_sel:WORD_1
	v_cvt_f32_f16_e32 v40, v10
	v_cvt_f32_f16_sdwa v43, v11 dst_sel:DWORD dst_unused:UNUSED_PAD src0_sel:WORD_1
	v_cvt_f32_f16_e32 v42, v11
	;;#ASMSTART
	v_pk_mul_f32 v[38:39], v[38:39], v[14:15]
	;;#ASMEND
	;;#ASMSTART
	v_pk_mul_f32 v[36:37], v[36:37], v[14:15]
	;;#ASMEND
	;; [unrolled: 3-line block ×6, first 2 shown]
	v_cvt_f32_f16_sdwa v29, v12 dst_sel:DWORD dst_unused:UNUSED_PAD src0_sel:WORD_1
	v_cvt_f32_f16_e32 v28, v12
	v_pk_add_f32 v[14:15], v[40:41], 1.0 op_sel_hi:[1,0]
	;;#ASMSTART
	v_pk_mul_f32 v[14:15], v[16:17], v[14:15]
	;;#ASMEND
	v_pk_add_f32 v[16:17], v[42:43], 1.0 op_sel_hi:[1,0]
	v_cvt_f32_f16_sdwa v41, v13 dst_sel:DWORD dst_unused:UNUSED_PAD src0_sel:WORD_1
	v_cvt_f32_f16_e32 v40, v13
	;;#ASMSTART
	v_pk_mul_f32 v[12:13], v[18:19], v[16:17]
	;;#ASMEND
	v_pk_add_f32 v[16:17], v[28:29], 1.0 op_sel_hi:[1,0]
	;;#ASMSTART
	v_pk_mul_f32 v[16:17], v[20:21], v[16:17]
	;;#ASMEND
	v_cvt_f32_f16_sdwa v21, v6 dst_sel:DWORD dst_unused:UNUSED_PAD src0_sel:WORD_1
	v_cvt_f32_f16_e32 v20, v6
	v_pk_add_f32 v[18:19], v[40:41], 1.0 op_sel_hi:[1,0]
	v_cvt_f32_f16_sdwa v29, v7 dst_sel:DWORD dst_unused:UNUSED_PAD src0_sel:WORD_1
	v_cvt_f32_f16_e32 v28, v7
	;;#ASMSTART
	v_pk_mul_f32 v[6:7], v[22:23], v[18:19]
	;;#ASMEND
	v_pk_add_f32 v[18:19], v[20:21], 1.0 op_sel_hi:[1,0]
	;;#ASMSTART
	v_pk_mul_f32 v[18:19], v[24:25], v[18:19]
	;;#ASMEND
	v_cvt_f32_f16_sdwa v23, v8 dst_sel:DWORD dst_unused:UNUSED_PAD src0_sel:WORD_1
	v_cvt_f32_f16_e32 v22, v8
	v_cvt_f32_f16_sdwa v25, v9 dst_sel:DWORD dst_unused:UNUSED_PAD src0_sel:WORD_1
	v_cvt_f32_f16_e32 v24, v9
	v_pk_add_f32 v[20:21], v[28:29], 1.0 op_sel_hi:[1,0]
	;;#ASMSTART
	v_pk_mul_f32 v[8:9], v[26:27], v[20:21]
	;;#ASMEND
	v_pk_add_f32 v[20:21], v[22:23], 1.0 op_sel_hi:[1,0]
	v_pk_add_f32 v[22:23], v[24:25], 1.0 op_sel_hi:[1,0]
	v_cvt_f32_f16_sdwa v25, v2 dst_sel:DWORD dst_unused:UNUSED_PAD src0_sel:WORD_1
	v_cvt_f32_f16_e32 v24, v2
	v_cvt_f32_f16_sdwa v27, v3 dst_sel:DWORD dst_unused:UNUSED_PAD src0_sel:WORD_1
	v_cvt_f32_f16_e32 v26, v3
	;;#ASMSTART
	v_pk_mul_f32 v[20:21], v[38:39], v[20:21]
	;;#ASMEND
	v_pk_add_f32 v[2:3], v[24:25], 1.0 op_sel_hi:[1,0]
	;;#ASMSTART
	v_pk_mul_f32 v[22:23], v[36:37], v[22:23]
	;;#ASMEND
	;;#ASMSTART
	v_pk_mul_f32 v[24:25], v[34:35], v[2:3]
	;;#ASMEND
	v_pk_add_f32 v[2:3], v[26:27], 1.0 op_sel_hi:[1,0]
	v_cvt_f32_f16_sdwa v27, v4 dst_sel:DWORD dst_unused:UNUSED_PAD src0_sel:WORD_1
	v_cvt_f32_f16_e32 v26, v4
	v_cvt_f32_f16_sdwa v29, v5 dst_sel:DWORD dst_unused:UNUSED_PAD src0_sel:WORD_1
	v_cvt_f32_f16_e32 v28, v5
	;;#ASMSTART
	v_pk_mul_f32 v[32:33], v[32:33], v[2:3]
	;;#ASMEND
	v_pk_add_f32 v[2:3], v[26:27], 1.0 op_sel_hi:[1,0]
	;;#ASMSTART
	v_pk_mul_f32 v[26:27], v[30:31], v[2:3]
	;;#ASMEND
	v_pk_add_f32 v[2:3], v[28:29], 1.0 op_sel_hi:[1,0]
	;;#ASMSTART
	v_pk_mul_f32 v[10:11], v[10:11], v[2:3]
	;;#ASMEND
	v_cvt_f16_f32_e32 v0, v14
	v_cvt_f16_f32_e32 v2, v15
	;; [unrolled: 1-line block ×8, first 2 shown]
	s_add_u32 s20, s30, s0
	s_addc_u32 s0, s31, s1
	s_and_b32 s21, s0, 0xffff
	v_pack_b32_f16 v2, v0, v2
	v_pack_b32_f16 v3, v3, v4
	;; [unrolled: 1-line block ×4, first 2 shown]
	buffer_store_dwordx4 v[2:5], v1, s[20:23], 0 offen
	v_cvt_f16_f32_e32 v0, v18
	v_cvt_f16_f32_e32 v2, v19
	;; [unrolled: 1-line block ×8, first 2 shown]
	v_pack_b32_f16 v2, v0, v2
	v_pack_b32_f16 v3, v3, v4
	;; [unrolled: 1-line block ×4, first 2 shown]
	s_movk_i32 s0, 0x400
	;;#ASMSTART
	s_nop 0
	;;#ASMEND
	buffer_store_dwordx4 v[2:5], v1, s[20:23], s0 offen
	v_cvt_f16_f32_e32 v0, v24
	v_cvt_f16_f32_e32 v2, v25
	v_cvt_f16_f32_e32 v3, v32
	v_cvt_f16_f32_e32 v4, v33
	v_cvt_f16_f32_e32 v5, v26
	v_cvt_f16_f32_e32 v6, v27
	v_cvt_f16_f32_e32 v7, v10
	v_cvt_f16_f32_e32 v8, v11
	v_pack_b32_f16 v2, v0, v2
	v_pack_b32_f16 v3, v3, v4
	;; [unrolled: 1-line block ×4, first 2 shown]
	s_movk_i32 s0, 0x800
	;;#ASMSTART
	s_nop 0
	;;#ASMEND
	buffer_store_dwordx4 v[2:5], v1, s[20:23], s0 offen
	;;#ASMSTART
	s_nop 0
	;;#ASMEND
	s_endpgm
	.section	.rodata,"a",@progbits
	.p2align	6, 0x0
	.amdhsa_kernel _ZN5aiter35fused_qk_rmsnorm_group_quant_kernelIDF16_DB8_Li256ELi24ELi1ELb1ELb0ELb1ELb0ELb1ELb1EEEvPT0_PvPT_S6_S6_PKS5_S8_S8_S8_S8_ffiiiiiiiiiiiii
		.amdhsa_group_segment_fixed_size 48
		.amdhsa_private_segment_fixed_size 1156
		.amdhsa_kernarg_size 400
		.amdhsa_user_sgpr_count 6
		.amdhsa_user_sgpr_private_segment_buffer 1
		.amdhsa_user_sgpr_dispatch_ptr 0
		.amdhsa_user_sgpr_queue_ptr 0
		.amdhsa_user_sgpr_kernarg_segment_ptr 1
		.amdhsa_user_sgpr_dispatch_id 0
		.amdhsa_user_sgpr_flat_scratch_init 0
		.amdhsa_user_sgpr_kernarg_preload_length 0
		.amdhsa_user_sgpr_kernarg_preload_offset 0
		.amdhsa_user_sgpr_private_segment_size 0
		.amdhsa_uses_dynamic_stack 0
		.amdhsa_system_sgpr_private_segment_wavefront_offset 1
		.amdhsa_system_sgpr_workgroup_id_x 1
		.amdhsa_system_sgpr_workgroup_id_y 1
		.amdhsa_system_sgpr_workgroup_id_z 0
		.amdhsa_system_sgpr_workgroup_info 0
		.amdhsa_system_vgpr_workitem_id 0
		.amdhsa_next_free_vgpr 126
		.amdhsa_next_free_sgpr 44
		.amdhsa_accum_offset 128
		.amdhsa_reserve_vcc 1
		.amdhsa_reserve_flat_scratch 0
		.amdhsa_float_round_mode_32 0
		.amdhsa_float_round_mode_16_64 0
		.amdhsa_float_denorm_mode_32 3
		.amdhsa_float_denorm_mode_16_64 3
		.amdhsa_dx10_clamp 1
		.amdhsa_ieee_mode 1
		.amdhsa_fp16_overflow 0
		.amdhsa_tg_split 0
		.amdhsa_exception_fp_ieee_invalid_op 0
		.amdhsa_exception_fp_denorm_src 0
		.amdhsa_exception_fp_ieee_div_zero 0
		.amdhsa_exception_fp_ieee_overflow 0
		.amdhsa_exception_fp_ieee_underflow 0
		.amdhsa_exception_fp_ieee_inexact 0
		.amdhsa_exception_int_div_zero 0
	.end_amdhsa_kernel
	.section	.text._ZN5aiter35fused_qk_rmsnorm_group_quant_kernelIDF16_DB8_Li256ELi24ELi1ELb1ELb0ELb1ELb0ELb1ELb1EEEvPT0_PvPT_S6_S6_PKS5_S8_S8_S8_S8_ffiiiiiiiiiiiii,"axG",@progbits,_ZN5aiter35fused_qk_rmsnorm_group_quant_kernelIDF16_DB8_Li256ELi24ELi1ELb1ELb0ELb1ELb0ELb1ELb1EEEvPT0_PvPT_S6_S6_PKS5_S8_S8_S8_S8_ffiiiiiiiiiiiii,comdat
.Lfunc_end69:
	.size	_ZN5aiter35fused_qk_rmsnorm_group_quant_kernelIDF16_DB8_Li256ELi24ELi1ELb1ELb0ELb1ELb0ELb1ELb1EEEvPT0_PvPT_S6_S6_PKS5_S8_S8_S8_S8_ffiiiiiiiiiiiii, .Lfunc_end69-_ZN5aiter35fused_qk_rmsnorm_group_quant_kernelIDF16_DB8_Li256ELi24ELi1ELb1ELb0ELb1ELb0ELb1ELb1EEEvPT0_PvPT_S6_S6_PKS5_S8_S8_S8_S8_ffiiiiiiiiiiiii
                                        ; -- End function
	.section	.AMDGPU.csdata,"",@progbits
; Kernel info:
; codeLenInByte = 29496
; NumSgprs: 48
; NumVgprs: 126
; NumAgprs: 0
; TotalNumVgprs: 126
; ScratchSize: 1156
; MemoryBound: 0
; FloatMode: 240
; IeeeMode: 1
; LDSByteSize: 48 bytes/workgroup (compile time only)
; SGPRBlocks: 5
; VGPRBlocks: 15
; NumSGPRsForWavesPerEU: 48
; NumVGPRsForWavesPerEU: 126
; AccumOffset: 128
; Occupancy: 4
; WaveLimiterHint : 0
; COMPUTE_PGM_RSRC2:SCRATCH_EN: 1
; COMPUTE_PGM_RSRC2:USER_SGPR: 6
; COMPUTE_PGM_RSRC2:TRAP_HANDLER: 0
; COMPUTE_PGM_RSRC2:TGID_X_EN: 1
; COMPUTE_PGM_RSRC2:TGID_Y_EN: 1
; COMPUTE_PGM_RSRC2:TGID_Z_EN: 0
; COMPUTE_PGM_RSRC2:TIDIG_COMP_CNT: 0
; COMPUTE_PGM_RSRC3_GFX90A:ACCUM_OFFSET: 31
; COMPUTE_PGM_RSRC3_GFX90A:TG_SPLIT: 0
	.section	.text._ZN5aiter35fused_qk_rmsnorm_group_quant_kernelItDB8_Li256ELi24ELi1ELb1ELb0ELb1ELb0ELb1ELb1EEEvPT0_PvPT_S6_S6_PKS5_S8_S8_S8_S8_ffiiiiiiiiiiiii,"axG",@progbits,_ZN5aiter35fused_qk_rmsnorm_group_quant_kernelItDB8_Li256ELi24ELi1ELb1ELb0ELb1ELb0ELb1ELb1EEEvPT0_PvPT_S6_S6_PKS5_S8_S8_S8_S8_ffiiiiiiiiiiiii,comdat
	.protected	_ZN5aiter35fused_qk_rmsnorm_group_quant_kernelItDB8_Li256ELi24ELi1ELb1ELb0ELb1ELb0ELb1ELb1EEEvPT0_PvPT_S6_S6_PKS5_S8_S8_S8_S8_ffiiiiiiiiiiiii ; -- Begin function _ZN5aiter35fused_qk_rmsnorm_group_quant_kernelItDB8_Li256ELi24ELi1ELb1ELb0ELb1ELb0ELb1ELb1EEEvPT0_PvPT_S6_S6_PKS5_S8_S8_S8_S8_ffiiiiiiiiiiiii
	.globl	_ZN5aiter35fused_qk_rmsnorm_group_quant_kernelItDB8_Li256ELi24ELi1ELb1ELb0ELb1ELb0ELb1ELb1EEEvPT0_PvPT_S6_S6_PKS5_S8_S8_S8_S8_ffiiiiiiiiiiiii
	.p2align	8
	.type	_ZN5aiter35fused_qk_rmsnorm_group_quant_kernelItDB8_Li256ELi24ELi1ELb1ELb0ELb1ELb0ELb1ELb1EEEvPT0_PvPT_S6_S6_PKS5_S8_S8_S8_S8_ffiiiiiiiiiiiii,@function
_ZN5aiter35fused_qk_rmsnorm_group_quant_kernelItDB8_Li256ELi24ELi1ELb1ELb0ELb1ELb0ELb1ELb1EEEvPT0_PvPT_S6_S6_PKS5_S8_S8_S8_S8_ffiiiiiiiiiiiii: ; @_ZN5aiter35fused_qk_rmsnorm_group_quant_kernelItDB8_Li256ELi24ELi1ELb1ELb0ELb1ELb0ELb1ELb1EEEvPT0_PvPT_S6_S6_PKS5_S8_S8_S8_S8_ffiiiiiiiiiiiii
; %bb.0:
	s_load_dwordx8 s[12:19], s[4:5], 0x50
	s_mov_b64 s[42:43], s[2:3]
	s_mov_b64 s[40:41], s[0:1]
	s_add_u32 s40, s40, s8
	s_addc_u32 s41, s41, 0
	s_waitcnt lgkmcnt(0)
	s_cmp_ge_i32 s6, s14
	s_cbranch_scc1 .LBB70_17
; %bb.1:
	s_cmp_lg_u32 s7, 0
	s_cselect_b64 s[22:23], -1, 0
	s_cmp_eq_u32 s7, 0
	s_cselect_b64 s[8:9], -1, 0
	s_and_b64 s[0:1], s[8:9], exec
	s_cselect_b32 s7, s15, s16
	s_add_i32 s0, s7, 1
	s_load_dwordx2 s[10:11], s[4:5], 0x70
	s_load_dwordx2 s[20:21], s[4:5], 0x48
	s_load_dwordx2 s[34:35], s[4:5], 0x30
	s_lshr_b32 s1, s0, 31
	s_add_i32 s0, s0, s1
	s_lshl_b32 s0, s0, 1
	v_and_b32_e32 v1, 0x3c0, v0
	s_and_b32 s26, s0, -4
	v_lshlrev_b32_e32 v2, 3, v0
	v_mul_u32_u24_e32 v1, 24, v1
	s_movk_i32 s0, 0x1f8
	v_and_or_b32 v68, v2, s0, v1
	v_cmp_gt_i32_e64 s[0:1], s7, v68
	v_mov_b32_e32 v120, 0
	v_mov_b32_e32 v121, 0
	;; [unrolled: 1-line block ×24, first 2 shown]
	s_and_saveexec_b64 s[2:3], s[0:1]
	s_cbranch_execz .LBB70_3
; %bb.2:
	s_load_dwordx2 s[24:25], s[4:5], 0x28
	s_load_dwordx2 s[30:31], s[4:5], 0x40
	s_and_b64 s[28:29], s[8:9], exec
	s_cselect_b32 s14, s17, s18
	v_lshlrev_b32_e32 v1, 1, v68
	s_waitcnt lgkmcnt(0)
	s_cselect_b32 s17, s25, s35
	s_cselect_b32 s27, s24, s34
	s_mul_hi_i32 s25, s14, s6
	s_mul_i32 s24, s14, s6
	s_lshl_b64 s[24:25], s[24:25], 1
	s_add_u32 s28, s27, s24
	s_addc_u32 s14, s17, s25
	s_and_b64 s[24:25], s[8:9], exec
	s_cselect_b32 s17, s31, s21
	s_mov_b32 s27, 0x20000
	s_cselect_b32 s24, s30, s20
	s_and_b32 s25, s17, 0xffff
	s_and_b32 s29, s14, 0xffff
	s_mov_b32 s30, s26
	s_mov_b32 s31, s27
	s_movk_i32 s17, 0x800
	s_movk_i32 s14, 0x400
	buffer_load_dwordx4 v[124:127], v1, s[28:31], 0 offen glc slc
	buffer_load_dwordx4 v[108:111], v1, s[28:31], s14 offen glc slc
	;; [unrolled: 1-line block ×3, first 2 shown]
	buffer_load_dwordx4 v[120:123], v1, s[24:27], 0 offen
	buffer_load_dwordx4 v[116:119], v1, s[24:27], s14 offen
	;; [unrolled: 1-line block ×3, first 2 shown]
.LBB70_3:
	s_or_b64 exec, exec, s[2:3]
	s_load_dwordx2 s[28:29], s[4:5], 0x80
	s_and_b64 vcc, exec, s[22:23]
	s_cbranch_vccz .LBB70_7
; %bb.4:
	v_mov_b32_e32 v29, 0
	v_mov_b32_e32 v28, 0
	;; [unrolled: 1-line block ×4, first 2 shown]
	buffer_store_dword v0, off, s[40:43], 0 offset:768 ; 4-byte Folded Spill
	s_nop 0
	buffer_store_dword v1, off, s[40:43], 0 offset:772 ; 4-byte Folded Spill
	buffer_store_dword v2, off, s[40:43], 0 offset:776 ; 4-byte Folded Spill
	;; [unrolled: 1-line block ×31, first 2 shown]
	v_mov_b32_e32 v19, 0
	v_mov_b32_e32 v18, 0
	;; [unrolled: 1-line block ×8, first 2 shown]
	buffer_store_dword v0, off, s[40:43], 0 ; 4-byte Folded Spill
	s_nop 0
	buffer_store_dword v1, off, s[40:43], 0 offset:4 ; 4-byte Folded Spill
	buffer_store_dword v2, off, s[40:43], 0 offset:8 ; 4-byte Folded Spill
	buffer_store_dword v3, off, s[40:43], 0 offset:12 ; 4-byte Folded Spill
	buffer_store_dword v4, off, s[40:43], 0 offset:16 ; 4-byte Folded Spill
	buffer_store_dword v5, off, s[40:43], 0 offset:20 ; 4-byte Folded Spill
	buffer_store_dword v6, off, s[40:43], 0 offset:24 ; 4-byte Folded Spill
	buffer_store_dword v7, off, s[40:43], 0 offset:28 ; 4-byte Folded Spill
	buffer_store_dword v8, off, s[40:43], 0 offset:32 ; 4-byte Folded Spill
	buffer_store_dword v9, off, s[40:43], 0 offset:36 ; 4-byte Folded Spill
	buffer_store_dword v10, off, s[40:43], 0 offset:40 ; 4-byte Folded Spill
	buffer_store_dword v11, off, s[40:43], 0 offset:44 ; 4-byte Folded Spill
	buffer_store_dword v12, off, s[40:43], 0 offset:48 ; 4-byte Folded Spill
	buffer_store_dword v13, off, s[40:43], 0 offset:52 ; 4-byte Folded Spill
	buffer_store_dword v14, off, s[40:43], 0 offset:56 ; 4-byte Folded Spill
	buffer_store_dword v15, off, s[40:43], 0 offset:60 ; 4-byte Folded Spill
	buffer_store_dword v16, off, s[40:43], 0 offset:64 ; 4-byte Folded Spill
	buffer_store_dword v17, off, s[40:43], 0 offset:68 ; 4-byte Folded Spill
	buffer_store_dword v18, off, s[40:43], 0 offset:72 ; 4-byte Folded Spill
	buffer_store_dword v19, off, s[40:43], 0 offset:76 ; 4-byte Folded Spill
	buffer_store_dword v20, off, s[40:43], 0 offset:80 ; 4-byte Folded Spill
	buffer_store_dword v21, off, s[40:43], 0 offset:84 ; 4-byte Folded Spill
	buffer_store_dword v22, off, s[40:43], 0 offset:88 ; 4-byte Folded Spill
	buffer_store_dword v23, off, s[40:43], 0 offset:92 ; 4-byte Folded Spill
	buffer_store_dword v24, off, s[40:43], 0 offset:96 ; 4-byte Folded Spill
	buffer_store_dword v25, off, s[40:43], 0 offset:100 ; 4-byte Folded Spill
	buffer_store_dword v26, off, s[40:43], 0 offset:104 ; 4-byte Folded Spill
	buffer_store_dword v27, off, s[40:43], 0 offset:108 ; 4-byte Folded Spill
	buffer_store_dword v28, off, s[40:43], 0 offset:112 ; 4-byte Folded Spill
	buffer_store_dword v29, off, s[40:43], 0 offset:116 ; 4-byte Folded Spill
	buffer_store_dword v30, off, s[40:43], 0 offset:120 ; 4-byte Folded Spill
	buffer_store_dword v31, off, s[40:43], 0 offset:124 ; 4-byte Folded Spill
	v_mov_b32_e32 v17, 0
	v_mov_b32_e32 v16, 0
	buffer_store_dword v0, off, s[40:43], 0 offset:256 ; 4-byte Folded Spill
	s_nop 0
	buffer_store_dword v1, off, s[40:43], 0 offset:260 ; 4-byte Folded Spill
	buffer_store_dword v2, off, s[40:43], 0 offset:264 ; 4-byte Folded Spill
	buffer_store_dword v3, off, s[40:43], 0 offset:268 ; 4-byte Folded Spill
	buffer_store_dword v4, off, s[40:43], 0 offset:272 ; 4-byte Folded Spill
	buffer_store_dword v5, off, s[40:43], 0 offset:276 ; 4-byte Folded Spill
	buffer_store_dword v6, off, s[40:43], 0 offset:280 ; 4-byte Folded Spill
	buffer_store_dword v7, off, s[40:43], 0 offset:284 ; 4-byte Folded Spill
	buffer_store_dword v8, off, s[40:43], 0 offset:288 ; 4-byte Folded Spill
	buffer_store_dword v9, off, s[40:43], 0 offset:292 ; 4-byte Folded Spill
	buffer_store_dword v10, off, s[40:43], 0 offset:296 ; 4-byte Folded Spill
	buffer_store_dword v11, off, s[40:43], 0 offset:300 ; 4-byte Folded Spill
	buffer_store_dword v12, off, s[40:43], 0 offset:304 ; 4-byte Folded Spill
	buffer_store_dword v13, off, s[40:43], 0 offset:308 ; 4-byte Folded Spill
	buffer_store_dword v14, off, s[40:43], 0 offset:312 ; 4-byte Folded Spill
	buffer_store_dword v15, off, s[40:43], 0 offset:316 ; 4-byte Folded Spill
	buffer_store_dword v16, off, s[40:43], 0 offset:320 ; 4-byte Folded Spill
	buffer_store_dword v17, off, s[40:43], 0 offset:324 ; 4-byte Folded Spill
	buffer_store_dword v18, off, s[40:43], 0 offset:328 ; 4-byte Folded Spill
	buffer_store_dword v19, off, s[40:43], 0 offset:332 ; 4-byte Folded Spill
	buffer_store_dword v20, off, s[40:43], 0 offset:336 ; 4-byte Folded Spill
	buffer_store_dword v21, off, s[40:43], 0 offset:340 ; 4-byte Folded Spill
	buffer_store_dword v22, off, s[40:43], 0 offset:344 ; 4-byte Folded Spill
	buffer_store_dword v23, off, s[40:43], 0 offset:348 ; 4-byte Folded Spill
	buffer_store_dword v24, off, s[40:43], 0 offset:352 ; 4-byte Folded Spill
	buffer_store_dword v25, off, s[40:43], 0 offset:356 ; 4-byte Folded Spill
	buffer_store_dword v26, off, s[40:43], 0 offset:360 ; 4-byte Folded Spill
	buffer_store_dword v27, off, s[40:43], 0 offset:364 ; 4-byte Folded Spill
	buffer_store_dword v28, off, s[40:43], 0 offset:368 ; 4-byte Folded Spill
	buffer_store_dword v29, off, s[40:43], 0 offset:372 ; 4-byte Folded Spill
	buffer_store_dword v30, off, s[40:43], 0 offset:376 ; 4-byte Folded Spill
	buffer_store_dword v31, off, s[40:43], 0 offset:380 ; 4-byte Folded Spill
	v_mov_b32_e32 v15, 0
	v_mov_b32_e32 v14, 0
	buffer_store_dword v0, off, s[40:43], 0 offset:128 ; 4-byte Folded Spill
	;; [unrolled: 35-line block ×5, first 2 shown]
	s_nop 0
	buffer_store_dword v1, off, s[40:43], 0 offset:644 ; 4-byte Folded Spill
	buffer_store_dword v2, off, s[40:43], 0 offset:648 ; 4-byte Folded Spill
	;; [unrolled: 1-line block ×31, first 2 shown]
	v_mov_b32_e32 v5, 0
	v_mov_b32_e32 v4, 0
	s_and_saveexec_b64 s[2:3], s[0:1]
	s_cbranch_execz .LBB70_6
; %bb.5:
	s_waitcnt vmcnt(62)
	v_cvt_f32_u32_sdwa v4, v125 dst_sel:DWORD dst_unused:UNUSED_PAD src0_sel:WORD_0
	v_cvt_f32_u32_sdwa v5, v125 dst_sel:DWORD dst_unused:UNUSED_PAD src0_sel:WORD_1
	v_cvt_f32_u32_sdwa v8, v108 dst_sel:DWORD dst_unused:UNUSED_PAD src0_sel:WORD_0
	v_cvt_f32_u32_sdwa v9, v108 dst_sel:DWORD dst_unused:UNUSED_PAD src0_sel:WORD_1
	buffer_store_dword v0, off, s[40:43], 0 offset:640 ; 4-byte Folded Spill
	s_nop 0
	buffer_store_dword v1, off, s[40:43], 0 offset:644 ; 4-byte Folded Spill
	buffer_store_dword v2, off, s[40:43], 0 offset:648 ; 4-byte Folded Spill
	;; [unrolled: 1-line block ×31, first 2 shown]
	v_cvt_f32_u32_sdwa v10, v109 dst_sel:DWORD dst_unused:UNUSED_PAD src0_sel:WORD_0
	v_cvt_f32_u32_sdwa v11, v109 dst_sel:DWORD dst_unused:UNUSED_PAD src0_sel:WORD_1
	v_cvt_f32_u32_sdwa v34, v124 dst_sel:DWORD dst_unused:UNUSED_PAD src0_sel:WORD_0
	v_cvt_f32_u32_sdwa v35, v124 dst_sel:DWORD dst_unused:UNUSED_PAD src0_sel:WORD_1
	;; [unrolled: 2-line block ×4, first 2 shown]
	buffer_store_dword v0, off, s[40:43], 0 offset:512 ; 4-byte Folded Spill
	s_nop 0
	buffer_store_dword v1, off, s[40:43], 0 offset:516 ; 4-byte Folded Spill
	buffer_store_dword v2, off, s[40:43], 0 offset:520 ; 4-byte Folded Spill
	buffer_store_dword v3, off, s[40:43], 0 offset:524 ; 4-byte Folded Spill
	buffer_store_dword v4, off, s[40:43], 0 offset:528 ; 4-byte Folded Spill
	buffer_store_dword v5, off, s[40:43], 0 offset:532 ; 4-byte Folded Spill
	buffer_store_dword v6, off, s[40:43], 0 offset:536 ; 4-byte Folded Spill
	buffer_store_dword v7, off, s[40:43], 0 offset:540 ; 4-byte Folded Spill
	buffer_store_dword v8, off, s[40:43], 0 offset:544 ; 4-byte Folded Spill
	buffer_store_dword v9, off, s[40:43], 0 offset:548 ; 4-byte Folded Spill
	buffer_store_dword v10, off, s[40:43], 0 offset:552 ; 4-byte Folded Spill
	buffer_store_dword v11, off, s[40:43], 0 offset:556 ; 4-byte Folded Spill
	buffer_store_dword v12, off, s[40:43], 0 offset:560 ; 4-byte Folded Spill
	buffer_store_dword v13, off, s[40:43], 0 offset:564 ; 4-byte Folded Spill
	buffer_store_dword v14, off, s[40:43], 0 offset:568 ; 4-byte Folded Spill
	buffer_store_dword v15, off, s[40:43], 0 offset:572 ; 4-byte Folded Spill
	buffer_store_dword v16, off, s[40:43], 0 offset:576 ; 4-byte Folded Spill
	buffer_store_dword v17, off, s[40:43], 0 offset:580 ; 4-byte Folded Spill
	buffer_store_dword v18, off, s[40:43], 0 offset:584 ; 4-byte Folded Spill
	buffer_store_dword v19, off, s[40:43], 0 offset:588 ; 4-byte Folded Spill
	buffer_store_dword v20, off, s[40:43], 0 offset:592 ; 4-byte Folded Spill
	buffer_store_dword v21, off, s[40:43], 0 offset:596 ; 4-byte Folded Spill
	buffer_store_dword v22, off, s[40:43], 0 offset:600 ; 4-byte Folded Spill
	buffer_store_dword v23, off, s[40:43], 0 offset:604 ; 4-byte Folded Spill
	buffer_store_dword v24, off, s[40:43], 0 offset:608 ; 4-byte Folded Spill
	buffer_store_dword v25, off, s[40:43], 0 offset:612 ; 4-byte Folded Spill
	buffer_store_dword v26, off, s[40:43], 0 offset:616 ; 4-byte Folded Spill
	buffer_store_dword v27, off, s[40:43], 0 offset:620 ; 4-byte Folded Spill
	buffer_store_dword v28, off, s[40:43], 0 offset:624 ; 4-byte Folded Spill
	buffer_store_dword v29, off, s[40:43], 0 offset:628 ; 4-byte Folded Spill
	buffer_store_dword v30, off, s[40:43], 0 offset:632 ; 4-byte Folded Spill
	buffer_store_dword v31, off, s[40:43], 0 offset:636 ; 4-byte Folded Spill
	v_cvt_f32_u32_sdwa v12, v110 dst_sel:DWORD dst_unused:UNUSED_PAD src0_sel:WORD_0
	v_cvt_f32_u32_sdwa v13, v110 dst_sel:DWORD dst_unused:UNUSED_PAD src0_sel:WORD_1
	buffer_store_dword v0, off, s[40:43], 0 offset:384 ; 4-byte Folded Spill
	s_nop 0
	buffer_store_dword v1, off, s[40:43], 0 offset:388 ; 4-byte Folded Spill
	buffer_store_dword v2, off, s[40:43], 0 offset:392 ; 4-byte Folded Spill
	buffer_store_dword v3, off, s[40:43], 0 offset:396 ; 4-byte Folded Spill
	buffer_store_dword v4, off, s[40:43], 0 offset:400 ; 4-byte Folded Spill
	buffer_store_dword v5, off, s[40:43], 0 offset:404 ; 4-byte Folded Spill
	buffer_store_dword v6, off, s[40:43], 0 offset:408 ; 4-byte Folded Spill
	buffer_store_dword v7, off, s[40:43], 0 offset:412 ; 4-byte Folded Spill
	buffer_store_dword v8, off, s[40:43], 0 offset:416 ; 4-byte Folded Spill
	buffer_store_dword v9, off, s[40:43], 0 offset:420 ; 4-byte Folded Spill
	buffer_store_dword v10, off, s[40:43], 0 offset:424 ; 4-byte Folded Spill
	buffer_store_dword v11, off, s[40:43], 0 offset:428 ; 4-byte Folded Spill
	buffer_store_dword v12, off, s[40:43], 0 offset:432 ; 4-byte Folded Spill
	buffer_store_dword v13, off, s[40:43], 0 offset:436 ; 4-byte Folded Spill
	buffer_store_dword v14, off, s[40:43], 0 offset:440 ; 4-byte Folded Spill
	buffer_store_dword v15, off, s[40:43], 0 offset:444 ; 4-byte Folded Spill
	buffer_store_dword v16, off, s[40:43], 0 offset:448 ; 4-byte Folded Spill
	buffer_store_dword v17, off, s[40:43], 0 offset:452 ; 4-byte Folded Spill
	buffer_store_dword v18, off, s[40:43], 0 offset:456 ; 4-byte Folded Spill
	buffer_store_dword v19, off, s[40:43], 0 offset:460 ; 4-byte Folded Spill
	buffer_store_dword v20, off, s[40:43], 0 offset:464 ; 4-byte Folded Spill
	buffer_store_dword v21, off, s[40:43], 0 offset:468 ; 4-byte Folded Spill
	buffer_store_dword v22, off, s[40:43], 0 offset:472 ; 4-byte Folded Spill
	buffer_store_dword v23, off, s[40:43], 0 offset:476 ; 4-byte Folded Spill
	buffer_store_dword v24, off, s[40:43], 0 offset:480 ; 4-byte Folded Spill
	buffer_store_dword v25, off, s[40:43], 0 offset:484 ; 4-byte Folded Spill
	buffer_store_dword v26, off, s[40:43], 0 offset:488 ; 4-byte Folded Spill
	buffer_store_dword v27, off, s[40:43], 0 offset:492 ; 4-byte Folded Spill
	buffer_store_dword v28, off, s[40:43], 0 offset:496 ; 4-byte Folded Spill
	buffer_store_dword v29, off, s[40:43], 0 offset:500 ; 4-byte Folded Spill
	buffer_store_dword v30, off, s[40:43], 0 offset:504 ; 4-byte Folded Spill
	buffer_store_dword v31, off, s[40:43], 0 offset:508 ; 4-byte Folded Spill
	v_cvt_f32_u32_sdwa v14, v111 dst_sel:DWORD dst_unused:UNUSED_PAD src0_sel:WORD_0
	v_cvt_f32_u32_sdwa v15, v111 dst_sel:DWORD dst_unused:UNUSED_PAD src0_sel:WORD_1
	;; [unrolled: 35-line block ×4, first 2 shown]
	buffer_store_dword v0, off, s[40:43], 0 ; 4-byte Folded Spill
	s_nop 0
	buffer_store_dword v1, off, s[40:43], 0 offset:4 ; 4-byte Folded Spill
	buffer_store_dword v2, off, s[40:43], 0 offset:8 ; 4-byte Folded Spill
	;; [unrolled: 1-line block ×31, first 2 shown]
	v_cvt_f32_u32_sdwa v20, v106 dst_sel:DWORD dst_unused:UNUSED_PAD src0_sel:WORD_0
	v_cvt_f32_u32_sdwa v21, v106 dst_sel:DWORD dst_unused:UNUSED_PAD src0_sel:WORD_1
	buffer_store_dword v0, off, s[40:43], 0 offset:768 ; 4-byte Folded Spill
	s_nop 0
	buffer_store_dword v1, off, s[40:43], 0 offset:772 ; 4-byte Folded Spill
	buffer_store_dword v2, off, s[40:43], 0 offset:776 ; 4-byte Folded Spill
	;; [unrolled: 1-line block ×31, first 2 shown]
	v_cvt_f32_u32_sdwa v28, v107 dst_sel:DWORD dst_unused:UNUSED_PAD src0_sel:WORD_0
	v_cvt_f32_u32_sdwa v29, v107 dst_sel:DWORD dst_unused:UNUSED_PAD src0_sel:WORD_1
.LBB70_6:
	s_or_b64 exec, exec, s[2:3]
	s_cbranch_execz .LBB70_8
	s_branch .LBB70_11
.LBB70_7:
	v_mov_b32_e32 v1, v68
                                        ; implicit-def: $vgpr34_vgpr35_vgpr36_vgpr37_vgpr38_vgpr39_vgpr40_vgpr41_vgpr42_vgpr43_vgpr44_vgpr45_vgpr46_vgpr47_vgpr48_vgpr49_vgpr50_vgpr51_vgpr52_vgpr53_vgpr54_vgpr55_vgpr56_vgpr57_vgpr58_vgpr59_vgpr60_vgpr61_vgpr62_vgpr63_vgpr64_vgpr65
                                        ; implicit-def: $vgpr66_vgpr67_vgpr68_vgpr69_vgpr70_vgpr71_vgpr72_vgpr73_vgpr74_vgpr75_vgpr76_vgpr77_vgpr78_vgpr79_vgpr80_vgpr81_vgpr82_vgpr83_vgpr84_vgpr85_vgpr86_vgpr87_vgpr88_vgpr89_vgpr90_vgpr91_vgpr92_vgpr93_vgpr94_vgpr95_vgpr96_vgpr97
                                        ; implicit-def: $vgpr36_vgpr37_vgpr38_vgpr39_vgpr40_vgpr41_vgpr42_vgpr43_vgpr44_vgpr45_vgpr46_vgpr47_vgpr48_vgpr49_vgpr50_vgpr51_vgpr52_vgpr53_vgpr54_vgpr55_vgpr56_vgpr57_vgpr58_vgpr59_vgpr60_vgpr61_vgpr62_vgpr63_vgpr64_vgpr65_vgpr66_vgpr67
                                        ; kill: killed $vgpr36_vgpr37_vgpr38_vgpr39_vgpr40_vgpr41_vgpr42_vgpr43_vgpr44_vgpr45_vgpr46_vgpr47_vgpr48_vgpr49_vgpr50_vgpr51_vgpr52_vgpr53_vgpr54_vgpr55_vgpr56_vgpr57_vgpr58_vgpr59_vgpr60_vgpr61_vgpr62_vgpr63_vgpr64_vgpr65_vgpr66_vgpr67
                                        ; implicit-def: $vgpr36_vgpr37_vgpr38_vgpr39_vgpr40_vgpr41_vgpr42_vgpr43_vgpr44_vgpr45_vgpr46_vgpr47_vgpr48_vgpr49_vgpr50_vgpr51_vgpr52_vgpr53_vgpr54_vgpr55_vgpr56_vgpr57_vgpr58_vgpr59_vgpr60_vgpr61_vgpr62_vgpr63_vgpr64_vgpr65_vgpr66_vgpr67
                                        ; kill: killed $vgpr36_vgpr37_vgpr38_vgpr39_vgpr40_vgpr41_vgpr42_vgpr43_vgpr44_vgpr45_vgpr46_vgpr47_vgpr48_vgpr49_vgpr50_vgpr51_vgpr52_vgpr53_vgpr54_vgpr55_vgpr56_vgpr57_vgpr58_vgpr59_vgpr60_vgpr61_vgpr62_vgpr63_vgpr64_vgpr65_vgpr66_vgpr67
	;; [unrolled: 2-line block ×4, first 2 shown]
                                        ; implicit-def: $vgpr36_vgpr37_vgpr38_vgpr39_vgpr40_vgpr41_vgpr42_vgpr43_vgpr44_vgpr45_vgpr46_vgpr47_vgpr48_vgpr49_vgpr50_vgpr51_vgpr52_vgpr53_vgpr54_vgpr55_vgpr56_vgpr57_vgpr58_vgpr59_vgpr60_vgpr61_vgpr62_vgpr63_vgpr64_vgpr65_vgpr66_vgpr67
                                        ; implicit-def: $vgpr2_vgpr3_vgpr4_vgpr5_vgpr6_vgpr7_vgpr8_vgpr9_vgpr10_vgpr11_vgpr12_vgpr13_vgpr14_vgpr15_vgpr16_vgpr17_vgpr18_vgpr19_vgpr20_vgpr21_vgpr22_vgpr23_vgpr24_vgpr25_vgpr26_vgpr27_vgpr28_vgpr29_vgpr30_vgpr31_vgpr32_vgpr33
	v_mov_b32_e32 v68, v1
                                        ; kill: killed $vgpr36_vgpr37_vgpr38_vgpr39_vgpr40_vgpr41_vgpr42_vgpr43_vgpr44_vgpr45_vgpr46_vgpr47_vgpr48_vgpr49_vgpr50_vgpr51_vgpr52_vgpr53_vgpr54_vgpr55_vgpr56_vgpr57_vgpr58_vgpr59_vgpr60_vgpr61_vgpr62_vgpr63_vgpr64_vgpr65_vgpr66_vgpr67
                                        ; implicit-def: $vgpr36_vgpr37_vgpr38_vgpr39_vgpr40_vgpr41_vgpr42_vgpr43_vgpr44_vgpr45_vgpr46_vgpr47_vgpr48_vgpr49_vgpr50_vgpr51_vgpr52_vgpr53_vgpr54_vgpr55_vgpr56_vgpr57_vgpr58_vgpr59_vgpr60_vgpr61_vgpr62_vgpr63_vgpr64_vgpr65_vgpr66_vgpr67
                                        ; implicit-def: $vgpr29
                                        ; implicit-def: $vgpr72_vgpr73_vgpr74_vgpr75_vgpr76_vgpr77_vgpr78_vgpr79_vgpr80_vgpr81_vgpr82_vgpr83_vgpr84_vgpr85_vgpr86_vgpr87_vgpr88_vgpr89_vgpr90_vgpr91_vgpr92_vgpr93_vgpr94_vgpr95_vgpr96_vgpr97_vgpr98_vgpr99_vgpr100_vgpr101_vgpr102_vgpr103
                                        ; kill: killed $vgpr36_vgpr37_vgpr38_vgpr39_vgpr40_vgpr41_vgpr42_vgpr43_vgpr44_vgpr45_vgpr46_vgpr47_vgpr48_vgpr49_vgpr50_vgpr51_vgpr52_vgpr53_vgpr54_vgpr55_vgpr56_vgpr57_vgpr58_vgpr59_vgpr60_vgpr61_vgpr62_vgpr63_vgpr64_vgpr65_vgpr66_vgpr67
                                        ; implicit-def: $vgpr36_vgpr37_vgpr38_vgpr39_vgpr40_vgpr41_vgpr42_vgpr43_vgpr44_vgpr45_vgpr46_vgpr47_vgpr48_vgpr49_vgpr50_vgpr51_vgpr52_vgpr53_vgpr54_vgpr55_vgpr56_vgpr57_vgpr58_vgpr59_vgpr60_vgpr61_vgpr62_vgpr63_vgpr64_vgpr65_vgpr66_vgpr67
                                        ; kill: killed $vgpr36_vgpr37_vgpr38_vgpr39_vgpr40_vgpr41_vgpr42_vgpr43_vgpr44_vgpr45_vgpr46_vgpr47_vgpr48_vgpr49_vgpr50_vgpr51_vgpr52_vgpr53_vgpr54_vgpr55_vgpr56_vgpr57_vgpr58_vgpr59_vgpr60_vgpr61_vgpr62_vgpr63_vgpr64_vgpr65_vgpr66_vgpr67
.LBB70_8:
	v_mov_b32_e32 v29, 0
	v_mov_b32_e32 v28, 0
	;; [unrolled: 1-line block ×4, first 2 shown]
	buffer_store_dword v0, off, s[40:43], 0 offset:768 ; 4-byte Folded Spill
	s_nop 0
	buffer_store_dword v1, off, s[40:43], 0 offset:772 ; 4-byte Folded Spill
	buffer_store_dword v2, off, s[40:43], 0 offset:776 ; 4-byte Folded Spill
	;; [unrolled: 1-line block ×31, first 2 shown]
	v_mov_b32_e32 v19, 0
	v_mov_b32_e32 v18, 0
	;; [unrolled: 1-line block ×8, first 2 shown]
	buffer_store_dword v0, off, s[40:43], 0 ; 4-byte Folded Spill
	s_nop 0
	buffer_store_dword v1, off, s[40:43], 0 offset:4 ; 4-byte Folded Spill
	buffer_store_dword v2, off, s[40:43], 0 offset:8 ; 4-byte Folded Spill
	buffer_store_dword v3, off, s[40:43], 0 offset:12 ; 4-byte Folded Spill
	buffer_store_dword v4, off, s[40:43], 0 offset:16 ; 4-byte Folded Spill
	buffer_store_dword v5, off, s[40:43], 0 offset:20 ; 4-byte Folded Spill
	buffer_store_dword v6, off, s[40:43], 0 offset:24 ; 4-byte Folded Spill
	buffer_store_dword v7, off, s[40:43], 0 offset:28 ; 4-byte Folded Spill
	buffer_store_dword v8, off, s[40:43], 0 offset:32 ; 4-byte Folded Spill
	buffer_store_dword v9, off, s[40:43], 0 offset:36 ; 4-byte Folded Spill
	buffer_store_dword v10, off, s[40:43], 0 offset:40 ; 4-byte Folded Spill
	buffer_store_dword v11, off, s[40:43], 0 offset:44 ; 4-byte Folded Spill
	buffer_store_dword v12, off, s[40:43], 0 offset:48 ; 4-byte Folded Spill
	buffer_store_dword v13, off, s[40:43], 0 offset:52 ; 4-byte Folded Spill
	buffer_store_dword v14, off, s[40:43], 0 offset:56 ; 4-byte Folded Spill
	buffer_store_dword v15, off, s[40:43], 0 offset:60 ; 4-byte Folded Spill
	buffer_store_dword v16, off, s[40:43], 0 offset:64 ; 4-byte Folded Spill
	buffer_store_dword v17, off, s[40:43], 0 offset:68 ; 4-byte Folded Spill
	buffer_store_dword v18, off, s[40:43], 0 offset:72 ; 4-byte Folded Spill
	buffer_store_dword v19, off, s[40:43], 0 offset:76 ; 4-byte Folded Spill
	buffer_store_dword v20, off, s[40:43], 0 offset:80 ; 4-byte Folded Spill
	buffer_store_dword v21, off, s[40:43], 0 offset:84 ; 4-byte Folded Spill
	buffer_store_dword v22, off, s[40:43], 0 offset:88 ; 4-byte Folded Spill
	buffer_store_dword v23, off, s[40:43], 0 offset:92 ; 4-byte Folded Spill
	buffer_store_dword v24, off, s[40:43], 0 offset:96 ; 4-byte Folded Spill
	buffer_store_dword v25, off, s[40:43], 0 offset:100 ; 4-byte Folded Spill
	buffer_store_dword v26, off, s[40:43], 0 offset:104 ; 4-byte Folded Spill
	buffer_store_dword v27, off, s[40:43], 0 offset:108 ; 4-byte Folded Spill
	buffer_store_dword v28, off, s[40:43], 0 offset:112 ; 4-byte Folded Spill
	buffer_store_dword v29, off, s[40:43], 0 offset:116 ; 4-byte Folded Spill
	buffer_store_dword v30, off, s[40:43], 0 offset:120 ; 4-byte Folded Spill
	buffer_store_dword v31, off, s[40:43], 0 offset:124 ; 4-byte Folded Spill
	v_mov_b32_e32 v17, 0
	v_mov_b32_e32 v16, 0
	buffer_store_dword v0, off, s[40:43], 0 offset:256 ; 4-byte Folded Spill
	s_nop 0
	buffer_store_dword v1, off, s[40:43], 0 offset:260 ; 4-byte Folded Spill
	buffer_store_dword v2, off, s[40:43], 0 offset:264 ; 4-byte Folded Spill
	buffer_store_dword v3, off, s[40:43], 0 offset:268 ; 4-byte Folded Spill
	buffer_store_dword v4, off, s[40:43], 0 offset:272 ; 4-byte Folded Spill
	buffer_store_dword v5, off, s[40:43], 0 offset:276 ; 4-byte Folded Spill
	buffer_store_dword v6, off, s[40:43], 0 offset:280 ; 4-byte Folded Spill
	buffer_store_dword v7, off, s[40:43], 0 offset:284 ; 4-byte Folded Spill
	buffer_store_dword v8, off, s[40:43], 0 offset:288 ; 4-byte Folded Spill
	buffer_store_dword v9, off, s[40:43], 0 offset:292 ; 4-byte Folded Spill
	buffer_store_dword v10, off, s[40:43], 0 offset:296 ; 4-byte Folded Spill
	buffer_store_dword v11, off, s[40:43], 0 offset:300 ; 4-byte Folded Spill
	buffer_store_dword v12, off, s[40:43], 0 offset:304 ; 4-byte Folded Spill
	buffer_store_dword v13, off, s[40:43], 0 offset:308 ; 4-byte Folded Spill
	buffer_store_dword v14, off, s[40:43], 0 offset:312 ; 4-byte Folded Spill
	buffer_store_dword v15, off, s[40:43], 0 offset:316 ; 4-byte Folded Spill
	buffer_store_dword v16, off, s[40:43], 0 offset:320 ; 4-byte Folded Spill
	buffer_store_dword v17, off, s[40:43], 0 offset:324 ; 4-byte Folded Spill
	buffer_store_dword v18, off, s[40:43], 0 offset:328 ; 4-byte Folded Spill
	buffer_store_dword v19, off, s[40:43], 0 offset:332 ; 4-byte Folded Spill
	buffer_store_dword v20, off, s[40:43], 0 offset:336 ; 4-byte Folded Spill
	buffer_store_dword v21, off, s[40:43], 0 offset:340 ; 4-byte Folded Spill
	buffer_store_dword v22, off, s[40:43], 0 offset:344 ; 4-byte Folded Spill
	buffer_store_dword v23, off, s[40:43], 0 offset:348 ; 4-byte Folded Spill
	buffer_store_dword v24, off, s[40:43], 0 offset:352 ; 4-byte Folded Spill
	buffer_store_dword v25, off, s[40:43], 0 offset:356 ; 4-byte Folded Spill
	buffer_store_dword v26, off, s[40:43], 0 offset:360 ; 4-byte Folded Spill
	buffer_store_dword v27, off, s[40:43], 0 offset:364 ; 4-byte Folded Spill
	buffer_store_dword v28, off, s[40:43], 0 offset:368 ; 4-byte Folded Spill
	buffer_store_dword v29, off, s[40:43], 0 offset:372 ; 4-byte Folded Spill
	buffer_store_dword v30, off, s[40:43], 0 offset:376 ; 4-byte Folded Spill
	buffer_store_dword v31, off, s[40:43], 0 offset:380 ; 4-byte Folded Spill
	v_mov_b32_e32 v15, 0
	v_mov_b32_e32 v14, 0
	buffer_store_dword v0, off, s[40:43], 0 offset:128 ; 4-byte Folded Spill
	;; [unrolled: 35-line block ×5, first 2 shown]
	s_nop 0
	buffer_store_dword v1, off, s[40:43], 0 offset:644 ; 4-byte Folded Spill
	buffer_store_dword v2, off, s[40:43], 0 offset:648 ; 4-byte Folded Spill
	;; [unrolled: 1-line block ×31, first 2 shown]
	v_mov_b32_e32 v5, 0
	v_mov_b32_e32 v4, 0
	s_and_saveexec_b64 s[2:3], s[0:1]
	s_cbranch_execz .LBB70_10
; %bb.9:
	s_load_dwordx2 s[36:37], s[4:5], 0x38
	s_load_dwordx2 s[30:31], s[4:5], 0x20
	s_mul_hi_i32 s25, s19, s6
	s_mul_i32 s24, s19, s6
	s_lshl_b64 s[24:25], s[24:25], 1
	s_waitcnt lgkmcnt(0)
	s_add_u32 s24, s36, s24
	s_addc_u32 s14, s37, s25
	s_mov_b32 s27, 0x20000
	s_and_b32 s25, s14, 0xffff
	v_lshlrev_b32_e32 v50, 1, v68
	s_movk_i32 s17, 0x400
	s_movk_i32 s14, 0x800
	buffer_load_dwordx4 v[10:13], v50, s[24:27], s17 offen glc slc
	buffer_load_dwordx4 v[6:9], v50, s[24:27], s14 offen glc slc
	;; [unrolled: 1-line block ×3, first 2 shown]
	s_waitcnt vmcnt(62)
	v_cvt_f32_u32_sdwa v25, v111 dst_sel:DWORD dst_unused:UNUSED_PAD src0_sel:WORD_1
	v_cvt_f32_u32_sdwa v24, v111 dst_sel:DWORD dst_unused:UNUSED_PAD src0_sel:WORD_0
	v_cvt_f32_u32_sdwa v29, v124 dst_sel:DWORD dst_unused:UNUSED_PAD src0_sel:WORD_1
	v_cvt_f32_u32_sdwa v28, v124 dst_sel:DWORD dst_unused:UNUSED_PAD src0_sel:WORD_0
	;; [unrolled: 2-line block ×5, first 2 shown]
	s_mul_hi_i32 s25, s29, s6
	s_mul_i32 s24, s29, s6
	v_cvt_f32_u32_sdwa v17, v109 dst_sel:DWORD dst_unused:UNUSED_PAD src0_sel:WORD_1
	v_cvt_f32_u32_sdwa v16, v109 dst_sel:DWORD dst_unused:UNUSED_PAD src0_sel:WORD_0
	v_cvt_f32_u32_sdwa v21, v110 dst_sel:DWORD dst_unused:UNUSED_PAD src0_sel:WORD_1
	v_cvt_f32_u32_sdwa v20, v110 dst_sel:DWORD dst_unused:UNUSED_PAD src0_sel:WORD_0
	;; [unrolled: 2-line block ×5, first 2 shown]
	v_cvt_f32_u32_sdwa v26, v107 dst_sel:DWORD dst_unused:UNUSED_PAD src0_sel:WORD_0
	v_cvt_f32_u32_sdwa v27, v107 dst_sel:DWORD dst_unused:UNUSED_PAD src0_sel:WORD_1
	s_lshl_b64 s[24:25], s[24:25], 1
	s_add_u32 s24, s30, s24
	s_mov_b32 s19, 0x7060302
	s_addc_u32 s25, s31, s25
	s_and_b32 s25, s25, 0xffff
	v_cvt_f32_u32_sdwa v53, v108 dst_sel:DWORD dst_unused:UNUSED_PAD src0_sel:WORD_1
	v_cvt_f32_u32_sdwa v52, v108 dst_sel:DWORD dst_unused:UNUSED_PAD src0_sel:WORD_0
	s_waitcnt vmcnt(1)
	v_cvt_f32_u32_sdwa v43, v7 dst_sel:DWORD dst_unused:UNUSED_PAD src0_sel:WORD_1
	v_cvt_f32_u32_sdwa v37, v10 dst_sel:DWORD dst_unused:UNUSED_PAD src0_sel:WORD_1
	v_cvt_f32_u32_sdwa v36, v10 dst_sel:DWORD dst_unused:UNUSED_PAD src0_sel:WORD_0
	v_cvt_f32_u32_sdwa v39, v11 dst_sel:DWORD dst_unused:UNUSED_PAD src0_sel:WORD_1
	v_cvt_f32_u32_sdwa v38, v11 dst_sel:DWORD dst_unused:UNUSED_PAD src0_sel:WORD_0
	;; [unrolled: 2-line block ×5, first 2 shown]
	v_cvt_f32_u32_sdwa v42, v7 dst_sel:DWORD dst_unused:UNUSED_PAD src0_sel:WORD_0
	v_cvt_f32_u32_sdwa v47, v8 dst_sel:DWORD dst_unused:UNUSED_PAD src0_sel:WORD_1
	v_cvt_f32_u32_sdwa v46, v8 dst_sel:DWORD dst_unused:UNUSED_PAD src0_sel:WORD_0
	v_cvt_f32_u32_sdwa v48, v9 dst_sel:DWORD dst_unused:UNUSED_PAD src0_sel:WORD_0
	v_cvt_f32_u32_sdwa v49, v9 dst_sel:DWORD dst_unused:UNUSED_PAD src0_sel:WORD_1
	s_waitcnt vmcnt(0)
	v_cvt_f32_u32_sdwa v45, v2 dst_sel:DWORD dst_unused:UNUSED_PAD src0_sel:WORD_1
	v_cvt_f32_u32_sdwa v44, v2 dst_sel:DWORD dst_unused:UNUSED_PAD src0_sel:WORD_0
	v_cvt_f32_u32_sdwa v7, v3 dst_sel:DWORD dst_unused:UNUSED_PAD src0_sel:WORD_1
	v_cvt_f32_u32_sdwa v9, v5 dst_sel:DWORD dst_unused:UNUSED_PAD src0_sel:WORD_1
	v_cvt_f32_u32_sdwa v8, v5 dst_sel:DWORD dst_unused:UNUSED_PAD src0_sel:WORD_0
	v_cvt_f32_u32_sdwa v5, v4 dst_sel:DWORD dst_unused:UNUSED_PAD src0_sel:WORD_1
	v_cvt_f32_u32_sdwa v4, v4 dst_sel:DWORD dst_unused:UNUSED_PAD src0_sel:WORD_0
	v_cvt_f32_u32_sdwa v6, v3 dst_sel:DWORD dst_unused:UNUSED_PAD src0_sel:WORD_0
	v_pk_add_f32 v[78:79], v[34:35], v[8:9]
	v_pk_add_f32 v[34:35], v[28:29], v[44:45]
	;; [unrolled: 1-line block ×5, first 2 shown]
	v_perm_b32 v9, v79, v78, s19
	v_perm_b32 v8, v71, v70, s19
	;; [unrolled: 1-line block ×4, first 2 shown]
	v_pk_mov_b32 v[28:29], v[24:25], v[24:25] op_sel:[0,1]
	buffer_store_dwordx4 v[6:9], v50, s[24:27], 0 offen glc slc
	buffer_store_dword v14, off, s[40:43], 0 offset:128 ; 4-byte Folded Spill
	s_nop 0
	buffer_store_dword v15, off, s[40:43], 0 offset:132 ; 4-byte Folded Spill
	buffer_store_dword v16, off, s[40:43], 0 offset:136 ; 4-byte Folded Spill
	;; [unrolled: 1-line block ×31, first 2 shown]
	v_pk_add_f32 v[20:21], v[20:21], v[10:11]
	v_perm_b32 v9, v25, v24, s19
	v_pk_mov_b32 v[24:25], v[20:21], v[20:21] op_sel:[0,1]
	buffer_store_dword v12, off, s[40:43], 0 offset:384 ; 4-byte Folded Spill
	s_nop 0
	buffer_store_dword v13, off, s[40:43], 0 offset:388 ; 4-byte Folded Spill
	buffer_store_dword v14, off, s[40:43], 0 offset:392 ; 4-byte Folded Spill
	;; [unrolled: 1-line block ×31, first 2 shown]
	v_pk_add_f32 v[10:11], v[16:17], v[38:39]
	v_perm_b32 v8, v21, v20, s19
	v_pk_mov_b32 v[16:17], v[10:11], v[10:11] op_sel:[0,1]
	buffer_store_dword v6, off, s[40:43], 0 offset:512 ; 4-byte Folded Spill
	s_nop 0
	buffer_store_dword v7, off, s[40:43], 0 offset:516 ; 4-byte Folded Spill
	buffer_store_dword v8, off, s[40:43], 0 offset:520 ; 4-byte Folded Spill
	;; [unrolled: 1-line block ×31, first 2 shown]
	v_perm_b32 v7, v11, v10, s19
	v_pk_add_f32 v[10:11], v[52:53], v[36:37]
	v_pk_mov_b32 v[16:17], v[10:11], v[10:11] op_sel:[0,1]
	buffer_store_dword v8, off, s[40:43], 0 offset:640 ; 4-byte Folded Spill
	s_nop 0
	buffer_store_dword v9, off, s[40:43], 0 offset:644 ; 4-byte Folded Spill
	buffer_store_dword v10, off, s[40:43], 0 offset:648 ; 4-byte Folded Spill
	;; [unrolled: 1-line block ×31, first 2 shown]
	;;#ASMSTART
	s_nop 0
	;;#ASMEND
	v_perm_b32 v6, v11, v10, s19
	v_pk_add_f32 v[28:29], v[26:27], v[48:49]
	v_pk_add_f32 v[20:21], v[22:23], v[46:47]
	buffer_store_dwordx4 v[6:9], v50, s[24:27], s17 offen glc slc
	v_perm_b32 v9, v29, v28, s19
	v_pk_mov_b32 v[22:23], v[20:21], v[20:21] op_sel:[0,1]
	buffer_store_dword v2, off, s[40:43], 0 offset:768 ; 4-byte Folded Spill
	s_nop 0
	buffer_store_dword v3, off, s[40:43], 0 offset:772 ; 4-byte Folded Spill
	buffer_store_dword v4, off, s[40:43], 0 offset:776 ; 4-byte Folded Spill
	;; [unrolled: 1-line block ×31, first 2 shown]
	;;#ASMSTART
	s_nop 0
	;;#ASMEND
	v_pk_add_f32 v[18:19], v[18:19], v[42:43]
	v_perm_b32 v8, v21, v20, s19
	v_pk_mov_b32 v[20:21], v[18:19], v[18:19] op_sel:[0,1]
	buffer_store_dword v2, off, s[40:43], 0 ; 4-byte Folded Spill
	s_nop 0
	buffer_store_dword v3, off, s[40:43], 0 offset:4 ; 4-byte Folded Spill
	buffer_store_dword v4, off, s[40:43], 0 offset:8 ; 4-byte Folded Spill
	;; [unrolled: 1-line block ×31, first 2 shown]
	v_pk_add_f32 v[16:17], v[14:15], v[12:13]
	v_perm_b32 v7, v19, v18, s19
	v_pk_mov_b32 v[18:19], v[16:17], v[16:17] op_sel:[0,1]
	buffer_store_dword v2, off, s[40:43], 0 offset:256 ; 4-byte Folded Spill
	s_nop 0
	buffer_store_dword v3, off, s[40:43], 0 offset:260 ; 4-byte Folded Spill
	buffer_store_dword v4, off, s[40:43], 0 offset:264 ; 4-byte Folded Spill
	;; [unrolled: 1-line block ×31, first 2 shown]
	v_perm_b32 v6, v17, v16, s19
	buffer_store_dwordx4 v[6:9], v50, s[24:27], s14 offen glc slc
	;;#ASMSTART
	s_nop 0
	;;#ASMEND
.LBB70_10:
	s_or_b64 exec, exec, s[2:3]
.LBB70_11:
	buffer_load_dword v36, off, s[40:43], 0 offset:640 ; 4-byte Folded Reload
	buffer_load_dword v37, off, s[40:43], 0 offset:644 ; 4-byte Folded Reload
	;; [unrolled: 1-line block ×32, first 2 shown]
	v_mul_f32_e32 v2, v35, v35
	v_fmac_f32_e32 v2, v34, v34
	v_fmac_f32_e32 v2, v4, v4
	;; [unrolled: 1-line block ×7, first 2 shown]
	s_waitcnt vmcnt(22)
	v_pk_mov_b32 v[8:9], v[44:45], v[44:45] op_sel:[0,1]
	buffer_load_dword v36, off, s[40:43], 0 offset:512 ; 4-byte Folded Reload
	buffer_load_dword v37, off, s[40:43], 0 offset:516 ; 4-byte Folded Reload
	buffer_load_dword v38, off, s[40:43], 0 offset:520 ; 4-byte Folded Reload
	buffer_load_dword v39, off, s[40:43], 0 offset:524 ; 4-byte Folded Reload
	buffer_load_dword v40, off, s[40:43], 0 offset:528 ; 4-byte Folded Reload
	buffer_load_dword v41, off, s[40:43], 0 offset:532 ; 4-byte Folded Reload
	buffer_load_dword v42, off, s[40:43], 0 offset:536 ; 4-byte Folded Reload
	buffer_load_dword v43, off, s[40:43], 0 offset:540 ; 4-byte Folded Reload
	buffer_load_dword v44, off, s[40:43], 0 offset:544 ; 4-byte Folded Reload
	buffer_load_dword v45, off, s[40:43], 0 offset:548 ; 4-byte Folded Reload
	buffer_load_dword v46, off, s[40:43], 0 offset:552 ; 4-byte Folded Reload
	buffer_load_dword v47, off, s[40:43], 0 offset:556 ; 4-byte Folded Reload
	buffer_load_dword v48, off, s[40:43], 0 offset:560 ; 4-byte Folded Reload
	buffer_load_dword v49, off, s[40:43], 0 offset:564 ; 4-byte Folded Reload
	buffer_load_dword v50, off, s[40:43], 0 offset:568 ; 4-byte Folded Reload
	buffer_load_dword v51, off, s[40:43], 0 offset:572 ; 4-byte Folded Reload
	buffer_load_dword v52, off, s[40:43], 0 offset:576 ; 4-byte Folded Reload
	buffer_load_dword v53, off, s[40:43], 0 offset:580 ; 4-byte Folded Reload
	buffer_load_dword v54, off, s[40:43], 0 offset:584 ; 4-byte Folded Reload
	buffer_load_dword v55, off, s[40:43], 0 offset:588 ; 4-byte Folded Reload
	buffer_load_dword v56, off, s[40:43], 0 offset:592 ; 4-byte Folded Reload
	buffer_load_dword v57, off, s[40:43], 0 offset:596 ; 4-byte Folded Reload
	buffer_load_dword v58, off, s[40:43], 0 offset:600 ; 4-byte Folded Reload
	buffer_load_dword v59, off, s[40:43], 0 offset:604 ; 4-byte Folded Reload
	buffer_load_dword v60, off, s[40:43], 0 offset:608 ; 4-byte Folded Reload
	buffer_load_dword v61, off, s[40:43], 0 offset:612 ; 4-byte Folded Reload
	buffer_load_dword v62, off, s[40:43], 0 offset:616 ; 4-byte Folded Reload
	buffer_load_dword v63, off, s[40:43], 0 offset:620 ; 4-byte Folded Reload
	buffer_load_dword v64, off, s[40:43], 0 offset:624 ; 4-byte Folded Reload
	buffer_load_dword v65, off, s[40:43], 0 offset:628 ; 4-byte Folded Reload
	buffer_load_dword v66, off, s[40:43], 0 offset:632 ; 4-byte Folded Reload
	buffer_load_dword v67, off, s[40:43], 0 offset:636 ; 4-byte Folded Reload
	v_fmac_f32_e32 v2, v8, v8
	v_fmac_f32_e32 v2, v9, v9
	s_waitcnt vmcnt(20)
	v_pk_mov_b32 v[10:11], v[46:47], v[46:47] op_sel:[0,1]
	buffer_load_dword v36, off, s[40:43], 0 offset:384 ; 4-byte Folded Reload
	buffer_load_dword v37, off, s[40:43], 0 offset:388 ; 4-byte Folded Reload
	buffer_load_dword v38, off, s[40:43], 0 offset:392 ; 4-byte Folded Reload
	buffer_load_dword v39, off, s[40:43], 0 offset:396 ; 4-byte Folded Reload
	buffer_load_dword v40, off, s[40:43], 0 offset:400 ; 4-byte Folded Reload
	buffer_load_dword v41, off, s[40:43], 0 offset:404 ; 4-byte Folded Reload
	buffer_load_dword v42, off, s[40:43], 0 offset:408 ; 4-byte Folded Reload
	buffer_load_dword v43, off, s[40:43], 0 offset:412 ; 4-byte Folded Reload
	buffer_load_dword v44, off, s[40:43], 0 offset:416 ; 4-byte Folded Reload
	buffer_load_dword v45, off, s[40:43], 0 offset:420 ; 4-byte Folded Reload
	buffer_load_dword v46, off, s[40:43], 0 offset:424 ; 4-byte Folded Reload
	buffer_load_dword v47, off, s[40:43], 0 offset:428 ; 4-byte Folded Reload
	buffer_load_dword v48, off, s[40:43], 0 offset:432 ; 4-byte Folded Reload
	buffer_load_dword v49, off, s[40:43], 0 offset:436 ; 4-byte Folded Reload
	buffer_load_dword v50, off, s[40:43], 0 offset:440 ; 4-byte Folded Reload
	buffer_load_dword v51, off, s[40:43], 0 offset:444 ; 4-byte Folded Reload
	buffer_load_dword v52, off, s[40:43], 0 offset:448 ; 4-byte Folded Reload
	buffer_load_dword v53, off, s[40:43], 0 offset:452 ; 4-byte Folded Reload
	buffer_load_dword v54, off, s[40:43], 0 offset:456 ; 4-byte Folded Reload
	buffer_load_dword v55, off, s[40:43], 0 offset:460 ; 4-byte Folded Reload
	buffer_load_dword v56, off, s[40:43], 0 offset:464 ; 4-byte Folded Reload
	buffer_load_dword v57, off, s[40:43], 0 offset:468 ; 4-byte Folded Reload
	buffer_load_dword v58, off, s[40:43], 0 offset:472 ; 4-byte Folded Reload
	buffer_load_dword v59, off, s[40:43], 0 offset:476 ; 4-byte Folded Reload
	buffer_load_dword v60, off, s[40:43], 0 offset:480 ; 4-byte Folded Reload
	buffer_load_dword v61, off, s[40:43], 0 offset:484 ; 4-byte Folded Reload
	buffer_load_dword v62, off, s[40:43], 0 offset:488 ; 4-byte Folded Reload
	buffer_load_dword v63, off, s[40:43], 0 offset:492 ; 4-byte Folded Reload
	buffer_load_dword v64, off, s[40:43], 0 offset:496 ; 4-byte Folded Reload
	buffer_load_dword v65, off, s[40:43], 0 offset:500 ; 4-byte Folded Reload
	buffer_load_dword v66, off, s[40:43], 0 offset:504 ; 4-byte Folded Reload
	buffer_load_dword v67, off, s[40:43], 0 offset:508 ; 4-byte Folded Reload
	v_fmac_f32_e32 v2, v10, v10
	v_fmac_f32_e32 v2, v11, v11
	;; [unrolled: 36-line block ×4, first 2 shown]
	s_waitcnt vmcnt(14)
	v_pk_mov_b32 v[16:17], v[52:53], v[52:53] op_sel:[0,1]
	buffer_load_dword v36, off, s[40:43], 0 ; 4-byte Folded Reload
	buffer_load_dword v37, off, s[40:43], 0 offset:4 ; 4-byte Folded Reload
	buffer_load_dword v38, off, s[40:43], 0 offset:8 ; 4-byte Folded Reload
	;; [unrolled: 1-line block ×63, first 2 shown]
	v_fmac_f32_e32 v2, v16, v16
	v_fmac_f32_e32 v2, v17, v17
	s_waitcnt vmcnt(44)
	v_pk_mov_b32 v[18:19], v[54:55], v[54:55] op_sel:[0,1]
	v_fmac_f32_e32 v2, v18, v18
	v_fmac_f32_e32 v2, v19, v19
	s_waitcnt vmcnt(10)
	v_pk_mov_b32 v[26:27], v[100:101], v[100:101] op_sel:[0,1]
	v_fmac_f32_e32 v2, v26, v26
	v_fmac_f32_e32 v2, v27, v27
	;; [unrolled: 1-line block ×4, first 2 shown]
	s_nop 1
	v_mov_b32_dpp v3, v2 quad_perm:[1,0,3,2] row_mask:0xf bank_mask:0xf
	v_add_f32_e32 v2, v2, v3
	s_nop 1
	v_mov_b32_dpp v3, v2 quad_perm:[2,3,0,1] row_mask:0xf bank_mask:0xf
	v_add_f32_e32 v2, v2, v3
	s_nop 1
	v_mov_b32_dpp v3, v2 row_half_mirror row_mask:0xf bank_mask:0xf
	v_add_f32_e32 v2, v2, v3
	s_nop 1
	v_mov_b32_dpp v3, v2 row_mirror row_mask:0xf bank_mask:0xf
	v_add_f32_e32 v2, v2, v3
	s_nop 1
	v_mov_b32_dpp v3, v2 row_bcast:15 row_mask:0xf bank_mask:0xf
	v_add_f32_e32 v2, v2, v3
	v_and_b32_e32 v3, 63, v0
	v_cmp_eq_u32_e64 s[2:3], 63, v3
	s_nop 0
	v_mov_b32_dpp v3, v2 row_bcast:31 row_mask:0xf bank_mask:0xf
	s_and_saveexec_b64 s[24:25], s[2:3]
	s_cbranch_execz .LBB70_13
; %bb.12:
	v_add_f32_e32 v2, v2, v3
	v_lshrrev_b32_e32 v3, 4, v0
	v_and_b32_e32 v3, 60, v3
	ds_write_b32 v3, v2 offset:32
.LBB70_13:
	s_or_b64 exec, exec, s[24:25]
	v_and_b32_e32 v2, 3, v0
	v_lshlrev_b32_e32 v48, 2, v2
	s_waitcnt lgkmcnt(0)
	s_barrier
	ds_read_b32 v2, v48 offset:32
	s_load_dwordx2 s[30:31], s[4:5], 0x18
	s_waitcnt lgkmcnt(0)
	v_mov_b32_dpp v3, v2 quad_perm:[1,0,3,2] row_mask:0xf bank_mask:0xf
	v_add_f32_e32 v2, v2, v3
	s_nop 1
	v_mov_b32_dpp v3, v2 quad_perm:[2,3,0,1] row_mask:0xf bank_mask:0xf
	s_and_saveexec_b64 s[24:25], s[0:1]
	s_cbranch_execnz .LBB70_18
; %bb.14:
	s_or_b64 exec, exec, s[24:25]
	s_mov_b64 s[8:9], -1
	s_and_b64 vcc, exec, s[22:23]
	s_cbranch_vccnz .LBB70_19
.LBB70_15:
	s_andn2_b64 vcc, exec, s[8:9]
	s_cbranch_vccz .LBB70_22
.LBB70_16:
	s_cmp_lt_i32 s16, 1
	s_cbranch_scc0 .LBB70_31
.LBB70_17:
	s_endpgm
.LBB70_18:
	v_add_f32_e32 v2, v2, v3
	v_cvt_f32_u32_e32 v3, s7
	s_mov_b32 s7, 0x800000
	v_cvt_f32_u32_sdwa v31, v123 dst_sel:DWORD dst_unused:UNUSED_PAD src0_sel:WORD_1
	v_cvt_f32_u32_sdwa v30, v123 dst_sel:DWORD dst_unused:UNUSED_PAD src0_sel:WORD_0
	v_div_scale_f32 v6, s[36:37], v3, v3, v2
	v_rcp_f32_e32 v7, v6
	v_cvt_f32_u32_sdwa v33, v116 dst_sel:DWORD dst_unused:UNUSED_PAD src0_sel:WORD_1
	v_cvt_f32_u32_sdwa v32, v116 dst_sel:DWORD dst_unused:UNUSED_PAD src0_sel:WORD_0
	v_cvt_f32_u32_sdwa v37, v117 dst_sel:DWORD dst_unused:UNUSED_PAD src0_sel:WORD_1
	v_fma_f32 v8, -v6, v7, 1.0
	v_fmac_f32_e32 v7, v8, v7
	v_div_scale_f32 v8, vcc, v2, v3, v2
	v_mul_f32_e32 v9, v8, v7
	v_fma_f32 v10, -v6, v9, v8
	v_fmac_f32_e32 v9, v10, v7
	v_fma_f32 v6, -v6, v9, v8
	v_div_fmas_f32 v6, v6, v7, v9
	v_div_fixup_f32 v2, v6, v3, v2
	v_mov_b32_e32 v3, s13
	v_mov_b32_e32 v6, s12
	v_cndmask_b32_e64 v3, v3, v6, s[8:9]
	v_add_f32_e32 v2, v3, v2
	v_mul_f32_e32 v3, 0x4b800000, v2
	v_cmp_gt_f32_e32 vcc, s7, v2
	v_cndmask_b32_e32 v2, v2, v3, vcc
	v_rsq_f32_e32 v2, v2
	v_cvt_f32_u32_sdwa v36, v117 dst_sel:DWORD dst_unused:UNUSED_PAD src0_sel:WORD_0
	v_cvt_f32_u32_sdwa v39, v118 dst_sel:DWORD dst_unused:UNUSED_PAD src0_sel:WORD_1
	v_cvt_f32_u32_sdwa v38, v118 dst_sel:DWORD dst_unused:UNUSED_PAD src0_sel:WORD_0
	v_mul_f32_e32 v3, 0x45800000, v2
	v_cndmask_b32_e32 v10, v2, v3, vcc
	v_mov_b32_e32 v11, v10
	;;#ASMSTART
	v_pk_mul_f32 v[12:13], v[34:35], v[10:11]
	;;#ASMEND
	;;#ASMSTART
	v_pk_mul_f32 v[2:3], v[4:5], v[10:11]
	;;#ASMEND
	;; [unrolled: 3-line block ×4, first 2 shown]
	buffer_load_dword v70, off, s[40:43], 0 offset:640 ; 4-byte Folded Reload
	buffer_load_dword v71, off, s[40:43], 0 offset:644 ; 4-byte Folded Reload
	;; [unrolled: 1-line block ×32, first 2 shown]
	v_cvt_f32_u32_sdwa v5, v120 dst_sel:DWORD dst_unused:UNUSED_PAD src0_sel:WORD_1
	v_cvt_f32_u32_sdwa v4, v120 dst_sel:DWORD dst_unused:UNUSED_PAD src0_sel:WORD_0
	v_cvt_f32_u32_sdwa v41, v119 dst_sel:DWORD dst_unused:UNUSED_PAD src0_sel:WORD_1
	v_cvt_f32_u32_sdwa v40, v119 dst_sel:DWORD dst_unused:UNUSED_PAD src0_sel:WORD_0
	v_cvt_f32_u32_sdwa v43, v112 dst_sel:DWORD dst_unused:UNUSED_PAD src0_sel:WORD_1
	v_pk_add_f32 v[4:5], v[4:5], 1.0 op_sel_hi:[1,0]
	v_cvt_f32_u32_sdwa v42, v112 dst_sel:DWORD dst_unused:UNUSED_PAD src0_sel:WORD_0
	v_cvt_f32_u32_sdwa v45, v113 dst_sel:DWORD dst_unused:UNUSED_PAD src0_sel:WORD_1
	v_cvt_f32_u32_sdwa v44, v113 dst_sel:DWORD dst_unused:UNUSED_PAD src0_sel:WORD_0
	v_cvt_f32_u32_sdwa v47, v114 dst_sel:DWORD dst_unused:UNUSED_PAD src0_sel:WORD_1
	;; [unrolled: 2-line block ×3, first 2 shown]
	v_cvt_f32_u32_sdwa v50, v115 dst_sel:DWORD dst_unused:UNUSED_PAD src0_sel:WORD_0
	s_waitcnt vmcnt(22)
	;;#ASMSTART
	v_pk_mul_f32 v[14:15], v[78:79], v[10:11]
	;;#ASMEND
	buffer_load_dword v70, off, s[40:43], 0 offset:512 ; 4-byte Folded Reload
	buffer_load_dword v71, off, s[40:43], 0 offset:516 ; 4-byte Folded Reload
	buffer_load_dword v72, off, s[40:43], 0 offset:520 ; 4-byte Folded Reload
	buffer_load_dword v73, off, s[40:43], 0 offset:524 ; 4-byte Folded Reload
	buffer_load_dword v74, off, s[40:43], 0 offset:528 ; 4-byte Folded Reload
	buffer_load_dword v75, off, s[40:43], 0 offset:532 ; 4-byte Folded Reload
	buffer_load_dword v76, off, s[40:43], 0 offset:536 ; 4-byte Folded Reload
	buffer_load_dword v77, off, s[40:43], 0 offset:540 ; 4-byte Folded Reload
	buffer_load_dword v78, off, s[40:43], 0 offset:544 ; 4-byte Folded Reload
	buffer_load_dword v79, off, s[40:43], 0 offset:548 ; 4-byte Folded Reload
	buffer_load_dword v80, off, s[40:43], 0 offset:552 ; 4-byte Folded Reload
	buffer_load_dword v81, off, s[40:43], 0 offset:556 ; 4-byte Folded Reload
	buffer_load_dword v82, off, s[40:43], 0 offset:560 ; 4-byte Folded Reload
	buffer_load_dword v83, off, s[40:43], 0 offset:564 ; 4-byte Folded Reload
	buffer_load_dword v84, off, s[40:43], 0 offset:568 ; 4-byte Folded Reload
	buffer_load_dword v85, off, s[40:43], 0 offset:572 ; 4-byte Folded Reload
	buffer_load_dword v86, off, s[40:43], 0 offset:576 ; 4-byte Folded Reload
	buffer_load_dword v87, off, s[40:43], 0 offset:580 ; 4-byte Folded Reload
	buffer_load_dword v88, off, s[40:43], 0 offset:584 ; 4-byte Folded Reload
	buffer_load_dword v89, off, s[40:43], 0 offset:588 ; 4-byte Folded Reload
	buffer_load_dword v90, off, s[40:43], 0 offset:592 ; 4-byte Folded Reload
	buffer_load_dword v91, off, s[40:43], 0 offset:596 ; 4-byte Folded Reload
	buffer_load_dword v92, off, s[40:43], 0 offset:600 ; 4-byte Folded Reload
	buffer_load_dword v93, off, s[40:43], 0 offset:604 ; 4-byte Folded Reload
	buffer_load_dword v94, off, s[40:43], 0 offset:608 ; 4-byte Folded Reload
	buffer_load_dword v95, off, s[40:43], 0 offset:612 ; 4-byte Folded Reload
	buffer_load_dword v96, off, s[40:43], 0 offset:616 ; 4-byte Folded Reload
	buffer_load_dword v97, off, s[40:43], 0 offset:620 ; 4-byte Folded Reload
	buffer_load_dword v98, off, s[40:43], 0 offset:624 ; 4-byte Folded Reload
	buffer_load_dword v99, off, s[40:43], 0 offset:628 ; 4-byte Folded Reload
	buffer_load_dword v100, off, s[40:43], 0 offset:632 ; 4-byte Folded Reload
	buffer_load_dword v101, off, s[40:43], 0 offset:636 ; 4-byte Folded Reload
	s_waitcnt vmcnt(20)
	;;#ASMSTART
	v_pk_mul_f32 v[16:17], v[80:81], v[10:11]
	;;#ASMEND
	buffer_load_dword v70, off, s[40:43], 0 offset:384 ; 4-byte Folded Reload
	buffer_load_dword v71, off, s[40:43], 0 offset:388 ; 4-byte Folded Reload
	buffer_load_dword v72, off, s[40:43], 0 offset:392 ; 4-byte Folded Reload
	buffer_load_dword v73, off, s[40:43], 0 offset:396 ; 4-byte Folded Reload
	buffer_load_dword v74, off, s[40:43], 0 offset:400 ; 4-byte Folded Reload
	buffer_load_dword v75, off, s[40:43], 0 offset:404 ; 4-byte Folded Reload
	buffer_load_dword v76, off, s[40:43], 0 offset:408 ; 4-byte Folded Reload
	buffer_load_dword v77, off, s[40:43], 0 offset:412 ; 4-byte Folded Reload
	buffer_load_dword v78, off, s[40:43], 0 offset:416 ; 4-byte Folded Reload
	buffer_load_dword v79, off, s[40:43], 0 offset:420 ; 4-byte Folded Reload
	buffer_load_dword v80, off, s[40:43], 0 offset:424 ; 4-byte Folded Reload
	buffer_load_dword v81, off, s[40:43], 0 offset:428 ; 4-byte Folded Reload
	buffer_load_dword v82, off, s[40:43], 0 offset:432 ; 4-byte Folded Reload
	buffer_load_dword v83, off, s[40:43], 0 offset:436 ; 4-byte Folded Reload
	buffer_load_dword v84, off, s[40:43], 0 offset:440 ; 4-byte Folded Reload
	buffer_load_dword v85, off, s[40:43], 0 offset:444 ; 4-byte Folded Reload
	buffer_load_dword v86, off, s[40:43], 0 offset:448 ; 4-byte Folded Reload
	buffer_load_dword v87, off, s[40:43], 0 offset:452 ; 4-byte Folded Reload
	buffer_load_dword v88, off, s[40:43], 0 offset:456 ; 4-byte Folded Reload
	buffer_load_dword v89, off, s[40:43], 0 offset:460 ; 4-byte Folded Reload
	buffer_load_dword v90, off, s[40:43], 0 offset:464 ; 4-byte Folded Reload
	buffer_load_dword v91, off, s[40:43], 0 offset:468 ; 4-byte Folded Reload
	buffer_load_dword v92, off, s[40:43], 0 offset:472 ; 4-byte Folded Reload
	buffer_load_dword v93, off, s[40:43], 0 offset:476 ; 4-byte Folded Reload
	buffer_load_dword v94, off, s[40:43], 0 offset:480 ; 4-byte Folded Reload
	buffer_load_dword v95, off, s[40:43], 0 offset:484 ; 4-byte Folded Reload
	buffer_load_dword v96, off, s[40:43], 0 offset:488 ; 4-byte Folded Reload
	buffer_load_dword v97, off, s[40:43], 0 offset:492 ; 4-byte Folded Reload
	buffer_load_dword v98, off, s[40:43], 0 offset:496 ; 4-byte Folded Reload
	buffer_load_dword v99, off, s[40:43], 0 offset:500 ; 4-byte Folded Reload
	buffer_load_dword v100, off, s[40:43], 0 offset:504 ; 4-byte Folded Reload
	buffer_load_dword v101, off, s[40:43], 0 offset:508 ; 4-byte Folded Reload
	;; [unrolled: 36-line block ×4, first 2 shown]
	s_waitcnt vmcnt(14)
	;;#ASMSTART
	v_pk_mul_f32 v[22:23], v[86:87], v[10:11]
	;;#ASMEND
	buffer_load_dword v70, off, s[40:43], 0 ; 4-byte Folded Reload
	buffer_load_dword v71, off, s[40:43], 0 offset:4 ; 4-byte Folded Reload
	buffer_load_dword v72, off, s[40:43], 0 offset:8 ; 4-byte Folded Reload
	;; [unrolled: 1-line block ×31, first 2 shown]
	s_waitcnt vmcnt(12)
	;;#ASMSTART
	v_pk_mul_f32 v[24:25], v[88:89], v[10:11]
	;;#ASMEND
	;;#ASMSTART
	v_pk_mul_f32 v[26:27], v[26:27], v[10:11]
	;;#ASMEND
	;; [unrolled: 3-line block ×3, first 2 shown]
	v_cvt_f32_u32_sdwa v11, v121 dst_sel:DWORD dst_unused:UNUSED_PAD src0_sel:WORD_1
	v_cvt_f32_u32_sdwa v10, v121 dst_sel:DWORD dst_unused:UNUSED_PAD src0_sel:WORD_0
	v_cvt_f32_u32_sdwa v29, v122 dst_sel:DWORD dst_unused:UNUSED_PAD src0_sel:WORD_1
	v_cvt_f32_u32_sdwa v28, v122 dst_sel:DWORD dst_unused:UNUSED_PAD src0_sel:WORD_0
	;;#ASMSTART
	v_pk_mul_f32 v[34:35], v[12:13], v[4:5]
	;;#ASMEND
	v_pk_add_f32 v[4:5], v[10:11], 1.0 op_sel_hi:[1,0]
	v_pk_add_f32 v[12:13], v[30:31], 1.0 op_sel_hi:[1,0]
	;; [unrolled: 1-line block ×5, first 2 shown]
	;;#ASMSTART
	v_pk_mul_f32 v[4:5], v[2:3], v[4:5]
	;;#ASMEND
	;;#ASMSTART
	v_pk_mul_f32 v[70:71], v[6:7], v[10:11]
	;;#ASMEND
	;; [unrolled: 3-line block ×4, first 2 shown]
	buffer_store_dword v0, off, s[40:43], 0 offset:640 ; 4-byte Folded Spill
	s_nop 0
	buffer_store_dword v1, off, s[40:43], 0 offset:644 ; 4-byte Folded Spill
	buffer_store_dword v2, off, s[40:43], 0 offset:648 ; 4-byte Folded Spill
	;; [unrolled: 1-line block ×31, first 2 shown]
	v_pk_add_f32 v[32:33], v[38:39], 1.0 op_sel_hi:[1,0]
	v_pk_add_f32 v[36:37], v[40:41], 1.0 op_sel_hi:[1,0]
	;; [unrolled: 1-line block ×6, first 2 shown]
	;;#ASMSTART
	v_pk_mul_f32 v[10:11], v[16:17], v[30:31]
	;;#ASMEND
	buffer_store_dword v0, off, s[40:43], 0 offset:512 ; 4-byte Folded Spill
	s_nop 0
	buffer_store_dword v1, off, s[40:43], 0 offset:516 ; 4-byte Folded Spill
	buffer_store_dword v2, off, s[40:43], 0 offset:520 ; 4-byte Folded Spill
	buffer_store_dword v3, off, s[40:43], 0 offset:524 ; 4-byte Folded Spill
	buffer_store_dword v4, off, s[40:43], 0 offset:528 ; 4-byte Folded Spill
	buffer_store_dword v5, off, s[40:43], 0 offset:532 ; 4-byte Folded Spill
	buffer_store_dword v6, off, s[40:43], 0 offset:536 ; 4-byte Folded Spill
	buffer_store_dword v7, off, s[40:43], 0 offset:540 ; 4-byte Folded Spill
	buffer_store_dword v8, off, s[40:43], 0 offset:544 ; 4-byte Folded Spill
	buffer_store_dword v9, off, s[40:43], 0 offset:548 ; 4-byte Folded Spill
	buffer_store_dword v10, off, s[40:43], 0 offset:552 ; 4-byte Folded Spill
	buffer_store_dword v11, off, s[40:43], 0 offset:556 ; 4-byte Folded Spill
	buffer_store_dword v12, off, s[40:43], 0 offset:560 ; 4-byte Folded Spill
	buffer_store_dword v13, off, s[40:43], 0 offset:564 ; 4-byte Folded Spill
	buffer_store_dword v14, off, s[40:43], 0 offset:568 ; 4-byte Folded Spill
	buffer_store_dword v15, off, s[40:43], 0 offset:572 ; 4-byte Folded Spill
	buffer_store_dword v16, off, s[40:43], 0 offset:576 ; 4-byte Folded Spill
	buffer_store_dword v17, off, s[40:43], 0 offset:580 ; 4-byte Folded Spill
	buffer_store_dword v18, off, s[40:43], 0 offset:584 ; 4-byte Folded Spill
	buffer_store_dword v19, off, s[40:43], 0 offset:588 ; 4-byte Folded Spill
	buffer_store_dword v20, off, s[40:43], 0 offset:592 ; 4-byte Folded Spill
	buffer_store_dword v21, off, s[40:43], 0 offset:596 ; 4-byte Folded Spill
	buffer_store_dword v22, off, s[40:43], 0 offset:600 ; 4-byte Folded Spill
	buffer_store_dword v23, off, s[40:43], 0 offset:604 ; 4-byte Folded Spill
	buffer_store_dword v24, off, s[40:43], 0 offset:608 ; 4-byte Folded Spill
	buffer_store_dword v25, off, s[40:43], 0 offset:612 ; 4-byte Folded Spill
	buffer_store_dword v26, off, s[40:43], 0 offset:616 ; 4-byte Folded Spill
	buffer_store_dword v27, off, s[40:43], 0 offset:620 ; 4-byte Folded Spill
	buffer_store_dword v28, off, s[40:43], 0 offset:624 ; 4-byte Folded Spill
	buffer_store_dword v29, off, s[40:43], 0 offset:628 ; 4-byte Folded Spill
	buffer_store_dword v30, off, s[40:43], 0 offset:632 ; 4-byte Folded Spill
	buffer_store_dword v31, off, s[40:43], 0 offset:636 ; 4-byte Folded Spill
	;;#ASMSTART
	v_pk_mul_f32 v[12:13], v[18:19], v[32:33]
	;;#ASMEND
	buffer_store_dword v0, off, s[40:43], 0 offset:384 ; 4-byte Folded Spill
	s_nop 0
	buffer_store_dword v1, off, s[40:43], 0 offset:388 ; 4-byte Folded Spill
	buffer_store_dword v2, off, s[40:43], 0 offset:392 ; 4-byte Folded Spill
	buffer_store_dword v3, off, s[40:43], 0 offset:396 ; 4-byte Folded Spill
	buffer_store_dword v4, off, s[40:43], 0 offset:400 ; 4-byte Folded Spill
	buffer_store_dword v5, off, s[40:43], 0 offset:404 ; 4-byte Folded Spill
	buffer_store_dword v6, off, s[40:43], 0 offset:408 ; 4-byte Folded Spill
	buffer_store_dword v7, off, s[40:43], 0 offset:412 ; 4-byte Folded Spill
	buffer_store_dword v8, off, s[40:43], 0 offset:416 ; 4-byte Folded Spill
	buffer_store_dword v9, off, s[40:43], 0 offset:420 ; 4-byte Folded Spill
	buffer_store_dword v10, off, s[40:43], 0 offset:424 ; 4-byte Folded Spill
	buffer_store_dword v11, off, s[40:43], 0 offset:428 ; 4-byte Folded Spill
	buffer_store_dword v12, off, s[40:43], 0 offset:432 ; 4-byte Folded Spill
	buffer_store_dword v13, off, s[40:43], 0 offset:436 ; 4-byte Folded Spill
	buffer_store_dword v14, off, s[40:43], 0 offset:440 ; 4-byte Folded Spill
	buffer_store_dword v15, off, s[40:43], 0 offset:444 ; 4-byte Folded Spill
	buffer_store_dword v16, off, s[40:43], 0 offset:448 ; 4-byte Folded Spill
	buffer_store_dword v17, off, s[40:43], 0 offset:452 ; 4-byte Folded Spill
	buffer_store_dword v18, off, s[40:43], 0 offset:456 ; 4-byte Folded Spill
	buffer_store_dword v19, off, s[40:43], 0 offset:460 ; 4-byte Folded Spill
	buffer_store_dword v20, off, s[40:43], 0 offset:464 ; 4-byte Folded Spill
	buffer_store_dword v21, off, s[40:43], 0 offset:468 ; 4-byte Folded Spill
	buffer_store_dword v22, off, s[40:43], 0 offset:472 ; 4-byte Folded Spill
	buffer_store_dword v23, off, s[40:43], 0 offset:476 ; 4-byte Folded Spill
	buffer_store_dword v24, off, s[40:43], 0 offset:480 ; 4-byte Folded Spill
	buffer_store_dword v25, off, s[40:43], 0 offset:484 ; 4-byte Folded Spill
	buffer_store_dword v26, off, s[40:43], 0 offset:488 ; 4-byte Folded Spill
	buffer_store_dword v27, off, s[40:43], 0 offset:492 ; 4-byte Folded Spill
	buffer_store_dword v28, off, s[40:43], 0 offset:496 ; 4-byte Folded Spill
	buffer_store_dword v29, off, s[40:43], 0 offset:500 ; 4-byte Folded Spill
	buffer_store_dword v30, off, s[40:43], 0 offset:504 ; 4-byte Folded Spill
	buffer_store_dword v31, off, s[40:43], 0 offset:508 ; 4-byte Folded Spill
	;; [unrolled: 36-line block ×4, first 2 shown]
	;;#ASMSTART
	v_pk_mul_f32 v[18:19], v[24:25], v[40:41]
	;;#ASMEND
	buffer_store_dword v0, off, s[40:43], 0 ; 4-byte Folded Spill
	s_nop 0
	buffer_store_dword v1, off, s[40:43], 0 offset:4 ; 4-byte Folded Spill
	buffer_store_dword v2, off, s[40:43], 0 offset:8 ; 4-byte Folded Spill
	;; [unrolled: 1-line block ×31, first 2 shown]
	;;#ASMSTART
	v_pk_mul_f32 v[26:27], v[26:27], v[42:43]
	;;#ASMEND
	;;#ASMSTART
	v_pk_mul_f32 v[28:29], v[52:53], v[46:47]
	;;#ASMEND
	s_or_b64 exec, exec, s[24:25]
	s_mov_b64 s[8:9], -1
	s_and_b64 vcc, exec, s[22:23]
	s_cbranch_vccz .LBB70_15
.LBB70_19:
	s_and_saveexec_b64 s[8:9], s[0:1]
	s_cbranch_execz .LBB70_21
; %bb.20:
	s_mul_hi_i32 s23, s28, s6
	s_mul_i32 s22, s28, s6
	s_lshl_b64 s[22:23], s[22:23], 1
	s_add_u32 s24, s30, s22
	s_addc_u32 s7, s31, s23
	s_and_b32 s25, s7, 0xffff
	s_mov_b32 s7, 0x7060302
	s_mov_b32 s27, 0x20000
	v_perm_b32 v9, v79, v78, s7
	v_perm_b32 v8, v71, v70, s7
	;; [unrolled: 1-line block ×4, first 2 shown]
	v_lshlrev_b32_e32 v2, 1, v68
	buffer_store_dwordx4 v[6:9], v2, s[24:27], 0 offen
	;;#ASMSTART
	s_nop 0
	;;#ASMEND
	buffer_load_dword v80, off, s[40:43], 0 offset:128 ; 4-byte Folded Reload
	buffer_load_dword v81, off, s[40:43], 0 offset:132 ; 4-byte Folded Reload
	;; [unrolled: 1-line block ×32, first 2 shown]
	s_movk_i32 s12, 0x400
	s_waitcnt vmcnt(16)
	v_perm_b32 v9, v95, v94, s7
	buffer_load_dword v80, off, s[40:43], 0 offset:384 ; 4-byte Folded Reload
	buffer_load_dword v81, off, s[40:43], 0 offset:388 ; 4-byte Folded Reload
	buffer_load_dword v82, off, s[40:43], 0 offset:392 ; 4-byte Folded Reload
	buffer_load_dword v83, off, s[40:43], 0 offset:396 ; 4-byte Folded Reload
	buffer_load_dword v84, off, s[40:43], 0 offset:400 ; 4-byte Folded Reload
	buffer_load_dword v85, off, s[40:43], 0 offset:404 ; 4-byte Folded Reload
	buffer_load_dword v86, off, s[40:43], 0 offset:408 ; 4-byte Folded Reload
	buffer_load_dword v87, off, s[40:43], 0 offset:412 ; 4-byte Folded Reload
	buffer_load_dword v88, off, s[40:43], 0 offset:416 ; 4-byte Folded Reload
	buffer_load_dword v89, off, s[40:43], 0 offset:420 ; 4-byte Folded Reload
	buffer_load_dword v90, off, s[40:43], 0 offset:424 ; 4-byte Folded Reload
	buffer_load_dword v91, off, s[40:43], 0 offset:428 ; 4-byte Folded Reload
	buffer_load_dword v92, off, s[40:43], 0 offset:432 ; 4-byte Folded Reload
	buffer_load_dword v93, off, s[40:43], 0 offset:436 ; 4-byte Folded Reload
	buffer_load_dword v94, off, s[40:43], 0 offset:440 ; 4-byte Folded Reload
	buffer_load_dword v95, off, s[40:43], 0 offset:444 ; 4-byte Folded Reload
	buffer_load_dword v96, off, s[40:43], 0 offset:448 ; 4-byte Folded Reload
	buffer_load_dword v97, off, s[40:43], 0 offset:452 ; 4-byte Folded Reload
	buffer_load_dword v98, off, s[40:43], 0 offset:456 ; 4-byte Folded Reload
	buffer_load_dword v99, off, s[40:43], 0 offset:460 ; 4-byte Folded Reload
	buffer_load_dword v100, off, s[40:43], 0 offset:464 ; 4-byte Folded Reload
	buffer_load_dword v101, off, s[40:43], 0 offset:468 ; 4-byte Folded Reload
	buffer_load_dword v102, off, s[40:43], 0 offset:472 ; 4-byte Folded Reload
	buffer_load_dword v103, off, s[40:43], 0 offset:476 ; 4-byte Folded Reload
	buffer_load_dword v104, off, s[40:43], 0 offset:480 ; 4-byte Folded Reload
	buffer_load_dword v105, off, s[40:43], 0 offset:484 ; 4-byte Folded Reload
	buffer_load_dword v106, off, s[40:43], 0 offset:488 ; 4-byte Folded Reload
	buffer_load_dword v107, off, s[40:43], 0 offset:492 ; 4-byte Folded Reload
	buffer_load_dword v108, off, s[40:43], 0 offset:496 ; 4-byte Folded Reload
	buffer_load_dword v109, off, s[40:43], 0 offset:500 ; 4-byte Folded Reload
	buffer_load_dword v110, off, s[40:43], 0 offset:504 ; 4-byte Folded Reload
	buffer_load_dword v111, off, s[40:43], 0 offset:508 ; 4-byte Folded Reload
	s_waitcnt vmcnt(18)
	v_perm_b32 v8, v93, v92, s7
	buffer_load_dword v80, off, s[40:43], 0 offset:512 ; 4-byte Folded Reload
	buffer_load_dword v81, off, s[40:43], 0 offset:516 ; 4-byte Folded Reload
	buffer_load_dword v82, off, s[40:43], 0 offset:520 ; 4-byte Folded Reload
	buffer_load_dword v83, off, s[40:43], 0 offset:524 ; 4-byte Folded Reload
	buffer_load_dword v84, off, s[40:43], 0 offset:528 ; 4-byte Folded Reload
	buffer_load_dword v85, off, s[40:43], 0 offset:532 ; 4-byte Folded Reload
	buffer_load_dword v86, off, s[40:43], 0 offset:536 ; 4-byte Folded Reload
	buffer_load_dword v87, off, s[40:43], 0 offset:540 ; 4-byte Folded Reload
	buffer_load_dword v88, off, s[40:43], 0 offset:544 ; 4-byte Folded Reload
	buffer_load_dword v89, off, s[40:43], 0 offset:548 ; 4-byte Folded Reload
	buffer_load_dword v90, off, s[40:43], 0 offset:552 ; 4-byte Folded Reload
	buffer_load_dword v91, off, s[40:43], 0 offset:556 ; 4-byte Folded Reload
	buffer_load_dword v92, off, s[40:43], 0 offset:560 ; 4-byte Folded Reload
	buffer_load_dword v93, off, s[40:43], 0 offset:564 ; 4-byte Folded Reload
	buffer_load_dword v94, off, s[40:43], 0 offset:568 ; 4-byte Folded Reload
	buffer_load_dword v95, off, s[40:43], 0 offset:572 ; 4-byte Folded Reload
	buffer_load_dword v96, off, s[40:43], 0 offset:576 ; 4-byte Folded Reload
	buffer_load_dword v97, off, s[40:43], 0 offset:580 ; 4-byte Folded Reload
	buffer_load_dword v98, off, s[40:43], 0 offset:584 ; 4-byte Folded Reload
	buffer_load_dword v99, off, s[40:43], 0 offset:588 ; 4-byte Folded Reload
	buffer_load_dword v100, off, s[40:43], 0 offset:592 ; 4-byte Folded Reload
	buffer_load_dword v101, off, s[40:43], 0 offset:596 ; 4-byte Folded Reload
	buffer_load_dword v102, off, s[40:43], 0 offset:600 ; 4-byte Folded Reload
	buffer_load_dword v103, off, s[40:43], 0 offset:604 ; 4-byte Folded Reload
	buffer_load_dword v104, off, s[40:43], 0 offset:608 ; 4-byte Folded Reload
	buffer_load_dword v105, off, s[40:43], 0 offset:612 ; 4-byte Folded Reload
	buffer_load_dword v106, off, s[40:43], 0 offset:616 ; 4-byte Folded Reload
	buffer_load_dword v107, off, s[40:43], 0 offset:620 ; 4-byte Folded Reload
	buffer_load_dword v108, off, s[40:43], 0 offset:624 ; 4-byte Folded Reload
	buffer_load_dword v109, off, s[40:43], 0 offset:628 ; 4-byte Folded Reload
	buffer_load_dword v110, off, s[40:43], 0 offset:632 ; 4-byte Folded Reload
	buffer_load_dword v111, off, s[40:43], 0 offset:636 ; 4-byte Folded Reload
	;; [unrolled: 34-line block ×3, first 2 shown]
	s_waitcnt vmcnt(22)
	v_perm_b32 v6, v89, v88, s7
	buffer_store_dwordx4 v[6:9], v2, s[24:27], s12 offen
	;;#ASMSTART
	s_nop 0
	;;#ASMEND
	buffer_load_dword v80, off, s[40:43], 0 ; 4-byte Folded Reload
	buffer_load_dword v81, off, s[40:43], 0 offset:4 ; 4-byte Folded Reload
	buffer_load_dword v82, off, s[40:43], 0 offset:8 ; 4-byte Folded Reload
	;; [unrolled: 1-line block ×31, first 2 shown]
	v_perm_b32 v9, v29, v28, s7
	v_perm_b32 v8, v27, v26, s7
	s_waitcnt vmcnt(12)
	v_perm_b32 v7, v99, v98, s7
	buffer_load_dword v80, off, s[40:43], 0 offset:256 ; 4-byte Folded Reload
	buffer_load_dword v81, off, s[40:43], 0 offset:260 ; 4-byte Folded Reload
	;; [unrolled: 1-line block ×32, first 2 shown]
	s_waitcnt vmcnt(14)
	v_perm_b32 v6, v97, v96, s7
	s_movk_i32 s7, 0x800
	buffer_store_dwordx4 v[6:9], v2, s[24:27], s7 offen
	;;#ASMSTART
	s_nop 0
	;;#ASMEND
.LBB70_21:
	s_or_b64 exec, exec, s[8:9]
	s_cbranch_execnz .LBB70_16
.LBB70_22:
	v_mov_b32_e32 v2, 0
	s_and_saveexec_b64 s[8:9], s[0:1]
	s_cbranch_execz .LBB70_24
; %bb.23:
	v_and_b32_e32 v2, 0x7fffffff, v34
	v_and_b32_e32 v3, 0x7fffffff, v35
	v_mov_b32_e32 v6, 0x2edbe6ff
	;;#ASMSTART
	v_max3_f32 v2, v6, v2, v3

	;;#ASMEND
	v_and_b32_e32 v3, 0x7fffffff, v4
	v_and_b32_e32 v6, 0x7fffffff, v5
	;;#ASMSTART
	v_max3_f32 v2, v2, v3, v6

	;;#ASMEND
	v_and_b32_e32 v3, 0x7fffffff, v70
	v_and_b32_e32 v6, 0x7fffffff, v71
	;;#ASMSTART
	v_max3_f32 v2, v2, v3, v6

	;;#ASMEND
	v_and_b32_e32 v3, 0x7fffffff, v78
	v_and_b32_e32 v6, 0x7fffffff, v79
	;;#ASMSTART
	v_max3_f32 v2, v2, v3, v6

	;;#ASMEND
	buffer_load_dword v80, off, s[40:43], 0 offset:640 ; 4-byte Folded Reload
	buffer_load_dword v81, off, s[40:43], 0 offset:644 ; 4-byte Folded Reload
	buffer_load_dword v82, off, s[40:43], 0 offset:648 ; 4-byte Folded Reload
	buffer_load_dword v83, off, s[40:43], 0 offset:652 ; 4-byte Folded Reload
	buffer_load_dword v84, off, s[40:43], 0 offset:656 ; 4-byte Folded Reload
	buffer_load_dword v85, off, s[40:43], 0 offset:660 ; 4-byte Folded Reload
	buffer_load_dword v86, off, s[40:43], 0 offset:664 ; 4-byte Folded Reload
	buffer_load_dword v87, off, s[40:43], 0 offset:668 ; 4-byte Folded Reload
	buffer_load_dword v88, off, s[40:43], 0 offset:672 ; 4-byte Folded Reload
	buffer_load_dword v89, off, s[40:43], 0 offset:676 ; 4-byte Folded Reload
	buffer_load_dword v90, off, s[40:43], 0 offset:680 ; 4-byte Folded Reload
	buffer_load_dword v91, off, s[40:43], 0 offset:684 ; 4-byte Folded Reload
	buffer_load_dword v92, off, s[40:43], 0 offset:688 ; 4-byte Folded Reload
	buffer_load_dword v93, off, s[40:43], 0 offset:692 ; 4-byte Folded Reload
	buffer_load_dword v94, off, s[40:43], 0 offset:696 ; 4-byte Folded Reload
	buffer_load_dword v95, off, s[40:43], 0 offset:700 ; 4-byte Folded Reload
	buffer_load_dword v96, off, s[40:43], 0 offset:704 ; 4-byte Folded Reload
	buffer_load_dword v97, off, s[40:43], 0 offset:708 ; 4-byte Folded Reload
	buffer_load_dword v98, off, s[40:43], 0 offset:712 ; 4-byte Folded Reload
	buffer_load_dword v99, off, s[40:43], 0 offset:716 ; 4-byte Folded Reload
	buffer_load_dword v100, off, s[40:43], 0 offset:720 ; 4-byte Folded Reload
	buffer_load_dword v101, off, s[40:43], 0 offset:724 ; 4-byte Folded Reload
	buffer_load_dword v102, off, s[40:43], 0 offset:728 ; 4-byte Folded Reload
	buffer_load_dword v103, off, s[40:43], 0 offset:732 ; 4-byte Folded Reload
	buffer_load_dword v104, off, s[40:43], 0 offset:736 ; 4-byte Folded Reload
	buffer_load_dword v105, off, s[40:43], 0 offset:740 ; 4-byte Folded Reload
	buffer_load_dword v106, off, s[40:43], 0 offset:744 ; 4-byte Folded Reload
	buffer_load_dword v107, off, s[40:43], 0 offset:748 ; 4-byte Folded Reload
	buffer_load_dword v108, off, s[40:43], 0 offset:752 ; 4-byte Folded Reload
	buffer_load_dword v109, off, s[40:43], 0 offset:756 ; 4-byte Folded Reload
	buffer_load_dword v110, off, s[40:43], 0 offset:760 ; 4-byte Folded Reload
	buffer_load_dword v111, off, s[40:43], 0 offset:764 ; 4-byte Folded Reload
	s_waitcnt vmcnt(22)
	v_pk_mov_b32 v[8:9], v[88:89], v[88:89] op_sel:[0,1]
	v_and_b32_e32 v3, 0x7fffffff, v8
	v_and_b32_e32 v6, 0x7fffffff, v9
	;;#ASMSTART
	v_max3_f32 v2, v2, v3, v6

	;;#ASMEND
	buffer_load_dword v80, off, s[40:43], 0 offset:512 ; 4-byte Folded Reload
	buffer_load_dword v81, off, s[40:43], 0 offset:516 ; 4-byte Folded Reload
	buffer_load_dword v82, off, s[40:43], 0 offset:520 ; 4-byte Folded Reload
	buffer_load_dword v83, off, s[40:43], 0 offset:524 ; 4-byte Folded Reload
	buffer_load_dword v84, off, s[40:43], 0 offset:528 ; 4-byte Folded Reload
	buffer_load_dword v85, off, s[40:43], 0 offset:532 ; 4-byte Folded Reload
	buffer_load_dword v86, off, s[40:43], 0 offset:536 ; 4-byte Folded Reload
	buffer_load_dword v87, off, s[40:43], 0 offset:540 ; 4-byte Folded Reload
	buffer_load_dword v88, off, s[40:43], 0 offset:544 ; 4-byte Folded Reload
	buffer_load_dword v89, off, s[40:43], 0 offset:548 ; 4-byte Folded Reload
	buffer_load_dword v90, off, s[40:43], 0 offset:552 ; 4-byte Folded Reload
	buffer_load_dword v91, off, s[40:43], 0 offset:556 ; 4-byte Folded Reload
	buffer_load_dword v92, off, s[40:43], 0 offset:560 ; 4-byte Folded Reload
	buffer_load_dword v93, off, s[40:43], 0 offset:564 ; 4-byte Folded Reload
	buffer_load_dword v94, off, s[40:43], 0 offset:568 ; 4-byte Folded Reload
	buffer_load_dword v95, off, s[40:43], 0 offset:572 ; 4-byte Folded Reload
	buffer_load_dword v96, off, s[40:43], 0 offset:576 ; 4-byte Folded Reload
	buffer_load_dword v97, off, s[40:43], 0 offset:580 ; 4-byte Folded Reload
	buffer_load_dword v98, off, s[40:43], 0 offset:584 ; 4-byte Folded Reload
	buffer_load_dword v99, off, s[40:43], 0 offset:588 ; 4-byte Folded Reload
	buffer_load_dword v100, off, s[40:43], 0 offset:592 ; 4-byte Folded Reload
	buffer_load_dword v101, off, s[40:43], 0 offset:596 ; 4-byte Folded Reload
	buffer_load_dword v102, off, s[40:43], 0 offset:600 ; 4-byte Folded Reload
	buffer_load_dword v103, off, s[40:43], 0 offset:604 ; 4-byte Folded Reload
	buffer_load_dword v104, off, s[40:43], 0 offset:608 ; 4-byte Folded Reload
	buffer_load_dword v105, off, s[40:43], 0 offset:612 ; 4-byte Folded Reload
	buffer_load_dword v106, off, s[40:43], 0 offset:616 ; 4-byte Folded Reload
	buffer_load_dword v107, off, s[40:43], 0 offset:620 ; 4-byte Folded Reload
	buffer_load_dword v108, off, s[40:43], 0 offset:624 ; 4-byte Folded Reload
	buffer_load_dword v109, off, s[40:43], 0 offset:628 ; 4-byte Folded Reload
	buffer_load_dword v110, off, s[40:43], 0 offset:632 ; 4-byte Folded Reload
	buffer_load_dword v111, off, s[40:43], 0 offset:636 ; 4-byte Folded Reload
	s_waitcnt vmcnt(20)
	v_pk_mov_b32 v[10:11], v[90:91], v[90:91] op_sel:[0,1]
	v_and_b32_e32 v3, 0x7fffffff, v10
	v_and_b32_e32 v6, 0x7fffffff, v11
	;;#ASMSTART
	v_max3_f32 v2, v2, v3, v6

	;;#ASMEND
	buffer_load_dword v80, off, s[40:43], 0 offset:384 ; 4-byte Folded Reload
	buffer_load_dword v81, off, s[40:43], 0 offset:388 ; 4-byte Folded Reload
	buffer_load_dword v82, off, s[40:43], 0 offset:392 ; 4-byte Folded Reload
	buffer_load_dword v83, off, s[40:43], 0 offset:396 ; 4-byte Folded Reload
	buffer_load_dword v84, off, s[40:43], 0 offset:400 ; 4-byte Folded Reload
	buffer_load_dword v85, off, s[40:43], 0 offset:404 ; 4-byte Folded Reload
	buffer_load_dword v86, off, s[40:43], 0 offset:408 ; 4-byte Folded Reload
	buffer_load_dword v87, off, s[40:43], 0 offset:412 ; 4-byte Folded Reload
	buffer_load_dword v88, off, s[40:43], 0 offset:416 ; 4-byte Folded Reload
	buffer_load_dword v89, off, s[40:43], 0 offset:420 ; 4-byte Folded Reload
	buffer_load_dword v90, off, s[40:43], 0 offset:424 ; 4-byte Folded Reload
	buffer_load_dword v91, off, s[40:43], 0 offset:428 ; 4-byte Folded Reload
	buffer_load_dword v92, off, s[40:43], 0 offset:432 ; 4-byte Folded Reload
	buffer_load_dword v93, off, s[40:43], 0 offset:436 ; 4-byte Folded Reload
	buffer_load_dword v94, off, s[40:43], 0 offset:440 ; 4-byte Folded Reload
	buffer_load_dword v95, off, s[40:43], 0 offset:444 ; 4-byte Folded Reload
	buffer_load_dword v96, off, s[40:43], 0 offset:448 ; 4-byte Folded Reload
	buffer_load_dword v97, off, s[40:43], 0 offset:452 ; 4-byte Folded Reload
	buffer_load_dword v98, off, s[40:43], 0 offset:456 ; 4-byte Folded Reload
	buffer_load_dword v99, off, s[40:43], 0 offset:460 ; 4-byte Folded Reload
	buffer_load_dword v100, off, s[40:43], 0 offset:464 ; 4-byte Folded Reload
	buffer_load_dword v101, off, s[40:43], 0 offset:468 ; 4-byte Folded Reload
	buffer_load_dword v102, off, s[40:43], 0 offset:472 ; 4-byte Folded Reload
	buffer_load_dword v103, off, s[40:43], 0 offset:476 ; 4-byte Folded Reload
	buffer_load_dword v104, off, s[40:43], 0 offset:480 ; 4-byte Folded Reload
	buffer_load_dword v105, off, s[40:43], 0 offset:484 ; 4-byte Folded Reload
	buffer_load_dword v106, off, s[40:43], 0 offset:488 ; 4-byte Folded Reload
	buffer_load_dword v107, off, s[40:43], 0 offset:492 ; 4-byte Folded Reload
	buffer_load_dword v108, off, s[40:43], 0 offset:496 ; 4-byte Folded Reload
	buffer_load_dword v109, off, s[40:43], 0 offset:500 ; 4-byte Folded Reload
	buffer_load_dword v110, off, s[40:43], 0 offset:504 ; 4-byte Folded Reload
	buffer_load_dword v111, off, s[40:43], 0 offset:508 ; 4-byte Folded Reload
	s_waitcnt vmcnt(18)
	v_pk_mov_b32 v[12:13], v[92:93], v[92:93] op_sel:[0,1]
	v_and_b32_e32 v3, 0x7fffffff, v12
	v_and_b32_e32 v6, 0x7fffffff, v13
	;;#ASMSTART
	v_max3_f32 v2, v2, v3, v6

	;;#ASMEND
	buffer_load_dword v80, off, s[40:43], 0 offset:128 ; 4-byte Folded Reload
	buffer_load_dword v81, off, s[40:43], 0 offset:132 ; 4-byte Folded Reload
	buffer_load_dword v82, off, s[40:43], 0 offset:136 ; 4-byte Folded Reload
	buffer_load_dword v83, off, s[40:43], 0 offset:140 ; 4-byte Folded Reload
	buffer_load_dword v84, off, s[40:43], 0 offset:144 ; 4-byte Folded Reload
	buffer_load_dword v85, off, s[40:43], 0 offset:148 ; 4-byte Folded Reload
	buffer_load_dword v86, off, s[40:43], 0 offset:152 ; 4-byte Folded Reload
	buffer_load_dword v87, off, s[40:43], 0 offset:156 ; 4-byte Folded Reload
	buffer_load_dword v88, off, s[40:43], 0 offset:160 ; 4-byte Folded Reload
	buffer_load_dword v89, off, s[40:43], 0 offset:164 ; 4-byte Folded Reload
	buffer_load_dword v90, off, s[40:43], 0 offset:168 ; 4-byte Folded Reload
	buffer_load_dword v91, off, s[40:43], 0 offset:172 ; 4-byte Folded Reload
	buffer_load_dword v92, off, s[40:43], 0 offset:176 ; 4-byte Folded Reload
	buffer_load_dword v93, off, s[40:43], 0 offset:180 ; 4-byte Folded Reload
	buffer_load_dword v94, off, s[40:43], 0 offset:184 ; 4-byte Folded Reload
	buffer_load_dword v95, off, s[40:43], 0 offset:188 ; 4-byte Folded Reload
	buffer_load_dword v96, off, s[40:43], 0 offset:192 ; 4-byte Folded Reload
	buffer_load_dword v97, off, s[40:43], 0 offset:196 ; 4-byte Folded Reload
	buffer_load_dword v98, off, s[40:43], 0 offset:200 ; 4-byte Folded Reload
	buffer_load_dword v99, off, s[40:43], 0 offset:204 ; 4-byte Folded Reload
	buffer_load_dword v100, off, s[40:43], 0 offset:208 ; 4-byte Folded Reload
	buffer_load_dword v101, off, s[40:43], 0 offset:212 ; 4-byte Folded Reload
	buffer_load_dword v102, off, s[40:43], 0 offset:216 ; 4-byte Folded Reload
	buffer_load_dword v103, off, s[40:43], 0 offset:220 ; 4-byte Folded Reload
	buffer_load_dword v104, off, s[40:43], 0 offset:224 ; 4-byte Folded Reload
	buffer_load_dword v105, off, s[40:43], 0 offset:228 ; 4-byte Folded Reload
	buffer_load_dword v106, off, s[40:43], 0 offset:232 ; 4-byte Folded Reload
	buffer_load_dword v107, off, s[40:43], 0 offset:236 ; 4-byte Folded Reload
	buffer_load_dword v108, off, s[40:43], 0 offset:240 ; 4-byte Folded Reload
	buffer_load_dword v109, off, s[40:43], 0 offset:244 ; 4-byte Folded Reload
	buffer_load_dword v110, off, s[40:43], 0 offset:248 ; 4-byte Folded Reload
	buffer_load_dword v111, off, s[40:43], 0 offset:252 ; 4-byte Folded Reload
	s_waitcnt vmcnt(16)
	v_pk_mov_b32 v[14:15], v[94:95], v[94:95] op_sel:[0,1]
	v_and_b32_e32 v3, 0x7fffffff, v14
	v_and_b32_e32 v6, 0x7fffffff, v15
	;;#ASMSTART
	v_max3_f32 v2, v2, v3, v6

	;;#ASMEND
	buffer_load_dword v80, off, s[40:43], 0 offset:256 ; 4-byte Folded Reload
	buffer_load_dword v81, off, s[40:43], 0 offset:260 ; 4-byte Folded Reload
	buffer_load_dword v82, off, s[40:43], 0 offset:264 ; 4-byte Folded Reload
	buffer_load_dword v83, off, s[40:43], 0 offset:268 ; 4-byte Folded Reload
	buffer_load_dword v84, off, s[40:43], 0 offset:272 ; 4-byte Folded Reload
	buffer_load_dword v85, off, s[40:43], 0 offset:276 ; 4-byte Folded Reload
	buffer_load_dword v86, off, s[40:43], 0 offset:280 ; 4-byte Folded Reload
	buffer_load_dword v87, off, s[40:43], 0 offset:284 ; 4-byte Folded Reload
	buffer_load_dword v88, off, s[40:43], 0 offset:288 ; 4-byte Folded Reload
	buffer_load_dword v89, off, s[40:43], 0 offset:292 ; 4-byte Folded Reload
	buffer_load_dword v90, off, s[40:43], 0 offset:296 ; 4-byte Folded Reload
	buffer_load_dword v91, off, s[40:43], 0 offset:300 ; 4-byte Folded Reload
	buffer_load_dword v92, off, s[40:43], 0 offset:304 ; 4-byte Folded Reload
	buffer_load_dword v93, off, s[40:43], 0 offset:308 ; 4-byte Folded Reload
	buffer_load_dword v94, off, s[40:43], 0 offset:312 ; 4-byte Folded Reload
	buffer_load_dword v95, off, s[40:43], 0 offset:316 ; 4-byte Folded Reload
	buffer_load_dword v96, off, s[40:43], 0 offset:320 ; 4-byte Folded Reload
	buffer_load_dword v97, off, s[40:43], 0 offset:324 ; 4-byte Folded Reload
	buffer_load_dword v98, off, s[40:43], 0 offset:328 ; 4-byte Folded Reload
	buffer_load_dword v99, off, s[40:43], 0 offset:332 ; 4-byte Folded Reload
	buffer_load_dword v100, off, s[40:43], 0 offset:336 ; 4-byte Folded Reload
	buffer_load_dword v101, off, s[40:43], 0 offset:340 ; 4-byte Folded Reload
	buffer_load_dword v102, off, s[40:43], 0 offset:344 ; 4-byte Folded Reload
	buffer_load_dword v103, off, s[40:43], 0 offset:348 ; 4-byte Folded Reload
	buffer_load_dword v104, off, s[40:43], 0 offset:352 ; 4-byte Folded Reload
	buffer_load_dword v105, off, s[40:43], 0 offset:356 ; 4-byte Folded Reload
	buffer_load_dword v106, off, s[40:43], 0 offset:360 ; 4-byte Folded Reload
	buffer_load_dword v107, off, s[40:43], 0 offset:364 ; 4-byte Folded Reload
	buffer_load_dword v108, off, s[40:43], 0 offset:368 ; 4-byte Folded Reload
	buffer_load_dword v109, off, s[40:43], 0 offset:372 ; 4-byte Folded Reload
	buffer_load_dword v110, off, s[40:43], 0 offset:376 ; 4-byte Folded Reload
	buffer_load_dword v111, off, s[40:43], 0 offset:380 ; 4-byte Folded Reload
	s_waitcnt vmcnt(14)
	v_pk_mov_b32 v[16:17], v[96:97], v[96:97] op_sel:[0,1]
	v_and_b32_e32 v3, 0x7fffffff, v16
	v_and_b32_e32 v6, 0x7fffffff, v17
	;;#ASMSTART
	v_max3_f32 v2, v2, v3, v6

	;;#ASMEND
	buffer_load_dword v80, off, s[40:43], 0 ; 4-byte Folded Reload
	buffer_load_dword v81, off, s[40:43], 0 offset:4 ; 4-byte Folded Reload
	buffer_load_dword v82, off, s[40:43], 0 offset:8 ; 4-byte Folded Reload
	;; [unrolled: 1-line block ×31, first 2 shown]
	s_waitcnt vmcnt(12)
	v_pk_mov_b32 v[18:19], v[98:99], v[98:99] op_sel:[0,1]
	v_and_b32_e32 v3, 0x7fffffff, v18
	v_and_b32_e32 v6, 0x7fffffff, v19
	;;#ASMSTART
	v_max3_f32 v2, v2, v3, v6

	;;#ASMEND
	v_and_b32_e32 v3, 0x7fffffff, v26
	v_and_b32_e32 v6, 0x7fffffff, v27
	;;#ASMSTART
	v_max3_f32 v2, v2, v3, v6

	;;#ASMEND
	;; [unrolled: 6-line block ×3, first 2 shown]
.LBB70_24:
	s_or_b64 exec, exec, s[8:9]
	s_nop 0
	v_mov_b32_dpp v3, v2 quad_perm:[1,0,3,2] row_mask:0xf bank_mask:0xf
	v_cmp_gt_f32_e32 vcc, v2, v3
	v_cndmask_b32_e32 v2, v3, v2, vcc
	s_nop 1
	v_mov_b32_dpp v3, v2 quad_perm:[2,3,0,1] row_mask:0xf bank_mask:0xf
	v_cmp_gt_f32_e32 vcc, v2, v3
	v_cndmask_b32_e32 v2, v3, v2, vcc
	s_nop 1
	v_mov_b32_dpp v3, v2 row_half_mirror row_mask:0xf bank_mask:0xf
	v_cmp_gt_f32_e32 vcc, v2, v3
	v_cndmask_b32_e32 v2, v3, v2, vcc
	s_nop 1
	v_mov_b32_dpp v3, v2 row_mirror row_mask:0xf bank_mask:0xf
	v_cmp_gt_f32_e32 vcc, v2, v3
	v_cndmask_b32_e32 v2, v3, v2, vcc
	s_nop 1
	v_mov_b32_dpp v3, v2 row_bcast:15 row_mask:0xf bank_mask:0xf
	v_cmp_gt_f32_e32 vcc, v2, v3
	v_cndmask_b32_e32 v2, v3, v2, vcc
	s_nop 1
	v_mov_b32_dpp v3, v2 row_bcast:31 row_mask:0xf bank_mask:0xf
	s_and_saveexec_b64 s[8:9], s[2:3]
	s_cbranch_execz .LBB70_26
; %bb.25:
	v_cmp_gt_f32_e32 vcc, v2, v3
	v_cndmask_b32_e32 v2, v3, v2, vcc
	v_lshrrev_b32_e32 v3, 4, v0
	v_and_b32_e32 v3, 60, v3
	ds_write_b32 v3, v2
.LBB70_26:
	s_or_b64 exec, exec, s[8:9]
	s_waitcnt lgkmcnt(0)
	s_barrier
	ds_read_b32 v2, v48
	s_waitcnt lgkmcnt(0)
	s_nop 0
	v_mov_b32_dpp v3, v2 quad_perm:[1,0,3,2] row_mask:0xf bank_mask:0xf
	v_cmp_gt_f32_e32 vcc, v2, v3
	v_cndmask_b32_e32 v2, v3, v2, vcc
	s_nop 1
	v_mov_b32_dpp v3, v2 quad_perm:[2,3,0,1] row_mask:0xf bank_mask:0xf
	v_cmp_gt_f32_e32 vcc, v2, v3
	v_cndmask_b32_e32 v2, v3, v2, vcc
	v_mul_f32_e32 v2, 0x3b124925, v2
	v_cmp_eq_u32_e32 vcc, 0, v0
	s_and_saveexec_b64 s[8:9], vcc
	s_cbranch_execz .LBB70_28
; %bb.27:
	s_load_dwordx2 s[22:23], s[4:5], 0x8
	s_mul_hi_i32 s25, s11, s6
	s_mul_i32 s24, s11, s6
	s_lshl_b64 s[24:25], s[24:25], 2
	v_mov_b32_e32 v3, 0
	s_waitcnt lgkmcnt(0)
	s_add_u32 s22, s22, s24
	s_addc_u32 s23, s23, s25
	global_store_dword v3, v2, s[22:23]
.LBB70_28:
	s_or_b64 exec, exec, s[8:9]
	;;#ASMSTART
	v_rcp_f32 v2, v2
	;;#ASMEND
	s_and_saveexec_b64 s[22:23], s[0:1]
	s_cbranch_execz .LBB70_30
; %bb.29:
	v_mov_b32_e32 v3, v2
	;;#ASMSTART
	v_pk_mul_f32 v[6:7], v[34:35], v[2:3]
	;;#ASMEND
	v_mov_b32_e32 v8, 0xc3e00000
	v_mov_b32_e32 v9, 0x43e00000
	;;#ASMSTART
	v_med3_f32 v6, v6, v8, v9
v_med3_f32 v7, v7, v8, v9
v_cvt_pk_fp8_f32 v10, v6, v7
	;;#ASMEND
	;;#ASMSTART
	v_pk_mul_f32 v[4:5], v[4:5], v[2:3]
	;;#ASMEND
	s_load_dwordx2 s[0:1], s[4:5], 0x0
	;;#ASMSTART
	v_med3_f32 v4, v4, v8, v9
v_med3_f32 v5, v5, v8, v9
v_cvt_pk_fp8_f32 v6, v4, v5
	;;#ASMEND
	;;#ASMSTART
	v_pk_mul_f32 v[4:5], v[70:71], v[2:3]
	;;#ASMEND
	;;#ASMSTART
	v_med3_f32 v4, v4, v8, v9
v_med3_f32 v5, v5, v8, v9
v_cvt_pk_fp8_f32 v7, v4, v5
	;;#ASMEND
	;;#ASMSTART
	v_pk_mul_f32 v[4:5], v[78:79], v[2:3]
	;;#ASMEND
	s_mul_i32 s8, s10, s6
	;;#ASMSTART
	v_med3_f32 v4, v4, v8, v9
v_med3_f32 v5, v5, v8, v9
v_cvt_pk_fp8_f32 v11, v4, v5
	;;#ASMEND
	s_mov_b32 s7, 0x5040100
	s_mul_hi_i32 s9, s10, s6
	s_waitcnt lgkmcnt(0)
	s_add_u32 s8, s0, s8
	v_perm_b32 v4, v6, v10, s7
	s_movk_i32 s12, 0xff
	s_addc_u32 s0, s1, s9
	s_add_i32 s1, s15, 3
	v_and_b32_e32 v5, 0xffffff00, v6
	v_and_b32_sdwa v6, v4, s12 dst_sel:DWORD dst_unused:UNUSED_PAD src0_sel:WORD_1 src1_sel:DWORD
	s_ashr_i32 s9, s1, 31
	v_or_b32_sdwa v5, v6, v5 dst_sel:WORD_1 dst_unused:UNUSED_PAD src0_sel:DWORD src1_sel:DWORD
	s_mov_b32 s14, 0xffff
	s_lshr_b32 s9, s9, 30
	v_and_or_b32 v4, v4, s14, v5
	v_lshlrev_b32_e32 v5, 16, v11
	s_add_i32 s1, s1, s9
	v_and_or_b32 v5, v7, s14, v5
	s_and_b32 s10, s1, -4
	s_and_b32 s9, s0, 0xffff
	s_mov_b32 s11, 0x20000
	buffer_store_dwordx2 v[4:5], v68, s[8:11], 0 offen
	;;#ASMSTART
	s_nop 0
	;;#ASMEND
	buffer_load_dword v70, off, s[40:43], 0 offset:640 ; 4-byte Folded Reload
	buffer_load_dword v71, off, s[40:43], 0 offset:644 ; 4-byte Folded Reload
	;; [unrolled: 1-line block ×32, first 2 shown]
	s_movk_i32 s0, 0x200
	s_waitcnt vmcnt(22)
	;;#ASMSTART
	v_pk_mul_f32 v[4:5], v[78:79], v[2:3]
	;;#ASMEND
	;;#ASMSTART
	v_med3_f32 v4, v4, v8, v9
v_med3_f32 v5, v5, v8, v9
v_cvt_pk_fp8_f32 v6, v4, v5
	;;#ASMEND
	buffer_load_dword v70, off, s[40:43], 0 offset:512 ; 4-byte Folded Reload
	buffer_load_dword v71, off, s[40:43], 0 offset:516 ; 4-byte Folded Reload
	buffer_load_dword v72, off, s[40:43], 0 offset:520 ; 4-byte Folded Reload
	buffer_load_dword v73, off, s[40:43], 0 offset:524 ; 4-byte Folded Reload
	buffer_load_dword v74, off, s[40:43], 0 offset:528 ; 4-byte Folded Reload
	buffer_load_dword v75, off, s[40:43], 0 offset:532 ; 4-byte Folded Reload
	buffer_load_dword v76, off, s[40:43], 0 offset:536 ; 4-byte Folded Reload
	buffer_load_dword v77, off, s[40:43], 0 offset:540 ; 4-byte Folded Reload
	buffer_load_dword v78, off, s[40:43], 0 offset:544 ; 4-byte Folded Reload
	buffer_load_dword v79, off, s[40:43], 0 offset:548 ; 4-byte Folded Reload
	buffer_load_dword v80, off, s[40:43], 0 offset:552 ; 4-byte Folded Reload
	buffer_load_dword v81, off, s[40:43], 0 offset:556 ; 4-byte Folded Reload
	buffer_load_dword v82, off, s[40:43], 0 offset:560 ; 4-byte Folded Reload
	buffer_load_dword v83, off, s[40:43], 0 offset:564 ; 4-byte Folded Reload
	buffer_load_dword v84, off, s[40:43], 0 offset:568 ; 4-byte Folded Reload
	buffer_load_dword v85, off, s[40:43], 0 offset:572 ; 4-byte Folded Reload
	buffer_load_dword v86, off, s[40:43], 0 offset:576 ; 4-byte Folded Reload
	buffer_load_dword v87, off, s[40:43], 0 offset:580 ; 4-byte Folded Reload
	buffer_load_dword v88, off, s[40:43], 0 offset:584 ; 4-byte Folded Reload
	buffer_load_dword v89, off, s[40:43], 0 offset:588 ; 4-byte Folded Reload
	buffer_load_dword v90, off, s[40:43], 0 offset:592 ; 4-byte Folded Reload
	buffer_load_dword v91, off, s[40:43], 0 offset:596 ; 4-byte Folded Reload
	buffer_load_dword v92, off, s[40:43], 0 offset:600 ; 4-byte Folded Reload
	buffer_load_dword v93, off, s[40:43], 0 offset:604 ; 4-byte Folded Reload
	buffer_load_dword v94, off, s[40:43], 0 offset:608 ; 4-byte Folded Reload
	buffer_load_dword v95, off, s[40:43], 0 offset:612 ; 4-byte Folded Reload
	buffer_load_dword v96, off, s[40:43], 0 offset:616 ; 4-byte Folded Reload
	buffer_load_dword v97, off, s[40:43], 0 offset:620 ; 4-byte Folded Reload
	buffer_load_dword v98, off, s[40:43], 0 offset:624 ; 4-byte Folded Reload
	buffer_load_dword v99, off, s[40:43], 0 offset:628 ; 4-byte Folded Reload
	buffer_load_dword v100, off, s[40:43], 0 offset:632 ; 4-byte Folded Reload
	buffer_load_dword v101, off, s[40:43], 0 offset:636 ; 4-byte Folded Reload
	s_waitcnt vmcnt(20)
	;;#ASMSTART
	v_pk_mul_f32 v[4:5], v[80:81], v[2:3]
	;;#ASMEND
	;;#ASMSTART
	v_med3_f32 v4, v4, v8, v9
v_med3_f32 v5, v5, v8, v9
v_cvt_pk_fp8_f32 v7, v4, v5
	;;#ASMEND
	buffer_load_dword v70, off, s[40:43], 0 offset:384 ; 4-byte Folded Reload
	buffer_load_dword v71, off, s[40:43], 0 offset:388 ; 4-byte Folded Reload
	buffer_load_dword v72, off, s[40:43], 0 offset:392 ; 4-byte Folded Reload
	buffer_load_dword v73, off, s[40:43], 0 offset:396 ; 4-byte Folded Reload
	buffer_load_dword v74, off, s[40:43], 0 offset:400 ; 4-byte Folded Reload
	buffer_load_dword v75, off, s[40:43], 0 offset:404 ; 4-byte Folded Reload
	buffer_load_dword v76, off, s[40:43], 0 offset:408 ; 4-byte Folded Reload
	buffer_load_dword v77, off, s[40:43], 0 offset:412 ; 4-byte Folded Reload
	buffer_load_dword v78, off, s[40:43], 0 offset:416 ; 4-byte Folded Reload
	buffer_load_dword v79, off, s[40:43], 0 offset:420 ; 4-byte Folded Reload
	buffer_load_dword v80, off, s[40:43], 0 offset:424 ; 4-byte Folded Reload
	buffer_load_dword v81, off, s[40:43], 0 offset:428 ; 4-byte Folded Reload
	buffer_load_dword v82, off, s[40:43], 0 offset:432 ; 4-byte Folded Reload
	buffer_load_dword v83, off, s[40:43], 0 offset:436 ; 4-byte Folded Reload
	buffer_load_dword v84, off, s[40:43], 0 offset:440 ; 4-byte Folded Reload
	buffer_load_dword v85, off, s[40:43], 0 offset:444 ; 4-byte Folded Reload
	buffer_load_dword v86, off, s[40:43], 0 offset:448 ; 4-byte Folded Reload
	buffer_load_dword v87, off, s[40:43], 0 offset:452 ; 4-byte Folded Reload
	buffer_load_dword v88, off, s[40:43], 0 offset:456 ; 4-byte Folded Reload
	buffer_load_dword v89, off, s[40:43], 0 offset:460 ; 4-byte Folded Reload
	buffer_load_dword v90, off, s[40:43], 0 offset:464 ; 4-byte Folded Reload
	buffer_load_dword v91, off, s[40:43], 0 offset:468 ; 4-byte Folded Reload
	buffer_load_dword v92, off, s[40:43], 0 offset:472 ; 4-byte Folded Reload
	buffer_load_dword v93, off, s[40:43], 0 offset:476 ; 4-byte Folded Reload
	buffer_load_dword v94, off, s[40:43], 0 offset:480 ; 4-byte Folded Reload
	buffer_load_dword v95, off, s[40:43], 0 offset:484 ; 4-byte Folded Reload
	buffer_load_dword v96, off, s[40:43], 0 offset:488 ; 4-byte Folded Reload
	buffer_load_dword v97, off, s[40:43], 0 offset:492 ; 4-byte Folded Reload
	buffer_load_dword v98, off, s[40:43], 0 offset:496 ; 4-byte Folded Reload
	buffer_load_dword v99, off, s[40:43], 0 offset:500 ; 4-byte Folded Reload
	buffer_load_dword v100, off, s[40:43], 0 offset:504 ; 4-byte Folded Reload
	buffer_load_dword v101, off, s[40:43], 0 offset:508 ; 4-byte Folded Reload
	;; [unrolled: 41-line block ×3, first 2 shown]
	s_waitcnt vmcnt(16)
	;;#ASMSTART
	v_pk_mul_f32 v[4:5], v[84:85], v[2:3]
	;;#ASMEND
	;;#ASMSTART
	v_med3_f32 v4, v4, v8, v9
v_med3_f32 v5, v5, v8, v9
v_cvt_pk_fp8_f32 v11, v4, v5
	;;#ASMEND
	v_perm_b32 v4, v7, v6, s7
	v_and_b32_e32 v5, 0xffffff00, v7
	v_and_b32_sdwa v6, v4, s12 dst_sel:DWORD dst_unused:UNUSED_PAD src0_sel:WORD_1 src1_sel:DWORD
	v_or_b32_sdwa v5, v6, v5 dst_sel:WORD_1 dst_unused:UNUSED_PAD src0_sel:DWORD src1_sel:DWORD
	v_and_or_b32 v4, v4, s14, v5
	v_lshlrev_b32_e32 v5, 16, v11
	v_and_or_b32 v5, v10, s14, v5
	buffer_store_dwordx2 v[4:5], v68, s[8:11], s0 offen
	;;#ASMSTART
	s_nop 0
	;;#ASMEND
	buffer_load_dword v70, off, s[40:43], 0 offset:256 ; 4-byte Folded Reload
	buffer_load_dword v71, off, s[40:43], 0 offset:260 ; 4-byte Folded Reload
	;; [unrolled: 1-line block ×32, first 2 shown]
	s_movk_i32 s0, 0x400
	s_waitcnt vmcnt(14)
	;;#ASMSTART
	v_pk_mul_f32 v[4:5], v[86:87], v[2:3]
	;;#ASMEND
	;;#ASMSTART
	v_med3_f32 v4, v4, v8, v9
v_med3_f32 v5, v5, v8, v9
v_cvt_pk_fp8_f32 v6, v4, v5
	;;#ASMEND
	buffer_load_dword v70, off, s[40:43], 0 ; 4-byte Folded Reload
	buffer_load_dword v71, off, s[40:43], 0 offset:4 ; 4-byte Folded Reload
	buffer_load_dword v72, off, s[40:43], 0 offset:8 ; 4-byte Folded Reload
	;; [unrolled: 1-line block ×31, first 2 shown]
	s_waitcnt vmcnt(12)
	;;#ASMSTART
	v_pk_mul_f32 v[4:5], v[88:89], v[2:3]
	;;#ASMEND
	;;#ASMSTART
	v_med3_f32 v4, v4, v8, v9
v_med3_f32 v5, v5, v8, v9
v_cvt_pk_fp8_f32 v7, v4, v5
	;;#ASMEND
	v_perm_b32 v5, v7, v6, s7
	v_and_b32_e32 v4, 0xffffff00, v7
	v_and_b32_sdwa v6, v5, s12 dst_sel:DWORD dst_unused:UNUSED_PAD src0_sel:WORD_1 src1_sel:DWORD
	v_or_b32_sdwa v4, v6, v4 dst_sel:WORD_1 dst_unused:UNUSED_PAD src0_sel:DWORD src1_sel:DWORD
	v_and_or_b32 v4, v5, s14, v4
	;;#ASMSTART
	v_pk_mul_f32 v[6:7], v[26:27], v[2:3]
	;;#ASMEND
	v_mov_b32_e32 v5, v7
	;;#ASMSTART
	v_med3_f32 v6, v6, v8, v9
v_med3_f32 v5, v5, v8, v9
v_cvt_pk_fp8_f32 v7, v6, v5
	;;#ASMEND
	;;#ASMSTART
	v_pk_mul_f32 v[10:11], v[28:29], v[2:3]
	;;#ASMEND
	v_mov_b32_e32 v1, v11
	;;#ASMSTART
	v_med3_f32 v10, v10, v8, v9
v_med3_f32 v1, v1, v8, v9
v_cvt_pk_fp8_f32 v2, v10, v1
	;;#ASMEND
	v_lshlrev_b32_e32 v1, 16, v2
	v_and_or_b32 v5, v7, s14, v1
	buffer_store_dwordx2 v[4:5], v68, s[8:11], s0 offen
	;;#ASMSTART
	s_nop 0
	;;#ASMEND
.LBB70_30:
	s_or_b64 exec, exec, s[22:23]
	s_cmp_lt_i32 s16, 1
	s_cbranch_scc1 .LBB70_17
.LBB70_31:
	s_load_dword s0, s[4:5], 0x94
	s_waitcnt lgkmcnt(0)
	s_cmp_lg_u32 s0, 1
	s_cbranch_scc1 .LBB70_17
; %bb.32:
	s_lshl_b32 s0, s16, 1
	s_add_i32 s0, s0, 2
	v_cmp_gt_u32_e32 vcc, s16, v68
	s_and_b32 s22, s0, -4
	v_mov_b32_e32 v50, 0
	v_lshlrev_b32_e32 v49, 1, v68
	v_mov_b32_e32 v22, 0
	v_mov_b32_e32 v23, 0
	;; [unrolled: 1-line block ×24, first 2 shown]
	s_waitcnt vmcnt(63) expcnt(7) lgkmcnt(15)
	s_barrier
	s_and_saveexec_b64 s[0:1], vcc
	s_cbranch_execz .LBB70_34
; %bb.33:
	s_mul_hi_i32 s5, s18, s6
	s_mul_i32 s4, s18, s6
	s_and_b32 s21, s21, 0xffff
	s_lshl_b64 s[4:5], s[4:5], 1
	s_add_u32 s8, s34, s4
	s_mov_b32 s23, 0x20000
	s_addc_u32 s4, s35, s5
	s_and_b32 s9, s4, 0xffff
	s_mov_b32 s10, s22
	s_mov_b32 s11, s23
	s_movk_i32 s5, 0x800
	s_movk_i32 s4, 0x400
	buffer_load_dwordx4 v[22:25], v49, s[8:11], 0 offen glc slc
	buffer_load_dwordx4 v[14:17], v49, s[8:11], s4 offen glc slc
	;; [unrolled: 1-line block ×3, first 2 shown]
	buffer_load_dwordx4 v[10:13], v49, s[20:23], 0 offen
	buffer_load_dwordx4 v[6:9], v49, s[20:23], s4 offen
	;; [unrolled: 1-line block ×3, first 2 shown]
.LBB70_34:
	s_or_b64 exec, exec, s[0:1]
	v_mov_b32_e32 v51, 0
	v_mov_b32_e32 v46, 0
	v_mov_b32_e32 v47, 0
	v_mov_b32_e32 v44, 0
	v_mov_b32_e32 v45, 0
	v_mov_b32_e32 v42, 0
	v_mov_b32_e32 v43, 0
	v_mov_b32_e32 v40, 0
	v_mov_b32_e32 v41, 0
	v_mov_b32_e32 v38, 0
	v_mov_b32_e32 v39, 0
	v_mov_b32_e32 v36, 0
	v_mov_b32_e32 v37, 0
	v_mov_b32_e32 v34, 0
	v_mov_b32_e32 v35, 0
	v_mov_b32_e32 v32, 0
	v_mov_b32_e32 v33, 0
	v_mov_b32_e32 v30, 0
	v_mov_b32_e32 v31, 0
	v_mov_b32_e32 v28, 0
	v_mov_b32_e32 v29, 0
	v_mov_b32_e32 v26, 0
	v_mov_b32_e32 v27, 0
	s_and_saveexec_b64 s[0:1], vcc
	s_cbranch_execz .LBB70_36
; %bb.35:
	s_waitcnt vmcnt(5)
	v_cvt_f32_u32_sdwa v50, v22 dst_sel:DWORD dst_unused:UNUSED_PAD src0_sel:WORD_0
	v_cvt_f32_u32_sdwa v51, v22 dst_sel:DWORD dst_unused:UNUSED_PAD src0_sel:WORD_1
	v_cvt_f32_u32_sdwa v46, v23 dst_sel:DWORD dst_unused:UNUSED_PAD src0_sel:WORD_0
	v_cvt_f32_u32_sdwa v47, v23 dst_sel:DWORD dst_unused:UNUSED_PAD src0_sel:WORD_1
	v_cvt_f32_u32_sdwa v44, v24 dst_sel:DWORD dst_unused:UNUSED_PAD src0_sel:WORD_0
	v_cvt_f32_u32_sdwa v45, v24 dst_sel:DWORD dst_unused:UNUSED_PAD src0_sel:WORD_1
	v_cvt_f32_u32_sdwa v42, v25 dst_sel:DWORD dst_unused:UNUSED_PAD src0_sel:WORD_0
	v_cvt_f32_u32_sdwa v43, v25 dst_sel:DWORD dst_unused:UNUSED_PAD src0_sel:WORD_1
	s_waitcnt vmcnt(4)
	v_cvt_f32_u32_sdwa v40, v14 dst_sel:DWORD dst_unused:UNUSED_PAD src0_sel:WORD_0
	v_cvt_f32_u32_sdwa v41, v14 dst_sel:DWORD dst_unused:UNUSED_PAD src0_sel:WORD_1
	v_cvt_f32_u32_sdwa v38, v15 dst_sel:DWORD dst_unused:UNUSED_PAD src0_sel:WORD_0
	v_cvt_f32_u32_sdwa v39, v15 dst_sel:DWORD dst_unused:UNUSED_PAD src0_sel:WORD_1
	v_cvt_f32_u32_sdwa v36, v16 dst_sel:DWORD dst_unused:UNUSED_PAD src0_sel:WORD_0
	v_cvt_f32_u32_sdwa v37, v16 dst_sel:DWORD dst_unused:UNUSED_PAD src0_sel:WORD_1
	v_cvt_f32_u32_sdwa v34, v17 dst_sel:DWORD dst_unused:UNUSED_PAD src0_sel:WORD_0
	v_cvt_f32_u32_sdwa v35, v17 dst_sel:DWORD dst_unused:UNUSED_PAD src0_sel:WORD_1
	;; [unrolled: 9-line block ×3, first 2 shown]
.LBB70_36:
	s_or_b64 exec, exec, s[0:1]
	s_waitcnt vmcnt(4)
	v_mul_f32_e32 v14, v51, v51
	v_fmac_f32_e32 v14, v50, v50
	v_fmac_f32_e32 v14, v46, v46
	;; [unrolled: 1-line block ×23, first 2 shown]
	s_nop 1
	v_mov_b32_dpp v15, v14 quad_perm:[1,0,3,2] row_mask:0xf bank_mask:0xf
	v_add_f32_e32 v14, v14, v15
	s_nop 1
	v_mov_b32_dpp v15, v14 quad_perm:[2,3,0,1] row_mask:0xf bank_mask:0xf
	v_add_f32_e32 v14, v14, v15
	s_nop 1
	v_mov_b32_dpp v15, v14 row_half_mirror row_mask:0xf bank_mask:0xf
	v_add_f32_e32 v14, v14, v15
	s_nop 1
	v_mov_b32_dpp v15, v14 row_mirror row_mask:0xf bank_mask:0xf
	v_add_f32_e32 v14, v14, v15
	s_nop 1
	v_mov_b32_dpp v15, v14 row_bcast:15 row_mask:0xf bank_mask:0xf
	v_add_f32_e32 v14, v14, v15
	s_nop 1
	v_mov_b32_dpp v15, v14 row_bcast:31 row_mask:0xf bank_mask:0xf
	s_and_saveexec_b64 s[0:1], s[2:3]
	s_cbranch_execz .LBB70_38
; %bb.37:
	v_add_f32_e32 v14, v14, v15
	v_lshrrev_b32_e32 v15, 4, v0
	v_and_b32_e32 v15, 60, v15
	ds_write_b32 v15, v14 offset:16
.LBB70_38:
	s_or_b64 exec, exec, s[0:1]
	s_waitcnt lgkmcnt(0)
	s_barrier
	ds_read_b32 v14, v48 offset:16
	s_waitcnt lgkmcnt(0)
	s_nop 0
	v_mov_b32_dpp v15, v14 quad_perm:[1,0,3,2] row_mask:0xf bank_mask:0xf
	v_add_f32_e32 v14, v14, v15
	s_nop 1
	v_mov_b32_dpp v15, v14 quad_perm:[2,3,0,1] row_mask:0xf bank_mask:0xf
	s_and_saveexec_b64 s[0:1], vcc
	s_cbranch_execz .LBB70_17
; %bb.39:
	v_cvt_f32_u32_e32 v16, s16
	v_add_f32_e32 v14, v14, v15
	s_mov_b32 s23, 0x20000
	v_div_scale_f32 v15, s[0:1], v16, v16, v14
	v_rcp_f32_e32 v17, v15
	s_waitcnt vmcnt(3)
	v_div_scale_f32 v18, vcc, v14, v16, v14
	s_mov_b32 s0, 0x800000
	v_fma_f32 v19, -v15, v17, 1.0
	v_fmac_f32_e32 v17, v19, v17
	v_mul_f32_e32 v19, v18, v17
	v_fma_f32 v20, -v15, v19, v18
	v_fmac_f32_e32 v19, v20, v17
	v_fma_f32 v15, -v15, v19, v18
	v_div_fmas_f32 v15, v15, v17, v19
	v_div_fixup_f32 v14, v15, v16, v14
	v_add_f32_e32 v14, s13, v14
	v_mul_f32_e32 v15, 0x4b800000, v14
	v_cmp_gt_f32_e32 vcc, s0, v14
	v_cndmask_b32_e32 v14, v14, v15, vcc
	v_rsq_f32_e32 v14, v14
	s_mul_hi_i32 s1, s28, s6
	s_mul_i32 s0, s28, s6
	s_lshl_b64 s[0:1], s[0:1], 1
	v_mul_f32_e32 v15, 0x45800000, v14
	v_cndmask_b32_e32 v14, v14, v15, vcc
	v_mov_b32_e32 v15, v14
	;;#ASMSTART
	v_pk_mul_f32 v[0:1], v[50:51], v[14:15]
	;;#ASMEND
	;;#ASMSTART
	v_pk_mul_f32 v[16:17], v[46:47], v[14:15]
	;;#ASMEND
	;; [unrolled: 3-line block ×6, first 2 shown]
	s_waitcnt vmcnt(2)
	v_cvt_f32_u32_sdwa v39, v10 dst_sel:DWORD dst_unused:UNUSED_PAD src0_sel:WORD_1
	v_cvt_f32_u32_sdwa v38, v10 dst_sel:DWORD dst_unused:UNUSED_PAD src0_sel:WORD_0
	v_cvt_f32_u32_sdwa v41, v11 dst_sel:DWORD dst_unused:UNUSED_PAD src0_sel:WORD_1
	v_cvt_f32_u32_sdwa v40, v11 dst_sel:DWORD dst_unused:UNUSED_PAD src0_sel:WORD_0
	;;#ASMSTART
	v_pk_mul_f32 v[36:37], v[36:37], v[14:15]
	;;#ASMEND
	;;#ASMSTART
	v_pk_mul_f32 v[34:35], v[34:35], v[14:15]
	;;#ASMEND
	;; [unrolled: 3-line block ×6, first 2 shown]
	v_cvt_f32_u32_sdwa v27, v12 dst_sel:DWORD dst_unused:UNUSED_PAD src0_sel:WORD_1
	v_cvt_f32_u32_sdwa v26, v12 dst_sel:DWORD dst_unused:UNUSED_PAD src0_sel:WORD_0
	v_pk_add_f32 v[14:15], v[38:39], 1.0 op_sel_hi:[1,0]
	;;#ASMSTART
	v_pk_mul_f32 v[0:1], v[0:1], v[14:15]
	;;#ASMEND
	v_pk_add_f32 v[14:15], v[40:41], 1.0 op_sel_hi:[1,0]
	v_cvt_f32_u32_sdwa v39, v13 dst_sel:DWORD dst_unused:UNUSED_PAD src0_sel:WORD_1
	v_cvt_f32_u32_sdwa v38, v13 dst_sel:DWORD dst_unused:UNUSED_PAD src0_sel:WORD_0
	;;#ASMSTART
	v_pk_mul_f32 v[12:13], v[16:17], v[14:15]
	;;#ASMEND
	v_pk_add_f32 v[14:15], v[26:27], 1.0 op_sel_hi:[1,0]
	;;#ASMSTART
	v_pk_mul_f32 v[14:15], v[18:19], v[14:15]
	;;#ASMEND
	s_waitcnt vmcnt(1)
	v_cvt_f32_u32_sdwa v19, v6 dst_sel:DWORD dst_unused:UNUSED_PAD src0_sel:WORD_1
	v_cvt_f32_u32_sdwa v18, v6 dst_sel:DWORD dst_unused:UNUSED_PAD src0_sel:WORD_0
	v_pk_add_f32 v[16:17], v[38:39], 1.0 op_sel_hi:[1,0]
	v_cvt_f32_u32_sdwa v27, v7 dst_sel:DWORD dst_unused:UNUSED_PAD src0_sel:WORD_1
	v_cvt_f32_u32_sdwa v26, v7 dst_sel:DWORD dst_unused:UNUSED_PAD src0_sel:WORD_0
	;;#ASMSTART
	v_pk_mul_f32 v[6:7], v[20:21], v[16:17]
	;;#ASMEND
	v_pk_add_f32 v[16:17], v[18:19], 1.0 op_sel_hi:[1,0]
	;;#ASMSTART
	v_pk_mul_f32 v[16:17], v[22:23], v[16:17]
	;;#ASMEND
	v_cvt_f32_u32_sdwa v21, v8 dst_sel:DWORD dst_unused:UNUSED_PAD src0_sel:WORD_1
	v_cvt_f32_u32_sdwa v20, v8 dst_sel:DWORD dst_unused:UNUSED_PAD src0_sel:WORD_0
	v_cvt_f32_u32_sdwa v23, v9 dst_sel:DWORD dst_unused:UNUSED_PAD src0_sel:WORD_1
	v_cvt_f32_u32_sdwa v22, v9 dst_sel:DWORD dst_unused:UNUSED_PAD src0_sel:WORD_0
	v_pk_add_f32 v[18:19], v[26:27], 1.0 op_sel_hi:[1,0]
	;;#ASMSTART
	v_pk_mul_f32 v[8:9], v[24:25], v[18:19]
	;;#ASMEND
	v_pk_add_f32 v[18:19], v[20:21], 1.0 op_sel_hi:[1,0]
	v_pk_add_f32 v[20:21], v[22:23], 1.0 op_sel_hi:[1,0]
	s_waitcnt vmcnt(0)
	v_cvt_f32_u32_sdwa v23, v2 dst_sel:DWORD dst_unused:UNUSED_PAD src0_sel:WORD_1
	v_cvt_f32_u32_sdwa v22, v2 dst_sel:DWORD dst_unused:UNUSED_PAD src0_sel:WORD_0
	v_cvt_f32_u32_sdwa v25, v3 dst_sel:DWORD dst_unused:UNUSED_PAD src0_sel:WORD_1
	v_cvt_f32_u32_sdwa v24, v3 dst_sel:DWORD dst_unused:UNUSED_PAD src0_sel:WORD_0
	;;#ASMSTART
	v_pk_mul_f32 v[18:19], v[36:37], v[18:19]
	;;#ASMEND
	v_pk_add_f32 v[2:3], v[22:23], 1.0 op_sel_hi:[1,0]
	;;#ASMSTART
	v_pk_mul_f32 v[20:21], v[34:35], v[20:21]
	;;#ASMEND
	;;#ASMSTART
	v_pk_mul_f32 v[22:23], v[32:33], v[2:3]
	;;#ASMEND
	v_pk_add_f32 v[2:3], v[24:25], 1.0 op_sel_hi:[1,0]
	v_cvt_f32_u32_sdwa v25, v4 dst_sel:DWORD dst_unused:UNUSED_PAD src0_sel:WORD_1
	v_cvt_f32_u32_sdwa v24, v4 dst_sel:DWORD dst_unused:UNUSED_PAD src0_sel:WORD_0
	v_cvt_f32_u32_sdwa v27, v5 dst_sel:DWORD dst_unused:UNUSED_PAD src0_sel:WORD_1
	v_cvt_f32_u32_sdwa v26, v5 dst_sel:DWORD dst_unused:UNUSED_PAD src0_sel:WORD_0
	s_add_u32 s20, s30, s0
	;;#ASMSTART
	v_pk_mul_f32 v[4:5], v[30:31], v[2:3]
	;;#ASMEND
	v_pk_add_f32 v[2:3], v[24:25], 1.0 op_sel_hi:[1,0]
	s_addc_u32 s0, s31, s1
	;;#ASMSTART
	v_pk_mul_f32 v[24:25], v[28:29], v[2:3]
	;;#ASMEND
	v_pk_add_f32 v[2:3], v[26:27], 1.0 op_sel_hi:[1,0]
	s_and_b32 s21, s0, 0xffff
	s_mov_b32 s0, 0x7060302
	;;#ASMSTART
	v_pk_mul_f32 v[10:11], v[10:11], v[2:3]
	;;#ASMEND
	v_perm_b32 v0, v1, v0, s0
	v_perm_b32 v1, v13, v12, s0
	;; [unrolled: 1-line block ×4, first 2 shown]
	buffer_store_dwordx4 v[0:3], v49, s[20:23], 0 offen
	s_movk_i32 s1, 0x400
	v_perm_b32 v0, v17, v16, s0
	v_perm_b32 v1, v9, v8, s0
	v_perm_b32 v2, v19, v18, s0
	v_perm_b32 v3, v21, v20, s0
	;;#ASMSTART
	s_nop 0
	;;#ASMEND
	buffer_store_dwordx4 v[0:3], v49, s[20:23], s1 offen
	v_perm_b32 v0, v23, v22, s0
	v_perm_b32 v1, v5, v4, s0
	;; [unrolled: 1-line block ×4, first 2 shown]
	s_movk_i32 s0, 0x800
	;;#ASMSTART
	s_nop 0
	;;#ASMEND
	buffer_store_dwordx4 v[0:3], v49, s[20:23], s0 offen
	;;#ASMSTART
	s_nop 0
	;;#ASMEND
	s_endpgm
	.section	.rodata,"a",@progbits
	.p2align	6, 0x0
	.amdhsa_kernel _ZN5aiter35fused_qk_rmsnorm_group_quant_kernelItDB8_Li256ELi24ELi1ELb1ELb0ELb1ELb0ELb1ELb1EEEvPT0_PvPT_S6_S6_PKS5_S8_S8_S8_S8_ffiiiiiiiiiiiii
		.amdhsa_group_segment_fixed_size 48
		.amdhsa_private_segment_fixed_size 900
		.amdhsa_kernarg_size 400
		.amdhsa_user_sgpr_count 6
		.amdhsa_user_sgpr_private_segment_buffer 1
		.amdhsa_user_sgpr_dispatch_ptr 0
		.amdhsa_user_sgpr_queue_ptr 0
		.amdhsa_user_sgpr_kernarg_segment_ptr 1
		.amdhsa_user_sgpr_dispatch_id 0
		.amdhsa_user_sgpr_flat_scratch_init 0
		.amdhsa_user_sgpr_kernarg_preload_length 0
		.amdhsa_user_sgpr_kernarg_preload_offset 0
		.amdhsa_user_sgpr_private_segment_size 0
		.amdhsa_uses_dynamic_stack 0
		.amdhsa_system_sgpr_private_segment_wavefront_offset 1
		.amdhsa_system_sgpr_workgroup_id_x 1
		.amdhsa_system_sgpr_workgroup_id_y 1
		.amdhsa_system_sgpr_workgroup_id_z 0
		.amdhsa_system_sgpr_workgroup_info 0
		.amdhsa_system_vgpr_workitem_id 0
		.amdhsa_next_free_vgpr 128
		.amdhsa_next_free_sgpr 44
		.amdhsa_accum_offset 128
		.amdhsa_reserve_vcc 1
		.amdhsa_reserve_flat_scratch 0
		.amdhsa_float_round_mode_32 0
		.amdhsa_float_round_mode_16_64 0
		.amdhsa_float_denorm_mode_32 3
		.amdhsa_float_denorm_mode_16_64 3
		.amdhsa_dx10_clamp 1
		.amdhsa_ieee_mode 1
		.amdhsa_fp16_overflow 0
		.amdhsa_tg_split 0
		.amdhsa_exception_fp_ieee_invalid_op 0
		.amdhsa_exception_fp_denorm_src 0
		.amdhsa_exception_fp_ieee_div_zero 0
		.amdhsa_exception_fp_ieee_overflow 0
		.amdhsa_exception_fp_ieee_underflow 0
		.amdhsa_exception_fp_ieee_inexact 0
		.amdhsa_exception_int_div_zero 0
	.end_amdhsa_kernel
	.section	.text._ZN5aiter35fused_qk_rmsnorm_group_quant_kernelItDB8_Li256ELi24ELi1ELb1ELb0ELb1ELb0ELb1ELb1EEEvPT0_PvPT_S6_S6_PKS5_S8_S8_S8_S8_ffiiiiiiiiiiiii,"axG",@progbits,_ZN5aiter35fused_qk_rmsnorm_group_quant_kernelItDB8_Li256ELi24ELi1ELb1ELb0ELb1ELb0ELb1ELb1EEEvPT0_PvPT_S6_S6_PKS5_S8_S8_S8_S8_ffiiiiiiiiiiiii,comdat
.Lfunc_end70:
	.size	_ZN5aiter35fused_qk_rmsnorm_group_quant_kernelItDB8_Li256ELi24ELi1ELb1ELb0ELb1ELb0ELb1ELb1EEEvPT0_PvPT_S6_S6_PKS5_S8_S8_S8_S8_ffiiiiiiiiiiiii, .Lfunc_end70-_ZN5aiter35fused_qk_rmsnorm_group_quant_kernelItDB8_Li256ELi24ELi1ELb1ELb0ELb1ELb0ELb1ELb1EEEvPT0_PvPT_S6_S6_PKS5_S8_S8_S8_S8_ffiiiiiiiiiiiii
                                        ; -- End function
	.section	.AMDGPU.csdata,"",@progbits
; Kernel info:
; codeLenInByte = 22872
; NumSgprs: 48
; NumVgprs: 128
; NumAgprs: 0
; TotalNumVgprs: 128
; ScratchSize: 900
; MemoryBound: 0
; FloatMode: 240
; IeeeMode: 1
; LDSByteSize: 48 bytes/workgroup (compile time only)
; SGPRBlocks: 5
; VGPRBlocks: 15
; NumSGPRsForWavesPerEU: 48
; NumVGPRsForWavesPerEU: 128
; AccumOffset: 128
; Occupancy: 4
; WaveLimiterHint : 0
; COMPUTE_PGM_RSRC2:SCRATCH_EN: 1
; COMPUTE_PGM_RSRC2:USER_SGPR: 6
; COMPUTE_PGM_RSRC2:TRAP_HANDLER: 0
; COMPUTE_PGM_RSRC2:TGID_X_EN: 1
; COMPUTE_PGM_RSRC2:TGID_Y_EN: 1
; COMPUTE_PGM_RSRC2:TGID_Z_EN: 0
; COMPUTE_PGM_RSRC2:TIDIG_COMP_CNT: 0
; COMPUTE_PGM_RSRC3_GFX90A:ACCUM_OFFSET: 31
; COMPUTE_PGM_RSRC3_GFX90A:TG_SPLIT: 0
	.section	.text._ZN5aiter35fused_qk_rmsnorm_group_quant_kernelIDF16_DB8_Li256ELi24ELi1ELb1ELb0ELb0ELb0ELb1ELb1EEEvPT0_PvPT_S6_S6_PKS5_S8_S8_S8_S8_ffiiiiiiiiiiiii,"axG",@progbits,_ZN5aiter35fused_qk_rmsnorm_group_quant_kernelIDF16_DB8_Li256ELi24ELi1ELb1ELb0ELb0ELb0ELb1ELb1EEEvPT0_PvPT_S6_S6_PKS5_S8_S8_S8_S8_ffiiiiiiiiiiiii,comdat
	.protected	_ZN5aiter35fused_qk_rmsnorm_group_quant_kernelIDF16_DB8_Li256ELi24ELi1ELb1ELb0ELb0ELb0ELb1ELb1EEEvPT0_PvPT_S6_S6_PKS5_S8_S8_S8_S8_ffiiiiiiiiiiiii ; -- Begin function _ZN5aiter35fused_qk_rmsnorm_group_quant_kernelIDF16_DB8_Li256ELi24ELi1ELb1ELb0ELb0ELb0ELb1ELb1EEEvPT0_PvPT_S6_S6_PKS5_S8_S8_S8_S8_ffiiiiiiiiiiiii
	.globl	_ZN5aiter35fused_qk_rmsnorm_group_quant_kernelIDF16_DB8_Li256ELi24ELi1ELb1ELb0ELb0ELb0ELb1ELb1EEEvPT0_PvPT_S6_S6_PKS5_S8_S8_S8_S8_ffiiiiiiiiiiiii
	.p2align	8
	.type	_ZN5aiter35fused_qk_rmsnorm_group_quant_kernelIDF16_DB8_Li256ELi24ELi1ELb1ELb0ELb0ELb0ELb1ELb1EEEvPT0_PvPT_S6_S6_PKS5_S8_S8_S8_S8_ffiiiiiiiiiiiii,@function
_ZN5aiter35fused_qk_rmsnorm_group_quant_kernelIDF16_DB8_Li256ELi24ELi1ELb1ELb0ELb0ELb0ELb1ELb1EEEvPT0_PvPT_S6_S6_PKS5_S8_S8_S8_S8_ffiiiiiiiiiiiii: ; @_ZN5aiter35fused_qk_rmsnorm_group_quant_kernelIDF16_DB8_Li256ELi24ELi1ELb1ELb0ELb0ELb0ELb1ELb1EEEvPT0_PvPT_S6_S6_PKS5_S8_S8_S8_S8_ffiiiiiiiiiiiii
; %bb.0:
	s_load_dwordx8 s[12:19], s[4:5], 0x50
	s_mov_b64 s[42:43], s[2:3]
	s_mov_b64 s[40:41], s[0:1]
	s_add_u32 s40, s40, s8
	s_addc_u32 s41, s41, 0
	s_waitcnt lgkmcnt(0)
	s_cmp_ge_i32 s6, s14
	s_cbranch_scc1 .LBB71_17
; %bb.1:
	s_cmp_lg_u32 s7, 0
	s_cselect_b64 s[22:23], -1, 0
	s_cmp_eq_u32 s7, 0
	s_cselect_b64 s[8:9], -1, 0
	s_and_b64 s[0:1], s[8:9], exec
	s_cselect_b32 s7, s15, s16
	s_add_i32 s0, s7, 1
	s_load_dwordx2 s[10:11], s[4:5], 0x70
	s_load_dwordx2 s[20:21], s[4:5], 0x48
	;; [unrolled: 1-line block ×3, first 2 shown]
	s_lshr_b32 s1, s0, 31
	s_add_i32 s0, s0, s1
	s_lshl_b32 s0, s0, 1
	v_and_b32_e32 v2, 0x3c0, v0
	s_and_b32 s26, s0, -4
	v_lshlrev_b32_e32 v1, 3, v0
	v_mul_u32_u24_e32 v2, 24, v2
	s_movk_i32 s0, 0x1f8
	v_and_or_b32 v1, v1, s0, v2
	v_cmp_gt_i32_e64 s[0:1], s7, v1
	v_mov_b32_e32 v108, 0
	v_mov_b32_e32 v109, 0
	;; [unrolled: 1-line block ×24, first 2 shown]
	s_and_saveexec_b64 s[2:3], s[0:1]
	s_cbranch_execz .LBB71_3
; %bb.2:
	s_load_dwordx2 s[24:25], s[4:5], 0x28
	s_load_dwordx2 s[30:31], s[4:5], 0x40
	s_and_b64 s[28:29], s[8:9], exec
	s_cselect_b32 s14, s17, s18
	v_lshlrev_b32_e32 v2, 1, v1
	s_waitcnt lgkmcnt(0)
	s_cselect_b32 s17, s25, s35
	s_cselect_b32 s27, s24, s34
	s_mul_hi_i32 s25, s14, s6
	s_mul_i32 s24, s14, s6
	s_lshl_b64 s[24:25], s[24:25], 1
	s_add_u32 s28, s27, s24
	s_addc_u32 s14, s17, s25
	s_and_b64 s[24:25], s[8:9], exec
	s_cselect_b32 s17, s31, s21
	s_mov_b32 s27, 0x20000
	s_cselect_b32 s24, s30, s20
	s_and_b32 s25, s17, 0xffff
	s_and_b32 s29, s14, 0xffff
	s_mov_b32 s30, s26
	s_mov_b32 s31, s27
	s_movk_i32 s17, 0x800
	s_movk_i32 s14, 0x400
	buffer_load_dwordx4 v[112:115], v2, s[28:31], 0 offen glc slc
	buffer_load_dwordx4 v[116:119], v2, s[28:31], s14 offen glc slc
	;; [unrolled: 1-line block ×3, first 2 shown]
	buffer_load_dwordx4 v[108:111], v2, s[24:27], 0 offen
	buffer_load_dwordx4 v[104:107], v2, s[24:27], s14 offen
	;; [unrolled: 1-line block ×3, first 2 shown]
.LBB71_3:
	s_or_b64 exec, exec, s[2:3]
	s_load_dwordx2 s[28:29], s[4:5], 0x80
	s_and_b64 vcc, exec, s[22:23]
	s_cbranch_vccz .LBB71_7
; %bb.4:
	v_mov_b32_e32 v21, 0
	v_mov_b32_e32 v20, 0
	buffer_store_dword v0, off, s[40:43], 0 ; 4-byte Folded Spill
	s_nop 0
	buffer_store_dword v1, off, s[40:43], 0 offset:4 ; 4-byte Folded Spill
	buffer_store_dword v2, off, s[40:43], 0 offset:8 ; 4-byte Folded Spill
	;; [unrolled: 1-line block ×31, first 2 shown]
	v_mov_b32_e32 v19, 0
	v_mov_b32_e32 v18, 0
	;; [unrolled: 1-line block ×6, first 2 shown]
	buffer_store_dword v0, off, s[40:43], 0 offset:384 ; 4-byte Folded Spill
	s_nop 0
	buffer_store_dword v1, off, s[40:43], 0 offset:388 ; 4-byte Folded Spill
	buffer_store_dword v2, off, s[40:43], 0 offset:392 ; 4-byte Folded Spill
	buffer_store_dword v3, off, s[40:43], 0 offset:396 ; 4-byte Folded Spill
	buffer_store_dword v4, off, s[40:43], 0 offset:400 ; 4-byte Folded Spill
	buffer_store_dword v5, off, s[40:43], 0 offset:404 ; 4-byte Folded Spill
	buffer_store_dword v6, off, s[40:43], 0 offset:408 ; 4-byte Folded Spill
	buffer_store_dword v7, off, s[40:43], 0 offset:412 ; 4-byte Folded Spill
	buffer_store_dword v8, off, s[40:43], 0 offset:416 ; 4-byte Folded Spill
	buffer_store_dword v9, off, s[40:43], 0 offset:420 ; 4-byte Folded Spill
	buffer_store_dword v10, off, s[40:43], 0 offset:424 ; 4-byte Folded Spill
	buffer_store_dword v11, off, s[40:43], 0 offset:428 ; 4-byte Folded Spill
	buffer_store_dword v12, off, s[40:43], 0 offset:432 ; 4-byte Folded Spill
	buffer_store_dword v13, off, s[40:43], 0 offset:436 ; 4-byte Folded Spill
	buffer_store_dword v14, off, s[40:43], 0 offset:440 ; 4-byte Folded Spill
	buffer_store_dword v15, off, s[40:43], 0 offset:444 ; 4-byte Folded Spill
	buffer_store_dword v16, off, s[40:43], 0 offset:448 ; 4-byte Folded Spill
	buffer_store_dword v17, off, s[40:43], 0 offset:452 ; 4-byte Folded Spill
	buffer_store_dword v18, off, s[40:43], 0 offset:456 ; 4-byte Folded Spill
	buffer_store_dword v19, off, s[40:43], 0 offset:460 ; 4-byte Folded Spill
	buffer_store_dword v20, off, s[40:43], 0 offset:464 ; 4-byte Folded Spill
	buffer_store_dword v21, off, s[40:43], 0 offset:468 ; 4-byte Folded Spill
	buffer_store_dword v22, off, s[40:43], 0 offset:472 ; 4-byte Folded Spill
	buffer_store_dword v23, off, s[40:43], 0 offset:476 ; 4-byte Folded Spill
	buffer_store_dword v24, off, s[40:43], 0 offset:480 ; 4-byte Folded Spill
	buffer_store_dword v25, off, s[40:43], 0 offset:484 ; 4-byte Folded Spill
	buffer_store_dword v26, off, s[40:43], 0 offset:488 ; 4-byte Folded Spill
	buffer_store_dword v27, off, s[40:43], 0 offset:492 ; 4-byte Folded Spill
	buffer_store_dword v28, off, s[40:43], 0 offset:496 ; 4-byte Folded Spill
	buffer_store_dword v29, off, s[40:43], 0 offset:500 ; 4-byte Folded Spill
	buffer_store_dword v30, off, s[40:43], 0 offset:504 ; 4-byte Folded Spill
	buffer_store_dword v31, off, s[40:43], 0 offset:508 ; 4-byte Folded Spill
	v_mov_b32_e32 v17, 0
	v_mov_b32_e32 v16, 0
	buffer_store_dword v0, off, s[40:43], 0 offset:512 ; 4-byte Folded Spill
	s_nop 0
	buffer_store_dword v1, off, s[40:43], 0 offset:516 ; 4-byte Folded Spill
	buffer_store_dword v2, off, s[40:43], 0 offset:520 ; 4-byte Folded Spill
	buffer_store_dword v3, off, s[40:43], 0 offset:524 ; 4-byte Folded Spill
	buffer_store_dword v4, off, s[40:43], 0 offset:528 ; 4-byte Folded Spill
	buffer_store_dword v5, off, s[40:43], 0 offset:532 ; 4-byte Folded Spill
	buffer_store_dword v6, off, s[40:43], 0 offset:536 ; 4-byte Folded Spill
	buffer_store_dword v7, off, s[40:43], 0 offset:540 ; 4-byte Folded Spill
	buffer_store_dword v8, off, s[40:43], 0 offset:544 ; 4-byte Folded Spill
	buffer_store_dword v9, off, s[40:43], 0 offset:548 ; 4-byte Folded Spill
	buffer_store_dword v10, off, s[40:43], 0 offset:552 ; 4-byte Folded Spill
	buffer_store_dword v11, off, s[40:43], 0 offset:556 ; 4-byte Folded Spill
	buffer_store_dword v12, off, s[40:43], 0 offset:560 ; 4-byte Folded Spill
	buffer_store_dword v13, off, s[40:43], 0 offset:564 ; 4-byte Folded Spill
	buffer_store_dword v14, off, s[40:43], 0 offset:568 ; 4-byte Folded Spill
	buffer_store_dword v15, off, s[40:43], 0 offset:572 ; 4-byte Folded Spill
	buffer_store_dword v16, off, s[40:43], 0 offset:576 ; 4-byte Folded Spill
	buffer_store_dword v17, off, s[40:43], 0 offset:580 ; 4-byte Folded Spill
	buffer_store_dword v18, off, s[40:43], 0 offset:584 ; 4-byte Folded Spill
	buffer_store_dword v19, off, s[40:43], 0 offset:588 ; 4-byte Folded Spill
	buffer_store_dword v20, off, s[40:43], 0 offset:592 ; 4-byte Folded Spill
	buffer_store_dword v21, off, s[40:43], 0 offset:596 ; 4-byte Folded Spill
	buffer_store_dword v22, off, s[40:43], 0 offset:600 ; 4-byte Folded Spill
	buffer_store_dword v23, off, s[40:43], 0 offset:604 ; 4-byte Folded Spill
	buffer_store_dword v24, off, s[40:43], 0 offset:608 ; 4-byte Folded Spill
	buffer_store_dword v25, off, s[40:43], 0 offset:612 ; 4-byte Folded Spill
	buffer_store_dword v26, off, s[40:43], 0 offset:616 ; 4-byte Folded Spill
	buffer_store_dword v27, off, s[40:43], 0 offset:620 ; 4-byte Folded Spill
	buffer_store_dword v28, off, s[40:43], 0 offset:624 ; 4-byte Folded Spill
	buffer_store_dword v29, off, s[40:43], 0 offset:628 ; 4-byte Folded Spill
	buffer_store_dword v30, off, s[40:43], 0 offset:632 ; 4-byte Folded Spill
	buffer_store_dword v31, off, s[40:43], 0 offset:636 ; 4-byte Folded Spill
	v_mov_b32_e32 v15, 0
	v_mov_b32_e32 v14, 0
	;; [unrolled: 35-line block ×8, first 2 shown]
	s_and_saveexec_b64 s[2:3], s[0:1]
	s_cbranch_execz .LBB71_6
; %bb.5:
	s_waitcnt vmcnt(62)
	v_cvt_f32_f16_sdwa v3, v112 dst_sel:DWORD dst_unused:UNUSED_PAD src0_sel:WORD_1
	v_cvt_f32_f16_e32 v2, v112
	v_cvt_f32_f16_sdwa v5, v114 dst_sel:DWORD dst_unused:UNUSED_PAD src0_sel:WORD_1
	v_cvt_f32_f16_e32 v4, v114
	buffer_store_dword v0, off, s[40:43], 0 offset:896 ; 4-byte Folded Spill
	s_nop 0
	buffer_store_dword v1, off, s[40:43], 0 offset:900 ; 4-byte Folded Spill
	buffer_store_dword v2, off, s[40:43], 0 offset:904 ; 4-byte Folded Spill
	;; [unrolled: 1-line block ×31, first 2 shown]
	v_cvt_f32_f16_sdwa v7, v115 dst_sel:DWORD dst_unused:UNUSED_PAD src0_sel:WORD_1
	v_cvt_f32_f16_e32 v6, v115
	v_cvt_f32_f16_sdwa v75, v113 dst_sel:DWORD dst_unused:UNUSED_PAD src0_sel:WORD_1
	v_cvt_f32_f16_e32 v74, v113
	v_cvt_f32_f16_sdwa v121, v37 dst_sel:DWORD dst_unused:UNUSED_PAD src0_sel:WORD_1
	v_cvt_f32_f16_e32 v120, v37
	buffer_store_dword v0, off, s[40:43], 0 offset:768 ; 4-byte Folded Spill
	s_nop 0
	buffer_store_dword v1, off, s[40:43], 0 offset:772 ; 4-byte Folded Spill
	buffer_store_dword v2, off, s[40:43], 0 offset:776 ; 4-byte Folded Spill
	buffer_store_dword v3, off, s[40:43], 0 offset:780 ; 4-byte Folded Spill
	buffer_store_dword v4, off, s[40:43], 0 offset:784 ; 4-byte Folded Spill
	buffer_store_dword v5, off, s[40:43], 0 offset:788 ; 4-byte Folded Spill
	buffer_store_dword v6, off, s[40:43], 0 offset:792 ; 4-byte Folded Spill
	buffer_store_dword v7, off, s[40:43], 0 offset:796 ; 4-byte Folded Spill
	buffer_store_dword v8, off, s[40:43], 0 offset:800 ; 4-byte Folded Spill
	buffer_store_dword v9, off, s[40:43], 0 offset:804 ; 4-byte Folded Spill
	buffer_store_dword v10, off, s[40:43], 0 offset:808 ; 4-byte Folded Spill
	buffer_store_dword v11, off, s[40:43], 0 offset:812 ; 4-byte Folded Spill
	buffer_store_dword v12, off, s[40:43], 0 offset:816 ; 4-byte Folded Spill
	buffer_store_dword v13, off, s[40:43], 0 offset:820 ; 4-byte Folded Spill
	buffer_store_dword v14, off, s[40:43], 0 offset:824 ; 4-byte Folded Spill
	buffer_store_dword v15, off, s[40:43], 0 offset:828 ; 4-byte Folded Spill
	buffer_store_dword v16, off, s[40:43], 0 offset:832 ; 4-byte Folded Spill
	buffer_store_dword v17, off, s[40:43], 0 offset:836 ; 4-byte Folded Spill
	buffer_store_dword v18, off, s[40:43], 0 offset:840 ; 4-byte Folded Spill
	buffer_store_dword v19, off, s[40:43], 0 offset:844 ; 4-byte Folded Spill
	buffer_store_dword v20, off, s[40:43], 0 offset:848 ; 4-byte Folded Spill
	buffer_store_dword v21, off, s[40:43], 0 offset:852 ; 4-byte Folded Spill
	buffer_store_dword v22, off, s[40:43], 0 offset:856 ; 4-byte Folded Spill
	buffer_store_dword v23, off, s[40:43], 0 offset:860 ; 4-byte Folded Spill
	buffer_store_dword v24, off, s[40:43], 0 offset:864 ; 4-byte Folded Spill
	buffer_store_dword v25, off, s[40:43], 0 offset:868 ; 4-byte Folded Spill
	buffer_store_dword v26, off, s[40:43], 0 offset:872 ; 4-byte Folded Spill
	buffer_store_dword v27, off, s[40:43], 0 offset:876 ; 4-byte Folded Spill
	buffer_store_dword v28, off, s[40:43], 0 offset:880 ; 4-byte Folded Spill
	buffer_store_dword v29, off, s[40:43], 0 offset:884 ; 4-byte Folded Spill
	buffer_store_dword v30, off, s[40:43], 0 offset:888 ; 4-byte Folded Spill
	buffer_store_dword v31, off, s[40:43], 0 offset:892 ; 4-byte Folded Spill
	v_cvt_f32_f16_sdwa v9, v116 dst_sel:DWORD dst_unused:UNUSED_PAD src0_sel:WORD_1
	v_cvt_f32_f16_e32 v8, v116
	buffer_store_dword v0, off, s[40:43], 0 offset:1024 ; 4-byte Folded Spill
	s_nop 0
	buffer_store_dword v1, off, s[40:43], 0 offset:1028 ; 4-byte Folded Spill
	buffer_store_dword v2, off, s[40:43], 0 offset:1032 ; 4-byte Folded Spill
	buffer_store_dword v3, off, s[40:43], 0 offset:1036 ; 4-byte Folded Spill
	buffer_store_dword v4, off, s[40:43], 0 offset:1040 ; 4-byte Folded Spill
	buffer_store_dword v5, off, s[40:43], 0 offset:1044 ; 4-byte Folded Spill
	buffer_store_dword v6, off, s[40:43], 0 offset:1048 ; 4-byte Folded Spill
	buffer_store_dword v7, off, s[40:43], 0 offset:1052 ; 4-byte Folded Spill
	buffer_store_dword v8, off, s[40:43], 0 offset:1056 ; 4-byte Folded Spill
	buffer_store_dword v9, off, s[40:43], 0 offset:1060 ; 4-byte Folded Spill
	buffer_store_dword v10, off, s[40:43], 0 offset:1064 ; 4-byte Folded Spill
	buffer_store_dword v11, off, s[40:43], 0 offset:1068 ; 4-byte Folded Spill
	buffer_store_dword v12, off, s[40:43], 0 offset:1072 ; 4-byte Folded Spill
	buffer_store_dword v13, off, s[40:43], 0 offset:1076 ; 4-byte Folded Spill
	buffer_store_dword v14, off, s[40:43], 0 offset:1080 ; 4-byte Folded Spill
	buffer_store_dword v15, off, s[40:43], 0 offset:1084 ; 4-byte Folded Spill
	buffer_store_dword v16, off, s[40:43], 0 offset:1088 ; 4-byte Folded Spill
	buffer_store_dword v17, off, s[40:43], 0 offset:1092 ; 4-byte Folded Spill
	buffer_store_dword v18, off, s[40:43], 0 offset:1096 ; 4-byte Folded Spill
	buffer_store_dword v19, off, s[40:43], 0 offset:1100 ; 4-byte Folded Spill
	buffer_store_dword v20, off, s[40:43], 0 offset:1104 ; 4-byte Folded Spill
	buffer_store_dword v21, off, s[40:43], 0 offset:1108 ; 4-byte Folded Spill
	buffer_store_dword v22, off, s[40:43], 0 offset:1112 ; 4-byte Folded Spill
	buffer_store_dword v23, off, s[40:43], 0 offset:1116 ; 4-byte Folded Spill
	buffer_store_dword v24, off, s[40:43], 0 offset:1120 ; 4-byte Folded Spill
	buffer_store_dword v25, off, s[40:43], 0 offset:1124 ; 4-byte Folded Spill
	buffer_store_dword v26, off, s[40:43], 0 offset:1128 ; 4-byte Folded Spill
	buffer_store_dword v27, off, s[40:43], 0 offset:1132 ; 4-byte Folded Spill
	buffer_store_dword v28, off, s[40:43], 0 offset:1136 ; 4-byte Folded Spill
	buffer_store_dword v29, off, s[40:43], 0 offset:1140 ; 4-byte Folded Spill
	buffer_store_dword v30, off, s[40:43], 0 offset:1144 ; 4-byte Folded Spill
	buffer_store_dword v31, off, s[40:43], 0 offset:1148 ; 4-byte Folded Spill
	v_cvt_f32_f16_sdwa v11, v117 dst_sel:DWORD dst_unused:UNUSED_PAD src0_sel:WORD_1
	v_cvt_f32_f16_e32 v10, v117
	;; [unrolled: 35-line block ×7, first 2 shown]
	buffer_store_dword v0, off, s[40:43], 0 ; 4-byte Folded Spill
	s_nop 0
	buffer_store_dword v1, off, s[40:43], 0 offset:4 ; 4-byte Folded Spill
	buffer_store_dword v2, off, s[40:43], 0 offset:8 ; 4-byte Folded Spill
	;; [unrolled: 1-line block ×31, first 2 shown]
.LBB71_6:
	s_or_b64 exec, exec, s[2:3]
	s_cbranch_execz .LBB71_8
	s_branch .LBB71_11
.LBB71_7:
                                        ; implicit-def: $vgpr38_vgpr39_vgpr40_vgpr41_vgpr42_vgpr43_vgpr44_vgpr45_vgpr46_vgpr47_vgpr48_vgpr49_vgpr50_vgpr51_vgpr52_vgpr53_vgpr54_vgpr55_vgpr56_vgpr57_vgpr58_vgpr59_vgpr60_vgpr61_vgpr62_vgpr63_vgpr64_vgpr65_vgpr66_vgpr67_vgpr68_vgpr69
                                        ; kill: killed $vgpr38_vgpr39_vgpr40_vgpr41_vgpr42_vgpr43_vgpr44_vgpr45_vgpr46_vgpr47_vgpr48_vgpr49_vgpr50_vgpr51_vgpr52_vgpr53_vgpr54_vgpr55_vgpr56_vgpr57_vgpr58_vgpr59_vgpr60_vgpr61_vgpr62_vgpr63_vgpr64_vgpr65_vgpr66_vgpr67_vgpr68_vgpr69
                                        ; implicit-def: $vgpr38_vgpr39_vgpr40_vgpr41_vgpr42_vgpr43_vgpr44_vgpr45_vgpr46_vgpr47_vgpr48_vgpr49_vgpr50_vgpr51_vgpr52_vgpr53_vgpr54_vgpr55_vgpr56_vgpr57_vgpr58_vgpr59_vgpr60_vgpr61_vgpr62_vgpr63_vgpr64_vgpr65_vgpr66_vgpr67_vgpr68_vgpr69
                                        ; kill: killed $vgpr38_vgpr39_vgpr40_vgpr41_vgpr42_vgpr43_vgpr44_vgpr45_vgpr46_vgpr47_vgpr48_vgpr49_vgpr50_vgpr51_vgpr52_vgpr53_vgpr54_vgpr55_vgpr56_vgpr57_vgpr58_vgpr59_vgpr60_vgpr61_vgpr62_vgpr63_vgpr64_vgpr65_vgpr66_vgpr67_vgpr68_vgpr69
                                        ; implicit-def: $vgpr121
                                        ; implicit-def: $vgpr2_vgpr3_vgpr4_vgpr5_vgpr6_vgpr7_vgpr8_vgpr9_vgpr10_vgpr11_vgpr12_vgpr13_vgpr14_vgpr15_vgpr16_vgpr17_vgpr18_vgpr19_vgpr20_vgpr21_vgpr22_vgpr23_vgpr24_vgpr25_vgpr26_vgpr27_vgpr28_vgpr29_vgpr30_vgpr31_vgpr32_vgpr33
                                        ; implicit-def: $vgpr72_vgpr73_vgpr74_vgpr75_vgpr76_vgpr77_vgpr78_vgpr79_vgpr80_vgpr81_vgpr82_vgpr83_vgpr84_vgpr85_vgpr86_vgpr87_vgpr88_vgpr89_vgpr90_vgpr91_vgpr92_vgpr93_vgpr94_vgpr95_vgpr96_vgpr97_vgpr98_vgpr99_vgpr100_vgpr101_vgpr102_vgpr103
                                        ; implicit-def: $vgpr38_vgpr39_vgpr40_vgpr41_vgpr42_vgpr43_vgpr44_vgpr45_vgpr46_vgpr47_vgpr48_vgpr49_vgpr50_vgpr51_vgpr52_vgpr53_vgpr54_vgpr55_vgpr56_vgpr57_vgpr58_vgpr59_vgpr60_vgpr61_vgpr62_vgpr63_vgpr64_vgpr65_vgpr66_vgpr67_vgpr68_vgpr69
                                        ; kill: killed $vgpr38_vgpr39_vgpr40_vgpr41_vgpr42_vgpr43_vgpr44_vgpr45_vgpr46_vgpr47_vgpr48_vgpr49_vgpr50_vgpr51_vgpr52_vgpr53_vgpr54_vgpr55_vgpr56_vgpr57_vgpr58_vgpr59_vgpr60_vgpr61_vgpr62_vgpr63_vgpr64_vgpr65_vgpr66_vgpr67_vgpr68_vgpr69
                                        ; implicit-def: $vgpr38_vgpr39_vgpr40_vgpr41_vgpr42_vgpr43_vgpr44_vgpr45_vgpr46_vgpr47_vgpr48_vgpr49_vgpr50_vgpr51_vgpr52_vgpr53_vgpr54_vgpr55_vgpr56_vgpr57_vgpr58_vgpr59_vgpr60_vgpr61_vgpr62_vgpr63_vgpr64_vgpr65_vgpr66_vgpr67_vgpr68_vgpr69
                                        ; kill: killed $vgpr38_vgpr39_vgpr40_vgpr41_vgpr42_vgpr43_vgpr44_vgpr45_vgpr46_vgpr47_vgpr48_vgpr49_vgpr50_vgpr51_vgpr52_vgpr53_vgpr54_vgpr55_vgpr56_vgpr57_vgpr58_vgpr59_vgpr60_vgpr61_vgpr62_vgpr63_vgpr64_vgpr65_vgpr66_vgpr67_vgpr68_vgpr69
	;; [unrolled: 2-line block ×7, first 2 shown]
.LBB71_8:
	v_mov_b32_e32 v21, 0
	v_mov_b32_e32 v20, 0
	buffer_store_dword v0, off, s[40:43], 0 ; 4-byte Folded Spill
	s_nop 0
	buffer_store_dword v1, off, s[40:43], 0 offset:4 ; 4-byte Folded Spill
	buffer_store_dword v2, off, s[40:43], 0 offset:8 ; 4-byte Folded Spill
	;; [unrolled: 1-line block ×31, first 2 shown]
	v_mov_b32_e32 v19, 0
	v_mov_b32_e32 v18, 0
	;; [unrolled: 1-line block ×6, first 2 shown]
	buffer_store_dword v0, off, s[40:43], 0 offset:384 ; 4-byte Folded Spill
	s_nop 0
	buffer_store_dword v1, off, s[40:43], 0 offset:388 ; 4-byte Folded Spill
	buffer_store_dword v2, off, s[40:43], 0 offset:392 ; 4-byte Folded Spill
	buffer_store_dword v3, off, s[40:43], 0 offset:396 ; 4-byte Folded Spill
	buffer_store_dword v4, off, s[40:43], 0 offset:400 ; 4-byte Folded Spill
	buffer_store_dword v5, off, s[40:43], 0 offset:404 ; 4-byte Folded Spill
	buffer_store_dword v6, off, s[40:43], 0 offset:408 ; 4-byte Folded Spill
	buffer_store_dword v7, off, s[40:43], 0 offset:412 ; 4-byte Folded Spill
	buffer_store_dword v8, off, s[40:43], 0 offset:416 ; 4-byte Folded Spill
	buffer_store_dword v9, off, s[40:43], 0 offset:420 ; 4-byte Folded Spill
	buffer_store_dword v10, off, s[40:43], 0 offset:424 ; 4-byte Folded Spill
	buffer_store_dword v11, off, s[40:43], 0 offset:428 ; 4-byte Folded Spill
	buffer_store_dword v12, off, s[40:43], 0 offset:432 ; 4-byte Folded Spill
	buffer_store_dword v13, off, s[40:43], 0 offset:436 ; 4-byte Folded Spill
	buffer_store_dword v14, off, s[40:43], 0 offset:440 ; 4-byte Folded Spill
	buffer_store_dword v15, off, s[40:43], 0 offset:444 ; 4-byte Folded Spill
	buffer_store_dword v16, off, s[40:43], 0 offset:448 ; 4-byte Folded Spill
	buffer_store_dword v17, off, s[40:43], 0 offset:452 ; 4-byte Folded Spill
	buffer_store_dword v18, off, s[40:43], 0 offset:456 ; 4-byte Folded Spill
	buffer_store_dword v19, off, s[40:43], 0 offset:460 ; 4-byte Folded Spill
	buffer_store_dword v20, off, s[40:43], 0 offset:464 ; 4-byte Folded Spill
	buffer_store_dword v21, off, s[40:43], 0 offset:468 ; 4-byte Folded Spill
	buffer_store_dword v22, off, s[40:43], 0 offset:472 ; 4-byte Folded Spill
	buffer_store_dword v23, off, s[40:43], 0 offset:476 ; 4-byte Folded Spill
	buffer_store_dword v24, off, s[40:43], 0 offset:480 ; 4-byte Folded Spill
	buffer_store_dword v25, off, s[40:43], 0 offset:484 ; 4-byte Folded Spill
	buffer_store_dword v26, off, s[40:43], 0 offset:488 ; 4-byte Folded Spill
	buffer_store_dword v27, off, s[40:43], 0 offset:492 ; 4-byte Folded Spill
	buffer_store_dword v28, off, s[40:43], 0 offset:496 ; 4-byte Folded Spill
	buffer_store_dword v29, off, s[40:43], 0 offset:500 ; 4-byte Folded Spill
	buffer_store_dword v30, off, s[40:43], 0 offset:504 ; 4-byte Folded Spill
	buffer_store_dword v31, off, s[40:43], 0 offset:508 ; 4-byte Folded Spill
	v_mov_b32_e32 v17, 0
	v_mov_b32_e32 v16, 0
	buffer_store_dword v0, off, s[40:43], 0 offset:512 ; 4-byte Folded Spill
	s_nop 0
	buffer_store_dword v1, off, s[40:43], 0 offset:516 ; 4-byte Folded Spill
	buffer_store_dword v2, off, s[40:43], 0 offset:520 ; 4-byte Folded Spill
	buffer_store_dword v3, off, s[40:43], 0 offset:524 ; 4-byte Folded Spill
	buffer_store_dword v4, off, s[40:43], 0 offset:528 ; 4-byte Folded Spill
	buffer_store_dword v5, off, s[40:43], 0 offset:532 ; 4-byte Folded Spill
	buffer_store_dword v6, off, s[40:43], 0 offset:536 ; 4-byte Folded Spill
	buffer_store_dword v7, off, s[40:43], 0 offset:540 ; 4-byte Folded Spill
	buffer_store_dword v8, off, s[40:43], 0 offset:544 ; 4-byte Folded Spill
	buffer_store_dword v9, off, s[40:43], 0 offset:548 ; 4-byte Folded Spill
	buffer_store_dword v10, off, s[40:43], 0 offset:552 ; 4-byte Folded Spill
	buffer_store_dword v11, off, s[40:43], 0 offset:556 ; 4-byte Folded Spill
	buffer_store_dword v12, off, s[40:43], 0 offset:560 ; 4-byte Folded Spill
	buffer_store_dword v13, off, s[40:43], 0 offset:564 ; 4-byte Folded Spill
	buffer_store_dword v14, off, s[40:43], 0 offset:568 ; 4-byte Folded Spill
	buffer_store_dword v15, off, s[40:43], 0 offset:572 ; 4-byte Folded Spill
	buffer_store_dword v16, off, s[40:43], 0 offset:576 ; 4-byte Folded Spill
	buffer_store_dword v17, off, s[40:43], 0 offset:580 ; 4-byte Folded Spill
	buffer_store_dword v18, off, s[40:43], 0 offset:584 ; 4-byte Folded Spill
	buffer_store_dword v19, off, s[40:43], 0 offset:588 ; 4-byte Folded Spill
	buffer_store_dword v20, off, s[40:43], 0 offset:592 ; 4-byte Folded Spill
	buffer_store_dword v21, off, s[40:43], 0 offset:596 ; 4-byte Folded Spill
	buffer_store_dword v22, off, s[40:43], 0 offset:600 ; 4-byte Folded Spill
	buffer_store_dword v23, off, s[40:43], 0 offset:604 ; 4-byte Folded Spill
	buffer_store_dword v24, off, s[40:43], 0 offset:608 ; 4-byte Folded Spill
	buffer_store_dword v25, off, s[40:43], 0 offset:612 ; 4-byte Folded Spill
	buffer_store_dword v26, off, s[40:43], 0 offset:616 ; 4-byte Folded Spill
	buffer_store_dword v27, off, s[40:43], 0 offset:620 ; 4-byte Folded Spill
	buffer_store_dword v28, off, s[40:43], 0 offset:624 ; 4-byte Folded Spill
	buffer_store_dword v29, off, s[40:43], 0 offset:628 ; 4-byte Folded Spill
	buffer_store_dword v30, off, s[40:43], 0 offset:632 ; 4-byte Folded Spill
	buffer_store_dword v31, off, s[40:43], 0 offset:636 ; 4-byte Folded Spill
	v_mov_b32_e32 v15, 0
	v_mov_b32_e32 v14, 0
	;; [unrolled: 35-line block ×8, first 2 shown]
	s_and_saveexec_b64 s[2:3], s[0:1]
	s_cbranch_execz .LBB71_10
; %bb.9:
	s_load_dwordx2 s[24:25], s[4:5], 0x38
	s_load_dwordx2 s[36:37], s[4:5], 0x20
	s_mul_hi_i32 s31, s19, s6
	s_mul_i32 s30, s19, s6
	s_lshl_b64 s[30:31], s[30:31], 1
	s_waitcnt lgkmcnt(0)
	s_add_u32 s24, s24, s30
	s_addc_u32 s14, s25, s31
	s_mov_b32 s27, 0x20000
	s_and_b32 s25, s14, 0xffff
	v_lshlrev_b32_e32 v52, 1, v1
	s_movk_i32 s14, 0x400
	s_movk_i32 s17, 0x800
	buffer_load_dwordx4 v[6:9], v52, s[24:27], s14 offen glc slc
	buffer_load_dwordx4 v[10:13], v52, s[24:27], s17 offen glc slc
	;; [unrolled: 1-line block ×3, first 2 shown]
	s_waitcnt vmcnt(62)
	v_cvt_f32_f16_sdwa v29, v36 dst_sel:DWORD dst_unused:UNUSED_PAD src0_sel:WORD_1
	v_cvt_f32_f16_e32 v28, v36
	v_cvt_f32_f16_sdwa v31, v37 dst_sel:DWORD dst_unused:UNUSED_PAD src0_sel:WORD_1
	v_cvt_f32_f16_e32 v30, v37
	;; [unrolled: 2-line block ×12, first 2 shown]
	s_mul_hi_i32 s25, s29, s6
	s_mul_i32 s24, s29, s6
	s_lshl_b64 s[24:25], s[24:25], 1
	s_add_u32 s24, s36, s24
	s_addc_u32 s19, s37, s25
	s_and_b32 s25, s19, 0xffff
	s_waitcnt vmcnt(1)
	v_cvt_f32_f16_e32 v46, v10
	v_cvt_f32_f16_e32 v42, v8
	v_cvt_f32_f16_sdwa v43, v8 dst_sel:DWORD dst_unused:UNUSED_PAD src0_sel:WORD_1
	v_cvt_f32_f16_e32 v44, v9
	v_cvt_f32_f16_sdwa v45, v9 dst_sel:DWORD dst_unused:UNUSED_PAD src0_sel:WORD_1
	s_waitcnt vmcnt(0)
	v_cvt_f32_f16_e32 v8, v16
	v_cvt_f32_f16_sdwa v9, v16 dst_sel:DWORD dst_unused:UNUSED_PAD src0_sel:WORD_1
	v_cvt_f32_f16_e32 v16, v17
	v_cvt_f32_f16_sdwa v17, v17 dst_sel:DWORD dst_unused:UNUSED_PAD src0_sel:WORD_1
	;; [unrolled: 2-line block ×4, first 2 shown]
	v_cvt_f32_f16_sdwa v47, v10 dst_sel:DWORD dst_unused:UNUSED_PAD src0_sel:WORD_1
	v_cvt_f32_f16_e32 v10, v11
	v_cvt_f32_f16_sdwa v11, v11 dst_sel:DWORD dst_unused:UNUSED_PAD src0_sel:WORD_1
	v_cvt_f32_f16_e32 v50, v12
	;; [unrolled: 2-line block ×5, first 2 shown]
	v_cvt_f32_f16_sdwa v7, v15 dst_sel:DWORD dst_unused:UNUSED_PAD src0_sel:WORD_1
	v_pk_add_f32 v[14:15], v[36:37], v[16:17]
	v_pk_add_f32 v[34:35], v[34:35], v[8:9]
	v_pk_mov_b32 v[16:17], v[14:15], v[14:15] op_sel:[0,1]
	v_cvt_f16_f32_e32 v8, v35
	v_cvt_f16_f32_e32 v9, v15
	buffer_store_dword v10, off, s[40:43], 0 offset:768 ; 4-byte Folded Spill
	s_nop 0
	buffer_store_dword v11, off, s[40:43], 0 offset:772 ; 4-byte Folded Spill
	buffer_store_dword v12, off, s[40:43], 0 offset:776 ; 4-byte Folded Spill
	;; [unrolled: 1-line block ×31, first 2 shown]
	v_pk_add_f32 v[2:3], v[2:3], v[48:49]
	v_cvt_f16_f32_e32 v14, v14
	v_pk_mov_b32 v[16:17], v[34:35], v[34:35] op_sel:[0,1]
	buffer_store_dword v12, off, s[40:43], 0 offset:896 ; 4-byte Folded Spill
	s_nop 0
	buffer_store_dword v13, off, s[40:43], 0 offset:900 ; 4-byte Folded Spill
	buffer_store_dword v14, off, s[40:43], 0 offset:904 ; 4-byte Folded Spill
	;; [unrolled: 1-line block ×31, first 2 shown]
	v_pk_add_f32 v[74:75], v[32:33], v[6:7]
	v_cvt_f16_f32_e32 v6, v75
	v_cvt_f16_f32_e32 v7, v74
	;; [unrolled: 1-line block ×3, first 2 shown]
	v_pack_b32_f16 v9, v14, v9
	v_cvt_f16_f32_e32 v14, v2
	v_pack_b32_f16 v7, v7, v6
	v_cvt_f16_f32_e32 v6, v3
	v_pack_b32_f16 v8, v15, v8
	v_pk_add_f32 v[22:23], v[22:23], v[42:43]
	v_pack_b32_f16 v6, v14, v6
	v_pk_add_f32 v[14:15], v[24:25], v[44:45]
	buffer_store_dwordx4 v[6:9], v52, s[24:27], 0 offen glc slc
	v_pk_mov_b32 v[16:17], v[14:15], v[14:15] op_sel:[0,1]
	v_cvt_f16_f32_e32 v6, v22
	v_cvt_f16_f32_e32 v7, v14
	buffer_store_dword v2, off, s[40:43], 0 offset:128 ; 4-byte Folded Spill
	s_nop 0
	buffer_store_dword v3, off, s[40:43], 0 offset:132 ; 4-byte Folded Spill
	buffer_store_dword v4, off, s[40:43], 0 offset:136 ; 4-byte Folded Spill
	;; [unrolled: 1-line block ×31, first 2 shown]
	v_cvt_f16_f32_e32 v8, v15
	v_pk_mov_b32 v[14:15], v[22:23], v[22:23] op_sel:[0,1]
	buffer_store_dword v2, off, s[40:43], 0 offset:256 ; 4-byte Folded Spill
	s_nop 0
	buffer_store_dword v3, off, s[40:43], 0 offset:260 ; 4-byte Folded Spill
	buffer_store_dword v4, off, s[40:43], 0 offset:264 ; 4-byte Folded Spill
	;; [unrolled: 1-line block ×31, first 2 shown]
	v_cvt_f16_f32_e32 v14, v23
	v_pack_b32_f16 v9, v7, v8
	v_pack_b32_f16 v8, v6, v14
	v_pk_add_f32 v[14:15], v[20:21], v[40:41]
	v_cvt_f16_f32_e32 v6, v14
	v_pk_mov_b32 v[16:17], v[14:15], v[14:15] op_sel:[0,1]
	buffer_store_dword v6, off, s[40:43], 0 offset:640 ; 4-byte Folded Spill
	s_nop 0
	buffer_store_dword v7, off, s[40:43], 0 offset:644 ; 4-byte Folded Spill
	buffer_store_dword v8, off, s[40:43], 0 offset:648 ; 4-byte Folded Spill
	;; [unrolled: 1-line block ×31, first 2 shown]
	v_cvt_f16_f32_e32 v7, v15
	v_pk_add_f32 v[14:15], v[18:19], v[38:39]
	v_pk_mov_b32 v[16:17], v[14:15], v[14:15] op_sel:[0,1]
	v_pack_b32_f16 v7, v6, v7
	v_cvt_f16_f32_e32 v6, v14
	buffer_store_dword v8, off, s[40:43], 0 offset:1024 ; 4-byte Folded Spill
	s_nop 0
	buffer_store_dword v9, off, s[40:43], 0 offset:1028 ; 4-byte Folded Spill
	buffer_store_dword v10, off, s[40:43], 0 offset:1032 ; 4-byte Folded Spill
	;; [unrolled: 1-line block ×31, first 2 shown]
	;;#ASMSTART
	s_nop 0
	;;#ASMEND
	v_cvt_f16_f32_e32 v14, v15
	v_pk_add_f32 v[120:121], v[30:31], v[12:13]
	v_pk_add_f32 v[20:21], v[28:29], v[50:51]
	v_pk_mov_b32 v[22:23], v[20:21], v[20:21] op_sel:[0,1]
	v_pack_b32_f16 v6, v6, v14
	buffer_store_dwordx4 v[6:9], v52, s[24:27], s14 offen glc slc
	v_cvt_f16_f32_e32 v6, v20
	v_cvt_f16_f32_e32 v7, v120
	;; [unrolled: 1-line block ×3, first 2 shown]
	buffer_store_dword v2, off, s[40:43], 0 ; 4-byte Folded Spill
	s_nop 0
	buffer_store_dword v3, off, s[40:43], 0 offset:4 ; 4-byte Folded Spill
	buffer_store_dword v4, off, s[40:43], 0 offset:8 ; 4-byte Folded Spill
	buffer_store_dword v5, off, s[40:43], 0 offset:12 ; 4-byte Folded Spill
	buffer_store_dword v6, off, s[40:43], 0 offset:16 ; 4-byte Folded Spill
	buffer_store_dword v7, off, s[40:43], 0 offset:20 ; 4-byte Folded Spill
	buffer_store_dword v8, off, s[40:43], 0 offset:24 ; 4-byte Folded Spill
	buffer_store_dword v9, off, s[40:43], 0 offset:28 ; 4-byte Folded Spill
	buffer_store_dword v10, off, s[40:43], 0 offset:32 ; 4-byte Folded Spill
	buffer_store_dword v11, off, s[40:43], 0 offset:36 ; 4-byte Folded Spill
	buffer_store_dword v12, off, s[40:43], 0 offset:40 ; 4-byte Folded Spill
	buffer_store_dword v13, off, s[40:43], 0 offset:44 ; 4-byte Folded Spill
	buffer_store_dword v14, off, s[40:43], 0 offset:48 ; 4-byte Folded Spill
	buffer_store_dword v15, off, s[40:43], 0 offset:52 ; 4-byte Folded Spill
	buffer_store_dword v16, off, s[40:43], 0 offset:56 ; 4-byte Folded Spill
	buffer_store_dword v17, off, s[40:43], 0 offset:60 ; 4-byte Folded Spill
	buffer_store_dword v18, off, s[40:43], 0 offset:64 ; 4-byte Folded Spill
	buffer_store_dword v19, off, s[40:43], 0 offset:68 ; 4-byte Folded Spill
	buffer_store_dword v20, off, s[40:43], 0 offset:72 ; 4-byte Folded Spill
	buffer_store_dword v21, off, s[40:43], 0 offset:76 ; 4-byte Folded Spill
	buffer_store_dword v22, off, s[40:43], 0 offset:80 ; 4-byte Folded Spill
	buffer_store_dword v23, off, s[40:43], 0 offset:84 ; 4-byte Folded Spill
	buffer_store_dword v24, off, s[40:43], 0 offset:88 ; 4-byte Folded Spill
	buffer_store_dword v25, off, s[40:43], 0 offset:92 ; 4-byte Folded Spill
	buffer_store_dword v26, off, s[40:43], 0 offset:96 ; 4-byte Folded Spill
	buffer_store_dword v27, off, s[40:43], 0 offset:100 ; 4-byte Folded Spill
	buffer_store_dword v28, off, s[40:43], 0 offset:104 ; 4-byte Folded Spill
	buffer_store_dword v29, off, s[40:43], 0 offset:108 ; 4-byte Folded Spill
	buffer_store_dword v30, off, s[40:43], 0 offset:112 ; 4-byte Folded Spill
	buffer_store_dword v31, off, s[40:43], 0 offset:116 ; 4-byte Folded Spill
	buffer_store_dword v32, off, s[40:43], 0 offset:120 ; 4-byte Folded Spill
	buffer_store_dword v33, off, s[40:43], 0 offset:124 ; 4-byte Folded Spill
	v_cvt_f16_f32_e32 v12, v21
	v_pk_add_f32 v[18:19], v[26:27], v[10:11]
	v_pack_b32_f16 v9, v7, v8
	v_pk_mov_b32 v[20:21], v[18:19], v[18:19] op_sel:[0,1]
	v_pack_b32_f16 v8, v6, v12
	v_cvt_f16_f32_e32 v6, v18
	buffer_store_dword v2, off, s[40:43], 0 offset:384 ; 4-byte Folded Spill
	s_nop 0
	buffer_store_dword v3, off, s[40:43], 0 offset:388 ; 4-byte Folded Spill
	buffer_store_dword v4, off, s[40:43], 0 offset:392 ; 4-byte Folded Spill
	;; [unrolled: 1-line block ×31, first 2 shown]
	v_cvt_f16_f32_e32 v7, v19
	v_pk_add_f32 v[16:17], v[4:5], v[46:47]
	v_cvt_f16_f32_e32 v4, v16
	v_pk_mov_b32 v[18:19], v[16:17], v[16:17] op_sel:[0,1]
	v_pack_b32_f16 v7, v6, v7
	buffer_store_dword v2, off, s[40:43], 0 offset:512 ; 4-byte Folded Spill
	s_nop 0
	buffer_store_dword v3, off, s[40:43], 0 offset:516 ; 4-byte Folded Spill
	buffer_store_dword v4, off, s[40:43], 0 offset:520 ; 4-byte Folded Spill
	;; [unrolled: 1-line block ×31, first 2 shown]
	;;#ASMSTART
	s_nop 0
	;;#ASMEND
	v_cvt_f16_f32_e32 v5, v17
	v_pack_b32_f16 v6, v4, v5
	buffer_store_dwordx4 v[6:9], v52, s[24:27], s17 offen glc slc
	;;#ASMSTART
	s_nop 0
	;;#ASMEND
.LBB71_10:
	s_or_b64 exec, exec, s[2:3]
.LBB71_11:
	buffer_load_dword v6, off, s[40:43], 0 offset:896 ; 4-byte Folded Reload
	buffer_load_dword v7, off, s[40:43], 0 offset:900 ; 4-byte Folded Reload
	;; [unrolled: 1-line block ×32, first 2 shown]
	v_mul_f32_e32 v4, v3, v3
	v_fmac_f32_e32 v4, v2, v2
	v_fmac_f32_e32 v4, v74, v74
	;; [unrolled: 1-line block ×3, first 2 shown]
	s_waitcnt vmcnt(26)
	v_pk_mov_b32 v[6:7], v[10:11], v[10:11] op_sel:[0,1]
	v_fmac_f32_e32 v4, v6, v6
	v_fmac_f32_e32 v4, v7, v7
	buffer_load_dword v6, off, s[40:43], 0 offset:768 ; 4-byte Folded Reload
	buffer_load_dword v7, off, s[40:43], 0 offset:772 ; 4-byte Folded Reload
	buffer_load_dword v8, off, s[40:43], 0 offset:776 ; 4-byte Folded Reload
	buffer_load_dword v9, off, s[40:43], 0 offset:780 ; 4-byte Folded Reload
	buffer_load_dword v10, off, s[40:43], 0 offset:784 ; 4-byte Folded Reload
	buffer_load_dword v11, off, s[40:43], 0 offset:788 ; 4-byte Folded Reload
	buffer_load_dword v12, off, s[40:43], 0 offset:792 ; 4-byte Folded Reload
	buffer_load_dword v13, off, s[40:43], 0 offset:796 ; 4-byte Folded Reload
	buffer_load_dword v14, off, s[40:43], 0 offset:800 ; 4-byte Folded Reload
	buffer_load_dword v15, off, s[40:43], 0 offset:804 ; 4-byte Folded Reload
	buffer_load_dword v16, off, s[40:43], 0 offset:808 ; 4-byte Folded Reload
	buffer_load_dword v17, off, s[40:43], 0 offset:812 ; 4-byte Folded Reload
	buffer_load_dword v18, off, s[40:43], 0 offset:816 ; 4-byte Folded Reload
	buffer_load_dword v19, off, s[40:43], 0 offset:820 ; 4-byte Folded Reload
	buffer_load_dword v20, off, s[40:43], 0 offset:824 ; 4-byte Folded Reload
	buffer_load_dword v21, off, s[40:43], 0 offset:828 ; 4-byte Folded Reload
	buffer_load_dword v22, off, s[40:43], 0 offset:832 ; 4-byte Folded Reload
	buffer_load_dword v23, off, s[40:43], 0 offset:836 ; 4-byte Folded Reload
	buffer_load_dword v24, off, s[40:43], 0 offset:840 ; 4-byte Folded Reload
	buffer_load_dword v25, off, s[40:43], 0 offset:844 ; 4-byte Folded Reload
	buffer_load_dword v26, off, s[40:43], 0 offset:848 ; 4-byte Folded Reload
	buffer_load_dword v27, off, s[40:43], 0 offset:852 ; 4-byte Folded Reload
	buffer_load_dword v28, off, s[40:43], 0 offset:856 ; 4-byte Folded Reload
	buffer_load_dword v29, off, s[40:43], 0 offset:860 ; 4-byte Folded Reload
	buffer_load_dword v30, off, s[40:43], 0 offset:864 ; 4-byte Folded Reload
	buffer_load_dword v31, off, s[40:43], 0 offset:868 ; 4-byte Folded Reload
	buffer_load_dword v32, off, s[40:43], 0 offset:872 ; 4-byte Folded Reload
	buffer_load_dword v33, off, s[40:43], 0 offset:876 ; 4-byte Folded Reload
	buffer_load_dword v34, off, s[40:43], 0 offset:880 ; 4-byte Folded Reload
	buffer_load_dword v35, off, s[40:43], 0 offset:884 ; 4-byte Folded Reload
	buffer_load_dword v36, off, s[40:43], 0 offset:888 ; 4-byte Folded Reload
	buffer_load_dword v37, off, s[40:43], 0 offset:892 ; 4-byte Folded Reload
	s_waitcnt vmcnt(24)
	v_pk_mov_b32 v[6:7], v[12:13], v[12:13] op_sel:[0,1]
	v_fmac_f32_e32 v4, v6, v6
	v_fmac_f32_e32 v4, v7, v7
	buffer_load_dword v6, off, s[40:43], 0 offset:1024 ; 4-byte Folded Reload
	buffer_load_dword v7, off, s[40:43], 0 offset:1028 ; 4-byte Folded Reload
	buffer_load_dword v8, off, s[40:43], 0 offset:1032 ; 4-byte Folded Reload
	buffer_load_dword v9, off, s[40:43], 0 offset:1036 ; 4-byte Folded Reload
	buffer_load_dword v10, off, s[40:43], 0 offset:1040 ; 4-byte Folded Reload
	buffer_load_dword v11, off, s[40:43], 0 offset:1044 ; 4-byte Folded Reload
	buffer_load_dword v12, off, s[40:43], 0 offset:1048 ; 4-byte Folded Reload
	buffer_load_dword v13, off, s[40:43], 0 offset:1052 ; 4-byte Folded Reload
	buffer_load_dword v14, off, s[40:43], 0 offset:1056 ; 4-byte Folded Reload
	buffer_load_dword v15, off, s[40:43], 0 offset:1060 ; 4-byte Folded Reload
	buffer_load_dword v16, off, s[40:43], 0 offset:1064 ; 4-byte Folded Reload
	buffer_load_dword v17, off, s[40:43], 0 offset:1068 ; 4-byte Folded Reload
	buffer_load_dword v18, off, s[40:43], 0 offset:1072 ; 4-byte Folded Reload
	buffer_load_dword v19, off, s[40:43], 0 offset:1076 ; 4-byte Folded Reload
	buffer_load_dword v20, off, s[40:43], 0 offset:1080 ; 4-byte Folded Reload
	buffer_load_dword v21, off, s[40:43], 0 offset:1084 ; 4-byte Folded Reload
	buffer_load_dword v22, off, s[40:43], 0 offset:1088 ; 4-byte Folded Reload
	buffer_load_dword v23, off, s[40:43], 0 offset:1092 ; 4-byte Folded Reload
	buffer_load_dword v24, off, s[40:43], 0 offset:1096 ; 4-byte Folded Reload
	buffer_load_dword v25, off, s[40:43], 0 offset:1100 ; 4-byte Folded Reload
	buffer_load_dword v26, off, s[40:43], 0 offset:1104 ; 4-byte Folded Reload
	buffer_load_dword v27, off, s[40:43], 0 offset:1108 ; 4-byte Folded Reload
	buffer_load_dword v28, off, s[40:43], 0 offset:1112 ; 4-byte Folded Reload
	buffer_load_dword v29, off, s[40:43], 0 offset:1116 ; 4-byte Folded Reload
	buffer_load_dword v30, off, s[40:43], 0 offset:1120 ; 4-byte Folded Reload
	buffer_load_dword v31, off, s[40:43], 0 offset:1124 ; 4-byte Folded Reload
	buffer_load_dword v32, off, s[40:43], 0 offset:1128 ; 4-byte Folded Reload
	buffer_load_dword v33, off, s[40:43], 0 offset:1132 ; 4-byte Folded Reload
	buffer_load_dword v34, off, s[40:43], 0 offset:1136 ; 4-byte Folded Reload
	buffer_load_dword v35, off, s[40:43], 0 offset:1140 ; 4-byte Folded Reload
	buffer_load_dword v36, off, s[40:43], 0 offset:1144 ; 4-byte Folded Reload
	buffer_load_dword v37, off, s[40:43], 0 offset:1148 ; 4-byte Folded Reload
	;; [unrolled: 36-line block ×7, first 2 shown]
	s_waitcnt vmcnt(12)
	v_pk_mov_b32 v[18:19], v[24:25], v[24:25] op_sel:[0,1]
	v_fmac_f32_e32 v4, v18, v18
	v_fmac_f32_e32 v4, v19, v19
	buffer_load_dword v6, off, s[40:43], 0  ; 4-byte Folded Reload
	buffer_load_dword v7, off, s[40:43], 0 offset:4 ; 4-byte Folded Reload
	buffer_load_dword v8, off, s[40:43], 0 offset:8 ; 4-byte Folded Reload
	;; [unrolled: 1-line block ×31, first 2 shown]
	s_waitcnt vmcnt(10)
	v_pk_mov_b32 v[20:21], v[26:27], v[26:27] op_sel:[0,1]
	v_fmac_f32_e32 v4, v20, v20
	v_fmac_f32_e32 v4, v21, v21
	;; [unrolled: 1-line block ×4, first 2 shown]
	s_nop 1
	v_mov_b32_dpp v5, v4 quad_perm:[1,0,3,2] row_mask:0xf bank_mask:0xf
	v_add_f32_e32 v4, v4, v5
	s_nop 1
	v_mov_b32_dpp v5, v4 quad_perm:[2,3,0,1] row_mask:0xf bank_mask:0xf
	v_add_f32_e32 v4, v4, v5
	s_nop 1
	v_mov_b32_dpp v5, v4 row_half_mirror row_mask:0xf bank_mask:0xf
	v_add_f32_e32 v4, v4, v5
	s_nop 1
	v_mov_b32_dpp v5, v4 row_mirror row_mask:0xf bank_mask:0xf
	v_add_f32_e32 v4, v4, v5
	s_nop 1
	v_mov_b32_dpp v5, v4 row_bcast:15 row_mask:0xf bank_mask:0xf
	v_add_f32_e32 v4, v4, v5
	v_and_b32_e32 v5, 63, v0
	v_cmp_eq_u32_e64 s[2:3], 63, v5
	s_nop 0
	v_mov_b32_dpp v5, v4 row_bcast:31 row_mask:0xf bank_mask:0xf
	s_and_saveexec_b64 s[24:25], s[2:3]
	s_cbranch_execz .LBB71_13
; %bb.12:
	v_add_f32_e32 v4, v4, v5
	v_lshrrev_b32_e32 v5, 4, v0
	v_and_b32_e32 v5, 60, v5
	ds_write_b32 v5, v4 offset:32
.LBB71_13:
	s_or_b64 exec, exec, s[24:25]
	v_and_b32_e32 v4, 3, v0
	v_lshlrev_b32_e32 v50, 2, v4
	s_waitcnt lgkmcnt(0)
	s_barrier
	ds_read_b32 v4, v50 offset:32
	s_load_dwordx2 s[30:31], s[4:5], 0x18
	s_waitcnt lgkmcnt(0)
	v_mov_b32_dpp v5, v4 quad_perm:[1,0,3,2] row_mask:0xf bank_mask:0xf
	v_add_f32_e32 v4, v4, v5
	s_nop 1
	v_mov_b32_dpp v5, v4 quad_perm:[2,3,0,1] row_mask:0xf bank_mask:0xf
	s_and_saveexec_b64 s[24:25], s[0:1]
	s_cbranch_execnz .LBB71_18
; %bb.14:
	s_or_b64 exec, exec, s[24:25]
	s_mov_b64 s[8:9], -1
	s_and_b64 vcc, exec, s[22:23]
	s_cbranch_vccnz .LBB71_19
.LBB71_15:
	s_andn2_b64 vcc, exec, s[8:9]
	s_cbranch_vccz .LBB71_22
.LBB71_16:
	s_cmp_lt_i32 s16, 1
	s_cbranch_scc0 .LBB71_31
.LBB71_17:
	s_endpgm
.LBB71_18:
	v_add_f32_e32 v4, v4, v5
	v_cvt_f32_u32_e32 v5, s7
	s_mov_b32 s7, 0x800000
	v_div_scale_f32 v6, s[36:37], v5, v5, v4
	v_rcp_f32_e32 v7, v6
	v_fma_f32 v8, -v6, v7, 1.0
	v_fmac_f32_e32 v7, v8, v7
	v_div_scale_f32 v8, vcc, v4, v5, v4
	v_mul_f32_e32 v9, v8, v7
	v_fma_f32 v10, -v6, v9, v8
	v_fmac_f32_e32 v9, v10, v7
	v_fma_f32 v6, -v6, v9, v8
	v_div_fmas_f32 v6, v6, v7, v9
	v_div_fixup_f32 v4, v6, v5, v4
	v_mov_b32_e32 v5, s13
	v_mov_b32_e32 v6, s12
	v_cndmask_b32_e64 v5, v5, v6, s[8:9]
	v_add_f32_e32 v4, v5, v4
	v_mul_f32_e32 v5, 0x4b800000, v4
	v_cmp_gt_f32_e32 vcc, s7, v4
	v_cndmask_b32_e32 v4, v4, v5, vcc
	v_rsq_f32_e32 v4, v4
	v_mul_f32_e32 v5, 0x45800000, v4
	v_cndmask_b32_e32 v4, v4, v5, vcc
	v_mov_b32_e32 v5, v4
	;;#ASMSTART
	v_pk_mul_f32 v[2:3], v[2:3], v[4:5]
	;;#ASMEND
	;;#ASMSTART
	v_pk_mul_f32 v[6:7], v[74:75], v[4:5]
	;;#ASMEND
	buffer_load_dword v8, off, s[40:43], 0 offset:896 ; 4-byte Folded Reload
	buffer_load_dword v9, off, s[40:43], 0 offset:900 ; 4-byte Folded Reload
	buffer_load_dword v10, off, s[40:43], 0 offset:904 ; 4-byte Folded Reload
	buffer_load_dword v11, off, s[40:43], 0 offset:908 ; 4-byte Folded Reload
	buffer_load_dword v12, off, s[40:43], 0 offset:912 ; 4-byte Folded Reload
	buffer_load_dword v13, off, s[40:43], 0 offset:916 ; 4-byte Folded Reload
	buffer_load_dword v14, off, s[40:43], 0 offset:920 ; 4-byte Folded Reload
	buffer_load_dword v15, off, s[40:43], 0 offset:924 ; 4-byte Folded Reload
	buffer_load_dword v16, off, s[40:43], 0 offset:928 ; 4-byte Folded Reload
	buffer_load_dword v17, off, s[40:43], 0 offset:932 ; 4-byte Folded Reload
	buffer_load_dword v18, off, s[40:43], 0 offset:936 ; 4-byte Folded Reload
	buffer_load_dword v19, off, s[40:43], 0 offset:940 ; 4-byte Folded Reload
	buffer_load_dword v20, off, s[40:43], 0 offset:944 ; 4-byte Folded Reload
	buffer_load_dword v21, off, s[40:43], 0 offset:948 ; 4-byte Folded Reload
	buffer_load_dword v22, off, s[40:43], 0 offset:952 ; 4-byte Folded Reload
	buffer_load_dword v23, off, s[40:43], 0 offset:956 ; 4-byte Folded Reload
	buffer_load_dword v24, off, s[40:43], 0 offset:960 ; 4-byte Folded Reload
	buffer_load_dword v25, off, s[40:43], 0 offset:964 ; 4-byte Folded Reload
	buffer_load_dword v26, off, s[40:43], 0 offset:968 ; 4-byte Folded Reload
	buffer_load_dword v27, off, s[40:43], 0 offset:972 ; 4-byte Folded Reload
	buffer_load_dword v28, off, s[40:43], 0 offset:976 ; 4-byte Folded Reload
	buffer_load_dword v29, off, s[40:43], 0 offset:980 ; 4-byte Folded Reload
	buffer_load_dword v30, off, s[40:43], 0 offset:984 ; 4-byte Folded Reload
	buffer_load_dword v31, off, s[40:43], 0 offset:988 ; 4-byte Folded Reload
	buffer_load_dword v32, off, s[40:43], 0 offset:992 ; 4-byte Folded Reload
	buffer_load_dword v33, off, s[40:43], 0 offset:996 ; 4-byte Folded Reload
	buffer_load_dword v34, off, s[40:43], 0 offset:1000 ; 4-byte Folded Reload
	buffer_load_dword v35, off, s[40:43], 0 offset:1004 ; 4-byte Folded Reload
	buffer_load_dword v36, off, s[40:43], 0 offset:1008 ; 4-byte Folded Reload
	buffer_load_dword v37, off, s[40:43], 0 offset:1012 ; 4-byte Folded Reload
	buffer_load_dword v38, off, s[40:43], 0 offset:1016 ; 4-byte Folded Reload
	buffer_load_dword v39, off, s[40:43], 0 offset:1020 ; 4-byte Folded Reload
	s_waitcnt vmcnt(26)
	;;#ASMSTART
	v_pk_mul_f32 v[8:9], v[12:13], v[4:5]
	;;#ASMEND
	buffer_load_dword v10, off, s[40:43], 0 offset:768 ; 4-byte Folded Reload
	buffer_load_dword v11, off, s[40:43], 0 offset:772 ; 4-byte Folded Reload
	buffer_load_dword v12, off, s[40:43], 0 offset:776 ; 4-byte Folded Reload
	buffer_load_dword v13, off, s[40:43], 0 offset:780 ; 4-byte Folded Reload
	buffer_load_dword v14, off, s[40:43], 0 offset:784 ; 4-byte Folded Reload
	buffer_load_dword v15, off, s[40:43], 0 offset:788 ; 4-byte Folded Reload
	buffer_load_dword v16, off, s[40:43], 0 offset:792 ; 4-byte Folded Reload
	buffer_load_dword v17, off, s[40:43], 0 offset:796 ; 4-byte Folded Reload
	buffer_load_dword v18, off, s[40:43], 0 offset:800 ; 4-byte Folded Reload
	buffer_load_dword v19, off, s[40:43], 0 offset:804 ; 4-byte Folded Reload
	buffer_load_dword v20, off, s[40:43], 0 offset:808 ; 4-byte Folded Reload
	buffer_load_dword v21, off, s[40:43], 0 offset:812 ; 4-byte Folded Reload
	buffer_load_dword v22, off, s[40:43], 0 offset:816 ; 4-byte Folded Reload
	buffer_load_dword v23, off, s[40:43], 0 offset:820 ; 4-byte Folded Reload
	buffer_load_dword v24, off, s[40:43], 0 offset:824 ; 4-byte Folded Reload
	buffer_load_dword v25, off, s[40:43], 0 offset:828 ; 4-byte Folded Reload
	buffer_load_dword v26, off, s[40:43], 0 offset:832 ; 4-byte Folded Reload
	buffer_load_dword v27, off, s[40:43], 0 offset:836 ; 4-byte Folded Reload
	buffer_load_dword v28, off, s[40:43], 0 offset:840 ; 4-byte Folded Reload
	buffer_load_dword v29, off, s[40:43], 0 offset:844 ; 4-byte Folded Reload
	buffer_load_dword v30, off, s[40:43], 0 offset:848 ; 4-byte Folded Reload
	buffer_load_dword v31, off, s[40:43], 0 offset:852 ; 4-byte Folded Reload
	buffer_load_dword v32, off, s[40:43], 0 offset:856 ; 4-byte Folded Reload
	buffer_load_dword v33, off, s[40:43], 0 offset:860 ; 4-byte Folded Reload
	buffer_load_dword v34, off, s[40:43], 0 offset:864 ; 4-byte Folded Reload
	buffer_load_dword v35, off, s[40:43], 0 offset:868 ; 4-byte Folded Reload
	buffer_load_dword v36, off, s[40:43], 0 offset:872 ; 4-byte Folded Reload
	buffer_load_dword v37, off, s[40:43], 0 offset:876 ; 4-byte Folded Reload
	buffer_load_dword v38, off, s[40:43], 0 offset:880 ; 4-byte Folded Reload
	buffer_load_dword v39, off, s[40:43], 0 offset:884 ; 4-byte Folded Reload
	buffer_load_dword v40, off, s[40:43], 0 offset:888 ; 4-byte Folded Reload
	buffer_load_dword v41, off, s[40:43], 0 offset:892 ; 4-byte Folded Reload
	s_waitcnt vmcnt(24)
	;; [unrolled: 36-line block ×6, first 2 shown]
	v_cvt_f32_f16_sdwa v27, v108 dst_sel:DWORD dst_unused:UNUSED_PAD src0_sel:WORD_1
	v_cvt_f32_f16_e32 v26, v108
	s_waitcnt vmcnt(20)
	v_cvt_f32_f16_sdwa v29, v109 dst_sel:DWORD dst_unused:UNUSED_PAD src0_sel:WORD_1
	v_cvt_f32_f16_e32 v28, v109
	s_waitcnt vmcnt(18)
	;; [unrolled: 3-line block ×9, first 2 shown]
	v_cvt_f32_f16_sdwa v47, v124 dst_sel:DWORD dst_unused:UNUSED_PAD src0_sel:WORD_1
	v_cvt_f32_f16_e32 v46, v124
	;;#ASMSTART
	v_pk_mul_f32 v[18:19], v[32:33], v[4:5]
	;;#ASMEND
	buffer_load_dword v52, off, s[40:43], 0 offset:512 ; 4-byte Folded Reload
	buffer_load_dword v53, off, s[40:43], 0 offset:516 ; 4-byte Folded Reload
	;; [unrolled: 1-line block ×32, first 2 shown]
	v_cvt_f32_f16_sdwa v33, v111 dst_sel:DWORD dst_unused:UNUSED_PAD src0_sel:WORD_1
	v_cvt_f32_f16_e32 v32, v111
	s_waitcnt vmcnt(14)
	;;#ASMSTART
	v_pk_mul_f32 v[20:21], v[68:69], v[4:5]
	;;#ASMEND
	buffer_load_dword v52, off, s[40:43], 0 offset:384 ; 4-byte Folded Reload
	buffer_load_dword v53, off, s[40:43], 0 offset:388 ; 4-byte Folded Reload
	;; [unrolled: 1-line block ×32, first 2 shown]
	s_waitcnt vmcnt(12)
	;;#ASMSTART
	v_pk_mul_f32 v[22:23], v[70:71], v[4:5]
	;;#ASMEND
	buffer_load_dword v52, off, s[40:43], 0 ; 4-byte Folded Reload
	buffer_load_dword v53, off, s[40:43], 0 offset:4 ; 4-byte Folded Reload
	buffer_load_dword v54, off, s[40:43], 0 offset:8 ; 4-byte Folded Reload
	;; [unrolled: 1-line block ×31, first 2 shown]
	s_waitcnt vmcnt(30)
	v_cvt_f32_f16_sdwa v53, v125 dst_sel:DWORD dst_unused:UNUSED_PAD src0_sel:WORD_1
	v_cvt_f32_f16_e32 v52, v125
	s_waitcnt vmcnt(10)
	;;#ASMSTART
	v_pk_mul_f32 v[24:25], v[72:73], v[4:5]
	;;#ASMEND
	;;#ASMSTART
	v_pk_mul_f32 v[4:5], v[120:121], v[4:5]
	;;#ASMEND
	;; [unrolled: 3-line block ×3, first 2 shown]
	s_waitcnt vmcnt(8)
	;;#ASMSTART
	v_pk_mul_f32 v[74:75], v[6:7], v[28:29]
	;;#ASMEND
	;;#ASMSTART
	v_pk_mul_f32 v[6:7], v[8:9], v[30:31]
	;;#ASMEND
	buffer_store_dword v2, off, s[40:43], 0 offset:896 ; 4-byte Folded Spill
	s_nop 0
	buffer_store_dword v3, off, s[40:43], 0 offset:900 ; 4-byte Folded Spill
	buffer_store_dword v4, off, s[40:43], 0 offset:904 ; 4-byte Folded Spill
	buffer_store_dword v5, off, s[40:43], 0 offset:908 ; 4-byte Folded Spill
	buffer_store_dword v6, off, s[40:43], 0 offset:912 ; 4-byte Folded Spill
	buffer_store_dword v7, off, s[40:43], 0 offset:916 ; 4-byte Folded Spill
	buffer_store_dword v8, off, s[40:43], 0 offset:920 ; 4-byte Folded Spill
	buffer_store_dword v9, off, s[40:43], 0 offset:924 ; 4-byte Folded Spill
	buffer_store_dword v10, off, s[40:43], 0 offset:928 ; 4-byte Folded Spill
	buffer_store_dword v11, off, s[40:43], 0 offset:932 ; 4-byte Folded Spill
	buffer_store_dword v12, off, s[40:43], 0 offset:936 ; 4-byte Folded Spill
	buffer_store_dword v13, off, s[40:43], 0 offset:940 ; 4-byte Folded Spill
	buffer_store_dword v14, off, s[40:43], 0 offset:944 ; 4-byte Folded Spill
	buffer_store_dword v15, off, s[40:43], 0 offset:948 ; 4-byte Folded Spill
	buffer_store_dword v16, off, s[40:43], 0 offset:952 ; 4-byte Folded Spill
	buffer_store_dword v17, off, s[40:43], 0 offset:956 ; 4-byte Folded Spill
	buffer_store_dword v18, off, s[40:43], 0 offset:960 ; 4-byte Folded Spill
	buffer_store_dword v19, off, s[40:43], 0 offset:964 ; 4-byte Folded Spill
	buffer_store_dword v20, off, s[40:43], 0 offset:968 ; 4-byte Folded Spill
	buffer_store_dword v21, off, s[40:43], 0 offset:972 ; 4-byte Folded Spill
	buffer_store_dword v22, off, s[40:43], 0 offset:976 ; 4-byte Folded Spill
	buffer_store_dword v23, off, s[40:43], 0 offset:980 ; 4-byte Folded Spill
	buffer_store_dword v24, off, s[40:43], 0 offset:984 ; 4-byte Folded Spill
	buffer_store_dword v25, off, s[40:43], 0 offset:988 ; 4-byte Folded Spill
	buffer_store_dword v26, off, s[40:43], 0 offset:992 ; 4-byte Folded Spill
	buffer_store_dword v27, off, s[40:43], 0 offset:996 ; 4-byte Folded Spill
	buffer_store_dword v28, off, s[40:43], 0 offset:1000 ; 4-byte Folded Spill
	buffer_store_dword v29, off, s[40:43], 0 offset:1004 ; 4-byte Folded Spill
	buffer_store_dword v30, off, s[40:43], 0 offset:1008 ; 4-byte Folded Spill
	buffer_store_dword v31, off, s[40:43], 0 offset:1012 ; 4-byte Folded Spill
	buffer_store_dword v32, off, s[40:43], 0 offset:1016 ; 4-byte Folded Spill
	buffer_store_dword v33, off, s[40:43], 0 offset:1020 ; 4-byte Folded Spill
	;;#ASMSTART
	v_pk_mul_f32 v[6:7], v[10:11], v[32:33]
	;;#ASMEND
	buffer_store_dword v0, off, s[40:43], 0 offset:768 ; 4-byte Folded Spill
	s_nop 0
	buffer_store_dword v1, off, s[40:43], 0 offset:772 ; 4-byte Folded Spill
	buffer_store_dword v2, off, s[40:43], 0 offset:776 ; 4-byte Folded Spill
	buffer_store_dword v3, off, s[40:43], 0 offset:780 ; 4-byte Folded Spill
	buffer_store_dword v4, off, s[40:43], 0 offset:784 ; 4-byte Folded Spill
	buffer_store_dword v5, off, s[40:43], 0 offset:788 ; 4-byte Folded Spill
	buffer_store_dword v6, off, s[40:43], 0 offset:792 ; 4-byte Folded Spill
	buffer_store_dword v7, off, s[40:43], 0 offset:796 ; 4-byte Folded Spill
	buffer_store_dword v8, off, s[40:43], 0 offset:800 ; 4-byte Folded Spill
	buffer_store_dword v9, off, s[40:43], 0 offset:804 ; 4-byte Folded Spill
	buffer_store_dword v10, off, s[40:43], 0 offset:808 ; 4-byte Folded Spill
	buffer_store_dword v11, off, s[40:43], 0 offset:812 ; 4-byte Folded Spill
	buffer_store_dword v12, off, s[40:43], 0 offset:816 ; 4-byte Folded Spill
	buffer_store_dword v13, off, s[40:43], 0 offset:820 ; 4-byte Folded Spill
	buffer_store_dword v14, off, s[40:43], 0 offset:824 ; 4-byte Folded Spill
	buffer_store_dword v15, off, s[40:43], 0 offset:828 ; 4-byte Folded Spill
	buffer_store_dword v16, off, s[40:43], 0 offset:832 ; 4-byte Folded Spill
	buffer_store_dword v17, off, s[40:43], 0 offset:836 ; 4-byte Folded Spill
	buffer_store_dword v18, off, s[40:43], 0 offset:840 ; 4-byte Folded Spill
	buffer_store_dword v19, off, s[40:43], 0 offset:844 ; 4-byte Folded Spill
	buffer_store_dword v20, off, s[40:43], 0 offset:848 ; 4-byte Folded Spill
	buffer_store_dword v21, off, s[40:43], 0 offset:852 ; 4-byte Folded Spill
	buffer_store_dword v22, off, s[40:43], 0 offset:856 ; 4-byte Folded Spill
	buffer_store_dword v23, off, s[40:43], 0 offset:860 ; 4-byte Folded Spill
	buffer_store_dword v24, off, s[40:43], 0 offset:864 ; 4-byte Folded Spill
	buffer_store_dword v25, off, s[40:43], 0 offset:868 ; 4-byte Folded Spill
	buffer_store_dword v26, off, s[40:43], 0 offset:872 ; 4-byte Folded Spill
	buffer_store_dword v27, off, s[40:43], 0 offset:876 ; 4-byte Folded Spill
	buffer_store_dword v28, off, s[40:43], 0 offset:880 ; 4-byte Folded Spill
	buffer_store_dword v29, off, s[40:43], 0 offset:884 ; 4-byte Folded Spill
	buffer_store_dword v30, off, s[40:43], 0 offset:888 ; 4-byte Folded Spill
	buffer_store_dword v31, off, s[40:43], 0 offset:892 ; 4-byte Folded Spill
	;; [unrolled: 36-line block ×8, first 2 shown]
	;;#ASMSTART
	v_pk_mul_f32 v[20:21], v[24:25], v[46:47]
	;;#ASMEND
	buffer_store_dword v0, off, s[40:43], 0 ; 4-byte Folded Spill
	s_nop 0
	buffer_store_dword v1, off, s[40:43], 0 offset:4 ; 4-byte Folded Spill
	buffer_store_dword v2, off, s[40:43], 0 offset:8 ; 4-byte Folded Spill
	;; [unrolled: 1-line block ×31, first 2 shown]
	;;#ASMSTART
	v_pk_mul_f32 v[120:121], v[4:5], v[52:53]
	;;#ASMEND
	s_or_b64 exec, exec, s[24:25]
	s_mov_b64 s[8:9], -1
	s_and_b64 vcc, exec, s[22:23]
	s_cbranch_vccz .LBB71_15
.LBB71_19:
	s_and_saveexec_b64 s[8:9], s[0:1]
	s_cbranch_execz .LBB71_21
; %bb.20:
	buffer_load_dword v4, off, s[40:43], 0 offset:896 ; 4-byte Folded Reload
	buffer_load_dword v5, off, s[40:43], 0 offset:900 ; 4-byte Folded Reload
	;; [unrolled: 1-line block ×32, first 2 shown]
	s_mul_hi_i32 s23, s28, s6
	s_mul_i32 s22, s28, s6
	s_lshl_b64 s[22:23], s[22:23], 1
	s_add_u32 s24, s30, s22
	s_addc_u32 s7, s31, s23
	s_and_b32 s25, s7, 0xffff
	s_mov_b32 s27, 0x20000
	s_movk_i32 s7, 0x400
	s_waitcnt vmcnt(26)
	v_pk_mov_b32 v[38:39], v[8:9], v[8:9] op_sel:[0,1]
	buffer_load_dword v6, off, s[40:43], 0 offset:768 ; 4-byte Folded Reload
	buffer_load_dword v7, off, s[40:43], 0 offset:772 ; 4-byte Folded Reload
	;; [unrolled: 1-line block ×32, first 2 shown]
	v_cvt_f16_f32_e32 v4, v38
	s_waitcnt vmcnt(29)
	v_cvt_f16_f32_e32 v8, v39
	s_waitcnt vmcnt(24)
	v_pk_mov_b32 v[6:7], v[12:13], v[12:13] op_sel:[0,1]
	v_cvt_f16_f32_e32 v5, v6
	v_cvt_f16_f32_e32 v6, v7
	v_pack_b32_f16 v7, v5, v6
	v_pack_b32_f16 v6, v4, v8
	v_cvt_f16_f32_e32 v4, v74
	v_cvt_f16_f32_e32 v5, v75
	;; [unrolled: 1-line block ×3, first 2 shown]
	v_pack_b32_f16 v5, v4, v5
	v_cvt_f16_f32_e32 v4, v2
	v_pack_b32_f16 v4, v4, v8
	v_lshlrev_b32_e32 v8, 1, v1
	buffer_store_dwordx4 v[4:7], v8, s[24:27], 0 offen
	buffer_load_dword v10, off, s[40:43], 0 offset:256 ; 4-byte Folded Reload
	buffer_load_dword v11, off, s[40:43], 0 offset:260 ; 4-byte Folded Reload
	;; [unrolled: 1-line block ×32, first 2 shown]
	s_waitcnt vmcnt(18)
	v_pk_mov_b32 v[42:43], v[22:23], v[22:23] op_sel:[0,1]
	buffer_load_dword v10, off, s[40:43], 0 offset:128 ; 4-byte Folded Reload
	buffer_load_dword v11, off, s[40:43], 0 offset:132 ; 4-byte Folded Reload
	;; [unrolled: 1-line block ×32, first 2 shown]
	v_cvt_f16_f32_e32 v4, v42
	v_cvt_f16_f32_e32 v9, v43
	s_waitcnt vmcnt(16)
	v_pk_mov_b32 v[14:15], v[24:25], v[24:25] op_sel:[0,1]
	v_cvt_f16_f32_e32 v5, v14
	v_cvt_f16_f32_e32 v6, v15
	buffer_load_dword v10, off, s[40:43], 0 offset:640 ; 4-byte Folded Reload
	buffer_load_dword v11, off, s[40:43], 0 offset:644 ; 4-byte Folded Reload
	;; [unrolled: 1-line block ×32, first 2 shown]
	v_pack_b32_f16 v7, v5, v6
	v_pack_b32_f16 v6, v4, v9
	s_waitcnt vmcnt(20)
	v_pk_mov_b32 v[10:11], v[20:21], v[20:21] op_sel:[0,1]
	v_cvt_f16_f32_e32 v4, v10
	v_cvt_f16_f32_e32 v5, v11
	buffer_load_dword v10, off, s[40:43], 0 offset:1024 ; 4-byte Folded Reload
	buffer_load_dword v11, off, s[40:43], 0 offset:1028 ; 4-byte Folded Reload
	;; [unrolled: 1-line block ×32, first 2 shown]
	;;#ASMSTART
	s_nop 0
	;;#ASMEND
	v_pack_b32_f16 v5, v4, v5
	s_waitcnt vmcnt(22)
	v_pk_mov_b32 v[10:11], v[18:19], v[18:19] op_sel:[0,1]
	v_cvt_f16_f32_e32 v4, v10
	v_cvt_f16_f32_e32 v9, v11
	v_pack_b32_f16 v4, v4, v9
	buffer_store_dwordx4 v[4:7], v8, s[24:27], s7 offen
	buffer_load_dword v76, off, s[40:43], 0 ; 4-byte Folded Reload
	buffer_load_dword v77, off, s[40:43], 0 offset:4 ; 4-byte Folded Reload
	buffer_load_dword v78, off, s[40:43], 0 offset:8 ; 4-byte Folded Reload
	;; [unrolled: 1-line block ×31, first 2 shown]
	v_cvt_f16_f32_e32 v5, v120
	v_cvt_f16_f32_e32 v6, v121
	s_movk_i32 s7, 0x800
	v_pack_b32_f16 v7, v5, v6
	s_waitcnt vmcnt(10)
	v_pk_mov_b32 v[20:21], v[96:97], v[96:97] op_sel:[0,1]
	v_cvt_f16_f32_e32 v4, v20
	v_cvt_f16_f32_e32 v9, v21
	buffer_load_dword v10, off, s[40:43], 0 offset:384 ; 4-byte Folded Reload
	buffer_load_dword v11, off, s[40:43], 0 offset:388 ; 4-byte Folded Reload
	;; [unrolled: 1-line block ×32, first 2 shown]
	v_pack_b32_f16 v6, v4, v9
	s_waitcnt vmcnt(12)
	v_pk_mov_b32 v[18:19], v[28:29], v[28:29] op_sel:[0,1]
	v_cvt_f16_f32_e32 v4, v18
	v_cvt_f16_f32_e32 v5, v19
	buffer_load_dword v10, off, s[40:43], 0 offset:512 ; 4-byte Folded Reload
	buffer_load_dword v11, off, s[40:43], 0 offset:516 ; 4-byte Folded Reload
	;; [unrolled: 1-line block ×32, first 2 shown]
	;;#ASMSTART
	s_nop 0
	;;#ASMEND
	v_pack_b32_f16 v5, v4, v5
	s_waitcnt vmcnt(14)
	v_pk_mov_b32 v[16:17], v[26:27], v[26:27] op_sel:[0,1]
	v_cvt_f16_f32_e32 v4, v16
	v_cvt_f16_f32_e32 v9, v17
	v_pack_b32_f16 v4, v4, v9
	buffer_store_dwordx4 v[4:7], v8, s[24:27], s7 offen
	;;#ASMSTART
	s_nop 0
	;;#ASMEND
.LBB71_21:
	s_or_b64 exec, exec, s[8:9]
	s_cbranch_execnz .LBB71_16
.LBB71_22:
	v_mov_b32_e32 v4, 0
	s_and_saveexec_b64 s[8:9], s[0:1]
	s_cbranch_execz .LBB71_24
; %bb.23:
	v_and_b32_e32 v4, 0x7fffffff, v2
	v_mov_b32_e32 v6, 0x2edbe6ff
	v_and_b32_e32 v5, 0x7fffffff, v3
	;;#ASMSTART
	v_max3_f32 v4, v6, v4, v5

	;;#ASMEND
	v_and_b32_e32 v6, 0x7fffffff, v75
	v_and_b32_e32 v5, 0x7fffffff, v74
	;;#ASMSTART
	v_max3_f32 v4, v4, v5, v6

	;;#ASMEND
	buffer_load_dword v6, off, s[40:43], 0 offset:896 ; 4-byte Folded Reload
	buffer_load_dword v7, off, s[40:43], 0 offset:900 ; 4-byte Folded Reload
	buffer_load_dword v8, off, s[40:43], 0 offset:904 ; 4-byte Folded Reload
	buffer_load_dword v9, off, s[40:43], 0 offset:908 ; 4-byte Folded Reload
	buffer_load_dword v10, off, s[40:43], 0 offset:912 ; 4-byte Folded Reload
	buffer_load_dword v11, off, s[40:43], 0 offset:916 ; 4-byte Folded Reload
	buffer_load_dword v12, off, s[40:43], 0 offset:920 ; 4-byte Folded Reload
	buffer_load_dword v13, off, s[40:43], 0 offset:924 ; 4-byte Folded Reload
	buffer_load_dword v14, off, s[40:43], 0 offset:928 ; 4-byte Folded Reload
	buffer_load_dword v15, off, s[40:43], 0 offset:932 ; 4-byte Folded Reload
	buffer_load_dword v16, off, s[40:43], 0 offset:936 ; 4-byte Folded Reload
	buffer_load_dword v17, off, s[40:43], 0 offset:940 ; 4-byte Folded Reload
	buffer_load_dword v18, off, s[40:43], 0 offset:944 ; 4-byte Folded Reload
	buffer_load_dword v19, off, s[40:43], 0 offset:948 ; 4-byte Folded Reload
	buffer_load_dword v20, off, s[40:43], 0 offset:952 ; 4-byte Folded Reload
	buffer_load_dword v21, off, s[40:43], 0 offset:956 ; 4-byte Folded Reload
	buffer_load_dword v22, off, s[40:43], 0 offset:960 ; 4-byte Folded Reload
	buffer_load_dword v23, off, s[40:43], 0 offset:964 ; 4-byte Folded Reload
	buffer_load_dword v24, off, s[40:43], 0 offset:968 ; 4-byte Folded Reload
	buffer_load_dword v25, off, s[40:43], 0 offset:972 ; 4-byte Folded Reload
	buffer_load_dword v26, off, s[40:43], 0 offset:976 ; 4-byte Folded Reload
	buffer_load_dword v27, off, s[40:43], 0 offset:980 ; 4-byte Folded Reload
	buffer_load_dword v28, off, s[40:43], 0 offset:984 ; 4-byte Folded Reload
	buffer_load_dword v29, off, s[40:43], 0 offset:988 ; 4-byte Folded Reload
	buffer_load_dword v30, off, s[40:43], 0 offset:992 ; 4-byte Folded Reload
	buffer_load_dword v31, off, s[40:43], 0 offset:996 ; 4-byte Folded Reload
	buffer_load_dword v32, off, s[40:43], 0 offset:1000 ; 4-byte Folded Reload
	buffer_load_dword v33, off, s[40:43], 0 offset:1004 ; 4-byte Folded Reload
	buffer_load_dword v34, off, s[40:43], 0 offset:1008 ; 4-byte Folded Reload
	buffer_load_dword v35, off, s[40:43], 0 offset:1012 ; 4-byte Folded Reload
	buffer_load_dword v36, off, s[40:43], 0 offset:1016 ; 4-byte Folded Reload
	buffer_load_dword v37, off, s[40:43], 0 offset:1020 ; 4-byte Folded Reload
	s_waitcnt vmcnt(26)
	v_pk_mov_b32 v[6:7], v[10:11], v[10:11] op_sel:[0,1]
	v_and_b32_e32 v5, 0x7fffffff, v6
	v_and_b32_e32 v6, 0x7fffffff, v7
	;;#ASMSTART
	v_max3_f32 v4, v4, v5, v6

	;;#ASMEND
	buffer_load_dword v6, off, s[40:43], 0 offset:768 ; 4-byte Folded Reload
	buffer_load_dword v7, off, s[40:43], 0 offset:772 ; 4-byte Folded Reload
	buffer_load_dword v8, off, s[40:43], 0 offset:776 ; 4-byte Folded Reload
	buffer_load_dword v9, off, s[40:43], 0 offset:780 ; 4-byte Folded Reload
	buffer_load_dword v10, off, s[40:43], 0 offset:784 ; 4-byte Folded Reload
	buffer_load_dword v11, off, s[40:43], 0 offset:788 ; 4-byte Folded Reload
	buffer_load_dword v12, off, s[40:43], 0 offset:792 ; 4-byte Folded Reload
	buffer_load_dword v13, off, s[40:43], 0 offset:796 ; 4-byte Folded Reload
	buffer_load_dword v14, off, s[40:43], 0 offset:800 ; 4-byte Folded Reload
	buffer_load_dword v15, off, s[40:43], 0 offset:804 ; 4-byte Folded Reload
	buffer_load_dword v16, off, s[40:43], 0 offset:808 ; 4-byte Folded Reload
	buffer_load_dword v17, off, s[40:43], 0 offset:812 ; 4-byte Folded Reload
	buffer_load_dword v18, off, s[40:43], 0 offset:816 ; 4-byte Folded Reload
	buffer_load_dword v19, off, s[40:43], 0 offset:820 ; 4-byte Folded Reload
	buffer_load_dword v20, off, s[40:43], 0 offset:824 ; 4-byte Folded Reload
	buffer_load_dword v21, off, s[40:43], 0 offset:828 ; 4-byte Folded Reload
	buffer_load_dword v22, off, s[40:43], 0 offset:832 ; 4-byte Folded Reload
	buffer_load_dword v23, off, s[40:43], 0 offset:836 ; 4-byte Folded Reload
	buffer_load_dword v24, off, s[40:43], 0 offset:840 ; 4-byte Folded Reload
	buffer_load_dword v25, off, s[40:43], 0 offset:844 ; 4-byte Folded Reload
	buffer_load_dword v26, off, s[40:43], 0 offset:848 ; 4-byte Folded Reload
	buffer_load_dword v27, off, s[40:43], 0 offset:852 ; 4-byte Folded Reload
	buffer_load_dword v28, off, s[40:43], 0 offset:856 ; 4-byte Folded Reload
	buffer_load_dword v29, off, s[40:43], 0 offset:860 ; 4-byte Folded Reload
	buffer_load_dword v30, off, s[40:43], 0 offset:864 ; 4-byte Folded Reload
	buffer_load_dword v31, off, s[40:43], 0 offset:868 ; 4-byte Folded Reload
	buffer_load_dword v32, off, s[40:43], 0 offset:872 ; 4-byte Folded Reload
	buffer_load_dword v33, off, s[40:43], 0 offset:876 ; 4-byte Folded Reload
	buffer_load_dword v34, off, s[40:43], 0 offset:880 ; 4-byte Folded Reload
	buffer_load_dword v35, off, s[40:43], 0 offset:884 ; 4-byte Folded Reload
	buffer_load_dword v36, off, s[40:43], 0 offset:888 ; 4-byte Folded Reload
	buffer_load_dword v37, off, s[40:43], 0 offset:892 ; 4-byte Folded Reload
	s_waitcnt vmcnt(24)
	v_pk_mov_b32 v[6:7], v[12:13], v[12:13] op_sel:[0,1]
	;; [unrolled: 40-line block ×8, first 2 shown]
	v_and_b32_e32 v6, 0x7fffffff, v19
	v_and_b32_e32 v5, 0x7fffffff, v18
	;;#ASMSTART
	v_max3_f32 v4, v4, v5, v6

	;;#ASMEND
	buffer_load_dword v6, off, s[40:43], 0  ; 4-byte Folded Reload
	buffer_load_dword v7, off, s[40:43], 0 offset:4 ; 4-byte Folded Reload
	buffer_load_dword v8, off, s[40:43], 0 offset:8 ; 4-byte Folded Reload
	;; [unrolled: 1-line block ×31, first 2 shown]
	s_waitcnt vmcnt(10)
	v_pk_mov_b32 v[20:21], v[26:27], v[26:27] op_sel:[0,1]
	v_and_b32_e32 v5, 0x7fffffff, v20
	v_and_b32_e32 v6, 0x7fffffff, v21
	;;#ASMSTART
	v_max3_f32 v4, v4, v5, v6

	;;#ASMEND
	v_and_b32_e32 v5, 0x7fffffff, v120
	v_and_b32_e32 v6, 0x7fffffff, v121
	;;#ASMSTART
	v_max3_f32 v4, v4, v5, v6

	;;#ASMEND
.LBB71_24:
	s_or_b64 exec, exec, s[8:9]
	s_nop 0
	v_mov_b32_dpp v5, v4 quad_perm:[1,0,3,2] row_mask:0xf bank_mask:0xf
	v_cmp_gt_f32_e32 vcc, v4, v5
	v_cndmask_b32_e32 v4, v5, v4, vcc
	s_nop 1
	v_mov_b32_dpp v5, v4 quad_perm:[2,3,0,1] row_mask:0xf bank_mask:0xf
	v_cmp_gt_f32_e32 vcc, v4, v5
	v_cndmask_b32_e32 v4, v5, v4, vcc
	s_nop 1
	v_mov_b32_dpp v5, v4 row_half_mirror row_mask:0xf bank_mask:0xf
	v_cmp_gt_f32_e32 vcc, v4, v5
	v_cndmask_b32_e32 v4, v5, v4, vcc
	s_nop 1
	v_mov_b32_dpp v5, v4 row_mirror row_mask:0xf bank_mask:0xf
	v_cmp_gt_f32_e32 vcc, v4, v5
	v_cndmask_b32_e32 v4, v5, v4, vcc
	s_nop 1
	v_mov_b32_dpp v5, v4 row_bcast:15 row_mask:0xf bank_mask:0xf
	v_cmp_gt_f32_e32 vcc, v4, v5
	v_cndmask_b32_e32 v4, v5, v4, vcc
	s_nop 1
	v_mov_b32_dpp v5, v4 row_bcast:31 row_mask:0xf bank_mask:0xf
	s_and_saveexec_b64 s[8:9], s[2:3]
	s_cbranch_execz .LBB71_26
; %bb.25:
	v_cmp_gt_f32_e32 vcc, v4, v5
	v_cndmask_b32_e32 v4, v5, v4, vcc
	v_lshrrev_b32_e32 v5, 4, v0
	v_and_b32_e32 v5, 60, v5
	ds_write_b32 v5, v4
.LBB71_26:
	s_or_b64 exec, exec, s[8:9]
	s_waitcnt lgkmcnt(0)
	s_barrier
	ds_read_b32 v4, v50
	s_waitcnt lgkmcnt(0)
	s_nop 0
	v_mov_b32_dpp v5, v4 quad_perm:[1,0,3,2] row_mask:0xf bank_mask:0xf
	v_cmp_gt_f32_e32 vcc, v4, v5
	v_cndmask_b32_e32 v4, v5, v4, vcc
	s_nop 1
	v_mov_b32_dpp v5, v4 quad_perm:[2,3,0,1] row_mask:0xf bank_mask:0xf
	v_cmp_gt_f32_e32 vcc, v4, v5
	v_cndmask_b32_e32 v4, v5, v4, vcc
	v_mul_f32_e32 v4, 0x3b124925, v4
	v_cmp_eq_u32_e32 vcc, 0, v0
	s_and_saveexec_b64 s[8:9], vcc
	s_cbranch_execz .LBB71_28
; %bb.27:
	s_load_dwordx2 s[22:23], s[4:5], 0x8
	s_mul_hi_i32 s25, s11, s6
	s_mul_i32 s24, s11, s6
	s_lshl_b64 s[24:25], s[24:25], 2
	v_mov_b32_e32 v5, 0
	s_waitcnt lgkmcnt(0)
	s_add_u32 s22, s22, s24
	s_addc_u32 s23, s23, s25
	global_store_dword v5, v4, s[22:23]
.LBB71_28:
	s_or_b64 exec, exec, s[8:9]
	;;#ASMSTART
	v_rcp_f32 v4, v4
	;;#ASMEND
	s_and_saveexec_b64 s[22:23], s[0:1]
	s_cbranch_execz .LBB71_30
; %bb.29:
	v_mov_b32_e32 v5, v4
	;;#ASMSTART
	v_pk_mul_f32 v[2:3], v[2:3], v[4:5]
	;;#ASMEND
	v_mov_b32_e32 v8, 0xc3e00000
	v_mov_b32_e32 v9, 0x43e00000
	;;#ASMSTART
	v_med3_f32 v2, v2, v8, v9
v_med3_f32 v3, v3, v8, v9
v_cvt_pk_fp8_f32 v6, v2, v3
	;;#ASMEND
	;;#ASMSTART
	v_pk_mul_f32 v[2:3], v[74:75], v[4:5]
	;;#ASMEND
	;;#ASMSTART
	v_med3_f32 v2, v2, v8, v9
v_med3_f32 v3, v3, v8, v9
v_cvt_pk_fp8_f32 v7, v2, v3
	;;#ASMEND
	buffer_load_dword v10, off, s[40:43], 0 offset:896 ; 4-byte Folded Reload
	buffer_load_dword v11, off, s[40:43], 0 offset:900 ; 4-byte Folded Reload
	buffer_load_dword v12, off, s[40:43], 0 offset:904 ; 4-byte Folded Reload
	buffer_load_dword v13, off, s[40:43], 0 offset:908 ; 4-byte Folded Reload
	buffer_load_dword v14, off, s[40:43], 0 offset:912 ; 4-byte Folded Reload
	buffer_load_dword v15, off, s[40:43], 0 offset:916 ; 4-byte Folded Reload
	buffer_load_dword v16, off, s[40:43], 0 offset:920 ; 4-byte Folded Reload
	buffer_load_dword v17, off, s[40:43], 0 offset:924 ; 4-byte Folded Reload
	buffer_load_dword v18, off, s[40:43], 0 offset:928 ; 4-byte Folded Reload
	buffer_load_dword v19, off, s[40:43], 0 offset:932 ; 4-byte Folded Reload
	buffer_load_dword v20, off, s[40:43], 0 offset:936 ; 4-byte Folded Reload
	buffer_load_dword v21, off, s[40:43], 0 offset:940 ; 4-byte Folded Reload
	buffer_load_dword v22, off, s[40:43], 0 offset:944 ; 4-byte Folded Reload
	buffer_load_dword v23, off, s[40:43], 0 offset:948 ; 4-byte Folded Reload
	buffer_load_dword v24, off, s[40:43], 0 offset:952 ; 4-byte Folded Reload
	buffer_load_dword v25, off, s[40:43], 0 offset:956 ; 4-byte Folded Reload
	buffer_load_dword v26, off, s[40:43], 0 offset:960 ; 4-byte Folded Reload
	buffer_load_dword v27, off, s[40:43], 0 offset:964 ; 4-byte Folded Reload
	buffer_load_dword v28, off, s[40:43], 0 offset:968 ; 4-byte Folded Reload
	buffer_load_dword v29, off, s[40:43], 0 offset:972 ; 4-byte Folded Reload
	buffer_load_dword v30, off, s[40:43], 0 offset:976 ; 4-byte Folded Reload
	buffer_load_dword v31, off, s[40:43], 0 offset:980 ; 4-byte Folded Reload
	buffer_load_dword v32, off, s[40:43], 0 offset:984 ; 4-byte Folded Reload
	buffer_load_dword v33, off, s[40:43], 0 offset:988 ; 4-byte Folded Reload
	buffer_load_dword v34, off, s[40:43], 0 offset:992 ; 4-byte Folded Reload
	buffer_load_dword v35, off, s[40:43], 0 offset:996 ; 4-byte Folded Reload
	buffer_load_dword v36, off, s[40:43], 0 offset:1000 ; 4-byte Folded Reload
	buffer_load_dword v37, off, s[40:43], 0 offset:1004 ; 4-byte Folded Reload
	buffer_load_dword v38, off, s[40:43], 0 offset:1008 ; 4-byte Folded Reload
	buffer_load_dword v39, off, s[40:43], 0 offset:1012 ; 4-byte Folded Reload
	buffer_load_dword v40, off, s[40:43], 0 offset:1016 ; 4-byte Folded Reload
	buffer_load_dword v41, off, s[40:43], 0 offset:1020 ; 4-byte Folded Reload
	s_load_dwordx2 s[0:1], s[4:5], 0x0
	s_mul_i32 s8, s10, s6
	s_mov_b32 s7, 0x5040100
	s_mul_hi_i32 s9, s10, s6
	s_movk_i32 s12, 0xff
	s_waitcnt lgkmcnt(0)
	s_add_u32 s8, s0, s8
	s_addc_u32 s0, s1, s9
	s_add_i32 s1, s15, 3
	s_ashr_i32 s9, s1, 31
	s_mov_b32 s14, 0xffff
	s_lshr_b32 s9, s9, 30
	s_add_i32 s1, s1, s9
	s_and_b32 s10, s1, -4
	s_and_b32 s9, s0, 0xffff
	s_mov_b32 s11, 0x20000
	s_movk_i32 s0, 0x200
	s_waitcnt vmcnt(26)
	;;#ASMSTART
	v_pk_mul_f32 v[2:3], v[14:15], v[4:5]
	;;#ASMEND
	;;#ASMSTART
	v_med3_f32 v2, v2, v8, v9
v_med3_f32 v3, v3, v8, v9
v_cvt_pk_fp8_f32 v10, v2, v3
	;;#ASMEND
	buffer_load_dword v12, off, s[40:43], 0 offset:768 ; 4-byte Folded Reload
	buffer_load_dword v13, off, s[40:43], 0 offset:772 ; 4-byte Folded Reload
	;; [unrolled: 1-line block ×32, first 2 shown]
	s_waitcnt vmcnt(24)
	;;#ASMSTART
	v_pk_mul_f32 v[2:3], v[18:19], v[4:5]
	;;#ASMEND
	;;#ASMSTART
	v_med3_f32 v2, v2, v8, v9
v_med3_f32 v3, v3, v8, v9
v_cvt_pk_fp8_f32 v11, v2, v3
	;;#ASMEND
	v_perm_b32 v2, v7, v6, s7
	v_and_b32_e32 v3, 0xffffff00, v7
	v_and_b32_sdwa v6, v2, s12 dst_sel:DWORD dst_unused:UNUSED_PAD src0_sel:WORD_1 src1_sel:DWORD
	v_or_b32_sdwa v3, v6, v3 dst_sel:WORD_1 dst_unused:UNUSED_PAD src0_sel:DWORD src1_sel:DWORD
	v_and_or_b32 v2, v2, s14, v3
	v_lshlrev_b32_e32 v3, 16, v11
	v_and_or_b32 v3, v10, s14, v3
	buffer_store_dwordx2 v[2:3], v1, s[8:11], 0 offen
	;;#ASMSTART
	s_nop 0
	;;#ASMEND
	buffer_load_dword v10, off, s[40:43], 0 offset:1024 ; 4-byte Folded Reload
	buffer_load_dword v11, off, s[40:43], 0 offset:1028 ; 4-byte Folded Reload
	buffer_load_dword v12, off, s[40:43], 0 offset:1032 ; 4-byte Folded Reload
	buffer_load_dword v13, off, s[40:43], 0 offset:1036 ; 4-byte Folded Reload
	buffer_load_dword v14, off, s[40:43], 0 offset:1040 ; 4-byte Folded Reload
	buffer_load_dword v15, off, s[40:43], 0 offset:1044 ; 4-byte Folded Reload
	buffer_load_dword v16, off, s[40:43], 0 offset:1048 ; 4-byte Folded Reload
	buffer_load_dword v17, off, s[40:43], 0 offset:1052 ; 4-byte Folded Reload
	buffer_load_dword v18, off, s[40:43], 0 offset:1056 ; 4-byte Folded Reload
	buffer_load_dword v19, off, s[40:43], 0 offset:1060 ; 4-byte Folded Reload
	buffer_load_dword v20, off, s[40:43], 0 offset:1064 ; 4-byte Folded Reload
	buffer_load_dword v21, off, s[40:43], 0 offset:1068 ; 4-byte Folded Reload
	buffer_load_dword v22, off, s[40:43], 0 offset:1072 ; 4-byte Folded Reload
	buffer_load_dword v23, off, s[40:43], 0 offset:1076 ; 4-byte Folded Reload
	buffer_load_dword v24, off, s[40:43], 0 offset:1080 ; 4-byte Folded Reload
	buffer_load_dword v25, off, s[40:43], 0 offset:1084 ; 4-byte Folded Reload
	buffer_load_dword v26, off, s[40:43], 0 offset:1088 ; 4-byte Folded Reload
	buffer_load_dword v27, off, s[40:43], 0 offset:1092 ; 4-byte Folded Reload
	buffer_load_dword v28, off, s[40:43], 0 offset:1096 ; 4-byte Folded Reload
	buffer_load_dword v29, off, s[40:43], 0 offset:1100 ; 4-byte Folded Reload
	buffer_load_dword v30, off, s[40:43], 0 offset:1104 ; 4-byte Folded Reload
	buffer_load_dword v31, off, s[40:43], 0 offset:1108 ; 4-byte Folded Reload
	buffer_load_dword v32, off, s[40:43], 0 offset:1112 ; 4-byte Folded Reload
	buffer_load_dword v33, off, s[40:43], 0 offset:1116 ; 4-byte Folded Reload
	buffer_load_dword v34, off, s[40:43], 0 offset:1120 ; 4-byte Folded Reload
	buffer_load_dword v35, off, s[40:43], 0 offset:1124 ; 4-byte Folded Reload
	buffer_load_dword v36, off, s[40:43], 0 offset:1128 ; 4-byte Folded Reload
	buffer_load_dword v37, off, s[40:43], 0 offset:1132 ; 4-byte Folded Reload
	buffer_load_dword v38, off, s[40:43], 0 offset:1136 ; 4-byte Folded Reload
	buffer_load_dword v39, off, s[40:43], 0 offset:1140 ; 4-byte Folded Reload
	buffer_load_dword v40, off, s[40:43], 0 offset:1144 ; 4-byte Folded Reload
	buffer_load_dword v41, off, s[40:43], 0 offset:1148 ; 4-byte Folded Reload
	s_waitcnt vmcnt(22)
	;;#ASMSTART
	v_pk_mul_f32 v[2:3], v[18:19], v[4:5]
	;;#ASMEND
	;;#ASMSTART
	v_med3_f32 v2, v2, v8, v9
v_med3_f32 v3, v3, v8, v9
v_cvt_pk_fp8_f32 v6, v2, v3
	;;#ASMEND
	buffer_load_dword v10, off, s[40:43], 0 offset:640 ; 4-byte Folded Reload
	buffer_load_dword v11, off, s[40:43], 0 offset:644 ; 4-byte Folded Reload
	buffer_load_dword v12, off, s[40:43], 0 offset:648 ; 4-byte Folded Reload
	buffer_load_dword v13, off, s[40:43], 0 offset:652 ; 4-byte Folded Reload
	buffer_load_dword v14, off, s[40:43], 0 offset:656 ; 4-byte Folded Reload
	buffer_load_dword v15, off, s[40:43], 0 offset:660 ; 4-byte Folded Reload
	buffer_load_dword v16, off, s[40:43], 0 offset:664 ; 4-byte Folded Reload
	buffer_load_dword v17, off, s[40:43], 0 offset:668 ; 4-byte Folded Reload
	buffer_load_dword v18, off, s[40:43], 0 offset:672 ; 4-byte Folded Reload
	buffer_load_dword v19, off, s[40:43], 0 offset:676 ; 4-byte Folded Reload
	buffer_load_dword v20, off, s[40:43], 0 offset:680 ; 4-byte Folded Reload
	buffer_load_dword v21, off, s[40:43], 0 offset:684 ; 4-byte Folded Reload
	buffer_load_dword v22, off, s[40:43], 0 offset:688 ; 4-byte Folded Reload
	buffer_load_dword v23, off, s[40:43], 0 offset:692 ; 4-byte Folded Reload
	buffer_load_dword v24, off, s[40:43], 0 offset:696 ; 4-byte Folded Reload
	buffer_load_dword v25, off, s[40:43], 0 offset:700 ; 4-byte Folded Reload
	buffer_load_dword v26, off, s[40:43], 0 offset:704 ; 4-byte Folded Reload
	buffer_load_dword v27, off, s[40:43], 0 offset:708 ; 4-byte Folded Reload
	buffer_load_dword v28, off, s[40:43], 0 offset:712 ; 4-byte Folded Reload
	buffer_load_dword v29, off, s[40:43], 0 offset:716 ; 4-byte Folded Reload
	buffer_load_dword v30, off, s[40:43], 0 offset:720 ; 4-byte Folded Reload
	buffer_load_dword v31, off, s[40:43], 0 offset:724 ; 4-byte Folded Reload
	buffer_load_dword v32, off, s[40:43], 0 offset:728 ; 4-byte Folded Reload
	buffer_load_dword v33, off, s[40:43], 0 offset:732 ; 4-byte Folded Reload
	buffer_load_dword v34, off, s[40:43], 0 offset:736 ; 4-byte Folded Reload
	buffer_load_dword v35, off, s[40:43], 0 offset:740 ; 4-byte Folded Reload
	buffer_load_dword v36, off, s[40:43], 0 offset:744 ; 4-byte Folded Reload
	buffer_load_dword v37, off, s[40:43], 0 offset:748 ; 4-byte Folded Reload
	buffer_load_dword v38, off, s[40:43], 0 offset:752 ; 4-byte Folded Reload
	buffer_load_dword v39, off, s[40:43], 0 offset:756 ; 4-byte Folded Reload
	buffer_load_dword v40, off, s[40:43], 0 offset:760 ; 4-byte Folded Reload
	buffer_load_dword v41, off, s[40:43], 0 offset:764 ; 4-byte Folded Reload
	s_waitcnt vmcnt(20)
	;;#ASMSTART
	v_pk_mul_f32 v[2:3], v[20:21], v[4:5]
	;;#ASMEND
	;;#ASMSTART
	v_med3_f32 v2, v2, v8, v9
v_med3_f32 v3, v3, v8, v9
v_cvt_pk_fp8_f32 v7, v2, v3
	;; [unrolled: 41-line block ×4, first 2 shown]
	;;#ASMEND
	v_perm_b32 v2, v7, v6, s7
	v_and_b32_e32 v3, 0xffffff00, v7
	v_and_b32_sdwa v6, v2, s12 dst_sel:DWORD dst_unused:UNUSED_PAD src0_sel:WORD_1 src1_sel:DWORD
	v_or_b32_sdwa v3, v6, v3 dst_sel:WORD_1 dst_unused:UNUSED_PAD src0_sel:DWORD src1_sel:DWORD
	v_and_or_b32 v2, v2, s14, v3
	v_lshlrev_b32_e32 v3, 16, v11
	v_and_or_b32 v3, v10, s14, v3
	buffer_store_dwordx2 v[2:3], v1, s[8:11], s0 offen
	;;#ASMSTART
	s_nop 0
	;;#ASMEND
	buffer_load_dword v10, off, s[40:43], 0 offset:512 ; 4-byte Folded Reload
	buffer_load_dword v11, off, s[40:43], 0 offset:516 ; 4-byte Folded Reload
	;; [unrolled: 1-line block ×32, first 2 shown]
	s_movk_i32 s0, 0x400
	s_waitcnt vmcnt(14)
	;;#ASMSTART
	v_pk_mul_f32 v[2:3], v[26:27], v[4:5]
	;;#ASMEND
	;;#ASMSTART
	v_med3_f32 v2, v2, v8, v9
v_med3_f32 v3, v3, v8, v9
v_cvt_pk_fp8_f32 v6, v2, v3
	;;#ASMEND
	buffer_load_dword v10, off, s[40:43], 0 offset:384 ; 4-byte Folded Reload
	buffer_load_dword v11, off, s[40:43], 0 offset:388 ; 4-byte Folded Reload
	;; [unrolled: 1-line block ×32, first 2 shown]
	s_waitcnt vmcnt(12)
	;;#ASMSTART
	v_pk_mul_f32 v[2:3], v[28:29], v[4:5]
	;;#ASMEND
	;;#ASMSTART
	v_med3_f32 v2, v2, v8, v9
v_med3_f32 v3, v3, v8, v9
v_cvt_pk_fp8_f32 v7, v2, v3
	;;#ASMEND
	buffer_load_dword v52, off, s[40:43], 0 ; 4-byte Folded Reload
	buffer_load_dword v53, off, s[40:43], 0 offset:4 ; 4-byte Folded Reload
	buffer_load_dword v54, off, s[40:43], 0 offset:8 ; 4-byte Folded Reload
	;; [unrolled: 1-line block ×31, first 2 shown]
	v_perm_b32 v3, v7, v6, s7
	v_and_b32_e32 v2, 0xffffff00, v7
	v_and_b32_sdwa v6, v3, s12 dst_sel:DWORD dst_unused:UNUSED_PAD src0_sel:WORD_1 src1_sel:DWORD
	v_or_b32_sdwa v2, v6, v2 dst_sel:WORD_1 dst_unused:UNUSED_PAD src0_sel:DWORD src1_sel:DWORD
	v_and_or_b32 v2, v3, s14, v2
	s_waitcnt vmcnt(10)
	;;#ASMSTART
	v_pk_mul_f32 v[6:7], v[72:73], v[4:5]
	;;#ASMEND
	v_mov_b32_e32 v3, v7
	;;#ASMSTART
	v_med3_f32 v6, v6, v8, v9
v_med3_f32 v3, v3, v8, v9
v_cvt_pk_fp8_f32 v7, v6, v3
	;;#ASMEND
	;;#ASMSTART
	v_pk_mul_f32 v[4:5], v[120:121], v[4:5]
	;;#ASMEND
	v_mov_b32_e32 v3, v5
	;;#ASMSTART
	v_med3_f32 v4, v4, v8, v9
v_med3_f32 v3, v3, v8, v9
v_cvt_pk_fp8_f32 v5, v4, v3
	;;#ASMEND
	v_lshlrev_b32_e32 v3, 16, v5
	v_and_or_b32 v3, v7, s14, v3
	buffer_store_dwordx2 v[2:3], v1, s[8:11], s0 offen
	;;#ASMSTART
	s_nop 0
	;;#ASMEND
.LBB71_30:
	s_or_b64 exec, exec, s[22:23]
	s_cmp_lt_i32 s16, 1
	s_cbranch_scc1 .LBB71_17
.LBB71_31:
	s_load_dword s0, s[4:5], 0x94
	s_waitcnt lgkmcnt(0)
	s_cmp_lg_u32 s0, 1
	s_cbranch_scc1 .LBB71_17
; %bb.32:
	s_lshl_b32 s0, s16, 1
	s_add_i32 s0, s0, 2
	v_cmp_gt_u32_e32 vcc, s16, v1
	s_and_b32 s22, s0, -4
	v_mov_b32_e32 v26, 0
	v_lshlrev_b32_e32 v1, 1, v1
	v_mov_b32_e32 v22, 0
	v_mov_b32_e32 v23, 0
	;; [unrolled: 1-line block ×24, first 2 shown]
	s_waitcnt vmcnt(63) expcnt(7) lgkmcnt(15)
	s_barrier
	s_and_saveexec_b64 s[0:1], vcc
	s_cbranch_execz .LBB71_34
; %bb.33:
	s_mul_hi_i32 s5, s18, s6
	s_mul_i32 s4, s18, s6
	s_and_b32 s21, s21, 0xffff
	s_lshl_b64 s[4:5], s[4:5], 1
	s_add_u32 s8, s34, s4
	s_mov_b32 s23, 0x20000
	s_addc_u32 s4, s35, s5
	s_and_b32 s9, s4, 0xffff
	s_mov_b32 s10, s22
	s_mov_b32 s11, s23
	s_movk_i32 s5, 0x800
	s_movk_i32 s4, 0x400
	buffer_load_dwordx4 v[22:25], v1, s[8:11], 0 offen glc slc
	buffer_load_dwordx4 v[14:17], v1, s[8:11], s4 offen glc slc
	;; [unrolled: 1-line block ×3, first 2 shown]
	buffer_load_dwordx4 v[10:13], v1, s[20:23], 0 offen
	buffer_load_dwordx4 v[6:9], v1, s[20:23], s4 offen
	;; [unrolled: 1-line block ×3, first 2 shown]
.LBB71_34:
	s_or_b64 exec, exec, s[0:1]
	v_mov_b32_e32 v27, 0
	v_mov_b32_e32 v48, 0
	;; [unrolled: 1-line block ×9, first 2 shown]
	s_waitcnt vmcnt(2)
	v_mov_b32_e32 v40, 0
	s_waitcnt vmcnt(1)
	v_mov_b32_e32 v41, 0
	v_mov_b32_e32 v38, 0
	;; [unrolled: 1-line block ×4, first 2 shown]
	s_waitcnt vmcnt(0)
	v_mov_b32_e32 v37, 0
	v_mov_b32_e32 v34, 0
	;; [unrolled: 1-line block ×9, first 2 shown]
	s_and_saveexec_b64 s[0:1], vcc
	s_cbranch_execz .LBB71_36
; %bb.35:
	v_cvt_f32_f16_sdwa v27, v22 dst_sel:DWORD dst_unused:UNUSED_PAD src0_sel:WORD_1
	v_cvt_f32_f16_e32 v26, v22
	v_cvt_f32_f16_sdwa v49, v23 dst_sel:DWORD dst_unused:UNUSED_PAD src0_sel:WORD_1
	v_cvt_f32_f16_e32 v48, v23
	v_cvt_f32_f16_sdwa v47, v24 dst_sel:DWORD dst_unused:UNUSED_PAD src0_sel:WORD_1
	v_cvt_f32_f16_e32 v46, v24
	v_cvt_f32_f16_sdwa v45, v25 dst_sel:DWORD dst_unused:UNUSED_PAD src0_sel:WORD_1
	v_cvt_f32_f16_e32 v44, v25
	v_cvt_f32_f16_sdwa v43, v14 dst_sel:DWORD dst_unused:UNUSED_PAD src0_sel:WORD_1
	v_cvt_f32_f16_e32 v42, v14
	v_cvt_f32_f16_sdwa v41, v15 dst_sel:DWORD dst_unused:UNUSED_PAD src0_sel:WORD_1
	v_cvt_f32_f16_e32 v40, v15
	v_cvt_f32_f16_sdwa v39, v16 dst_sel:DWORD dst_unused:UNUSED_PAD src0_sel:WORD_1
	v_cvt_f32_f16_e32 v38, v16
	v_cvt_f32_f16_sdwa v37, v17 dst_sel:DWORD dst_unused:UNUSED_PAD src0_sel:WORD_1
	v_cvt_f32_f16_e32 v36, v17
	v_cvt_f32_f16_sdwa v35, v18 dst_sel:DWORD dst_unused:UNUSED_PAD src0_sel:WORD_1
	v_cvt_f32_f16_e32 v34, v18
	v_cvt_f32_f16_sdwa v33, v19 dst_sel:DWORD dst_unused:UNUSED_PAD src0_sel:WORD_1
	v_cvt_f32_f16_e32 v32, v19
	v_cvt_f32_f16_sdwa v31, v20 dst_sel:DWORD dst_unused:UNUSED_PAD src0_sel:WORD_1
	v_cvt_f32_f16_e32 v30, v20
	v_cvt_f32_f16_sdwa v29, v21 dst_sel:DWORD dst_unused:UNUSED_PAD src0_sel:WORD_1
	v_cvt_f32_f16_e32 v28, v21
.LBB71_36:
	s_or_b64 exec, exec, s[0:1]
	v_mul_f32_e32 v14, v27, v27
	v_fmac_f32_e32 v14, v26, v26
	v_fmac_f32_e32 v14, v48, v48
	;; [unrolled: 1-line block ×23, first 2 shown]
	s_nop 1
	v_mov_b32_dpp v15, v14 quad_perm:[1,0,3,2] row_mask:0xf bank_mask:0xf
	v_add_f32_e32 v14, v14, v15
	s_nop 1
	v_mov_b32_dpp v15, v14 quad_perm:[2,3,0,1] row_mask:0xf bank_mask:0xf
	v_add_f32_e32 v14, v14, v15
	s_nop 1
	v_mov_b32_dpp v15, v14 row_half_mirror row_mask:0xf bank_mask:0xf
	v_add_f32_e32 v14, v14, v15
	s_nop 1
	v_mov_b32_dpp v15, v14 row_mirror row_mask:0xf bank_mask:0xf
	v_add_f32_e32 v14, v14, v15
	s_nop 1
	v_mov_b32_dpp v15, v14 row_bcast:15 row_mask:0xf bank_mask:0xf
	v_add_f32_e32 v14, v14, v15
	s_nop 1
	v_mov_b32_dpp v15, v14 row_bcast:31 row_mask:0xf bank_mask:0xf
	s_and_saveexec_b64 s[0:1], s[2:3]
	s_cbranch_execz .LBB71_38
; %bb.37:
	v_lshrrev_b32_e32 v0, 4, v0
	v_add_f32_e32 v14, v14, v15
	v_and_b32_e32 v0, 60, v0
	ds_write_b32 v0, v14 offset:16
.LBB71_38:
	s_or_b64 exec, exec, s[0:1]
	s_waitcnt lgkmcnt(0)
	s_barrier
	ds_read_b32 v0, v50 offset:16
	s_waitcnt lgkmcnt(0)
	s_nop 0
	v_mov_b32_dpp v14, v0 quad_perm:[1,0,3,2] row_mask:0xf bank_mask:0xf
	v_add_f32_e32 v0, v0, v14
	s_nop 1
	v_mov_b32_dpp v14, v0 quad_perm:[2,3,0,1] row_mask:0xf bank_mask:0xf
	s_and_saveexec_b64 s[0:1], vcc
	s_cbranch_execz .LBB71_17
; %bb.39:
	v_cvt_f32_u32_e32 v15, s16
	v_add_f32_e32 v0, v0, v14
	s_mov_b32 s23, 0x20000
	v_div_scale_f32 v14, s[0:1], v15, v15, v0
	v_rcp_f32_e32 v16, v14
	v_div_scale_f32 v17, vcc, v0, v15, v0
	s_mov_b32 s0, 0x800000
	v_fma_f32 v18, -v14, v16, 1.0
	v_fmac_f32_e32 v16, v18, v16
	v_mul_f32_e32 v18, v17, v16
	v_fma_f32 v19, -v14, v18, v17
	v_fmac_f32_e32 v18, v19, v16
	v_fma_f32 v14, -v14, v18, v17
	v_div_fmas_f32 v14, v14, v16, v18
	v_div_fixup_f32 v0, v14, v15, v0
	v_add_f32_e32 v0, s13, v0
	v_mul_f32_e32 v14, 0x4b800000, v0
	v_cmp_gt_f32_e32 vcc, s0, v0
	v_cndmask_b32_e32 v0, v0, v14, vcc
	v_rsq_f32_e32 v0, v0
	s_mul_hi_i32 s1, s28, s6
	s_mul_i32 s0, s28, s6
	s_lshl_b64 s[0:1], s[0:1], 1
	v_mul_f32_e32 v14, 0x45800000, v0
	v_cndmask_b32_e32 v14, v0, v14, vcc
	v_mov_b32_e32 v15, v14
	;;#ASMSTART
	v_pk_mul_f32 v[16:17], v[26:27], v[14:15]
	;;#ASMEND
	;;#ASMSTART
	v_pk_mul_f32 v[18:19], v[48:49], v[14:15]
	;;#ASMEND
	;; [unrolled: 3-line block ×12, first 2 shown]
	v_cvt_f32_f16_sdwa v29, v10 dst_sel:DWORD dst_unused:UNUSED_PAD src0_sel:WORD_1
	v_cvt_f32_f16_e32 v28, v10
	v_cvt_f32_f16_sdwa v41, v11 dst_sel:DWORD dst_unused:UNUSED_PAD src0_sel:WORD_1
	v_cvt_f32_f16_e32 v40, v11
	;; [unrolled: 2-line block ×4, first 2 shown]
	;;#ASMSTART
	v_pk_mul_f32 v[12:13], v[16:17], v[28:29]
	;;#ASMEND
	;;#ASMSTART
	v_pk_mul_f32 v[16:17], v[18:19], v[40:41]
	;;#ASMEND
	;; [unrolled: 3-line block ×3, first 2 shown]
	v_cvt_f32_f16_sdwa v21, v6 dst_sel:DWORD dst_unused:UNUSED_PAD src0_sel:WORD_1
	v_cvt_f32_f16_e32 v20, v6
	;;#ASMSTART
	v_pk_mul_f32 v[18:19], v[22:23], v[42:43]
	;;#ASMEND
	v_cvt_f32_f16_sdwa v23, v7 dst_sel:DWORD dst_unused:UNUSED_PAD src0_sel:WORD_1
	v_cvt_f32_f16_e32 v22, v7
	v_cvt_f32_f16_sdwa v7, v8 dst_sel:DWORD dst_unused:UNUSED_PAD src0_sel:WORD_1
	v_cvt_f32_f16_e32 v6, v8
	;; [unrolled: 2-line block ×3, first 2 shown]
	;;#ASMSTART
	v_pk_mul_f32 v[8:9], v[24:25], v[20:21]
	;;#ASMEND
	;;#ASMSTART
	v_pk_mul_f32 v[20:21], v[26:27], v[22:23]
	;;#ASMEND
	v_cvt_f32_f16_sdwa v25, v2 dst_sel:DWORD dst_unused:UNUSED_PAD src0_sel:WORD_1
	v_cvt_f32_f16_e32 v24, v2
	v_cvt_f32_f16_sdwa v27, v3 dst_sel:DWORD dst_unused:UNUSED_PAD src0_sel:WORD_1
	v_cvt_f32_f16_e32 v26, v3
	;; [unrolled: 2-line block ×3, first 2 shown]
	;;#ASMSTART
	v_pk_mul_f32 v[6:7], v[38:39], v[6:7]
	;;#ASMEND
	;;#ASMSTART
	v_pk_mul_f32 v[22:23], v[36:37], v[28:29]
	;;#ASMEND
	v_cvt_f32_f16_sdwa v29, v5 dst_sel:DWORD dst_unused:UNUSED_PAD src0_sel:WORD_1
	v_cvt_f32_f16_e32 v28, v5
	;;#ASMSTART
	v_pk_mul_f32 v[24:25], v[34:35], v[24:25]
	;;#ASMEND
	;;#ASMSTART
	v_pk_mul_f32 v[26:27], v[32:33], v[26:27]
	;;#ASMEND
	;; [unrolled: 3-line block ×3, first 2 shown]
	v_cvt_f16_f32_e32 v0, v12
	v_cvt_f16_f32_e32 v2, v13
	;; [unrolled: 1-line block ×8, first 2 shown]
	s_add_u32 s20, s30, s0
	s_addc_u32 s0, s31, s1
	s_and_b32 s21, s0, 0xffff
	v_pack_b32_f16 v2, v0, v2
	v_pack_b32_f16 v3, v3, v4
	;; [unrolled: 1-line block ×4, first 2 shown]
	;;#ASMSTART
	v_pk_mul_f32 v[14:15], v[14:15], v[28:29]
	;;#ASMEND
	buffer_store_dwordx4 v[2:5], v1, s[20:23], 0 offen
	v_cvt_f16_f32_e32 v0, v8
	v_cvt_f16_f32_e32 v2, v9
	;; [unrolled: 1-line block ×8, first 2 shown]
	v_pack_b32_f16 v2, v0, v2
	v_pack_b32_f16 v3, v3, v4
	;; [unrolled: 1-line block ×4, first 2 shown]
	s_movk_i32 s0, 0x400
	;;#ASMSTART
	s_nop 0
	;;#ASMEND
	buffer_store_dwordx4 v[2:5], v1, s[20:23], s0 offen
	v_cvt_f16_f32_e32 v0, v24
	v_cvt_f16_f32_e32 v2, v25
	;; [unrolled: 1-line block ×8, first 2 shown]
	v_pack_b32_f16 v2, v0, v2
	v_pack_b32_f16 v3, v3, v4
	;; [unrolled: 1-line block ×4, first 2 shown]
	s_movk_i32 s0, 0x800
	;;#ASMSTART
	s_nop 0
	;;#ASMEND
	buffer_store_dwordx4 v[2:5], v1, s[20:23], s0 offen
	;;#ASMSTART
	s_nop 0
	;;#ASMEND
	s_endpgm
	.section	.rodata,"a",@progbits
	.p2align	6, 0x0
	.amdhsa_kernel _ZN5aiter35fused_qk_rmsnorm_group_quant_kernelIDF16_DB8_Li256ELi24ELi1ELb1ELb0ELb0ELb0ELb1ELb1EEEvPT0_PvPT_S6_S6_PKS5_S8_S8_S8_S8_ffiiiiiiiiiiiii
		.amdhsa_group_segment_fixed_size 48
		.amdhsa_private_segment_fixed_size 1156
		.amdhsa_kernarg_size 400
		.amdhsa_user_sgpr_count 6
		.amdhsa_user_sgpr_private_segment_buffer 1
		.amdhsa_user_sgpr_dispatch_ptr 0
		.amdhsa_user_sgpr_queue_ptr 0
		.amdhsa_user_sgpr_kernarg_segment_ptr 1
		.amdhsa_user_sgpr_dispatch_id 0
		.amdhsa_user_sgpr_flat_scratch_init 0
		.amdhsa_user_sgpr_kernarg_preload_length 0
		.amdhsa_user_sgpr_kernarg_preload_offset 0
		.amdhsa_user_sgpr_private_segment_size 0
		.amdhsa_uses_dynamic_stack 0
		.amdhsa_system_sgpr_private_segment_wavefront_offset 1
		.amdhsa_system_sgpr_workgroup_id_x 1
		.amdhsa_system_sgpr_workgroup_id_y 1
		.amdhsa_system_sgpr_workgroup_id_z 0
		.amdhsa_system_sgpr_workgroup_info 0
		.amdhsa_system_vgpr_workitem_id 0
		.amdhsa_next_free_vgpr 126
		.amdhsa_next_free_sgpr 44
		.amdhsa_accum_offset 128
		.amdhsa_reserve_vcc 1
		.amdhsa_reserve_flat_scratch 0
		.amdhsa_float_round_mode_32 0
		.amdhsa_float_round_mode_16_64 0
		.amdhsa_float_denorm_mode_32 3
		.amdhsa_float_denorm_mode_16_64 3
		.amdhsa_dx10_clamp 1
		.amdhsa_ieee_mode 1
		.amdhsa_fp16_overflow 0
		.amdhsa_tg_split 0
		.amdhsa_exception_fp_ieee_invalid_op 0
		.amdhsa_exception_fp_denorm_src 0
		.amdhsa_exception_fp_ieee_div_zero 0
		.amdhsa_exception_fp_ieee_overflow 0
		.amdhsa_exception_fp_ieee_underflow 0
		.amdhsa_exception_fp_ieee_inexact 0
		.amdhsa_exception_int_div_zero 0
	.end_amdhsa_kernel
	.section	.text._ZN5aiter35fused_qk_rmsnorm_group_quant_kernelIDF16_DB8_Li256ELi24ELi1ELb1ELb0ELb0ELb0ELb1ELb1EEEvPT0_PvPT_S6_S6_PKS5_S8_S8_S8_S8_ffiiiiiiiiiiiii,"axG",@progbits,_ZN5aiter35fused_qk_rmsnorm_group_quant_kernelIDF16_DB8_Li256ELi24ELi1ELb1ELb0ELb0ELb0ELb1ELb1EEEvPT0_PvPT_S6_S6_PKS5_S8_S8_S8_S8_ffiiiiiiiiiiiii,comdat
.Lfunc_end71:
	.size	_ZN5aiter35fused_qk_rmsnorm_group_quant_kernelIDF16_DB8_Li256ELi24ELi1ELb1ELb0ELb0ELb0ELb1ELb1EEEvPT0_PvPT_S6_S6_PKS5_S8_S8_S8_S8_ffiiiiiiiiiiiii, .Lfunc_end71-_ZN5aiter35fused_qk_rmsnorm_group_quant_kernelIDF16_DB8_Li256ELi24ELi1ELb1ELb0ELb0ELb0ELb1ELb1EEEvPT0_PvPT_S6_S6_PKS5_S8_S8_S8_S8_ffiiiiiiiiiiiii
                                        ; -- End function
	.section	.AMDGPU.csdata,"",@progbits
; Kernel info:
; codeLenInByte = 29304
; NumSgprs: 48
; NumVgprs: 126
; NumAgprs: 0
; TotalNumVgprs: 126
; ScratchSize: 1156
; MemoryBound: 0
; FloatMode: 240
; IeeeMode: 1
; LDSByteSize: 48 bytes/workgroup (compile time only)
; SGPRBlocks: 5
; VGPRBlocks: 15
; NumSGPRsForWavesPerEU: 48
; NumVGPRsForWavesPerEU: 126
; AccumOffset: 128
; Occupancy: 4
; WaveLimiterHint : 0
; COMPUTE_PGM_RSRC2:SCRATCH_EN: 1
; COMPUTE_PGM_RSRC2:USER_SGPR: 6
; COMPUTE_PGM_RSRC2:TRAP_HANDLER: 0
; COMPUTE_PGM_RSRC2:TGID_X_EN: 1
; COMPUTE_PGM_RSRC2:TGID_Y_EN: 1
; COMPUTE_PGM_RSRC2:TGID_Z_EN: 0
; COMPUTE_PGM_RSRC2:TIDIG_COMP_CNT: 0
; COMPUTE_PGM_RSRC3_GFX90A:ACCUM_OFFSET: 31
; COMPUTE_PGM_RSRC3_GFX90A:TG_SPLIT: 0
	.section	.text._ZN5aiter35fused_qk_rmsnorm_group_quant_kernelItDB8_Li256ELi24ELi1ELb1ELb0ELb0ELb0ELb1ELb1EEEvPT0_PvPT_S6_S6_PKS5_S8_S8_S8_S8_ffiiiiiiiiiiiii,"axG",@progbits,_ZN5aiter35fused_qk_rmsnorm_group_quant_kernelItDB8_Li256ELi24ELi1ELb1ELb0ELb0ELb0ELb1ELb1EEEvPT0_PvPT_S6_S6_PKS5_S8_S8_S8_S8_ffiiiiiiiiiiiii,comdat
	.protected	_ZN5aiter35fused_qk_rmsnorm_group_quant_kernelItDB8_Li256ELi24ELi1ELb1ELb0ELb0ELb0ELb1ELb1EEEvPT0_PvPT_S6_S6_PKS5_S8_S8_S8_S8_ffiiiiiiiiiiiii ; -- Begin function _ZN5aiter35fused_qk_rmsnorm_group_quant_kernelItDB8_Li256ELi24ELi1ELb1ELb0ELb0ELb0ELb1ELb1EEEvPT0_PvPT_S6_S6_PKS5_S8_S8_S8_S8_ffiiiiiiiiiiiii
	.globl	_ZN5aiter35fused_qk_rmsnorm_group_quant_kernelItDB8_Li256ELi24ELi1ELb1ELb0ELb0ELb0ELb1ELb1EEEvPT0_PvPT_S6_S6_PKS5_S8_S8_S8_S8_ffiiiiiiiiiiiii
	.p2align	8
	.type	_ZN5aiter35fused_qk_rmsnorm_group_quant_kernelItDB8_Li256ELi24ELi1ELb1ELb0ELb0ELb0ELb1ELb1EEEvPT0_PvPT_S6_S6_PKS5_S8_S8_S8_S8_ffiiiiiiiiiiiii,@function
_ZN5aiter35fused_qk_rmsnorm_group_quant_kernelItDB8_Li256ELi24ELi1ELb1ELb0ELb0ELb0ELb1ELb1EEEvPT0_PvPT_S6_S6_PKS5_S8_S8_S8_S8_ffiiiiiiiiiiiii: ; @_ZN5aiter35fused_qk_rmsnorm_group_quant_kernelItDB8_Li256ELi24ELi1ELb1ELb0ELb0ELb0ELb1ELb1EEEvPT0_PvPT_S6_S6_PKS5_S8_S8_S8_S8_ffiiiiiiiiiiiii
; %bb.0:
	s_load_dwordx8 s[12:19], s[4:5], 0x50
	s_mov_b64 s[42:43], s[2:3]
	s_mov_b64 s[40:41], s[0:1]
	s_add_u32 s40, s40, s8
	s_addc_u32 s41, s41, 0
	s_waitcnt lgkmcnt(0)
	s_cmp_ge_i32 s6, s14
	s_cbranch_scc1 .LBB72_17
; %bb.1:
	s_cmp_lg_u32 s7, 0
	s_cselect_b64 s[22:23], -1, 0
	s_cmp_eq_u32 s7, 0
	s_cselect_b64 s[8:9], -1, 0
	s_and_b64 s[0:1], s[8:9], exec
	s_cselect_b32 s7, s15, s16
	s_add_i32 s0, s7, 1
	s_load_dwordx2 s[10:11], s[4:5], 0x70
	s_load_dwordx2 s[20:21], s[4:5], 0x48
	;; [unrolled: 1-line block ×3, first 2 shown]
	s_lshr_b32 s1, s0, 31
	s_add_i32 s0, s0, s1
	s_lshl_b32 s0, s0, 1
	v_and_b32_e32 v1, 0x3c0, v0
	s_and_b32 s26, s0, -4
	v_lshlrev_b32_e32 v2, 3, v0
	v_mul_u32_u24_e32 v1, 24, v1
	s_movk_i32 s0, 0x1f8
	v_and_or_b32 v68, v2, s0, v1
	v_cmp_gt_i32_e64 s[0:1], s7, v68
	v_mov_b32_e32 v120, 0
	v_mov_b32_e32 v121, 0
	;; [unrolled: 1-line block ×24, first 2 shown]
	s_and_saveexec_b64 s[2:3], s[0:1]
	s_cbranch_execz .LBB72_3
; %bb.2:
	s_load_dwordx2 s[24:25], s[4:5], 0x28
	s_load_dwordx2 s[30:31], s[4:5], 0x40
	s_and_b64 s[28:29], s[8:9], exec
	s_cselect_b32 s14, s17, s18
	v_lshlrev_b32_e32 v1, 1, v68
	s_waitcnt lgkmcnt(0)
	s_cselect_b32 s17, s25, s35
	s_cselect_b32 s27, s24, s34
	s_mul_hi_i32 s25, s14, s6
	s_mul_i32 s24, s14, s6
	s_lshl_b64 s[24:25], s[24:25], 1
	s_add_u32 s28, s27, s24
	s_addc_u32 s14, s17, s25
	s_and_b64 s[24:25], s[8:9], exec
	s_cselect_b32 s17, s31, s21
	s_mov_b32 s27, 0x20000
	s_cselect_b32 s24, s30, s20
	s_and_b32 s25, s17, 0xffff
	s_and_b32 s29, s14, 0xffff
	s_mov_b32 s30, s26
	s_mov_b32 s31, s27
	s_movk_i32 s17, 0x800
	s_movk_i32 s14, 0x400
	buffer_load_dwordx4 v[124:127], v1, s[28:31], 0 offen glc slc
	buffer_load_dwordx4 v[108:111], v1, s[28:31], s14 offen glc slc
	;; [unrolled: 1-line block ×3, first 2 shown]
	buffer_load_dwordx4 v[120:123], v1, s[24:27], 0 offen
	buffer_load_dwordx4 v[116:119], v1, s[24:27], s14 offen
	;; [unrolled: 1-line block ×3, first 2 shown]
.LBB72_3:
	s_or_b64 exec, exec, s[2:3]
	s_load_dwordx2 s[28:29], s[4:5], 0x80
	s_and_b64 vcc, exec, s[22:23]
	s_cbranch_vccz .LBB72_7
; %bb.4:
	v_mov_b32_e32 v27, 0
	v_mov_b32_e32 v26, 0
	;; [unrolled: 1-line block ×4, first 2 shown]
	buffer_store_dword v0, off, s[40:43], 0 offset:768 ; 4-byte Folded Spill
	s_nop 0
	buffer_store_dword v1, off, s[40:43], 0 offset:772 ; 4-byte Folded Spill
	buffer_store_dword v2, off, s[40:43], 0 offset:776 ; 4-byte Folded Spill
	;; [unrolled: 1-line block ×31, first 2 shown]
	v_mov_b32_e32 v19, 0
	v_mov_b32_e32 v18, 0
	;; [unrolled: 1-line block ×8, first 2 shown]
	buffer_store_dword v0, off, s[40:43], 0 ; 4-byte Folded Spill
	s_nop 0
	buffer_store_dword v1, off, s[40:43], 0 offset:4 ; 4-byte Folded Spill
	buffer_store_dword v2, off, s[40:43], 0 offset:8 ; 4-byte Folded Spill
	buffer_store_dword v3, off, s[40:43], 0 offset:12 ; 4-byte Folded Spill
	buffer_store_dword v4, off, s[40:43], 0 offset:16 ; 4-byte Folded Spill
	buffer_store_dword v5, off, s[40:43], 0 offset:20 ; 4-byte Folded Spill
	buffer_store_dword v6, off, s[40:43], 0 offset:24 ; 4-byte Folded Spill
	buffer_store_dword v7, off, s[40:43], 0 offset:28 ; 4-byte Folded Spill
	buffer_store_dword v8, off, s[40:43], 0 offset:32 ; 4-byte Folded Spill
	buffer_store_dword v9, off, s[40:43], 0 offset:36 ; 4-byte Folded Spill
	buffer_store_dword v10, off, s[40:43], 0 offset:40 ; 4-byte Folded Spill
	buffer_store_dword v11, off, s[40:43], 0 offset:44 ; 4-byte Folded Spill
	buffer_store_dword v12, off, s[40:43], 0 offset:48 ; 4-byte Folded Spill
	buffer_store_dword v13, off, s[40:43], 0 offset:52 ; 4-byte Folded Spill
	buffer_store_dword v14, off, s[40:43], 0 offset:56 ; 4-byte Folded Spill
	buffer_store_dword v15, off, s[40:43], 0 offset:60 ; 4-byte Folded Spill
	buffer_store_dword v16, off, s[40:43], 0 offset:64 ; 4-byte Folded Spill
	buffer_store_dword v17, off, s[40:43], 0 offset:68 ; 4-byte Folded Spill
	buffer_store_dword v18, off, s[40:43], 0 offset:72 ; 4-byte Folded Spill
	buffer_store_dword v19, off, s[40:43], 0 offset:76 ; 4-byte Folded Spill
	buffer_store_dword v20, off, s[40:43], 0 offset:80 ; 4-byte Folded Spill
	buffer_store_dword v21, off, s[40:43], 0 offset:84 ; 4-byte Folded Spill
	buffer_store_dword v22, off, s[40:43], 0 offset:88 ; 4-byte Folded Spill
	buffer_store_dword v23, off, s[40:43], 0 offset:92 ; 4-byte Folded Spill
	buffer_store_dword v24, off, s[40:43], 0 offset:96 ; 4-byte Folded Spill
	buffer_store_dword v25, off, s[40:43], 0 offset:100 ; 4-byte Folded Spill
	buffer_store_dword v26, off, s[40:43], 0 offset:104 ; 4-byte Folded Spill
	buffer_store_dword v27, off, s[40:43], 0 offset:108 ; 4-byte Folded Spill
	buffer_store_dword v28, off, s[40:43], 0 offset:112 ; 4-byte Folded Spill
	buffer_store_dword v29, off, s[40:43], 0 offset:116 ; 4-byte Folded Spill
	buffer_store_dword v30, off, s[40:43], 0 offset:120 ; 4-byte Folded Spill
	buffer_store_dword v31, off, s[40:43], 0 offset:124 ; 4-byte Folded Spill
	v_mov_b32_e32 v17, 0
	v_mov_b32_e32 v16, 0
	buffer_store_dword v0, off, s[40:43], 0 offset:256 ; 4-byte Folded Spill
	s_nop 0
	buffer_store_dword v1, off, s[40:43], 0 offset:260 ; 4-byte Folded Spill
	buffer_store_dword v2, off, s[40:43], 0 offset:264 ; 4-byte Folded Spill
	buffer_store_dword v3, off, s[40:43], 0 offset:268 ; 4-byte Folded Spill
	buffer_store_dword v4, off, s[40:43], 0 offset:272 ; 4-byte Folded Spill
	buffer_store_dword v5, off, s[40:43], 0 offset:276 ; 4-byte Folded Spill
	buffer_store_dword v6, off, s[40:43], 0 offset:280 ; 4-byte Folded Spill
	buffer_store_dword v7, off, s[40:43], 0 offset:284 ; 4-byte Folded Spill
	buffer_store_dword v8, off, s[40:43], 0 offset:288 ; 4-byte Folded Spill
	buffer_store_dword v9, off, s[40:43], 0 offset:292 ; 4-byte Folded Spill
	buffer_store_dword v10, off, s[40:43], 0 offset:296 ; 4-byte Folded Spill
	buffer_store_dword v11, off, s[40:43], 0 offset:300 ; 4-byte Folded Spill
	buffer_store_dword v12, off, s[40:43], 0 offset:304 ; 4-byte Folded Spill
	buffer_store_dword v13, off, s[40:43], 0 offset:308 ; 4-byte Folded Spill
	buffer_store_dword v14, off, s[40:43], 0 offset:312 ; 4-byte Folded Spill
	buffer_store_dword v15, off, s[40:43], 0 offset:316 ; 4-byte Folded Spill
	buffer_store_dword v16, off, s[40:43], 0 offset:320 ; 4-byte Folded Spill
	buffer_store_dword v17, off, s[40:43], 0 offset:324 ; 4-byte Folded Spill
	buffer_store_dword v18, off, s[40:43], 0 offset:328 ; 4-byte Folded Spill
	buffer_store_dword v19, off, s[40:43], 0 offset:332 ; 4-byte Folded Spill
	buffer_store_dword v20, off, s[40:43], 0 offset:336 ; 4-byte Folded Spill
	buffer_store_dword v21, off, s[40:43], 0 offset:340 ; 4-byte Folded Spill
	buffer_store_dword v22, off, s[40:43], 0 offset:344 ; 4-byte Folded Spill
	buffer_store_dword v23, off, s[40:43], 0 offset:348 ; 4-byte Folded Spill
	buffer_store_dword v24, off, s[40:43], 0 offset:352 ; 4-byte Folded Spill
	buffer_store_dword v25, off, s[40:43], 0 offset:356 ; 4-byte Folded Spill
	buffer_store_dword v26, off, s[40:43], 0 offset:360 ; 4-byte Folded Spill
	buffer_store_dword v27, off, s[40:43], 0 offset:364 ; 4-byte Folded Spill
	buffer_store_dword v28, off, s[40:43], 0 offset:368 ; 4-byte Folded Spill
	buffer_store_dword v29, off, s[40:43], 0 offset:372 ; 4-byte Folded Spill
	buffer_store_dword v30, off, s[40:43], 0 offset:376 ; 4-byte Folded Spill
	buffer_store_dword v31, off, s[40:43], 0 offset:380 ; 4-byte Folded Spill
	v_mov_b32_e32 v15, 0
	v_mov_b32_e32 v14, 0
	buffer_store_dword v0, off, s[40:43], 0 offset:128 ; 4-byte Folded Spill
	;; [unrolled: 35-line block ×5, first 2 shown]
	s_nop 0
	buffer_store_dword v1, off, s[40:43], 0 offset:644 ; 4-byte Folded Spill
	buffer_store_dword v2, off, s[40:43], 0 offset:648 ; 4-byte Folded Spill
	buffer_store_dword v3, off, s[40:43], 0 offset:652 ; 4-byte Folded Spill
	buffer_store_dword v4, off, s[40:43], 0 offset:656 ; 4-byte Folded Spill
	buffer_store_dword v5, off, s[40:43], 0 offset:660 ; 4-byte Folded Spill
	buffer_store_dword v6, off, s[40:43], 0 offset:664 ; 4-byte Folded Spill
	buffer_store_dword v7, off, s[40:43], 0 offset:668 ; 4-byte Folded Spill
	buffer_store_dword v8, off, s[40:43], 0 offset:672 ; 4-byte Folded Spill
	buffer_store_dword v9, off, s[40:43], 0 offset:676 ; 4-byte Folded Spill
	buffer_store_dword v10, off, s[40:43], 0 offset:680 ; 4-byte Folded Spill
	buffer_store_dword v11, off, s[40:43], 0 offset:684 ; 4-byte Folded Spill
	buffer_store_dword v12, off, s[40:43], 0 offset:688 ; 4-byte Folded Spill
	buffer_store_dword v13, off, s[40:43], 0 offset:692 ; 4-byte Folded Spill
	buffer_store_dword v14, off, s[40:43], 0 offset:696 ; 4-byte Folded Spill
	buffer_store_dword v15, off, s[40:43], 0 offset:700 ; 4-byte Folded Spill
	buffer_store_dword v16, off, s[40:43], 0 offset:704 ; 4-byte Folded Spill
	buffer_store_dword v17, off, s[40:43], 0 offset:708 ; 4-byte Folded Spill
	buffer_store_dword v18, off, s[40:43], 0 offset:712 ; 4-byte Folded Spill
	buffer_store_dword v19, off, s[40:43], 0 offset:716 ; 4-byte Folded Spill
	buffer_store_dword v20, off, s[40:43], 0 offset:720 ; 4-byte Folded Spill
	buffer_store_dword v21, off, s[40:43], 0 offset:724 ; 4-byte Folded Spill
	buffer_store_dword v22, off, s[40:43], 0 offset:728 ; 4-byte Folded Spill
	buffer_store_dword v23, off, s[40:43], 0 offset:732 ; 4-byte Folded Spill
	buffer_store_dword v24, off, s[40:43], 0 offset:736 ; 4-byte Folded Spill
	buffer_store_dword v25, off, s[40:43], 0 offset:740 ; 4-byte Folded Spill
	buffer_store_dword v26, off, s[40:43], 0 offset:744 ; 4-byte Folded Spill
	buffer_store_dword v27, off, s[40:43], 0 offset:748 ; 4-byte Folded Spill
	buffer_store_dword v28, off, s[40:43], 0 offset:752 ; 4-byte Folded Spill
	buffer_store_dword v29, off, s[40:43], 0 offset:756 ; 4-byte Folded Spill
	buffer_store_dword v30, off, s[40:43], 0 offset:760 ; 4-byte Folded Spill
	buffer_store_dword v31, off, s[40:43], 0 offset:764 ; 4-byte Folded Spill
	v_mov_b32_e32 v5, 0
	v_mov_b32_e32 v4, 0
	s_and_saveexec_b64 s[2:3], s[0:1]
	s_cbranch_execz .LBB72_6
; %bb.5:
	s_waitcnt vmcnt(62)
	v_cvt_f32_u32_sdwa v4, v125 dst_sel:DWORD dst_unused:UNUSED_PAD src0_sel:WORD_0
	v_cvt_f32_u32_sdwa v5, v125 dst_sel:DWORD dst_unused:UNUSED_PAD src0_sel:WORD_1
	v_cvt_f32_u32_sdwa v8, v108 dst_sel:DWORD dst_unused:UNUSED_PAD src0_sel:WORD_0
	v_cvt_f32_u32_sdwa v9, v108 dst_sel:DWORD dst_unused:UNUSED_PAD src0_sel:WORD_1
	buffer_store_dword v0, off, s[40:43], 0 offset:640 ; 4-byte Folded Spill
	s_nop 0
	buffer_store_dword v1, off, s[40:43], 0 offset:644 ; 4-byte Folded Spill
	buffer_store_dword v2, off, s[40:43], 0 offset:648 ; 4-byte Folded Spill
	;; [unrolled: 1-line block ×31, first 2 shown]
	v_cvt_f32_u32_sdwa v10, v109 dst_sel:DWORD dst_unused:UNUSED_PAD src0_sel:WORD_0
	v_cvt_f32_u32_sdwa v11, v109 dst_sel:DWORD dst_unused:UNUSED_PAD src0_sel:WORD_1
	v_cvt_f32_u32_sdwa v34, v124 dst_sel:DWORD dst_unused:UNUSED_PAD src0_sel:WORD_0
	v_cvt_f32_u32_sdwa v35, v124 dst_sel:DWORD dst_unused:UNUSED_PAD src0_sel:WORD_1
	;; [unrolled: 2-line block ×4, first 2 shown]
	buffer_store_dword v0, off, s[40:43], 0 offset:512 ; 4-byte Folded Spill
	s_nop 0
	buffer_store_dword v1, off, s[40:43], 0 offset:516 ; 4-byte Folded Spill
	buffer_store_dword v2, off, s[40:43], 0 offset:520 ; 4-byte Folded Spill
	buffer_store_dword v3, off, s[40:43], 0 offset:524 ; 4-byte Folded Spill
	buffer_store_dword v4, off, s[40:43], 0 offset:528 ; 4-byte Folded Spill
	buffer_store_dword v5, off, s[40:43], 0 offset:532 ; 4-byte Folded Spill
	buffer_store_dword v6, off, s[40:43], 0 offset:536 ; 4-byte Folded Spill
	buffer_store_dword v7, off, s[40:43], 0 offset:540 ; 4-byte Folded Spill
	buffer_store_dword v8, off, s[40:43], 0 offset:544 ; 4-byte Folded Spill
	buffer_store_dword v9, off, s[40:43], 0 offset:548 ; 4-byte Folded Spill
	buffer_store_dword v10, off, s[40:43], 0 offset:552 ; 4-byte Folded Spill
	buffer_store_dword v11, off, s[40:43], 0 offset:556 ; 4-byte Folded Spill
	buffer_store_dword v12, off, s[40:43], 0 offset:560 ; 4-byte Folded Spill
	buffer_store_dword v13, off, s[40:43], 0 offset:564 ; 4-byte Folded Spill
	buffer_store_dword v14, off, s[40:43], 0 offset:568 ; 4-byte Folded Spill
	buffer_store_dword v15, off, s[40:43], 0 offset:572 ; 4-byte Folded Spill
	buffer_store_dword v16, off, s[40:43], 0 offset:576 ; 4-byte Folded Spill
	buffer_store_dword v17, off, s[40:43], 0 offset:580 ; 4-byte Folded Spill
	buffer_store_dword v18, off, s[40:43], 0 offset:584 ; 4-byte Folded Spill
	buffer_store_dword v19, off, s[40:43], 0 offset:588 ; 4-byte Folded Spill
	buffer_store_dword v20, off, s[40:43], 0 offset:592 ; 4-byte Folded Spill
	buffer_store_dword v21, off, s[40:43], 0 offset:596 ; 4-byte Folded Spill
	buffer_store_dword v22, off, s[40:43], 0 offset:600 ; 4-byte Folded Spill
	buffer_store_dword v23, off, s[40:43], 0 offset:604 ; 4-byte Folded Spill
	buffer_store_dword v24, off, s[40:43], 0 offset:608 ; 4-byte Folded Spill
	buffer_store_dword v25, off, s[40:43], 0 offset:612 ; 4-byte Folded Spill
	buffer_store_dword v26, off, s[40:43], 0 offset:616 ; 4-byte Folded Spill
	buffer_store_dword v27, off, s[40:43], 0 offset:620 ; 4-byte Folded Spill
	buffer_store_dword v28, off, s[40:43], 0 offset:624 ; 4-byte Folded Spill
	buffer_store_dword v29, off, s[40:43], 0 offset:628 ; 4-byte Folded Spill
	buffer_store_dword v30, off, s[40:43], 0 offset:632 ; 4-byte Folded Spill
	buffer_store_dword v31, off, s[40:43], 0 offset:636 ; 4-byte Folded Spill
	v_cvt_f32_u32_sdwa v12, v110 dst_sel:DWORD dst_unused:UNUSED_PAD src0_sel:WORD_0
	v_cvt_f32_u32_sdwa v13, v110 dst_sel:DWORD dst_unused:UNUSED_PAD src0_sel:WORD_1
	buffer_store_dword v0, off, s[40:43], 0 offset:384 ; 4-byte Folded Spill
	s_nop 0
	buffer_store_dword v1, off, s[40:43], 0 offset:388 ; 4-byte Folded Spill
	buffer_store_dword v2, off, s[40:43], 0 offset:392 ; 4-byte Folded Spill
	buffer_store_dword v3, off, s[40:43], 0 offset:396 ; 4-byte Folded Spill
	buffer_store_dword v4, off, s[40:43], 0 offset:400 ; 4-byte Folded Spill
	buffer_store_dword v5, off, s[40:43], 0 offset:404 ; 4-byte Folded Spill
	buffer_store_dword v6, off, s[40:43], 0 offset:408 ; 4-byte Folded Spill
	buffer_store_dword v7, off, s[40:43], 0 offset:412 ; 4-byte Folded Spill
	buffer_store_dword v8, off, s[40:43], 0 offset:416 ; 4-byte Folded Spill
	buffer_store_dword v9, off, s[40:43], 0 offset:420 ; 4-byte Folded Spill
	buffer_store_dword v10, off, s[40:43], 0 offset:424 ; 4-byte Folded Spill
	buffer_store_dword v11, off, s[40:43], 0 offset:428 ; 4-byte Folded Spill
	buffer_store_dword v12, off, s[40:43], 0 offset:432 ; 4-byte Folded Spill
	buffer_store_dword v13, off, s[40:43], 0 offset:436 ; 4-byte Folded Spill
	buffer_store_dword v14, off, s[40:43], 0 offset:440 ; 4-byte Folded Spill
	buffer_store_dword v15, off, s[40:43], 0 offset:444 ; 4-byte Folded Spill
	buffer_store_dword v16, off, s[40:43], 0 offset:448 ; 4-byte Folded Spill
	buffer_store_dword v17, off, s[40:43], 0 offset:452 ; 4-byte Folded Spill
	buffer_store_dword v18, off, s[40:43], 0 offset:456 ; 4-byte Folded Spill
	buffer_store_dword v19, off, s[40:43], 0 offset:460 ; 4-byte Folded Spill
	buffer_store_dword v20, off, s[40:43], 0 offset:464 ; 4-byte Folded Spill
	buffer_store_dword v21, off, s[40:43], 0 offset:468 ; 4-byte Folded Spill
	buffer_store_dword v22, off, s[40:43], 0 offset:472 ; 4-byte Folded Spill
	buffer_store_dword v23, off, s[40:43], 0 offset:476 ; 4-byte Folded Spill
	buffer_store_dword v24, off, s[40:43], 0 offset:480 ; 4-byte Folded Spill
	buffer_store_dword v25, off, s[40:43], 0 offset:484 ; 4-byte Folded Spill
	buffer_store_dword v26, off, s[40:43], 0 offset:488 ; 4-byte Folded Spill
	buffer_store_dword v27, off, s[40:43], 0 offset:492 ; 4-byte Folded Spill
	buffer_store_dword v28, off, s[40:43], 0 offset:496 ; 4-byte Folded Spill
	buffer_store_dword v29, off, s[40:43], 0 offset:500 ; 4-byte Folded Spill
	buffer_store_dword v30, off, s[40:43], 0 offset:504 ; 4-byte Folded Spill
	buffer_store_dword v31, off, s[40:43], 0 offset:508 ; 4-byte Folded Spill
	v_cvt_f32_u32_sdwa v14, v111 dst_sel:DWORD dst_unused:UNUSED_PAD src0_sel:WORD_0
	v_cvt_f32_u32_sdwa v15, v111 dst_sel:DWORD dst_unused:UNUSED_PAD src0_sel:WORD_1
	;; [unrolled: 35-line block ×4, first 2 shown]
	buffer_store_dword v0, off, s[40:43], 0 ; 4-byte Folded Spill
	s_nop 0
	buffer_store_dword v1, off, s[40:43], 0 offset:4 ; 4-byte Folded Spill
	buffer_store_dword v2, off, s[40:43], 0 offset:8 ; 4-byte Folded Spill
	;; [unrolled: 1-line block ×31, first 2 shown]
	v_cvt_f32_u32_sdwa v20, v106 dst_sel:DWORD dst_unused:UNUSED_PAD src0_sel:WORD_0
	v_cvt_f32_u32_sdwa v21, v106 dst_sel:DWORD dst_unused:UNUSED_PAD src0_sel:WORD_1
	buffer_store_dword v0, off, s[40:43], 0 offset:768 ; 4-byte Folded Spill
	s_nop 0
	buffer_store_dword v1, off, s[40:43], 0 offset:772 ; 4-byte Folded Spill
	buffer_store_dword v2, off, s[40:43], 0 offset:776 ; 4-byte Folded Spill
	;; [unrolled: 1-line block ×31, first 2 shown]
	v_cvt_f32_u32_sdwa v26, v107 dst_sel:DWORD dst_unused:UNUSED_PAD src0_sel:WORD_0
	v_cvt_f32_u32_sdwa v27, v107 dst_sel:DWORD dst_unused:UNUSED_PAD src0_sel:WORD_1
.LBB72_6:
	s_or_b64 exec, exec, s[2:3]
	s_cbranch_execz .LBB72_8
	s_branch .LBB72_11
.LBB72_7:
	v_mov_b32_e32 v1, v68
                                        ; implicit-def: $vgpr34_vgpr35_vgpr36_vgpr37_vgpr38_vgpr39_vgpr40_vgpr41_vgpr42_vgpr43_vgpr44_vgpr45_vgpr46_vgpr47_vgpr48_vgpr49_vgpr50_vgpr51_vgpr52_vgpr53_vgpr54_vgpr55_vgpr56_vgpr57_vgpr58_vgpr59_vgpr60_vgpr61_vgpr62_vgpr63_vgpr64_vgpr65
                                        ; implicit-def: $vgpr66_vgpr67_vgpr68_vgpr69_vgpr70_vgpr71_vgpr72_vgpr73_vgpr74_vgpr75_vgpr76_vgpr77_vgpr78_vgpr79_vgpr80_vgpr81_vgpr82_vgpr83_vgpr84_vgpr85_vgpr86_vgpr87_vgpr88_vgpr89_vgpr90_vgpr91_vgpr92_vgpr93_vgpr94_vgpr95_vgpr96_vgpr97
                                        ; implicit-def: $vgpr36_vgpr37_vgpr38_vgpr39_vgpr40_vgpr41_vgpr42_vgpr43_vgpr44_vgpr45_vgpr46_vgpr47_vgpr48_vgpr49_vgpr50_vgpr51_vgpr52_vgpr53_vgpr54_vgpr55_vgpr56_vgpr57_vgpr58_vgpr59_vgpr60_vgpr61_vgpr62_vgpr63_vgpr64_vgpr65_vgpr66_vgpr67
                                        ; kill: killed $vgpr36_vgpr37_vgpr38_vgpr39_vgpr40_vgpr41_vgpr42_vgpr43_vgpr44_vgpr45_vgpr46_vgpr47_vgpr48_vgpr49_vgpr50_vgpr51_vgpr52_vgpr53_vgpr54_vgpr55_vgpr56_vgpr57_vgpr58_vgpr59_vgpr60_vgpr61_vgpr62_vgpr63_vgpr64_vgpr65_vgpr66_vgpr67
                                        ; implicit-def: $vgpr36_vgpr37_vgpr38_vgpr39_vgpr40_vgpr41_vgpr42_vgpr43_vgpr44_vgpr45_vgpr46_vgpr47_vgpr48_vgpr49_vgpr50_vgpr51_vgpr52_vgpr53_vgpr54_vgpr55_vgpr56_vgpr57_vgpr58_vgpr59_vgpr60_vgpr61_vgpr62_vgpr63_vgpr64_vgpr65_vgpr66_vgpr67
                                        ; kill: killed $vgpr36_vgpr37_vgpr38_vgpr39_vgpr40_vgpr41_vgpr42_vgpr43_vgpr44_vgpr45_vgpr46_vgpr47_vgpr48_vgpr49_vgpr50_vgpr51_vgpr52_vgpr53_vgpr54_vgpr55_vgpr56_vgpr57_vgpr58_vgpr59_vgpr60_vgpr61_vgpr62_vgpr63_vgpr64_vgpr65_vgpr66_vgpr67
	;; [unrolled: 2-line block ×4, first 2 shown]
                                        ; implicit-def: $vgpr36_vgpr37_vgpr38_vgpr39_vgpr40_vgpr41_vgpr42_vgpr43_vgpr44_vgpr45_vgpr46_vgpr47_vgpr48_vgpr49_vgpr50_vgpr51_vgpr52_vgpr53_vgpr54_vgpr55_vgpr56_vgpr57_vgpr58_vgpr59_vgpr60_vgpr61_vgpr62_vgpr63_vgpr64_vgpr65_vgpr66_vgpr67
                                        ; implicit-def: $vgpr2_vgpr3_vgpr4_vgpr5_vgpr6_vgpr7_vgpr8_vgpr9_vgpr10_vgpr11_vgpr12_vgpr13_vgpr14_vgpr15_vgpr16_vgpr17_vgpr18_vgpr19_vgpr20_vgpr21_vgpr22_vgpr23_vgpr24_vgpr25_vgpr26_vgpr27_vgpr28_vgpr29_vgpr30_vgpr31_vgpr32_vgpr33
	v_mov_b32_e32 v68, v1
                                        ; kill: killed $vgpr36_vgpr37_vgpr38_vgpr39_vgpr40_vgpr41_vgpr42_vgpr43_vgpr44_vgpr45_vgpr46_vgpr47_vgpr48_vgpr49_vgpr50_vgpr51_vgpr52_vgpr53_vgpr54_vgpr55_vgpr56_vgpr57_vgpr58_vgpr59_vgpr60_vgpr61_vgpr62_vgpr63_vgpr64_vgpr65_vgpr66_vgpr67
                                        ; implicit-def: $vgpr36_vgpr37_vgpr38_vgpr39_vgpr40_vgpr41_vgpr42_vgpr43_vgpr44_vgpr45_vgpr46_vgpr47_vgpr48_vgpr49_vgpr50_vgpr51_vgpr52_vgpr53_vgpr54_vgpr55_vgpr56_vgpr57_vgpr58_vgpr59_vgpr60_vgpr61_vgpr62_vgpr63_vgpr64_vgpr65_vgpr66_vgpr67
                                        ; implicit-def: $vgpr27
                                        ; implicit-def: $vgpr72_vgpr73_vgpr74_vgpr75_vgpr76_vgpr77_vgpr78_vgpr79_vgpr80_vgpr81_vgpr82_vgpr83_vgpr84_vgpr85_vgpr86_vgpr87_vgpr88_vgpr89_vgpr90_vgpr91_vgpr92_vgpr93_vgpr94_vgpr95_vgpr96_vgpr97_vgpr98_vgpr99_vgpr100_vgpr101_vgpr102_vgpr103
                                        ; kill: killed $vgpr36_vgpr37_vgpr38_vgpr39_vgpr40_vgpr41_vgpr42_vgpr43_vgpr44_vgpr45_vgpr46_vgpr47_vgpr48_vgpr49_vgpr50_vgpr51_vgpr52_vgpr53_vgpr54_vgpr55_vgpr56_vgpr57_vgpr58_vgpr59_vgpr60_vgpr61_vgpr62_vgpr63_vgpr64_vgpr65_vgpr66_vgpr67
                                        ; implicit-def: $vgpr36_vgpr37_vgpr38_vgpr39_vgpr40_vgpr41_vgpr42_vgpr43_vgpr44_vgpr45_vgpr46_vgpr47_vgpr48_vgpr49_vgpr50_vgpr51_vgpr52_vgpr53_vgpr54_vgpr55_vgpr56_vgpr57_vgpr58_vgpr59_vgpr60_vgpr61_vgpr62_vgpr63_vgpr64_vgpr65_vgpr66_vgpr67
                                        ; kill: killed $vgpr36_vgpr37_vgpr38_vgpr39_vgpr40_vgpr41_vgpr42_vgpr43_vgpr44_vgpr45_vgpr46_vgpr47_vgpr48_vgpr49_vgpr50_vgpr51_vgpr52_vgpr53_vgpr54_vgpr55_vgpr56_vgpr57_vgpr58_vgpr59_vgpr60_vgpr61_vgpr62_vgpr63_vgpr64_vgpr65_vgpr66_vgpr67
.LBB72_8:
	v_mov_b32_e32 v27, 0
	v_mov_b32_e32 v26, 0
	;; [unrolled: 1-line block ×4, first 2 shown]
	buffer_store_dword v0, off, s[40:43], 0 offset:768 ; 4-byte Folded Spill
	s_nop 0
	buffer_store_dword v1, off, s[40:43], 0 offset:772 ; 4-byte Folded Spill
	buffer_store_dword v2, off, s[40:43], 0 offset:776 ; 4-byte Folded Spill
	;; [unrolled: 1-line block ×31, first 2 shown]
	v_mov_b32_e32 v19, 0
	v_mov_b32_e32 v18, 0
	;; [unrolled: 1-line block ×8, first 2 shown]
	buffer_store_dword v0, off, s[40:43], 0 ; 4-byte Folded Spill
	s_nop 0
	buffer_store_dword v1, off, s[40:43], 0 offset:4 ; 4-byte Folded Spill
	buffer_store_dword v2, off, s[40:43], 0 offset:8 ; 4-byte Folded Spill
	buffer_store_dword v3, off, s[40:43], 0 offset:12 ; 4-byte Folded Spill
	buffer_store_dword v4, off, s[40:43], 0 offset:16 ; 4-byte Folded Spill
	buffer_store_dword v5, off, s[40:43], 0 offset:20 ; 4-byte Folded Spill
	buffer_store_dword v6, off, s[40:43], 0 offset:24 ; 4-byte Folded Spill
	buffer_store_dword v7, off, s[40:43], 0 offset:28 ; 4-byte Folded Spill
	buffer_store_dword v8, off, s[40:43], 0 offset:32 ; 4-byte Folded Spill
	buffer_store_dword v9, off, s[40:43], 0 offset:36 ; 4-byte Folded Spill
	buffer_store_dword v10, off, s[40:43], 0 offset:40 ; 4-byte Folded Spill
	buffer_store_dword v11, off, s[40:43], 0 offset:44 ; 4-byte Folded Spill
	buffer_store_dword v12, off, s[40:43], 0 offset:48 ; 4-byte Folded Spill
	buffer_store_dword v13, off, s[40:43], 0 offset:52 ; 4-byte Folded Spill
	buffer_store_dword v14, off, s[40:43], 0 offset:56 ; 4-byte Folded Spill
	buffer_store_dword v15, off, s[40:43], 0 offset:60 ; 4-byte Folded Spill
	buffer_store_dword v16, off, s[40:43], 0 offset:64 ; 4-byte Folded Spill
	buffer_store_dword v17, off, s[40:43], 0 offset:68 ; 4-byte Folded Spill
	buffer_store_dword v18, off, s[40:43], 0 offset:72 ; 4-byte Folded Spill
	buffer_store_dword v19, off, s[40:43], 0 offset:76 ; 4-byte Folded Spill
	buffer_store_dword v20, off, s[40:43], 0 offset:80 ; 4-byte Folded Spill
	buffer_store_dword v21, off, s[40:43], 0 offset:84 ; 4-byte Folded Spill
	buffer_store_dword v22, off, s[40:43], 0 offset:88 ; 4-byte Folded Spill
	buffer_store_dword v23, off, s[40:43], 0 offset:92 ; 4-byte Folded Spill
	buffer_store_dword v24, off, s[40:43], 0 offset:96 ; 4-byte Folded Spill
	buffer_store_dword v25, off, s[40:43], 0 offset:100 ; 4-byte Folded Spill
	buffer_store_dword v26, off, s[40:43], 0 offset:104 ; 4-byte Folded Spill
	buffer_store_dword v27, off, s[40:43], 0 offset:108 ; 4-byte Folded Spill
	buffer_store_dword v28, off, s[40:43], 0 offset:112 ; 4-byte Folded Spill
	buffer_store_dword v29, off, s[40:43], 0 offset:116 ; 4-byte Folded Spill
	buffer_store_dword v30, off, s[40:43], 0 offset:120 ; 4-byte Folded Spill
	buffer_store_dword v31, off, s[40:43], 0 offset:124 ; 4-byte Folded Spill
	v_mov_b32_e32 v17, 0
	v_mov_b32_e32 v16, 0
	buffer_store_dword v0, off, s[40:43], 0 offset:256 ; 4-byte Folded Spill
	s_nop 0
	buffer_store_dword v1, off, s[40:43], 0 offset:260 ; 4-byte Folded Spill
	buffer_store_dword v2, off, s[40:43], 0 offset:264 ; 4-byte Folded Spill
	buffer_store_dword v3, off, s[40:43], 0 offset:268 ; 4-byte Folded Spill
	buffer_store_dword v4, off, s[40:43], 0 offset:272 ; 4-byte Folded Spill
	buffer_store_dword v5, off, s[40:43], 0 offset:276 ; 4-byte Folded Spill
	buffer_store_dword v6, off, s[40:43], 0 offset:280 ; 4-byte Folded Spill
	buffer_store_dword v7, off, s[40:43], 0 offset:284 ; 4-byte Folded Spill
	buffer_store_dword v8, off, s[40:43], 0 offset:288 ; 4-byte Folded Spill
	buffer_store_dword v9, off, s[40:43], 0 offset:292 ; 4-byte Folded Spill
	buffer_store_dword v10, off, s[40:43], 0 offset:296 ; 4-byte Folded Spill
	buffer_store_dword v11, off, s[40:43], 0 offset:300 ; 4-byte Folded Spill
	buffer_store_dword v12, off, s[40:43], 0 offset:304 ; 4-byte Folded Spill
	buffer_store_dword v13, off, s[40:43], 0 offset:308 ; 4-byte Folded Spill
	buffer_store_dword v14, off, s[40:43], 0 offset:312 ; 4-byte Folded Spill
	buffer_store_dword v15, off, s[40:43], 0 offset:316 ; 4-byte Folded Spill
	buffer_store_dword v16, off, s[40:43], 0 offset:320 ; 4-byte Folded Spill
	buffer_store_dword v17, off, s[40:43], 0 offset:324 ; 4-byte Folded Spill
	buffer_store_dword v18, off, s[40:43], 0 offset:328 ; 4-byte Folded Spill
	buffer_store_dword v19, off, s[40:43], 0 offset:332 ; 4-byte Folded Spill
	buffer_store_dword v20, off, s[40:43], 0 offset:336 ; 4-byte Folded Spill
	buffer_store_dword v21, off, s[40:43], 0 offset:340 ; 4-byte Folded Spill
	buffer_store_dword v22, off, s[40:43], 0 offset:344 ; 4-byte Folded Spill
	buffer_store_dword v23, off, s[40:43], 0 offset:348 ; 4-byte Folded Spill
	buffer_store_dword v24, off, s[40:43], 0 offset:352 ; 4-byte Folded Spill
	buffer_store_dword v25, off, s[40:43], 0 offset:356 ; 4-byte Folded Spill
	buffer_store_dword v26, off, s[40:43], 0 offset:360 ; 4-byte Folded Spill
	buffer_store_dword v27, off, s[40:43], 0 offset:364 ; 4-byte Folded Spill
	buffer_store_dword v28, off, s[40:43], 0 offset:368 ; 4-byte Folded Spill
	buffer_store_dword v29, off, s[40:43], 0 offset:372 ; 4-byte Folded Spill
	buffer_store_dword v30, off, s[40:43], 0 offset:376 ; 4-byte Folded Spill
	buffer_store_dword v31, off, s[40:43], 0 offset:380 ; 4-byte Folded Spill
	v_mov_b32_e32 v15, 0
	v_mov_b32_e32 v14, 0
	buffer_store_dword v0, off, s[40:43], 0 offset:128 ; 4-byte Folded Spill
	;; [unrolled: 35-line block ×5, first 2 shown]
	s_nop 0
	buffer_store_dword v1, off, s[40:43], 0 offset:644 ; 4-byte Folded Spill
	buffer_store_dword v2, off, s[40:43], 0 offset:648 ; 4-byte Folded Spill
	;; [unrolled: 1-line block ×31, first 2 shown]
	v_mov_b32_e32 v5, 0
	v_mov_b32_e32 v4, 0
	s_and_saveexec_b64 s[2:3], s[0:1]
	s_cbranch_execz .LBB72_10
; %bb.9:
	s_load_dwordx2 s[36:37], s[4:5], 0x38
	s_load_dwordx2 s[30:31], s[4:5], 0x20
	s_mul_hi_i32 s25, s19, s6
	s_mul_i32 s24, s19, s6
	s_lshl_b64 s[24:25], s[24:25], 1
	s_waitcnt lgkmcnt(0)
	s_add_u32 s24, s36, s24
	s_addc_u32 s14, s37, s25
	s_mov_b32 s27, 0x20000
	s_and_b32 s25, s14, 0xffff
	v_lshlrev_b32_e32 v50, 1, v68
	s_movk_i32 s17, 0x400
	s_movk_i32 s14, 0x800
	buffer_load_dwordx4 v[10:13], v50, s[24:27], s17 offen glc slc
	buffer_load_dwordx4 v[6:9], v50, s[24:27], s14 offen glc slc
	buffer_load_dwordx4 v[2:5], v50, s[24:27], 0 offen glc slc
	s_waitcnt vmcnt(62)
	v_cvt_f32_u32_sdwa v25, v111 dst_sel:DWORD dst_unused:UNUSED_PAD src0_sel:WORD_1
	v_cvt_f32_u32_sdwa v24, v111 dst_sel:DWORD dst_unused:UNUSED_PAD src0_sel:WORD_0
	v_cvt_f32_u32_sdwa v29, v124 dst_sel:DWORD dst_unused:UNUSED_PAD src0_sel:WORD_1
	v_cvt_f32_u32_sdwa v28, v124 dst_sel:DWORD dst_unused:UNUSED_PAD src0_sel:WORD_0
	v_cvt_f32_u32_sdwa v31, v125 dst_sel:DWORD dst_unused:UNUSED_PAD src0_sel:WORD_1
	v_cvt_f32_u32_sdwa v30, v125 dst_sel:DWORD dst_unused:UNUSED_PAD src0_sel:WORD_0
	v_cvt_f32_u32_sdwa v33, v126 dst_sel:DWORD dst_unused:UNUSED_PAD src0_sel:WORD_1
	v_cvt_f32_u32_sdwa v32, v126 dst_sel:DWORD dst_unused:UNUSED_PAD src0_sel:WORD_0
	v_cvt_f32_u32_sdwa v35, v127 dst_sel:DWORD dst_unused:UNUSED_PAD src0_sel:WORD_1
	v_cvt_f32_u32_sdwa v34, v127 dst_sel:DWORD dst_unused:UNUSED_PAD src0_sel:WORD_0
	s_mul_hi_i32 s25, s29, s6
	s_mul_i32 s24, s29, s6
	v_cvt_f32_u32_sdwa v17, v109 dst_sel:DWORD dst_unused:UNUSED_PAD src0_sel:WORD_1
	v_cvt_f32_u32_sdwa v16, v109 dst_sel:DWORD dst_unused:UNUSED_PAD src0_sel:WORD_0
	v_cvt_f32_u32_sdwa v21, v110 dst_sel:DWORD dst_unused:UNUSED_PAD src0_sel:WORD_1
	v_cvt_f32_u32_sdwa v20, v110 dst_sel:DWORD dst_unused:UNUSED_PAD src0_sel:WORD_0
	;; [unrolled: 2-line block ×5, first 2 shown]
	v_cvt_f32_u32_sdwa v26, v107 dst_sel:DWORD dst_unused:UNUSED_PAD src0_sel:WORD_0
	v_cvt_f32_u32_sdwa v27, v107 dst_sel:DWORD dst_unused:UNUSED_PAD src0_sel:WORD_1
	s_lshl_b64 s[24:25], s[24:25], 1
	s_add_u32 s24, s30, s24
	s_mov_b32 s19, 0x7060302
	s_addc_u32 s25, s31, s25
	s_and_b32 s25, s25, 0xffff
	v_cvt_f32_u32_sdwa v53, v108 dst_sel:DWORD dst_unused:UNUSED_PAD src0_sel:WORD_1
	v_cvt_f32_u32_sdwa v52, v108 dst_sel:DWORD dst_unused:UNUSED_PAD src0_sel:WORD_0
	s_waitcnt vmcnt(1)
	v_cvt_f32_u32_sdwa v43, v7 dst_sel:DWORD dst_unused:UNUSED_PAD src0_sel:WORD_1
	v_cvt_f32_u32_sdwa v37, v10 dst_sel:DWORD dst_unused:UNUSED_PAD src0_sel:WORD_1
	v_cvt_f32_u32_sdwa v36, v10 dst_sel:DWORD dst_unused:UNUSED_PAD src0_sel:WORD_0
	v_cvt_f32_u32_sdwa v39, v11 dst_sel:DWORD dst_unused:UNUSED_PAD src0_sel:WORD_1
	v_cvt_f32_u32_sdwa v38, v11 dst_sel:DWORD dst_unused:UNUSED_PAD src0_sel:WORD_0
	;; [unrolled: 2-line block ×5, first 2 shown]
	v_cvt_f32_u32_sdwa v42, v7 dst_sel:DWORD dst_unused:UNUSED_PAD src0_sel:WORD_0
	v_cvt_f32_u32_sdwa v47, v8 dst_sel:DWORD dst_unused:UNUSED_PAD src0_sel:WORD_1
	v_cvt_f32_u32_sdwa v46, v8 dst_sel:DWORD dst_unused:UNUSED_PAD src0_sel:WORD_0
	v_cvt_f32_u32_sdwa v48, v9 dst_sel:DWORD dst_unused:UNUSED_PAD src0_sel:WORD_0
	v_cvt_f32_u32_sdwa v49, v9 dst_sel:DWORD dst_unused:UNUSED_PAD src0_sel:WORD_1
	s_waitcnt vmcnt(0)
	v_cvt_f32_u32_sdwa v45, v2 dst_sel:DWORD dst_unused:UNUSED_PAD src0_sel:WORD_1
	v_cvt_f32_u32_sdwa v44, v2 dst_sel:DWORD dst_unused:UNUSED_PAD src0_sel:WORD_0
	v_cvt_f32_u32_sdwa v7, v3 dst_sel:DWORD dst_unused:UNUSED_PAD src0_sel:WORD_1
	v_cvt_f32_u32_sdwa v9, v5 dst_sel:DWORD dst_unused:UNUSED_PAD src0_sel:WORD_1
	v_cvt_f32_u32_sdwa v8, v5 dst_sel:DWORD dst_unused:UNUSED_PAD src0_sel:WORD_0
	v_cvt_f32_u32_sdwa v5, v4 dst_sel:DWORD dst_unused:UNUSED_PAD src0_sel:WORD_1
	v_cvt_f32_u32_sdwa v4, v4 dst_sel:DWORD dst_unused:UNUSED_PAD src0_sel:WORD_0
	v_cvt_f32_u32_sdwa v6, v3 dst_sel:DWORD dst_unused:UNUSED_PAD src0_sel:WORD_0
	v_pk_add_f32 v[78:79], v[34:35], v[8:9]
	v_pk_add_f32 v[34:35], v[28:29], v[44:45]
	;; [unrolled: 1-line block ×5, first 2 shown]
	v_perm_b32 v9, v79, v78, s19
	v_perm_b32 v8, v71, v70, s19
	;; [unrolled: 1-line block ×4, first 2 shown]
	v_pk_mov_b32 v[28:29], v[24:25], v[24:25] op_sel:[0,1]
	buffer_store_dwordx4 v[6:9], v50, s[24:27], 0 offen glc slc
	buffer_store_dword v14, off, s[40:43], 0 offset:128 ; 4-byte Folded Spill
	s_nop 0
	buffer_store_dword v15, off, s[40:43], 0 offset:132 ; 4-byte Folded Spill
	buffer_store_dword v16, off, s[40:43], 0 offset:136 ; 4-byte Folded Spill
	buffer_store_dword v17, off, s[40:43], 0 offset:140 ; 4-byte Folded Spill
	buffer_store_dword v18, off, s[40:43], 0 offset:144 ; 4-byte Folded Spill
	buffer_store_dword v19, off, s[40:43], 0 offset:148 ; 4-byte Folded Spill
	buffer_store_dword v20, off, s[40:43], 0 offset:152 ; 4-byte Folded Spill
	buffer_store_dword v21, off, s[40:43], 0 offset:156 ; 4-byte Folded Spill
	buffer_store_dword v22, off, s[40:43], 0 offset:160 ; 4-byte Folded Spill
	buffer_store_dword v23, off, s[40:43], 0 offset:164 ; 4-byte Folded Spill
	buffer_store_dword v24, off, s[40:43], 0 offset:168 ; 4-byte Folded Spill
	buffer_store_dword v25, off, s[40:43], 0 offset:172 ; 4-byte Folded Spill
	buffer_store_dword v26, off, s[40:43], 0 offset:176 ; 4-byte Folded Spill
	buffer_store_dword v27, off, s[40:43], 0 offset:180 ; 4-byte Folded Spill
	buffer_store_dword v28, off, s[40:43], 0 offset:184 ; 4-byte Folded Spill
	buffer_store_dword v29, off, s[40:43], 0 offset:188 ; 4-byte Folded Spill
	buffer_store_dword v30, off, s[40:43], 0 offset:192 ; 4-byte Folded Spill
	buffer_store_dword v31, off, s[40:43], 0 offset:196 ; 4-byte Folded Spill
	buffer_store_dword v32, off, s[40:43], 0 offset:200 ; 4-byte Folded Spill
	buffer_store_dword v33, off, s[40:43], 0 offset:204 ; 4-byte Folded Spill
	buffer_store_dword v34, off, s[40:43], 0 offset:208 ; 4-byte Folded Spill
	buffer_store_dword v35, off, s[40:43], 0 offset:212 ; 4-byte Folded Spill
	buffer_store_dword v36, off, s[40:43], 0 offset:216 ; 4-byte Folded Spill
	buffer_store_dword v37, off, s[40:43], 0 offset:220 ; 4-byte Folded Spill
	buffer_store_dword v38, off, s[40:43], 0 offset:224 ; 4-byte Folded Spill
	buffer_store_dword v39, off, s[40:43], 0 offset:228 ; 4-byte Folded Spill
	buffer_store_dword v40, off, s[40:43], 0 offset:232 ; 4-byte Folded Spill
	buffer_store_dword v41, off, s[40:43], 0 offset:236 ; 4-byte Folded Spill
	buffer_store_dword v42, off, s[40:43], 0 offset:240 ; 4-byte Folded Spill
	buffer_store_dword v43, off, s[40:43], 0 offset:244 ; 4-byte Folded Spill
	buffer_store_dword v44, off, s[40:43], 0 offset:248 ; 4-byte Folded Spill
	buffer_store_dword v45, off, s[40:43], 0 offset:252 ; 4-byte Folded Spill
	v_pk_add_f32 v[20:21], v[20:21], v[10:11]
	v_perm_b32 v9, v25, v24, s19
	v_pk_mov_b32 v[24:25], v[20:21], v[20:21] op_sel:[0,1]
	buffer_store_dword v12, off, s[40:43], 0 offset:384 ; 4-byte Folded Spill
	s_nop 0
	buffer_store_dword v13, off, s[40:43], 0 offset:388 ; 4-byte Folded Spill
	buffer_store_dword v14, off, s[40:43], 0 offset:392 ; 4-byte Folded Spill
	;; [unrolled: 1-line block ×31, first 2 shown]
	v_pk_add_f32 v[10:11], v[16:17], v[38:39]
	v_perm_b32 v8, v21, v20, s19
	v_pk_mov_b32 v[16:17], v[10:11], v[10:11] op_sel:[0,1]
	buffer_store_dword v6, off, s[40:43], 0 offset:512 ; 4-byte Folded Spill
	s_nop 0
	buffer_store_dword v7, off, s[40:43], 0 offset:516 ; 4-byte Folded Spill
	buffer_store_dword v8, off, s[40:43], 0 offset:520 ; 4-byte Folded Spill
	;; [unrolled: 1-line block ×31, first 2 shown]
	v_perm_b32 v7, v11, v10, s19
	v_pk_add_f32 v[10:11], v[52:53], v[36:37]
	v_pk_mov_b32 v[16:17], v[10:11], v[10:11] op_sel:[0,1]
	buffer_store_dword v8, off, s[40:43], 0 offset:640 ; 4-byte Folded Spill
	s_nop 0
	buffer_store_dword v9, off, s[40:43], 0 offset:644 ; 4-byte Folded Spill
	buffer_store_dword v10, off, s[40:43], 0 offset:648 ; 4-byte Folded Spill
	;; [unrolled: 1-line block ×31, first 2 shown]
	;;#ASMSTART
	s_nop 0
	;;#ASMEND
	v_perm_b32 v6, v11, v10, s19
	v_pk_add_f32 v[26:27], v[26:27], v[48:49]
	v_pk_add_f32 v[20:21], v[22:23], v[46:47]
	buffer_store_dwordx4 v[6:9], v50, s[24:27], s17 offen glc slc
	v_perm_b32 v9, v27, v26, s19
	v_pk_mov_b32 v[22:23], v[20:21], v[20:21] op_sel:[0,1]
	buffer_store_dword v2, off, s[40:43], 0 offset:768 ; 4-byte Folded Spill
	s_nop 0
	buffer_store_dword v3, off, s[40:43], 0 offset:772 ; 4-byte Folded Spill
	buffer_store_dword v4, off, s[40:43], 0 offset:776 ; 4-byte Folded Spill
	;; [unrolled: 1-line block ×31, first 2 shown]
	;;#ASMSTART
	s_nop 0
	;;#ASMEND
	v_pk_add_f32 v[18:19], v[18:19], v[42:43]
	v_perm_b32 v8, v21, v20, s19
	v_pk_mov_b32 v[20:21], v[18:19], v[18:19] op_sel:[0,1]
	buffer_store_dword v2, off, s[40:43], 0 ; 4-byte Folded Spill
	s_nop 0
	buffer_store_dword v3, off, s[40:43], 0 offset:4 ; 4-byte Folded Spill
	buffer_store_dword v4, off, s[40:43], 0 offset:8 ; 4-byte Folded Spill
	;; [unrolled: 1-line block ×31, first 2 shown]
	v_pk_add_f32 v[16:17], v[14:15], v[12:13]
	v_perm_b32 v7, v19, v18, s19
	v_pk_mov_b32 v[18:19], v[16:17], v[16:17] op_sel:[0,1]
	buffer_store_dword v2, off, s[40:43], 0 offset:256 ; 4-byte Folded Spill
	s_nop 0
	buffer_store_dword v3, off, s[40:43], 0 offset:260 ; 4-byte Folded Spill
	buffer_store_dword v4, off, s[40:43], 0 offset:264 ; 4-byte Folded Spill
	;; [unrolled: 1-line block ×31, first 2 shown]
	v_perm_b32 v6, v17, v16, s19
	buffer_store_dwordx4 v[6:9], v50, s[24:27], s14 offen glc slc
	;;#ASMSTART
	s_nop 0
	;;#ASMEND
.LBB72_10:
	s_or_b64 exec, exec, s[2:3]
.LBB72_11:
	buffer_load_dword v36, off, s[40:43], 0 offset:640 ; 4-byte Folded Reload
	buffer_load_dword v37, off, s[40:43], 0 offset:644 ; 4-byte Folded Reload
	;; [unrolled: 1-line block ×32, first 2 shown]
	v_mul_f32_e32 v2, v35, v35
	v_fmac_f32_e32 v2, v34, v34
	v_fmac_f32_e32 v2, v4, v4
	;; [unrolled: 1-line block ×7, first 2 shown]
	s_waitcnt vmcnt(22)
	v_pk_mov_b32 v[8:9], v[44:45], v[44:45] op_sel:[0,1]
	buffer_load_dword v36, off, s[40:43], 0 offset:512 ; 4-byte Folded Reload
	buffer_load_dword v37, off, s[40:43], 0 offset:516 ; 4-byte Folded Reload
	buffer_load_dword v38, off, s[40:43], 0 offset:520 ; 4-byte Folded Reload
	buffer_load_dword v39, off, s[40:43], 0 offset:524 ; 4-byte Folded Reload
	buffer_load_dword v40, off, s[40:43], 0 offset:528 ; 4-byte Folded Reload
	buffer_load_dword v41, off, s[40:43], 0 offset:532 ; 4-byte Folded Reload
	buffer_load_dword v42, off, s[40:43], 0 offset:536 ; 4-byte Folded Reload
	buffer_load_dword v43, off, s[40:43], 0 offset:540 ; 4-byte Folded Reload
	buffer_load_dword v44, off, s[40:43], 0 offset:544 ; 4-byte Folded Reload
	buffer_load_dword v45, off, s[40:43], 0 offset:548 ; 4-byte Folded Reload
	buffer_load_dword v46, off, s[40:43], 0 offset:552 ; 4-byte Folded Reload
	buffer_load_dword v47, off, s[40:43], 0 offset:556 ; 4-byte Folded Reload
	buffer_load_dword v48, off, s[40:43], 0 offset:560 ; 4-byte Folded Reload
	buffer_load_dword v49, off, s[40:43], 0 offset:564 ; 4-byte Folded Reload
	buffer_load_dword v50, off, s[40:43], 0 offset:568 ; 4-byte Folded Reload
	buffer_load_dword v51, off, s[40:43], 0 offset:572 ; 4-byte Folded Reload
	buffer_load_dword v52, off, s[40:43], 0 offset:576 ; 4-byte Folded Reload
	buffer_load_dword v53, off, s[40:43], 0 offset:580 ; 4-byte Folded Reload
	buffer_load_dword v54, off, s[40:43], 0 offset:584 ; 4-byte Folded Reload
	buffer_load_dword v55, off, s[40:43], 0 offset:588 ; 4-byte Folded Reload
	buffer_load_dword v56, off, s[40:43], 0 offset:592 ; 4-byte Folded Reload
	buffer_load_dword v57, off, s[40:43], 0 offset:596 ; 4-byte Folded Reload
	buffer_load_dword v58, off, s[40:43], 0 offset:600 ; 4-byte Folded Reload
	buffer_load_dword v59, off, s[40:43], 0 offset:604 ; 4-byte Folded Reload
	buffer_load_dword v60, off, s[40:43], 0 offset:608 ; 4-byte Folded Reload
	buffer_load_dword v61, off, s[40:43], 0 offset:612 ; 4-byte Folded Reload
	buffer_load_dword v62, off, s[40:43], 0 offset:616 ; 4-byte Folded Reload
	buffer_load_dword v63, off, s[40:43], 0 offset:620 ; 4-byte Folded Reload
	buffer_load_dword v64, off, s[40:43], 0 offset:624 ; 4-byte Folded Reload
	buffer_load_dword v65, off, s[40:43], 0 offset:628 ; 4-byte Folded Reload
	buffer_load_dword v66, off, s[40:43], 0 offset:632 ; 4-byte Folded Reload
	buffer_load_dword v67, off, s[40:43], 0 offset:636 ; 4-byte Folded Reload
	v_fmac_f32_e32 v2, v8, v8
	v_fmac_f32_e32 v2, v9, v9
	s_waitcnt vmcnt(20)
	v_pk_mov_b32 v[10:11], v[46:47], v[46:47] op_sel:[0,1]
	buffer_load_dword v36, off, s[40:43], 0 offset:384 ; 4-byte Folded Reload
	buffer_load_dword v37, off, s[40:43], 0 offset:388 ; 4-byte Folded Reload
	buffer_load_dword v38, off, s[40:43], 0 offset:392 ; 4-byte Folded Reload
	buffer_load_dword v39, off, s[40:43], 0 offset:396 ; 4-byte Folded Reload
	buffer_load_dword v40, off, s[40:43], 0 offset:400 ; 4-byte Folded Reload
	buffer_load_dword v41, off, s[40:43], 0 offset:404 ; 4-byte Folded Reload
	buffer_load_dword v42, off, s[40:43], 0 offset:408 ; 4-byte Folded Reload
	buffer_load_dword v43, off, s[40:43], 0 offset:412 ; 4-byte Folded Reload
	buffer_load_dword v44, off, s[40:43], 0 offset:416 ; 4-byte Folded Reload
	buffer_load_dword v45, off, s[40:43], 0 offset:420 ; 4-byte Folded Reload
	buffer_load_dword v46, off, s[40:43], 0 offset:424 ; 4-byte Folded Reload
	buffer_load_dword v47, off, s[40:43], 0 offset:428 ; 4-byte Folded Reload
	buffer_load_dword v48, off, s[40:43], 0 offset:432 ; 4-byte Folded Reload
	buffer_load_dword v49, off, s[40:43], 0 offset:436 ; 4-byte Folded Reload
	buffer_load_dword v50, off, s[40:43], 0 offset:440 ; 4-byte Folded Reload
	buffer_load_dword v51, off, s[40:43], 0 offset:444 ; 4-byte Folded Reload
	buffer_load_dword v52, off, s[40:43], 0 offset:448 ; 4-byte Folded Reload
	buffer_load_dword v53, off, s[40:43], 0 offset:452 ; 4-byte Folded Reload
	buffer_load_dword v54, off, s[40:43], 0 offset:456 ; 4-byte Folded Reload
	buffer_load_dword v55, off, s[40:43], 0 offset:460 ; 4-byte Folded Reload
	buffer_load_dword v56, off, s[40:43], 0 offset:464 ; 4-byte Folded Reload
	buffer_load_dword v57, off, s[40:43], 0 offset:468 ; 4-byte Folded Reload
	buffer_load_dword v58, off, s[40:43], 0 offset:472 ; 4-byte Folded Reload
	buffer_load_dword v59, off, s[40:43], 0 offset:476 ; 4-byte Folded Reload
	buffer_load_dword v60, off, s[40:43], 0 offset:480 ; 4-byte Folded Reload
	buffer_load_dword v61, off, s[40:43], 0 offset:484 ; 4-byte Folded Reload
	buffer_load_dword v62, off, s[40:43], 0 offset:488 ; 4-byte Folded Reload
	buffer_load_dword v63, off, s[40:43], 0 offset:492 ; 4-byte Folded Reload
	buffer_load_dword v64, off, s[40:43], 0 offset:496 ; 4-byte Folded Reload
	buffer_load_dword v65, off, s[40:43], 0 offset:500 ; 4-byte Folded Reload
	buffer_load_dword v66, off, s[40:43], 0 offset:504 ; 4-byte Folded Reload
	buffer_load_dword v67, off, s[40:43], 0 offset:508 ; 4-byte Folded Reload
	v_fmac_f32_e32 v2, v10, v10
	v_fmac_f32_e32 v2, v11, v11
	;; [unrolled: 36-line block ×4, first 2 shown]
	s_waitcnt vmcnt(14)
	v_pk_mov_b32 v[16:17], v[52:53], v[52:53] op_sel:[0,1]
	buffer_load_dword v36, off, s[40:43], 0 ; 4-byte Folded Reload
	buffer_load_dword v37, off, s[40:43], 0 offset:4 ; 4-byte Folded Reload
	buffer_load_dword v38, off, s[40:43], 0 offset:8 ; 4-byte Folded Reload
	;; [unrolled: 1-line block ×63, first 2 shown]
	v_fmac_f32_e32 v2, v16, v16
	v_fmac_f32_e32 v2, v17, v17
	s_waitcnt vmcnt(44)
	v_pk_mov_b32 v[18:19], v[54:55], v[54:55] op_sel:[0,1]
	v_fmac_f32_e32 v2, v18, v18
	v_fmac_f32_e32 v2, v19, v19
	s_waitcnt vmcnt(10)
	v_pk_mov_b32 v[24:25], v[100:101], v[100:101] op_sel:[0,1]
	v_fmac_f32_e32 v2, v24, v24
	v_fmac_f32_e32 v2, v25, v25
	;; [unrolled: 1-line block ×4, first 2 shown]
	s_nop 1
	v_mov_b32_dpp v3, v2 quad_perm:[1,0,3,2] row_mask:0xf bank_mask:0xf
	v_add_f32_e32 v2, v2, v3
	s_nop 1
	v_mov_b32_dpp v3, v2 quad_perm:[2,3,0,1] row_mask:0xf bank_mask:0xf
	v_add_f32_e32 v2, v2, v3
	s_nop 1
	v_mov_b32_dpp v3, v2 row_half_mirror row_mask:0xf bank_mask:0xf
	v_add_f32_e32 v2, v2, v3
	s_nop 1
	v_mov_b32_dpp v3, v2 row_mirror row_mask:0xf bank_mask:0xf
	v_add_f32_e32 v2, v2, v3
	s_nop 1
	v_mov_b32_dpp v3, v2 row_bcast:15 row_mask:0xf bank_mask:0xf
	v_add_f32_e32 v2, v2, v3
	v_and_b32_e32 v3, 63, v0
	v_cmp_eq_u32_e64 s[2:3], 63, v3
	s_nop 0
	v_mov_b32_dpp v3, v2 row_bcast:31 row_mask:0xf bank_mask:0xf
	s_and_saveexec_b64 s[24:25], s[2:3]
	s_cbranch_execz .LBB72_13
; %bb.12:
	v_add_f32_e32 v2, v2, v3
	v_lshrrev_b32_e32 v3, 4, v0
	v_and_b32_e32 v3, 60, v3
	ds_write_b32 v3, v2 offset:32
.LBB72_13:
	s_or_b64 exec, exec, s[24:25]
	v_and_b32_e32 v2, 3, v0
	v_lshlrev_b32_e32 v48, 2, v2
	s_waitcnt lgkmcnt(0)
	s_barrier
	ds_read_b32 v2, v48 offset:32
	s_load_dwordx2 s[30:31], s[4:5], 0x18
	s_waitcnt lgkmcnt(0)
	v_mov_b32_dpp v3, v2 quad_perm:[1,0,3,2] row_mask:0xf bank_mask:0xf
	v_add_f32_e32 v2, v2, v3
	s_nop 1
	v_mov_b32_dpp v3, v2 quad_perm:[2,3,0,1] row_mask:0xf bank_mask:0xf
	s_and_saveexec_b64 s[24:25], s[0:1]
	s_cbranch_execnz .LBB72_18
; %bb.14:
	s_or_b64 exec, exec, s[24:25]
	s_mov_b64 s[8:9], -1
	s_and_b64 vcc, exec, s[22:23]
	s_cbranch_vccnz .LBB72_19
.LBB72_15:
	s_andn2_b64 vcc, exec, s[8:9]
	s_cbranch_vccz .LBB72_22
.LBB72_16:
	s_cmp_lt_i32 s16, 1
	s_cbranch_scc0 .LBB72_31
.LBB72_17:
	s_endpgm
.LBB72_18:
	v_add_f32_e32 v2, v2, v3
	v_cvt_f32_u32_e32 v3, s7
	s_mov_b32 s7, 0x800000
	v_cvt_f32_u32_sdwa v29, v122 dst_sel:DWORD dst_unused:UNUSED_PAD src0_sel:WORD_1
	v_cvt_f32_u32_sdwa v28, v122 dst_sel:DWORD dst_unused:UNUSED_PAD src0_sel:WORD_0
	v_div_scale_f32 v6, s[36:37], v3, v3, v2
	v_rcp_f32_e32 v7, v6
	v_cvt_f32_u32_sdwa v31, v123 dst_sel:DWORD dst_unused:UNUSED_PAD src0_sel:WORD_1
	v_cvt_f32_u32_sdwa v30, v123 dst_sel:DWORD dst_unused:UNUSED_PAD src0_sel:WORD_0
	v_cvt_f32_u32_sdwa v33, v116 dst_sel:DWORD dst_unused:UNUSED_PAD src0_sel:WORD_1
	v_fma_f32 v8, -v6, v7, 1.0
	v_fmac_f32_e32 v7, v8, v7
	v_div_scale_f32 v8, vcc, v2, v3, v2
	v_mul_f32_e32 v9, v8, v7
	v_fma_f32 v10, -v6, v9, v8
	v_fmac_f32_e32 v9, v10, v7
	v_fma_f32 v6, -v6, v9, v8
	v_div_fmas_f32 v6, v6, v7, v9
	v_div_fixup_f32 v2, v6, v3, v2
	v_mov_b32_e32 v3, s13
	v_mov_b32_e32 v6, s12
	v_cndmask_b32_e64 v3, v3, v6, s[8:9]
	v_add_f32_e32 v2, v3, v2
	v_mul_f32_e32 v3, 0x4b800000, v2
	v_cmp_gt_f32_e32 vcc, s7, v2
	v_cndmask_b32_e32 v2, v2, v3, vcc
	v_rsq_f32_e32 v2, v2
	v_cvt_f32_u32_sdwa v32, v116 dst_sel:DWORD dst_unused:UNUSED_PAD src0_sel:WORD_0
	v_cvt_f32_u32_sdwa v37, v117 dst_sel:DWORD dst_unused:UNUSED_PAD src0_sel:WORD_1
	v_cvt_f32_u32_sdwa v36, v117 dst_sel:DWORD dst_unused:UNUSED_PAD src0_sel:WORD_0
	v_mul_f32_e32 v3, 0x45800000, v2
	v_cndmask_b32_e32 v2, v2, v3, vcc
	v_mov_b32_e32 v3, v2
	;;#ASMSTART
	v_pk_mul_f32 v[6:7], v[34:35], v[2:3]
	;;#ASMEND
	;;#ASMSTART
	v_pk_mul_f32 v[4:5], v[4:5], v[2:3]
	;;#ASMEND
	;; [unrolled: 3-line block ×4, first 2 shown]
	buffer_load_dword v70, off, s[40:43], 0 offset:640 ; 4-byte Folded Reload
	buffer_load_dword v71, off, s[40:43], 0 offset:644 ; 4-byte Folded Reload
	;; [unrolled: 1-line block ×32, first 2 shown]
	v_cvt_f32_u32_sdwa v39, v118 dst_sel:DWORD dst_unused:UNUSED_PAD src0_sel:WORD_1
	v_cvt_f32_u32_sdwa v38, v118 dst_sel:DWORD dst_unused:UNUSED_PAD src0_sel:WORD_0
	v_cvt_f32_u32_sdwa v41, v119 dst_sel:DWORD dst_unused:UNUSED_PAD src0_sel:WORD_1
	v_cvt_f32_u32_sdwa v40, v119 dst_sel:DWORD dst_unused:UNUSED_PAD src0_sel:WORD_0
	v_cvt_f32_u32_sdwa v43, v112 dst_sel:DWORD dst_unused:UNUSED_PAD src0_sel:WORD_1
	v_cvt_f32_u32_sdwa v42, v112 dst_sel:DWORD dst_unused:UNUSED_PAD src0_sel:WORD_0
	v_cvt_f32_u32_sdwa v47, v113 dst_sel:DWORD dst_unused:UNUSED_PAD src0_sel:WORD_1
	v_cvt_f32_u32_sdwa v46, v113 dst_sel:DWORD dst_unused:UNUSED_PAD src0_sel:WORD_0
	v_cvt_f32_u32_sdwa v51, v114 dst_sel:DWORD dst_unused:UNUSED_PAD src0_sel:WORD_1
	v_cvt_f32_u32_sdwa v50, v114 dst_sel:DWORD dst_unused:UNUSED_PAD src0_sel:WORD_0
	v_cvt_f32_u32_sdwa v53, v115 dst_sel:DWORD dst_unused:UNUSED_PAD src0_sel:WORD_1
	v_cvt_f32_u32_sdwa v52, v115 dst_sel:DWORD dst_unused:UNUSED_PAD src0_sel:WORD_0
	s_waitcnt vmcnt(22)
	;;#ASMSTART
	v_pk_mul_f32 v[12:13], v[78:79], v[2:3]
	;;#ASMEND
	buffer_load_dword v70, off, s[40:43], 0 offset:512 ; 4-byte Folded Reload
	buffer_load_dword v71, off, s[40:43], 0 offset:516 ; 4-byte Folded Reload
	buffer_load_dword v72, off, s[40:43], 0 offset:520 ; 4-byte Folded Reload
	buffer_load_dword v73, off, s[40:43], 0 offset:524 ; 4-byte Folded Reload
	buffer_load_dword v74, off, s[40:43], 0 offset:528 ; 4-byte Folded Reload
	buffer_load_dword v75, off, s[40:43], 0 offset:532 ; 4-byte Folded Reload
	buffer_load_dword v76, off, s[40:43], 0 offset:536 ; 4-byte Folded Reload
	buffer_load_dword v77, off, s[40:43], 0 offset:540 ; 4-byte Folded Reload
	buffer_load_dword v78, off, s[40:43], 0 offset:544 ; 4-byte Folded Reload
	buffer_load_dword v79, off, s[40:43], 0 offset:548 ; 4-byte Folded Reload
	buffer_load_dword v80, off, s[40:43], 0 offset:552 ; 4-byte Folded Reload
	buffer_load_dword v81, off, s[40:43], 0 offset:556 ; 4-byte Folded Reload
	buffer_load_dword v82, off, s[40:43], 0 offset:560 ; 4-byte Folded Reload
	buffer_load_dword v83, off, s[40:43], 0 offset:564 ; 4-byte Folded Reload
	buffer_load_dword v84, off, s[40:43], 0 offset:568 ; 4-byte Folded Reload
	buffer_load_dword v85, off, s[40:43], 0 offset:572 ; 4-byte Folded Reload
	buffer_load_dword v86, off, s[40:43], 0 offset:576 ; 4-byte Folded Reload
	buffer_load_dword v87, off, s[40:43], 0 offset:580 ; 4-byte Folded Reload
	buffer_load_dword v88, off, s[40:43], 0 offset:584 ; 4-byte Folded Reload
	buffer_load_dword v89, off, s[40:43], 0 offset:588 ; 4-byte Folded Reload
	buffer_load_dword v90, off, s[40:43], 0 offset:592 ; 4-byte Folded Reload
	buffer_load_dword v91, off, s[40:43], 0 offset:596 ; 4-byte Folded Reload
	buffer_load_dword v92, off, s[40:43], 0 offset:600 ; 4-byte Folded Reload
	buffer_load_dword v93, off, s[40:43], 0 offset:604 ; 4-byte Folded Reload
	buffer_load_dword v94, off, s[40:43], 0 offset:608 ; 4-byte Folded Reload
	buffer_load_dword v95, off, s[40:43], 0 offset:612 ; 4-byte Folded Reload
	buffer_load_dword v96, off, s[40:43], 0 offset:616 ; 4-byte Folded Reload
	buffer_load_dword v97, off, s[40:43], 0 offset:620 ; 4-byte Folded Reload
	buffer_load_dword v98, off, s[40:43], 0 offset:624 ; 4-byte Folded Reload
	buffer_load_dword v99, off, s[40:43], 0 offset:628 ; 4-byte Folded Reload
	buffer_load_dword v100, off, s[40:43], 0 offset:632 ; 4-byte Folded Reload
	buffer_load_dword v101, off, s[40:43], 0 offset:636 ; 4-byte Folded Reload
	s_waitcnt vmcnt(20)
	;;#ASMSTART
	v_pk_mul_f32 v[14:15], v[80:81], v[2:3]
	;;#ASMEND
	buffer_load_dword v70, off, s[40:43], 0 offset:384 ; 4-byte Folded Reload
	buffer_load_dword v71, off, s[40:43], 0 offset:388 ; 4-byte Folded Reload
	buffer_load_dword v72, off, s[40:43], 0 offset:392 ; 4-byte Folded Reload
	buffer_load_dword v73, off, s[40:43], 0 offset:396 ; 4-byte Folded Reload
	buffer_load_dword v74, off, s[40:43], 0 offset:400 ; 4-byte Folded Reload
	buffer_load_dword v75, off, s[40:43], 0 offset:404 ; 4-byte Folded Reload
	buffer_load_dword v76, off, s[40:43], 0 offset:408 ; 4-byte Folded Reload
	buffer_load_dword v77, off, s[40:43], 0 offset:412 ; 4-byte Folded Reload
	buffer_load_dword v78, off, s[40:43], 0 offset:416 ; 4-byte Folded Reload
	buffer_load_dword v79, off, s[40:43], 0 offset:420 ; 4-byte Folded Reload
	buffer_load_dword v80, off, s[40:43], 0 offset:424 ; 4-byte Folded Reload
	buffer_load_dword v81, off, s[40:43], 0 offset:428 ; 4-byte Folded Reload
	buffer_load_dword v82, off, s[40:43], 0 offset:432 ; 4-byte Folded Reload
	buffer_load_dword v83, off, s[40:43], 0 offset:436 ; 4-byte Folded Reload
	buffer_load_dword v84, off, s[40:43], 0 offset:440 ; 4-byte Folded Reload
	buffer_load_dword v85, off, s[40:43], 0 offset:444 ; 4-byte Folded Reload
	buffer_load_dword v86, off, s[40:43], 0 offset:448 ; 4-byte Folded Reload
	buffer_load_dword v87, off, s[40:43], 0 offset:452 ; 4-byte Folded Reload
	buffer_load_dword v88, off, s[40:43], 0 offset:456 ; 4-byte Folded Reload
	buffer_load_dword v89, off, s[40:43], 0 offset:460 ; 4-byte Folded Reload
	buffer_load_dword v90, off, s[40:43], 0 offset:464 ; 4-byte Folded Reload
	buffer_load_dword v91, off, s[40:43], 0 offset:468 ; 4-byte Folded Reload
	buffer_load_dword v92, off, s[40:43], 0 offset:472 ; 4-byte Folded Reload
	buffer_load_dword v93, off, s[40:43], 0 offset:476 ; 4-byte Folded Reload
	buffer_load_dword v94, off, s[40:43], 0 offset:480 ; 4-byte Folded Reload
	buffer_load_dword v95, off, s[40:43], 0 offset:484 ; 4-byte Folded Reload
	buffer_load_dword v96, off, s[40:43], 0 offset:488 ; 4-byte Folded Reload
	buffer_load_dword v97, off, s[40:43], 0 offset:492 ; 4-byte Folded Reload
	buffer_load_dword v98, off, s[40:43], 0 offset:496 ; 4-byte Folded Reload
	buffer_load_dword v99, off, s[40:43], 0 offset:500 ; 4-byte Folded Reload
	buffer_load_dword v100, off, s[40:43], 0 offset:504 ; 4-byte Folded Reload
	buffer_load_dword v101, off, s[40:43], 0 offset:508 ; 4-byte Folded Reload
	s_waitcnt vmcnt(18)
	;;#ASMSTART
	v_pk_mul_f32 v[16:17], v[82:83], v[2:3]
	;;#ASMEND
	buffer_load_dword v70, off, s[40:43], 0 offset:128 ; 4-byte Folded Reload
	buffer_load_dword v71, off, s[40:43], 0 offset:132 ; 4-byte Folded Reload
	buffer_load_dword v72, off, s[40:43], 0 offset:136 ; 4-byte Folded Reload
	buffer_load_dword v73, off, s[40:43], 0 offset:140 ; 4-byte Folded Reload
	buffer_load_dword v74, off, s[40:43], 0 offset:144 ; 4-byte Folded Reload
	buffer_load_dword v75, off, s[40:43], 0 offset:148 ; 4-byte Folded Reload
	buffer_load_dword v76, off, s[40:43], 0 offset:152 ; 4-byte Folded Reload
	buffer_load_dword v77, off, s[40:43], 0 offset:156 ; 4-byte Folded Reload
	buffer_load_dword v78, off, s[40:43], 0 offset:160 ; 4-byte Folded Reload
	buffer_load_dword v79, off, s[40:43], 0 offset:164 ; 4-byte Folded Reload
	buffer_load_dword v80, off, s[40:43], 0 offset:168 ; 4-byte Folded Reload
	buffer_load_dword v81, off, s[40:43], 0 offset:172 ; 4-byte Folded Reload
	buffer_load_dword v82, off, s[40:43], 0 offset:176 ; 4-byte Folded Reload
	buffer_load_dword v83, off, s[40:43], 0 offset:180 ; 4-byte Folded Reload
	buffer_load_dword v84, off, s[40:43], 0 offset:184 ; 4-byte Folded Reload
	buffer_load_dword v85, off, s[40:43], 0 offset:188 ; 4-byte Folded Reload
	buffer_load_dword v86, off, s[40:43], 0 offset:192 ; 4-byte Folded Reload
	buffer_load_dword v87, off, s[40:43], 0 offset:196 ; 4-byte Folded Reload
	buffer_load_dword v88, off, s[40:43], 0 offset:200 ; 4-byte Folded Reload
	buffer_load_dword v89, off, s[40:43], 0 offset:204 ; 4-byte Folded Reload
	buffer_load_dword v90, off, s[40:43], 0 offset:208 ; 4-byte Folded Reload
	buffer_load_dword v91, off, s[40:43], 0 offset:212 ; 4-byte Folded Reload
	buffer_load_dword v92, off, s[40:43], 0 offset:216 ; 4-byte Folded Reload
	buffer_load_dword v93, off, s[40:43], 0 offset:220 ; 4-byte Folded Reload
	buffer_load_dword v94, off, s[40:43], 0 offset:224 ; 4-byte Folded Reload
	buffer_load_dword v95, off, s[40:43], 0 offset:228 ; 4-byte Folded Reload
	buffer_load_dword v96, off, s[40:43], 0 offset:232 ; 4-byte Folded Reload
	buffer_load_dword v97, off, s[40:43], 0 offset:236 ; 4-byte Folded Reload
	buffer_load_dword v98, off, s[40:43], 0 offset:240 ; 4-byte Folded Reload
	buffer_load_dword v99, off, s[40:43], 0 offset:244 ; 4-byte Folded Reload
	buffer_load_dword v100, off, s[40:43], 0 offset:248 ; 4-byte Folded Reload
	buffer_load_dword v101, off, s[40:43], 0 offset:252 ; 4-byte Folded Reload
	s_waitcnt vmcnt(16)
	;;#ASMSTART
	v_pk_mul_f32 v[18:19], v[84:85], v[2:3]
	;;#ASMEND
	buffer_load_dword v70, off, s[40:43], 0 offset:256 ; 4-byte Folded Reload
	buffer_load_dword v71, off, s[40:43], 0 offset:260 ; 4-byte Folded Reload
	buffer_load_dword v72, off, s[40:43], 0 offset:264 ; 4-byte Folded Reload
	buffer_load_dword v73, off, s[40:43], 0 offset:268 ; 4-byte Folded Reload
	buffer_load_dword v74, off, s[40:43], 0 offset:272 ; 4-byte Folded Reload
	buffer_load_dword v75, off, s[40:43], 0 offset:276 ; 4-byte Folded Reload
	buffer_load_dword v76, off, s[40:43], 0 offset:280 ; 4-byte Folded Reload
	buffer_load_dword v77, off, s[40:43], 0 offset:284 ; 4-byte Folded Reload
	buffer_load_dword v78, off, s[40:43], 0 offset:288 ; 4-byte Folded Reload
	buffer_load_dword v79, off, s[40:43], 0 offset:292 ; 4-byte Folded Reload
	buffer_load_dword v80, off, s[40:43], 0 offset:296 ; 4-byte Folded Reload
	buffer_load_dword v81, off, s[40:43], 0 offset:300 ; 4-byte Folded Reload
	buffer_load_dword v82, off, s[40:43], 0 offset:304 ; 4-byte Folded Reload
	buffer_load_dword v83, off, s[40:43], 0 offset:308 ; 4-byte Folded Reload
	buffer_load_dword v84, off, s[40:43], 0 offset:312 ; 4-byte Folded Reload
	buffer_load_dword v85, off, s[40:43], 0 offset:316 ; 4-byte Folded Reload
	buffer_load_dword v86, off, s[40:43], 0 offset:320 ; 4-byte Folded Reload
	buffer_load_dword v87, off, s[40:43], 0 offset:324 ; 4-byte Folded Reload
	buffer_load_dword v88, off, s[40:43], 0 offset:328 ; 4-byte Folded Reload
	buffer_load_dword v89, off, s[40:43], 0 offset:332 ; 4-byte Folded Reload
	buffer_load_dword v90, off, s[40:43], 0 offset:336 ; 4-byte Folded Reload
	buffer_load_dword v91, off, s[40:43], 0 offset:340 ; 4-byte Folded Reload
	buffer_load_dword v92, off, s[40:43], 0 offset:344 ; 4-byte Folded Reload
	buffer_load_dword v93, off, s[40:43], 0 offset:348 ; 4-byte Folded Reload
	buffer_load_dword v94, off, s[40:43], 0 offset:352 ; 4-byte Folded Reload
	buffer_load_dword v95, off, s[40:43], 0 offset:356 ; 4-byte Folded Reload
	buffer_load_dword v96, off, s[40:43], 0 offset:360 ; 4-byte Folded Reload
	buffer_load_dword v97, off, s[40:43], 0 offset:364 ; 4-byte Folded Reload
	buffer_load_dword v98, off, s[40:43], 0 offset:368 ; 4-byte Folded Reload
	buffer_load_dword v99, off, s[40:43], 0 offset:372 ; 4-byte Folded Reload
	buffer_load_dword v100, off, s[40:43], 0 offset:376 ; 4-byte Folded Reload
	buffer_load_dword v101, off, s[40:43], 0 offset:380 ; 4-byte Folded Reload
	s_waitcnt vmcnt(14)
	;;#ASMSTART
	v_pk_mul_f32 v[20:21], v[86:87], v[2:3]
	;;#ASMEND
	buffer_load_dword v70, off, s[40:43], 0 ; 4-byte Folded Reload
	buffer_load_dword v71, off, s[40:43], 0 offset:4 ; 4-byte Folded Reload
	buffer_load_dword v72, off, s[40:43], 0 offset:8 ; 4-byte Folded Reload
	buffer_load_dword v73, off, s[40:43], 0 offset:12 ; 4-byte Folded Reload
	buffer_load_dword v74, off, s[40:43], 0 offset:16 ; 4-byte Folded Reload
	buffer_load_dword v75, off, s[40:43], 0 offset:20 ; 4-byte Folded Reload
	buffer_load_dword v76, off, s[40:43], 0 offset:24 ; 4-byte Folded Reload
	buffer_load_dword v77, off, s[40:43], 0 offset:28 ; 4-byte Folded Reload
	buffer_load_dword v78, off, s[40:43], 0 offset:32 ; 4-byte Folded Reload
	buffer_load_dword v79, off, s[40:43], 0 offset:36 ; 4-byte Folded Reload
	buffer_load_dword v80, off, s[40:43], 0 offset:40 ; 4-byte Folded Reload
	buffer_load_dword v81, off, s[40:43], 0 offset:44 ; 4-byte Folded Reload
	buffer_load_dword v82, off, s[40:43], 0 offset:48 ; 4-byte Folded Reload
	buffer_load_dword v83, off, s[40:43], 0 offset:52 ; 4-byte Folded Reload
	buffer_load_dword v84, off, s[40:43], 0 offset:56 ; 4-byte Folded Reload
	buffer_load_dword v85, off, s[40:43], 0 offset:60 ; 4-byte Folded Reload
	buffer_load_dword v86, off, s[40:43], 0 offset:64 ; 4-byte Folded Reload
	buffer_load_dword v87, off, s[40:43], 0 offset:68 ; 4-byte Folded Reload
	buffer_load_dword v88, off, s[40:43], 0 offset:72 ; 4-byte Folded Reload
	buffer_load_dword v89, off, s[40:43], 0 offset:76 ; 4-byte Folded Reload
	buffer_load_dword v90, off, s[40:43], 0 offset:80 ; 4-byte Folded Reload
	buffer_load_dword v91, off, s[40:43], 0 offset:84 ; 4-byte Folded Reload
	buffer_load_dword v92, off, s[40:43], 0 offset:88 ; 4-byte Folded Reload
	buffer_load_dword v93, off, s[40:43], 0 offset:92 ; 4-byte Folded Reload
	buffer_load_dword v94, off, s[40:43], 0 offset:96 ; 4-byte Folded Reload
	buffer_load_dword v95, off, s[40:43], 0 offset:100 ; 4-byte Folded Reload
	buffer_load_dword v96, off, s[40:43], 0 offset:104 ; 4-byte Folded Reload
	buffer_load_dword v97, off, s[40:43], 0 offset:108 ; 4-byte Folded Reload
	buffer_load_dword v98, off, s[40:43], 0 offset:112 ; 4-byte Folded Reload
	buffer_load_dword v99, off, s[40:43], 0 offset:116 ; 4-byte Folded Reload
	buffer_load_dword v100, off, s[40:43], 0 offset:120 ; 4-byte Folded Reload
	buffer_load_dword v101, off, s[40:43], 0 offset:124 ; 4-byte Folded Reload
	s_waitcnt vmcnt(12)
	;;#ASMSTART
	v_pk_mul_f32 v[22:23], v[88:89], v[2:3]
	;;#ASMEND
	;;#ASMSTART
	v_pk_mul_f32 v[24:25], v[24:25], v[2:3]
	;;#ASMEND
	;; [unrolled: 3-line block ×3, first 2 shown]
	v_cvt_f32_u32_sdwa v3, v120 dst_sel:DWORD dst_unused:UNUSED_PAD src0_sel:WORD_1
	v_cvt_f32_u32_sdwa v2, v120 dst_sel:DWORD dst_unused:UNUSED_PAD src0_sel:WORD_0
	v_cvt_f32_u32_sdwa v27, v121 dst_sel:DWORD dst_unused:UNUSED_PAD src0_sel:WORD_1
	v_cvt_f32_u32_sdwa v26, v121 dst_sel:DWORD dst_unused:UNUSED_PAD src0_sel:WORD_0
	;;#ASMSTART
	v_pk_mul_f32 v[34:35], v[6:7], v[2:3]
	;;#ASMEND
	;;#ASMSTART
	v_pk_mul_f32 v[4:5], v[4:5], v[26:27]
	;;#ASMEND
	;; [unrolled: 3-line block ×5, first 2 shown]
	buffer_store_dword v0, off, s[40:43], 0 offset:640 ; 4-byte Folded Spill
	s_nop 0
	buffer_store_dword v1, off, s[40:43], 0 offset:644 ; 4-byte Folded Spill
	buffer_store_dword v2, off, s[40:43], 0 offset:648 ; 4-byte Folded Spill
	buffer_store_dword v3, off, s[40:43], 0 offset:652 ; 4-byte Folded Spill
	buffer_store_dword v4, off, s[40:43], 0 offset:656 ; 4-byte Folded Spill
	buffer_store_dword v5, off, s[40:43], 0 offset:660 ; 4-byte Folded Spill
	buffer_store_dword v6, off, s[40:43], 0 offset:664 ; 4-byte Folded Spill
	buffer_store_dword v7, off, s[40:43], 0 offset:668 ; 4-byte Folded Spill
	buffer_store_dword v8, off, s[40:43], 0 offset:672 ; 4-byte Folded Spill
	buffer_store_dword v9, off, s[40:43], 0 offset:676 ; 4-byte Folded Spill
	buffer_store_dword v10, off, s[40:43], 0 offset:680 ; 4-byte Folded Spill
	buffer_store_dword v11, off, s[40:43], 0 offset:684 ; 4-byte Folded Spill
	buffer_store_dword v12, off, s[40:43], 0 offset:688 ; 4-byte Folded Spill
	buffer_store_dword v13, off, s[40:43], 0 offset:692 ; 4-byte Folded Spill
	buffer_store_dword v14, off, s[40:43], 0 offset:696 ; 4-byte Folded Spill
	buffer_store_dword v15, off, s[40:43], 0 offset:700 ; 4-byte Folded Spill
	buffer_store_dword v16, off, s[40:43], 0 offset:704 ; 4-byte Folded Spill
	buffer_store_dword v17, off, s[40:43], 0 offset:708 ; 4-byte Folded Spill
	buffer_store_dword v18, off, s[40:43], 0 offset:712 ; 4-byte Folded Spill
	buffer_store_dword v19, off, s[40:43], 0 offset:716 ; 4-byte Folded Spill
	buffer_store_dword v20, off, s[40:43], 0 offset:720 ; 4-byte Folded Spill
	buffer_store_dword v21, off, s[40:43], 0 offset:724 ; 4-byte Folded Spill
	buffer_store_dword v22, off, s[40:43], 0 offset:728 ; 4-byte Folded Spill
	buffer_store_dword v23, off, s[40:43], 0 offset:732 ; 4-byte Folded Spill
	buffer_store_dword v24, off, s[40:43], 0 offset:736 ; 4-byte Folded Spill
	buffer_store_dword v25, off, s[40:43], 0 offset:740 ; 4-byte Folded Spill
	buffer_store_dword v26, off, s[40:43], 0 offset:744 ; 4-byte Folded Spill
	buffer_store_dword v27, off, s[40:43], 0 offset:748 ; 4-byte Folded Spill
	buffer_store_dword v28, off, s[40:43], 0 offset:752 ; 4-byte Folded Spill
	buffer_store_dword v29, off, s[40:43], 0 offset:756 ; 4-byte Folded Spill
	buffer_store_dword v30, off, s[40:43], 0 offset:760 ; 4-byte Folded Spill
	buffer_store_dword v31, off, s[40:43], 0 offset:764 ; 4-byte Folded Spill
	;;#ASMSTART
	v_pk_mul_f32 v[10:11], v[14:15], v[36:37]
	;;#ASMEND
	buffer_store_dword v0, off, s[40:43], 0 offset:512 ; 4-byte Folded Spill
	s_nop 0
	buffer_store_dword v1, off, s[40:43], 0 offset:516 ; 4-byte Folded Spill
	buffer_store_dword v2, off, s[40:43], 0 offset:520 ; 4-byte Folded Spill
	buffer_store_dword v3, off, s[40:43], 0 offset:524 ; 4-byte Folded Spill
	buffer_store_dword v4, off, s[40:43], 0 offset:528 ; 4-byte Folded Spill
	buffer_store_dword v5, off, s[40:43], 0 offset:532 ; 4-byte Folded Spill
	buffer_store_dword v6, off, s[40:43], 0 offset:536 ; 4-byte Folded Spill
	buffer_store_dword v7, off, s[40:43], 0 offset:540 ; 4-byte Folded Spill
	buffer_store_dword v8, off, s[40:43], 0 offset:544 ; 4-byte Folded Spill
	buffer_store_dword v9, off, s[40:43], 0 offset:548 ; 4-byte Folded Spill
	buffer_store_dword v10, off, s[40:43], 0 offset:552 ; 4-byte Folded Spill
	buffer_store_dword v11, off, s[40:43], 0 offset:556 ; 4-byte Folded Spill
	buffer_store_dword v12, off, s[40:43], 0 offset:560 ; 4-byte Folded Spill
	buffer_store_dword v13, off, s[40:43], 0 offset:564 ; 4-byte Folded Spill
	buffer_store_dword v14, off, s[40:43], 0 offset:568 ; 4-byte Folded Spill
	buffer_store_dword v15, off, s[40:43], 0 offset:572 ; 4-byte Folded Spill
	buffer_store_dword v16, off, s[40:43], 0 offset:576 ; 4-byte Folded Spill
	buffer_store_dword v17, off, s[40:43], 0 offset:580 ; 4-byte Folded Spill
	buffer_store_dword v18, off, s[40:43], 0 offset:584 ; 4-byte Folded Spill
	buffer_store_dword v19, off, s[40:43], 0 offset:588 ; 4-byte Folded Spill
	buffer_store_dword v20, off, s[40:43], 0 offset:592 ; 4-byte Folded Spill
	buffer_store_dword v21, off, s[40:43], 0 offset:596 ; 4-byte Folded Spill
	buffer_store_dword v22, off, s[40:43], 0 offset:600 ; 4-byte Folded Spill
	buffer_store_dword v23, off, s[40:43], 0 offset:604 ; 4-byte Folded Spill
	buffer_store_dword v24, off, s[40:43], 0 offset:608 ; 4-byte Folded Spill
	buffer_store_dword v25, off, s[40:43], 0 offset:612 ; 4-byte Folded Spill
	buffer_store_dword v26, off, s[40:43], 0 offset:616 ; 4-byte Folded Spill
	buffer_store_dword v27, off, s[40:43], 0 offset:620 ; 4-byte Folded Spill
	buffer_store_dword v28, off, s[40:43], 0 offset:624 ; 4-byte Folded Spill
	buffer_store_dword v29, off, s[40:43], 0 offset:628 ; 4-byte Folded Spill
	buffer_store_dword v30, off, s[40:43], 0 offset:632 ; 4-byte Folded Spill
	buffer_store_dword v31, off, s[40:43], 0 offset:636 ; 4-byte Folded Spill
	;;#ASMSTART
	v_pk_mul_f32 v[12:13], v[16:17], v[38:39]
	;;#ASMEND
	;; [unrolled: 36-line block ×5, first 2 shown]
	buffer_store_dword v0, off, s[40:43], 0 ; 4-byte Folded Spill
	s_nop 0
	buffer_store_dword v1, off, s[40:43], 0 offset:4 ; 4-byte Folded Spill
	buffer_store_dword v2, off, s[40:43], 0 offset:8 ; 4-byte Folded Spill
	;; [unrolled: 1-line block ×31, first 2 shown]
	;;#ASMSTART
	v_pk_mul_f32 v[24:25], v[24:25], v[50:51]
	;;#ASMEND
	;;#ASMSTART
	v_pk_mul_f32 v[26:27], v[54:55], v[52:53]
	;;#ASMEND
	s_or_b64 exec, exec, s[24:25]
	s_mov_b64 s[8:9], -1
	s_and_b64 vcc, exec, s[22:23]
	s_cbranch_vccz .LBB72_15
.LBB72_19:
	s_and_saveexec_b64 s[8:9], s[0:1]
	s_cbranch_execz .LBB72_21
; %bb.20:
	s_mul_hi_i32 s23, s28, s6
	s_mul_i32 s22, s28, s6
	s_lshl_b64 s[22:23], s[22:23], 1
	s_add_u32 s24, s30, s22
	s_addc_u32 s7, s31, s23
	s_and_b32 s25, s7, 0xffff
	s_mov_b32 s7, 0x7060302
	s_mov_b32 s27, 0x20000
	v_perm_b32 v9, v79, v78, s7
	v_perm_b32 v8, v71, v70, s7
	;; [unrolled: 1-line block ×4, first 2 shown]
	v_lshlrev_b32_e32 v2, 1, v68
	buffer_store_dwordx4 v[6:9], v2, s[24:27], 0 offen
	;;#ASMSTART
	s_nop 0
	;;#ASMEND
	buffer_load_dword v80, off, s[40:43], 0 offset:128 ; 4-byte Folded Reload
	buffer_load_dword v81, off, s[40:43], 0 offset:132 ; 4-byte Folded Reload
	;; [unrolled: 1-line block ×32, first 2 shown]
	s_movk_i32 s12, 0x400
	s_waitcnt vmcnt(16)
	v_perm_b32 v9, v95, v94, s7
	buffer_load_dword v80, off, s[40:43], 0 offset:384 ; 4-byte Folded Reload
	buffer_load_dword v81, off, s[40:43], 0 offset:388 ; 4-byte Folded Reload
	buffer_load_dword v82, off, s[40:43], 0 offset:392 ; 4-byte Folded Reload
	buffer_load_dword v83, off, s[40:43], 0 offset:396 ; 4-byte Folded Reload
	buffer_load_dword v84, off, s[40:43], 0 offset:400 ; 4-byte Folded Reload
	buffer_load_dword v85, off, s[40:43], 0 offset:404 ; 4-byte Folded Reload
	buffer_load_dword v86, off, s[40:43], 0 offset:408 ; 4-byte Folded Reload
	buffer_load_dword v87, off, s[40:43], 0 offset:412 ; 4-byte Folded Reload
	buffer_load_dword v88, off, s[40:43], 0 offset:416 ; 4-byte Folded Reload
	buffer_load_dword v89, off, s[40:43], 0 offset:420 ; 4-byte Folded Reload
	buffer_load_dword v90, off, s[40:43], 0 offset:424 ; 4-byte Folded Reload
	buffer_load_dword v91, off, s[40:43], 0 offset:428 ; 4-byte Folded Reload
	buffer_load_dword v92, off, s[40:43], 0 offset:432 ; 4-byte Folded Reload
	buffer_load_dword v93, off, s[40:43], 0 offset:436 ; 4-byte Folded Reload
	buffer_load_dword v94, off, s[40:43], 0 offset:440 ; 4-byte Folded Reload
	buffer_load_dword v95, off, s[40:43], 0 offset:444 ; 4-byte Folded Reload
	buffer_load_dword v96, off, s[40:43], 0 offset:448 ; 4-byte Folded Reload
	buffer_load_dword v97, off, s[40:43], 0 offset:452 ; 4-byte Folded Reload
	buffer_load_dword v98, off, s[40:43], 0 offset:456 ; 4-byte Folded Reload
	buffer_load_dword v99, off, s[40:43], 0 offset:460 ; 4-byte Folded Reload
	buffer_load_dword v100, off, s[40:43], 0 offset:464 ; 4-byte Folded Reload
	buffer_load_dword v101, off, s[40:43], 0 offset:468 ; 4-byte Folded Reload
	buffer_load_dword v102, off, s[40:43], 0 offset:472 ; 4-byte Folded Reload
	buffer_load_dword v103, off, s[40:43], 0 offset:476 ; 4-byte Folded Reload
	buffer_load_dword v104, off, s[40:43], 0 offset:480 ; 4-byte Folded Reload
	buffer_load_dword v105, off, s[40:43], 0 offset:484 ; 4-byte Folded Reload
	buffer_load_dword v106, off, s[40:43], 0 offset:488 ; 4-byte Folded Reload
	buffer_load_dword v107, off, s[40:43], 0 offset:492 ; 4-byte Folded Reload
	buffer_load_dword v108, off, s[40:43], 0 offset:496 ; 4-byte Folded Reload
	buffer_load_dword v109, off, s[40:43], 0 offset:500 ; 4-byte Folded Reload
	buffer_load_dword v110, off, s[40:43], 0 offset:504 ; 4-byte Folded Reload
	buffer_load_dword v111, off, s[40:43], 0 offset:508 ; 4-byte Folded Reload
	s_waitcnt vmcnt(18)
	v_perm_b32 v8, v93, v92, s7
	buffer_load_dword v80, off, s[40:43], 0 offset:512 ; 4-byte Folded Reload
	buffer_load_dword v81, off, s[40:43], 0 offset:516 ; 4-byte Folded Reload
	buffer_load_dword v82, off, s[40:43], 0 offset:520 ; 4-byte Folded Reload
	buffer_load_dword v83, off, s[40:43], 0 offset:524 ; 4-byte Folded Reload
	buffer_load_dword v84, off, s[40:43], 0 offset:528 ; 4-byte Folded Reload
	buffer_load_dword v85, off, s[40:43], 0 offset:532 ; 4-byte Folded Reload
	buffer_load_dword v86, off, s[40:43], 0 offset:536 ; 4-byte Folded Reload
	buffer_load_dword v87, off, s[40:43], 0 offset:540 ; 4-byte Folded Reload
	buffer_load_dword v88, off, s[40:43], 0 offset:544 ; 4-byte Folded Reload
	buffer_load_dword v89, off, s[40:43], 0 offset:548 ; 4-byte Folded Reload
	buffer_load_dword v90, off, s[40:43], 0 offset:552 ; 4-byte Folded Reload
	buffer_load_dword v91, off, s[40:43], 0 offset:556 ; 4-byte Folded Reload
	buffer_load_dword v92, off, s[40:43], 0 offset:560 ; 4-byte Folded Reload
	buffer_load_dword v93, off, s[40:43], 0 offset:564 ; 4-byte Folded Reload
	buffer_load_dword v94, off, s[40:43], 0 offset:568 ; 4-byte Folded Reload
	buffer_load_dword v95, off, s[40:43], 0 offset:572 ; 4-byte Folded Reload
	buffer_load_dword v96, off, s[40:43], 0 offset:576 ; 4-byte Folded Reload
	buffer_load_dword v97, off, s[40:43], 0 offset:580 ; 4-byte Folded Reload
	buffer_load_dword v98, off, s[40:43], 0 offset:584 ; 4-byte Folded Reload
	buffer_load_dword v99, off, s[40:43], 0 offset:588 ; 4-byte Folded Reload
	buffer_load_dword v100, off, s[40:43], 0 offset:592 ; 4-byte Folded Reload
	buffer_load_dword v101, off, s[40:43], 0 offset:596 ; 4-byte Folded Reload
	buffer_load_dword v102, off, s[40:43], 0 offset:600 ; 4-byte Folded Reload
	buffer_load_dword v103, off, s[40:43], 0 offset:604 ; 4-byte Folded Reload
	buffer_load_dword v104, off, s[40:43], 0 offset:608 ; 4-byte Folded Reload
	buffer_load_dword v105, off, s[40:43], 0 offset:612 ; 4-byte Folded Reload
	buffer_load_dword v106, off, s[40:43], 0 offset:616 ; 4-byte Folded Reload
	buffer_load_dword v107, off, s[40:43], 0 offset:620 ; 4-byte Folded Reload
	buffer_load_dword v108, off, s[40:43], 0 offset:624 ; 4-byte Folded Reload
	buffer_load_dword v109, off, s[40:43], 0 offset:628 ; 4-byte Folded Reload
	buffer_load_dword v110, off, s[40:43], 0 offset:632 ; 4-byte Folded Reload
	buffer_load_dword v111, off, s[40:43], 0 offset:636 ; 4-byte Folded Reload
	;; [unrolled: 34-line block ×3, first 2 shown]
	s_waitcnt vmcnt(22)
	v_perm_b32 v6, v89, v88, s7
	buffer_store_dwordx4 v[6:9], v2, s[24:27], s12 offen
	;;#ASMSTART
	s_nop 0
	;;#ASMEND
	buffer_load_dword v80, off, s[40:43], 0 ; 4-byte Folded Reload
	buffer_load_dword v81, off, s[40:43], 0 offset:4 ; 4-byte Folded Reload
	buffer_load_dword v82, off, s[40:43], 0 offset:8 ; 4-byte Folded Reload
	buffer_load_dword v83, off, s[40:43], 0 offset:12 ; 4-byte Folded Reload
	buffer_load_dword v84, off, s[40:43], 0 offset:16 ; 4-byte Folded Reload
	buffer_load_dword v85, off, s[40:43], 0 offset:20 ; 4-byte Folded Reload
	buffer_load_dword v86, off, s[40:43], 0 offset:24 ; 4-byte Folded Reload
	buffer_load_dword v87, off, s[40:43], 0 offset:28 ; 4-byte Folded Reload
	buffer_load_dword v88, off, s[40:43], 0 offset:32 ; 4-byte Folded Reload
	buffer_load_dword v89, off, s[40:43], 0 offset:36 ; 4-byte Folded Reload
	buffer_load_dword v90, off, s[40:43], 0 offset:40 ; 4-byte Folded Reload
	buffer_load_dword v91, off, s[40:43], 0 offset:44 ; 4-byte Folded Reload
	buffer_load_dword v92, off, s[40:43], 0 offset:48 ; 4-byte Folded Reload
	buffer_load_dword v93, off, s[40:43], 0 offset:52 ; 4-byte Folded Reload
	buffer_load_dword v94, off, s[40:43], 0 offset:56 ; 4-byte Folded Reload
	buffer_load_dword v95, off, s[40:43], 0 offset:60 ; 4-byte Folded Reload
	buffer_load_dword v96, off, s[40:43], 0 offset:64 ; 4-byte Folded Reload
	buffer_load_dword v97, off, s[40:43], 0 offset:68 ; 4-byte Folded Reload
	buffer_load_dword v98, off, s[40:43], 0 offset:72 ; 4-byte Folded Reload
	buffer_load_dword v99, off, s[40:43], 0 offset:76 ; 4-byte Folded Reload
	buffer_load_dword v100, off, s[40:43], 0 offset:80 ; 4-byte Folded Reload
	buffer_load_dword v101, off, s[40:43], 0 offset:84 ; 4-byte Folded Reload
	buffer_load_dword v102, off, s[40:43], 0 offset:88 ; 4-byte Folded Reload
	buffer_load_dword v103, off, s[40:43], 0 offset:92 ; 4-byte Folded Reload
	buffer_load_dword v104, off, s[40:43], 0 offset:96 ; 4-byte Folded Reload
	buffer_load_dword v105, off, s[40:43], 0 offset:100 ; 4-byte Folded Reload
	buffer_load_dword v106, off, s[40:43], 0 offset:104 ; 4-byte Folded Reload
	buffer_load_dword v107, off, s[40:43], 0 offset:108 ; 4-byte Folded Reload
	buffer_load_dword v108, off, s[40:43], 0 offset:112 ; 4-byte Folded Reload
	buffer_load_dword v109, off, s[40:43], 0 offset:116 ; 4-byte Folded Reload
	buffer_load_dword v110, off, s[40:43], 0 offset:120 ; 4-byte Folded Reload
	buffer_load_dword v111, off, s[40:43], 0 offset:124 ; 4-byte Folded Reload
	v_perm_b32 v9, v27, v26, s7
	v_perm_b32 v8, v25, v24, s7
	s_waitcnt vmcnt(12)
	v_perm_b32 v7, v99, v98, s7
	buffer_load_dword v80, off, s[40:43], 0 offset:256 ; 4-byte Folded Reload
	buffer_load_dword v81, off, s[40:43], 0 offset:260 ; 4-byte Folded Reload
	;; [unrolled: 1-line block ×32, first 2 shown]
	s_waitcnt vmcnt(14)
	v_perm_b32 v6, v97, v96, s7
	s_movk_i32 s7, 0x800
	buffer_store_dwordx4 v[6:9], v2, s[24:27], s7 offen
	;;#ASMSTART
	s_nop 0
	;;#ASMEND
.LBB72_21:
	s_or_b64 exec, exec, s[8:9]
	s_cbranch_execnz .LBB72_16
.LBB72_22:
	v_mov_b32_e32 v2, 0
	s_and_saveexec_b64 s[8:9], s[0:1]
	s_cbranch_execz .LBB72_24
; %bb.23:
	v_and_b32_e32 v2, 0x7fffffff, v34
	v_and_b32_e32 v3, 0x7fffffff, v35
	v_mov_b32_e32 v6, 0x2edbe6ff
	;;#ASMSTART
	v_max3_f32 v2, v6, v2, v3

	;;#ASMEND
	v_and_b32_e32 v3, 0x7fffffff, v4
	v_and_b32_e32 v6, 0x7fffffff, v5
	;;#ASMSTART
	v_max3_f32 v2, v2, v3, v6

	;;#ASMEND
	v_and_b32_e32 v3, 0x7fffffff, v70
	v_and_b32_e32 v6, 0x7fffffff, v71
	;; [unrolled: 6-line block ×3, first 2 shown]
	;;#ASMSTART
	v_max3_f32 v2, v2, v3, v6

	;;#ASMEND
	buffer_load_dword v80, off, s[40:43], 0 offset:640 ; 4-byte Folded Reload
	buffer_load_dword v81, off, s[40:43], 0 offset:644 ; 4-byte Folded Reload
	buffer_load_dword v82, off, s[40:43], 0 offset:648 ; 4-byte Folded Reload
	buffer_load_dword v83, off, s[40:43], 0 offset:652 ; 4-byte Folded Reload
	buffer_load_dword v84, off, s[40:43], 0 offset:656 ; 4-byte Folded Reload
	buffer_load_dword v85, off, s[40:43], 0 offset:660 ; 4-byte Folded Reload
	buffer_load_dword v86, off, s[40:43], 0 offset:664 ; 4-byte Folded Reload
	buffer_load_dword v87, off, s[40:43], 0 offset:668 ; 4-byte Folded Reload
	buffer_load_dword v88, off, s[40:43], 0 offset:672 ; 4-byte Folded Reload
	buffer_load_dword v89, off, s[40:43], 0 offset:676 ; 4-byte Folded Reload
	buffer_load_dword v90, off, s[40:43], 0 offset:680 ; 4-byte Folded Reload
	buffer_load_dword v91, off, s[40:43], 0 offset:684 ; 4-byte Folded Reload
	buffer_load_dword v92, off, s[40:43], 0 offset:688 ; 4-byte Folded Reload
	buffer_load_dword v93, off, s[40:43], 0 offset:692 ; 4-byte Folded Reload
	buffer_load_dword v94, off, s[40:43], 0 offset:696 ; 4-byte Folded Reload
	buffer_load_dword v95, off, s[40:43], 0 offset:700 ; 4-byte Folded Reload
	buffer_load_dword v96, off, s[40:43], 0 offset:704 ; 4-byte Folded Reload
	buffer_load_dword v97, off, s[40:43], 0 offset:708 ; 4-byte Folded Reload
	buffer_load_dword v98, off, s[40:43], 0 offset:712 ; 4-byte Folded Reload
	buffer_load_dword v99, off, s[40:43], 0 offset:716 ; 4-byte Folded Reload
	buffer_load_dword v100, off, s[40:43], 0 offset:720 ; 4-byte Folded Reload
	buffer_load_dword v101, off, s[40:43], 0 offset:724 ; 4-byte Folded Reload
	buffer_load_dword v102, off, s[40:43], 0 offset:728 ; 4-byte Folded Reload
	buffer_load_dword v103, off, s[40:43], 0 offset:732 ; 4-byte Folded Reload
	buffer_load_dword v104, off, s[40:43], 0 offset:736 ; 4-byte Folded Reload
	buffer_load_dword v105, off, s[40:43], 0 offset:740 ; 4-byte Folded Reload
	buffer_load_dword v106, off, s[40:43], 0 offset:744 ; 4-byte Folded Reload
	buffer_load_dword v107, off, s[40:43], 0 offset:748 ; 4-byte Folded Reload
	buffer_load_dword v108, off, s[40:43], 0 offset:752 ; 4-byte Folded Reload
	buffer_load_dword v109, off, s[40:43], 0 offset:756 ; 4-byte Folded Reload
	buffer_load_dword v110, off, s[40:43], 0 offset:760 ; 4-byte Folded Reload
	buffer_load_dword v111, off, s[40:43], 0 offset:764 ; 4-byte Folded Reload
	s_waitcnt vmcnt(22)
	v_pk_mov_b32 v[8:9], v[88:89], v[88:89] op_sel:[0,1]
	v_and_b32_e32 v3, 0x7fffffff, v8
	v_and_b32_e32 v6, 0x7fffffff, v9
	;;#ASMSTART
	v_max3_f32 v2, v2, v3, v6

	;;#ASMEND
	buffer_load_dword v80, off, s[40:43], 0 offset:512 ; 4-byte Folded Reload
	buffer_load_dword v81, off, s[40:43], 0 offset:516 ; 4-byte Folded Reload
	buffer_load_dword v82, off, s[40:43], 0 offset:520 ; 4-byte Folded Reload
	buffer_load_dword v83, off, s[40:43], 0 offset:524 ; 4-byte Folded Reload
	buffer_load_dword v84, off, s[40:43], 0 offset:528 ; 4-byte Folded Reload
	buffer_load_dword v85, off, s[40:43], 0 offset:532 ; 4-byte Folded Reload
	buffer_load_dword v86, off, s[40:43], 0 offset:536 ; 4-byte Folded Reload
	buffer_load_dword v87, off, s[40:43], 0 offset:540 ; 4-byte Folded Reload
	buffer_load_dword v88, off, s[40:43], 0 offset:544 ; 4-byte Folded Reload
	buffer_load_dword v89, off, s[40:43], 0 offset:548 ; 4-byte Folded Reload
	buffer_load_dword v90, off, s[40:43], 0 offset:552 ; 4-byte Folded Reload
	buffer_load_dword v91, off, s[40:43], 0 offset:556 ; 4-byte Folded Reload
	buffer_load_dword v92, off, s[40:43], 0 offset:560 ; 4-byte Folded Reload
	buffer_load_dword v93, off, s[40:43], 0 offset:564 ; 4-byte Folded Reload
	buffer_load_dword v94, off, s[40:43], 0 offset:568 ; 4-byte Folded Reload
	buffer_load_dword v95, off, s[40:43], 0 offset:572 ; 4-byte Folded Reload
	buffer_load_dword v96, off, s[40:43], 0 offset:576 ; 4-byte Folded Reload
	buffer_load_dword v97, off, s[40:43], 0 offset:580 ; 4-byte Folded Reload
	buffer_load_dword v98, off, s[40:43], 0 offset:584 ; 4-byte Folded Reload
	buffer_load_dword v99, off, s[40:43], 0 offset:588 ; 4-byte Folded Reload
	buffer_load_dword v100, off, s[40:43], 0 offset:592 ; 4-byte Folded Reload
	buffer_load_dword v101, off, s[40:43], 0 offset:596 ; 4-byte Folded Reload
	buffer_load_dword v102, off, s[40:43], 0 offset:600 ; 4-byte Folded Reload
	buffer_load_dword v103, off, s[40:43], 0 offset:604 ; 4-byte Folded Reload
	buffer_load_dword v104, off, s[40:43], 0 offset:608 ; 4-byte Folded Reload
	buffer_load_dword v105, off, s[40:43], 0 offset:612 ; 4-byte Folded Reload
	buffer_load_dword v106, off, s[40:43], 0 offset:616 ; 4-byte Folded Reload
	buffer_load_dword v107, off, s[40:43], 0 offset:620 ; 4-byte Folded Reload
	buffer_load_dword v108, off, s[40:43], 0 offset:624 ; 4-byte Folded Reload
	buffer_load_dword v109, off, s[40:43], 0 offset:628 ; 4-byte Folded Reload
	buffer_load_dword v110, off, s[40:43], 0 offset:632 ; 4-byte Folded Reload
	buffer_load_dword v111, off, s[40:43], 0 offset:636 ; 4-byte Folded Reload
	s_waitcnt vmcnt(20)
	v_pk_mov_b32 v[10:11], v[90:91], v[90:91] op_sel:[0,1]
	v_and_b32_e32 v3, 0x7fffffff, v10
	v_and_b32_e32 v6, 0x7fffffff, v11
	;; [unrolled: 40-line block ×5, first 2 shown]
	;;#ASMSTART
	v_max3_f32 v2, v2, v3, v6

	;;#ASMEND
	buffer_load_dword v80, off, s[40:43], 0 ; 4-byte Folded Reload
	buffer_load_dword v81, off, s[40:43], 0 offset:4 ; 4-byte Folded Reload
	buffer_load_dword v82, off, s[40:43], 0 offset:8 ; 4-byte Folded Reload
	;; [unrolled: 1-line block ×31, first 2 shown]
	s_waitcnt vmcnt(12)
	v_pk_mov_b32 v[18:19], v[98:99], v[98:99] op_sel:[0,1]
	v_and_b32_e32 v3, 0x7fffffff, v18
	v_and_b32_e32 v6, 0x7fffffff, v19
	;;#ASMSTART
	v_max3_f32 v2, v2, v3, v6

	;;#ASMEND
	v_and_b32_e32 v3, 0x7fffffff, v24
	v_and_b32_e32 v6, 0x7fffffff, v25
	;;#ASMSTART
	v_max3_f32 v2, v2, v3, v6

	;;#ASMEND
	;; [unrolled: 6-line block ×3, first 2 shown]
.LBB72_24:
	s_or_b64 exec, exec, s[8:9]
	s_nop 0
	v_mov_b32_dpp v3, v2 quad_perm:[1,0,3,2] row_mask:0xf bank_mask:0xf
	v_cmp_gt_f32_e32 vcc, v2, v3
	v_cndmask_b32_e32 v2, v3, v2, vcc
	s_nop 1
	v_mov_b32_dpp v3, v2 quad_perm:[2,3,0,1] row_mask:0xf bank_mask:0xf
	v_cmp_gt_f32_e32 vcc, v2, v3
	v_cndmask_b32_e32 v2, v3, v2, vcc
	s_nop 1
	v_mov_b32_dpp v3, v2 row_half_mirror row_mask:0xf bank_mask:0xf
	v_cmp_gt_f32_e32 vcc, v2, v3
	v_cndmask_b32_e32 v2, v3, v2, vcc
	s_nop 1
	v_mov_b32_dpp v3, v2 row_mirror row_mask:0xf bank_mask:0xf
	v_cmp_gt_f32_e32 vcc, v2, v3
	v_cndmask_b32_e32 v2, v3, v2, vcc
	s_nop 1
	v_mov_b32_dpp v3, v2 row_bcast:15 row_mask:0xf bank_mask:0xf
	v_cmp_gt_f32_e32 vcc, v2, v3
	v_cndmask_b32_e32 v2, v3, v2, vcc
	s_nop 1
	v_mov_b32_dpp v3, v2 row_bcast:31 row_mask:0xf bank_mask:0xf
	s_and_saveexec_b64 s[8:9], s[2:3]
	s_cbranch_execz .LBB72_26
; %bb.25:
	v_cmp_gt_f32_e32 vcc, v2, v3
	v_cndmask_b32_e32 v2, v3, v2, vcc
	v_lshrrev_b32_e32 v3, 4, v0
	v_and_b32_e32 v3, 60, v3
	ds_write_b32 v3, v2
.LBB72_26:
	s_or_b64 exec, exec, s[8:9]
	s_waitcnt lgkmcnt(0)
	s_barrier
	ds_read_b32 v2, v48
	s_waitcnt lgkmcnt(0)
	s_nop 0
	v_mov_b32_dpp v3, v2 quad_perm:[1,0,3,2] row_mask:0xf bank_mask:0xf
	v_cmp_gt_f32_e32 vcc, v2, v3
	v_cndmask_b32_e32 v2, v3, v2, vcc
	s_nop 1
	v_mov_b32_dpp v3, v2 quad_perm:[2,3,0,1] row_mask:0xf bank_mask:0xf
	v_cmp_gt_f32_e32 vcc, v2, v3
	v_cndmask_b32_e32 v2, v3, v2, vcc
	v_mul_f32_e32 v2, 0x3b124925, v2
	v_cmp_eq_u32_e32 vcc, 0, v0
	s_and_saveexec_b64 s[8:9], vcc
	s_cbranch_execz .LBB72_28
; %bb.27:
	s_load_dwordx2 s[22:23], s[4:5], 0x8
	s_mul_hi_i32 s25, s11, s6
	s_mul_i32 s24, s11, s6
	s_lshl_b64 s[24:25], s[24:25], 2
	v_mov_b32_e32 v3, 0
	s_waitcnt lgkmcnt(0)
	s_add_u32 s22, s22, s24
	s_addc_u32 s23, s23, s25
	global_store_dword v3, v2, s[22:23]
.LBB72_28:
	s_or_b64 exec, exec, s[8:9]
	;;#ASMSTART
	v_rcp_f32 v2, v2
	;;#ASMEND
	s_and_saveexec_b64 s[22:23], s[0:1]
	s_cbranch_execz .LBB72_30
; %bb.29:
	v_mov_b32_e32 v3, v2
	;;#ASMSTART
	v_pk_mul_f32 v[6:7], v[34:35], v[2:3]
	;;#ASMEND
	v_mov_b32_e32 v8, 0xc3e00000
	v_mov_b32_e32 v9, 0x43e00000
	;;#ASMSTART
	v_med3_f32 v6, v6, v8, v9
v_med3_f32 v7, v7, v8, v9
v_cvt_pk_fp8_f32 v10, v6, v7
	;;#ASMEND
	;;#ASMSTART
	v_pk_mul_f32 v[4:5], v[4:5], v[2:3]
	;;#ASMEND
	s_load_dwordx2 s[0:1], s[4:5], 0x0
	;;#ASMSTART
	v_med3_f32 v4, v4, v8, v9
v_med3_f32 v5, v5, v8, v9
v_cvt_pk_fp8_f32 v6, v4, v5
	;;#ASMEND
	;;#ASMSTART
	v_pk_mul_f32 v[4:5], v[70:71], v[2:3]
	;;#ASMEND
	;;#ASMSTART
	v_med3_f32 v4, v4, v8, v9
v_med3_f32 v5, v5, v8, v9
v_cvt_pk_fp8_f32 v7, v4, v5
	;;#ASMEND
	;;#ASMSTART
	v_pk_mul_f32 v[4:5], v[78:79], v[2:3]
	;;#ASMEND
	s_mul_i32 s8, s10, s6
	;;#ASMSTART
	v_med3_f32 v4, v4, v8, v9
v_med3_f32 v5, v5, v8, v9
v_cvt_pk_fp8_f32 v11, v4, v5
	;;#ASMEND
	s_mov_b32 s7, 0x5040100
	s_mul_hi_i32 s9, s10, s6
	s_waitcnt lgkmcnt(0)
	s_add_u32 s8, s0, s8
	v_perm_b32 v4, v6, v10, s7
	s_movk_i32 s12, 0xff
	s_addc_u32 s0, s1, s9
	s_add_i32 s1, s15, 3
	v_and_b32_e32 v5, 0xffffff00, v6
	v_and_b32_sdwa v6, v4, s12 dst_sel:DWORD dst_unused:UNUSED_PAD src0_sel:WORD_1 src1_sel:DWORD
	s_ashr_i32 s9, s1, 31
	v_or_b32_sdwa v5, v6, v5 dst_sel:WORD_1 dst_unused:UNUSED_PAD src0_sel:DWORD src1_sel:DWORD
	s_mov_b32 s14, 0xffff
	s_lshr_b32 s9, s9, 30
	v_and_or_b32 v4, v4, s14, v5
	v_lshlrev_b32_e32 v5, 16, v11
	s_add_i32 s1, s1, s9
	v_and_or_b32 v5, v7, s14, v5
	s_and_b32 s10, s1, -4
	s_and_b32 s9, s0, 0xffff
	s_mov_b32 s11, 0x20000
	buffer_store_dwordx2 v[4:5], v68, s[8:11], 0 offen
	;;#ASMSTART
	s_nop 0
	;;#ASMEND
	buffer_load_dword v70, off, s[40:43], 0 offset:640 ; 4-byte Folded Reload
	buffer_load_dword v71, off, s[40:43], 0 offset:644 ; 4-byte Folded Reload
	;; [unrolled: 1-line block ×32, first 2 shown]
	s_movk_i32 s0, 0x200
	s_waitcnt vmcnt(22)
	;;#ASMSTART
	v_pk_mul_f32 v[4:5], v[78:79], v[2:3]
	;;#ASMEND
	;;#ASMSTART
	v_med3_f32 v4, v4, v8, v9
v_med3_f32 v5, v5, v8, v9
v_cvt_pk_fp8_f32 v6, v4, v5
	;;#ASMEND
	buffer_load_dword v70, off, s[40:43], 0 offset:512 ; 4-byte Folded Reload
	buffer_load_dword v71, off, s[40:43], 0 offset:516 ; 4-byte Folded Reload
	buffer_load_dword v72, off, s[40:43], 0 offset:520 ; 4-byte Folded Reload
	buffer_load_dword v73, off, s[40:43], 0 offset:524 ; 4-byte Folded Reload
	buffer_load_dword v74, off, s[40:43], 0 offset:528 ; 4-byte Folded Reload
	buffer_load_dword v75, off, s[40:43], 0 offset:532 ; 4-byte Folded Reload
	buffer_load_dword v76, off, s[40:43], 0 offset:536 ; 4-byte Folded Reload
	buffer_load_dword v77, off, s[40:43], 0 offset:540 ; 4-byte Folded Reload
	buffer_load_dword v78, off, s[40:43], 0 offset:544 ; 4-byte Folded Reload
	buffer_load_dword v79, off, s[40:43], 0 offset:548 ; 4-byte Folded Reload
	buffer_load_dword v80, off, s[40:43], 0 offset:552 ; 4-byte Folded Reload
	buffer_load_dword v81, off, s[40:43], 0 offset:556 ; 4-byte Folded Reload
	buffer_load_dword v82, off, s[40:43], 0 offset:560 ; 4-byte Folded Reload
	buffer_load_dword v83, off, s[40:43], 0 offset:564 ; 4-byte Folded Reload
	buffer_load_dword v84, off, s[40:43], 0 offset:568 ; 4-byte Folded Reload
	buffer_load_dword v85, off, s[40:43], 0 offset:572 ; 4-byte Folded Reload
	buffer_load_dword v86, off, s[40:43], 0 offset:576 ; 4-byte Folded Reload
	buffer_load_dword v87, off, s[40:43], 0 offset:580 ; 4-byte Folded Reload
	buffer_load_dword v88, off, s[40:43], 0 offset:584 ; 4-byte Folded Reload
	buffer_load_dword v89, off, s[40:43], 0 offset:588 ; 4-byte Folded Reload
	buffer_load_dword v90, off, s[40:43], 0 offset:592 ; 4-byte Folded Reload
	buffer_load_dword v91, off, s[40:43], 0 offset:596 ; 4-byte Folded Reload
	buffer_load_dword v92, off, s[40:43], 0 offset:600 ; 4-byte Folded Reload
	buffer_load_dword v93, off, s[40:43], 0 offset:604 ; 4-byte Folded Reload
	buffer_load_dword v94, off, s[40:43], 0 offset:608 ; 4-byte Folded Reload
	buffer_load_dword v95, off, s[40:43], 0 offset:612 ; 4-byte Folded Reload
	buffer_load_dword v96, off, s[40:43], 0 offset:616 ; 4-byte Folded Reload
	buffer_load_dword v97, off, s[40:43], 0 offset:620 ; 4-byte Folded Reload
	buffer_load_dword v98, off, s[40:43], 0 offset:624 ; 4-byte Folded Reload
	buffer_load_dword v99, off, s[40:43], 0 offset:628 ; 4-byte Folded Reload
	buffer_load_dword v100, off, s[40:43], 0 offset:632 ; 4-byte Folded Reload
	buffer_load_dword v101, off, s[40:43], 0 offset:636 ; 4-byte Folded Reload
	s_waitcnt vmcnt(20)
	;;#ASMSTART
	v_pk_mul_f32 v[4:5], v[80:81], v[2:3]
	;;#ASMEND
	;;#ASMSTART
	v_med3_f32 v4, v4, v8, v9
v_med3_f32 v5, v5, v8, v9
v_cvt_pk_fp8_f32 v7, v4, v5
	;;#ASMEND
	buffer_load_dword v70, off, s[40:43], 0 offset:384 ; 4-byte Folded Reload
	buffer_load_dword v71, off, s[40:43], 0 offset:388 ; 4-byte Folded Reload
	buffer_load_dword v72, off, s[40:43], 0 offset:392 ; 4-byte Folded Reload
	buffer_load_dword v73, off, s[40:43], 0 offset:396 ; 4-byte Folded Reload
	buffer_load_dword v74, off, s[40:43], 0 offset:400 ; 4-byte Folded Reload
	buffer_load_dword v75, off, s[40:43], 0 offset:404 ; 4-byte Folded Reload
	buffer_load_dword v76, off, s[40:43], 0 offset:408 ; 4-byte Folded Reload
	buffer_load_dword v77, off, s[40:43], 0 offset:412 ; 4-byte Folded Reload
	buffer_load_dword v78, off, s[40:43], 0 offset:416 ; 4-byte Folded Reload
	buffer_load_dword v79, off, s[40:43], 0 offset:420 ; 4-byte Folded Reload
	buffer_load_dword v80, off, s[40:43], 0 offset:424 ; 4-byte Folded Reload
	buffer_load_dword v81, off, s[40:43], 0 offset:428 ; 4-byte Folded Reload
	buffer_load_dword v82, off, s[40:43], 0 offset:432 ; 4-byte Folded Reload
	buffer_load_dword v83, off, s[40:43], 0 offset:436 ; 4-byte Folded Reload
	buffer_load_dword v84, off, s[40:43], 0 offset:440 ; 4-byte Folded Reload
	buffer_load_dword v85, off, s[40:43], 0 offset:444 ; 4-byte Folded Reload
	buffer_load_dword v86, off, s[40:43], 0 offset:448 ; 4-byte Folded Reload
	buffer_load_dword v87, off, s[40:43], 0 offset:452 ; 4-byte Folded Reload
	buffer_load_dword v88, off, s[40:43], 0 offset:456 ; 4-byte Folded Reload
	buffer_load_dword v89, off, s[40:43], 0 offset:460 ; 4-byte Folded Reload
	buffer_load_dword v90, off, s[40:43], 0 offset:464 ; 4-byte Folded Reload
	buffer_load_dword v91, off, s[40:43], 0 offset:468 ; 4-byte Folded Reload
	buffer_load_dword v92, off, s[40:43], 0 offset:472 ; 4-byte Folded Reload
	buffer_load_dword v93, off, s[40:43], 0 offset:476 ; 4-byte Folded Reload
	buffer_load_dword v94, off, s[40:43], 0 offset:480 ; 4-byte Folded Reload
	buffer_load_dword v95, off, s[40:43], 0 offset:484 ; 4-byte Folded Reload
	buffer_load_dword v96, off, s[40:43], 0 offset:488 ; 4-byte Folded Reload
	buffer_load_dword v97, off, s[40:43], 0 offset:492 ; 4-byte Folded Reload
	buffer_load_dword v98, off, s[40:43], 0 offset:496 ; 4-byte Folded Reload
	buffer_load_dword v99, off, s[40:43], 0 offset:500 ; 4-byte Folded Reload
	buffer_load_dword v100, off, s[40:43], 0 offset:504 ; 4-byte Folded Reload
	buffer_load_dword v101, off, s[40:43], 0 offset:508 ; 4-byte Folded Reload
	;; [unrolled: 41-line block ×3, first 2 shown]
	s_waitcnt vmcnt(16)
	;;#ASMSTART
	v_pk_mul_f32 v[4:5], v[84:85], v[2:3]
	;;#ASMEND
	;;#ASMSTART
	v_med3_f32 v4, v4, v8, v9
v_med3_f32 v5, v5, v8, v9
v_cvt_pk_fp8_f32 v11, v4, v5
	;;#ASMEND
	v_perm_b32 v4, v7, v6, s7
	v_and_b32_e32 v5, 0xffffff00, v7
	v_and_b32_sdwa v6, v4, s12 dst_sel:DWORD dst_unused:UNUSED_PAD src0_sel:WORD_1 src1_sel:DWORD
	v_or_b32_sdwa v5, v6, v5 dst_sel:WORD_1 dst_unused:UNUSED_PAD src0_sel:DWORD src1_sel:DWORD
	v_and_or_b32 v4, v4, s14, v5
	v_lshlrev_b32_e32 v5, 16, v11
	v_and_or_b32 v5, v10, s14, v5
	buffer_store_dwordx2 v[4:5], v68, s[8:11], s0 offen
	;;#ASMSTART
	s_nop 0
	;;#ASMEND
	buffer_load_dword v70, off, s[40:43], 0 offset:256 ; 4-byte Folded Reload
	buffer_load_dword v71, off, s[40:43], 0 offset:260 ; 4-byte Folded Reload
	;; [unrolled: 1-line block ×32, first 2 shown]
	s_movk_i32 s0, 0x400
	s_waitcnt vmcnt(14)
	;;#ASMSTART
	v_pk_mul_f32 v[4:5], v[86:87], v[2:3]
	;;#ASMEND
	;;#ASMSTART
	v_med3_f32 v4, v4, v8, v9
v_med3_f32 v5, v5, v8, v9
v_cvt_pk_fp8_f32 v6, v4, v5
	;;#ASMEND
	buffer_load_dword v70, off, s[40:43], 0 ; 4-byte Folded Reload
	buffer_load_dword v71, off, s[40:43], 0 offset:4 ; 4-byte Folded Reload
	buffer_load_dword v72, off, s[40:43], 0 offset:8 ; 4-byte Folded Reload
	;; [unrolled: 1-line block ×31, first 2 shown]
	s_waitcnt vmcnt(12)
	;;#ASMSTART
	v_pk_mul_f32 v[4:5], v[88:89], v[2:3]
	;;#ASMEND
	;;#ASMSTART
	v_med3_f32 v4, v4, v8, v9
v_med3_f32 v5, v5, v8, v9
v_cvt_pk_fp8_f32 v7, v4, v5
	;;#ASMEND
	v_perm_b32 v5, v7, v6, s7
	v_and_b32_e32 v4, 0xffffff00, v7
	v_and_b32_sdwa v6, v5, s12 dst_sel:DWORD dst_unused:UNUSED_PAD src0_sel:WORD_1 src1_sel:DWORD
	v_or_b32_sdwa v4, v6, v4 dst_sel:WORD_1 dst_unused:UNUSED_PAD src0_sel:DWORD src1_sel:DWORD
	v_and_or_b32 v4, v5, s14, v4
	;;#ASMSTART
	v_pk_mul_f32 v[6:7], v[24:25], v[2:3]
	;;#ASMEND
	v_mov_b32_e32 v5, v7
	;;#ASMSTART
	v_med3_f32 v6, v6, v8, v9
v_med3_f32 v5, v5, v8, v9
v_cvt_pk_fp8_f32 v7, v6, v5
	;;#ASMEND
	;;#ASMSTART
	v_pk_mul_f32 v[10:11], v[26:27], v[2:3]
	;;#ASMEND
	v_mov_b32_e32 v1, v11
	;;#ASMSTART
	v_med3_f32 v10, v10, v8, v9
v_med3_f32 v1, v1, v8, v9
v_cvt_pk_fp8_f32 v2, v10, v1
	;;#ASMEND
	v_lshlrev_b32_e32 v1, 16, v2
	v_and_or_b32 v5, v7, s14, v1
	buffer_store_dwordx2 v[4:5], v68, s[8:11], s0 offen
	;;#ASMSTART
	s_nop 0
	;;#ASMEND
.LBB72_30:
	s_or_b64 exec, exec, s[22:23]
	s_cmp_lt_i32 s16, 1
	s_cbranch_scc1 .LBB72_17
.LBB72_31:
	s_load_dword s0, s[4:5], 0x94
	s_waitcnt lgkmcnt(0)
	s_cmp_lg_u32 s0, 1
	s_cbranch_scc1 .LBB72_17
; %bb.32:
	s_lshl_b32 s0, s16, 1
	s_add_i32 s0, s0, 2
	v_cmp_gt_u32_e32 vcc, s16, v68
	s_and_b32 s22, s0, -4
	v_mov_b32_e32 v50, 0
	v_lshlrev_b32_e32 v49, 1, v68
	v_mov_b32_e32 v22, 0
	v_mov_b32_e32 v23, 0
	;; [unrolled: 1-line block ×24, first 2 shown]
	s_waitcnt vmcnt(63) expcnt(7) lgkmcnt(15)
	s_barrier
	s_and_saveexec_b64 s[0:1], vcc
	s_cbranch_execz .LBB72_34
; %bb.33:
	s_mul_hi_i32 s5, s18, s6
	s_mul_i32 s4, s18, s6
	s_and_b32 s21, s21, 0xffff
	s_lshl_b64 s[4:5], s[4:5], 1
	s_add_u32 s8, s34, s4
	s_mov_b32 s23, 0x20000
	s_addc_u32 s4, s35, s5
	s_and_b32 s9, s4, 0xffff
	s_mov_b32 s10, s22
	s_mov_b32 s11, s23
	s_movk_i32 s5, 0x800
	s_movk_i32 s4, 0x400
	buffer_load_dwordx4 v[22:25], v49, s[8:11], 0 offen glc slc
	buffer_load_dwordx4 v[14:17], v49, s[8:11], s4 offen glc slc
	;; [unrolled: 1-line block ×3, first 2 shown]
	buffer_load_dwordx4 v[10:13], v49, s[20:23], 0 offen
	buffer_load_dwordx4 v[6:9], v49, s[20:23], s4 offen
	;; [unrolled: 1-line block ×3, first 2 shown]
.LBB72_34:
	s_or_b64 exec, exec, s[0:1]
	v_mov_b32_e32 v51, 0
	v_mov_b32_e32 v46, 0
	;; [unrolled: 1-line block ×23, first 2 shown]
	s_and_saveexec_b64 s[0:1], vcc
	s_cbranch_execz .LBB72_36
; %bb.35:
	s_waitcnt vmcnt(5)
	v_cvt_f32_u32_sdwa v50, v22 dst_sel:DWORD dst_unused:UNUSED_PAD src0_sel:WORD_0
	v_cvt_f32_u32_sdwa v51, v22 dst_sel:DWORD dst_unused:UNUSED_PAD src0_sel:WORD_1
	v_cvt_f32_u32_sdwa v46, v23 dst_sel:DWORD dst_unused:UNUSED_PAD src0_sel:WORD_0
	v_cvt_f32_u32_sdwa v47, v23 dst_sel:DWORD dst_unused:UNUSED_PAD src0_sel:WORD_1
	v_cvt_f32_u32_sdwa v44, v24 dst_sel:DWORD dst_unused:UNUSED_PAD src0_sel:WORD_0
	v_cvt_f32_u32_sdwa v45, v24 dst_sel:DWORD dst_unused:UNUSED_PAD src0_sel:WORD_1
	v_cvt_f32_u32_sdwa v42, v25 dst_sel:DWORD dst_unused:UNUSED_PAD src0_sel:WORD_0
	v_cvt_f32_u32_sdwa v43, v25 dst_sel:DWORD dst_unused:UNUSED_PAD src0_sel:WORD_1
	s_waitcnt vmcnt(4)
	v_cvt_f32_u32_sdwa v40, v14 dst_sel:DWORD dst_unused:UNUSED_PAD src0_sel:WORD_0
	v_cvt_f32_u32_sdwa v41, v14 dst_sel:DWORD dst_unused:UNUSED_PAD src0_sel:WORD_1
	v_cvt_f32_u32_sdwa v38, v15 dst_sel:DWORD dst_unused:UNUSED_PAD src0_sel:WORD_0
	v_cvt_f32_u32_sdwa v39, v15 dst_sel:DWORD dst_unused:UNUSED_PAD src0_sel:WORD_1
	v_cvt_f32_u32_sdwa v36, v16 dst_sel:DWORD dst_unused:UNUSED_PAD src0_sel:WORD_0
	v_cvt_f32_u32_sdwa v37, v16 dst_sel:DWORD dst_unused:UNUSED_PAD src0_sel:WORD_1
	v_cvt_f32_u32_sdwa v34, v17 dst_sel:DWORD dst_unused:UNUSED_PAD src0_sel:WORD_0
	v_cvt_f32_u32_sdwa v35, v17 dst_sel:DWORD dst_unused:UNUSED_PAD src0_sel:WORD_1
	s_waitcnt vmcnt(3)
	v_cvt_f32_u32_sdwa v32, v18 dst_sel:DWORD dst_unused:UNUSED_PAD src0_sel:WORD_0
	v_cvt_f32_u32_sdwa v33, v18 dst_sel:DWORD dst_unused:UNUSED_PAD src0_sel:WORD_1
	v_cvt_f32_u32_sdwa v30, v19 dst_sel:DWORD dst_unused:UNUSED_PAD src0_sel:WORD_0
	v_cvt_f32_u32_sdwa v31, v19 dst_sel:DWORD dst_unused:UNUSED_PAD src0_sel:WORD_1
	v_cvt_f32_u32_sdwa v28, v20 dst_sel:DWORD dst_unused:UNUSED_PAD src0_sel:WORD_0
	v_cvt_f32_u32_sdwa v29, v20 dst_sel:DWORD dst_unused:UNUSED_PAD src0_sel:WORD_1
	v_cvt_f32_u32_sdwa v26, v21 dst_sel:DWORD dst_unused:UNUSED_PAD src0_sel:WORD_0
	v_cvt_f32_u32_sdwa v27, v21 dst_sel:DWORD dst_unused:UNUSED_PAD src0_sel:WORD_1
.LBB72_36:
	s_or_b64 exec, exec, s[0:1]
	s_waitcnt vmcnt(4)
	v_mul_f32_e32 v14, v51, v51
	v_fmac_f32_e32 v14, v50, v50
	v_fmac_f32_e32 v14, v46, v46
	;; [unrolled: 1-line block ×23, first 2 shown]
	s_nop 1
	v_mov_b32_dpp v15, v14 quad_perm:[1,0,3,2] row_mask:0xf bank_mask:0xf
	v_add_f32_e32 v14, v14, v15
	s_nop 1
	v_mov_b32_dpp v15, v14 quad_perm:[2,3,0,1] row_mask:0xf bank_mask:0xf
	v_add_f32_e32 v14, v14, v15
	s_nop 1
	v_mov_b32_dpp v15, v14 row_half_mirror row_mask:0xf bank_mask:0xf
	v_add_f32_e32 v14, v14, v15
	s_nop 1
	v_mov_b32_dpp v15, v14 row_mirror row_mask:0xf bank_mask:0xf
	v_add_f32_e32 v14, v14, v15
	s_nop 1
	v_mov_b32_dpp v15, v14 row_bcast:15 row_mask:0xf bank_mask:0xf
	v_add_f32_e32 v14, v14, v15
	s_nop 1
	v_mov_b32_dpp v15, v14 row_bcast:31 row_mask:0xf bank_mask:0xf
	s_and_saveexec_b64 s[0:1], s[2:3]
	s_cbranch_execz .LBB72_38
; %bb.37:
	v_add_f32_e32 v14, v14, v15
	v_lshrrev_b32_e32 v15, 4, v0
	v_and_b32_e32 v15, 60, v15
	ds_write_b32 v15, v14 offset:16
.LBB72_38:
	s_or_b64 exec, exec, s[0:1]
	s_waitcnt lgkmcnt(0)
	s_barrier
	ds_read_b32 v14, v48 offset:16
	s_waitcnt lgkmcnt(0)
	s_nop 0
	v_mov_b32_dpp v15, v14 quad_perm:[1,0,3,2] row_mask:0xf bank_mask:0xf
	v_add_f32_e32 v14, v14, v15
	s_nop 1
	v_mov_b32_dpp v15, v14 quad_perm:[2,3,0,1] row_mask:0xf bank_mask:0xf
	s_and_saveexec_b64 s[0:1], vcc
	s_cbranch_execz .LBB72_17
; %bb.39:
	v_cvt_f32_u32_e32 v16, s16
	v_add_f32_e32 v14, v14, v15
	s_mov_b32 s23, 0x20000
	v_div_scale_f32 v15, s[0:1], v16, v16, v14
	v_rcp_f32_e32 v17, v15
	s_waitcnt vmcnt(3)
	v_div_scale_f32 v18, vcc, v14, v16, v14
	s_mov_b32 s0, 0x800000
	v_fma_f32 v19, -v15, v17, 1.0
	v_fmac_f32_e32 v17, v19, v17
	v_mul_f32_e32 v19, v18, v17
	v_fma_f32 v20, -v15, v19, v18
	v_fmac_f32_e32 v19, v20, v17
	v_fma_f32 v15, -v15, v19, v18
	v_div_fmas_f32 v15, v15, v17, v19
	v_div_fixup_f32 v14, v15, v16, v14
	v_add_f32_e32 v14, s13, v14
	v_mul_f32_e32 v15, 0x4b800000, v14
	v_cmp_gt_f32_e32 vcc, s0, v14
	v_cndmask_b32_e32 v14, v14, v15, vcc
	v_rsq_f32_e32 v14, v14
	s_mul_hi_i32 s1, s28, s6
	s_mul_i32 s0, s28, s6
	s_lshl_b64 s[0:1], s[0:1], 1
	v_mul_f32_e32 v15, 0x45800000, v14
	v_cndmask_b32_e32 v14, v14, v15, vcc
	v_mov_b32_e32 v15, v14
	;;#ASMSTART
	v_pk_mul_f32 v[0:1], v[50:51], v[14:15]
	;;#ASMEND
	;;#ASMSTART
	v_pk_mul_f32 v[16:17], v[46:47], v[14:15]
	;;#ASMEND
	;; [unrolled: 3-line block ×12, first 2 shown]
	s_waitcnt vmcnt(2)
	v_cvt_f32_u32_sdwa v27, v10 dst_sel:DWORD dst_unused:UNUSED_PAD src0_sel:WORD_1
	v_cvt_f32_u32_sdwa v26, v10 dst_sel:DWORD dst_unused:UNUSED_PAD src0_sel:WORD_0
	v_cvt_f32_u32_sdwa v39, v11 dst_sel:DWORD dst_unused:UNUSED_PAD src0_sel:WORD_1
	v_cvt_f32_u32_sdwa v38, v11 dst_sel:DWORD dst_unused:UNUSED_PAD src0_sel:WORD_0
	;; [unrolled: 2-line block ×3, first 2 shown]
	s_add_u32 s20, s30, s0
	v_cvt_f32_u32_sdwa v41, v13 dst_sel:DWORD dst_unused:UNUSED_PAD src0_sel:WORD_1
	v_cvt_f32_u32_sdwa v40, v13 dst_sel:DWORD dst_unused:UNUSED_PAD src0_sel:WORD_0
	;;#ASMSTART
	v_pk_mul_f32 v[0:1], v[0:1], v[26:27]
	;;#ASMEND
	;;#ASMSTART
	v_pk_mul_f32 v[12:13], v[16:17], v[38:39]
	;;#ASMEND
	;; [unrolled: 3-line block ×3, first 2 shown]
	s_waitcnt vmcnt(1)
	v_cvt_f32_u32_sdwa v19, v6 dst_sel:DWORD dst_unused:UNUSED_PAD src0_sel:WORD_1
	v_cvt_f32_u32_sdwa v18, v6 dst_sel:DWORD dst_unused:UNUSED_PAD src0_sel:WORD_0
	s_addc_u32 s0, s31, s1
	;;#ASMSTART
	v_pk_mul_f32 v[16:17], v[20:21], v[40:41]
	;;#ASMEND
	v_cvt_f32_u32_sdwa v21, v7 dst_sel:DWORD dst_unused:UNUSED_PAD src0_sel:WORD_1
	v_cvt_f32_u32_sdwa v20, v7 dst_sel:DWORD dst_unused:UNUSED_PAD src0_sel:WORD_0
	v_cvt_f32_u32_sdwa v7, v8 dst_sel:DWORD dst_unused:UNUSED_PAD src0_sel:WORD_1
	v_cvt_f32_u32_sdwa v6, v8 dst_sel:DWORD dst_unused:UNUSED_PAD src0_sel:WORD_0
	;; [unrolled: 2-line block ×3, first 2 shown]
	;;#ASMSTART
	v_pk_mul_f32 v[8:9], v[22:23], v[18:19]
	;;#ASMEND
	;;#ASMSTART
	v_pk_mul_f32 v[18:19], v[24:25], v[20:21]
	;;#ASMEND
	s_waitcnt vmcnt(0)
	v_cvt_f32_u32_sdwa v23, v2 dst_sel:DWORD dst_unused:UNUSED_PAD src0_sel:WORD_1
	v_cvt_f32_u32_sdwa v22, v2 dst_sel:DWORD dst_unused:UNUSED_PAD src0_sel:WORD_0
	v_cvt_f32_u32_sdwa v25, v3 dst_sel:DWORD dst_unused:UNUSED_PAD src0_sel:WORD_1
	v_cvt_f32_u32_sdwa v24, v3 dst_sel:DWORD dst_unused:UNUSED_PAD src0_sel:WORD_0
	;; [unrolled: 2-line block ×3, first 2 shown]
	s_and_b32 s21, s0, 0xffff
	s_mov_b32 s0, 0x7060302
	;;#ASMSTART
	v_pk_mul_f32 v[6:7], v[36:37], v[6:7]
	;;#ASMEND
	;;#ASMSTART
	v_pk_mul_f32 v[20:21], v[34:35], v[26:27]
	;;#ASMEND
	v_cvt_f32_u32_sdwa v27, v5 dst_sel:DWORD dst_unused:UNUSED_PAD src0_sel:WORD_1
	v_cvt_f32_u32_sdwa v26, v5 dst_sel:DWORD dst_unused:UNUSED_PAD src0_sel:WORD_0
	;;#ASMSTART
	v_pk_mul_f32 v[4:5], v[32:33], v[22:23]
	;;#ASMEND
	;;#ASMSTART
	v_pk_mul_f32 v[22:23], v[30:31], v[24:25]
	;;#ASMEND
	;; [unrolled: 3-line block ×3, first 2 shown]
	v_perm_b32 v0, v1, v0, s0
	v_perm_b32 v1, v13, v12, s0
	;; [unrolled: 1-line block ×4, first 2 shown]
	;;#ASMSTART
	v_pk_mul_f32 v[14:15], v[14:15], v[26:27]
	;;#ASMEND
	buffer_store_dwordx4 v[0:3], v49, s[20:23], 0 offen
	s_movk_i32 s1, 0x400
	v_perm_b32 v0, v9, v8, s0
	v_perm_b32 v1, v19, v18, s0
	;; [unrolled: 1-line block ×4, first 2 shown]
	;;#ASMSTART
	s_nop 0
	;;#ASMEND
	buffer_store_dwordx4 v[0:3], v49, s[20:23], s1 offen
	v_perm_b32 v0, v5, v4, s0
	v_perm_b32 v1, v23, v22, s0
	;; [unrolled: 1-line block ×4, first 2 shown]
	s_movk_i32 s0, 0x800
	;;#ASMSTART
	s_nop 0
	;;#ASMEND
	buffer_store_dwordx4 v[0:3], v49, s[20:23], s0 offen
	;;#ASMSTART
	s_nop 0
	;;#ASMEND
	s_endpgm
	.section	.rodata,"a",@progbits
	.p2align	6, 0x0
	.amdhsa_kernel _ZN5aiter35fused_qk_rmsnorm_group_quant_kernelItDB8_Li256ELi24ELi1ELb1ELb0ELb0ELb0ELb1ELb1EEEvPT0_PvPT_S6_S6_PKS5_S8_S8_S8_S8_ffiiiiiiiiiiiii
		.amdhsa_group_segment_fixed_size 48
		.amdhsa_private_segment_fixed_size 900
		.amdhsa_kernarg_size 400
		.amdhsa_user_sgpr_count 6
		.amdhsa_user_sgpr_private_segment_buffer 1
		.amdhsa_user_sgpr_dispatch_ptr 0
		.amdhsa_user_sgpr_queue_ptr 0
		.amdhsa_user_sgpr_kernarg_segment_ptr 1
		.amdhsa_user_sgpr_dispatch_id 0
		.amdhsa_user_sgpr_flat_scratch_init 0
		.amdhsa_user_sgpr_kernarg_preload_length 0
		.amdhsa_user_sgpr_kernarg_preload_offset 0
		.amdhsa_user_sgpr_private_segment_size 0
		.amdhsa_uses_dynamic_stack 0
		.amdhsa_system_sgpr_private_segment_wavefront_offset 1
		.amdhsa_system_sgpr_workgroup_id_x 1
		.amdhsa_system_sgpr_workgroup_id_y 1
		.amdhsa_system_sgpr_workgroup_id_z 0
		.amdhsa_system_sgpr_workgroup_info 0
		.amdhsa_system_vgpr_workitem_id 0
		.amdhsa_next_free_vgpr 128
		.amdhsa_next_free_sgpr 44
		.amdhsa_accum_offset 128
		.amdhsa_reserve_vcc 1
		.amdhsa_reserve_flat_scratch 0
		.amdhsa_float_round_mode_32 0
		.amdhsa_float_round_mode_16_64 0
		.amdhsa_float_denorm_mode_32 3
		.amdhsa_float_denorm_mode_16_64 3
		.amdhsa_dx10_clamp 1
		.amdhsa_ieee_mode 1
		.amdhsa_fp16_overflow 0
		.amdhsa_tg_split 0
		.amdhsa_exception_fp_ieee_invalid_op 0
		.amdhsa_exception_fp_denorm_src 0
		.amdhsa_exception_fp_ieee_div_zero 0
		.amdhsa_exception_fp_ieee_overflow 0
		.amdhsa_exception_fp_ieee_underflow 0
		.amdhsa_exception_fp_ieee_inexact 0
		.amdhsa_exception_int_div_zero 0
	.end_amdhsa_kernel
	.section	.text._ZN5aiter35fused_qk_rmsnorm_group_quant_kernelItDB8_Li256ELi24ELi1ELb1ELb0ELb0ELb0ELb1ELb1EEEvPT0_PvPT_S6_S6_PKS5_S8_S8_S8_S8_ffiiiiiiiiiiiii,"axG",@progbits,_ZN5aiter35fused_qk_rmsnorm_group_quant_kernelItDB8_Li256ELi24ELi1ELb1ELb0ELb0ELb0ELb1ELb1EEEvPT0_PvPT_S6_S6_PKS5_S8_S8_S8_S8_ffiiiiiiiiiiiii,comdat
.Lfunc_end72:
	.size	_ZN5aiter35fused_qk_rmsnorm_group_quant_kernelItDB8_Li256ELi24ELi1ELb1ELb0ELb0ELb0ELb1ELb1EEEvPT0_PvPT_S6_S6_PKS5_S8_S8_S8_S8_ffiiiiiiiiiiiii, .Lfunc_end72-_ZN5aiter35fused_qk_rmsnorm_group_quant_kernelItDB8_Li256ELi24ELi1ELb1ELb0ELb0ELb0ELb1ELb1EEEvPT0_PvPT_S6_S6_PKS5_S8_S8_S8_S8_ffiiiiiiiiiiiii
                                        ; -- End function
	.section	.AMDGPU.csdata,"",@progbits
; Kernel info:
; codeLenInByte = 22680
; NumSgprs: 48
; NumVgprs: 128
; NumAgprs: 0
; TotalNumVgprs: 128
; ScratchSize: 900
; MemoryBound: 0
; FloatMode: 240
; IeeeMode: 1
; LDSByteSize: 48 bytes/workgroup (compile time only)
; SGPRBlocks: 5
; VGPRBlocks: 15
; NumSGPRsForWavesPerEU: 48
; NumVGPRsForWavesPerEU: 128
; AccumOffset: 128
; Occupancy: 4
; WaveLimiterHint : 0
; COMPUTE_PGM_RSRC2:SCRATCH_EN: 1
; COMPUTE_PGM_RSRC2:USER_SGPR: 6
; COMPUTE_PGM_RSRC2:TRAP_HANDLER: 0
; COMPUTE_PGM_RSRC2:TGID_X_EN: 1
; COMPUTE_PGM_RSRC2:TGID_Y_EN: 1
; COMPUTE_PGM_RSRC2:TGID_Z_EN: 0
; COMPUTE_PGM_RSRC2:TIDIG_COMP_CNT: 0
; COMPUTE_PGM_RSRC3_GFX90A:ACCUM_OFFSET: 31
; COMPUTE_PGM_RSRC3_GFX90A:TG_SPLIT: 0
	.section	.text._ZN5aiter35fused_qk_rmsnorm_group_quant_kernelIDF16_DB8_Li256ELi24ELi1ELb0ELb1ELb1ELb0ELb1ELb1EEEvPT0_PvPT_S6_S6_PKS5_S8_S8_S8_S8_ffiiiiiiiiiiiii,"axG",@progbits,_ZN5aiter35fused_qk_rmsnorm_group_quant_kernelIDF16_DB8_Li256ELi24ELi1ELb0ELb1ELb1ELb0ELb1ELb1EEEvPT0_PvPT_S6_S6_PKS5_S8_S8_S8_S8_ffiiiiiiiiiiiii,comdat
	.protected	_ZN5aiter35fused_qk_rmsnorm_group_quant_kernelIDF16_DB8_Li256ELi24ELi1ELb0ELb1ELb1ELb0ELb1ELb1EEEvPT0_PvPT_S6_S6_PKS5_S8_S8_S8_S8_ffiiiiiiiiiiiii ; -- Begin function _ZN5aiter35fused_qk_rmsnorm_group_quant_kernelIDF16_DB8_Li256ELi24ELi1ELb0ELb1ELb1ELb0ELb1ELb1EEEvPT0_PvPT_S6_S6_PKS5_S8_S8_S8_S8_ffiiiiiiiiiiiii
	.globl	_ZN5aiter35fused_qk_rmsnorm_group_quant_kernelIDF16_DB8_Li256ELi24ELi1ELb0ELb1ELb1ELb0ELb1ELb1EEEvPT0_PvPT_S6_S6_PKS5_S8_S8_S8_S8_ffiiiiiiiiiiiii
	.p2align	8
	.type	_ZN5aiter35fused_qk_rmsnorm_group_quant_kernelIDF16_DB8_Li256ELi24ELi1ELb0ELb1ELb1ELb0ELb1ELb1EEEvPT0_PvPT_S6_S6_PKS5_S8_S8_S8_S8_ffiiiiiiiiiiiii,@function
_ZN5aiter35fused_qk_rmsnorm_group_quant_kernelIDF16_DB8_Li256ELi24ELi1ELb0ELb1ELb1ELb0ELb1ELb1EEEvPT0_PvPT_S6_S6_PKS5_S8_S8_S8_S8_ffiiiiiiiiiiiii: ; @_ZN5aiter35fused_qk_rmsnorm_group_quant_kernelIDF16_DB8_Li256ELi24ELi1ELb0ELb1ELb1ELb0ELb1ELb1EEEvPT0_PvPT_S6_S6_PKS5_S8_S8_S8_S8_ffiiiiiiiiiiiii
; %bb.0:
	s_load_dwordx4 s[12:15], s[4:5], 0x50
	s_waitcnt lgkmcnt(0)
	s_cmp_ge_i32 s6, s14
	s_cbranch_scc1 .LBB73_12
; %bb.1:
	s_load_dwordx2 s[8:9], s[4:5], 0x48
	s_load_dwordx2 s[28:29], s[4:5], 0x30
	s_load_dwordx4 s[16:19], s[4:5], 0x60
	s_cmp_lg_u32 s7, 0
	s_cselect_b64 s[10:11], -1, 0
	s_cmp_eq_u32 s7, 0
	s_cselect_b64 vcc, -1, 0
	s_and_b64 s[0:1], vcc, exec
	s_waitcnt lgkmcnt(0)
	s_cselect_b32 s7, s15, s16
	s_add_i32 s0, s7, 1
	s_lshr_b32 s1, s0, 31
	s_add_i32 s0, s0, s1
	s_lshl_b32 s0, s0, 1
	v_and_b32_e32 v2, 0x3c0, v0
	s_and_b32 s22, s0, -4
	v_lshlrev_b32_e32 v1, 3, v0
	v_mul_u32_u24_e32 v2, 24, v2
	s_movk_i32 s0, 0x1f8
	v_and_or_b32 v1, v1, s0, v2
	v_cmp_gt_i32_e64 s[2:3], s7, v1
	v_mov_b32_e32 v26, 0
	v_mov_b32_e32 v10, 0
	;; [unrolled: 1-line block ×25, first 2 shown]
	s_and_saveexec_b64 s[0:1], s[2:3]
	s_cbranch_execz .LBB73_3
; %bb.2:
	s_load_dwordx2 s[20:21], s[4:5], 0x28
	s_load_dwordx2 s[26:27], s[4:5], 0x40
	s_and_b64 s[24:25], vcc, exec
	s_cselect_b32 s14, s17, s18
	s_mov_b32 s23, 0x20000
	s_waitcnt lgkmcnt(0)
	s_cselect_b32 s17, s21, s29
	s_cselect_b32 s19, s20, s28
	s_mul_hi_i32 s21, s14, s6
	s_mul_i32 s20, s14, s6
	s_lshl_b64 s[20:21], s[20:21], 1
	s_add_u32 s24, s19, s20
	s_addc_u32 s14, s17, s21
	s_and_b64 s[20:21], vcc, exec
	s_cselect_b32 s17, s27, s9
	s_cselect_b32 s20, s26, s8
	s_and_b32 s21, s17, 0xffff
	s_and_b32 s25, s14, 0xffff
	s_mov_b32 s26, s22
	s_mov_b32 s27, s23
	v_lshlrev_b32_e32 v27, 1, v1
	s_movk_i32 s17, 0x800
	s_movk_i32 s14, 0x400
	buffer_load_dwordx4 v[22:25], v27, s[24:27], 0 offen glc slc
	buffer_load_dwordx4 v[14:17], v27, s[24:27], s14 offen glc slc
	;; [unrolled: 1-line block ×3, first 2 shown]
	buffer_load_dwordx4 v[10:13], v27, s[20:23], 0 offen
	buffer_load_dwordx4 v[6:9], v27, s[20:23], s14 offen
	;; [unrolled: 1-line block ×3, first 2 shown]
.LBB73_3:
	s_or_b64 exec, exec, s[0:1]
	v_mov_b32_e32 v27, 0
	v_mov_b32_e32 v48, 0
	;; [unrolled: 1-line block ×23, first 2 shown]
	s_and_saveexec_b64 s[0:1], s[2:3]
	s_cbranch_execz .LBB73_5
; %bb.4:
	s_waitcnt vmcnt(5)
	v_cvt_f32_f16_sdwa v27, v22 dst_sel:DWORD dst_unused:UNUSED_PAD src0_sel:WORD_1
	v_cvt_f32_f16_e32 v26, v22
	v_cvt_f32_f16_sdwa v49, v23 dst_sel:DWORD dst_unused:UNUSED_PAD src0_sel:WORD_1
	v_cvt_f32_f16_e32 v48, v23
	v_cvt_f32_f16_sdwa v45, v24 dst_sel:DWORD dst_unused:UNUSED_PAD src0_sel:WORD_1
	v_cvt_f32_f16_e32 v44, v24
	v_cvt_f32_f16_sdwa v47, v25 dst_sel:DWORD dst_unused:UNUSED_PAD src0_sel:WORD_1
	v_cvt_f32_f16_e32 v46, v25
	s_waitcnt vmcnt(4)
	v_cvt_f32_f16_sdwa v39, v14 dst_sel:DWORD dst_unused:UNUSED_PAD src0_sel:WORD_1
	v_cvt_f32_f16_e32 v38, v14
	v_cvt_f32_f16_sdwa v43, v15 dst_sel:DWORD dst_unused:UNUSED_PAD src0_sel:WORD_1
	v_cvt_f32_f16_e32 v42, v15
	v_cvt_f32_f16_sdwa v37, v16 dst_sel:DWORD dst_unused:UNUSED_PAD src0_sel:WORD_1
	v_cvt_f32_f16_e32 v36, v16
	v_cvt_f32_f16_sdwa v41, v17 dst_sel:DWORD dst_unused:UNUSED_PAD src0_sel:WORD_1
	v_cvt_f32_f16_e32 v40, v17
	s_waitcnt vmcnt(3)
	v_cvt_f32_f16_sdwa v33, v18 dst_sel:DWORD dst_unused:UNUSED_PAD src0_sel:WORD_1
	v_cvt_f32_f16_e32 v32, v18
	v_cvt_f32_f16_sdwa v35, v19 dst_sel:DWORD dst_unused:UNUSED_PAD src0_sel:WORD_1
	v_cvt_f32_f16_e32 v34, v19
	v_cvt_f32_f16_sdwa v31, v20 dst_sel:DWORD dst_unused:UNUSED_PAD src0_sel:WORD_1
	v_cvt_f32_f16_e32 v30, v20
	v_cvt_f32_f16_sdwa v29, v21 dst_sel:DWORD dst_unused:UNUSED_PAD src0_sel:WORD_1
	v_cvt_f32_f16_e32 v28, v21
.LBB73_5:
	s_or_b64 exec, exec, s[0:1]
	s_waitcnt vmcnt(4)
	v_mul_f32_e32 v14, v27, v27
	v_fmac_f32_e32 v14, v26, v26
	v_fmac_f32_e32 v14, v48, v48
	;; [unrolled: 1-line block ×23, first 2 shown]
	v_and_b32_e32 v16, 63, v0
	v_cmp_eq_u32_e64 s[0:1], 63, v16
	v_mov_b32_dpp v15, v14 quad_perm:[1,0,3,2] row_mask:0xf bank_mask:0xf
	v_add_f32_e32 v14, v14, v15
	s_nop 1
	v_mov_b32_dpp v15, v14 quad_perm:[2,3,0,1] row_mask:0xf bank_mask:0xf
	v_add_f32_e32 v14, v14, v15
	s_nop 1
	v_mov_b32_dpp v15, v14 row_half_mirror row_mask:0xf bank_mask:0xf
	v_add_f32_e32 v14, v14, v15
	s_nop 1
	v_mov_b32_dpp v15, v14 row_mirror row_mask:0xf bank_mask:0xf
	v_add_f32_e32 v14, v14, v15
	s_nop 1
	v_mov_b32_dpp v15, v14 row_bcast:15 row_mask:0xf bank_mask:0xf
	v_add_f32_e32 v14, v14, v15
	s_nop 1
	v_mov_b32_dpp v15, v14 row_bcast:31 row_mask:0xf bank_mask:0xf
	s_and_saveexec_b64 s[20:21], s[0:1]
	s_cbranch_execz .LBB73_7
; %bb.6:
	v_add_f32_e32 v14, v14, v15
	v_lshrrev_b32_e32 v15, 4, v0
	v_and_b32_e32 v15, 60, v15
	ds_write_b32 v15, v14 offset:32
.LBB73_7:
	s_or_b64 exec, exec, s[20:21]
	v_and_b32_e32 v14, 3, v0
	v_lshlrev_b32_e32 v50, 2, v14
	s_waitcnt lgkmcnt(0)
	s_barrier
	ds_read_b32 v14, v50 offset:32
	s_load_dwordx2 s[24:25], s[4:5], 0x18
	s_waitcnt lgkmcnt(0)
	v_mov_b32_dpp v15, v14 quad_perm:[1,0,3,2] row_mask:0xf bank_mask:0xf
	v_add_f32_e32 v14, v14, v15
	s_nop 1
	v_mov_b32_dpp v15, v14 quad_perm:[2,3,0,1] row_mask:0xf bank_mask:0xf
	s_and_saveexec_b64 s[20:21], s[2:3]
	s_cbranch_execz .LBB73_9
; %bb.8:
	v_cvt_f32_u32_e32 v16, s7
	v_add_f32_e32 v14, v14, v15
	s_waitcnt vmcnt(3)
	v_mov_b32_e32 v18, s13
	v_mov_b32_e32 v19, s12
	v_div_scale_f32 v15, s[26:27], v16, v16, v14
	v_rcp_f32_e32 v17, v15
	v_cndmask_b32_e32 v18, v18, v19, vcc
	s_mov_b32 s7, 0x800000
	v_fma_f32 v19, -v15, v17, 1.0
	v_fmac_f32_e32 v17, v19, v17
	v_div_scale_f32 v19, vcc, v14, v16, v14
	v_mul_f32_e32 v20, v19, v17
	v_fma_f32 v21, -v15, v20, v19
	v_fmac_f32_e32 v20, v21, v17
	v_fma_f32 v15, -v15, v20, v19
	v_div_fmas_f32 v15, v15, v17, v20
	v_div_fixup_f32 v14, v15, v16, v14
	v_add_f32_e32 v14, v18, v14
	v_mul_f32_e32 v15, 0x4b800000, v14
	v_cmp_gt_f32_e32 vcc, s7, v14
	v_cndmask_b32_e32 v14, v14, v15, vcc
	v_rsq_f32_e32 v14, v14
	v_mul_f32_e32 v15, 0x45800000, v14
	v_cndmask_b32_e32 v14, v14, v15, vcc
	v_mov_b32_e32 v15, v14
	;;#ASMSTART
	v_pk_mul_f32 v[16:17], v[26:27], v[14:15]
	;;#ASMEND
	s_waitcnt vmcnt(2)
	v_cvt_f32_f16_sdwa v27, v10 dst_sel:DWORD dst_unused:UNUSED_PAD src0_sel:WORD_1
	v_cvt_f32_f16_e32 v26, v10
	;;#ASMSTART
	v_pk_mul_f32 v[18:19], v[48:49], v[14:15]
	;;#ASMEND
	;;#ASMSTART
	v_pk_mul_f32 v[20:21], v[44:45], v[14:15]
	;;#ASMEND
	;; [unrolled: 3-line block ×4, first 2 shown]
	v_cvt_f32_f16_sdwa v39, v11 dst_sel:DWORD dst_unused:UNUSED_PAD src0_sel:WORD_1
	v_cvt_f32_f16_e32 v38, v11
	;;#ASMSTART
	v_pk_mul_f32 v[42:43], v[42:43], v[14:15]
	;;#ASMEND
	;;#ASMSTART
	v_pk_mul_f32 v[36:37], v[36:37], v[14:15]
	;;#ASMEND
	;; [unrolled: 3-line block ×7, first 2 shown]
	v_pk_add_f32 v[14:15], v[26:27], 1.0 op_sel_hi:[1,0]
	;;#ASMSTART
	v_pk_mul_f32 v[26:27], v[16:17], v[14:15]
	;;#ASMEND
	v_cvt_f32_f16_sdwa v17, v12 dst_sel:DWORD dst_unused:UNUSED_PAD src0_sel:WORD_1
	v_cvt_f32_f16_e32 v16, v12
	v_cvt_f32_f16_sdwa v29, v13 dst_sel:DWORD dst_unused:UNUSED_PAD src0_sel:WORD_1
	v_cvt_f32_f16_e32 v28, v13
	v_pk_add_f32 v[14:15], v[38:39], 1.0 op_sel_hi:[1,0]
	;;#ASMSTART
	v_pk_mul_f32 v[48:49], v[18:19], v[14:15]
	;;#ASMEND
	s_waitcnt vmcnt(1)
	v_cvt_f32_f16_sdwa v15, v6 dst_sel:DWORD dst_unused:UNUSED_PAD src0_sel:WORD_1
	v_cvt_f32_f16_e32 v14, v6
	v_pk_add_f32 v[12:13], v[16:17], 1.0 op_sel_hi:[1,0]
	;;#ASMSTART
	v_pk_mul_f32 v[44:45], v[20:21], v[12:13]
	;;#ASMEND
	v_pk_add_f32 v[12:13], v[28:29], 1.0 op_sel_hi:[1,0]
	v_cvt_f32_f16_sdwa v17, v7 dst_sel:DWORD dst_unused:UNUSED_PAD src0_sel:WORD_1
	v_cvt_f32_f16_e32 v16, v7
	;;#ASMSTART
	v_pk_mul_f32 v[46:47], v[22:23], v[12:13]
	;;#ASMEND
	v_cvt_f32_f16_sdwa v13, v8 dst_sel:DWORD dst_unused:UNUSED_PAD src0_sel:WORD_1
	v_cvt_f32_f16_e32 v12, v8
	v_pk_add_f32 v[6:7], v[14:15], 1.0 op_sel_hi:[1,0]
	v_cvt_f32_f16_sdwa v15, v9 dst_sel:DWORD dst_unused:UNUSED_PAD src0_sel:WORD_1
	v_cvt_f32_f16_e32 v14, v9
	;;#ASMSTART
	v_pk_mul_f32 v[38:39], v[24:25], v[6:7]
	;;#ASMEND
	v_pk_add_f32 v[6:7], v[16:17], 1.0 op_sel_hi:[1,0]
	s_waitcnt vmcnt(0)
	v_cvt_f32_f16_sdwa v9, v2 dst_sel:DWORD dst_unused:UNUSED_PAD src0_sel:WORD_1
	v_cvt_f32_f16_e32 v8, v2
	;;#ASMSTART
	v_pk_mul_f32 v[42:43], v[42:43], v[6:7]
	;;#ASMEND
	v_pk_add_f32 v[6:7], v[12:13], 1.0 op_sel_hi:[1,0]
	;;#ASMSTART
	v_pk_mul_f32 v[36:37], v[36:37], v[6:7]
	;;#ASMEND
	v_pk_add_f32 v[6:7], v[14:15], 1.0 op_sel_hi:[1,0]
	v_cvt_f32_f16_sdwa v13, v3 dst_sel:DWORD dst_unused:UNUSED_PAD src0_sel:WORD_1
	v_cvt_f32_f16_e32 v12, v3
	;;#ASMSTART
	v_pk_mul_f32 v[40:41], v[40:41], v[6:7]
	;;#ASMEND
	v_cvt_f32_f16_sdwa v7, v4 dst_sel:DWORD dst_unused:UNUSED_PAD src0_sel:WORD_1
	v_cvt_f32_f16_e32 v6, v4
	v_pk_add_f32 v[2:3], v[8:9], 1.0 op_sel_hi:[1,0]
	v_cvt_f32_f16_sdwa v9, v5 dst_sel:DWORD dst_unused:UNUSED_PAD src0_sel:WORD_1
	v_cvt_f32_f16_e32 v8, v5
	;;#ASMSTART
	v_pk_mul_f32 v[32:33], v[32:33], v[2:3]
	;;#ASMEND
	v_pk_add_f32 v[2:3], v[12:13], 1.0 op_sel_hi:[1,0]
	;;#ASMSTART
	v_pk_mul_f32 v[34:35], v[34:35], v[2:3]
	;;#ASMEND
	v_pk_add_f32 v[2:3], v[6:7], 1.0 op_sel_hi:[1,0]
	;; [unrolled: 4-line block ×3, first 2 shown]
	;;#ASMSTART
	v_pk_mul_f32 v[28:29], v[10:11], v[2:3]
	;;#ASMEND
.LBB73_9:
	s_or_b64 exec, exec, s[20:21]
	s_load_dwordx2 s[26:27], s[4:5], 0x7c
	s_mov_b64 s[20:21], -1
	s_and_b64 vcc, exec, s[10:11]
	s_cbranch_vccnz .LBB73_13
; %bb.10:
	s_andn2_b64 vcc, exec, s[20:21]
	s_cbranch_vccz .LBB73_16
.LBB73_11:
	s_cmp_lt_i32 s16, 1
	s_cbranch_scc0 .LBB73_27
.LBB73_12:
	s_endpgm
.LBB73_13:
	s_and_saveexec_b64 s[10:11], s[2:3]
	s_cbranch_execz .LBB73_15
; %bb.14:
	s_waitcnt lgkmcnt(0)
	s_mul_hi_i32 s21, s27, s6
	s_mul_i32 s20, s27, s6
	s_waitcnt vmcnt(0)
	v_cvt_f16_f32_e32 v2, v26
	v_cvt_f16_f32_e32 v3, v48
	;; [unrolled: 1-line block ×8, first 2 shown]
	s_lshl_b64 s[20:21], s[20:21], 1
	s_add_u32 s20, s24, s20
	s_addc_u32 s7, s25, s21
	s_and_b32 s21, s7, 0xffff
	s_mov_b32 s23, 0x20000
	v_pack_b32_f16 v5, v5, v6
	v_pack_b32_f16 v4, v4, v7
	;; [unrolled: 1-line block ×4, first 2 shown]
	v_lshlrev_b32_e32 v6, 1, v1
	buffer_store_dwordx4 v[2:5], v6, s[20:23], 0 offen
	v_cvt_f16_f32_e32 v7, v41
	v_cvt_f16_f32_e32 v2, v38
	;; [unrolled: 1-line block ×8, first 2 shown]
	v_pack_b32_f16 v5, v5, v7
	v_pack_b32_f16 v4, v4, v8
	;; [unrolled: 1-line block ×4, first 2 shown]
	s_movk_i32 s7, 0x400
	;;#ASMSTART
	s_nop 0
	;;#ASMEND
	buffer_store_dwordx4 v[2:5], v6, s[20:23], s7 offen
	v_cvt_f16_f32_e32 v2, v32
	v_cvt_f16_f32_e32 v3, v34
	;; [unrolled: 1-line block ×8, first 2 shown]
	v_pack_b32_f16 v5, v5, v7
	v_pack_b32_f16 v4, v4, v8
	;; [unrolled: 1-line block ×4, first 2 shown]
	s_movk_i32 s7, 0x800
	;;#ASMSTART
	s_nop 0
	;;#ASMEND
	buffer_store_dwordx4 v[2:5], v6, s[20:23], s7 offen
	;;#ASMSTART
	s_nop 0
	;;#ASMEND
.LBB73_15:
	s_or_b64 exec, exec, s[10:11]
	s_cbranch_execnz .LBB73_11
.LBB73_16:
	s_waitcnt vmcnt(0)
	v_mov_b32_e32 v2, 0
	s_and_saveexec_b64 s[10:11], s[2:3]
	s_cbranch_execz .LBB73_18
; %bb.17:
	s_load_dwordx2 s[20:21], s[4:5], 0x10
	s_waitcnt lgkmcnt(0)
	s_mul_hi_i32 s31, s26, s6
	s_mul_i32 s30, s26, s6
	v_cvt_f16_f32_e32 v2, v26
	v_cvt_f16_f32_e32 v3, v48
	;; [unrolled: 1-line block ×8, first 2 shown]
	s_lshl_b64 s[30:31], s[30:31], 1
	s_add_u32 s20, s20, s30
	s_addc_u32 s7, s21, s31
	s_mov_b32 s23, 0x20000
	s_and_b32 s21, s7, 0xffff
	v_pack_b32_f16 v5, v5, v6
	v_pack_b32_f16 v4, v4, v7
	;; [unrolled: 1-line block ×4, first 2 shown]
	v_lshlrev_b32_e32 v6, 1, v1
	buffer_store_dwordx4 v[2:5], v6, s[20:23], 0 offen
	v_cvt_f16_f32_e32 v7, v41
	v_cvt_f16_f32_e32 v2, v38
	;; [unrolled: 1-line block ×8, first 2 shown]
	v_pack_b32_f16 v5, v5, v7
	v_pack_b32_f16 v4, v4, v8
	v_pack_b32_f16 v3, v3, v9
	v_pack_b32_f16 v2, v2, v10
	s_movk_i32 s7, 0x400
	;;#ASMSTART
	s_nop 0
	;;#ASMEND
	buffer_store_dwordx4 v[2:5], v6, s[20:23], s7 offen
	v_cvt_f16_f32_e32 v2, v32
	v_cvt_f16_f32_e32 v3, v34
	;; [unrolled: 1-line block ×8, first 2 shown]
	v_pack_b32_f16 v5, v5, v7
	v_pack_b32_f16 v4, v4, v8
	;; [unrolled: 1-line block ×4, first 2 shown]
	s_movk_i32 s7, 0x800
	;;#ASMSTART
	s_nop 0
	;;#ASMEND
	buffer_store_dwordx4 v[2:5], v6, s[20:23], s7 offen
	v_mov_b32_e32 v2, 0x2edbe6ff
	;;#ASMSTART
	s_nop 0
	;;#ASMEND
.LBB73_18:
	s_or_b64 exec, exec, s[10:11]
	s_and_saveexec_b64 s[10:11], s[2:3]
	s_cbranch_execz .LBB73_20
; %bb.19:
	v_and_b32_e32 v3, 0x7fffffff, v26
	v_and_b32_e32 v4, 0x7fffffff, v27
	;;#ASMSTART
	v_max3_f32 v2, v2, v3, v4

	;;#ASMEND
	v_and_b32_e32 v3, 0x7fffffff, v48
	v_and_b32_e32 v4, 0x7fffffff, v49
	;;#ASMSTART
	v_max3_f32 v2, v2, v3, v4

	;;#ASMEND
	;; [unrolled: 6-line block ×12, first 2 shown]
.LBB73_20:
	s_or_b64 exec, exec, s[10:11]
	s_nop 0
	v_mov_b32_dpp v3, v2 quad_perm:[1,0,3,2] row_mask:0xf bank_mask:0xf
	v_cmp_gt_f32_e32 vcc, v2, v3
	v_cndmask_b32_e32 v2, v3, v2, vcc
	s_nop 1
	v_mov_b32_dpp v3, v2 quad_perm:[2,3,0,1] row_mask:0xf bank_mask:0xf
	v_cmp_gt_f32_e32 vcc, v2, v3
	v_cndmask_b32_e32 v2, v3, v2, vcc
	s_nop 1
	v_mov_b32_dpp v3, v2 row_half_mirror row_mask:0xf bank_mask:0xf
	v_cmp_gt_f32_e32 vcc, v2, v3
	v_cndmask_b32_e32 v2, v3, v2, vcc
	s_nop 1
	v_mov_b32_dpp v3, v2 row_mirror row_mask:0xf bank_mask:0xf
	v_cmp_gt_f32_e32 vcc, v2, v3
	v_cndmask_b32_e32 v2, v3, v2, vcc
	s_nop 1
	v_mov_b32_dpp v3, v2 row_bcast:15 row_mask:0xf bank_mask:0xf
	v_cmp_gt_f32_e32 vcc, v2, v3
	v_cndmask_b32_e32 v2, v3, v2, vcc
	s_nop 1
	v_mov_b32_dpp v3, v2 row_bcast:31 row_mask:0xf bank_mask:0xf
	s_and_saveexec_b64 s[10:11], s[0:1]
	s_cbranch_execz .LBB73_22
; %bb.21:
	v_cmp_gt_f32_e32 vcc, v2, v3
	v_cndmask_b32_e32 v2, v3, v2, vcc
	v_lshrrev_b32_e32 v3, 4, v0
	v_and_b32_e32 v3, 60, v3
	ds_write_b32 v3, v2
.LBB73_22:
	s_or_b64 exec, exec, s[10:11]
	s_waitcnt lgkmcnt(0)
	s_barrier
	ds_read_b32 v2, v50
	s_load_dwordx2 s[20:21], s[4:5], 0x70
	s_waitcnt lgkmcnt(0)
	v_mov_b32_dpp v3, v2 quad_perm:[1,0,3,2] row_mask:0xf bank_mask:0xf
	v_cmp_gt_f32_e32 vcc, v2, v3
	v_cndmask_b32_e32 v2, v3, v2, vcc
	s_nop 1
	v_mov_b32_dpp v3, v2 quad_perm:[2,3,0,1] row_mask:0xf bank_mask:0xf
	v_cmp_gt_f32_e32 vcc, v2, v3
	v_cndmask_b32_e32 v2, v3, v2, vcc
	v_mul_f32_e32 v2, 0x3b124925, v2
	v_cmp_eq_u32_e32 vcc, 0, v0
	s_and_saveexec_b64 s[10:11], vcc
	s_cbranch_execz .LBB73_24
; %bb.23:
	s_load_dwordx2 s[22:23], s[4:5], 0x8
	s_mul_hi_i32 s31, s21, s6
	s_mul_i32 s30, s21, s6
	s_lshl_b64 s[30:31], s[30:31], 2
	v_mov_b32_e32 v3, 0
	s_waitcnt lgkmcnt(0)
	s_add_u32 s22, s22, s30
	s_addc_u32 s23, s23, s31
	global_store_dword v3, v2, s[22:23]
.LBB73_24:
	s_or_b64 exec, exec, s[10:11]
	;;#ASMSTART
	v_rcp_f32 v2, v2
	;;#ASMEND
	s_and_saveexec_b64 s[10:11], s[2:3]
	s_cbranch_execz .LBB73_26
; %bb.25:
	s_load_dwordx2 s[2:3], s[4:5], 0x0
	s_mul_i32 s12, s20, s6
	s_mul_hi_i32 s7, s20, s6
	v_mov_b32_e32 v3, v2
	;;#ASMSTART
	v_pk_mul_f32 v[4:5], v[26:27], v[2:3]
	;;#ASMEND
	s_waitcnt lgkmcnt(0)
	s_add_u32 s20, s2, s12
	s_addc_u32 s2, s3, s7
	s_add_i32 s3, s15, 3
	s_ashr_i32 s7, s3, 31
	v_mov_b32_e32 v8, 0xc3e00000
	v_mov_b32_e32 v9, 0x43e00000
	;;#ASMSTART
	v_med3_f32 v4, v4, v8, v9
v_med3_f32 v5, v5, v8, v9
v_cvt_pk_fp8_f32 v6, v4, v5
	;;#ASMEND
	s_lshr_b32 s7, s7, 30
	;;#ASMSTART
	v_pk_mul_f32 v[4:5], v[48:49], v[2:3]
	;;#ASMEND
	s_add_i32 s3, s3, s7
	s_and_b32 s21, s2, 0xffff
	;;#ASMSTART
	v_med3_f32 v4, v4, v8, v9
v_med3_f32 v5, v5, v8, v9
v_cvt_pk_fp8_f32 v7, v4, v5
	;;#ASMEND
	s_mov_b32 s2, 0x5040100
	s_and_b32 s22, s3, -4
	v_perm_b32 v5, v7, v6, s2
	s_movk_i32 s3, 0xff
	v_and_b32_e32 v4, 0xffffff00, v7
	v_and_b32_sdwa v6, v5, s3 dst_sel:DWORD dst_unused:UNUSED_PAD src0_sel:WORD_1 src1_sel:DWORD
	s_mov_b32 s14, 0xffff
	v_or_b32_sdwa v4, v6, v4 dst_sel:WORD_1 dst_unused:UNUSED_PAD src0_sel:DWORD src1_sel:DWORD
	v_and_or_b32 v4, v5, s14, v4
	;;#ASMSTART
	v_pk_mul_f32 v[6:7], v[44:45], v[2:3]
	;;#ASMEND
	v_mov_b32_e32 v5, v7
	;;#ASMSTART
	v_med3_f32 v6, v6, v8, v9
v_med3_f32 v5, v5, v8, v9
v_cvt_pk_fp8_f32 v10, v6, v5
	;;#ASMEND
	;;#ASMSTART
	v_pk_mul_f32 v[6:7], v[46:47], v[2:3]
	;;#ASMEND
	v_mov_b32_e32 v5, v7
	;;#ASMSTART
	v_med3_f32 v6, v6, v8, v9
v_med3_f32 v5, v5, v8, v9
v_cvt_pk_fp8_f32 v7, v6, v5
	;;#ASMEND
	v_lshlrev_b32_e32 v5, 16, v7
	s_mov_b32 s23, 0x20000
	v_and_or_b32 v5, v10, s14, v5
	buffer_store_dwordx2 v[4:5], v1, s[20:23], 0 offen
	;;#ASMSTART
	s_nop 0
	;;#ASMEND
	;;#ASMSTART
	v_pk_mul_f32 v[4:5], v[38:39], v[2:3]
	;;#ASMEND
	;;#ASMSTART
	v_med3_f32 v4, v4, v8, v9
v_med3_f32 v5, v5, v8, v9
v_cvt_pk_fp8_f32 v6, v4, v5
	;;#ASMEND
	;;#ASMSTART
	v_pk_mul_f32 v[4:5], v[42:43], v[2:3]
	;;#ASMEND
	;;#ASMSTART
	v_med3_f32 v4, v4, v8, v9
v_med3_f32 v5, v5, v8, v9
v_cvt_pk_fp8_f32 v7, v4, v5
	;;#ASMEND
	v_perm_b32 v5, v7, v6, s2
	v_and_b32_e32 v4, 0xffffff00, v7
	v_and_b32_sdwa v6, v5, s3 dst_sel:DWORD dst_unused:UNUSED_PAD src0_sel:WORD_1 src1_sel:DWORD
	v_or_b32_sdwa v4, v6, v4 dst_sel:WORD_1 dst_unused:UNUSED_PAD src0_sel:DWORD src1_sel:DWORD
	v_and_or_b32 v4, v5, s14, v4
	;;#ASMSTART
	v_pk_mul_f32 v[6:7], v[36:37], v[2:3]
	;;#ASMEND
	v_mov_b32_e32 v5, v7
	;;#ASMSTART
	v_med3_f32 v6, v6, v8, v9
v_med3_f32 v5, v5, v8, v9
v_cvt_pk_fp8_f32 v10, v6, v5
	;;#ASMEND
	;;#ASMSTART
	v_pk_mul_f32 v[6:7], v[40:41], v[2:3]
	;;#ASMEND
	v_mov_b32_e32 v5, v7
	;;#ASMSTART
	v_med3_f32 v6, v6, v8, v9
v_med3_f32 v5, v5, v8, v9
v_cvt_pk_fp8_f32 v7, v6, v5
	;;#ASMEND
	v_lshlrev_b32_e32 v5, 16, v7
	v_and_or_b32 v5, v10, s14, v5
	s_movk_i32 s7, 0x200
	buffer_store_dwordx2 v[4:5], v1, s[20:23], s7 offen
	;;#ASMSTART
	s_nop 0
	;;#ASMEND
	;;#ASMSTART
	v_pk_mul_f32 v[4:5], v[32:33], v[2:3]
	;;#ASMEND
	;;#ASMSTART
	v_med3_f32 v4, v4, v8, v9
v_med3_f32 v5, v5, v8, v9
v_cvt_pk_fp8_f32 v6, v4, v5
	;;#ASMEND
	;;#ASMSTART
	v_pk_mul_f32 v[4:5], v[34:35], v[2:3]
	;;#ASMEND
	;;#ASMSTART
	v_med3_f32 v4, v4, v8, v9
v_med3_f32 v5, v5, v8, v9
v_cvt_pk_fp8_f32 v7, v4, v5
	;;#ASMEND
	v_perm_b32 v5, v7, v6, s2
	v_and_b32_e32 v4, 0xffffff00, v7
	v_and_b32_sdwa v6, v5, s3 dst_sel:DWORD dst_unused:UNUSED_PAD src0_sel:WORD_1 src1_sel:DWORD
	v_or_b32_sdwa v4, v6, v4 dst_sel:WORD_1 dst_unused:UNUSED_PAD src0_sel:DWORD src1_sel:DWORD
	v_and_or_b32 v4, v5, s14, v4
	;;#ASMSTART
	v_pk_mul_f32 v[6:7], v[30:31], v[2:3]
	;;#ASMEND
	v_mov_b32_e32 v5, v7
	;;#ASMSTART
	v_med3_f32 v6, v6, v8, v9
v_med3_f32 v5, v5, v8, v9
v_cvt_pk_fp8_f32 v7, v6, v5
	;;#ASMEND
	;;#ASMSTART
	v_pk_mul_f32 v[2:3], v[28:29], v[2:3]
	;;#ASMEND
	;;#ASMSTART
	v_med3_f32 v2, v2, v8, v9
v_med3_f32 v3, v3, v8, v9
v_cvt_pk_fp8_f32 v5, v2, v3
	;;#ASMEND
	v_lshlrev_b32_e32 v2, 16, v5
	v_and_or_b32 v5, v7, s14, v2
	s_movk_i32 s2, 0x400
	buffer_store_dwordx2 v[4:5], v1, s[20:23], s2 offen
	;;#ASMSTART
	s_nop 0
	;;#ASMEND
.LBB73_26:
	s_or_b64 exec, exec, s[10:11]
	s_cmp_lt_i32 s16, 1
	s_cbranch_scc1 .LBB73_12
.LBB73_27:
	s_load_dword s2, s[4:5], 0x94
	s_waitcnt lgkmcnt(0)
	s_cmp_lg_u32 s2, 1
	s_cbranch_scc1 .LBB73_12
; %bb.28:
	s_lshl_b32 s2, s16, 1
	s_add_i32 s2, s2, 2
	v_cmp_gt_u32_e32 vcc, s16, v1
	s_and_b32 s10, s2, -4
	v_mov_b32_e32 v26, 0
	v_lshlrev_b32_e32 v1, 1, v1
	v_mov_b32_e32 v22, 0
	v_mov_b32_e32 v23, 0
	;; [unrolled: 1-line block ×8, first 2 shown]
	s_waitcnt vmcnt(3)
	v_mov_b32_e32 v18, 0
	v_mov_b32_e32 v19, 0
	v_mov_b32_e32 v20, 0
	v_mov_b32_e32 v21, 0
	s_waitcnt vmcnt(2)
	v_mov_b32_e32 v10, 0
	v_mov_b32_e32 v11, 0
	v_mov_b32_e32 v12, 0
	v_mov_b32_e32 v13, 0
	;; [unrolled: 5-line block ×4, first 2 shown]
	s_barrier
	s_and_saveexec_b64 s[2:3], vcc
	s_cbranch_execz .LBB73_30
; %bb.29:
	s_mul_hi_i32 s5, s18, s6
	s_mul_i32 s4, s18, s6
	s_and_b32 s9, s9, 0xffff
	s_lshl_b64 s[4:5], s[4:5], 1
	s_add_u32 s20, s28, s4
	s_mov_b32 s11, 0x20000
	s_addc_u32 s4, s29, s5
	s_and_b32 s21, s4, 0xffff
	s_mov_b32 s22, s10
	s_mov_b32 s23, s11
	s_movk_i32 s5, 0x800
	s_movk_i32 s4, 0x400
	buffer_load_dwordx4 v[22:25], v1, s[20:23], 0 offen glc slc
	buffer_load_dwordx4 v[14:17], v1, s[20:23], s4 offen glc slc
	;; [unrolled: 1-line block ×3, first 2 shown]
	buffer_load_dwordx4 v[10:13], v1, s[8:11], 0 offen
	buffer_load_dwordx4 v[6:9], v1, s[8:11], s4 offen
	;; [unrolled: 1-line block ×3, first 2 shown]
.LBB73_30:
	s_or_b64 exec, exec, s[2:3]
	v_mov_b32_e32 v27, 0
	v_mov_b32_e32 v48, 0
	;; [unrolled: 1-line block ×23, first 2 shown]
	s_and_saveexec_b64 s[2:3], vcc
	s_cbranch_execz .LBB73_32
; %bb.31:
	s_waitcnt vmcnt(5)
	v_cvt_f32_f16_sdwa v27, v22 dst_sel:DWORD dst_unused:UNUSED_PAD src0_sel:WORD_1
	v_cvt_f32_f16_e32 v26, v22
	v_cvt_f32_f16_sdwa v49, v23 dst_sel:DWORD dst_unused:UNUSED_PAD src0_sel:WORD_1
	v_cvt_f32_f16_e32 v48, v23
	v_cvt_f32_f16_sdwa v47, v24 dst_sel:DWORD dst_unused:UNUSED_PAD src0_sel:WORD_1
	v_cvt_f32_f16_e32 v46, v24
	v_cvt_f32_f16_sdwa v45, v25 dst_sel:DWORD dst_unused:UNUSED_PAD src0_sel:WORD_1
	v_cvt_f32_f16_e32 v44, v25
	s_waitcnt vmcnt(4)
	v_cvt_f32_f16_sdwa v43, v14 dst_sel:DWORD dst_unused:UNUSED_PAD src0_sel:WORD_1
	v_cvt_f32_f16_e32 v42, v14
	v_cvt_f32_f16_sdwa v41, v15 dst_sel:DWORD dst_unused:UNUSED_PAD src0_sel:WORD_1
	v_cvt_f32_f16_e32 v40, v15
	v_cvt_f32_f16_sdwa v39, v16 dst_sel:DWORD dst_unused:UNUSED_PAD src0_sel:WORD_1
	v_cvt_f32_f16_e32 v38, v16
	v_cvt_f32_f16_sdwa v37, v17 dst_sel:DWORD dst_unused:UNUSED_PAD src0_sel:WORD_1
	v_cvt_f32_f16_e32 v36, v17
	;; [unrolled: 9-line block ×3, first 2 shown]
.LBB73_32:
	s_or_b64 exec, exec, s[2:3]
	s_waitcnt vmcnt(4)
	v_mul_f32_e32 v14, v27, v27
	v_fmac_f32_e32 v14, v26, v26
	v_fmac_f32_e32 v14, v48, v48
	;; [unrolled: 1-line block ×23, first 2 shown]
	s_nop 1
	v_mov_b32_dpp v15, v14 quad_perm:[1,0,3,2] row_mask:0xf bank_mask:0xf
	v_add_f32_e32 v14, v14, v15
	s_nop 1
	v_mov_b32_dpp v15, v14 quad_perm:[2,3,0,1] row_mask:0xf bank_mask:0xf
	v_add_f32_e32 v14, v14, v15
	s_nop 1
	v_mov_b32_dpp v15, v14 row_half_mirror row_mask:0xf bank_mask:0xf
	v_add_f32_e32 v14, v14, v15
	s_nop 1
	v_mov_b32_dpp v15, v14 row_mirror row_mask:0xf bank_mask:0xf
	v_add_f32_e32 v14, v14, v15
	s_nop 1
	v_mov_b32_dpp v15, v14 row_bcast:15 row_mask:0xf bank_mask:0xf
	v_add_f32_e32 v14, v14, v15
	s_nop 1
	v_mov_b32_dpp v15, v14 row_bcast:31 row_mask:0xf bank_mask:0xf
	s_and_saveexec_b64 s[2:3], s[0:1]
	s_cbranch_execz .LBB73_34
; %bb.33:
	v_lshrrev_b32_e32 v0, 4, v0
	v_add_f32_e32 v14, v14, v15
	v_and_b32_e32 v0, 60, v0
	ds_write_b32 v0, v14 offset:16
.LBB73_34:
	s_or_b64 exec, exec, s[2:3]
	s_waitcnt lgkmcnt(0)
	s_barrier
	ds_read_b32 v0, v50 offset:16
	s_waitcnt lgkmcnt(0)
	s_nop 0
	v_mov_b32_dpp v14, v0 quad_perm:[1,0,3,2] row_mask:0xf bank_mask:0xf
	v_add_f32_e32 v0, v0, v14
	s_nop 1
	v_mov_b32_dpp v14, v0 quad_perm:[2,3,0,1] row_mask:0xf bank_mask:0xf
	s_and_saveexec_b64 s[0:1], vcc
	s_cbranch_execz .LBB73_12
; %bb.35:
	v_cvt_f32_u32_e32 v15, s16
	v_add_f32_e32 v0, v0, v14
	s_mov_b32 s11, 0x20000
	v_div_scale_f32 v14, s[0:1], v15, v15, v0
	v_rcp_f32_e32 v16, v14
	v_div_scale_f32 v17, vcc, v0, v15, v0
	s_mov_b32 s0, 0x800000
	s_waitcnt vmcnt(3)
	v_fma_f32 v18, -v14, v16, 1.0
	v_fmac_f32_e32 v16, v18, v16
	v_mul_f32_e32 v18, v17, v16
	v_fma_f32 v19, -v14, v18, v17
	v_fmac_f32_e32 v18, v19, v16
	v_fma_f32 v14, -v14, v18, v17
	v_div_fmas_f32 v14, v14, v16, v18
	v_div_fixup_f32 v0, v14, v15, v0
	v_add_f32_e32 v0, s13, v0
	v_mul_f32_e32 v14, 0x4b800000, v0
	v_cmp_gt_f32_e32 vcc, s0, v0
	v_cndmask_b32_e32 v0, v0, v14, vcc
	v_rsq_f32_e32 v0, v0
	s_mul_hi_i32 s1, s27, s6
	s_mul_i32 s0, s27, s6
	s_lshl_b64 s[0:1], s[0:1], 1
	v_mul_f32_e32 v14, 0x45800000, v0
	v_cndmask_b32_e32 v14, v0, v14, vcc
	v_mov_b32_e32 v15, v14
	;;#ASMSTART
	v_pk_mul_f32 v[16:17], v[26:27], v[14:15]
	;;#ASMEND
	;;#ASMSTART
	v_pk_mul_f32 v[18:19], v[48:49], v[14:15]
	;;#ASMEND
	;; [unrolled: 3-line block ×6, first 2 shown]
	s_waitcnt vmcnt(2)
	v_cvt_f32_f16_sdwa v41, v10 dst_sel:DWORD dst_unused:UNUSED_PAD src0_sel:WORD_1
	v_cvt_f32_f16_e32 v40, v10
	v_cvt_f32_f16_sdwa v43, v11 dst_sel:DWORD dst_unused:UNUSED_PAD src0_sel:WORD_1
	v_cvt_f32_f16_e32 v42, v11
	;;#ASMSTART
	v_pk_mul_f32 v[38:39], v[38:39], v[14:15]
	;;#ASMEND
	;;#ASMSTART
	v_pk_mul_f32 v[36:37], v[36:37], v[14:15]
	;;#ASMEND
	;; [unrolled: 3-line block ×6, first 2 shown]
	v_cvt_f32_f16_sdwa v29, v12 dst_sel:DWORD dst_unused:UNUSED_PAD src0_sel:WORD_1
	v_cvt_f32_f16_e32 v28, v12
	v_pk_add_f32 v[14:15], v[40:41], 1.0 op_sel_hi:[1,0]
	;;#ASMSTART
	v_pk_mul_f32 v[14:15], v[16:17], v[14:15]
	;;#ASMEND
	v_pk_add_f32 v[16:17], v[42:43], 1.0 op_sel_hi:[1,0]
	v_cvt_f32_f16_sdwa v41, v13 dst_sel:DWORD dst_unused:UNUSED_PAD src0_sel:WORD_1
	v_cvt_f32_f16_e32 v40, v13
	;;#ASMSTART
	v_pk_mul_f32 v[12:13], v[18:19], v[16:17]
	;;#ASMEND
	v_pk_add_f32 v[16:17], v[28:29], 1.0 op_sel_hi:[1,0]
	;;#ASMSTART
	v_pk_mul_f32 v[16:17], v[20:21], v[16:17]
	;;#ASMEND
	s_waitcnt vmcnt(1)
	v_cvt_f32_f16_sdwa v21, v6 dst_sel:DWORD dst_unused:UNUSED_PAD src0_sel:WORD_1
	v_cvt_f32_f16_e32 v20, v6
	v_pk_add_f32 v[18:19], v[40:41], 1.0 op_sel_hi:[1,0]
	v_cvt_f32_f16_sdwa v29, v7 dst_sel:DWORD dst_unused:UNUSED_PAD src0_sel:WORD_1
	v_cvt_f32_f16_e32 v28, v7
	;;#ASMSTART
	v_pk_mul_f32 v[6:7], v[22:23], v[18:19]
	;;#ASMEND
	v_pk_add_f32 v[18:19], v[20:21], 1.0 op_sel_hi:[1,0]
	;;#ASMSTART
	v_pk_mul_f32 v[18:19], v[24:25], v[18:19]
	;;#ASMEND
	v_cvt_f32_f16_sdwa v23, v8 dst_sel:DWORD dst_unused:UNUSED_PAD src0_sel:WORD_1
	v_cvt_f32_f16_e32 v22, v8
	v_cvt_f32_f16_sdwa v25, v9 dst_sel:DWORD dst_unused:UNUSED_PAD src0_sel:WORD_1
	v_cvt_f32_f16_e32 v24, v9
	v_pk_add_f32 v[20:21], v[28:29], 1.0 op_sel_hi:[1,0]
	;;#ASMSTART
	v_pk_mul_f32 v[8:9], v[26:27], v[20:21]
	;;#ASMEND
	v_pk_add_f32 v[20:21], v[22:23], 1.0 op_sel_hi:[1,0]
	v_pk_add_f32 v[22:23], v[24:25], 1.0 op_sel_hi:[1,0]
	s_waitcnt vmcnt(0)
	v_cvt_f32_f16_sdwa v25, v2 dst_sel:DWORD dst_unused:UNUSED_PAD src0_sel:WORD_1
	v_cvt_f32_f16_e32 v24, v2
	v_cvt_f32_f16_sdwa v27, v3 dst_sel:DWORD dst_unused:UNUSED_PAD src0_sel:WORD_1
	v_cvt_f32_f16_e32 v26, v3
	;;#ASMSTART
	v_pk_mul_f32 v[20:21], v[38:39], v[20:21]
	;;#ASMEND
	v_pk_add_f32 v[2:3], v[24:25], 1.0 op_sel_hi:[1,0]
	;;#ASMSTART
	v_pk_mul_f32 v[22:23], v[36:37], v[22:23]
	;;#ASMEND
	;;#ASMSTART
	v_pk_mul_f32 v[24:25], v[34:35], v[2:3]
	;;#ASMEND
	v_pk_add_f32 v[2:3], v[26:27], 1.0 op_sel_hi:[1,0]
	v_cvt_f32_f16_sdwa v27, v4 dst_sel:DWORD dst_unused:UNUSED_PAD src0_sel:WORD_1
	v_cvt_f32_f16_e32 v26, v4
	v_cvt_f32_f16_sdwa v29, v5 dst_sel:DWORD dst_unused:UNUSED_PAD src0_sel:WORD_1
	v_cvt_f32_f16_e32 v28, v5
	;;#ASMSTART
	v_pk_mul_f32 v[32:33], v[32:33], v[2:3]
	;;#ASMEND
	v_pk_add_f32 v[2:3], v[26:27], 1.0 op_sel_hi:[1,0]
	;;#ASMSTART
	v_pk_mul_f32 v[26:27], v[30:31], v[2:3]
	;;#ASMEND
	v_pk_add_f32 v[2:3], v[28:29], 1.0 op_sel_hi:[1,0]
	;;#ASMSTART
	v_pk_mul_f32 v[10:11], v[10:11], v[2:3]
	;;#ASMEND
	v_cvt_f16_f32_e32 v0, v14
	v_cvt_f16_f32_e32 v2, v15
	;; [unrolled: 1-line block ×8, first 2 shown]
	s_add_u32 s8, s24, s0
	s_addc_u32 s0, s25, s1
	s_and_b32 s9, s0, 0xffff
	v_pack_b32_f16 v2, v0, v2
	v_pack_b32_f16 v3, v3, v4
	;; [unrolled: 1-line block ×4, first 2 shown]
	buffer_store_dwordx4 v[2:5], v1, s[8:11], 0 offen
	v_cvt_f16_f32_e32 v0, v18
	v_cvt_f16_f32_e32 v2, v19
	;; [unrolled: 1-line block ×8, first 2 shown]
	v_pack_b32_f16 v2, v0, v2
	v_pack_b32_f16 v3, v3, v4
	;; [unrolled: 1-line block ×4, first 2 shown]
	s_movk_i32 s0, 0x400
	;;#ASMSTART
	s_nop 0
	;;#ASMEND
	buffer_store_dwordx4 v[2:5], v1, s[8:11], s0 offen
	v_cvt_f16_f32_e32 v0, v24
	v_cvt_f16_f32_e32 v2, v25
	;; [unrolled: 1-line block ×8, first 2 shown]
	v_pack_b32_f16 v2, v0, v2
	v_pack_b32_f16 v3, v3, v4
	;; [unrolled: 1-line block ×4, first 2 shown]
	s_movk_i32 s0, 0x800
	;;#ASMSTART
	s_nop 0
	;;#ASMEND
	buffer_store_dwordx4 v[2:5], v1, s[8:11], s0 offen
	;;#ASMSTART
	s_nop 0
	;;#ASMEND
	s_endpgm
	.section	.rodata,"a",@progbits
	.p2align	6, 0x0
	.amdhsa_kernel _ZN5aiter35fused_qk_rmsnorm_group_quant_kernelIDF16_DB8_Li256ELi24ELi1ELb0ELb1ELb1ELb0ELb1ELb1EEEvPT0_PvPT_S6_S6_PKS5_S8_S8_S8_S8_ffiiiiiiiiiiiii
		.amdhsa_group_segment_fixed_size 48
		.amdhsa_private_segment_fixed_size 0
		.amdhsa_kernarg_size 400
		.amdhsa_user_sgpr_count 6
		.amdhsa_user_sgpr_private_segment_buffer 1
		.amdhsa_user_sgpr_dispatch_ptr 0
		.amdhsa_user_sgpr_queue_ptr 0
		.amdhsa_user_sgpr_kernarg_segment_ptr 1
		.amdhsa_user_sgpr_dispatch_id 0
		.amdhsa_user_sgpr_flat_scratch_init 0
		.amdhsa_user_sgpr_kernarg_preload_length 0
		.amdhsa_user_sgpr_kernarg_preload_offset 0
		.amdhsa_user_sgpr_private_segment_size 0
		.amdhsa_uses_dynamic_stack 0
		.amdhsa_system_sgpr_private_segment_wavefront_offset 0
		.amdhsa_system_sgpr_workgroup_id_x 1
		.amdhsa_system_sgpr_workgroup_id_y 1
		.amdhsa_system_sgpr_workgroup_id_z 0
		.amdhsa_system_sgpr_workgroup_info 0
		.amdhsa_system_vgpr_workitem_id 0
		.amdhsa_next_free_vgpr 51
		.amdhsa_next_free_sgpr 32
		.amdhsa_accum_offset 52
		.amdhsa_reserve_vcc 1
		.amdhsa_reserve_flat_scratch 0
		.amdhsa_float_round_mode_32 0
		.amdhsa_float_round_mode_16_64 0
		.amdhsa_float_denorm_mode_32 3
		.amdhsa_float_denorm_mode_16_64 3
		.amdhsa_dx10_clamp 1
		.amdhsa_ieee_mode 1
		.amdhsa_fp16_overflow 0
		.amdhsa_tg_split 0
		.amdhsa_exception_fp_ieee_invalid_op 0
		.amdhsa_exception_fp_denorm_src 0
		.amdhsa_exception_fp_ieee_div_zero 0
		.amdhsa_exception_fp_ieee_overflow 0
		.amdhsa_exception_fp_ieee_underflow 0
		.amdhsa_exception_fp_ieee_inexact 0
		.amdhsa_exception_int_div_zero 0
	.end_amdhsa_kernel
	.section	.text._ZN5aiter35fused_qk_rmsnorm_group_quant_kernelIDF16_DB8_Li256ELi24ELi1ELb0ELb1ELb1ELb0ELb1ELb1EEEvPT0_PvPT_S6_S6_PKS5_S8_S8_S8_S8_ffiiiiiiiiiiiii,"axG",@progbits,_ZN5aiter35fused_qk_rmsnorm_group_quant_kernelIDF16_DB8_Li256ELi24ELi1ELb0ELb1ELb1ELb0ELb1ELb1EEEvPT0_PvPT_S6_S6_PKS5_S8_S8_S8_S8_ffiiiiiiiiiiiii,comdat
.Lfunc_end73:
	.size	_ZN5aiter35fused_qk_rmsnorm_group_quant_kernelIDF16_DB8_Li256ELi24ELi1ELb0ELb1ELb1ELb0ELb1ELb1EEEvPT0_PvPT_S6_S6_PKS5_S8_S8_S8_S8_ffiiiiiiiiiiiii, .Lfunc_end73-_ZN5aiter35fused_qk_rmsnorm_group_quant_kernelIDF16_DB8_Li256ELi24ELi1ELb0ELb1ELb1ELb0ELb1ELb1EEEvPT0_PvPT_S6_S6_PKS5_S8_S8_S8_S8_ffiiiiiiiiiiiii
                                        ; -- End function
	.section	.AMDGPU.csdata,"",@progbits
; Kernel info:
; codeLenInByte = 5244
; NumSgprs: 36
; NumVgprs: 51
; NumAgprs: 0
; TotalNumVgprs: 51
; ScratchSize: 0
; MemoryBound: 0
; FloatMode: 240
; IeeeMode: 1
; LDSByteSize: 48 bytes/workgroup (compile time only)
; SGPRBlocks: 4
; VGPRBlocks: 6
; NumSGPRsForWavesPerEU: 36
; NumVGPRsForWavesPerEU: 51
; AccumOffset: 52
; Occupancy: 8
; WaveLimiterHint : 0
; COMPUTE_PGM_RSRC2:SCRATCH_EN: 0
; COMPUTE_PGM_RSRC2:USER_SGPR: 6
; COMPUTE_PGM_RSRC2:TRAP_HANDLER: 0
; COMPUTE_PGM_RSRC2:TGID_X_EN: 1
; COMPUTE_PGM_RSRC2:TGID_Y_EN: 1
; COMPUTE_PGM_RSRC2:TGID_Z_EN: 0
; COMPUTE_PGM_RSRC2:TIDIG_COMP_CNT: 0
; COMPUTE_PGM_RSRC3_GFX90A:ACCUM_OFFSET: 12
; COMPUTE_PGM_RSRC3_GFX90A:TG_SPLIT: 0
	.section	.text._ZN5aiter35fused_qk_rmsnorm_group_quant_kernelItDB8_Li256ELi24ELi1ELb0ELb1ELb1ELb0ELb1ELb1EEEvPT0_PvPT_S6_S6_PKS5_S8_S8_S8_S8_ffiiiiiiiiiiiii,"axG",@progbits,_ZN5aiter35fused_qk_rmsnorm_group_quant_kernelItDB8_Li256ELi24ELi1ELb0ELb1ELb1ELb0ELb1ELb1EEEvPT0_PvPT_S6_S6_PKS5_S8_S8_S8_S8_ffiiiiiiiiiiiii,comdat
	.protected	_ZN5aiter35fused_qk_rmsnorm_group_quant_kernelItDB8_Li256ELi24ELi1ELb0ELb1ELb1ELb0ELb1ELb1EEEvPT0_PvPT_S6_S6_PKS5_S8_S8_S8_S8_ffiiiiiiiiiiiii ; -- Begin function _ZN5aiter35fused_qk_rmsnorm_group_quant_kernelItDB8_Li256ELi24ELi1ELb0ELb1ELb1ELb0ELb1ELb1EEEvPT0_PvPT_S6_S6_PKS5_S8_S8_S8_S8_ffiiiiiiiiiiiii
	.globl	_ZN5aiter35fused_qk_rmsnorm_group_quant_kernelItDB8_Li256ELi24ELi1ELb0ELb1ELb1ELb0ELb1ELb1EEEvPT0_PvPT_S6_S6_PKS5_S8_S8_S8_S8_ffiiiiiiiiiiiii
	.p2align	8
	.type	_ZN5aiter35fused_qk_rmsnorm_group_quant_kernelItDB8_Li256ELi24ELi1ELb0ELb1ELb1ELb0ELb1ELb1EEEvPT0_PvPT_S6_S6_PKS5_S8_S8_S8_S8_ffiiiiiiiiiiiii,@function
_ZN5aiter35fused_qk_rmsnorm_group_quant_kernelItDB8_Li256ELi24ELi1ELb0ELb1ELb1ELb0ELb1ELb1EEEvPT0_PvPT_S6_S6_PKS5_S8_S8_S8_S8_ffiiiiiiiiiiiii: ; @_ZN5aiter35fused_qk_rmsnorm_group_quant_kernelItDB8_Li256ELi24ELi1ELb0ELb1ELb1ELb0ELb1ELb1EEEvPT0_PvPT_S6_S6_PKS5_S8_S8_S8_S8_ffiiiiiiiiiiiii
; %bb.0:
	s_load_dwordx4 s[12:15], s[4:5], 0x50
	s_waitcnt lgkmcnt(0)
	s_cmp_ge_i32 s6, s14
	s_cbranch_scc1 .LBB74_12
; %bb.1:
	s_load_dwordx2 s[8:9], s[4:5], 0x48
	s_load_dwordx2 s[28:29], s[4:5], 0x30
	s_load_dwordx4 s[16:19], s[4:5], 0x60
	s_cmp_lg_u32 s7, 0
	s_cselect_b64 s[10:11], -1, 0
	s_cmp_eq_u32 s7, 0
	s_cselect_b64 vcc, -1, 0
	s_and_b64 s[0:1], vcc, exec
	s_waitcnt lgkmcnt(0)
	s_cselect_b32 s7, s15, s16
	s_add_i32 s0, s7, 1
	s_lshr_b32 s1, s0, 31
	s_add_i32 s0, s0, s1
	s_lshl_b32 s0, s0, 1
	v_and_b32_e32 v2, 0x3c0, v0
	s_and_b32 s22, s0, -4
	v_lshlrev_b32_e32 v1, 3, v0
	v_mul_u32_u24_e32 v2, 24, v2
	s_movk_i32 s0, 0x1f8
	v_and_or_b32 v1, v1, s0, v2
	v_cmp_gt_i32_e64 s[2:3], s7, v1
	v_mov_b32_e32 v26, 0
	v_mov_b32_e32 v10, 0
	;; [unrolled: 1-line block ×25, first 2 shown]
	s_and_saveexec_b64 s[0:1], s[2:3]
	s_cbranch_execz .LBB74_3
; %bb.2:
	s_load_dwordx2 s[20:21], s[4:5], 0x28
	s_load_dwordx2 s[26:27], s[4:5], 0x40
	s_and_b64 s[24:25], vcc, exec
	s_cselect_b32 s14, s17, s18
	s_mov_b32 s23, 0x20000
	s_waitcnt lgkmcnt(0)
	s_cselect_b32 s17, s21, s29
	s_cselect_b32 s19, s20, s28
	s_mul_hi_i32 s21, s14, s6
	s_mul_i32 s20, s14, s6
	s_lshl_b64 s[20:21], s[20:21], 1
	s_add_u32 s24, s19, s20
	s_addc_u32 s14, s17, s21
	s_and_b64 s[20:21], vcc, exec
	s_cselect_b32 s17, s27, s9
	s_cselect_b32 s20, s26, s8
	s_and_b32 s21, s17, 0xffff
	s_and_b32 s25, s14, 0xffff
	s_mov_b32 s26, s22
	s_mov_b32 s27, s23
	v_lshlrev_b32_e32 v27, 1, v1
	s_movk_i32 s17, 0x800
	s_movk_i32 s14, 0x400
	buffer_load_dwordx4 v[22:25], v27, s[24:27], 0 offen glc slc
	buffer_load_dwordx4 v[14:17], v27, s[24:27], s14 offen glc slc
	buffer_load_dwordx4 v[18:21], v27, s[24:27], s17 offen glc slc
	buffer_load_dwordx4 v[10:13], v27, s[20:23], 0 offen
	buffer_load_dwordx4 v[6:9], v27, s[20:23], s14 offen
	;; [unrolled: 1-line block ×3, first 2 shown]
.LBB74_3:
	s_or_b64 exec, exec, s[0:1]
	v_mov_b32_e32 v27, 0
	v_mov_b32_e32 v48, 0
	;; [unrolled: 1-line block ×23, first 2 shown]
	s_and_saveexec_b64 s[0:1], s[2:3]
	s_cbranch_execz .LBB74_5
; %bb.4:
	s_waitcnt vmcnt(5)
	v_cvt_f32_u32_sdwa v26, v22 dst_sel:DWORD dst_unused:UNUSED_PAD src0_sel:WORD_0
	v_cvt_f32_u32_sdwa v27, v22 dst_sel:DWORD dst_unused:UNUSED_PAD src0_sel:WORD_1
	v_cvt_f32_u32_sdwa v48, v23 dst_sel:DWORD dst_unused:UNUSED_PAD src0_sel:WORD_0
	v_cvt_f32_u32_sdwa v49, v23 dst_sel:DWORD dst_unused:UNUSED_PAD src0_sel:WORD_1
	v_cvt_f32_u32_sdwa v44, v24 dst_sel:DWORD dst_unused:UNUSED_PAD src0_sel:WORD_0
	v_cvt_f32_u32_sdwa v45, v24 dst_sel:DWORD dst_unused:UNUSED_PAD src0_sel:WORD_1
	v_cvt_f32_u32_sdwa v46, v25 dst_sel:DWORD dst_unused:UNUSED_PAD src0_sel:WORD_0
	v_cvt_f32_u32_sdwa v47, v25 dst_sel:DWORD dst_unused:UNUSED_PAD src0_sel:WORD_1
	s_waitcnt vmcnt(4)
	v_cvt_f32_u32_sdwa v38, v14 dst_sel:DWORD dst_unused:UNUSED_PAD src0_sel:WORD_0
	v_cvt_f32_u32_sdwa v39, v14 dst_sel:DWORD dst_unused:UNUSED_PAD src0_sel:WORD_1
	v_cvt_f32_u32_sdwa v42, v15 dst_sel:DWORD dst_unused:UNUSED_PAD src0_sel:WORD_0
	v_cvt_f32_u32_sdwa v43, v15 dst_sel:DWORD dst_unused:UNUSED_PAD src0_sel:WORD_1
	v_cvt_f32_u32_sdwa v36, v16 dst_sel:DWORD dst_unused:UNUSED_PAD src0_sel:WORD_0
	v_cvt_f32_u32_sdwa v37, v16 dst_sel:DWORD dst_unused:UNUSED_PAD src0_sel:WORD_1
	v_cvt_f32_u32_sdwa v40, v17 dst_sel:DWORD dst_unused:UNUSED_PAD src0_sel:WORD_0
	v_cvt_f32_u32_sdwa v41, v17 dst_sel:DWORD dst_unused:UNUSED_PAD src0_sel:WORD_1
	;; [unrolled: 9-line block ×3, first 2 shown]
.LBB74_5:
	s_or_b64 exec, exec, s[0:1]
	s_waitcnt vmcnt(4)
	v_mul_f32_e32 v14, v27, v27
	v_fmac_f32_e32 v14, v26, v26
	v_fmac_f32_e32 v14, v48, v48
	;; [unrolled: 1-line block ×23, first 2 shown]
	v_and_b32_e32 v16, 63, v0
	v_cmp_eq_u32_e64 s[0:1], 63, v16
	v_mov_b32_dpp v15, v14 quad_perm:[1,0,3,2] row_mask:0xf bank_mask:0xf
	v_add_f32_e32 v14, v14, v15
	s_nop 1
	v_mov_b32_dpp v15, v14 quad_perm:[2,3,0,1] row_mask:0xf bank_mask:0xf
	v_add_f32_e32 v14, v14, v15
	s_nop 1
	v_mov_b32_dpp v15, v14 row_half_mirror row_mask:0xf bank_mask:0xf
	v_add_f32_e32 v14, v14, v15
	s_nop 1
	v_mov_b32_dpp v15, v14 row_mirror row_mask:0xf bank_mask:0xf
	v_add_f32_e32 v14, v14, v15
	s_nop 1
	v_mov_b32_dpp v15, v14 row_bcast:15 row_mask:0xf bank_mask:0xf
	v_add_f32_e32 v14, v14, v15
	s_nop 1
	v_mov_b32_dpp v15, v14 row_bcast:31 row_mask:0xf bank_mask:0xf
	s_and_saveexec_b64 s[20:21], s[0:1]
	s_cbranch_execz .LBB74_7
; %bb.6:
	v_add_f32_e32 v14, v14, v15
	v_lshrrev_b32_e32 v15, 4, v0
	v_and_b32_e32 v15, 60, v15
	ds_write_b32 v15, v14 offset:32
.LBB74_7:
	s_or_b64 exec, exec, s[20:21]
	v_and_b32_e32 v14, 3, v0
	v_lshlrev_b32_e32 v50, 2, v14
	s_waitcnt lgkmcnt(0)
	s_barrier
	ds_read_b32 v14, v50 offset:32
	s_load_dwordx2 s[24:25], s[4:5], 0x18
	s_waitcnt lgkmcnt(0)
	v_mov_b32_dpp v15, v14 quad_perm:[1,0,3,2] row_mask:0xf bank_mask:0xf
	v_add_f32_e32 v14, v14, v15
	s_nop 1
	v_mov_b32_dpp v15, v14 quad_perm:[2,3,0,1] row_mask:0xf bank_mask:0xf
	s_and_saveexec_b64 s[20:21], s[2:3]
	s_cbranch_execz .LBB74_9
; %bb.8:
	v_cvt_f32_u32_e32 v16, s7
	v_add_f32_e32 v14, v14, v15
	s_waitcnt vmcnt(3)
	v_mov_b32_e32 v18, s13
	v_mov_b32_e32 v19, s12
	v_div_scale_f32 v15, s[26:27], v16, v16, v14
	v_rcp_f32_e32 v17, v15
	v_cndmask_b32_e32 v18, v18, v19, vcc
	s_mov_b32 s7, 0x800000
	v_fma_f32 v19, -v15, v17, 1.0
	v_fmac_f32_e32 v17, v19, v17
	v_div_scale_f32 v19, vcc, v14, v16, v14
	v_mul_f32_e32 v20, v19, v17
	v_fma_f32 v21, -v15, v20, v19
	v_fmac_f32_e32 v20, v21, v17
	v_fma_f32 v15, -v15, v20, v19
	v_div_fmas_f32 v15, v15, v17, v20
	v_div_fixup_f32 v14, v15, v16, v14
	v_add_f32_e32 v14, v18, v14
	v_mul_f32_e32 v15, 0x4b800000, v14
	v_cmp_gt_f32_e32 vcc, s7, v14
	v_cndmask_b32_e32 v14, v14, v15, vcc
	v_rsq_f32_e32 v14, v14
	v_mul_f32_e32 v15, 0x45800000, v14
	v_cndmask_b32_e32 v14, v14, v15, vcc
	v_mov_b32_e32 v15, v14
	;;#ASMSTART
	v_pk_mul_f32 v[16:17], v[26:27], v[14:15]
	;;#ASMEND
	s_waitcnt vmcnt(2)
	v_cvt_f32_u32_sdwa v27, v10 dst_sel:DWORD dst_unused:UNUSED_PAD src0_sel:WORD_1
	v_cvt_f32_u32_sdwa v26, v10 dst_sel:DWORD dst_unused:UNUSED_PAD src0_sel:WORD_0
	;;#ASMSTART
	v_pk_mul_f32 v[18:19], v[48:49], v[14:15]
	;;#ASMEND
	;;#ASMSTART
	v_pk_mul_f32 v[20:21], v[44:45], v[14:15]
	;;#ASMEND
	;; [unrolled: 3-line block ×4, first 2 shown]
	v_cvt_f32_u32_sdwa v39, v11 dst_sel:DWORD dst_unused:UNUSED_PAD src0_sel:WORD_1
	v_cvt_f32_u32_sdwa v38, v11 dst_sel:DWORD dst_unused:UNUSED_PAD src0_sel:WORD_0
	;;#ASMSTART
	v_pk_mul_f32 v[42:43], v[42:43], v[14:15]
	;;#ASMEND
	;;#ASMSTART
	v_pk_mul_f32 v[36:37], v[36:37], v[14:15]
	;;#ASMEND
	;; [unrolled: 3-line block ×7, first 2 shown]
	v_pk_add_f32 v[14:15], v[26:27], 1.0 op_sel_hi:[1,0]
	;;#ASMSTART
	v_pk_mul_f32 v[26:27], v[16:17], v[14:15]
	;;#ASMEND
	v_cvt_f32_u32_sdwa v17, v12 dst_sel:DWORD dst_unused:UNUSED_PAD src0_sel:WORD_1
	v_cvt_f32_u32_sdwa v16, v12 dst_sel:DWORD dst_unused:UNUSED_PAD src0_sel:WORD_0
	v_cvt_f32_u32_sdwa v29, v13 dst_sel:DWORD dst_unused:UNUSED_PAD src0_sel:WORD_1
	v_cvt_f32_u32_sdwa v28, v13 dst_sel:DWORD dst_unused:UNUSED_PAD src0_sel:WORD_0
	v_pk_add_f32 v[14:15], v[38:39], 1.0 op_sel_hi:[1,0]
	;;#ASMSTART
	v_pk_mul_f32 v[48:49], v[18:19], v[14:15]
	;;#ASMEND
	s_waitcnt vmcnt(1)
	v_cvt_f32_u32_sdwa v15, v6 dst_sel:DWORD dst_unused:UNUSED_PAD src0_sel:WORD_1
	v_cvt_f32_u32_sdwa v14, v6 dst_sel:DWORD dst_unused:UNUSED_PAD src0_sel:WORD_0
	v_pk_add_f32 v[12:13], v[16:17], 1.0 op_sel_hi:[1,0]
	;;#ASMSTART
	v_pk_mul_f32 v[44:45], v[20:21], v[12:13]
	;;#ASMEND
	v_pk_add_f32 v[12:13], v[28:29], 1.0 op_sel_hi:[1,0]
	v_cvt_f32_u32_sdwa v17, v7 dst_sel:DWORD dst_unused:UNUSED_PAD src0_sel:WORD_1
	v_cvt_f32_u32_sdwa v16, v7 dst_sel:DWORD dst_unused:UNUSED_PAD src0_sel:WORD_0
	;;#ASMSTART
	v_pk_mul_f32 v[46:47], v[22:23], v[12:13]
	;;#ASMEND
	v_cvt_f32_u32_sdwa v13, v8 dst_sel:DWORD dst_unused:UNUSED_PAD src0_sel:WORD_1
	v_cvt_f32_u32_sdwa v12, v8 dst_sel:DWORD dst_unused:UNUSED_PAD src0_sel:WORD_0
	v_pk_add_f32 v[6:7], v[14:15], 1.0 op_sel_hi:[1,0]
	v_cvt_f32_u32_sdwa v15, v9 dst_sel:DWORD dst_unused:UNUSED_PAD src0_sel:WORD_1
	v_cvt_f32_u32_sdwa v14, v9 dst_sel:DWORD dst_unused:UNUSED_PAD src0_sel:WORD_0
	;;#ASMSTART
	v_pk_mul_f32 v[38:39], v[24:25], v[6:7]
	;;#ASMEND
	v_pk_add_f32 v[6:7], v[16:17], 1.0 op_sel_hi:[1,0]
	s_waitcnt vmcnt(0)
	v_cvt_f32_u32_sdwa v9, v2 dst_sel:DWORD dst_unused:UNUSED_PAD src0_sel:WORD_1
	v_cvt_f32_u32_sdwa v8, v2 dst_sel:DWORD dst_unused:UNUSED_PAD src0_sel:WORD_0
	;;#ASMSTART
	v_pk_mul_f32 v[42:43], v[42:43], v[6:7]
	;;#ASMEND
	v_pk_add_f32 v[6:7], v[12:13], 1.0 op_sel_hi:[1,0]
	;;#ASMSTART
	v_pk_mul_f32 v[36:37], v[36:37], v[6:7]
	;;#ASMEND
	v_pk_add_f32 v[6:7], v[14:15], 1.0 op_sel_hi:[1,0]
	v_cvt_f32_u32_sdwa v13, v3 dst_sel:DWORD dst_unused:UNUSED_PAD src0_sel:WORD_1
	v_cvt_f32_u32_sdwa v12, v3 dst_sel:DWORD dst_unused:UNUSED_PAD src0_sel:WORD_0
	;;#ASMSTART
	v_pk_mul_f32 v[40:41], v[40:41], v[6:7]
	;;#ASMEND
	v_cvt_f32_u32_sdwa v7, v4 dst_sel:DWORD dst_unused:UNUSED_PAD src0_sel:WORD_1
	v_cvt_f32_u32_sdwa v6, v4 dst_sel:DWORD dst_unused:UNUSED_PAD src0_sel:WORD_0
	v_pk_add_f32 v[2:3], v[8:9], 1.0 op_sel_hi:[1,0]
	v_cvt_f32_u32_sdwa v9, v5 dst_sel:DWORD dst_unused:UNUSED_PAD src0_sel:WORD_1
	v_cvt_f32_u32_sdwa v8, v5 dst_sel:DWORD dst_unused:UNUSED_PAD src0_sel:WORD_0
	;;#ASMSTART
	v_pk_mul_f32 v[32:33], v[32:33], v[2:3]
	;;#ASMEND
	v_pk_add_f32 v[2:3], v[12:13], 1.0 op_sel_hi:[1,0]
	;;#ASMSTART
	v_pk_mul_f32 v[34:35], v[34:35], v[2:3]
	;;#ASMEND
	v_pk_add_f32 v[2:3], v[6:7], 1.0 op_sel_hi:[1,0]
	;; [unrolled: 4-line block ×3, first 2 shown]
	;;#ASMSTART
	v_pk_mul_f32 v[28:29], v[10:11], v[2:3]
	;;#ASMEND
.LBB74_9:
	s_or_b64 exec, exec, s[20:21]
	s_load_dwordx2 s[26:27], s[4:5], 0x7c
	s_mov_b64 s[20:21], -1
	s_and_b64 vcc, exec, s[10:11]
	s_cbranch_vccnz .LBB74_13
; %bb.10:
	s_andn2_b64 vcc, exec, s[20:21]
	s_cbranch_vccz .LBB74_16
.LBB74_11:
	s_cmp_lt_i32 s16, 1
	s_cbranch_scc0 .LBB74_27
.LBB74_12:
	s_endpgm
.LBB74_13:
	s_and_saveexec_b64 s[10:11], s[2:3]
	s_cbranch_execz .LBB74_15
; %bb.14:
	s_waitcnt lgkmcnt(0)
	s_mul_hi_i32 s21, s27, s6
	s_mul_i32 s20, s27, s6
	s_lshl_b64 s[20:21], s[20:21], 1
	s_add_u32 s20, s24, s20
	s_addc_u32 s7, s25, s21
	s_and_b32 s21, s7, 0xffff
	s_mov_b32 s7, 0x7060302
	s_mov_b32 s23, 0x20000
	s_waitcnt vmcnt(0)
	v_perm_b32 v5, v47, v46, s7
	v_perm_b32 v4, v45, v44, s7
	;; [unrolled: 1-line block ×4, first 2 shown]
	v_lshlrev_b32_e32 v6, 1, v1
	buffer_store_dwordx4 v[2:5], v6, s[20:23], 0 offen
	s_movk_i32 s12, 0x400
	v_perm_b32 v5, v41, v40, s7
	v_perm_b32 v4, v37, v36, s7
	;; [unrolled: 1-line block ×4, first 2 shown]
	;;#ASMSTART
	s_nop 0
	;;#ASMEND
	buffer_store_dwordx4 v[2:5], v6, s[20:23], s12 offen
	v_perm_b32 v5, v29, v28, s7
	v_perm_b32 v4, v31, v30, s7
	;; [unrolled: 1-line block ×4, first 2 shown]
	s_movk_i32 s7, 0x800
	;;#ASMSTART
	s_nop 0
	;;#ASMEND
	buffer_store_dwordx4 v[2:5], v6, s[20:23], s7 offen
	;;#ASMSTART
	s_nop 0
	;;#ASMEND
.LBB74_15:
	s_or_b64 exec, exec, s[10:11]
	s_cbranch_execnz .LBB74_11
.LBB74_16:
	s_waitcnt vmcnt(0)
	v_mov_b32_e32 v2, 0
	s_and_saveexec_b64 s[10:11], s[2:3]
	s_cbranch_execz .LBB74_18
; %bb.17:
	s_load_dwordx2 s[20:21], s[4:5], 0x10
	s_waitcnt lgkmcnt(0)
	s_mul_hi_i32 s31, s26, s6
	s_mul_i32 s30, s26, s6
	s_lshl_b64 s[30:31], s[30:31], 1
	s_mov_b32 s23, 0x20000
	s_add_u32 s20, s20, s30
	s_addc_u32 s7, s21, s31
	s_and_b32 s21, s7, 0xffff
	s_mov_b32 s7, 0x7060302
	v_perm_b32 v5, v47, v46, s7
	v_perm_b32 v4, v45, v44, s7
	;; [unrolled: 1-line block ×4, first 2 shown]
	v_lshlrev_b32_e32 v6, 1, v1
	buffer_store_dwordx4 v[2:5], v6, s[20:23], 0 offen
	s_movk_i32 s12, 0x400
	v_perm_b32 v5, v41, v40, s7
	v_perm_b32 v4, v37, v36, s7
	;; [unrolled: 1-line block ×4, first 2 shown]
	;;#ASMSTART
	s_nop 0
	;;#ASMEND
	buffer_store_dwordx4 v[2:5], v6, s[20:23], s12 offen
	v_perm_b32 v5, v29, v28, s7
	v_perm_b32 v4, v31, v30, s7
	;; [unrolled: 1-line block ×4, first 2 shown]
	s_movk_i32 s7, 0x800
	;;#ASMSTART
	s_nop 0
	;;#ASMEND
	buffer_store_dwordx4 v[2:5], v6, s[20:23], s7 offen
	v_mov_b32_e32 v2, 0x2edbe6ff
	;;#ASMSTART
	s_nop 0
	;;#ASMEND
.LBB74_18:
	s_or_b64 exec, exec, s[10:11]
	s_and_saveexec_b64 s[10:11], s[2:3]
	s_cbranch_execz .LBB74_20
; %bb.19:
	v_and_b32_e32 v3, 0x7fffffff, v26
	v_and_b32_e32 v4, 0x7fffffff, v27
	;;#ASMSTART
	v_max3_f32 v2, v2, v3, v4

	;;#ASMEND
	v_and_b32_e32 v3, 0x7fffffff, v48
	v_and_b32_e32 v4, 0x7fffffff, v49
	;;#ASMSTART
	v_max3_f32 v2, v2, v3, v4

	;;#ASMEND
	;; [unrolled: 6-line block ×12, first 2 shown]
.LBB74_20:
	s_or_b64 exec, exec, s[10:11]
	s_nop 0
	v_mov_b32_dpp v3, v2 quad_perm:[1,0,3,2] row_mask:0xf bank_mask:0xf
	v_cmp_gt_f32_e32 vcc, v2, v3
	v_cndmask_b32_e32 v2, v3, v2, vcc
	s_nop 1
	v_mov_b32_dpp v3, v2 quad_perm:[2,3,0,1] row_mask:0xf bank_mask:0xf
	v_cmp_gt_f32_e32 vcc, v2, v3
	v_cndmask_b32_e32 v2, v3, v2, vcc
	s_nop 1
	v_mov_b32_dpp v3, v2 row_half_mirror row_mask:0xf bank_mask:0xf
	v_cmp_gt_f32_e32 vcc, v2, v3
	v_cndmask_b32_e32 v2, v3, v2, vcc
	s_nop 1
	v_mov_b32_dpp v3, v2 row_mirror row_mask:0xf bank_mask:0xf
	v_cmp_gt_f32_e32 vcc, v2, v3
	v_cndmask_b32_e32 v2, v3, v2, vcc
	s_nop 1
	v_mov_b32_dpp v3, v2 row_bcast:15 row_mask:0xf bank_mask:0xf
	v_cmp_gt_f32_e32 vcc, v2, v3
	v_cndmask_b32_e32 v2, v3, v2, vcc
	s_nop 1
	v_mov_b32_dpp v3, v2 row_bcast:31 row_mask:0xf bank_mask:0xf
	s_and_saveexec_b64 s[10:11], s[0:1]
	s_cbranch_execz .LBB74_22
; %bb.21:
	v_cmp_gt_f32_e32 vcc, v2, v3
	v_cndmask_b32_e32 v2, v3, v2, vcc
	v_lshrrev_b32_e32 v3, 4, v0
	v_and_b32_e32 v3, 60, v3
	ds_write_b32 v3, v2
.LBB74_22:
	s_or_b64 exec, exec, s[10:11]
	s_waitcnt lgkmcnt(0)
	s_barrier
	ds_read_b32 v2, v50
	s_load_dwordx2 s[20:21], s[4:5], 0x70
	s_waitcnt lgkmcnt(0)
	v_mov_b32_dpp v3, v2 quad_perm:[1,0,3,2] row_mask:0xf bank_mask:0xf
	v_cmp_gt_f32_e32 vcc, v2, v3
	v_cndmask_b32_e32 v2, v3, v2, vcc
	s_nop 1
	v_mov_b32_dpp v3, v2 quad_perm:[2,3,0,1] row_mask:0xf bank_mask:0xf
	v_cmp_gt_f32_e32 vcc, v2, v3
	v_cndmask_b32_e32 v2, v3, v2, vcc
	v_mul_f32_e32 v2, 0x3b124925, v2
	v_cmp_eq_u32_e32 vcc, 0, v0
	s_and_saveexec_b64 s[10:11], vcc
	s_cbranch_execz .LBB74_24
; %bb.23:
	s_load_dwordx2 s[22:23], s[4:5], 0x8
	s_mul_hi_i32 s31, s21, s6
	s_mul_i32 s30, s21, s6
	s_lshl_b64 s[30:31], s[30:31], 2
	v_mov_b32_e32 v3, 0
	s_waitcnt lgkmcnt(0)
	s_add_u32 s22, s22, s30
	s_addc_u32 s23, s23, s31
	global_store_dword v3, v2, s[22:23]
.LBB74_24:
	s_or_b64 exec, exec, s[10:11]
	;;#ASMSTART
	v_rcp_f32 v2, v2
	;;#ASMEND
	s_and_saveexec_b64 s[10:11], s[2:3]
	s_cbranch_execz .LBB74_26
; %bb.25:
	s_load_dwordx2 s[2:3], s[4:5], 0x0
	s_mul_i32 s12, s20, s6
	s_mul_hi_i32 s7, s20, s6
	v_mov_b32_e32 v3, v2
	;;#ASMSTART
	v_pk_mul_f32 v[4:5], v[26:27], v[2:3]
	;;#ASMEND
	s_waitcnt lgkmcnt(0)
	s_add_u32 s20, s2, s12
	s_addc_u32 s2, s3, s7
	s_add_i32 s3, s15, 3
	s_ashr_i32 s7, s3, 31
	v_mov_b32_e32 v8, 0xc3e00000
	v_mov_b32_e32 v9, 0x43e00000
	;;#ASMSTART
	v_med3_f32 v4, v4, v8, v9
v_med3_f32 v5, v5, v8, v9
v_cvt_pk_fp8_f32 v6, v4, v5
	;;#ASMEND
	s_lshr_b32 s7, s7, 30
	;;#ASMSTART
	v_pk_mul_f32 v[4:5], v[48:49], v[2:3]
	;;#ASMEND
	s_add_i32 s3, s3, s7
	s_and_b32 s21, s2, 0xffff
	;;#ASMSTART
	v_med3_f32 v4, v4, v8, v9
v_med3_f32 v5, v5, v8, v9
v_cvt_pk_fp8_f32 v7, v4, v5
	;;#ASMEND
	s_mov_b32 s2, 0x5040100
	s_and_b32 s22, s3, -4
	v_perm_b32 v5, v7, v6, s2
	s_movk_i32 s3, 0xff
	v_and_b32_e32 v4, 0xffffff00, v7
	v_and_b32_sdwa v6, v5, s3 dst_sel:DWORD dst_unused:UNUSED_PAD src0_sel:WORD_1 src1_sel:DWORD
	s_mov_b32 s14, 0xffff
	v_or_b32_sdwa v4, v6, v4 dst_sel:WORD_1 dst_unused:UNUSED_PAD src0_sel:DWORD src1_sel:DWORD
	v_and_or_b32 v4, v5, s14, v4
	;;#ASMSTART
	v_pk_mul_f32 v[6:7], v[44:45], v[2:3]
	;;#ASMEND
	v_mov_b32_e32 v5, v7
	;;#ASMSTART
	v_med3_f32 v6, v6, v8, v9
v_med3_f32 v5, v5, v8, v9
v_cvt_pk_fp8_f32 v10, v6, v5
	;;#ASMEND
	;;#ASMSTART
	v_pk_mul_f32 v[6:7], v[46:47], v[2:3]
	;;#ASMEND
	v_mov_b32_e32 v5, v7
	;;#ASMSTART
	v_med3_f32 v6, v6, v8, v9
v_med3_f32 v5, v5, v8, v9
v_cvt_pk_fp8_f32 v7, v6, v5
	;;#ASMEND
	v_lshlrev_b32_e32 v5, 16, v7
	s_mov_b32 s23, 0x20000
	v_and_or_b32 v5, v10, s14, v5
	buffer_store_dwordx2 v[4:5], v1, s[20:23], 0 offen
	;;#ASMSTART
	s_nop 0
	;;#ASMEND
	;;#ASMSTART
	v_pk_mul_f32 v[4:5], v[38:39], v[2:3]
	;;#ASMEND
	;;#ASMSTART
	v_med3_f32 v4, v4, v8, v9
v_med3_f32 v5, v5, v8, v9
v_cvt_pk_fp8_f32 v6, v4, v5
	;;#ASMEND
	;;#ASMSTART
	v_pk_mul_f32 v[4:5], v[42:43], v[2:3]
	;;#ASMEND
	;;#ASMSTART
	v_med3_f32 v4, v4, v8, v9
v_med3_f32 v5, v5, v8, v9
v_cvt_pk_fp8_f32 v7, v4, v5
	;;#ASMEND
	v_perm_b32 v5, v7, v6, s2
	v_and_b32_e32 v4, 0xffffff00, v7
	v_and_b32_sdwa v6, v5, s3 dst_sel:DWORD dst_unused:UNUSED_PAD src0_sel:WORD_1 src1_sel:DWORD
	v_or_b32_sdwa v4, v6, v4 dst_sel:WORD_1 dst_unused:UNUSED_PAD src0_sel:DWORD src1_sel:DWORD
	v_and_or_b32 v4, v5, s14, v4
	;;#ASMSTART
	v_pk_mul_f32 v[6:7], v[36:37], v[2:3]
	;;#ASMEND
	v_mov_b32_e32 v5, v7
	;;#ASMSTART
	v_med3_f32 v6, v6, v8, v9
v_med3_f32 v5, v5, v8, v9
v_cvt_pk_fp8_f32 v10, v6, v5
	;;#ASMEND
	;;#ASMSTART
	v_pk_mul_f32 v[6:7], v[40:41], v[2:3]
	;;#ASMEND
	v_mov_b32_e32 v5, v7
	;;#ASMSTART
	v_med3_f32 v6, v6, v8, v9
v_med3_f32 v5, v5, v8, v9
v_cvt_pk_fp8_f32 v7, v6, v5
	;;#ASMEND
	v_lshlrev_b32_e32 v5, 16, v7
	v_and_or_b32 v5, v10, s14, v5
	s_movk_i32 s7, 0x200
	buffer_store_dwordx2 v[4:5], v1, s[20:23], s7 offen
	;;#ASMSTART
	s_nop 0
	;;#ASMEND
	;;#ASMSTART
	v_pk_mul_f32 v[4:5], v[32:33], v[2:3]
	;;#ASMEND
	;;#ASMSTART
	v_med3_f32 v4, v4, v8, v9
v_med3_f32 v5, v5, v8, v9
v_cvt_pk_fp8_f32 v6, v4, v5
	;;#ASMEND
	;;#ASMSTART
	v_pk_mul_f32 v[4:5], v[34:35], v[2:3]
	;;#ASMEND
	;;#ASMSTART
	v_med3_f32 v4, v4, v8, v9
v_med3_f32 v5, v5, v8, v9
v_cvt_pk_fp8_f32 v7, v4, v5
	;;#ASMEND
	v_perm_b32 v5, v7, v6, s2
	v_and_b32_e32 v4, 0xffffff00, v7
	v_and_b32_sdwa v6, v5, s3 dst_sel:DWORD dst_unused:UNUSED_PAD src0_sel:WORD_1 src1_sel:DWORD
	v_or_b32_sdwa v4, v6, v4 dst_sel:WORD_1 dst_unused:UNUSED_PAD src0_sel:DWORD src1_sel:DWORD
	v_and_or_b32 v4, v5, s14, v4
	;;#ASMSTART
	v_pk_mul_f32 v[6:7], v[30:31], v[2:3]
	;;#ASMEND
	v_mov_b32_e32 v5, v7
	;;#ASMSTART
	v_med3_f32 v6, v6, v8, v9
v_med3_f32 v5, v5, v8, v9
v_cvt_pk_fp8_f32 v7, v6, v5
	;;#ASMEND
	;;#ASMSTART
	v_pk_mul_f32 v[2:3], v[28:29], v[2:3]
	;;#ASMEND
	;;#ASMSTART
	v_med3_f32 v2, v2, v8, v9
v_med3_f32 v3, v3, v8, v9
v_cvt_pk_fp8_f32 v5, v2, v3
	;;#ASMEND
	v_lshlrev_b32_e32 v2, 16, v5
	v_and_or_b32 v5, v7, s14, v2
	s_movk_i32 s2, 0x400
	buffer_store_dwordx2 v[4:5], v1, s[20:23], s2 offen
	;;#ASMSTART
	s_nop 0
	;;#ASMEND
.LBB74_26:
	s_or_b64 exec, exec, s[10:11]
	s_cmp_lt_i32 s16, 1
	s_cbranch_scc1 .LBB74_12
.LBB74_27:
	s_load_dword s2, s[4:5], 0x94
	s_waitcnt lgkmcnt(0)
	s_cmp_lg_u32 s2, 1
	s_cbranch_scc1 .LBB74_12
; %bb.28:
	s_lshl_b32 s2, s16, 1
	s_add_i32 s2, s2, 2
	v_cmp_gt_u32_e32 vcc, s16, v1
	s_and_b32 s10, s2, -4
	v_mov_b32_e32 v26, 0
	v_lshlrev_b32_e32 v1, 1, v1
	v_mov_b32_e32 v22, 0
	v_mov_b32_e32 v23, 0
	;; [unrolled: 1-line block ×8, first 2 shown]
	s_waitcnt vmcnt(3)
	v_mov_b32_e32 v18, 0
	v_mov_b32_e32 v19, 0
	v_mov_b32_e32 v20, 0
	v_mov_b32_e32 v21, 0
	s_waitcnt vmcnt(2)
	v_mov_b32_e32 v10, 0
	v_mov_b32_e32 v11, 0
	v_mov_b32_e32 v12, 0
	v_mov_b32_e32 v13, 0
	;; [unrolled: 5-line block ×4, first 2 shown]
	s_barrier
	s_and_saveexec_b64 s[2:3], vcc
	s_cbranch_execz .LBB74_30
; %bb.29:
	s_mul_hi_i32 s5, s18, s6
	s_mul_i32 s4, s18, s6
	s_and_b32 s9, s9, 0xffff
	s_lshl_b64 s[4:5], s[4:5], 1
	s_add_u32 s20, s28, s4
	s_mov_b32 s11, 0x20000
	s_addc_u32 s4, s29, s5
	s_and_b32 s21, s4, 0xffff
	s_mov_b32 s22, s10
	s_mov_b32 s23, s11
	s_movk_i32 s5, 0x800
	s_movk_i32 s4, 0x400
	buffer_load_dwordx4 v[22:25], v1, s[20:23], 0 offen glc slc
	buffer_load_dwordx4 v[14:17], v1, s[20:23], s4 offen glc slc
	;; [unrolled: 1-line block ×3, first 2 shown]
	buffer_load_dwordx4 v[10:13], v1, s[8:11], 0 offen
	buffer_load_dwordx4 v[6:9], v1, s[8:11], s4 offen
	buffer_load_dwordx4 v[2:5], v1, s[8:11], s5 offen
.LBB74_30:
	s_or_b64 exec, exec, s[2:3]
	v_mov_b32_e32 v27, 0
	v_mov_b32_e32 v48, 0
	;; [unrolled: 1-line block ×23, first 2 shown]
	s_and_saveexec_b64 s[2:3], vcc
	s_cbranch_execz .LBB74_32
; %bb.31:
	s_waitcnt vmcnt(5)
	v_cvt_f32_u32_sdwa v26, v22 dst_sel:DWORD dst_unused:UNUSED_PAD src0_sel:WORD_0
	v_cvt_f32_u32_sdwa v27, v22 dst_sel:DWORD dst_unused:UNUSED_PAD src0_sel:WORD_1
	v_cvt_f32_u32_sdwa v48, v23 dst_sel:DWORD dst_unused:UNUSED_PAD src0_sel:WORD_0
	v_cvt_f32_u32_sdwa v49, v23 dst_sel:DWORD dst_unused:UNUSED_PAD src0_sel:WORD_1
	v_cvt_f32_u32_sdwa v46, v24 dst_sel:DWORD dst_unused:UNUSED_PAD src0_sel:WORD_0
	v_cvt_f32_u32_sdwa v47, v24 dst_sel:DWORD dst_unused:UNUSED_PAD src0_sel:WORD_1
	v_cvt_f32_u32_sdwa v44, v25 dst_sel:DWORD dst_unused:UNUSED_PAD src0_sel:WORD_0
	v_cvt_f32_u32_sdwa v45, v25 dst_sel:DWORD dst_unused:UNUSED_PAD src0_sel:WORD_1
	s_waitcnt vmcnt(4)
	v_cvt_f32_u32_sdwa v42, v14 dst_sel:DWORD dst_unused:UNUSED_PAD src0_sel:WORD_0
	v_cvt_f32_u32_sdwa v43, v14 dst_sel:DWORD dst_unused:UNUSED_PAD src0_sel:WORD_1
	v_cvt_f32_u32_sdwa v40, v15 dst_sel:DWORD dst_unused:UNUSED_PAD src0_sel:WORD_0
	v_cvt_f32_u32_sdwa v41, v15 dst_sel:DWORD dst_unused:UNUSED_PAD src0_sel:WORD_1
	v_cvt_f32_u32_sdwa v38, v16 dst_sel:DWORD dst_unused:UNUSED_PAD src0_sel:WORD_0
	v_cvt_f32_u32_sdwa v39, v16 dst_sel:DWORD dst_unused:UNUSED_PAD src0_sel:WORD_1
	v_cvt_f32_u32_sdwa v36, v17 dst_sel:DWORD dst_unused:UNUSED_PAD src0_sel:WORD_0
	v_cvt_f32_u32_sdwa v37, v17 dst_sel:DWORD dst_unused:UNUSED_PAD src0_sel:WORD_1
	;; [unrolled: 9-line block ×3, first 2 shown]
.LBB74_32:
	s_or_b64 exec, exec, s[2:3]
	s_waitcnt vmcnt(4)
	v_mul_f32_e32 v14, v27, v27
	v_fmac_f32_e32 v14, v26, v26
	v_fmac_f32_e32 v14, v48, v48
	;; [unrolled: 1-line block ×23, first 2 shown]
	s_nop 1
	v_mov_b32_dpp v15, v14 quad_perm:[1,0,3,2] row_mask:0xf bank_mask:0xf
	v_add_f32_e32 v14, v14, v15
	s_nop 1
	v_mov_b32_dpp v15, v14 quad_perm:[2,3,0,1] row_mask:0xf bank_mask:0xf
	v_add_f32_e32 v14, v14, v15
	s_nop 1
	v_mov_b32_dpp v15, v14 row_half_mirror row_mask:0xf bank_mask:0xf
	v_add_f32_e32 v14, v14, v15
	s_nop 1
	v_mov_b32_dpp v15, v14 row_mirror row_mask:0xf bank_mask:0xf
	v_add_f32_e32 v14, v14, v15
	s_nop 1
	v_mov_b32_dpp v15, v14 row_bcast:15 row_mask:0xf bank_mask:0xf
	v_add_f32_e32 v14, v14, v15
	s_nop 1
	v_mov_b32_dpp v15, v14 row_bcast:31 row_mask:0xf bank_mask:0xf
	s_and_saveexec_b64 s[2:3], s[0:1]
	s_cbranch_execz .LBB74_34
; %bb.33:
	v_lshrrev_b32_e32 v0, 4, v0
	v_add_f32_e32 v14, v14, v15
	v_and_b32_e32 v0, 60, v0
	ds_write_b32 v0, v14 offset:16
.LBB74_34:
	s_or_b64 exec, exec, s[2:3]
	s_waitcnt lgkmcnt(0)
	s_barrier
	ds_read_b32 v0, v50 offset:16
	s_waitcnt lgkmcnt(0)
	s_nop 0
	v_mov_b32_dpp v14, v0 quad_perm:[1,0,3,2] row_mask:0xf bank_mask:0xf
	v_add_f32_e32 v0, v0, v14
	s_nop 1
	v_mov_b32_dpp v14, v0 quad_perm:[2,3,0,1] row_mask:0xf bank_mask:0xf
	s_and_saveexec_b64 s[0:1], vcc
	s_cbranch_execz .LBB74_12
; %bb.35:
	v_cvt_f32_u32_e32 v15, s16
	v_add_f32_e32 v0, v0, v14
	s_mov_b32 s11, 0x20000
	v_div_scale_f32 v14, s[0:1], v15, v15, v0
	v_rcp_f32_e32 v16, v14
	v_div_scale_f32 v17, vcc, v0, v15, v0
	s_mov_b32 s0, 0x800000
	s_waitcnt vmcnt(3)
	v_fma_f32 v18, -v14, v16, 1.0
	v_fmac_f32_e32 v16, v18, v16
	v_mul_f32_e32 v18, v17, v16
	v_fma_f32 v19, -v14, v18, v17
	v_fmac_f32_e32 v18, v19, v16
	v_fma_f32 v14, -v14, v18, v17
	v_div_fmas_f32 v14, v14, v16, v18
	v_div_fixup_f32 v0, v14, v15, v0
	v_add_f32_e32 v0, s13, v0
	v_mul_f32_e32 v14, 0x4b800000, v0
	v_cmp_gt_f32_e32 vcc, s0, v0
	v_cndmask_b32_e32 v0, v0, v14, vcc
	v_rsq_f32_e32 v0, v0
	s_mul_hi_i32 s1, s27, s6
	s_mul_i32 s0, s27, s6
	s_lshl_b64 s[0:1], s[0:1], 1
	v_mul_f32_e32 v14, 0x45800000, v0
	v_cndmask_b32_e32 v14, v0, v14, vcc
	v_mov_b32_e32 v15, v14
	;;#ASMSTART
	v_pk_mul_f32 v[16:17], v[26:27], v[14:15]
	;;#ASMEND
	;;#ASMSTART
	v_pk_mul_f32 v[18:19], v[48:49], v[14:15]
	;;#ASMEND
	;; [unrolled: 3-line block ×6, first 2 shown]
	s_waitcnt vmcnt(2)
	v_cvt_f32_u32_sdwa v41, v10 dst_sel:DWORD dst_unused:UNUSED_PAD src0_sel:WORD_1
	v_cvt_f32_u32_sdwa v40, v10 dst_sel:DWORD dst_unused:UNUSED_PAD src0_sel:WORD_0
	v_cvt_f32_u32_sdwa v43, v11 dst_sel:DWORD dst_unused:UNUSED_PAD src0_sel:WORD_1
	v_cvt_f32_u32_sdwa v42, v11 dst_sel:DWORD dst_unused:UNUSED_PAD src0_sel:WORD_0
	;;#ASMSTART
	v_pk_mul_f32 v[38:39], v[38:39], v[14:15]
	;;#ASMEND
	;;#ASMSTART
	v_pk_mul_f32 v[36:37], v[36:37], v[14:15]
	;;#ASMEND
	;; [unrolled: 3-line block ×6, first 2 shown]
	v_cvt_f32_u32_sdwa v29, v12 dst_sel:DWORD dst_unused:UNUSED_PAD src0_sel:WORD_1
	v_cvt_f32_u32_sdwa v28, v12 dst_sel:DWORD dst_unused:UNUSED_PAD src0_sel:WORD_0
	v_pk_add_f32 v[14:15], v[40:41], 1.0 op_sel_hi:[1,0]
	;;#ASMSTART
	v_pk_mul_f32 v[14:15], v[16:17], v[14:15]
	;;#ASMEND
	v_pk_add_f32 v[16:17], v[42:43], 1.0 op_sel_hi:[1,0]
	v_cvt_f32_u32_sdwa v41, v13 dst_sel:DWORD dst_unused:UNUSED_PAD src0_sel:WORD_1
	v_cvt_f32_u32_sdwa v40, v13 dst_sel:DWORD dst_unused:UNUSED_PAD src0_sel:WORD_0
	;;#ASMSTART
	v_pk_mul_f32 v[12:13], v[18:19], v[16:17]
	;;#ASMEND
	v_pk_add_f32 v[16:17], v[28:29], 1.0 op_sel_hi:[1,0]
	;;#ASMSTART
	v_pk_mul_f32 v[16:17], v[20:21], v[16:17]
	;;#ASMEND
	s_waitcnt vmcnt(1)
	v_cvt_f32_u32_sdwa v21, v6 dst_sel:DWORD dst_unused:UNUSED_PAD src0_sel:WORD_1
	v_cvt_f32_u32_sdwa v20, v6 dst_sel:DWORD dst_unused:UNUSED_PAD src0_sel:WORD_0
	v_pk_add_f32 v[18:19], v[40:41], 1.0 op_sel_hi:[1,0]
	v_cvt_f32_u32_sdwa v29, v7 dst_sel:DWORD dst_unused:UNUSED_PAD src0_sel:WORD_1
	v_cvt_f32_u32_sdwa v28, v7 dst_sel:DWORD dst_unused:UNUSED_PAD src0_sel:WORD_0
	;;#ASMSTART
	v_pk_mul_f32 v[6:7], v[22:23], v[18:19]
	;;#ASMEND
	v_pk_add_f32 v[18:19], v[20:21], 1.0 op_sel_hi:[1,0]
	;;#ASMSTART
	v_pk_mul_f32 v[18:19], v[24:25], v[18:19]
	;;#ASMEND
	v_cvt_f32_u32_sdwa v23, v8 dst_sel:DWORD dst_unused:UNUSED_PAD src0_sel:WORD_1
	v_cvt_f32_u32_sdwa v22, v8 dst_sel:DWORD dst_unused:UNUSED_PAD src0_sel:WORD_0
	v_cvt_f32_u32_sdwa v25, v9 dst_sel:DWORD dst_unused:UNUSED_PAD src0_sel:WORD_1
	v_cvt_f32_u32_sdwa v24, v9 dst_sel:DWORD dst_unused:UNUSED_PAD src0_sel:WORD_0
	v_pk_add_f32 v[20:21], v[28:29], 1.0 op_sel_hi:[1,0]
	;;#ASMSTART
	v_pk_mul_f32 v[8:9], v[26:27], v[20:21]
	;;#ASMEND
	v_pk_add_f32 v[20:21], v[22:23], 1.0 op_sel_hi:[1,0]
	v_pk_add_f32 v[22:23], v[24:25], 1.0 op_sel_hi:[1,0]
	s_waitcnt vmcnt(0)
	v_cvt_f32_u32_sdwa v25, v2 dst_sel:DWORD dst_unused:UNUSED_PAD src0_sel:WORD_1
	v_cvt_f32_u32_sdwa v24, v2 dst_sel:DWORD dst_unused:UNUSED_PAD src0_sel:WORD_0
	v_cvt_f32_u32_sdwa v27, v3 dst_sel:DWORD dst_unused:UNUSED_PAD src0_sel:WORD_1
	v_cvt_f32_u32_sdwa v26, v3 dst_sel:DWORD dst_unused:UNUSED_PAD src0_sel:WORD_0
	;;#ASMSTART
	v_pk_mul_f32 v[20:21], v[38:39], v[20:21]
	;;#ASMEND
	v_pk_add_f32 v[2:3], v[24:25], 1.0 op_sel_hi:[1,0]
	;;#ASMSTART
	v_pk_mul_f32 v[22:23], v[36:37], v[22:23]
	;;#ASMEND
	;;#ASMSTART
	v_pk_mul_f32 v[24:25], v[34:35], v[2:3]
	;;#ASMEND
	v_pk_add_f32 v[2:3], v[26:27], 1.0 op_sel_hi:[1,0]
	v_cvt_f32_u32_sdwa v27, v4 dst_sel:DWORD dst_unused:UNUSED_PAD src0_sel:WORD_1
	v_cvt_f32_u32_sdwa v26, v4 dst_sel:DWORD dst_unused:UNUSED_PAD src0_sel:WORD_0
	v_cvt_f32_u32_sdwa v29, v5 dst_sel:DWORD dst_unused:UNUSED_PAD src0_sel:WORD_1
	v_cvt_f32_u32_sdwa v28, v5 dst_sel:DWORD dst_unused:UNUSED_PAD src0_sel:WORD_0
	s_add_u32 s8, s24, s0
	;;#ASMSTART
	v_pk_mul_f32 v[32:33], v[32:33], v[2:3]
	;;#ASMEND
	v_pk_add_f32 v[2:3], v[26:27], 1.0 op_sel_hi:[1,0]
	s_addc_u32 s0, s25, s1
	;;#ASMSTART
	v_pk_mul_f32 v[26:27], v[30:31], v[2:3]
	;;#ASMEND
	v_pk_add_f32 v[2:3], v[28:29], 1.0 op_sel_hi:[1,0]
	s_and_b32 s9, s0, 0xffff
	s_mov_b32 s0, 0x7060302
	;;#ASMSTART
	v_pk_mul_f32 v[10:11], v[10:11], v[2:3]
	;;#ASMEND
	v_perm_b32 v2, v15, v14, s0
	v_perm_b32 v3, v13, v12, s0
	;; [unrolled: 1-line block ×4, first 2 shown]
	buffer_store_dwordx4 v[2:5], v1, s[8:11], 0 offen
	s_movk_i32 s1, 0x400
	v_perm_b32 v2, v19, v18, s0
	v_perm_b32 v3, v9, v8, s0
	;; [unrolled: 1-line block ×4, first 2 shown]
	;;#ASMSTART
	s_nop 0
	;;#ASMEND
	buffer_store_dwordx4 v[2:5], v1, s[8:11], s1 offen
	v_perm_b32 v2, v25, v24, s0
	v_perm_b32 v3, v33, v32, s0
	;; [unrolled: 1-line block ×4, first 2 shown]
	s_movk_i32 s0, 0x800
	;;#ASMSTART
	s_nop 0
	;;#ASMEND
	buffer_store_dwordx4 v[2:5], v1, s[8:11], s0 offen
	;;#ASMSTART
	s_nop 0
	;;#ASMEND
	s_endpgm
	.section	.rodata,"a",@progbits
	.p2align	6, 0x0
	.amdhsa_kernel _ZN5aiter35fused_qk_rmsnorm_group_quant_kernelItDB8_Li256ELi24ELi1ELb0ELb1ELb1ELb0ELb1ELb1EEEvPT0_PvPT_S6_S6_PKS5_S8_S8_S8_S8_ffiiiiiiiiiiiii
		.amdhsa_group_segment_fixed_size 48
		.amdhsa_private_segment_fixed_size 0
		.amdhsa_kernarg_size 400
		.amdhsa_user_sgpr_count 6
		.amdhsa_user_sgpr_private_segment_buffer 1
		.amdhsa_user_sgpr_dispatch_ptr 0
		.amdhsa_user_sgpr_queue_ptr 0
		.amdhsa_user_sgpr_kernarg_segment_ptr 1
		.amdhsa_user_sgpr_dispatch_id 0
		.amdhsa_user_sgpr_flat_scratch_init 0
		.amdhsa_user_sgpr_kernarg_preload_length 0
		.amdhsa_user_sgpr_kernarg_preload_offset 0
		.amdhsa_user_sgpr_private_segment_size 0
		.amdhsa_uses_dynamic_stack 0
		.amdhsa_system_sgpr_private_segment_wavefront_offset 0
		.amdhsa_system_sgpr_workgroup_id_x 1
		.amdhsa_system_sgpr_workgroup_id_y 1
		.amdhsa_system_sgpr_workgroup_id_z 0
		.amdhsa_system_sgpr_workgroup_info 0
		.amdhsa_system_vgpr_workitem_id 0
		.amdhsa_next_free_vgpr 51
		.amdhsa_next_free_sgpr 32
		.amdhsa_accum_offset 52
		.amdhsa_reserve_vcc 1
		.amdhsa_reserve_flat_scratch 0
		.amdhsa_float_round_mode_32 0
		.amdhsa_float_round_mode_16_64 0
		.amdhsa_float_denorm_mode_32 3
		.amdhsa_float_denorm_mode_16_64 3
		.amdhsa_dx10_clamp 1
		.amdhsa_ieee_mode 1
		.amdhsa_fp16_overflow 0
		.amdhsa_tg_split 0
		.amdhsa_exception_fp_ieee_invalid_op 0
		.amdhsa_exception_fp_denorm_src 0
		.amdhsa_exception_fp_ieee_div_zero 0
		.amdhsa_exception_fp_ieee_overflow 0
		.amdhsa_exception_fp_ieee_underflow 0
		.amdhsa_exception_fp_ieee_inexact 0
		.amdhsa_exception_int_div_zero 0
	.end_amdhsa_kernel
	.section	.text._ZN5aiter35fused_qk_rmsnorm_group_quant_kernelItDB8_Li256ELi24ELi1ELb0ELb1ELb1ELb0ELb1ELb1EEEvPT0_PvPT_S6_S6_PKS5_S8_S8_S8_S8_ffiiiiiiiiiiiii,"axG",@progbits,_ZN5aiter35fused_qk_rmsnorm_group_quant_kernelItDB8_Li256ELi24ELi1ELb0ELb1ELb1ELb0ELb1ELb1EEEvPT0_PvPT_S6_S6_PKS5_S8_S8_S8_S8_ffiiiiiiiiiiiii,comdat
.Lfunc_end74:
	.size	_ZN5aiter35fused_qk_rmsnorm_group_quant_kernelItDB8_Li256ELi24ELi1ELb0ELb1ELb1ELb0ELb1ELb1EEEvPT0_PvPT_S6_S6_PKS5_S8_S8_S8_S8_ffiiiiiiiiiiiii, .Lfunc_end74-_ZN5aiter35fused_qk_rmsnorm_group_quant_kernelItDB8_Li256ELi24ELi1ELb0ELb1ELb1ELb0ELb1ELb1EEEvPT0_PvPT_S6_S6_PKS5_S8_S8_S8_S8_ffiiiiiiiiiiiii
                                        ; -- End function
	.section	.AMDGPU.csdata,"",@progbits
; Kernel info:
; codeLenInByte = 5172
; NumSgprs: 36
; NumVgprs: 51
; NumAgprs: 0
; TotalNumVgprs: 51
; ScratchSize: 0
; MemoryBound: 0
; FloatMode: 240
; IeeeMode: 1
; LDSByteSize: 48 bytes/workgroup (compile time only)
; SGPRBlocks: 4
; VGPRBlocks: 6
; NumSGPRsForWavesPerEU: 36
; NumVGPRsForWavesPerEU: 51
; AccumOffset: 52
; Occupancy: 8
; WaveLimiterHint : 0
; COMPUTE_PGM_RSRC2:SCRATCH_EN: 0
; COMPUTE_PGM_RSRC2:USER_SGPR: 6
; COMPUTE_PGM_RSRC2:TRAP_HANDLER: 0
; COMPUTE_PGM_RSRC2:TGID_X_EN: 1
; COMPUTE_PGM_RSRC2:TGID_Y_EN: 1
; COMPUTE_PGM_RSRC2:TGID_Z_EN: 0
; COMPUTE_PGM_RSRC2:TIDIG_COMP_CNT: 0
; COMPUTE_PGM_RSRC3_GFX90A:ACCUM_OFFSET: 12
; COMPUTE_PGM_RSRC3_GFX90A:TG_SPLIT: 0
	.section	.text._ZN5aiter35fused_qk_rmsnorm_group_quant_kernelIDF16_DB8_Li256ELi24ELi1ELb0ELb1ELb0ELb0ELb1ELb1EEEvPT0_PvPT_S6_S6_PKS5_S8_S8_S8_S8_ffiiiiiiiiiiiii,"axG",@progbits,_ZN5aiter35fused_qk_rmsnorm_group_quant_kernelIDF16_DB8_Li256ELi24ELi1ELb0ELb1ELb0ELb0ELb1ELb1EEEvPT0_PvPT_S6_S6_PKS5_S8_S8_S8_S8_ffiiiiiiiiiiiii,comdat
	.protected	_ZN5aiter35fused_qk_rmsnorm_group_quant_kernelIDF16_DB8_Li256ELi24ELi1ELb0ELb1ELb0ELb0ELb1ELb1EEEvPT0_PvPT_S6_S6_PKS5_S8_S8_S8_S8_ffiiiiiiiiiiiii ; -- Begin function _ZN5aiter35fused_qk_rmsnorm_group_quant_kernelIDF16_DB8_Li256ELi24ELi1ELb0ELb1ELb0ELb0ELb1ELb1EEEvPT0_PvPT_S6_S6_PKS5_S8_S8_S8_S8_ffiiiiiiiiiiiii
	.globl	_ZN5aiter35fused_qk_rmsnorm_group_quant_kernelIDF16_DB8_Li256ELi24ELi1ELb0ELb1ELb0ELb0ELb1ELb1EEEvPT0_PvPT_S6_S6_PKS5_S8_S8_S8_S8_ffiiiiiiiiiiiii
	.p2align	8
	.type	_ZN5aiter35fused_qk_rmsnorm_group_quant_kernelIDF16_DB8_Li256ELi24ELi1ELb0ELb1ELb0ELb0ELb1ELb1EEEvPT0_PvPT_S6_S6_PKS5_S8_S8_S8_S8_ffiiiiiiiiiiiii,@function
_ZN5aiter35fused_qk_rmsnorm_group_quant_kernelIDF16_DB8_Li256ELi24ELi1ELb0ELb1ELb0ELb0ELb1ELb1EEEvPT0_PvPT_S6_S6_PKS5_S8_S8_S8_S8_ffiiiiiiiiiiiii: ; @_ZN5aiter35fused_qk_rmsnorm_group_quant_kernelIDF16_DB8_Li256ELi24ELi1ELb0ELb1ELb0ELb0ELb1ELb1EEEvPT0_PvPT_S6_S6_PKS5_S8_S8_S8_S8_ffiiiiiiiiiiiii
; %bb.0:
	s_load_dwordx4 s[12:15], s[4:5], 0x50
	s_waitcnt lgkmcnt(0)
	s_cmp_ge_i32 s6, s14
	s_cbranch_scc1 .LBB75_12
; %bb.1:
	s_load_dwordx2 s[8:9], s[4:5], 0x48
	s_load_dwordx2 s[28:29], s[4:5], 0x30
	s_load_dwordx4 s[16:19], s[4:5], 0x60
	s_cmp_lg_u32 s7, 0
	s_cselect_b64 s[10:11], -1, 0
	s_cmp_eq_u32 s7, 0
	s_cselect_b64 vcc, -1, 0
	s_and_b64 s[0:1], vcc, exec
	s_waitcnt lgkmcnt(0)
	s_cselect_b32 s7, s15, s16
	s_add_i32 s0, s7, 1
	s_lshr_b32 s1, s0, 31
	s_add_i32 s0, s0, s1
	s_lshl_b32 s0, s0, 1
	v_and_b32_e32 v2, 0x3c0, v0
	s_and_b32 s22, s0, -4
	v_lshlrev_b32_e32 v1, 3, v0
	v_mul_u32_u24_e32 v2, 24, v2
	s_movk_i32 s0, 0x1f8
	v_and_or_b32 v1, v1, s0, v2
	v_cmp_gt_i32_e64 s[2:3], s7, v1
	v_mov_b32_e32 v26, 0
	v_mov_b32_e32 v10, 0
	;; [unrolled: 1-line block ×25, first 2 shown]
	s_and_saveexec_b64 s[0:1], s[2:3]
	s_cbranch_execz .LBB75_3
; %bb.2:
	s_load_dwordx2 s[20:21], s[4:5], 0x28
	s_load_dwordx2 s[26:27], s[4:5], 0x40
	s_and_b64 s[24:25], vcc, exec
	s_cselect_b32 s14, s17, s18
	s_mov_b32 s23, 0x20000
	s_waitcnt lgkmcnt(0)
	s_cselect_b32 s17, s21, s29
	s_cselect_b32 s19, s20, s28
	s_mul_hi_i32 s21, s14, s6
	s_mul_i32 s20, s14, s6
	s_lshl_b64 s[20:21], s[20:21], 1
	s_add_u32 s24, s19, s20
	s_addc_u32 s14, s17, s21
	s_and_b64 s[20:21], vcc, exec
	s_cselect_b32 s17, s27, s9
	s_cselect_b32 s20, s26, s8
	s_and_b32 s21, s17, 0xffff
	s_and_b32 s25, s14, 0xffff
	s_mov_b32 s26, s22
	s_mov_b32 s27, s23
	v_lshlrev_b32_e32 v27, 1, v1
	s_movk_i32 s17, 0x800
	s_movk_i32 s14, 0x400
	buffer_load_dwordx4 v[22:25], v27, s[24:27], 0 offen glc slc
	buffer_load_dwordx4 v[14:17], v27, s[24:27], s14 offen glc slc
	;; [unrolled: 1-line block ×3, first 2 shown]
	buffer_load_dwordx4 v[10:13], v27, s[20:23], 0 offen
	buffer_load_dwordx4 v[6:9], v27, s[20:23], s14 offen
	;; [unrolled: 1-line block ×3, first 2 shown]
.LBB75_3:
	s_or_b64 exec, exec, s[0:1]
	v_mov_b32_e32 v27, 0
	v_mov_b32_e32 v48, 0
	v_mov_b32_e32 v49, 0
	v_mov_b32_e32 v44, 0
	v_mov_b32_e32 v45, 0
	v_mov_b32_e32 v40, 0
	v_mov_b32_e32 v41, 0
	v_mov_b32_e32 v46, 0
	v_mov_b32_e32 v47, 0
	v_mov_b32_e32 v42, 0
	v_mov_b32_e32 v43, 0
	v_mov_b32_e32 v36, 0
	v_mov_b32_e32 v37, 0
	v_mov_b32_e32 v32, 0
	v_mov_b32_e32 v33, 0
	v_mov_b32_e32 v38, 0
	v_mov_b32_e32 v39, 0
	v_mov_b32_e32 v34, 0
	v_mov_b32_e32 v35, 0
	v_mov_b32_e32 v30, 0
	v_mov_b32_e32 v31, 0
	v_mov_b32_e32 v28, 0
	v_mov_b32_e32 v29, 0
	s_and_saveexec_b64 s[0:1], s[2:3]
	s_cbranch_execz .LBB75_5
; %bb.4:
	s_waitcnt vmcnt(5)
	v_cvt_f32_f16_sdwa v27, v22 dst_sel:DWORD dst_unused:UNUSED_PAD src0_sel:WORD_1
	v_cvt_f32_f16_e32 v26, v22
	v_cvt_f32_f16_sdwa v49, v23 dst_sel:DWORD dst_unused:UNUSED_PAD src0_sel:WORD_1
	v_cvt_f32_f16_e32 v48, v23
	v_cvt_f32_f16_sdwa v45, v24 dst_sel:DWORD dst_unused:UNUSED_PAD src0_sel:WORD_1
	v_cvt_f32_f16_e32 v44, v24
	v_cvt_f32_f16_sdwa v41, v25 dst_sel:DWORD dst_unused:UNUSED_PAD src0_sel:WORD_1
	v_cvt_f32_f16_e32 v40, v25
	s_waitcnt vmcnt(4)
	v_cvt_f32_f16_sdwa v47, v14 dst_sel:DWORD dst_unused:UNUSED_PAD src0_sel:WORD_1
	v_cvt_f32_f16_e32 v46, v14
	v_cvt_f32_f16_sdwa v43, v15 dst_sel:DWORD dst_unused:UNUSED_PAD src0_sel:WORD_1
	v_cvt_f32_f16_e32 v42, v15
	v_cvt_f32_f16_sdwa v37, v16 dst_sel:DWORD dst_unused:UNUSED_PAD src0_sel:WORD_1
	v_cvt_f32_f16_e32 v36, v16
	v_cvt_f32_f16_sdwa v33, v17 dst_sel:DWORD dst_unused:UNUSED_PAD src0_sel:WORD_1
	v_cvt_f32_f16_e32 v32, v17
	;; [unrolled: 9-line block ×3, first 2 shown]
.LBB75_5:
	s_or_b64 exec, exec, s[0:1]
	s_waitcnt vmcnt(4)
	v_mul_f32_e32 v14, v27, v27
	v_fmac_f32_e32 v14, v26, v26
	v_fmac_f32_e32 v14, v48, v48
	;; [unrolled: 1-line block ×23, first 2 shown]
	v_and_b32_e32 v16, 63, v0
	v_cmp_eq_u32_e64 s[0:1], 63, v16
	v_mov_b32_dpp v15, v14 quad_perm:[1,0,3,2] row_mask:0xf bank_mask:0xf
	v_add_f32_e32 v14, v14, v15
	s_nop 1
	v_mov_b32_dpp v15, v14 quad_perm:[2,3,0,1] row_mask:0xf bank_mask:0xf
	v_add_f32_e32 v14, v14, v15
	s_nop 1
	v_mov_b32_dpp v15, v14 row_half_mirror row_mask:0xf bank_mask:0xf
	v_add_f32_e32 v14, v14, v15
	s_nop 1
	v_mov_b32_dpp v15, v14 row_mirror row_mask:0xf bank_mask:0xf
	v_add_f32_e32 v14, v14, v15
	s_nop 1
	v_mov_b32_dpp v15, v14 row_bcast:15 row_mask:0xf bank_mask:0xf
	v_add_f32_e32 v14, v14, v15
	s_nop 1
	v_mov_b32_dpp v15, v14 row_bcast:31 row_mask:0xf bank_mask:0xf
	s_and_saveexec_b64 s[20:21], s[0:1]
	s_cbranch_execz .LBB75_7
; %bb.6:
	v_add_f32_e32 v14, v14, v15
	v_lshrrev_b32_e32 v15, 4, v0
	v_and_b32_e32 v15, 60, v15
	ds_write_b32 v15, v14 offset:32
.LBB75_7:
	s_or_b64 exec, exec, s[20:21]
	v_and_b32_e32 v14, 3, v0
	v_lshlrev_b32_e32 v50, 2, v14
	s_waitcnt lgkmcnt(0)
	s_barrier
	ds_read_b32 v14, v50 offset:32
	s_load_dwordx2 s[24:25], s[4:5], 0x18
	s_waitcnt lgkmcnt(0)
	v_mov_b32_dpp v15, v14 quad_perm:[1,0,3,2] row_mask:0xf bank_mask:0xf
	v_add_f32_e32 v14, v14, v15
	s_nop 1
	v_mov_b32_dpp v15, v14 quad_perm:[2,3,0,1] row_mask:0xf bank_mask:0xf
	s_and_saveexec_b64 s[20:21], s[2:3]
	s_cbranch_execz .LBB75_9
; %bb.8:
	v_cvt_f32_u32_e32 v16, s7
	v_add_f32_e32 v14, v14, v15
	s_waitcnt vmcnt(3)
	v_mov_b32_e32 v18, s13
	v_mov_b32_e32 v19, s12
	v_div_scale_f32 v15, s[26:27], v16, v16, v14
	v_rcp_f32_e32 v17, v15
	v_cndmask_b32_e32 v18, v18, v19, vcc
	s_mov_b32 s7, 0x800000
	v_fma_f32 v19, -v15, v17, 1.0
	v_fmac_f32_e32 v17, v19, v17
	v_div_scale_f32 v19, vcc, v14, v16, v14
	v_mul_f32_e32 v20, v19, v17
	v_fma_f32 v21, -v15, v20, v19
	v_fmac_f32_e32 v20, v21, v17
	v_fma_f32 v15, -v15, v20, v19
	v_div_fmas_f32 v15, v15, v17, v20
	v_div_fixup_f32 v14, v15, v16, v14
	v_add_f32_e32 v14, v18, v14
	v_mul_f32_e32 v15, 0x4b800000, v14
	v_cmp_gt_f32_e32 vcc, s7, v14
	v_cndmask_b32_e32 v14, v14, v15, vcc
	v_rsq_f32_e32 v14, v14
	v_mul_f32_e32 v15, 0x45800000, v14
	v_cndmask_b32_e32 v14, v14, v15, vcc
	v_mov_b32_e32 v15, v14
	;;#ASMSTART
	v_pk_mul_f32 v[16:17], v[26:27], v[14:15]
	;;#ASMEND
	;;#ASMSTART
	v_pk_mul_f32 v[18:19], v[48:49], v[14:15]
	;;#ASMEND
	;; [unrolled: 3-line block ×12, first 2 shown]
	s_waitcnt vmcnt(2)
	v_cvt_f32_f16_sdwa v27, v10 dst_sel:DWORD dst_unused:UNUSED_PAD src0_sel:WORD_1
	v_cvt_f32_f16_e32 v26, v10
	v_cvt_f32_f16_sdwa v29, v11 dst_sel:DWORD dst_unused:UNUSED_PAD src0_sel:WORD_1
	v_cvt_f32_f16_e32 v28, v11
	;; [unrolled: 2-line block ×4, first 2 shown]
	;;#ASMSTART
	v_pk_mul_f32 v[26:27], v[16:17], v[26:27]
	;;#ASMEND
	;;#ASMSTART
	v_pk_mul_f32 v[48:49], v[18:19], v[28:29]
	;;#ASMEND
	;; [unrolled: 3-line block ×3, first 2 shown]
	s_waitcnt vmcnt(1)
	v_cvt_f32_f16_sdwa v11, v6 dst_sel:DWORD dst_unused:UNUSED_PAD src0_sel:WORD_1
	v_cvt_f32_f16_e32 v10, v6
	v_cvt_f32_f16_sdwa v13, v7 dst_sel:DWORD dst_unused:UNUSED_PAD src0_sel:WORD_1
	v_cvt_f32_f16_e32 v12, v7
	v_cvt_f32_f16_sdwa v7, v8 dst_sel:DWORD dst_unused:UNUSED_PAD src0_sel:WORD_1
	v_cvt_f32_f16_e32 v6, v8
	;;#ASMSTART
	v_pk_mul_f32 v[40:41], v[22:23], v[40:41]
	;;#ASMEND
	v_cvt_f32_f16_sdwa v17, v9 dst_sel:DWORD dst_unused:UNUSED_PAD src0_sel:WORD_1
	v_cvt_f32_f16_e32 v16, v9
	;;#ASMSTART
	v_pk_mul_f32 v[46:47], v[24:25], v[10:11]
	;;#ASMEND
	;;#ASMSTART
	v_pk_mul_f32 v[42:43], v[42:43], v[12:13]
	;;#ASMEND
	;; [unrolled: 3-line block ×4, first 2 shown]
	s_waitcnt vmcnt(0)
	v_cvt_f32_f16_sdwa v7, v2 dst_sel:DWORD dst_unused:UNUSED_PAD src0_sel:WORD_1
	v_cvt_f32_f16_e32 v6, v2
	v_cvt_f32_f16_sdwa v9, v3 dst_sel:DWORD dst_unused:UNUSED_PAD src0_sel:WORD_1
	v_cvt_f32_f16_e32 v8, v3
	;; [unrolled: 2-line block ×4, first 2 shown]
	;;#ASMSTART
	v_pk_mul_f32 v[38:39], v[38:39], v[6:7]
	;;#ASMEND
	;;#ASMSTART
	v_pk_mul_f32 v[34:35], v[34:35], v[8:9]
	;;#ASMEND
	;; [unrolled: 3-line block ×4, first 2 shown]
.LBB75_9:
	s_or_b64 exec, exec, s[20:21]
	s_load_dwordx2 s[26:27], s[4:5], 0x7c
	s_mov_b64 s[20:21], -1
	s_and_b64 vcc, exec, s[10:11]
	s_cbranch_vccnz .LBB75_13
; %bb.10:
	s_andn2_b64 vcc, exec, s[20:21]
	s_cbranch_vccz .LBB75_16
.LBB75_11:
	s_cmp_lt_i32 s16, 1
	s_cbranch_scc0 .LBB75_27
.LBB75_12:
	s_endpgm
.LBB75_13:
	s_and_saveexec_b64 s[10:11], s[2:3]
	s_cbranch_execz .LBB75_15
; %bb.14:
	s_waitcnt lgkmcnt(0)
	s_mul_hi_i32 s21, s27, s6
	s_mul_i32 s20, s27, s6
	s_waitcnt vmcnt(0)
	v_cvt_f16_f32_e32 v2, v26
	v_cvt_f16_f32_e32 v3, v48
	;; [unrolled: 1-line block ×8, first 2 shown]
	s_lshl_b64 s[20:21], s[20:21], 1
	s_add_u32 s20, s24, s20
	s_addc_u32 s7, s25, s21
	s_and_b32 s21, s7, 0xffff
	s_mov_b32 s23, 0x20000
	v_pack_b32_f16 v5, v5, v6
	v_pack_b32_f16 v4, v4, v7
	;; [unrolled: 1-line block ×4, first 2 shown]
	v_lshlrev_b32_e32 v6, 1, v1
	buffer_store_dwordx4 v[2:5], v6, s[20:23], 0 offen
	v_cvt_f16_f32_e32 v7, v33
	v_cvt_f16_f32_e32 v2, v46
	;; [unrolled: 1-line block ×8, first 2 shown]
	v_pack_b32_f16 v5, v5, v7
	v_pack_b32_f16 v4, v4, v8
	;; [unrolled: 1-line block ×4, first 2 shown]
	s_movk_i32 s7, 0x400
	;;#ASMSTART
	s_nop 0
	;;#ASMEND
	buffer_store_dwordx4 v[2:5], v6, s[20:23], s7 offen
	v_cvt_f16_f32_e32 v2, v38
	v_cvt_f16_f32_e32 v3, v34
	;; [unrolled: 1-line block ×8, first 2 shown]
	v_pack_b32_f16 v5, v5, v7
	v_pack_b32_f16 v4, v4, v8
	;; [unrolled: 1-line block ×4, first 2 shown]
	s_movk_i32 s7, 0x800
	;;#ASMSTART
	s_nop 0
	;;#ASMEND
	buffer_store_dwordx4 v[2:5], v6, s[20:23], s7 offen
	;;#ASMSTART
	s_nop 0
	;;#ASMEND
.LBB75_15:
	s_or_b64 exec, exec, s[10:11]
	s_cbranch_execnz .LBB75_11
.LBB75_16:
	s_waitcnt vmcnt(0)
	v_mov_b32_e32 v2, 0
	s_and_saveexec_b64 s[10:11], s[2:3]
	s_cbranch_execz .LBB75_18
; %bb.17:
	s_load_dwordx2 s[20:21], s[4:5], 0x10
	s_waitcnt lgkmcnt(0)
	s_mul_hi_i32 s31, s26, s6
	s_mul_i32 s30, s26, s6
	v_cvt_f16_f32_e32 v2, v26
	v_cvt_f16_f32_e32 v3, v48
	;; [unrolled: 1-line block ×8, first 2 shown]
	s_lshl_b64 s[30:31], s[30:31], 1
	s_add_u32 s20, s20, s30
	s_addc_u32 s7, s21, s31
	s_mov_b32 s23, 0x20000
	s_and_b32 s21, s7, 0xffff
	v_pack_b32_f16 v5, v5, v6
	v_pack_b32_f16 v4, v4, v7
	;; [unrolled: 1-line block ×4, first 2 shown]
	v_lshlrev_b32_e32 v6, 1, v1
	buffer_store_dwordx4 v[2:5], v6, s[20:23], 0 offen
	v_cvt_f16_f32_e32 v7, v33
	v_cvt_f16_f32_e32 v2, v46
	;; [unrolled: 1-line block ×8, first 2 shown]
	v_pack_b32_f16 v5, v5, v7
	v_pack_b32_f16 v4, v4, v8
	;; [unrolled: 1-line block ×4, first 2 shown]
	s_movk_i32 s7, 0x400
	;;#ASMSTART
	s_nop 0
	;;#ASMEND
	buffer_store_dwordx4 v[2:5], v6, s[20:23], s7 offen
	v_cvt_f16_f32_e32 v2, v38
	v_cvt_f16_f32_e32 v3, v34
	;; [unrolled: 1-line block ×8, first 2 shown]
	v_pack_b32_f16 v5, v5, v7
	v_pack_b32_f16 v4, v4, v8
	v_pack_b32_f16 v3, v3, v9
	v_pack_b32_f16 v2, v2, v10
	s_movk_i32 s7, 0x800
	;;#ASMSTART
	s_nop 0
	;;#ASMEND
	buffer_store_dwordx4 v[2:5], v6, s[20:23], s7 offen
	v_mov_b32_e32 v2, 0x2edbe6ff
	;;#ASMSTART
	s_nop 0
	;;#ASMEND
.LBB75_18:
	s_or_b64 exec, exec, s[10:11]
	s_and_saveexec_b64 s[10:11], s[2:3]
	s_cbranch_execz .LBB75_20
; %bb.19:
	v_and_b32_e32 v3, 0x7fffffff, v26
	v_and_b32_e32 v4, 0x7fffffff, v27
	;;#ASMSTART
	v_max3_f32 v2, v2, v3, v4

	;;#ASMEND
	v_and_b32_e32 v3, 0x7fffffff, v48
	v_and_b32_e32 v4, 0x7fffffff, v49
	;;#ASMSTART
	v_max3_f32 v2, v2, v3, v4

	;;#ASMEND
	;; [unrolled: 6-line block ×12, first 2 shown]
.LBB75_20:
	s_or_b64 exec, exec, s[10:11]
	s_nop 0
	v_mov_b32_dpp v3, v2 quad_perm:[1,0,3,2] row_mask:0xf bank_mask:0xf
	v_cmp_gt_f32_e32 vcc, v2, v3
	v_cndmask_b32_e32 v2, v3, v2, vcc
	s_nop 1
	v_mov_b32_dpp v3, v2 quad_perm:[2,3,0,1] row_mask:0xf bank_mask:0xf
	v_cmp_gt_f32_e32 vcc, v2, v3
	v_cndmask_b32_e32 v2, v3, v2, vcc
	s_nop 1
	v_mov_b32_dpp v3, v2 row_half_mirror row_mask:0xf bank_mask:0xf
	v_cmp_gt_f32_e32 vcc, v2, v3
	v_cndmask_b32_e32 v2, v3, v2, vcc
	s_nop 1
	v_mov_b32_dpp v3, v2 row_mirror row_mask:0xf bank_mask:0xf
	v_cmp_gt_f32_e32 vcc, v2, v3
	v_cndmask_b32_e32 v2, v3, v2, vcc
	s_nop 1
	v_mov_b32_dpp v3, v2 row_bcast:15 row_mask:0xf bank_mask:0xf
	v_cmp_gt_f32_e32 vcc, v2, v3
	v_cndmask_b32_e32 v2, v3, v2, vcc
	s_nop 1
	v_mov_b32_dpp v3, v2 row_bcast:31 row_mask:0xf bank_mask:0xf
	s_and_saveexec_b64 s[10:11], s[0:1]
	s_cbranch_execz .LBB75_22
; %bb.21:
	v_cmp_gt_f32_e32 vcc, v2, v3
	v_cndmask_b32_e32 v2, v3, v2, vcc
	v_lshrrev_b32_e32 v3, 4, v0
	v_and_b32_e32 v3, 60, v3
	ds_write_b32 v3, v2
.LBB75_22:
	s_or_b64 exec, exec, s[10:11]
	s_waitcnt lgkmcnt(0)
	s_barrier
	ds_read_b32 v2, v50
	s_load_dwordx2 s[20:21], s[4:5], 0x70
	s_waitcnt lgkmcnt(0)
	v_mov_b32_dpp v3, v2 quad_perm:[1,0,3,2] row_mask:0xf bank_mask:0xf
	v_cmp_gt_f32_e32 vcc, v2, v3
	v_cndmask_b32_e32 v2, v3, v2, vcc
	s_nop 1
	v_mov_b32_dpp v3, v2 quad_perm:[2,3,0,1] row_mask:0xf bank_mask:0xf
	v_cmp_gt_f32_e32 vcc, v2, v3
	v_cndmask_b32_e32 v2, v3, v2, vcc
	v_mul_f32_e32 v2, 0x3b124925, v2
	v_cmp_eq_u32_e32 vcc, 0, v0
	s_and_saveexec_b64 s[10:11], vcc
	s_cbranch_execz .LBB75_24
; %bb.23:
	s_load_dwordx2 s[22:23], s[4:5], 0x8
	s_mul_hi_i32 s31, s21, s6
	s_mul_i32 s30, s21, s6
	s_lshl_b64 s[30:31], s[30:31], 2
	v_mov_b32_e32 v3, 0
	s_waitcnt lgkmcnt(0)
	s_add_u32 s22, s22, s30
	s_addc_u32 s23, s23, s31
	global_store_dword v3, v2, s[22:23]
.LBB75_24:
	s_or_b64 exec, exec, s[10:11]
	;;#ASMSTART
	v_rcp_f32 v2, v2
	;;#ASMEND
	s_and_saveexec_b64 s[10:11], s[2:3]
	s_cbranch_execz .LBB75_26
; %bb.25:
	s_load_dwordx2 s[2:3], s[4:5], 0x0
	s_mul_i32 s12, s20, s6
	s_mul_hi_i32 s7, s20, s6
	v_mov_b32_e32 v3, v2
	;;#ASMSTART
	v_pk_mul_f32 v[4:5], v[26:27], v[2:3]
	;;#ASMEND
	s_waitcnt lgkmcnt(0)
	s_add_u32 s20, s2, s12
	s_addc_u32 s2, s3, s7
	s_add_i32 s3, s15, 3
	s_ashr_i32 s7, s3, 31
	v_mov_b32_e32 v8, 0xc3e00000
	v_mov_b32_e32 v9, 0x43e00000
	;;#ASMSTART
	v_med3_f32 v4, v4, v8, v9
v_med3_f32 v5, v5, v8, v9
v_cvt_pk_fp8_f32 v6, v4, v5
	;;#ASMEND
	s_lshr_b32 s7, s7, 30
	;;#ASMSTART
	v_pk_mul_f32 v[4:5], v[48:49], v[2:3]
	;;#ASMEND
	s_add_i32 s3, s3, s7
	s_and_b32 s21, s2, 0xffff
	;;#ASMSTART
	v_med3_f32 v4, v4, v8, v9
v_med3_f32 v5, v5, v8, v9
v_cvt_pk_fp8_f32 v7, v4, v5
	;;#ASMEND
	s_mov_b32 s2, 0x5040100
	s_and_b32 s22, s3, -4
	v_perm_b32 v5, v7, v6, s2
	s_movk_i32 s3, 0xff
	v_and_b32_e32 v4, 0xffffff00, v7
	v_and_b32_sdwa v6, v5, s3 dst_sel:DWORD dst_unused:UNUSED_PAD src0_sel:WORD_1 src1_sel:DWORD
	s_mov_b32 s14, 0xffff
	v_or_b32_sdwa v4, v6, v4 dst_sel:WORD_1 dst_unused:UNUSED_PAD src0_sel:DWORD src1_sel:DWORD
	v_and_or_b32 v4, v5, s14, v4
	;;#ASMSTART
	v_pk_mul_f32 v[6:7], v[44:45], v[2:3]
	;;#ASMEND
	v_mov_b32_e32 v5, v7
	;;#ASMSTART
	v_med3_f32 v6, v6, v8, v9
v_med3_f32 v5, v5, v8, v9
v_cvt_pk_fp8_f32 v10, v6, v5
	;;#ASMEND
	;;#ASMSTART
	v_pk_mul_f32 v[6:7], v[40:41], v[2:3]
	;;#ASMEND
	v_mov_b32_e32 v5, v7
	;;#ASMSTART
	v_med3_f32 v6, v6, v8, v9
v_med3_f32 v5, v5, v8, v9
v_cvt_pk_fp8_f32 v7, v6, v5
	;;#ASMEND
	v_lshlrev_b32_e32 v5, 16, v7
	s_mov_b32 s23, 0x20000
	v_and_or_b32 v5, v10, s14, v5
	buffer_store_dwordx2 v[4:5], v1, s[20:23], 0 offen
	;;#ASMSTART
	s_nop 0
	;;#ASMEND
	;;#ASMSTART
	v_pk_mul_f32 v[4:5], v[46:47], v[2:3]
	;;#ASMEND
	;;#ASMSTART
	v_med3_f32 v4, v4, v8, v9
v_med3_f32 v5, v5, v8, v9
v_cvt_pk_fp8_f32 v6, v4, v5
	;;#ASMEND
	;;#ASMSTART
	v_pk_mul_f32 v[4:5], v[42:43], v[2:3]
	;;#ASMEND
	;;#ASMSTART
	v_med3_f32 v4, v4, v8, v9
v_med3_f32 v5, v5, v8, v9
v_cvt_pk_fp8_f32 v7, v4, v5
	;;#ASMEND
	v_perm_b32 v5, v7, v6, s2
	v_and_b32_e32 v4, 0xffffff00, v7
	v_and_b32_sdwa v6, v5, s3 dst_sel:DWORD dst_unused:UNUSED_PAD src0_sel:WORD_1 src1_sel:DWORD
	v_or_b32_sdwa v4, v6, v4 dst_sel:WORD_1 dst_unused:UNUSED_PAD src0_sel:DWORD src1_sel:DWORD
	v_and_or_b32 v4, v5, s14, v4
	;;#ASMSTART
	v_pk_mul_f32 v[6:7], v[36:37], v[2:3]
	;;#ASMEND
	v_mov_b32_e32 v5, v7
	;;#ASMSTART
	v_med3_f32 v6, v6, v8, v9
v_med3_f32 v5, v5, v8, v9
v_cvt_pk_fp8_f32 v10, v6, v5
	;;#ASMEND
	;;#ASMSTART
	v_pk_mul_f32 v[6:7], v[32:33], v[2:3]
	;;#ASMEND
	v_mov_b32_e32 v5, v7
	;;#ASMSTART
	v_med3_f32 v6, v6, v8, v9
v_med3_f32 v5, v5, v8, v9
v_cvt_pk_fp8_f32 v7, v6, v5
	;;#ASMEND
	v_lshlrev_b32_e32 v5, 16, v7
	v_and_or_b32 v5, v10, s14, v5
	s_movk_i32 s7, 0x200
	buffer_store_dwordx2 v[4:5], v1, s[20:23], s7 offen
	;;#ASMSTART
	s_nop 0
	;;#ASMEND
	;;#ASMSTART
	v_pk_mul_f32 v[4:5], v[38:39], v[2:3]
	;;#ASMEND
	;;#ASMSTART
	v_med3_f32 v4, v4, v8, v9
v_med3_f32 v5, v5, v8, v9
v_cvt_pk_fp8_f32 v6, v4, v5
	;;#ASMEND
	;;#ASMSTART
	v_pk_mul_f32 v[4:5], v[34:35], v[2:3]
	;;#ASMEND
	;;#ASMSTART
	v_med3_f32 v4, v4, v8, v9
v_med3_f32 v5, v5, v8, v9
v_cvt_pk_fp8_f32 v7, v4, v5
	;;#ASMEND
	v_perm_b32 v5, v7, v6, s2
	v_and_b32_e32 v4, 0xffffff00, v7
	v_and_b32_sdwa v6, v5, s3 dst_sel:DWORD dst_unused:UNUSED_PAD src0_sel:WORD_1 src1_sel:DWORD
	v_or_b32_sdwa v4, v6, v4 dst_sel:WORD_1 dst_unused:UNUSED_PAD src0_sel:DWORD src1_sel:DWORD
	v_and_or_b32 v4, v5, s14, v4
	;;#ASMSTART
	v_pk_mul_f32 v[6:7], v[30:31], v[2:3]
	;;#ASMEND
	v_mov_b32_e32 v5, v7
	;;#ASMSTART
	v_med3_f32 v6, v6, v8, v9
v_med3_f32 v5, v5, v8, v9
v_cvt_pk_fp8_f32 v7, v6, v5
	;;#ASMEND
	;;#ASMSTART
	v_pk_mul_f32 v[2:3], v[28:29], v[2:3]
	;;#ASMEND
	;;#ASMSTART
	v_med3_f32 v2, v2, v8, v9
v_med3_f32 v3, v3, v8, v9
v_cvt_pk_fp8_f32 v5, v2, v3
	;;#ASMEND
	v_lshlrev_b32_e32 v2, 16, v5
	v_and_or_b32 v5, v7, s14, v2
	s_movk_i32 s2, 0x400
	buffer_store_dwordx2 v[4:5], v1, s[20:23], s2 offen
	;;#ASMSTART
	s_nop 0
	;;#ASMEND
.LBB75_26:
	s_or_b64 exec, exec, s[10:11]
	s_cmp_lt_i32 s16, 1
	s_cbranch_scc1 .LBB75_12
.LBB75_27:
	s_load_dword s2, s[4:5], 0x94
	s_waitcnt lgkmcnt(0)
	s_cmp_lg_u32 s2, 1
	s_cbranch_scc1 .LBB75_12
; %bb.28:
	s_lshl_b32 s2, s16, 1
	s_add_i32 s2, s2, 2
	v_cmp_gt_u32_e32 vcc, s16, v1
	s_and_b32 s10, s2, -4
	v_mov_b32_e32 v26, 0
	v_lshlrev_b32_e32 v1, 1, v1
	v_mov_b32_e32 v22, 0
	v_mov_b32_e32 v23, 0
	;; [unrolled: 1-line block ×8, first 2 shown]
	s_waitcnt vmcnt(3)
	v_mov_b32_e32 v18, 0
	v_mov_b32_e32 v19, 0
	v_mov_b32_e32 v20, 0
	v_mov_b32_e32 v21, 0
	s_waitcnt vmcnt(2)
	v_mov_b32_e32 v10, 0
	v_mov_b32_e32 v11, 0
	v_mov_b32_e32 v12, 0
	v_mov_b32_e32 v13, 0
	;; [unrolled: 5-line block ×4, first 2 shown]
	s_barrier
	s_and_saveexec_b64 s[2:3], vcc
	s_cbranch_execz .LBB75_30
; %bb.29:
	s_mul_hi_i32 s5, s18, s6
	s_mul_i32 s4, s18, s6
	s_and_b32 s9, s9, 0xffff
	s_lshl_b64 s[4:5], s[4:5], 1
	s_add_u32 s20, s28, s4
	s_mov_b32 s11, 0x20000
	s_addc_u32 s4, s29, s5
	s_and_b32 s21, s4, 0xffff
	s_mov_b32 s22, s10
	s_mov_b32 s23, s11
	s_movk_i32 s5, 0x800
	s_movk_i32 s4, 0x400
	buffer_load_dwordx4 v[22:25], v1, s[20:23], 0 offen glc slc
	buffer_load_dwordx4 v[14:17], v1, s[20:23], s4 offen glc slc
	;; [unrolled: 1-line block ×3, first 2 shown]
	buffer_load_dwordx4 v[10:13], v1, s[8:11], 0 offen
	buffer_load_dwordx4 v[6:9], v1, s[8:11], s4 offen
	;; [unrolled: 1-line block ×3, first 2 shown]
.LBB75_30:
	s_or_b64 exec, exec, s[2:3]
	v_mov_b32_e32 v27, 0
	v_mov_b32_e32 v48, 0
	;; [unrolled: 1-line block ×23, first 2 shown]
	s_and_saveexec_b64 s[2:3], vcc
	s_cbranch_execz .LBB75_32
; %bb.31:
	s_waitcnt vmcnt(5)
	v_cvt_f32_f16_sdwa v27, v22 dst_sel:DWORD dst_unused:UNUSED_PAD src0_sel:WORD_1
	v_cvt_f32_f16_e32 v26, v22
	v_cvt_f32_f16_sdwa v49, v23 dst_sel:DWORD dst_unused:UNUSED_PAD src0_sel:WORD_1
	v_cvt_f32_f16_e32 v48, v23
	v_cvt_f32_f16_sdwa v47, v24 dst_sel:DWORD dst_unused:UNUSED_PAD src0_sel:WORD_1
	v_cvt_f32_f16_e32 v46, v24
	v_cvt_f32_f16_sdwa v45, v25 dst_sel:DWORD dst_unused:UNUSED_PAD src0_sel:WORD_1
	v_cvt_f32_f16_e32 v44, v25
	s_waitcnt vmcnt(4)
	v_cvt_f32_f16_sdwa v43, v14 dst_sel:DWORD dst_unused:UNUSED_PAD src0_sel:WORD_1
	v_cvt_f32_f16_e32 v42, v14
	v_cvt_f32_f16_sdwa v41, v15 dst_sel:DWORD dst_unused:UNUSED_PAD src0_sel:WORD_1
	v_cvt_f32_f16_e32 v40, v15
	v_cvt_f32_f16_sdwa v39, v16 dst_sel:DWORD dst_unused:UNUSED_PAD src0_sel:WORD_1
	v_cvt_f32_f16_e32 v38, v16
	v_cvt_f32_f16_sdwa v37, v17 dst_sel:DWORD dst_unused:UNUSED_PAD src0_sel:WORD_1
	v_cvt_f32_f16_e32 v36, v17
	;; [unrolled: 9-line block ×3, first 2 shown]
.LBB75_32:
	s_or_b64 exec, exec, s[2:3]
	s_waitcnt vmcnt(4)
	v_mul_f32_e32 v14, v27, v27
	v_fmac_f32_e32 v14, v26, v26
	v_fmac_f32_e32 v14, v48, v48
	;; [unrolled: 1-line block ×23, first 2 shown]
	s_nop 1
	v_mov_b32_dpp v15, v14 quad_perm:[1,0,3,2] row_mask:0xf bank_mask:0xf
	v_add_f32_e32 v14, v14, v15
	s_nop 1
	v_mov_b32_dpp v15, v14 quad_perm:[2,3,0,1] row_mask:0xf bank_mask:0xf
	v_add_f32_e32 v14, v14, v15
	s_nop 1
	v_mov_b32_dpp v15, v14 row_half_mirror row_mask:0xf bank_mask:0xf
	v_add_f32_e32 v14, v14, v15
	s_nop 1
	v_mov_b32_dpp v15, v14 row_mirror row_mask:0xf bank_mask:0xf
	v_add_f32_e32 v14, v14, v15
	s_nop 1
	v_mov_b32_dpp v15, v14 row_bcast:15 row_mask:0xf bank_mask:0xf
	v_add_f32_e32 v14, v14, v15
	s_nop 1
	v_mov_b32_dpp v15, v14 row_bcast:31 row_mask:0xf bank_mask:0xf
	s_and_saveexec_b64 s[2:3], s[0:1]
	s_cbranch_execz .LBB75_34
; %bb.33:
	v_lshrrev_b32_e32 v0, 4, v0
	v_add_f32_e32 v14, v14, v15
	v_and_b32_e32 v0, 60, v0
	ds_write_b32 v0, v14 offset:16
.LBB75_34:
	s_or_b64 exec, exec, s[2:3]
	s_waitcnt lgkmcnt(0)
	s_barrier
	ds_read_b32 v0, v50 offset:16
	s_waitcnt lgkmcnt(0)
	s_nop 0
	v_mov_b32_dpp v14, v0 quad_perm:[1,0,3,2] row_mask:0xf bank_mask:0xf
	v_add_f32_e32 v0, v0, v14
	s_nop 1
	v_mov_b32_dpp v14, v0 quad_perm:[2,3,0,1] row_mask:0xf bank_mask:0xf
	s_and_saveexec_b64 s[0:1], vcc
	s_cbranch_execz .LBB75_12
; %bb.35:
	v_cvt_f32_u32_e32 v15, s16
	v_add_f32_e32 v0, v0, v14
	s_mov_b32 s11, 0x20000
	v_div_scale_f32 v14, s[0:1], v15, v15, v0
	v_rcp_f32_e32 v16, v14
	v_div_scale_f32 v17, vcc, v0, v15, v0
	s_mov_b32 s0, 0x800000
	s_waitcnt vmcnt(3)
	v_fma_f32 v18, -v14, v16, 1.0
	v_fmac_f32_e32 v16, v18, v16
	v_mul_f32_e32 v18, v17, v16
	v_fma_f32 v19, -v14, v18, v17
	v_fmac_f32_e32 v18, v19, v16
	v_fma_f32 v14, -v14, v18, v17
	v_div_fmas_f32 v14, v14, v16, v18
	v_div_fixup_f32 v0, v14, v15, v0
	v_add_f32_e32 v0, s13, v0
	v_mul_f32_e32 v14, 0x4b800000, v0
	v_cmp_gt_f32_e32 vcc, s0, v0
	v_cndmask_b32_e32 v0, v0, v14, vcc
	v_rsq_f32_e32 v0, v0
	s_mul_hi_i32 s1, s27, s6
	s_mul_i32 s0, s27, s6
	s_lshl_b64 s[0:1], s[0:1], 1
	v_mul_f32_e32 v14, 0x45800000, v0
	v_cndmask_b32_e32 v14, v0, v14, vcc
	v_mov_b32_e32 v15, v14
	;;#ASMSTART
	v_pk_mul_f32 v[16:17], v[26:27], v[14:15]
	;;#ASMEND
	;;#ASMSTART
	v_pk_mul_f32 v[18:19], v[48:49], v[14:15]
	;;#ASMEND
	;; [unrolled: 3-line block ×12, first 2 shown]
	s_waitcnt vmcnt(2)
	v_cvt_f32_f16_sdwa v29, v10 dst_sel:DWORD dst_unused:UNUSED_PAD src0_sel:WORD_1
	v_cvt_f32_f16_e32 v28, v10
	v_cvt_f32_f16_sdwa v41, v11 dst_sel:DWORD dst_unused:UNUSED_PAD src0_sel:WORD_1
	v_cvt_f32_f16_e32 v40, v11
	;; [unrolled: 2-line block ×4, first 2 shown]
	;;#ASMSTART
	v_pk_mul_f32 v[12:13], v[16:17], v[28:29]
	;;#ASMEND
	;;#ASMSTART
	v_pk_mul_f32 v[16:17], v[18:19], v[40:41]
	;;#ASMEND
	;; [unrolled: 3-line block ×3, first 2 shown]
	s_waitcnt vmcnt(1)
	v_cvt_f32_f16_sdwa v21, v6 dst_sel:DWORD dst_unused:UNUSED_PAD src0_sel:WORD_1
	v_cvt_f32_f16_e32 v20, v6
	;;#ASMSTART
	v_pk_mul_f32 v[18:19], v[22:23], v[42:43]
	;;#ASMEND
	v_cvt_f32_f16_sdwa v23, v7 dst_sel:DWORD dst_unused:UNUSED_PAD src0_sel:WORD_1
	v_cvt_f32_f16_e32 v22, v7
	v_cvt_f32_f16_sdwa v7, v8 dst_sel:DWORD dst_unused:UNUSED_PAD src0_sel:WORD_1
	v_cvt_f32_f16_e32 v6, v8
	;; [unrolled: 2-line block ×3, first 2 shown]
	;;#ASMSTART
	v_pk_mul_f32 v[8:9], v[24:25], v[20:21]
	;;#ASMEND
	;;#ASMSTART
	v_pk_mul_f32 v[20:21], v[26:27], v[22:23]
	;;#ASMEND
	s_waitcnt vmcnt(0)
	v_cvt_f32_f16_sdwa v25, v2 dst_sel:DWORD dst_unused:UNUSED_PAD src0_sel:WORD_1
	v_cvt_f32_f16_e32 v24, v2
	v_cvt_f32_f16_sdwa v27, v3 dst_sel:DWORD dst_unused:UNUSED_PAD src0_sel:WORD_1
	v_cvt_f32_f16_e32 v26, v3
	;; [unrolled: 2-line block ×3, first 2 shown]
	;;#ASMSTART
	v_pk_mul_f32 v[6:7], v[38:39], v[6:7]
	;;#ASMEND
	;;#ASMSTART
	v_pk_mul_f32 v[22:23], v[36:37], v[28:29]
	;;#ASMEND
	v_cvt_f32_f16_sdwa v29, v5 dst_sel:DWORD dst_unused:UNUSED_PAD src0_sel:WORD_1
	v_cvt_f32_f16_e32 v28, v5
	;;#ASMSTART
	v_pk_mul_f32 v[24:25], v[34:35], v[24:25]
	;;#ASMEND
	;;#ASMSTART
	v_pk_mul_f32 v[26:27], v[32:33], v[26:27]
	;;#ASMEND
	;; [unrolled: 3-line block ×3, first 2 shown]
	v_cvt_f16_f32_e32 v0, v12
	v_cvt_f16_f32_e32 v2, v13
	;; [unrolled: 1-line block ×8, first 2 shown]
	s_add_u32 s8, s24, s0
	s_addc_u32 s0, s25, s1
	s_and_b32 s9, s0, 0xffff
	v_pack_b32_f16 v2, v0, v2
	v_pack_b32_f16 v3, v3, v4
	;; [unrolled: 1-line block ×4, first 2 shown]
	;;#ASMSTART
	v_pk_mul_f32 v[14:15], v[14:15], v[28:29]
	;;#ASMEND
	buffer_store_dwordx4 v[2:5], v1, s[8:11], 0 offen
	v_cvt_f16_f32_e32 v0, v8
	v_cvt_f16_f32_e32 v2, v9
	;; [unrolled: 1-line block ×8, first 2 shown]
	v_pack_b32_f16 v2, v0, v2
	v_pack_b32_f16 v3, v3, v4
	;; [unrolled: 1-line block ×4, first 2 shown]
	s_movk_i32 s0, 0x400
	;;#ASMSTART
	s_nop 0
	;;#ASMEND
	buffer_store_dwordx4 v[2:5], v1, s[8:11], s0 offen
	v_cvt_f16_f32_e32 v0, v24
	v_cvt_f16_f32_e32 v2, v25
	v_cvt_f16_f32_e32 v3, v26
	v_cvt_f16_f32_e32 v4, v27
	v_cvt_f16_f32_e32 v5, v30
	v_cvt_f16_f32_e32 v6, v31
	v_cvt_f16_f32_e32 v7, v14
	v_cvt_f16_f32_e32 v8, v15
	v_pack_b32_f16 v2, v0, v2
	v_pack_b32_f16 v3, v3, v4
	;; [unrolled: 1-line block ×4, first 2 shown]
	s_movk_i32 s0, 0x800
	;;#ASMSTART
	s_nop 0
	;;#ASMEND
	buffer_store_dwordx4 v[2:5], v1, s[8:11], s0 offen
	;;#ASMSTART
	s_nop 0
	;;#ASMEND
	s_endpgm
	.section	.rodata,"a",@progbits
	.p2align	6, 0x0
	.amdhsa_kernel _ZN5aiter35fused_qk_rmsnorm_group_quant_kernelIDF16_DB8_Li256ELi24ELi1ELb0ELb1ELb0ELb0ELb1ELb1EEEvPT0_PvPT_S6_S6_PKS5_S8_S8_S8_S8_ffiiiiiiiiiiiii
		.amdhsa_group_segment_fixed_size 48
		.amdhsa_private_segment_fixed_size 0
		.amdhsa_kernarg_size 400
		.amdhsa_user_sgpr_count 6
		.amdhsa_user_sgpr_private_segment_buffer 1
		.amdhsa_user_sgpr_dispatch_ptr 0
		.amdhsa_user_sgpr_queue_ptr 0
		.amdhsa_user_sgpr_kernarg_segment_ptr 1
		.amdhsa_user_sgpr_dispatch_id 0
		.amdhsa_user_sgpr_flat_scratch_init 0
		.amdhsa_user_sgpr_kernarg_preload_length 0
		.amdhsa_user_sgpr_kernarg_preload_offset 0
		.amdhsa_user_sgpr_private_segment_size 0
		.amdhsa_uses_dynamic_stack 0
		.amdhsa_system_sgpr_private_segment_wavefront_offset 0
		.amdhsa_system_sgpr_workgroup_id_x 1
		.amdhsa_system_sgpr_workgroup_id_y 1
		.amdhsa_system_sgpr_workgroup_id_z 0
		.amdhsa_system_sgpr_workgroup_info 0
		.amdhsa_system_vgpr_workitem_id 0
		.amdhsa_next_free_vgpr 51
		.amdhsa_next_free_sgpr 32
		.amdhsa_accum_offset 52
		.amdhsa_reserve_vcc 1
		.amdhsa_reserve_flat_scratch 0
		.amdhsa_float_round_mode_32 0
		.amdhsa_float_round_mode_16_64 0
		.amdhsa_float_denorm_mode_32 3
		.amdhsa_float_denorm_mode_16_64 3
		.amdhsa_dx10_clamp 1
		.amdhsa_ieee_mode 1
		.amdhsa_fp16_overflow 0
		.amdhsa_tg_split 0
		.amdhsa_exception_fp_ieee_invalid_op 0
		.amdhsa_exception_fp_denorm_src 0
		.amdhsa_exception_fp_ieee_div_zero 0
		.amdhsa_exception_fp_ieee_overflow 0
		.amdhsa_exception_fp_ieee_underflow 0
		.amdhsa_exception_fp_ieee_inexact 0
		.amdhsa_exception_int_div_zero 0
	.end_amdhsa_kernel
	.section	.text._ZN5aiter35fused_qk_rmsnorm_group_quant_kernelIDF16_DB8_Li256ELi24ELi1ELb0ELb1ELb0ELb0ELb1ELb1EEEvPT0_PvPT_S6_S6_PKS5_S8_S8_S8_S8_ffiiiiiiiiiiiii,"axG",@progbits,_ZN5aiter35fused_qk_rmsnorm_group_quant_kernelIDF16_DB8_Li256ELi24ELi1ELb0ELb1ELb0ELb0ELb1ELb1EEEvPT0_PvPT_S6_S6_PKS5_S8_S8_S8_S8_ffiiiiiiiiiiiii,comdat
.Lfunc_end75:
	.size	_ZN5aiter35fused_qk_rmsnorm_group_quant_kernelIDF16_DB8_Li256ELi24ELi1ELb0ELb1ELb0ELb0ELb1ELb1EEEvPT0_PvPT_S6_S6_PKS5_S8_S8_S8_S8_ffiiiiiiiiiiiii, .Lfunc_end75-_ZN5aiter35fused_qk_rmsnorm_group_quant_kernelIDF16_DB8_Li256ELi24ELi1ELb0ELb1ELb0ELb0ELb1ELb1EEEvPT0_PvPT_S6_S6_PKS5_S8_S8_S8_S8_ffiiiiiiiiiiiii
                                        ; -- End function
	.section	.AMDGPU.csdata,"",@progbits
; Kernel info:
; codeLenInByte = 5052
; NumSgprs: 36
; NumVgprs: 51
; NumAgprs: 0
; TotalNumVgprs: 51
; ScratchSize: 0
; MemoryBound: 0
; FloatMode: 240
; IeeeMode: 1
; LDSByteSize: 48 bytes/workgroup (compile time only)
; SGPRBlocks: 4
; VGPRBlocks: 6
; NumSGPRsForWavesPerEU: 36
; NumVGPRsForWavesPerEU: 51
; AccumOffset: 52
; Occupancy: 8
; WaveLimiterHint : 0
; COMPUTE_PGM_RSRC2:SCRATCH_EN: 0
; COMPUTE_PGM_RSRC2:USER_SGPR: 6
; COMPUTE_PGM_RSRC2:TRAP_HANDLER: 0
; COMPUTE_PGM_RSRC2:TGID_X_EN: 1
; COMPUTE_PGM_RSRC2:TGID_Y_EN: 1
; COMPUTE_PGM_RSRC2:TGID_Z_EN: 0
; COMPUTE_PGM_RSRC2:TIDIG_COMP_CNT: 0
; COMPUTE_PGM_RSRC3_GFX90A:ACCUM_OFFSET: 12
; COMPUTE_PGM_RSRC3_GFX90A:TG_SPLIT: 0
	.section	.text._ZN5aiter35fused_qk_rmsnorm_group_quant_kernelItDB8_Li256ELi24ELi1ELb0ELb1ELb0ELb0ELb1ELb1EEEvPT0_PvPT_S6_S6_PKS5_S8_S8_S8_S8_ffiiiiiiiiiiiii,"axG",@progbits,_ZN5aiter35fused_qk_rmsnorm_group_quant_kernelItDB8_Li256ELi24ELi1ELb0ELb1ELb0ELb0ELb1ELb1EEEvPT0_PvPT_S6_S6_PKS5_S8_S8_S8_S8_ffiiiiiiiiiiiii,comdat
	.protected	_ZN5aiter35fused_qk_rmsnorm_group_quant_kernelItDB8_Li256ELi24ELi1ELb0ELb1ELb0ELb0ELb1ELb1EEEvPT0_PvPT_S6_S6_PKS5_S8_S8_S8_S8_ffiiiiiiiiiiiii ; -- Begin function _ZN5aiter35fused_qk_rmsnorm_group_quant_kernelItDB8_Li256ELi24ELi1ELb0ELb1ELb0ELb0ELb1ELb1EEEvPT0_PvPT_S6_S6_PKS5_S8_S8_S8_S8_ffiiiiiiiiiiiii
	.globl	_ZN5aiter35fused_qk_rmsnorm_group_quant_kernelItDB8_Li256ELi24ELi1ELb0ELb1ELb0ELb0ELb1ELb1EEEvPT0_PvPT_S6_S6_PKS5_S8_S8_S8_S8_ffiiiiiiiiiiiii
	.p2align	8
	.type	_ZN5aiter35fused_qk_rmsnorm_group_quant_kernelItDB8_Li256ELi24ELi1ELb0ELb1ELb0ELb0ELb1ELb1EEEvPT0_PvPT_S6_S6_PKS5_S8_S8_S8_S8_ffiiiiiiiiiiiii,@function
_ZN5aiter35fused_qk_rmsnorm_group_quant_kernelItDB8_Li256ELi24ELi1ELb0ELb1ELb0ELb0ELb1ELb1EEEvPT0_PvPT_S6_S6_PKS5_S8_S8_S8_S8_ffiiiiiiiiiiiii: ; @_ZN5aiter35fused_qk_rmsnorm_group_quant_kernelItDB8_Li256ELi24ELi1ELb0ELb1ELb0ELb0ELb1ELb1EEEvPT0_PvPT_S6_S6_PKS5_S8_S8_S8_S8_ffiiiiiiiiiiiii
; %bb.0:
	s_load_dwordx4 s[12:15], s[4:5], 0x50
	s_waitcnt lgkmcnt(0)
	s_cmp_ge_i32 s6, s14
	s_cbranch_scc1 .LBB76_12
; %bb.1:
	s_load_dwordx2 s[8:9], s[4:5], 0x48
	s_load_dwordx2 s[28:29], s[4:5], 0x30
	s_load_dwordx4 s[16:19], s[4:5], 0x60
	s_cmp_lg_u32 s7, 0
	s_cselect_b64 s[10:11], -1, 0
	s_cmp_eq_u32 s7, 0
	s_cselect_b64 vcc, -1, 0
	s_and_b64 s[0:1], vcc, exec
	s_waitcnt lgkmcnt(0)
	s_cselect_b32 s7, s15, s16
	s_add_i32 s0, s7, 1
	s_lshr_b32 s1, s0, 31
	s_add_i32 s0, s0, s1
	s_lshl_b32 s0, s0, 1
	v_and_b32_e32 v2, 0x3c0, v0
	s_and_b32 s22, s0, -4
	v_lshlrev_b32_e32 v1, 3, v0
	v_mul_u32_u24_e32 v2, 24, v2
	s_movk_i32 s0, 0x1f8
	v_and_or_b32 v1, v1, s0, v2
	v_cmp_gt_i32_e64 s[2:3], s7, v1
	v_mov_b32_e32 v26, 0
	v_mov_b32_e32 v10, 0
	;; [unrolled: 1-line block ×25, first 2 shown]
	s_and_saveexec_b64 s[0:1], s[2:3]
	s_cbranch_execz .LBB76_3
; %bb.2:
	s_load_dwordx2 s[20:21], s[4:5], 0x28
	s_load_dwordx2 s[26:27], s[4:5], 0x40
	s_and_b64 s[24:25], vcc, exec
	s_cselect_b32 s14, s17, s18
	s_mov_b32 s23, 0x20000
	s_waitcnt lgkmcnt(0)
	s_cselect_b32 s17, s21, s29
	s_cselect_b32 s19, s20, s28
	s_mul_hi_i32 s21, s14, s6
	s_mul_i32 s20, s14, s6
	s_lshl_b64 s[20:21], s[20:21], 1
	s_add_u32 s24, s19, s20
	s_addc_u32 s14, s17, s21
	s_and_b64 s[20:21], vcc, exec
	s_cselect_b32 s17, s27, s9
	s_cselect_b32 s20, s26, s8
	s_and_b32 s21, s17, 0xffff
	s_and_b32 s25, s14, 0xffff
	s_mov_b32 s26, s22
	s_mov_b32 s27, s23
	v_lshlrev_b32_e32 v27, 1, v1
	s_movk_i32 s17, 0x800
	s_movk_i32 s14, 0x400
	buffer_load_dwordx4 v[22:25], v27, s[24:27], 0 offen glc slc
	buffer_load_dwordx4 v[14:17], v27, s[24:27], s14 offen glc slc
	;; [unrolled: 1-line block ×3, first 2 shown]
	buffer_load_dwordx4 v[10:13], v27, s[20:23], 0 offen
	buffer_load_dwordx4 v[6:9], v27, s[20:23], s14 offen
	;; [unrolled: 1-line block ×3, first 2 shown]
.LBB76_3:
	s_or_b64 exec, exec, s[0:1]
	v_mov_b32_e32 v27, 0
	v_mov_b32_e32 v48, 0
	;; [unrolled: 1-line block ×23, first 2 shown]
	s_and_saveexec_b64 s[0:1], s[2:3]
	s_cbranch_execz .LBB76_5
; %bb.4:
	s_waitcnt vmcnt(5)
	v_cvt_f32_u32_sdwa v26, v22 dst_sel:DWORD dst_unused:UNUSED_PAD src0_sel:WORD_0
	v_cvt_f32_u32_sdwa v27, v22 dst_sel:DWORD dst_unused:UNUSED_PAD src0_sel:WORD_1
	v_cvt_f32_u32_sdwa v48, v23 dst_sel:DWORD dst_unused:UNUSED_PAD src0_sel:WORD_0
	v_cvt_f32_u32_sdwa v49, v23 dst_sel:DWORD dst_unused:UNUSED_PAD src0_sel:WORD_1
	v_cvt_f32_u32_sdwa v44, v24 dst_sel:DWORD dst_unused:UNUSED_PAD src0_sel:WORD_0
	v_cvt_f32_u32_sdwa v45, v24 dst_sel:DWORD dst_unused:UNUSED_PAD src0_sel:WORD_1
	v_cvt_f32_u32_sdwa v40, v25 dst_sel:DWORD dst_unused:UNUSED_PAD src0_sel:WORD_0
	v_cvt_f32_u32_sdwa v41, v25 dst_sel:DWORD dst_unused:UNUSED_PAD src0_sel:WORD_1
	s_waitcnt vmcnt(4)
	v_cvt_f32_u32_sdwa v46, v14 dst_sel:DWORD dst_unused:UNUSED_PAD src0_sel:WORD_0
	v_cvt_f32_u32_sdwa v47, v14 dst_sel:DWORD dst_unused:UNUSED_PAD src0_sel:WORD_1
	v_cvt_f32_u32_sdwa v42, v15 dst_sel:DWORD dst_unused:UNUSED_PAD src0_sel:WORD_0
	v_cvt_f32_u32_sdwa v43, v15 dst_sel:DWORD dst_unused:UNUSED_PAD src0_sel:WORD_1
	v_cvt_f32_u32_sdwa v36, v16 dst_sel:DWORD dst_unused:UNUSED_PAD src0_sel:WORD_0
	v_cvt_f32_u32_sdwa v37, v16 dst_sel:DWORD dst_unused:UNUSED_PAD src0_sel:WORD_1
	v_cvt_f32_u32_sdwa v32, v17 dst_sel:DWORD dst_unused:UNUSED_PAD src0_sel:WORD_0
	v_cvt_f32_u32_sdwa v33, v17 dst_sel:DWORD dst_unused:UNUSED_PAD src0_sel:WORD_1
	;; [unrolled: 9-line block ×3, first 2 shown]
.LBB76_5:
	s_or_b64 exec, exec, s[0:1]
	s_waitcnt vmcnt(4)
	v_mul_f32_e32 v14, v27, v27
	v_fmac_f32_e32 v14, v26, v26
	v_fmac_f32_e32 v14, v48, v48
	;; [unrolled: 1-line block ×23, first 2 shown]
	v_and_b32_e32 v16, 63, v0
	v_cmp_eq_u32_e64 s[0:1], 63, v16
	v_mov_b32_dpp v15, v14 quad_perm:[1,0,3,2] row_mask:0xf bank_mask:0xf
	v_add_f32_e32 v14, v14, v15
	s_nop 1
	v_mov_b32_dpp v15, v14 quad_perm:[2,3,0,1] row_mask:0xf bank_mask:0xf
	v_add_f32_e32 v14, v14, v15
	s_nop 1
	v_mov_b32_dpp v15, v14 row_half_mirror row_mask:0xf bank_mask:0xf
	v_add_f32_e32 v14, v14, v15
	s_nop 1
	v_mov_b32_dpp v15, v14 row_mirror row_mask:0xf bank_mask:0xf
	v_add_f32_e32 v14, v14, v15
	s_nop 1
	v_mov_b32_dpp v15, v14 row_bcast:15 row_mask:0xf bank_mask:0xf
	v_add_f32_e32 v14, v14, v15
	s_nop 1
	v_mov_b32_dpp v15, v14 row_bcast:31 row_mask:0xf bank_mask:0xf
	s_and_saveexec_b64 s[20:21], s[0:1]
	s_cbranch_execz .LBB76_7
; %bb.6:
	v_add_f32_e32 v14, v14, v15
	v_lshrrev_b32_e32 v15, 4, v0
	v_and_b32_e32 v15, 60, v15
	ds_write_b32 v15, v14 offset:32
.LBB76_7:
	s_or_b64 exec, exec, s[20:21]
	v_and_b32_e32 v14, 3, v0
	v_lshlrev_b32_e32 v50, 2, v14
	s_waitcnt lgkmcnt(0)
	s_barrier
	ds_read_b32 v14, v50 offset:32
	s_load_dwordx2 s[24:25], s[4:5], 0x18
	s_waitcnt lgkmcnt(0)
	v_mov_b32_dpp v15, v14 quad_perm:[1,0,3,2] row_mask:0xf bank_mask:0xf
	v_add_f32_e32 v14, v14, v15
	s_nop 1
	v_mov_b32_dpp v15, v14 quad_perm:[2,3,0,1] row_mask:0xf bank_mask:0xf
	s_and_saveexec_b64 s[20:21], s[2:3]
	s_cbranch_execz .LBB76_9
; %bb.8:
	v_cvt_f32_u32_e32 v16, s7
	v_add_f32_e32 v14, v14, v15
	s_waitcnt vmcnt(3)
	v_mov_b32_e32 v18, s13
	v_mov_b32_e32 v19, s12
	v_div_scale_f32 v15, s[26:27], v16, v16, v14
	v_rcp_f32_e32 v17, v15
	v_cndmask_b32_e32 v18, v18, v19, vcc
	s_mov_b32 s7, 0x800000
	v_fma_f32 v19, -v15, v17, 1.0
	v_fmac_f32_e32 v17, v19, v17
	v_div_scale_f32 v19, vcc, v14, v16, v14
	v_mul_f32_e32 v20, v19, v17
	v_fma_f32 v21, -v15, v20, v19
	v_fmac_f32_e32 v20, v21, v17
	v_fma_f32 v15, -v15, v20, v19
	v_div_fmas_f32 v15, v15, v17, v20
	v_div_fixup_f32 v14, v15, v16, v14
	v_add_f32_e32 v14, v18, v14
	v_mul_f32_e32 v15, 0x4b800000, v14
	v_cmp_gt_f32_e32 vcc, s7, v14
	v_cndmask_b32_e32 v14, v14, v15, vcc
	v_rsq_f32_e32 v14, v14
	v_mul_f32_e32 v15, 0x45800000, v14
	v_cndmask_b32_e32 v14, v14, v15, vcc
	v_mov_b32_e32 v15, v14
	;;#ASMSTART
	v_pk_mul_f32 v[16:17], v[26:27], v[14:15]
	;;#ASMEND
	;;#ASMSTART
	v_pk_mul_f32 v[18:19], v[48:49], v[14:15]
	;;#ASMEND
	;; [unrolled: 3-line block ×12, first 2 shown]
	s_waitcnt vmcnt(2)
	v_cvt_f32_u32_sdwa v27, v10 dst_sel:DWORD dst_unused:UNUSED_PAD src0_sel:WORD_1
	v_cvt_f32_u32_sdwa v26, v10 dst_sel:DWORD dst_unused:UNUSED_PAD src0_sel:WORD_0
	v_cvt_f32_u32_sdwa v29, v11 dst_sel:DWORD dst_unused:UNUSED_PAD src0_sel:WORD_1
	v_cvt_f32_u32_sdwa v28, v11 dst_sel:DWORD dst_unused:UNUSED_PAD src0_sel:WORD_0
	;; [unrolled: 2-line block ×4, first 2 shown]
	;;#ASMSTART
	v_pk_mul_f32 v[26:27], v[16:17], v[26:27]
	;;#ASMEND
	;;#ASMSTART
	v_pk_mul_f32 v[48:49], v[18:19], v[28:29]
	;;#ASMEND
	;; [unrolled: 3-line block ×3, first 2 shown]
	s_waitcnt vmcnt(1)
	v_cvt_f32_u32_sdwa v11, v6 dst_sel:DWORD dst_unused:UNUSED_PAD src0_sel:WORD_1
	v_cvt_f32_u32_sdwa v10, v6 dst_sel:DWORD dst_unused:UNUSED_PAD src0_sel:WORD_0
	v_cvt_f32_u32_sdwa v13, v7 dst_sel:DWORD dst_unused:UNUSED_PAD src0_sel:WORD_1
	v_cvt_f32_u32_sdwa v12, v7 dst_sel:DWORD dst_unused:UNUSED_PAD src0_sel:WORD_0
	;; [unrolled: 2-line block ×3, first 2 shown]
	;;#ASMSTART
	v_pk_mul_f32 v[40:41], v[22:23], v[40:41]
	;;#ASMEND
	v_cvt_f32_u32_sdwa v17, v9 dst_sel:DWORD dst_unused:UNUSED_PAD src0_sel:WORD_1
	v_cvt_f32_u32_sdwa v16, v9 dst_sel:DWORD dst_unused:UNUSED_PAD src0_sel:WORD_0
	;;#ASMSTART
	v_pk_mul_f32 v[46:47], v[24:25], v[10:11]
	;;#ASMEND
	;;#ASMSTART
	v_pk_mul_f32 v[42:43], v[42:43], v[12:13]
	;;#ASMEND
	;; [unrolled: 3-line block ×4, first 2 shown]
	s_waitcnt vmcnt(0)
	v_cvt_f32_u32_sdwa v7, v2 dst_sel:DWORD dst_unused:UNUSED_PAD src0_sel:WORD_1
	v_cvt_f32_u32_sdwa v6, v2 dst_sel:DWORD dst_unused:UNUSED_PAD src0_sel:WORD_0
	v_cvt_f32_u32_sdwa v9, v3 dst_sel:DWORD dst_unused:UNUSED_PAD src0_sel:WORD_1
	v_cvt_f32_u32_sdwa v8, v3 dst_sel:DWORD dst_unused:UNUSED_PAD src0_sel:WORD_0
	;; [unrolled: 2-line block ×4, first 2 shown]
	;;#ASMSTART
	v_pk_mul_f32 v[38:39], v[38:39], v[6:7]
	;;#ASMEND
	;;#ASMSTART
	v_pk_mul_f32 v[34:35], v[34:35], v[8:9]
	;;#ASMEND
	;; [unrolled: 3-line block ×4, first 2 shown]
.LBB76_9:
	s_or_b64 exec, exec, s[20:21]
	s_load_dwordx2 s[26:27], s[4:5], 0x7c
	s_mov_b64 s[20:21], -1
	s_and_b64 vcc, exec, s[10:11]
	s_cbranch_vccnz .LBB76_13
; %bb.10:
	s_andn2_b64 vcc, exec, s[20:21]
	s_cbranch_vccz .LBB76_16
.LBB76_11:
	s_cmp_lt_i32 s16, 1
	s_cbranch_scc0 .LBB76_27
.LBB76_12:
	s_endpgm
.LBB76_13:
	s_and_saveexec_b64 s[10:11], s[2:3]
	s_cbranch_execz .LBB76_15
; %bb.14:
	s_waitcnt lgkmcnt(0)
	s_mul_hi_i32 s21, s27, s6
	s_mul_i32 s20, s27, s6
	s_lshl_b64 s[20:21], s[20:21], 1
	s_add_u32 s20, s24, s20
	s_addc_u32 s7, s25, s21
	s_and_b32 s21, s7, 0xffff
	s_mov_b32 s7, 0x7060302
	s_mov_b32 s23, 0x20000
	s_waitcnt vmcnt(0)
	v_perm_b32 v5, v41, v40, s7
	v_perm_b32 v4, v45, v44, s7
	;; [unrolled: 1-line block ×4, first 2 shown]
	v_lshlrev_b32_e32 v6, 1, v1
	buffer_store_dwordx4 v[2:5], v6, s[20:23], 0 offen
	s_movk_i32 s12, 0x400
	v_perm_b32 v5, v33, v32, s7
	v_perm_b32 v4, v37, v36, s7
	;; [unrolled: 1-line block ×4, first 2 shown]
	;;#ASMSTART
	s_nop 0
	;;#ASMEND
	buffer_store_dwordx4 v[2:5], v6, s[20:23], s12 offen
	v_perm_b32 v5, v29, v28, s7
	v_perm_b32 v4, v31, v30, s7
	;; [unrolled: 1-line block ×4, first 2 shown]
	s_movk_i32 s7, 0x800
	;;#ASMSTART
	s_nop 0
	;;#ASMEND
	buffer_store_dwordx4 v[2:5], v6, s[20:23], s7 offen
	;;#ASMSTART
	s_nop 0
	;;#ASMEND
.LBB76_15:
	s_or_b64 exec, exec, s[10:11]
	s_cbranch_execnz .LBB76_11
.LBB76_16:
	s_waitcnt vmcnt(0)
	v_mov_b32_e32 v2, 0
	s_and_saveexec_b64 s[10:11], s[2:3]
	s_cbranch_execz .LBB76_18
; %bb.17:
	s_load_dwordx2 s[20:21], s[4:5], 0x10
	s_waitcnt lgkmcnt(0)
	s_mul_hi_i32 s31, s26, s6
	s_mul_i32 s30, s26, s6
	s_lshl_b64 s[30:31], s[30:31], 1
	s_mov_b32 s23, 0x20000
	s_add_u32 s20, s20, s30
	s_addc_u32 s7, s21, s31
	s_and_b32 s21, s7, 0xffff
	s_mov_b32 s7, 0x7060302
	v_perm_b32 v5, v41, v40, s7
	v_perm_b32 v4, v45, v44, s7
	;; [unrolled: 1-line block ×4, first 2 shown]
	v_lshlrev_b32_e32 v6, 1, v1
	buffer_store_dwordx4 v[2:5], v6, s[20:23], 0 offen
	s_movk_i32 s12, 0x400
	v_perm_b32 v5, v33, v32, s7
	v_perm_b32 v4, v37, v36, s7
	;; [unrolled: 1-line block ×4, first 2 shown]
	;;#ASMSTART
	s_nop 0
	;;#ASMEND
	buffer_store_dwordx4 v[2:5], v6, s[20:23], s12 offen
	v_perm_b32 v5, v29, v28, s7
	v_perm_b32 v4, v31, v30, s7
	;; [unrolled: 1-line block ×4, first 2 shown]
	s_movk_i32 s7, 0x800
	;;#ASMSTART
	s_nop 0
	;;#ASMEND
	buffer_store_dwordx4 v[2:5], v6, s[20:23], s7 offen
	v_mov_b32_e32 v2, 0x2edbe6ff
	;;#ASMSTART
	s_nop 0
	;;#ASMEND
.LBB76_18:
	s_or_b64 exec, exec, s[10:11]
	s_and_saveexec_b64 s[10:11], s[2:3]
	s_cbranch_execz .LBB76_20
; %bb.19:
	v_and_b32_e32 v3, 0x7fffffff, v26
	v_and_b32_e32 v4, 0x7fffffff, v27
	;;#ASMSTART
	v_max3_f32 v2, v2, v3, v4

	;;#ASMEND
	v_and_b32_e32 v3, 0x7fffffff, v48
	v_and_b32_e32 v4, 0x7fffffff, v49
	;;#ASMSTART
	v_max3_f32 v2, v2, v3, v4

	;;#ASMEND
	;; [unrolled: 6-line block ×12, first 2 shown]
.LBB76_20:
	s_or_b64 exec, exec, s[10:11]
	s_nop 0
	v_mov_b32_dpp v3, v2 quad_perm:[1,0,3,2] row_mask:0xf bank_mask:0xf
	v_cmp_gt_f32_e32 vcc, v2, v3
	v_cndmask_b32_e32 v2, v3, v2, vcc
	s_nop 1
	v_mov_b32_dpp v3, v2 quad_perm:[2,3,0,1] row_mask:0xf bank_mask:0xf
	v_cmp_gt_f32_e32 vcc, v2, v3
	v_cndmask_b32_e32 v2, v3, v2, vcc
	s_nop 1
	v_mov_b32_dpp v3, v2 row_half_mirror row_mask:0xf bank_mask:0xf
	v_cmp_gt_f32_e32 vcc, v2, v3
	v_cndmask_b32_e32 v2, v3, v2, vcc
	s_nop 1
	v_mov_b32_dpp v3, v2 row_mirror row_mask:0xf bank_mask:0xf
	v_cmp_gt_f32_e32 vcc, v2, v3
	v_cndmask_b32_e32 v2, v3, v2, vcc
	s_nop 1
	v_mov_b32_dpp v3, v2 row_bcast:15 row_mask:0xf bank_mask:0xf
	v_cmp_gt_f32_e32 vcc, v2, v3
	v_cndmask_b32_e32 v2, v3, v2, vcc
	s_nop 1
	v_mov_b32_dpp v3, v2 row_bcast:31 row_mask:0xf bank_mask:0xf
	s_and_saveexec_b64 s[10:11], s[0:1]
	s_cbranch_execz .LBB76_22
; %bb.21:
	v_cmp_gt_f32_e32 vcc, v2, v3
	v_cndmask_b32_e32 v2, v3, v2, vcc
	v_lshrrev_b32_e32 v3, 4, v0
	v_and_b32_e32 v3, 60, v3
	ds_write_b32 v3, v2
.LBB76_22:
	s_or_b64 exec, exec, s[10:11]
	s_waitcnt lgkmcnt(0)
	s_barrier
	ds_read_b32 v2, v50
	s_load_dwordx2 s[20:21], s[4:5], 0x70
	s_waitcnt lgkmcnt(0)
	v_mov_b32_dpp v3, v2 quad_perm:[1,0,3,2] row_mask:0xf bank_mask:0xf
	v_cmp_gt_f32_e32 vcc, v2, v3
	v_cndmask_b32_e32 v2, v3, v2, vcc
	s_nop 1
	v_mov_b32_dpp v3, v2 quad_perm:[2,3,0,1] row_mask:0xf bank_mask:0xf
	v_cmp_gt_f32_e32 vcc, v2, v3
	v_cndmask_b32_e32 v2, v3, v2, vcc
	v_mul_f32_e32 v2, 0x3b124925, v2
	v_cmp_eq_u32_e32 vcc, 0, v0
	s_and_saveexec_b64 s[10:11], vcc
	s_cbranch_execz .LBB76_24
; %bb.23:
	s_load_dwordx2 s[22:23], s[4:5], 0x8
	s_mul_hi_i32 s31, s21, s6
	s_mul_i32 s30, s21, s6
	s_lshl_b64 s[30:31], s[30:31], 2
	v_mov_b32_e32 v3, 0
	s_waitcnt lgkmcnt(0)
	s_add_u32 s22, s22, s30
	s_addc_u32 s23, s23, s31
	global_store_dword v3, v2, s[22:23]
.LBB76_24:
	s_or_b64 exec, exec, s[10:11]
	;;#ASMSTART
	v_rcp_f32 v2, v2
	;;#ASMEND
	s_and_saveexec_b64 s[10:11], s[2:3]
	s_cbranch_execz .LBB76_26
; %bb.25:
	s_load_dwordx2 s[2:3], s[4:5], 0x0
	s_mul_i32 s12, s20, s6
	s_mul_hi_i32 s7, s20, s6
	v_mov_b32_e32 v3, v2
	;;#ASMSTART
	v_pk_mul_f32 v[4:5], v[26:27], v[2:3]
	;;#ASMEND
	s_waitcnt lgkmcnt(0)
	s_add_u32 s20, s2, s12
	s_addc_u32 s2, s3, s7
	s_add_i32 s3, s15, 3
	s_ashr_i32 s7, s3, 31
	v_mov_b32_e32 v8, 0xc3e00000
	v_mov_b32_e32 v9, 0x43e00000
	;;#ASMSTART
	v_med3_f32 v4, v4, v8, v9
v_med3_f32 v5, v5, v8, v9
v_cvt_pk_fp8_f32 v6, v4, v5
	;;#ASMEND
	s_lshr_b32 s7, s7, 30
	;;#ASMSTART
	v_pk_mul_f32 v[4:5], v[48:49], v[2:3]
	;;#ASMEND
	s_add_i32 s3, s3, s7
	s_and_b32 s21, s2, 0xffff
	;;#ASMSTART
	v_med3_f32 v4, v4, v8, v9
v_med3_f32 v5, v5, v8, v9
v_cvt_pk_fp8_f32 v7, v4, v5
	;;#ASMEND
	s_mov_b32 s2, 0x5040100
	s_and_b32 s22, s3, -4
	v_perm_b32 v5, v7, v6, s2
	s_movk_i32 s3, 0xff
	v_and_b32_e32 v4, 0xffffff00, v7
	v_and_b32_sdwa v6, v5, s3 dst_sel:DWORD dst_unused:UNUSED_PAD src0_sel:WORD_1 src1_sel:DWORD
	s_mov_b32 s14, 0xffff
	v_or_b32_sdwa v4, v6, v4 dst_sel:WORD_1 dst_unused:UNUSED_PAD src0_sel:DWORD src1_sel:DWORD
	v_and_or_b32 v4, v5, s14, v4
	;;#ASMSTART
	v_pk_mul_f32 v[6:7], v[44:45], v[2:3]
	;;#ASMEND
	v_mov_b32_e32 v5, v7
	;;#ASMSTART
	v_med3_f32 v6, v6, v8, v9
v_med3_f32 v5, v5, v8, v9
v_cvt_pk_fp8_f32 v10, v6, v5
	;;#ASMEND
	;;#ASMSTART
	v_pk_mul_f32 v[6:7], v[40:41], v[2:3]
	;;#ASMEND
	v_mov_b32_e32 v5, v7
	;;#ASMSTART
	v_med3_f32 v6, v6, v8, v9
v_med3_f32 v5, v5, v8, v9
v_cvt_pk_fp8_f32 v7, v6, v5
	;;#ASMEND
	v_lshlrev_b32_e32 v5, 16, v7
	s_mov_b32 s23, 0x20000
	v_and_or_b32 v5, v10, s14, v5
	buffer_store_dwordx2 v[4:5], v1, s[20:23], 0 offen
	;;#ASMSTART
	s_nop 0
	;;#ASMEND
	;;#ASMSTART
	v_pk_mul_f32 v[4:5], v[46:47], v[2:3]
	;;#ASMEND
	;;#ASMSTART
	v_med3_f32 v4, v4, v8, v9
v_med3_f32 v5, v5, v8, v9
v_cvt_pk_fp8_f32 v6, v4, v5
	;;#ASMEND
	;;#ASMSTART
	v_pk_mul_f32 v[4:5], v[42:43], v[2:3]
	;;#ASMEND
	;;#ASMSTART
	v_med3_f32 v4, v4, v8, v9
v_med3_f32 v5, v5, v8, v9
v_cvt_pk_fp8_f32 v7, v4, v5
	;;#ASMEND
	v_perm_b32 v5, v7, v6, s2
	v_and_b32_e32 v4, 0xffffff00, v7
	v_and_b32_sdwa v6, v5, s3 dst_sel:DWORD dst_unused:UNUSED_PAD src0_sel:WORD_1 src1_sel:DWORD
	v_or_b32_sdwa v4, v6, v4 dst_sel:WORD_1 dst_unused:UNUSED_PAD src0_sel:DWORD src1_sel:DWORD
	v_and_or_b32 v4, v5, s14, v4
	;;#ASMSTART
	v_pk_mul_f32 v[6:7], v[36:37], v[2:3]
	;;#ASMEND
	v_mov_b32_e32 v5, v7
	;;#ASMSTART
	v_med3_f32 v6, v6, v8, v9
v_med3_f32 v5, v5, v8, v9
v_cvt_pk_fp8_f32 v10, v6, v5
	;;#ASMEND
	;;#ASMSTART
	v_pk_mul_f32 v[6:7], v[32:33], v[2:3]
	;;#ASMEND
	v_mov_b32_e32 v5, v7
	;;#ASMSTART
	v_med3_f32 v6, v6, v8, v9
v_med3_f32 v5, v5, v8, v9
v_cvt_pk_fp8_f32 v7, v6, v5
	;;#ASMEND
	v_lshlrev_b32_e32 v5, 16, v7
	v_and_or_b32 v5, v10, s14, v5
	s_movk_i32 s7, 0x200
	buffer_store_dwordx2 v[4:5], v1, s[20:23], s7 offen
	;;#ASMSTART
	s_nop 0
	;;#ASMEND
	;;#ASMSTART
	v_pk_mul_f32 v[4:5], v[38:39], v[2:3]
	;;#ASMEND
	;;#ASMSTART
	v_med3_f32 v4, v4, v8, v9
v_med3_f32 v5, v5, v8, v9
v_cvt_pk_fp8_f32 v6, v4, v5
	;;#ASMEND
	;;#ASMSTART
	v_pk_mul_f32 v[4:5], v[34:35], v[2:3]
	;;#ASMEND
	;;#ASMSTART
	v_med3_f32 v4, v4, v8, v9
v_med3_f32 v5, v5, v8, v9
v_cvt_pk_fp8_f32 v7, v4, v5
	;;#ASMEND
	v_perm_b32 v5, v7, v6, s2
	v_and_b32_e32 v4, 0xffffff00, v7
	v_and_b32_sdwa v6, v5, s3 dst_sel:DWORD dst_unused:UNUSED_PAD src0_sel:WORD_1 src1_sel:DWORD
	v_or_b32_sdwa v4, v6, v4 dst_sel:WORD_1 dst_unused:UNUSED_PAD src0_sel:DWORD src1_sel:DWORD
	v_and_or_b32 v4, v5, s14, v4
	;;#ASMSTART
	v_pk_mul_f32 v[6:7], v[30:31], v[2:3]
	;;#ASMEND
	v_mov_b32_e32 v5, v7
	;;#ASMSTART
	v_med3_f32 v6, v6, v8, v9
v_med3_f32 v5, v5, v8, v9
v_cvt_pk_fp8_f32 v7, v6, v5
	;;#ASMEND
	;;#ASMSTART
	v_pk_mul_f32 v[2:3], v[28:29], v[2:3]
	;;#ASMEND
	;;#ASMSTART
	v_med3_f32 v2, v2, v8, v9
v_med3_f32 v3, v3, v8, v9
v_cvt_pk_fp8_f32 v5, v2, v3
	;;#ASMEND
	v_lshlrev_b32_e32 v2, 16, v5
	v_and_or_b32 v5, v7, s14, v2
	s_movk_i32 s2, 0x400
	buffer_store_dwordx2 v[4:5], v1, s[20:23], s2 offen
	;;#ASMSTART
	s_nop 0
	;;#ASMEND
.LBB76_26:
	s_or_b64 exec, exec, s[10:11]
	s_cmp_lt_i32 s16, 1
	s_cbranch_scc1 .LBB76_12
.LBB76_27:
	s_load_dword s2, s[4:5], 0x94
	s_waitcnt lgkmcnt(0)
	s_cmp_lg_u32 s2, 1
	s_cbranch_scc1 .LBB76_12
; %bb.28:
	s_lshl_b32 s2, s16, 1
	s_add_i32 s2, s2, 2
	v_cmp_gt_u32_e32 vcc, s16, v1
	s_and_b32 s10, s2, -4
	v_mov_b32_e32 v26, 0
	v_lshlrev_b32_e32 v1, 1, v1
	v_mov_b32_e32 v22, 0
	v_mov_b32_e32 v23, 0
	;; [unrolled: 1-line block ×8, first 2 shown]
	s_waitcnt vmcnt(3)
	v_mov_b32_e32 v18, 0
	v_mov_b32_e32 v19, 0
	v_mov_b32_e32 v20, 0
	v_mov_b32_e32 v21, 0
	s_waitcnt vmcnt(2)
	v_mov_b32_e32 v10, 0
	v_mov_b32_e32 v11, 0
	v_mov_b32_e32 v12, 0
	v_mov_b32_e32 v13, 0
	;; [unrolled: 5-line block ×4, first 2 shown]
	s_barrier
	s_and_saveexec_b64 s[2:3], vcc
	s_cbranch_execz .LBB76_30
; %bb.29:
	s_mul_hi_i32 s5, s18, s6
	s_mul_i32 s4, s18, s6
	s_and_b32 s9, s9, 0xffff
	s_lshl_b64 s[4:5], s[4:5], 1
	s_add_u32 s20, s28, s4
	s_mov_b32 s11, 0x20000
	s_addc_u32 s4, s29, s5
	s_and_b32 s21, s4, 0xffff
	s_mov_b32 s22, s10
	s_mov_b32 s23, s11
	s_movk_i32 s5, 0x800
	s_movk_i32 s4, 0x400
	buffer_load_dwordx4 v[22:25], v1, s[20:23], 0 offen glc slc
	buffer_load_dwordx4 v[14:17], v1, s[20:23], s4 offen glc slc
	;; [unrolled: 1-line block ×3, first 2 shown]
	buffer_load_dwordx4 v[10:13], v1, s[8:11], 0 offen
	buffer_load_dwordx4 v[6:9], v1, s[8:11], s4 offen
	;; [unrolled: 1-line block ×3, first 2 shown]
.LBB76_30:
	s_or_b64 exec, exec, s[2:3]
	v_mov_b32_e32 v27, 0
	v_mov_b32_e32 v48, 0
	;; [unrolled: 1-line block ×23, first 2 shown]
	s_and_saveexec_b64 s[2:3], vcc
	s_cbranch_execz .LBB76_32
; %bb.31:
	s_waitcnt vmcnt(5)
	v_cvt_f32_u32_sdwa v26, v22 dst_sel:DWORD dst_unused:UNUSED_PAD src0_sel:WORD_0
	v_cvt_f32_u32_sdwa v27, v22 dst_sel:DWORD dst_unused:UNUSED_PAD src0_sel:WORD_1
	v_cvt_f32_u32_sdwa v48, v23 dst_sel:DWORD dst_unused:UNUSED_PAD src0_sel:WORD_0
	v_cvt_f32_u32_sdwa v49, v23 dst_sel:DWORD dst_unused:UNUSED_PAD src0_sel:WORD_1
	v_cvt_f32_u32_sdwa v46, v24 dst_sel:DWORD dst_unused:UNUSED_PAD src0_sel:WORD_0
	v_cvt_f32_u32_sdwa v47, v24 dst_sel:DWORD dst_unused:UNUSED_PAD src0_sel:WORD_1
	v_cvt_f32_u32_sdwa v44, v25 dst_sel:DWORD dst_unused:UNUSED_PAD src0_sel:WORD_0
	v_cvt_f32_u32_sdwa v45, v25 dst_sel:DWORD dst_unused:UNUSED_PAD src0_sel:WORD_1
	s_waitcnt vmcnt(4)
	v_cvt_f32_u32_sdwa v42, v14 dst_sel:DWORD dst_unused:UNUSED_PAD src0_sel:WORD_0
	v_cvt_f32_u32_sdwa v43, v14 dst_sel:DWORD dst_unused:UNUSED_PAD src0_sel:WORD_1
	v_cvt_f32_u32_sdwa v40, v15 dst_sel:DWORD dst_unused:UNUSED_PAD src0_sel:WORD_0
	v_cvt_f32_u32_sdwa v41, v15 dst_sel:DWORD dst_unused:UNUSED_PAD src0_sel:WORD_1
	v_cvt_f32_u32_sdwa v38, v16 dst_sel:DWORD dst_unused:UNUSED_PAD src0_sel:WORD_0
	v_cvt_f32_u32_sdwa v39, v16 dst_sel:DWORD dst_unused:UNUSED_PAD src0_sel:WORD_1
	v_cvt_f32_u32_sdwa v36, v17 dst_sel:DWORD dst_unused:UNUSED_PAD src0_sel:WORD_0
	v_cvt_f32_u32_sdwa v37, v17 dst_sel:DWORD dst_unused:UNUSED_PAD src0_sel:WORD_1
	s_waitcnt vmcnt(3)
	v_cvt_f32_u32_sdwa v34, v18 dst_sel:DWORD dst_unused:UNUSED_PAD src0_sel:WORD_0
	v_cvt_f32_u32_sdwa v35, v18 dst_sel:DWORD dst_unused:UNUSED_PAD src0_sel:WORD_1
	v_cvt_f32_u32_sdwa v32, v19 dst_sel:DWORD dst_unused:UNUSED_PAD src0_sel:WORD_0
	v_cvt_f32_u32_sdwa v33, v19 dst_sel:DWORD dst_unused:UNUSED_PAD src0_sel:WORD_1
	v_cvt_f32_u32_sdwa v30, v20 dst_sel:DWORD dst_unused:UNUSED_PAD src0_sel:WORD_0
	v_cvt_f32_u32_sdwa v31, v20 dst_sel:DWORD dst_unused:UNUSED_PAD src0_sel:WORD_1
	v_cvt_f32_u32_sdwa v28, v21 dst_sel:DWORD dst_unused:UNUSED_PAD src0_sel:WORD_0
	v_cvt_f32_u32_sdwa v29, v21 dst_sel:DWORD dst_unused:UNUSED_PAD src0_sel:WORD_1
.LBB76_32:
	s_or_b64 exec, exec, s[2:3]
	s_waitcnt vmcnt(4)
	v_mul_f32_e32 v14, v27, v27
	v_fmac_f32_e32 v14, v26, v26
	v_fmac_f32_e32 v14, v48, v48
	;; [unrolled: 1-line block ×23, first 2 shown]
	s_nop 1
	v_mov_b32_dpp v15, v14 quad_perm:[1,0,3,2] row_mask:0xf bank_mask:0xf
	v_add_f32_e32 v14, v14, v15
	s_nop 1
	v_mov_b32_dpp v15, v14 quad_perm:[2,3,0,1] row_mask:0xf bank_mask:0xf
	v_add_f32_e32 v14, v14, v15
	s_nop 1
	v_mov_b32_dpp v15, v14 row_half_mirror row_mask:0xf bank_mask:0xf
	v_add_f32_e32 v14, v14, v15
	s_nop 1
	v_mov_b32_dpp v15, v14 row_mirror row_mask:0xf bank_mask:0xf
	v_add_f32_e32 v14, v14, v15
	s_nop 1
	v_mov_b32_dpp v15, v14 row_bcast:15 row_mask:0xf bank_mask:0xf
	v_add_f32_e32 v14, v14, v15
	s_nop 1
	v_mov_b32_dpp v15, v14 row_bcast:31 row_mask:0xf bank_mask:0xf
	s_and_saveexec_b64 s[2:3], s[0:1]
	s_cbranch_execz .LBB76_34
; %bb.33:
	v_lshrrev_b32_e32 v0, 4, v0
	v_add_f32_e32 v14, v14, v15
	v_and_b32_e32 v0, 60, v0
	ds_write_b32 v0, v14 offset:16
.LBB76_34:
	s_or_b64 exec, exec, s[2:3]
	s_waitcnt lgkmcnt(0)
	s_barrier
	ds_read_b32 v0, v50 offset:16
	s_waitcnt lgkmcnt(0)
	s_nop 0
	v_mov_b32_dpp v14, v0 quad_perm:[1,0,3,2] row_mask:0xf bank_mask:0xf
	v_add_f32_e32 v0, v0, v14
	s_nop 1
	v_mov_b32_dpp v14, v0 quad_perm:[2,3,0,1] row_mask:0xf bank_mask:0xf
	s_and_saveexec_b64 s[0:1], vcc
	s_cbranch_execz .LBB76_12
; %bb.35:
	v_cvt_f32_u32_e32 v15, s16
	v_add_f32_e32 v0, v0, v14
	s_mov_b32 s11, 0x20000
	v_div_scale_f32 v14, s[0:1], v15, v15, v0
	v_rcp_f32_e32 v16, v14
	v_div_scale_f32 v17, vcc, v0, v15, v0
	s_mov_b32 s0, 0x800000
	s_waitcnt vmcnt(3)
	v_fma_f32 v18, -v14, v16, 1.0
	v_fmac_f32_e32 v16, v18, v16
	v_mul_f32_e32 v18, v17, v16
	v_fma_f32 v19, -v14, v18, v17
	v_fmac_f32_e32 v18, v19, v16
	v_fma_f32 v14, -v14, v18, v17
	v_div_fmas_f32 v14, v14, v16, v18
	v_div_fixup_f32 v0, v14, v15, v0
	v_add_f32_e32 v0, s13, v0
	v_mul_f32_e32 v14, 0x4b800000, v0
	v_cmp_gt_f32_e32 vcc, s0, v0
	v_cndmask_b32_e32 v0, v0, v14, vcc
	v_rsq_f32_e32 v0, v0
	s_mul_hi_i32 s1, s27, s6
	s_mul_i32 s0, s27, s6
	s_lshl_b64 s[0:1], s[0:1], 1
	v_mul_f32_e32 v14, 0x45800000, v0
	v_cndmask_b32_e32 v14, v0, v14, vcc
	v_mov_b32_e32 v15, v14
	;;#ASMSTART
	v_pk_mul_f32 v[16:17], v[26:27], v[14:15]
	;;#ASMEND
	;;#ASMSTART
	v_pk_mul_f32 v[18:19], v[48:49], v[14:15]
	;;#ASMEND
	;; [unrolled: 3-line block ×12, first 2 shown]
	s_waitcnt vmcnt(2)
	v_cvt_f32_u32_sdwa v29, v10 dst_sel:DWORD dst_unused:UNUSED_PAD src0_sel:WORD_1
	v_cvt_f32_u32_sdwa v28, v10 dst_sel:DWORD dst_unused:UNUSED_PAD src0_sel:WORD_0
	v_cvt_f32_u32_sdwa v41, v11 dst_sel:DWORD dst_unused:UNUSED_PAD src0_sel:WORD_1
	v_cvt_f32_u32_sdwa v40, v11 dst_sel:DWORD dst_unused:UNUSED_PAD src0_sel:WORD_0
	;; [unrolled: 2-line block ×3, first 2 shown]
	s_add_u32 s8, s24, s0
	v_cvt_f32_u32_sdwa v43, v13 dst_sel:DWORD dst_unused:UNUSED_PAD src0_sel:WORD_1
	v_cvt_f32_u32_sdwa v42, v13 dst_sel:DWORD dst_unused:UNUSED_PAD src0_sel:WORD_0
	;;#ASMSTART
	v_pk_mul_f32 v[12:13], v[16:17], v[28:29]
	;;#ASMEND
	;;#ASMSTART
	v_pk_mul_f32 v[16:17], v[18:19], v[40:41]
	;;#ASMEND
	;; [unrolled: 3-line block ×3, first 2 shown]
	s_waitcnt vmcnt(1)
	v_cvt_f32_u32_sdwa v21, v6 dst_sel:DWORD dst_unused:UNUSED_PAD src0_sel:WORD_1
	v_cvt_f32_u32_sdwa v20, v6 dst_sel:DWORD dst_unused:UNUSED_PAD src0_sel:WORD_0
	s_addc_u32 s0, s25, s1
	;;#ASMSTART
	v_pk_mul_f32 v[18:19], v[22:23], v[42:43]
	;;#ASMEND
	v_cvt_f32_u32_sdwa v23, v7 dst_sel:DWORD dst_unused:UNUSED_PAD src0_sel:WORD_1
	v_cvt_f32_u32_sdwa v22, v7 dst_sel:DWORD dst_unused:UNUSED_PAD src0_sel:WORD_0
	v_cvt_f32_u32_sdwa v7, v8 dst_sel:DWORD dst_unused:UNUSED_PAD src0_sel:WORD_1
	v_cvt_f32_u32_sdwa v6, v8 dst_sel:DWORD dst_unused:UNUSED_PAD src0_sel:WORD_0
	;; [unrolled: 2-line block ×3, first 2 shown]
	;;#ASMSTART
	v_pk_mul_f32 v[8:9], v[24:25], v[20:21]
	;;#ASMEND
	;;#ASMSTART
	v_pk_mul_f32 v[20:21], v[26:27], v[22:23]
	;;#ASMEND
	s_waitcnt vmcnt(0)
	v_cvt_f32_u32_sdwa v25, v2 dst_sel:DWORD dst_unused:UNUSED_PAD src0_sel:WORD_1
	v_cvt_f32_u32_sdwa v24, v2 dst_sel:DWORD dst_unused:UNUSED_PAD src0_sel:WORD_0
	v_cvt_f32_u32_sdwa v27, v3 dst_sel:DWORD dst_unused:UNUSED_PAD src0_sel:WORD_1
	v_cvt_f32_u32_sdwa v26, v3 dst_sel:DWORD dst_unused:UNUSED_PAD src0_sel:WORD_0
	;; [unrolled: 2-line block ×3, first 2 shown]
	s_and_b32 s9, s0, 0xffff
	s_mov_b32 s0, 0x7060302
	;;#ASMSTART
	v_pk_mul_f32 v[6:7], v[38:39], v[6:7]
	;;#ASMEND
	;;#ASMSTART
	v_pk_mul_f32 v[22:23], v[36:37], v[28:29]
	;;#ASMEND
	v_cvt_f32_u32_sdwa v29, v5 dst_sel:DWORD dst_unused:UNUSED_PAD src0_sel:WORD_1
	v_cvt_f32_u32_sdwa v28, v5 dst_sel:DWORD dst_unused:UNUSED_PAD src0_sel:WORD_0
	;;#ASMSTART
	v_pk_mul_f32 v[24:25], v[34:35], v[24:25]
	;;#ASMEND
	;;#ASMSTART
	v_pk_mul_f32 v[26:27], v[32:33], v[26:27]
	;;#ASMEND
	;; [unrolled: 3-line block ×3, first 2 shown]
	v_perm_b32 v2, v13, v12, s0
	v_perm_b32 v3, v17, v16, s0
	;; [unrolled: 1-line block ×4, first 2 shown]
	;;#ASMSTART
	v_pk_mul_f32 v[14:15], v[14:15], v[28:29]
	;;#ASMEND
	buffer_store_dwordx4 v[2:5], v1, s[8:11], 0 offen
	s_movk_i32 s1, 0x400
	v_perm_b32 v2, v9, v8, s0
	v_perm_b32 v3, v21, v20, s0
	;; [unrolled: 1-line block ×4, first 2 shown]
	;;#ASMSTART
	s_nop 0
	;;#ASMEND
	buffer_store_dwordx4 v[2:5], v1, s[8:11], s1 offen
	v_perm_b32 v2, v25, v24, s0
	v_perm_b32 v3, v27, v26, s0
	;; [unrolled: 1-line block ×4, first 2 shown]
	s_movk_i32 s0, 0x800
	;;#ASMSTART
	s_nop 0
	;;#ASMEND
	buffer_store_dwordx4 v[2:5], v1, s[8:11], s0 offen
	;;#ASMSTART
	s_nop 0
	;;#ASMEND
	s_endpgm
	.section	.rodata,"a",@progbits
	.p2align	6, 0x0
	.amdhsa_kernel _ZN5aiter35fused_qk_rmsnorm_group_quant_kernelItDB8_Li256ELi24ELi1ELb0ELb1ELb0ELb0ELb1ELb1EEEvPT0_PvPT_S6_S6_PKS5_S8_S8_S8_S8_ffiiiiiiiiiiiii
		.amdhsa_group_segment_fixed_size 48
		.amdhsa_private_segment_fixed_size 0
		.amdhsa_kernarg_size 400
		.amdhsa_user_sgpr_count 6
		.amdhsa_user_sgpr_private_segment_buffer 1
		.amdhsa_user_sgpr_dispatch_ptr 0
		.amdhsa_user_sgpr_queue_ptr 0
		.amdhsa_user_sgpr_kernarg_segment_ptr 1
		.amdhsa_user_sgpr_dispatch_id 0
		.amdhsa_user_sgpr_flat_scratch_init 0
		.amdhsa_user_sgpr_kernarg_preload_length 0
		.amdhsa_user_sgpr_kernarg_preload_offset 0
		.amdhsa_user_sgpr_private_segment_size 0
		.amdhsa_uses_dynamic_stack 0
		.amdhsa_system_sgpr_private_segment_wavefront_offset 0
		.amdhsa_system_sgpr_workgroup_id_x 1
		.amdhsa_system_sgpr_workgroup_id_y 1
		.amdhsa_system_sgpr_workgroup_id_z 0
		.amdhsa_system_sgpr_workgroup_info 0
		.amdhsa_system_vgpr_workitem_id 0
		.amdhsa_next_free_vgpr 51
		.amdhsa_next_free_sgpr 32
		.amdhsa_accum_offset 52
		.amdhsa_reserve_vcc 1
		.amdhsa_reserve_flat_scratch 0
		.amdhsa_float_round_mode_32 0
		.amdhsa_float_round_mode_16_64 0
		.amdhsa_float_denorm_mode_32 3
		.amdhsa_float_denorm_mode_16_64 3
		.amdhsa_dx10_clamp 1
		.amdhsa_ieee_mode 1
		.amdhsa_fp16_overflow 0
		.amdhsa_tg_split 0
		.amdhsa_exception_fp_ieee_invalid_op 0
		.amdhsa_exception_fp_denorm_src 0
		.amdhsa_exception_fp_ieee_div_zero 0
		.amdhsa_exception_fp_ieee_overflow 0
		.amdhsa_exception_fp_ieee_underflow 0
		.amdhsa_exception_fp_ieee_inexact 0
		.amdhsa_exception_int_div_zero 0
	.end_amdhsa_kernel
	.section	.text._ZN5aiter35fused_qk_rmsnorm_group_quant_kernelItDB8_Li256ELi24ELi1ELb0ELb1ELb0ELb0ELb1ELb1EEEvPT0_PvPT_S6_S6_PKS5_S8_S8_S8_S8_ffiiiiiiiiiiiii,"axG",@progbits,_ZN5aiter35fused_qk_rmsnorm_group_quant_kernelItDB8_Li256ELi24ELi1ELb0ELb1ELb0ELb0ELb1ELb1EEEvPT0_PvPT_S6_S6_PKS5_S8_S8_S8_S8_ffiiiiiiiiiiiii,comdat
.Lfunc_end76:
	.size	_ZN5aiter35fused_qk_rmsnorm_group_quant_kernelItDB8_Li256ELi24ELi1ELb0ELb1ELb0ELb0ELb1ELb1EEEvPT0_PvPT_S6_S6_PKS5_S8_S8_S8_S8_ffiiiiiiiiiiiii, .Lfunc_end76-_ZN5aiter35fused_qk_rmsnorm_group_quant_kernelItDB8_Li256ELi24ELi1ELb0ELb1ELb0ELb0ELb1ELb1EEEvPT0_PvPT_S6_S6_PKS5_S8_S8_S8_S8_ffiiiiiiiiiiiii
                                        ; -- End function
	.section	.AMDGPU.csdata,"",@progbits
; Kernel info:
; codeLenInByte = 4980
; NumSgprs: 36
; NumVgprs: 51
; NumAgprs: 0
; TotalNumVgprs: 51
; ScratchSize: 0
; MemoryBound: 0
; FloatMode: 240
; IeeeMode: 1
; LDSByteSize: 48 bytes/workgroup (compile time only)
; SGPRBlocks: 4
; VGPRBlocks: 6
; NumSGPRsForWavesPerEU: 36
; NumVGPRsForWavesPerEU: 51
; AccumOffset: 52
; Occupancy: 8
; WaveLimiterHint : 0
; COMPUTE_PGM_RSRC2:SCRATCH_EN: 0
; COMPUTE_PGM_RSRC2:USER_SGPR: 6
; COMPUTE_PGM_RSRC2:TRAP_HANDLER: 0
; COMPUTE_PGM_RSRC2:TGID_X_EN: 1
; COMPUTE_PGM_RSRC2:TGID_Y_EN: 1
; COMPUTE_PGM_RSRC2:TGID_Z_EN: 0
; COMPUTE_PGM_RSRC2:TIDIG_COMP_CNT: 0
; COMPUTE_PGM_RSRC3_GFX90A:ACCUM_OFFSET: 12
; COMPUTE_PGM_RSRC3_GFX90A:TG_SPLIT: 0
	.section	.text._ZN5aiter35fused_qk_rmsnorm_group_quant_kernelIDF16_DB8_Li256ELi24ELi1ELb0ELb0ELb1ELb0ELb1ELb1EEEvPT0_PvPT_S6_S6_PKS5_S8_S8_S8_S8_ffiiiiiiiiiiiii,"axG",@progbits,_ZN5aiter35fused_qk_rmsnorm_group_quant_kernelIDF16_DB8_Li256ELi24ELi1ELb0ELb0ELb1ELb0ELb1ELb1EEEvPT0_PvPT_S6_S6_PKS5_S8_S8_S8_S8_ffiiiiiiiiiiiii,comdat
	.protected	_ZN5aiter35fused_qk_rmsnorm_group_quant_kernelIDF16_DB8_Li256ELi24ELi1ELb0ELb0ELb1ELb0ELb1ELb1EEEvPT0_PvPT_S6_S6_PKS5_S8_S8_S8_S8_ffiiiiiiiiiiiii ; -- Begin function _ZN5aiter35fused_qk_rmsnorm_group_quant_kernelIDF16_DB8_Li256ELi24ELi1ELb0ELb0ELb1ELb0ELb1ELb1EEEvPT0_PvPT_S6_S6_PKS5_S8_S8_S8_S8_ffiiiiiiiiiiiii
	.globl	_ZN5aiter35fused_qk_rmsnorm_group_quant_kernelIDF16_DB8_Li256ELi24ELi1ELb0ELb0ELb1ELb0ELb1ELb1EEEvPT0_PvPT_S6_S6_PKS5_S8_S8_S8_S8_ffiiiiiiiiiiiii
	.p2align	8
	.type	_ZN5aiter35fused_qk_rmsnorm_group_quant_kernelIDF16_DB8_Li256ELi24ELi1ELb0ELb0ELb1ELb0ELb1ELb1EEEvPT0_PvPT_S6_S6_PKS5_S8_S8_S8_S8_ffiiiiiiiiiiiii,@function
_ZN5aiter35fused_qk_rmsnorm_group_quant_kernelIDF16_DB8_Li256ELi24ELi1ELb0ELb0ELb1ELb0ELb1ELb1EEEvPT0_PvPT_S6_S6_PKS5_S8_S8_S8_S8_ffiiiiiiiiiiiii: ; @_ZN5aiter35fused_qk_rmsnorm_group_quant_kernelIDF16_DB8_Li256ELi24ELi1ELb0ELb0ELb1ELb0ELb1ELb1EEEvPT0_PvPT_S6_S6_PKS5_S8_S8_S8_S8_ffiiiiiiiiiiiii
; %bb.0:
	s_load_dwordx4 s[12:15], s[4:5], 0x50
	s_waitcnt lgkmcnt(0)
	s_cmp_ge_i32 s6, s14
	s_cbranch_scc1 .LBB77_12
; %bb.1:
	s_load_dwordx2 s[8:9], s[4:5], 0x48
	s_load_dwordx2 s[28:29], s[4:5], 0x30
	s_load_dwordx4 s[16:19], s[4:5], 0x60
	s_cmp_lg_u32 s7, 0
	s_cselect_b64 s[10:11], -1, 0
	s_cmp_eq_u32 s7, 0
	s_cselect_b64 vcc, -1, 0
	s_and_b64 s[0:1], vcc, exec
	s_waitcnt lgkmcnt(0)
	s_cselect_b32 s7, s15, s16
	s_add_i32 s0, s7, 1
	s_lshr_b32 s1, s0, 31
	s_add_i32 s0, s0, s1
	s_lshl_b32 s0, s0, 1
	v_and_b32_e32 v2, 0x3c0, v0
	s_and_b32 s22, s0, -4
	v_lshlrev_b32_e32 v1, 3, v0
	v_mul_u32_u24_e32 v2, 24, v2
	s_movk_i32 s0, 0x1f8
	v_and_or_b32 v1, v1, s0, v2
	v_cmp_gt_i32_e64 s[2:3], s7, v1
	v_mov_b32_e32 v26, 0
	v_mov_b32_e32 v10, 0
	;; [unrolled: 1-line block ×25, first 2 shown]
	s_and_saveexec_b64 s[0:1], s[2:3]
	s_cbranch_execz .LBB77_3
; %bb.2:
	s_load_dwordx2 s[20:21], s[4:5], 0x28
	s_load_dwordx2 s[26:27], s[4:5], 0x40
	s_and_b64 s[24:25], vcc, exec
	s_cselect_b32 s14, s17, s18
	s_mov_b32 s23, 0x20000
	s_waitcnt lgkmcnt(0)
	s_cselect_b32 s17, s21, s29
	s_cselect_b32 s19, s20, s28
	s_mul_hi_i32 s21, s14, s6
	s_mul_i32 s20, s14, s6
	s_lshl_b64 s[20:21], s[20:21], 1
	s_add_u32 s24, s19, s20
	s_addc_u32 s14, s17, s21
	s_and_b64 s[20:21], vcc, exec
	s_cselect_b32 s17, s27, s9
	s_cselect_b32 s20, s26, s8
	s_and_b32 s21, s17, 0xffff
	s_and_b32 s25, s14, 0xffff
	s_mov_b32 s26, s22
	s_mov_b32 s27, s23
	v_lshlrev_b32_e32 v27, 1, v1
	s_movk_i32 s17, 0x800
	s_movk_i32 s14, 0x400
	buffer_load_dwordx4 v[22:25], v27, s[24:27], 0 offen glc slc
	buffer_load_dwordx4 v[14:17], v27, s[24:27], s14 offen glc slc
	;; [unrolled: 1-line block ×3, first 2 shown]
	buffer_load_dwordx4 v[10:13], v27, s[20:23], 0 offen
	buffer_load_dwordx4 v[6:9], v27, s[20:23], s14 offen
	;; [unrolled: 1-line block ×3, first 2 shown]
.LBB77_3:
	s_or_b64 exec, exec, s[0:1]
	v_mov_b32_e32 v27, 0
	v_mov_b32_e32 v48, 0
	;; [unrolled: 1-line block ×23, first 2 shown]
	s_and_saveexec_b64 s[0:1], s[2:3]
	s_cbranch_execz .LBB77_5
; %bb.4:
	s_waitcnt vmcnt(5)
	v_cvt_f32_f16_sdwa v27, v22 dst_sel:DWORD dst_unused:UNUSED_PAD src0_sel:WORD_1
	v_cvt_f32_f16_e32 v26, v22
	v_cvt_f32_f16_sdwa v49, v23 dst_sel:DWORD dst_unused:UNUSED_PAD src0_sel:WORD_1
	v_cvt_f32_f16_e32 v48, v23
	v_cvt_f32_f16_sdwa v45, v24 dst_sel:DWORD dst_unused:UNUSED_PAD src0_sel:WORD_1
	v_cvt_f32_f16_e32 v44, v24
	v_cvt_f32_f16_sdwa v47, v25 dst_sel:DWORD dst_unused:UNUSED_PAD src0_sel:WORD_1
	v_cvt_f32_f16_e32 v46, v25
	s_waitcnt vmcnt(4)
	v_cvt_f32_f16_sdwa v39, v14 dst_sel:DWORD dst_unused:UNUSED_PAD src0_sel:WORD_1
	v_cvt_f32_f16_e32 v38, v14
	v_cvt_f32_f16_sdwa v43, v15 dst_sel:DWORD dst_unused:UNUSED_PAD src0_sel:WORD_1
	v_cvt_f32_f16_e32 v42, v15
	v_cvt_f32_f16_sdwa v37, v16 dst_sel:DWORD dst_unused:UNUSED_PAD src0_sel:WORD_1
	v_cvt_f32_f16_e32 v36, v16
	v_cvt_f32_f16_sdwa v41, v17 dst_sel:DWORD dst_unused:UNUSED_PAD src0_sel:WORD_1
	v_cvt_f32_f16_e32 v40, v17
	;; [unrolled: 9-line block ×3, first 2 shown]
.LBB77_5:
	s_or_b64 exec, exec, s[0:1]
	s_waitcnt vmcnt(4)
	v_mul_f32_e32 v14, v27, v27
	v_fmac_f32_e32 v14, v26, v26
	v_fmac_f32_e32 v14, v48, v48
	v_fmac_f32_e32 v14, v49, v49
	v_fmac_f32_e32 v14, v44, v44
	v_fmac_f32_e32 v14, v45, v45
	v_fmac_f32_e32 v14, v46, v46
	v_fmac_f32_e32 v14, v47, v47
	v_fmac_f32_e32 v14, v38, v38
	v_fmac_f32_e32 v14, v39, v39
	v_fmac_f32_e32 v14, v42, v42
	v_fmac_f32_e32 v14, v43, v43
	v_fmac_f32_e32 v14, v36, v36
	v_fmac_f32_e32 v14, v37, v37
	v_fmac_f32_e32 v14, v40, v40
	v_fmac_f32_e32 v14, v41, v41
	v_fmac_f32_e32 v14, v32, v32
	v_fmac_f32_e32 v14, v33, v33
	v_fmac_f32_e32 v14, v34, v34
	v_fmac_f32_e32 v14, v35, v35
	v_fmac_f32_e32 v14, v30, v30
	v_fmac_f32_e32 v14, v31, v31
	v_fmac_f32_e32 v14, v28, v28
	v_fmac_f32_e32 v14, v29, v29
	v_and_b32_e32 v16, 63, v0
	v_cmp_eq_u32_e64 s[0:1], 63, v16
	v_mov_b32_dpp v15, v14 quad_perm:[1,0,3,2] row_mask:0xf bank_mask:0xf
	v_add_f32_e32 v14, v14, v15
	s_nop 1
	v_mov_b32_dpp v15, v14 quad_perm:[2,3,0,1] row_mask:0xf bank_mask:0xf
	v_add_f32_e32 v14, v14, v15
	s_nop 1
	v_mov_b32_dpp v15, v14 row_half_mirror row_mask:0xf bank_mask:0xf
	v_add_f32_e32 v14, v14, v15
	s_nop 1
	v_mov_b32_dpp v15, v14 row_mirror row_mask:0xf bank_mask:0xf
	v_add_f32_e32 v14, v14, v15
	s_nop 1
	v_mov_b32_dpp v15, v14 row_bcast:15 row_mask:0xf bank_mask:0xf
	v_add_f32_e32 v14, v14, v15
	s_nop 1
	v_mov_b32_dpp v15, v14 row_bcast:31 row_mask:0xf bank_mask:0xf
	s_and_saveexec_b64 s[20:21], s[0:1]
	s_cbranch_execz .LBB77_7
; %bb.6:
	v_add_f32_e32 v14, v14, v15
	v_lshrrev_b32_e32 v15, 4, v0
	v_and_b32_e32 v15, 60, v15
	ds_write_b32 v15, v14 offset:32
.LBB77_7:
	s_or_b64 exec, exec, s[20:21]
	v_and_b32_e32 v14, 3, v0
	v_lshlrev_b32_e32 v50, 2, v14
	s_waitcnt lgkmcnt(0)
	s_barrier
	ds_read_b32 v14, v50 offset:32
	s_load_dwordx2 s[24:25], s[4:5], 0x18
	s_waitcnt lgkmcnt(0)
	v_mov_b32_dpp v15, v14 quad_perm:[1,0,3,2] row_mask:0xf bank_mask:0xf
	v_add_f32_e32 v14, v14, v15
	s_nop 1
	v_mov_b32_dpp v15, v14 quad_perm:[2,3,0,1] row_mask:0xf bank_mask:0xf
	s_and_saveexec_b64 s[20:21], s[2:3]
	s_cbranch_execz .LBB77_9
; %bb.8:
	v_cvt_f32_u32_e32 v16, s7
	v_add_f32_e32 v14, v14, v15
	s_waitcnt vmcnt(3)
	v_mov_b32_e32 v18, s13
	v_mov_b32_e32 v19, s12
	v_div_scale_f32 v15, s[26:27], v16, v16, v14
	v_rcp_f32_e32 v17, v15
	v_cndmask_b32_e32 v18, v18, v19, vcc
	s_mov_b32 s7, 0x800000
	v_fma_f32 v19, -v15, v17, 1.0
	v_fmac_f32_e32 v17, v19, v17
	v_div_scale_f32 v19, vcc, v14, v16, v14
	v_mul_f32_e32 v20, v19, v17
	v_fma_f32 v21, -v15, v20, v19
	v_fmac_f32_e32 v20, v21, v17
	v_fma_f32 v15, -v15, v20, v19
	v_div_fmas_f32 v15, v15, v17, v20
	v_div_fixup_f32 v14, v15, v16, v14
	v_add_f32_e32 v14, v18, v14
	v_mul_f32_e32 v15, 0x4b800000, v14
	v_cmp_gt_f32_e32 vcc, s7, v14
	v_cndmask_b32_e32 v14, v14, v15, vcc
	v_rsq_f32_e32 v14, v14
	v_mul_f32_e32 v15, 0x45800000, v14
	v_cndmask_b32_e32 v14, v14, v15, vcc
	v_mov_b32_e32 v15, v14
	;;#ASMSTART
	v_pk_mul_f32 v[16:17], v[26:27], v[14:15]
	;;#ASMEND
	s_waitcnt vmcnt(2)
	v_cvt_f32_f16_sdwa v27, v10 dst_sel:DWORD dst_unused:UNUSED_PAD src0_sel:WORD_1
	v_cvt_f32_f16_e32 v26, v10
	;;#ASMSTART
	v_pk_mul_f32 v[18:19], v[48:49], v[14:15]
	;;#ASMEND
	;;#ASMSTART
	v_pk_mul_f32 v[20:21], v[44:45], v[14:15]
	;;#ASMEND
	;; [unrolled: 3-line block ×4, first 2 shown]
	v_cvt_f32_f16_sdwa v39, v11 dst_sel:DWORD dst_unused:UNUSED_PAD src0_sel:WORD_1
	v_cvt_f32_f16_e32 v38, v11
	;;#ASMSTART
	v_pk_mul_f32 v[42:43], v[42:43], v[14:15]
	;;#ASMEND
	;;#ASMSTART
	v_pk_mul_f32 v[36:37], v[36:37], v[14:15]
	;;#ASMEND
	;; [unrolled: 3-line block ×7, first 2 shown]
	v_pk_add_f32 v[14:15], v[26:27], 1.0 op_sel_hi:[1,0]
	;;#ASMSTART
	v_pk_mul_f32 v[26:27], v[16:17], v[14:15]
	;;#ASMEND
	v_cvt_f32_f16_sdwa v17, v12 dst_sel:DWORD dst_unused:UNUSED_PAD src0_sel:WORD_1
	v_cvt_f32_f16_e32 v16, v12
	v_cvt_f32_f16_sdwa v29, v13 dst_sel:DWORD dst_unused:UNUSED_PAD src0_sel:WORD_1
	v_cvt_f32_f16_e32 v28, v13
	v_pk_add_f32 v[14:15], v[38:39], 1.0 op_sel_hi:[1,0]
	;;#ASMSTART
	v_pk_mul_f32 v[48:49], v[18:19], v[14:15]
	;;#ASMEND
	s_waitcnt vmcnt(1)
	v_cvt_f32_f16_sdwa v15, v6 dst_sel:DWORD dst_unused:UNUSED_PAD src0_sel:WORD_1
	v_cvt_f32_f16_e32 v14, v6
	v_pk_add_f32 v[12:13], v[16:17], 1.0 op_sel_hi:[1,0]
	;;#ASMSTART
	v_pk_mul_f32 v[44:45], v[20:21], v[12:13]
	;;#ASMEND
	v_pk_add_f32 v[12:13], v[28:29], 1.0 op_sel_hi:[1,0]
	v_cvt_f32_f16_sdwa v17, v7 dst_sel:DWORD dst_unused:UNUSED_PAD src0_sel:WORD_1
	v_cvt_f32_f16_e32 v16, v7
	;;#ASMSTART
	v_pk_mul_f32 v[46:47], v[22:23], v[12:13]
	;;#ASMEND
	v_cvt_f32_f16_sdwa v13, v8 dst_sel:DWORD dst_unused:UNUSED_PAD src0_sel:WORD_1
	v_cvt_f32_f16_e32 v12, v8
	v_pk_add_f32 v[6:7], v[14:15], 1.0 op_sel_hi:[1,0]
	v_cvt_f32_f16_sdwa v15, v9 dst_sel:DWORD dst_unused:UNUSED_PAD src0_sel:WORD_1
	v_cvt_f32_f16_e32 v14, v9
	;;#ASMSTART
	v_pk_mul_f32 v[38:39], v[24:25], v[6:7]
	;;#ASMEND
	v_pk_add_f32 v[6:7], v[16:17], 1.0 op_sel_hi:[1,0]
	s_waitcnt vmcnt(0)
	v_cvt_f32_f16_sdwa v9, v2 dst_sel:DWORD dst_unused:UNUSED_PAD src0_sel:WORD_1
	v_cvt_f32_f16_e32 v8, v2
	;;#ASMSTART
	v_pk_mul_f32 v[42:43], v[42:43], v[6:7]
	;;#ASMEND
	v_pk_add_f32 v[6:7], v[12:13], 1.0 op_sel_hi:[1,0]
	;;#ASMSTART
	v_pk_mul_f32 v[36:37], v[36:37], v[6:7]
	;;#ASMEND
	v_pk_add_f32 v[6:7], v[14:15], 1.0 op_sel_hi:[1,0]
	v_cvt_f32_f16_sdwa v13, v3 dst_sel:DWORD dst_unused:UNUSED_PAD src0_sel:WORD_1
	v_cvt_f32_f16_e32 v12, v3
	;;#ASMSTART
	v_pk_mul_f32 v[40:41], v[40:41], v[6:7]
	;;#ASMEND
	v_cvt_f32_f16_sdwa v7, v4 dst_sel:DWORD dst_unused:UNUSED_PAD src0_sel:WORD_1
	v_cvt_f32_f16_e32 v6, v4
	v_pk_add_f32 v[2:3], v[8:9], 1.0 op_sel_hi:[1,0]
	v_cvt_f32_f16_sdwa v9, v5 dst_sel:DWORD dst_unused:UNUSED_PAD src0_sel:WORD_1
	v_cvt_f32_f16_e32 v8, v5
	;;#ASMSTART
	v_pk_mul_f32 v[32:33], v[32:33], v[2:3]
	;;#ASMEND
	v_pk_add_f32 v[2:3], v[12:13], 1.0 op_sel_hi:[1,0]
	;;#ASMSTART
	v_pk_mul_f32 v[34:35], v[34:35], v[2:3]
	;;#ASMEND
	v_pk_add_f32 v[2:3], v[6:7], 1.0 op_sel_hi:[1,0]
	;; [unrolled: 4-line block ×3, first 2 shown]
	;;#ASMSTART
	v_pk_mul_f32 v[28:29], v[10:11], v[2:3]
	;;#ASMEND
.LBB77_9:
	s_or_b64 exec, exec, s[20:21]
	s_load_dword s7, s[4:5], 0x80
	s_mov_b64 s[20:21], -1
	s_and_b64 vcc, exec, s[10:11]
	s_cbranch_vccnz .LBB77_13
; %bb.10:
	s_andn2_b64 vcc, exec, s[20:21]
	s_cbranch_vccz .LBB77_16
.LBB77_11:
	s_cmp_lt_i32 s16, 1
	s_cbranch_scc0 .LBB77_25
.LBB77_12:
	s_endpgm
.LBB77_13:
	s_and_saveexec_b64 s[10:11], s[2:3]
	s_cbranch_execz .LBB77_15
; %bb.14:
	s_waitcnt lgkmcnt(0)
	s_mul_hi_i32 s21, s7, s6
	s_mul_i32 s20, s7, s6
	s_waitcnt vmcnt(0)
	v_cvt_f16_f32_e32 v2, v26
	v_cvt_f16_f32_e32 v3, v48
	;; [unrolled: 1-line block ×8, first 2 shown]
	s_lshl_b64 s[20:21], s[20:21], 1
	s_add_u32 s20, s24, s20
	s_addc_u32 s12, s25, s21
	s_and_b32 s21, s12, 0xffff
	s_mov_b32 s23, 0x20000
	v_pack_b32_f16 v5, v5, v6
	v_pack_b32_f16 v4, v4, v7
	;; [unrolled: 1-line block ×4, first 2 shown]
	v_lshlrev_b32_e32 v6, 1, v1
	buffer_store_dwordx4 v[2:5], v6, s[20:23], 0 offen
	v_cvt_f16_f32_e32 v7, v41
	v_cvt_f16_f32_e32 v2, v38
	;; [unrolled: 1-line block ×8, first 2 shown]
	v_pack_b32_f16 v5, v5, v7
	v_pack_b32_f16 v4, v4, v8
	;; [unrolled: 1-line block ×4, first 2 shown]
	s_movk_i32 s12, 0x400
	;;#ASMSTART
	s_nop 0
	;;#ASMEND
	buffer_store_dwordx4 v[2:5], v6, s[20:23], s12 offen
	v_cvt_f16_f32_e32 v2, v32
	v_cvt_f16_f32_e32 v3, v34
	;; [unrolled: 1-line block ×8, first 2 shown]
	v_pack_b32_f16 v5, v5, v7
	v_pack_b32_f16 v4, v4, v8
	;; [unrolled: 1-line block ×4, first 2 shown]
	s_movk_i32 s12, 0x800
	;;#ASMSTART
	s_nop 0
	;;#ASMEND
	buffer_store_dwordx4 v[2:5], v6, s[20:23], s12 offen
	;;#ASMSTART
	s_nop 0
	;;#ASMEND
.LBB77_15:
	s_or_b64 exec, exec, s[10:11]
	s_cbranch_execnz .LBB77_11
.LBB77_16:
	s_waitcnt vmcnt(0)
	v_mov_b32_e32 v2, 0
	s_and_saveexec_b64 s[10:11], s[2:3]
	s_cbranch_execz .LBB77_18
; %bb.17:
	v_and_b32_e32 v2, 0x7fffffff, v26
	v_and_b32_e32 v3, 0x7fffffff, v27
	v_mov_b32_e32 v4, 0x2edbe6ff
	;;#ASMSTART
	v_max3_f32 v2, v4, v2, v3

	;;#ASMEND
	v_and_b32_e32 v3, 0x7fffffff, v48
	v_and_b32_e32 v4, 0x7fffffff, v49
	;;#ASMSTART
	v_max3_f32 v2, v2, v3, v4

	;;#ASMEND
	v_and_b32_e32 v3, 0x7fffffff, v44
	v_and_b32_e32 v4, 0x7fffffff, v45
	;; [unrolled: 6-line block ×11, first 2 shown]
	;;#ASMSTART
	v_max3_f32 v2, v2, v3, v4

	;;#ASMEND
.LBB77_18:
	s_or_b64 exec, exec, s[10:11]
	s_nop 0
	v_mov_b32_dpp v3, v2 quad_perm:[1,0,3,2] row_mask:0xf bank_mask:0xf
	v_cmp_gt_f32_e32 vcc, v2, v3
	v_cndmask_b32_e32 v2, v3, v2, vcc
	s_nop 1
	v_mov_b32_dpp v3, v2 quad_perm:[2,3,0,1] row_mask:0xf bank_mask:0xf
	v_cmp_gt_f32_e32 vcc, v2, v3
	v_cndmask_b32_e32 v2, v3, v2, vcc
	s_nop 1
	v_mov_b32_dpp v3, v2 row_half_mirror row_mask:0xf bank_mask:0xf
	v_cmp_gt_f32_e32 vcc, v2, v3
	v_cndmask_b32_e32 v2, v3, v2, vcc
	s_nop 1
	v_mov_b32_dpp v3, v2 row_mirror row_mask:0xf bank_mask:0xf
	v_cmp_gt_f32_e32 vcc, v2, v3
	v_cndmask_b32_e32 v2, v3, v2, vcc
	s_nop 1
	v_mov_b32_dpp v3, v2 row_bcast:15 row_mask:0xf bank_mask:0xf
	v_cmp_gt_f32_e32 vcc, v2, v3
	v_cndmask_b32_e32 v2, v3, v2, vcc
	s_nop 1
	v_mov_b32_dpp v3, v2 row_bcast:31 row_mask:0xf bank_mask:0xf
	s_and_saveexec_b64 s[10:11], s[0:1]
	s_cbranch_execz .LBB77_20
; %bb.19:
	v_cmp_gt_f32_e32 vcc, v2, v3
	v_cndmask_b32_e32 v2, v3, v2, vcc
	v_lshrrev_b32_e32 v3, 4, v0
	v_and_b32_e32 v3, 60, v3
	ds_write_b32 v3, v2
.LBB77_20:
	s_or_b64 exec, exec, s[10:11]
	s_waitcnt lgkmcnt(0)
	s_barrier
	ds_read_b32 v2, v50
	s_load_dwordx2 s[20:21], s[4:5], 0x70
	s_waitcnt lgkmcnt(0)
	v_mov_b32_dpp v3, v2 quad_perm:[1,0,3,2] row_mask:0xf bank_mask:0xf
	v_cmp_gt_f32_e32 vcc, v2, v3
	v_cndmask_b32_e32 v2, v3, v2, vcc
	s_nop 1
	v_mov_b32_dpp v3, v2 quad_perm:[2,3,0,1] row_mask:0xf bank_mask:0xf
	v_cmp_gt_f32_e32 vcc, v2, v3
	v_cndmask_b32_e32 v2, v3, v2, vcc
	v_mul_f32_e32 v2, 0x3b124925, v2
	v_cmp_eq_u32_e32 vcc, 0, v0
	s_and_saveexec_b64 s[10:11], vcc
	s_cbranch_execz .LBB77_22
; %bb.21:
	s_load_dwordx2 s[22:23], s[4:5], 0x8
	s_mul_hi_i32 s27, s21, s6
	s_mul_i32 s26, s21, s6
	s_lshl_b64 s[26:27], s[26:27], 2
	v_mov_b32_e32 v3, 0
	s_waitcnt lgkmcnt(0)
	s_add_u32 s22, s22, s26
	s_addc_u32 s23, s23, s27
	global_store_dword v3, v2, s[22:23]
.LBB77_22:
	s_or_b64 exec, exec, s[10:11]
	;;#ASMSTART
	v_rcp_f32 v2, v2
	;;#ASMEND
	s_and_saveexec_b64 s[10:11], s[2:3]
	s_cbranch_execz .LBB77_24
; %bb.23:
	s_load_dwordx2 s[2:3], s[4:5], 0x0
	s_mul_i32 s14, s20, s6
	s_mul_hi_i32 s12, s20, s6
	v_mov_b32_e32 v3, v2
	;;#ASMSTART
	v_pk_mul_f32 v[4:5], v[26:27], v[2:3]
	;;#ASMEND
	s_waitcnt lgkmcnt(0)
	s_add_u32 s20, s2, s14
	s_addc_u32 s2, s3, s12
	s_add_i32 s3, s15, 3
	s_ashr_i32 s12, s3, 31
	v_mov_b32_e32 v8, 0xc3e00000
	v_mov_b32_e32 v9, 0x43e00000
	;;#ASMSTART
	v_med3_f32 v4, v4, v8, v9
v_med3_f32 v5, v5, v8, v9
v_cvt_pk_fp8_f32 v6, v4, v5
	;;#ASMEND
	s_lshr_b32 s12, s12, 30
	;;#ASMSTART
	v_pk_mul_f32 v[4:5], v[48:49], v[2:3]
	;;#ASMEND
	s_add_i32 s3, s3, s12
	s_and_b32 s21, s2, 0xffff
	;;#ASMSTART
	v_med3_f32 v4, v4, v8, v9
v_med3_f32 v5, v5, v8, v9
v_cvt_pk_fp8_f32 v7, v4, v5
	;;#ASMEND
	s_mov_b32 s2, 0x5040100
	s_and_b32 s22, s3, -4
	v_perm_b32 v5, v7, v6, s2
	s_movk_i32 s3, 0xff
	v_and_b32_e32 v4, 0xffffff00, v7
	v_and_b32_sdwa v6, v5, s3 dst_sel:DWORD dst_unused:UNUSED_PAD src0_sel:WORD_1 src1_sel:DWORD
	s_mov_b32 s17, 0xffff
	v_or_b32_sdwa v4, v6, v4 dst_sel:WORD_1 dst_unused:UNUSED_PAD src0_sel:DWORD src1_sel:DWORD
	v_and_or_b32 v4, v5, s17, v4
	;;#ASMSTART
	v_pk_mul_f32 v[6:7], v[44:45], v[2:3]
	;;#ASMEND
	v_mov_b32_e32 v5, v7
	;;#ASMSTART
	v_med3_f32 v6, v6, v8, v9
v_med3_f32 v5, v5, v8, v9
v_cvt_pk_fp8_f32 v10, v6, v5
	;;#ASMEND
	;;#ASMSTART
	v_pk_mul_f32 v[6:7], v[46:47], v[2:3]
	;;#ASMEND
	v_mov_b32_e32 v5, v7
	;;#ASMSTART
	v_med3_f32 v6, v6, v8, v9
v_med3_f32 v5, v5, v8, v9
v_cvt_pk_fp8_f32 v7, v6, v5
	;;#ASMEND
	v_lshlrev_b32_e32 v5, 16, v7
	s_mov_b32 s23, 0x20000
	v_and_or_b32 v5, v10, s17, v5
	buffer_store_dwordx2 v[4:5], v1, s[20:23], 0 offen
	;;#ASMSTART
	s_nop 0
	;;#ASMEND
	;;#ASMSTART
	v_pk_mul_f32 v[4:5], v[38:39], v[2:3]
	;;#ASMEND
	;;#ASMSTART
	v_med3_f32 v4, v4, v8, v9
v_med3_f32 v5, v5, v8, v9
v_cvt_pk_fp8_f32 v6, v4, v5
	;;#ASMEND
	;;#ASMSTART
	v_pk_mul_f32 v[4:5], v[42:43], v[2:3]
	;;#ASMEND
	;;#ASMSTART
	v_med3_f32 v4, v4, v8, v9
v_med3_f32 v5, v5, v8, v9
v_cvt_pk_fp8_f32 v7, v4, v5
	;;#ASMEND
	v_perm_b32 v5, v7, v6, s2
	v_and_b32_e32 v4, 0xffffff00, v7
	v_and_b32_sdwa v6, v5, s3 dst_sel:DWORD dst_unused:UNUSED_PAD src0_sel:WORD_1 src1_sel:DWORD
	v_or_b32_sdwa v4, v6, v4 dst_sel:WORD_1 dst_unused:UNUSED_PAD src0_sel:DWORD src1_sel:DWORD
	v_and_or_b32 v4, v5, s17, v4
	;;#ASMSTART
	v_pk_mul_f32 v[6:7], v[36:37], v[2:3]
	;;#ASMEND
	v_mov_b32_e32 v5, v7
	;;#ASMSTART
	v_med3_f32 v6, v6, v8, v9
v_med3_f32 v5, v5, v8, v9
v_cvt_pk_fp8_f32 v10, v6, v5
	;;#ASMEND
	;;#ASMSTART
	v_pk_mul_f32 v[6:7], v[40:41], v[2:3]
	;;#ASMEND
	v_mov_b32_e32 v5, v7
	;;#ASMSTART
	v_med3_f32 v6, v6, v8, v9
v_med3_f32 v5, v5, v8, v9
v_cvt_pk_fp8_f32 v7, v6, v5
	;;#ASMEND
	v_lshlrev_b32_e32 v5, 16, v7
	v_and_or_b32 v5, v10, s17, v5
	s_movk_i32 s12, 0x200
	buffer_store_dwordx2 v[4:5], v1, s[20:23], s12 offen
	;;#ASMSTART
	s_nop 0
	;;#ASMEND
	;;#ASMSTART
	v_pk_mul_f32 v[4:5], v[32:33], v[2:3]
	;;#ASMEND
	;;#ASMSTART
	v_med3_f32 v4, v4, v8, v9
v_med3_f32 v5, v5, v8, v9
v_cvt_pk_fp8_f32 v6, v4, v5
	;;#ASMEND
	;;#ASMSTART
	v_pk_mul_f32 v[4:5], v[34:35], v[2:3]
	;;#ASMEND
	;;#ASMSTART
	v_med3_f32 v4, v4, v8, v9
v_med3_f32 v5, v5, v8, v9
v_cvt_pk_fp8_f32 v7, v4, v5
	;;#ASMEND
	v_perm_b32 v5, v7, v6, s2
	v_and_b32_e32 v4, 0xffffff00, v7
	v_and_b32_sdwa v6, v5, s3 dst_sel:DWORD dst_unused:UNUSED_PAD src0_sel:WORD_1 src1_sel:DWORD
	v_or_b32_sdwa v4, v6, v4 dst_sel:WORD_1 dst_unused:UNUSED_PAD src0_sel:DWORD src1_sel:DWORD
	v_and_or_b32 v4, v5, s17, v4
	;;#ASMSTART
	v_pk_mul_f32 v[6:7], v[30:31], v[2:3]
	;;#ASMEND
	v_mov_b32_e32 v5, v7
	;;#ASMSTART
	v_med3_f32 v6, v6, v8, v9
v_med3_f32 v5, v5, v8, v9
v_cvt_pk_fp8_f32 v7, v6, v5
	;;#ASMEND
	;;#ASMSTART
	v_pk_mul_f32 v[2:3], v[28:29], v[2:3]
	;;#ASMEND
	;;#ASMSTART
	v_med3_f32 v2, v2, v8, v9
v_med3_f32 v3, v3, v8, v9
v_cvt_pk_fp8_f32 v5, v2, v3
	;;#ASMEND
	v_lshlrev_b32_e32 v2, 16, v5
	v_and_or_b32 v5, v7, s17, v2
	s_movk_i32 s2, 0x400
	buffer_store_dwordx2 v[4:5], v1, s[20:23], s2 offen
	;;#ASMSTART
	s_nop 0
	;;#ASMEND
.LBB77_24:
	s_or_b64 exec, exec, s[10:11]
	s_cmp_lt_i32 s16, 1
	s_cbranch_scc1 .LBB77_12
.LBB77_25:
	s_load_dword s2, s[4:5], 0x94
	s_waitcnt lgkmcnt(0)
	s_cmp_lg_u32 s2, 1
	s_cbranch_scc1 .LBB77_12
; %bb.26:
	s_lshl_b32 s2, s16, 1
	s_add_i32 s2, s2, 2
	v_cmp_gt_u32_e32 vcc, s16, v1
	s_and_b32 s10, s2, -4
	v_mov_b32_e32 v26, 0
	v_lshlrev_b32_e32 v1, 1, v1
	v_mov_b32_e32 v22, 0
	v_mov_b32_e32 v23, 0
	;; [unrolled: 1-line block ×8, first 2 shown]
	s_waitcnt vmcnt(3)
	v_mov_b32_e32 v18, 0
	v_mov_b32_e32 v19, 0
	v_mov_b32_e32 v20, 0
	v_mov_b32_e32 v21, 0
	s_waitcnt vmcnt(2)
	v_mov_b32_e32 v10, 0
	v_mov_b32_e32 v11, 0
	v_mov_b32_e32 v12, 0
	v_mov_b32_e32 v13, 0
	;; [unrolled: 5-line block ×4, first 2 shown]
	s_barrier
	s_and_saveexec_b64 s[2:3], vcc
	s_cbranch_execz .LBB77_28
; %bb.27:
	s_mul_hi_i32 s5, s18, s6
	s_mul_i32 s4, s18, s6
	s_and_b32 s9, s9, 0xffff
	s_lshl_b64 s[4:5], s[4:5], 1
	s_add_u32 s20, s28, s4
	s_mov_b32 s11, 0x20000
	s_addc_u32 s4, s29, s5
	s_and_b32 s21, s4, 0xffff
	s_mov_b32 s22, s10
	s_mov_b32 s23, s11
	s_movk_i32 s5, 0x800
	s_movk_i32 s4, 0x400
	buffer_load_dwordx4 v[22:25], v1, s[20:23], 0 offen glc slc
	buffer_load_dwordx4 v[14:17], v1, s[20:23], s4 offen glc slc
	;; [unrolled: 1-line block ×3, first 2 shown]
	buffer_load_dwordx4 v[10:13], v1, s[8:11], 0 offen
	buffer_load_dwordx4 v[6:9], v1, s[8:11], s4 offen
	;; [unrolled: 1-line block ×3, first 2 shown]
.LBB77_28:
	s_or_b64 exec, exec, s[2:3]
	v_mov_b32_e32 v27, 0
	v_mov_b32_e32 v48, 0
	;; [unrolled: 1-line block ×23, first 2 shown]
	s_and_saveexec_b64 s[2:3], vcc
	s_cbranch_execz .LBB77_30
; %bb.29:
	s_waitcnt vmcnt(5)
	v_cvt_f32_f16_sdwa v27, v22 dst_sel:DWORD dst_unused:UNUSED_PAD src0_sel:WORD_1
	v_cvt_f32_f16_e32 v26, v22
	v_cvt_f32_f16_sdwa v49, v23 dst_sel:DWORD dst_unused:UNUSED_PAD src0_sel:WORD_1
	v_cvt_f32_f16_e32 v48, v23
	v_cvt_f32_f16_sdwa v47, v24 dst_sel:DWORD dst_unused:UNUSED_PAD src0_sel:WORD_1
	v_cvt_f32_f16_e32 v46, v24
	v_cvt_f32_f16_sdwa v45, v25 dst_sel:DWORD dst_unused:UNUSED_PAD src0_sel:WORD_1
	v_cvt_f32_f16_e32 v44, v25
	s_waitcnt vmcnt(4)
	v_cvt_f32_f16_sdwa v43, v14 dst_sel:DWORD dst_unused:UNUSED_PAD src0_sel:WORD_1
	v_cvt_f32_f16_e32 v42, v14
	v_cvt_f32_f16_sdwa v41, v15 dst_sel:DWORD dst_unused:UNUSED_PAD src0_sel:WORD_1
	v_cvt_f32_f16_e32 v40, v15
	v_cvt_f32_f16_sdwa v39, v16 dst_sel:DWORD dst_unused:UNUSED_PAD src0_sel:WORD_1
	v_cvt_f32_f16_e32 v38, v16
	v_cvt_f32_f16_sdwa v37, v17 dst_sel:DWORD dst_unused:UNUSED_PAD src0_sel:WORD_1
	v_cvt_f32_f16_e32 v36, v17
	;; [unrolled: 9-line block ×3, first 2 shown]
.LBB77_30:
	s_or_b64 exec, exec, s[2:3]
	s_waitcnt vmcnt(4)
	v_mul_f32_e32 v14, v27, v27
	v_fmac_f32_e32 v14, v26, v26
	v_fmac_f32_e32 v14, v48, v48
	;; [unrolled: 1-line block ×23, first 2 shown]
	s_nop 1
	v_mov_b32_dpp v15, v14 quad_perm:[1,0,3,2] row_mask:0xf bank_mask:0xf
	v_add_f32_e32 v14, v14, v15
	s_nop 1
	v_mov_b32_dpp v15, v14 quad_perm:[2,3,0,1] row_mask:0xf bank_mask:0xf
	v_add_f32_e32 v14, v14, v15
	s_nop 1
	v_mov_b32_dpp v15, v14 row_half_mirror row_mask:0xf bank_mask:0xf
	v_add_f32_e32 v14, v14, v15
	s_nop 1
	v_mov_b32_dpp v15, v14 row_mirror row_mask:0xf bank_mask:0xf
	v_add_f32_e32 v14, v14, v15
	s_nop 1
	v_mov_b32_dpp v15, v14 row_bcast:15 row_mask:0xf bank_mask:0xf
	v_add_f32_e32 v14, v14, v15
	s_nop 1
	v_mov_b32_dpp v15, v14 row_bcast:31 row_mask:0xf bank_mask:0xf
	s_and_saveexec_b64 s[2:3], s[0:1]
	s_cbranch_execz .LBB77_32
; %bb.31:
	v_lshrrev_b32_e32 v0, 4, v0
	v_add_f32_e32 v14, v14, v15
	v_and_b32_e32 v0, 60, v0
	ds_write_b32 v0, v14 offset:16
.LBB77_32:
	s_or_b64 exec, exec, s[2:3]
	s_waitcnt lgkmcnt(0)
	s_barrier
	ds_read_b32 v0, v50 offset:16
	s_waitcnt lgkmcnt(0)
	s_nop 0
	v_mov_b32_dpp v14, v0 quad_perm:[1,0,3,2] row_mask:0xf bank_mask:0xf
	v_add_f32_e32 v0, v0, v14
	s_nop 1
	v_mov_b32_dpp v14, v0 quad_perm:[2,3,0,1] row_mask:0xf bank_mask:0xf
	s_and_saveexec_b64 s[0:1], vcc
	s_cbranch_execz .LBB77_12
; %bb.33:
	v_cvt_f32_u32_e32 v15, s16
	v_add_f32_e32 v0, v0, v14
	s_mov_b32 s11, 0x20000
	v_div_scale_f32 v14, s[0:1], v15, v15, v0
	v_rcp_f32_e32 v16, v14
	v_div_scale_f32 v17, vcc, v0, v15, v0
	s_mov_b32 s0, 0x800000
	s_waitcnt vmcnt(3)
	v_fma_f32 v18, -v14, v16, 1.0
	v_fmac_f32_e32 v16, v18, v16
	v_mul_f32_e32 v18, v17, v16
	v_fma_f32 v19, -v14, v18, v17
	v_fmac_f32_e32 v18, v19, v16
	v_fma_f32 v14, -v14, v18, v17
	v_div_fmas_f32 v14, v14, v16, v18
	v_div_fixup_f32 v0, v14, v15, v0
	v_add_f32_e32 v0, s13, v0
	v_mul_f32_e32 v14, 0x4b800000, v0
	v_cmp_gt_f32_e32 vcc, s0, v0
	v_cndmask_b32_e32 v0, v0, v14, vcc
	v_rsq_f32_e32 v0, v0
	s_mul_hi_i32 s1, s7, s6
	s_mul_i32 s0, s7, s6
	s_lshl_b64 s[0:1], s[0:1], 1
	v_mul_f32_e32 v14, 0x45800000, v0
	v_cndmask_b32_e32 v14, v0, v14, vcc
	v_mov_b32_e32 v15, v14
	;;#ASMSTART
	v_pk_mul_f32 v[16:17], v[26:27], v[14:15]
	;;#ASMEND
	;;#ASMSTART
	v_pk_mul_f32 v[18:19], v[48:49], v[14:15]
	;;#ASMEND
	;; [unrolled: 3-line block ×6, first 2 shown]
	s_waitcnt vmcnt(2)
	v_cvt_f32_f16_sdwa v41, v10 dst_sel:DWORD dst_unused:UNUSED_PAD src0_sel:WORD_1
	v_cvt_f32_f16_e32 v40, v10
	v_cvt_f32_f16_sdwa v43, v11 dst_sel:DWORD dst_unused:UNUSED_PAD src0_sel:WORD_1
	v_cvt_f32_f16_e32 v42, v11
	;;#ASMSTART
	v_pk_mul_f32 v[38:39], v[38:39], v[14:15]
	;;#ASMEND
	;;#ASMSTART
	v_pk_mul_f32 v[36:37], v[36:37], v[14:15]
	;;#ASMEND
	;; [unrolled: 3-line block ×6, first 2 shown]
	v_cvt_f32_f16_sdwa v29, v12 dst_sel:DWORD dst_unused:UNUSED_PAD src0_sel:WORD_1
	v_cvt_f32_f16_e32 v28, v12
	v_pk_add_f32 v[14:15], v[40:41], 1.0 op_sel_hi:[1,0]
	;;#ASMSTART
	v_pk_mul_f32 v[14:15], v[16:17], v[14:15]
	;;#ASMEND
	v_pk_add_f32 v[16:17], v[42:43], 1.0 op_sel_hi:[1,0]
	v_cvt_f32_f16_sdwa v41, v13 dst_sel:DWORD dst_unused:UNUSED_PAD src0_sel:WORD_1
	v_cvt_f32_f16_e32 v40, v13
	;;#ASMSTART
	v_pk_mul_f32 v[12:13], v[18:19], v[16:17]
	;;#ASMEND
	v_pk_add_f32 v[16:17], v[28:29], 1.0 op_sel_hi:[1,0]
	;;#ASMSTART
	v_pk_mul_f32 v[16:17], v[20:21], v[16:17]
	;;#ASMEND
	s_waitcnt vmcnt(1)
	v_cvt_f32_f16_sdwa v21, v6 dst_sel:DWORD dst_unused:UNUSED_PAD src0_sel:WORD_1
	v_cvt_f32_f16_e32 v20, v6
	v_pk_add_f32 v[18:19], v[40:41], 1.0 op_sel_hi:[1,0]
	v_cvt_f32_f16_sdwa v29, v7 dst_sel:DWORD dst_unused:UNUSED_PAD src0_sel:WORD_1
	v_cvt_f32_f16_e32 v28, v7
	;;#ASMSTART
	v_pk_mul_f32 v[6:7], v[22:23], v[18:19]
	;;#ASMEND
	v_pk_add_f32 v[18:19], v[20:21], 1.0 op_sel_hi:[1,0]
	;;#ASMSTART
	v_pk_mul_f32 v[18:19], v[24:25], v[18:19]
	;;#ASMEND
	v_cvt_f32_f16_sdwa v23, v8 dst_sel:DWORD dst_unused:UNUSED_PAD src0_sel:WORD_1
	v_cvt_f32_f16_e32 v22, v8
	v_cvt_f32_f16_sdwa v25, v9 dst_sel:DWORD dst_unused:UNUSED_PAD src0_sel:WORD_1
	v_cvt_f32_f16_e32 v24, v9
	v_pk_add_f32 v[20:21], v[28:29], 1.0 op_sel_hi:[1,0]
	;;#ASMSTART
	v_pk_mul_f32 v[8:9], v[26:27], v[20:21]
	;;#ASMEND
	v_pk_add_f32 v[20:21], v[22:23], 1.0 op_sel_hi:[1,0]
	v_pk_add_f32 v[22:23], v[24:25], 1.0 op_sel_hi:[1,0]
	s_waitcnt vmcnt(0)
	v_cvt_f32_f16_sdwa v25, v2 dst_sel:DWORD dst_unused:UNUSED_PAD src0_sel:WORD_1
	v_cvt_f32_f16_e32 v24, v2
	v_cvt_f32_f16_sdwa v27, v3 dst_sel:DWORD dst_unused:UNUSED_PAD src0_sel:WORD_1
	v_cvt_f32_f16_e32 v26, v3
	;;#ASMSTART
	v_pk_mul_f32 v[20:21], v[38:39], v[20:21]
	;;#ASMEND
	v_pk_add_f32 v[2:3], v[24:25], 1.0 op_sel_hi:[1,0]
	;;#ASMSTART
	v_pk_mul_f32 v[22:23], v[36:37], v[22:23]
	;;#ASMEND
	;;#ASMSTART
	v_pk_mul_f32 v[24:25], v[34:35], v[2:3]
	;;#ASMEND
	v_pk_add_f32 v[2:3], v[26:27], 1.0 op_sel_hi:[1,0]
	v_cvt_f32_f16_sdwa v27, v4 dst_sel:DWORD dst_unused:UNUSED_PAD src0_sel:WORD_1
	v_cvt_f32_f16_e32 v26, v4
	v_cvt_f32_f16_sdwa v29, v5 dst_sel:DWORD dst_unused:UNUSED_PAD src0_sel:WORD_1
	v_cvt_f32_f16_e32 v28, v5
	;;#ASMSTART
	v_pk_mul_f32 v[32:33], v[32:33], v[2:3]
	;;#ASMEND
	v_pk_add_f32 v[2:3], v[26:27], 1.0 op_sel_hi:[1,0]
	;;#ASMSTART
	v_pk_mul_f32 v[26:27], v[30:31], v[2:3]
	;;#ASMEND
	v_pk_add_f32 v[2:3], v[28:29], 1.0 op_sel_hi:[1,0]
	;;#ASMSTART
	v_pk_mul_f32 v[10:11], v[10:11], v[2:3]
	;;#ASMEND
	v_cvt_f16_f32_e32 v0, v14
	v_cvt_f16_f32_e32 v2, v15
	;; [unrolled: 1-line block ×8, first 2 shown]
	s_add_u32 s8, s24, s0
	s_addc_u32 s0, s25, s1
	s_and_b32 s9, s0, 0xffff
	v_pack_b32_f16 v2, v0, v2
	v_pack_b32_f16 v3, v3, v4
	;; [unrolled: 1-line block ×4, first 2 shown]
	buffer_store_dwordx4 v[2:5], v1, s[8:11], 0 offen
	v_cvt_f16_f32_e32 v0, v18
	v_cvt_f16_f32_e32 v2, v19
	;; [unrolled: 1-line block ×8, first 2 shown]
	v_pack_b32_f16 v2, v0, v2
	v_pack_b32_f16 v3, v3, v4
	;; [unrolled: 1-line block ×4, first 2 shown]
	s_movk_i32 s0, 0x400
	;;#ASMSTART
	s_nop 0
	;;#ASMEND
	buffer_store_dwordx4 v[2:5], v1, s[8:11], s0 offen
	v_cvt_f16_f32_e32 v0, v24
	v_cvt_f16_f32_e32 v2, v25
	;; [unrolled: 1-line block ×8, first 2 shown]
	v_pack_b32_f16 v2, v0, v2
	v_pack_b32_f16 v3, v3, v4
	;; [unrolled: 1-line block ×4, first 2 shown]
	s_movk_i32 s0, 0x800
	;;#ASMSTART
	s_nop 0
	;;#ASMEND
	buffer_store_dwordx4 v[2:5], v1, s[8:11], s0 offen
	;;#ASMSTART
	s_nop 0
	;;#ASMEND
	s_endpgm
	.section	.rodata,"a",@progbits
	.p2align	6, 0x0
	.amdhsa_kernel _ZN5aiter35fused_qk_rmsnorm_group_quant_kernelIDF16_DB8_Li256ELi24ELi1ELb0ELb0ELb1ELb0ELb1ELb1EEEvPT0_PvPT_S6_S6_PKS5_S8_S8_S8_S8_ffiiiiiiiiiiiii
		.amdhsa_group_segment_fixed_size 48
		.amdhsa_private_segment_fixed_size 0
		.amdhsa_kernarg_size 400
		.amdhsa_user_sgpr_count 6
		.amdhsa_user_sgpr_private_segment_buffer 1
		.amdhsa_user_sgpr_dispatch_ptr 0
		.amdhsa_user_sgpr_queue_ptr 0
		.amdhsa_user_sgpr_kernarg_segment_ptr 1
		.amdhsa_user_sgpr_dispatch_id 0
		.amdhsa_user_sgpr_flat_scratch_init 0
		.amdhsa_user_sgpr_kernarg_preload_length 0
		.amdhsa_user_sgpr_kernarg_preload_offset 0
		.amdhsa_user_sgpr_private_segment_size 0
		.amdhsa_uses_dynamic_stack 0
		.amdhsa_system_sgpr_private_segment_wavefront_offset 0
		.amdhsa_system_sgpr_workgroup_id_x 1
		.amdhsa_system_sgpr_workgroup_id_y 1
		.amdhsa_system_sgpr_workgroup_id_z 0
		.amdhsa_system_sgpr_workgroup_info 0
		.amdhsa_system_vgpr_workitem_id 0
		.amdhsa_next_free_vgpr 51
		.amdhsa_next_free_sgpr 30
		.amdhsa_accum_offset 52
		.amdhsa_reserve_vcc 1
		.amdhsa_reserve_flat_scratch 0
		.amdhsa_float_round_mode_32 0
		.amdhsa_float_round_mode_16_64 0
		.amdhsa_float_denorm_mode_32 3
		.amdhsa_float_denorm_mode_16_64 3
		.amdhsa_dx10_clamp 1
		.amdhsa_ieee_mode 1
		.amdhsa_fp16_overflow 0
		.amdhsa_tg_split 0
		.amdhsa_exception_fp_ieee_invalid_op 0
		.amdhsa_exception_fp_denorm_src 0
		.amdhsa_exception_fp_ieee_div_zero 0
		.amdhsa_exception_fp_ieee_overflow 0
		.amdhsa_exception_fp_ieee_underflow 0
		.amdhsa_exception_fp_ieee_inexact 0
		.amdhsa_exception_int_div_zero 0
	.end_amdhsa_kernel
	.section	.text._ZN5aiter35fused_qk_rmsnorm_group_quant_kernelIDF16_DB8_Li256ELi24ELi1ELb0ELb0ELb1ELb0ELb1ELb1EEEvPT0_PvPT_S6_S6_PKS5_S8_S8_S8_S8_ffiiiiiiiiiiiii,"axG",@progbits,_ZN5aiter35fused_qk_rmsnorm_group_quant_kernelIDF16_DB8_Li256ELi24ELi1ELb0ELb0ELb1ELb0ELb1ELb1EEEvPT0_PvPT_S6_S6_PKS5_S8_S8_S8_S8_ffiiiiiiiiiiiii,comdat
.Lfunc_end77:
	.size	_ZN5aiter35fused_qk_rmsnorm_group_quant_kernelIDF16_DB8_Li256ELi24ELi1ELb0ELb0ELb1ELb0ELb1ELb1EEEvPT0_PvPT_S6_S6_PKS5_S8_S8_S8_S8_ffiiiiiiiiiiiii, .Lfunc_end77-_ZN5aiter35fused_qk_rmsnorm_group_quant_kernelIDF16_DB8_Li256ELi24ELi1ELb0ELb0ELb1ELb0ELb1ELb1EEEvPT0_PvPT_S6_S6_PKS5_S8_S8_S8_S8_ffiiiiiiiiiiiii
                                        ; -- End function
	.section	.AMDGPU.csdata,"",@progbits
; Kernel info:
; codeLenInByte = 4932
; NumSgprs: 34
; NumVgprs: 51
; NumAgprs: 0
; TotalNumVgprs: 51
; ScratchSize: 0
; MemoryBound: 0
; FloatMode: 240
; IeeeMode: 1
; LDSByteSize: 48 bytes/workgroup (compile time only)
; SGPRBlocks: 4
; VGPRBlocks: 6
; NumSGPRsForWavesPerEU: 34
; NumVGPRsForWavesPerEU: 51
; AccumOffset: 52
; Occupancy: 8
; WaveLimiterHint : 0
; COMPUTE_PGM_RSRC2:SCRATCH_EN: 0
; COMPUTE_PGM_RSRC2:USER_SGPR: 6
; COMPUTE_PGM_RSRC2:TRAP_HANDLER: 0
; COMPUTE_PGM_RSRC2:TGID_X_EN: 1
; COMPUTE_PGM_RSRC2:TGID_Y_EN: 1
; COMPUTE_PGM_RSRC2:TGID_Z_EN: 0
; COMPUTE_PGM_RSRC2:TIDIG_COMP_CNT: 0
; COMPUTE_PGM_RSRC3_GFX90A:ACCUM_OFFSET: 12
; COMPUTE_PGM_RSRC3_GFX90A:TG_SPLIT: 0
	.section	.text._ZN5aiter35fused_qk_rmsnorm_group_quant_kernelItDB8_Li256ELi24ELi1ELb0ELb0ELb1ELb0ELb1ELb1EEEvPT0_PvPT_S6_S6_PKS5_S8_S8_S8_S8_ffiiiiiiiiiiiii,"axG",@progbits,_ZN5aiter35fused_qk_rmsnorm_group_quant_kernelItDB8_Li256ELi24ELi1ELb0ELb0ELb1ELb0ELb1ELb1EEEvPT0_PvPT_S6_S6_PKS5_S8_S8_S8_S8_ffiiiiiiiiiiiii,comdat
	.protected	_ZN5aiter35fused_qk_rmsnorm_group_quant_kernelItDB8_Li256ELi24ELi1ELb0ELb0ELb1ELb0ELb1ELb1EEEvPT0_PvPT_S6_S6_PKS5_S8_S8_S8_S8_ffiiiiiiiiiiiii ; -- Begin function _ZN5aiter35fused_qk_rmsnorm_group_quant_kernelItDB8_Li256ELi24ELi1ELb0ELb0ELb1ELb0ELb1ELb1EEEvPT0_PvPT_S6_S6_PKS5_S8_S8_S8_S8_ffiiiiiiiiiiiii
	.globl	_ZN5aiter35fused_qk_rmsnorm_group_quant_kernelItDB8_Li256ELi24ELi1ELb0ELb0ELb1ELb0ELb1ELb1EEEvPT0_PvPT_S6_S6_PKS5_S8_S8_S8_S8_ffiiiiiiiiiiiii
	.p2align	8
	.type	_ZN5aiter35fused_qk_rmsnorm_group_quant_kernelItDB8_Li256ELi24ELi1ELb0ELb0ELb1ELb0ELb1ELb1EEEvPT0_PvPT_S6_S6_PKS5_S8_S8_S8_S8_ffiiiiiiiiiiiii,@function
_ZN5aiter35fused_qk_rmsnorm_group_quant_kernelItDB8_Li256ELi24ELi1ELb0ELb0ELb1ELb0ELb1ELb1EEEvPT0_PvPT_S6_S6_PKS5_S8_S8_S8_S8_ffiiiiiiiiiiiii: ; @_ZN5aiter35fused_qk_rmsnorm_group_quant_kernelItDB8_Li256ELi24ELi1ELb0ELb0ELb1ELb0ELb1ELb1EEEvPT0_PvPT_S6_S6_PKS5_S8_S8_S8_S8_ffiiiiiiiiiiiii
; %bb.0:
	s_load_dwordx4 s[12:15], s[4:5], 0x50
	s_waitcnt lgkmcnt(0)
	s_cmp_ge_i32 s6, s14
	s_cbranch_scc1 .LBB78_12
; %bb.1:
	s_load_dwordx2 s[8:9], s[4:5], 0x48
	s_load_dwordx2 s[28:29], s[4:5], 0x30
	s_load_dwordx4 s[16:19], s[4:5], 0x60
	s_cmp_lg_u32 s7, 0
	s_cselect_b64 s[10:11], -1, 0
	s_cmp_eq_u32 s7, 0
	s_cselect_b64 vcc, -1, 0
	s_and_b64 s[0:1], vcc, exec
	s_waitcnt lgkmcnt(0)
	s_cselect_b32 s7, s15, s16
	s_add_i32 s0, s7, 1
	s_lshr_b32 s1, s0, 31
	s_add_i32 s0, s0, s1
	s_lshl_b32 s0, s0, 1
	v_and_b32_e32 v2, 0x3c0, v0
	s_and_b32 s22, s0, -4
	v_lshlrev_b32_e32 v1, 3, v0
	v_mul_u32_u24_e32 v2, 24, v2
	s_movk_i32 s0, 0x1f8
	v_and_or_b32 v1, v1, s0, v2
	v_cmp_gt_i32_e64 s[2:3], s7, v1
	v_mov_b32_e32 v26, 0
	v_mov_b32_e32 v10, 0
	;; [unrolled: 1-line block ×25, first 2 shown]
	s_and_saveexec_b64 s[0:1], s[2:3]
	s_cbranch_execz .LBB78_3
; %bb.2:
	s_load_dwordx2 s[20:21], s[4:5], 0x28
	s_load_dwordx2 s[26:27], s[4:5], 0x40
	s_and_b64 s[24:25], vcc, exec
	s_cselect_b32 s14, s17, s18
	s_mov_b32 s23, 0x20000
	s_waitcnt lgkmcnt(0)
	s_cselect_b32 s17, s21, s29
	s_cselect_b32 s19, s20, s28
	s_mul_hi_i32 s21, s14, s6
	s_mul_i32 s20, s14, s6
	s_lshl_b64 s[20:21], s[20:21], 1
	s_add_u32 s24, s19, s20
	s_addc_u32 s14, s17, s21
	s_and_b64 s[20:21], vcc, exec
	s_cselect_b32 s17, s27, s9
	s_cselect_b32 s20, s26, s8
	s_and_b32 s21, s17, 0xffff
	s_and_b32 s25, s14, 0xffff
	s_mov_b32 s26, s22
	s_mov_b32 s27, s23
	v_lshlrev_b32_e32 v27, 1, v1
	s_movk_i32 s17, 0x800
	s_movk_i32 s14, 0x400
	buffer_load_dwordx4 v[22:25], v27, s[24:27], 0 offen glc slc
	buffer_load_dwordx4 v[14:17], v27, s[24:27], s14 offen glc slc
	buffer_load_dwordx4 v[18:21], v27, s[24:27], s17 offen glc slc
	buffer_load_dwordx4 v[10:13], v27, s[20:23], 0 offen
	buffer_load_dwordx4 v[6:9], v27, s[20:23], s14 offen
	;; [unrolled: 1-line block ×3, first 2 shown]
.LBB78_3:
	s_or_b64 exec, exec, s[0:1]
	v_mov_b32_e32 v27, 0
	v_mov_b32_e32 v48, 0
	;; [unrolled: 1-line block ×23, first 2 shown]
	s_and_saveexec_b64 s[0:1], s[2:3]
	s_cbranch_execz .LBB78_5
; %bb.4:
	s_waitcnt vmcnt(5)
	v_cvt_f32_u32_sdwa v26, v22 dst_sel:DWORD dst_unused:UNUSED_PAD src0_sel:WORD_0
	v_cvt_f32_u32_sdwa v27, v22 dst_sel:DWORD dst_unused:UNUSED_PAD src0_sel:WORD_1
	v_cvt_f32_u32_sdwa v48, v23 dst_sel:DWORD dst_unused:UNUSED_PAD src0_sel:WORD_0
	v_cvt_f32_u32_sdwa v49, v23 dst_sel:DWORD dst_unused:UNUSED_PAD src0_sel:WORD_1
	v_cvt_f32_u32_sdwa v44, v24 dst_sel:DWORD dst_unused:UNUSED_PAD src0_sel:WORD_0
	v_cvt_f32_u32_sdwa v45, v24 dst_sel:DWORD dst_unused:UNUSED_PAD src0_sel:WORD_1
	v_cvt_f32_u32_sdwa v46, v25 dst_sel:DWORD dst_unused:UNUSED_PAD src0_sel:WORD_0
	v_cvt_f32_u32_sdwa v47, v25 dst_sel:DWORD dst_unused:UNUSED_PAD src0_sel:WORD_1
	s_waitcnt vmcnt(4)
	v_cvt_f32_u32_sdwa v38, v14 dst_sel:DWORD dst_unused:UNUSED_PAD src0_sel:WORD_0
	v_cvt_f32_u32_sdwa v39, v14 dst_sel:DWORD dst_unused:UNUSED_PAD src0_sel:WORD_1
	v_cvt_f32_u32_sdwa v42, v15 dst_sel:DWORD dst_unused:UNUSED_PAD src0_sel:WORD_0
	v_cvt_f32_u32_sdwa v43, v15 dst_sel:DWORD dst_unused:UNUSED_PAD src0_sel:WORD_1
	v_cvt_f32_u32_sdwa v36, v16 dst_sel:DWORD dst_unused:UNUSED_PAD src0_sel:WORD_0
	v_cvt_f32_u32_sdwa v37, v16 dst_sel:DWORD dst_unused:UNUSED_PAD src0_sel:WORD_1
	v_cvt_f32_u32_sdwa v40, v17 dst_sel:DWORD dst_unused:UNUSED_PAD src0_sel:WORD_0
	v_cvt_f32_u32_sdwa v41, v17 dst_sel:DWORD dst_unused:UNUSED_PAD src0_sel:WORD_1
	;; [unrolled: 9-line block ×3, first 2 shown]
.LBB78_5:
	s_or_b64 exec, exec, s[0:1]
	s_waitcnt vmcnt(4)
	v_mul_f32_e32 v14, v27, v27
	v_fmac_f32_e32 v14, v26, v26
	v_fmac_f32_e32 v14, v48, v48
	;; [unrolled: 1-line block ×23, first 2 shown]
	v_and_b32_e32 v16, 63, v0
	v_cmp_eq_u32_e64 s[0:1], 63, v16
	v_mov_b32_dpp v15, v14 quad_perm:[1,0,3,2] row_mask:0xf bank_mask:0xf
	v_add_f32_e32 v14, v14, v15
	s_nop 1
	v_mov_b32_dpp v15, v14 quad_perm:[2,3,0,1] row_mask:0xf bank_mask:0xf
	v_add_f32_e32 v14, v14, v15
	s_nop 1
	v_mov_b32_dpp v15, v14 row_half_mirror row_mask:0xf bank_mask:0xf
	v_add_f32_e32 v14, v14, v15
	s_nop 1
	v_mov_b32_dpp v15, v14 row_mirror row_mask:0xf bank_mask:0xf
	v_add_f32_e32 v14, v14, v15
	s_nop 1
	v_mov_b32_dpp v15, v14 row_bcast:15 row_mask:0xf bank_mask:0xf
	v_add_f32_e32 v14, v14, v15
	s_nop 1
	v_mov_b32_dpp v15, v14 row_bcast:31 row_mask:0xf bank_mask:0xf
	s_and_saveexec_b64 s[20:21], s[0:1]
	s_cbranch_execz .LBB78_7
; %bb.6:
	v_add_f32_e32 v14, v14, v15
	v_lshrrev_b32_e32 v15, 4, v0
	v_and_b32_e32 v15, 60, v15
	ds_write_b32 v15, v14 offset:32
.LBB78_7:
	s_or_b64 exec, exec, s[20:21]
	v_and_b32_e32 v14, 3, v0
	v_lshlrev_b32_e32 v50, 2, v14
	s_waitcnt lgkmcnt(0)
	s_barrier
	ds_read_b32 v14, v50 offset:32
	s_load_dwordx2 s[24:25], s[4:5], 0x18
	s_waitcnt lgkmcnt(0)
	v_mov_b32_dpp v15, v14 quad_perm:[1,0,3,2] row_mask:0xf bank_mask:0xf
	v_add_f32_e32 v14, v14, v15
	s_nop 1
	v_mov_b32_dpp v15, v14 quad_perm:[2,3,0,1] row_mask:0xf bank_mask:0xf
	s_and_saveexec_b64 s[20:21], s[2:3]
	s_cbranch_execz .LBB78_9
; %bb.8:
	v_cvt_f32_u32_e32 v16, s7
	v_add_f32_e32 v14, v14, v15
	s_waitcnt vmcnt(3)
	v_mov_b32_e32 v18, s13
	v_mov_b32_e32 v19, s12
	v_div_scale_f32 v15, s[26:27], v16, v16, v14
	v_rcp_f32_e32 v17, v15
	v_cndmask_b32_e32 v18, v18, v19, vcc
	s_mov_b32 s7, 0x800000
	v_fma_f32 v19, -v15, v17, 1.0
	v_fmac_f32_e32 v17, v19, v17
	v_div_scale_f32 v19, vcc, v14, v16, v14
	v_mul_f32_e32 v20, v19, v17
	v_fma_f32 v21, -v15, v20, v19
	v_fmac_f32_e32 v20, v21, v17
	v_fma_f32 v15, -v15, v20, v19
	v_div_fmas_f32 v15, v15, v17, v20
	v_div_fixup_f32 v14, v15, v16, v14
	v_add_f32_e32 v14, v18, v14
	v_mul_f32_e32 v15, 0x4b800000, v14
	v_cmp_gt_f32_e32 vcc, s7, v14
	v_cndmask_b32_e32 v14, v14, v15, vcc
	v_rsq_f32_e32 v14, v14
	v_mul_f32_e32 v15, 0x45800000, v14
	v_cndmask_b32_e32 v14, v14, v15, vcc
	v_mov_b32_e32 v15, v14
	;;#ASMSTART
	v_pk_mul_f32 v[16:17], v[26:27], v[14:15]
	;;#ASMEND
	s_waitcnt vmcnt(2)
	v_cvt_f32_u32_sdwa v27, v10 dst_sel:DWORD dst_unused:UNUSED_PAD src0_sel:WORD_1
	v_cvt_f32_u32_sdwa v26, v10 dst_sel:DWORD dst_unused:UNUSED_PAD src0_sel:WORD_0
	;;#ASMSTART
	v_pk_mul_f32 v[18:19], v[48:49], v[14:15]
	;;#ASMEND
	;;#ASMSTART
	v_pk_mul_f32 v[20:21], v[44:45], v[14:15]
	;;#ASMEND
	;; [unrolled: 3-line block ×4, first 2 shown]
	v_cvt_f32_u32_sdwa v39, v11 dst_sel:DWORD dst_unused:UNUSED_PAD src0_sel:WORD_1
	v_cvt_f32_u32_sdwa v38, v11 dst_sel:DWORD dst_unused:UNUSED_PAD src0_sel:WORD_0
	;;#ASMSTART
	v_pk_mul_f32 v[42:43], v[42:43], v[14:15]
	;;#ASMEND
	;;#ASMSTART
	v_pk_mul_f32 v[36:37], v[36:37], v[14:15]
	;;#ASMEND
	;; [unrolled: 3-line block ×7, first 2 shown]
	v_pk_add_f32 v[14:15], v[26:27], 1.0 op_sel_hi:[1,0]
	;;#ASMSTART
	v_pk_mul_f32 v[26:27], v[16:17], v[14:15]
	;;#ASMEND
	v_cvt_f32_u32_sdwa v17, v12 dst_sel:DWORD dst_unused:UNUSED_PAD src0_sel:WORD_1
	v_cvt_f32_u32_sdwa v16, v12 dst_sel:DWORD dst_unused:UNUSED_PAD src0_sel:WORD_0
	v_cvt_f32_u32_sdwa v29, v13 dst_sel:DWORD dst_unused:UNUSED_PAD src0_sel:WORD_1
	v_cvt_f32_u32_sdwa v28, v13 dst_sel:DWORD dst_unused:UNUSED_PAD src0_sel:WORD_0
	v_pk_add_f32 v[14:15], v[38:39], 1.0 op_sel_hi:[1,0]
	;;#ASMSTART
	v_pk_mul_f32 v[48:49], v[18:19], v[14:15]
	;;#ASMEND
	s_waitcnt vmcnt(1)
	v_cvt_f32_u32_sdwa v15, v6 dst_sel:DWORD dst_unused:UNUSED_PAD src0_sel:WORD_1
	v_cvt_f32_u32_sdwa v14, v6 dst_sel:DWORD dst_unused:UNUSED_PAD src0_sel:WORD_0
	v_pk_add_f32 v[12:13], v[16:17], 1.0 op_sel_hi:[1,0]
	;;#ASMSTART
	v_pk_mul_f32 v[44:45], v[20:21], v[12:13]
	;;#ASMEND
	v_pk_add_f32 v[12:13], v[28:29], 1.0 op_sel_hi:[1,0]
	v_cvt_f32_u32_sdwa v17, v7 dst_sel:DWORD dst_unused:UNUSED_PAD src0_sel:WORD_1
	v_cvt_f32_u32_sdwa v16, v7 dst_sel:DWORD dst_unused:UNUSED_PAD src0_sel:WORD_0
	;;#ASMSTART
	v_pk_mul_f32 v[46:47], v[22:23], v[12:13]
	;;#ASMEND
	v_cvt_f32_u32_sdwa v13, v8 dst_sel:DWORD dst_unused:UNUSED_PAD src0_sel:WORD_1
	v_cvt_f32_u32_sdwa v12, v8 dst_sel:DWORD dst_unused:UNUSED_PAD src0_sel:WORD_0
	v_pk_add_f32 v[6:7], v[14:15], 1.0 op_sel_hi:[1,0]
	v_cvt_f32_u32_sdwa v15, v9 dst_sel:DWORD dst_unused:UNUSED_PAD src0_sel:WORD_1
	v_cvt_f32_u32_sdwa v14, v9 dst_sel:DWORD dst_unused:UNUSED_PAD src0_sel:WORD_0
	;;#ASMSTART
	v_pk_mul_f32 v[38:39], v[24:25], v[6:7]
	;;#ASMEND
	v_pk_add_f32 v[6:7], v[16:17], 1.0 op_sel_hi:[1,0]
	s_waitcnt vmcnt(0)
	v_cvt_f32_u32_sdwa v9, v2 dst_sel:DWORD dst_unused:UNUSED_PAD src0_sel:WORD_1
	v_cvt_f32_u32_sdwa v8, v2 dst_sel:DWORD dst_unused:UNUSED_PAD src0_sel:WORD_0
	;;#ASMSTART
	v_pk_mul_f32 v[42:43], v[42:43], v[6:7]
	;;#ASMEND
	v_pk_add_f32 v[6:7], v[12:13], 1.0 op_sel_hi:[1,0]
	;;#ASMSTART
	v_pk_mul_f32 v[36:37], v[36:37], v[6:7]
	;;#ASMEND
	v_pk_add_f32 v[6:7], v[14:15], 1.0 op_sel_hi:[1,0]
	v_cvt_f32_u32_sdwa v13, v3 dst_sel:DWORD dst_unused:UNUSED_PAD src0_sel:WORD_1
	v_cvt_f32_u32_sdwa v12, v3 dst_sel:DWORD dst_unused:UNUSED_PAD src0_sel:WORD_0
	;;#ASMSTART
	v_pk_mul_f32 v[40:41], v[40:41], v[6:7]
	;;#ASMEND
	v_cvt_f32_u32_sdwa v7, v4 dst_sel:DWORD dst_unused:UNUSED_PAD src0_sel:WORD_1
	v_cvt_f32_u32_sdwa v6, v4 dst_sel:DWORD dst_unused:UNUSED_PAD src0_sel:WORD_0
	v_pk_add_f32 v[2:3], v[8:9], 1.0 op_sel_hi:[1,0]
	v_cvt_f32_u32_sdwa v9, v5 dst_sel:DWORD dst_unused:UNUSED_PAD src0_sel:WORD_1
	v_cvt_f32_u32_sdwa v8, v5 dst_sel:DWORD dst_unused:UNUSED_PAD src0_sel:WORD_0
	;;#ASMSTART
	v_pk_mul_f32 v[32:33], v[32:33], v[2:3]
	;;#ASMEND
	v_pk_add_f32 v[2:3], v[12:13], 1.0 op_sel_hi:[1,0]
	;;#ASMSTART
	v_pk_mul_f32 v[34:35], v[34:35], v[2:3]
	;;#ASMEND
	v_pk_add_f32 v[2:3], v[6:7], 1.0 op_sel_hi:[1,0]
	;; [unrolled: 4-line block ×3, first 2 shown]
	;;#ASMSTART
	v_pk_mul_f32 v[28:29], v[10:11], v[2:3]
	;;#ASMEND
.LBB78_9:
	s_or_b64 exec, exec, s[20:21]
	s_load_dword s7, s[4:5], 0x80
	s_mov_b64 s[20:21], -1
	s_and_b64 vcc, exec, s[10:11]
	s_cbranch_vccnz .LBB78_13
; %bb.10:
	s_andn2_b64 vcc, exec, s[20:21]
	s_cbranch_vccz .LBB78_16
.LBB78_11:
	s_cmp_lt_i32 s16, 1
	s_cbranch_scc0 .LBB78_25
.LBB78_12:
	s_endpgm
.LBB78_13:
	s_and_saveexec_b64 s[10:11], s[2:3]
	s_cbranch_execz .LBB78_15
; %bb.14:
	s_waitcnt lgkmcnt(0)
	s_mul_hi_i32 s21, s7, s6
	s_mul_i32 s20, s7, s6
	s_lshl_b64 s[20:21], s[20:21], 1
	s_add_u32 s20, s24, s20
	s_addc_u32 s12, s25, s21
	s_and_b32 s21, s12, 0xffff
	s_mov_b32 s12, 0x7060302
	s_mov_b32 s23, 0x20000
	s_waitcnt vmcnt(0)
	v_perm_b32 v5, v47, v46, s12
	v_perm_b32 v4, v45, v44, s12
	;; [unrolled: 1-line block ×4, first 2 shown]
	v_lshlrev_b32_e32 v6, 1, v1
	buffer_store_dwordx4 v[2:5], v6, s[20:23], 0 offen
	s_movk_i32 s14, 0x400
	v_perm_b32 v5, v41, v40, s12
	v_perm_b32 v4, v37, v36, s12
	;; [unrolled: 1-line block ×4, first 2 shown]
	;;#ASMSTART
	s_nop 0
	;;#ASMEND
	buffer_store_dwordx4 v[2:5], v6, s[20:23], s14 offen
	v_perm_b32 v5, v29, v28, s12
	v_perm_b32 v4, v31, v30, s12
	;; [unrolled: 1-line block ×4, first 2 shown]
	s_movk_i32 s12, 0x800
	;;#ASMSTART
	s_nop 0
	;;#ASMEND
	buffer_store_dwordx4 v[2:5], v6, s[20:23], s12 offen
	;;#ASMSTART
	s_nop 0
	;;#ASMEND
.LBB78_15:
	s_or_b64 exec, exec, s[10:11]
	s_cbranch_execnz .LBB78_11
.LBB78_16:
	s_waitcnt vmcnt(0)
	v_mov_b32_e32 v2, 0
	s_and_saveexec_b64 s[10:11], s[2:3]
	s_cbranch_execz .LBB78_18
; %bb.17:
	v_and_b32_e32 v2, 0x7fffffff, v26
	v_and_b32_e32 v3, 0x7fffffff, v27
	v_mov_b32_e32 v4, 0x2edbe6ff
	;;#ASMSTART
	v_max3_f32 v2, v4, v2, v3

	;;#ASMEND
	v_and_b32_e32 v3, 0x7fffffff, v48
	v_and_b32_e32 v4, 0x7fffffff, v49
	;;#ASMSTART
	v_max3_f32 v2, v2, v3, v4

	;;#ASMEND
	v_and_b32_e32 v3, 0x7fffffff, v44
	v_and_b32_e32 v4, 0x7fffffff, v45
	;; [unrolled: 6-line block ×11, first 2 shown]
	;;#ASMSTART
	v_max3_f32 v2, v2, v3, v4

	;;#ASMEND
.LBB78_18:
	s_or_b64 exec, exec, s[10:11]
	s_nop 0
	v_mov_b32_dpp v3, v2 quad_perm:[1,0,3,2] row_mask:0xf bank_mask:0xf
	v_cmp_gt_f32_e32 vcc, v2, v3
	v_cndmask_b32_e32 v2, v3, v2, vcc
	s_nop 1
	v_mov_b32_dpp v3, v2 quad_perm:[2,3,0,1] row_mask:0xf bank_mask:0xf
	v_cmp_gt_f32_e32 vcc, v2, v3
	v_cndmask_b32_e32 v2, v3, v2, vcc
	s_nop 1
	v_mov_b32_dpp v3, v2 row_half_mirror row_mask:0xf bank_mask:0xf
	v_cmp_gt_f32_e32 vcc, v2, v3
	v_cndmask_b32_e32 v2, v3, v2, vcc
	s_nop 1
	v_mov_b32_dpp v3, v2 row_mirror row_mask:0xf bank_mask:0xf
	v_cmp_gt_f32_e32 vcc, v2, v3
	v_cndmask_b32_e32 v2, v3, v2, vcc
	s_nop 1
	v_mov_b32_dpp v3, v2 row_bcast:15 row_mask:0xf bank_mask:0xf
	v_cmp_gt_f32_e32 vcc, v2, v3
	v_cndmask_b32_e32 v2, v3, v2, vcc
	s_nop 1
	v_mov_b32_dpp v3, v2 row_bcast:31 row_mask:0xf bank_mask:0xf
	s_and_saveexec_b64 s[10:11], s[0:1]
	s_cbranch_execz .LBB78_20
; %bb.19:
	v_cmp_gt_f32_e32 vcc, v2, v3
	v_cndmask_b32_e32 v2, v3, v2, vcc
	v_lshrrev_b32_e32 v3, 4, v0
	v_and_b32_e32 v3, 60, v3
	ds_write_b32 v3, v2
.LBB78_20:
	s_or_b64 exec, exec, s[10:11]
	s_waitcnt lgkmcnt(0)
	s_barrier
	ds_read_b32 v2, v50
	s_load_dwordx2 s[20:21], s[4:5], 0x70
	s_waitcnt lgkmcnt(0)
	v_mov_b32_dpp v3, v2 quad_perm:[1,0,3,2] row_mask:0xf bank_mask:0xf
	v_cmp_gt_f32_e32 vcc, v2, v3
	v_cndmask_b32_e32 v2, v3, v2, vcc
	s_nop 1
	v_mov_b32_dpp v3, v2 quad_perm:[2,3,0,1] row_mask:0xf bank_mask:0xf
	v_cmp_gt_f32_e32 vcc, v2, v3
	v_cndmask_b32_e32 v2, v3, v2, vcc
	v_mul_f32_e32 v2, 0x3b124925, v2
	v_cmp_eq_u32_e32 vcc, 0, v0
	s_and_saveexec_b64 s[10:11], vcc
	s_cbranch_execz .LBB78_22
; %bb.21:
	s_load_dwordx2 s[22:23], s[4:5], 0x8
	s_mul_hi_i32 s27, s21, s6
	s_mul_i32 s26, s21, s6
	s_lshl_b64 s[26:27], s[26:27], 2
	v_mov_b32_e32 v3, 0
	s_waitcnt lgkmcnt(0)
	s_add_u32 s22, s22, s26
	s_addc_u32 s23, s23, s27
	global_store_dword v3, v2, s[22:23]
.LBB78_22:
	s_or_b64 exec, exec, s[10:11]
	;;#ASMSTART
	v_rcp_f32 v2, v2
	;;#ASMEND
	s_and_saveexec_b64 s[10:11], s[2:3]
	s_cbranch_execz .LBB78_24
; %bb.23:
	s_load_dwordx2 s[2:3], s[4:5], 0x0
	s_mul_i32 s14, s20, s6
	s_mul_hi_i32 s12, s20, s6
	v_mov_b32_e32 v3, v2
	;;#ASMSTART
	v_pk_mul_f32 v[4:5], v[26:27], v[2:3]
	;;#ASMEND
	s_waitcnt lgkmcnt(0)
	s_add_u32 s20, s2, s14
	s_addc_u32 s2, s3, s12
	s_add_i32 s3, s15, 3
	s_ashr_i32 s12, s3, 31
	v_mov_b32_e32 v8, 0xc3e00000
	v_mov_b32_e32 v9, 0x43e00000
	;;#ASMSTART
	v_med3_f32 v4, v4, v8, v9
v_med3_f32 v5, v5, v8, v9
v_cvt_pk_fp8_f32 v6, v4, v5
	;;#ASMEND
	s_lshr_b32 s12, s12, 30
	;;#ASMSTART
	v_pk_mul_f32 v[4:5], v[48:49], v[2:3]
	;;#ASMEND
	s_add_i32 s3, s3, s12
	s_and_b32 s21, s2, 0xffff
	;;#ASMSTART
	v_med3_f32 v4, v4, v8, v9
v_med3_f32 v5, v5, v8, v9
v_cvt_pk_fp8_f32 v7, v4, v5
	;;#ASMEND
	s_mov_b32 s2, 0x5040100
	s_and_b32 s22, s3, -4
	v_perm_b32 v5, v7, v6, s2
	s_movk_i32 s3, 0xff
	v_and_b32_e32 v4, 0xffffff00, v7
	v_and_b32_sdwa v6, v5, s3 dst_sel:DWORD dst_unused:UNUSED_PAD src0_sel:WORD_1 src1_sel:DWORD
	s_mov_b32 s17, 0xffff
	v_or_b32_sdwa v4, v6, v4 dst_sel:WORD_1 dst_unused:UNUSED_PAD src0_sel:DWORD src1_sel:DWORD
	v_and_or_b32 v4, v5, s17, v4
	;;#ASMSTART
	v_pk_mul_f32 v[6:7], v[44:45], v[2:3]
	;;#ASMEND
	v_mov_b32_e32 v5, v7
	;;#ASMSTART
	v_med3_f32 v6, v6, v8, v9
v_med3_f32 v5, v5, v8, v9
v_cvt_pk_fp8_f32 v10, v6, v5
	;;#ASMEND
	;;#ASMSTART
	v_pk_mul_f32 v[6:7], v[46:47], v[2:3]
	;;#ASMEND
	v_mov_b32_e32 v5, v6
	;;#ASMSTART
	v_med3_f32 v5, v5, v8, v9
v_med3_f32 v7, v7, v8, v9
v_cvt_pk_fp8_f32 v6, v5, v7
	;;#ASMEND
	v_lshlrev_b32_e32 v5, 16, v6
	s_mov_b32 s23, 0x20000
	v_and_or_b32 v5, v10, s17, v5
	buffer_store_dwordx2 v[4:5], v1, s[20:23], 0 offen
	;;#ASMSTART
	s_nop 0
	;;#ASMEND
	;;#ASMSTART
	v_pk_mul_f32 v[4:5], v[38:39], v[2:3]
	;;#ASMEND
	;;#ASMSTART
	v_med3_f32 v4, v4, v8, v9
v_med3_f32 v5, v5, v8, v9
v_cvt_pk_fp8_f32 v6, v4, v5
	;;#ASMEND
	;;#ASMSTART
	v_pk_mul_f32 v[4:5], v[42:43], v[2:3]
	;;#ASMEND
	;;#ASMSTART
	v_med3_f32 v4, v4, v8, v9
v_med3_f32 v5, v5, v8, v9
v_cvt_pk_fp8_f32 v7, v4, v5
	;;#ASMEND
	v_perm_b32 v5, v7, v6, s2
	v_and_b32_e32 v4, 0xffffff00, v7
	v_and_b32_sdwa v6, v5, s3 dst_sel:DWORD dst_unused:UNUSED_PAD src0_sel:WORD_1 src1_sel:DWORD
	v_or_b32_sdwa v4, v6, v4 dst_sel:WORD_1 dst_unused:UNUSED_PAD src0_sel:DWORD src1_sel:DWORD
	v_and_or_b32 v4, v5, s17, v4
	;;#ASMSTART
	v_pk_mul_f32 v[6:7], v[36:37], v[2:3]
	;;#ASMEND
	v_mov_b32_e32 v5, v7
	;;#ASMSTART
	v_med3_f32 v6, v6, v8, v9
v_med3_f32 v5, v5, v8, v9
v_cvt_pk_fp8_f32 v10, v6, v5
	;;#ASMEND
	;;#ASMSTART
	v_pk_mul_f32 v[6:7], v[40:41], v[2:3]
	;;#ASMEND
	v_mov_b32_e32 v5, v6
	;;#ASMSTART
	v_med3_f32 v5, v5, v8, v9
v_med3_f32 v7, v7, v8, v9
v_cvt_pk_fp8_f32 v6, v5, v7
	;;#ASMEND
	v_lshlrev_b32_e32 v5, 16, v6
	v_and_or_b32 v5, v10, s17, v5
	s_movk_i32 s12, 0x200
	buffer_store_dwordx2 v[4:5], v1, s[20:23], s12 offen
	;;#ASMSTART
	s_nop 0
	;;#ASMEND
	;;#ASMSTART
	v_pk_mul_f32 v[4:5], v[32:33], v[2:3]
	;;#ASMEND
	;;#ASMSTART
	v_med3_f32 v4, v4, v8, v9
v_med3_f32 v5, v5, v8, v9
v_cvt_pk_fp8_f32 v6, v4, v5
	;;#ASMEND
	;;#ASMSTART
	v_pk_mul_f32 v[4:5], v[34:35], v[2:3]
	;;#ASMEND
	;;#ASMSTART
	v_med3_f32 v4, v4, v8, v9
v_med3_f32 v5, v5, v8, v9
v_cvt_pk_fp8_f32 v7, v4, v5
	;;#ASMEND
	v_perm_b32 v5, v7, v6, s2
	v_and_b32_e32 v4, 0xffffff00, v7
	v_and_b32_sdwa v6, v5, s3 dst_sel:DWORD dst_unused:UNUSED_PAD src0_sel:WORD_1 src1_sel:DWORD
	v_or_b32_sdwa v4, v6, v4 dst_sel:WORD_1 dst_unused:UNUSED_PAD src0_sel:DWORD src1_sel:DWORD
	v_and_or_b32 v4, v5, s17, v4
	;;#ASMSTART
	v_pk_mul_f32 v[6:7], v[30:31], v[2:3]
	;;#ASMEND
	v_mov_b32_e32 v5, v7
	;;#ASMSTART
	v_med3_f32 v6, v6, v8, v9
v_med3_f32 v5, v5, v8, v9
v_cvt_pk_fp8_f32 v7, v6, v5
	;;#ASMEND
	;;#ASMSTART
	v_pk_mul_f32 v[2:3], v[28:29], v[2:3]
	;;#ASMEND
	;;#ASMSTART
	v_med3_f32 v2, v2, v8, v9
v_med3_f32 v3, v3, v8, v9
v_cvt_pk_fp8_f32 v5, v2, v3
	;;#ASMEND
	v_lshlrev_b32_e32 v2, 16, v5
	v_and_or_b32 v5, v7, s17, v2
	s_movk_i32 s2, 0x400
	buffer_store_dwordx2 v[4:5], v1, s[20:23], s2 offen
	;;#ASMSTART
	s_nop 0
	;;#ASMEND
.LBB78_24:
	s_or_b64 exec, exec, s[10:11]
	s_cmp_lt_i32 s16, 1
	s_cbranch_scc1 .LBB78_12
.LBB78_25:
	s_load_dword s2, s[4:5], 0x94
	s_waitcnt lgkmcnt(0)
	s_cmp_lg_u32 s2, 1
	s_cbranch_scc1 .LBB78_12
; %bb.26:
	s_lshl_b32 s2, s16, 1
	s_add_i32 s2, s2, 2
	v_cmp_gt_u32_e32 vcc, s16, v1
	s_and_b32 s10, s2, -4
	v_mov_b32_e32 v26, 0
	v_lshlrev_b32_e32 v1, 1, v1
	v_mov_b32_e32 v22, 0
	v_mov_b32_e32 v23, 0
	;; [unrolled: 1-line block ×8, first 2 shown]
	s_waitcnt vmcnt(3)
	v_mov_b32_e32 v18, 0
	v_mov_b32_e32 v19, 0
	v_mov_b32_e32 v20, 0
	v_mov_b32_e32 v21, 0
	s_waitcnt vmcnt(2)
	v_mov_b32_e32 v10, 0
	v_mov_b32_e32 v11, 0
	v_mov_b32_e32 v12, 0
	v_mov_b32_e32 v13, 0
	;; [unrolled: 5-line block ×4, first 2 shown]
	s_barrier
	s_and_saveexec_b64 s[2:3], vcc
	s_cbranch_execz .LBB78_28
; %bb.27:
	s_mul_hi_i32 s5, s18, s6
	s_mul_i32 s4, s18, s6
	s_and_b32 s9, s9, 0xffff
	s_lshl_b64 s[4:5], s[4:5], 1
	s_add_u32 s20, s28, s4
	s_mov_b32 s11, 0x20000
	s_addc_u32 s4, s29, s5
	s_and_b32 s21, s4, 0xffff
	s_mov_b32 s22, s10
	s_mov_b32 s23, s11
	s_movk_i32 s5, 0x800
	s_movk_i32 s4, 0x400
	buffer_load_dwordx4 v[22:25], v1, s[20:23], 0 offen glc slc
	buffer_load_dwordx4 v[14:17], v1, s[20:23], s4 offen glc slc
	;; [unrolled: 1-line block ×3, first 2 shown]
	buffer_load_dwordx4 v[10:13], v1, s[8:11], 0 offen
	buffer_load_dwordx4 v[6:9], v1, s[8:11], s4 offen
	;; [unrolled: 1-line block ×3, first 2 shown]
.LBB78_28:
	s_or_b64 exec, exec, s[2:3]
	v_mov_b32_e32 v27, 0
	v_mov_b32_e32 v48, 0
	;; [unrolled: 1-line block ×23, first 2 shown]
	s_and_saveexec_b64 s[2:3], vcc
	s_cbranch_execz .LBB78_30
; %bb.29:
	s_waitcnt vmcnt(5)
	v_cvt_f32_u32_sdwa v26, v22 dst_sel:DWORD dst_unused:UNUSED_PAD src0_sel:WORD_0
	v_cvt_f32_u32_sdwa v27, v22 dst_sel:DWORD dst_unused:UNUSED_PAD src0_sel:WORD_1
	v_cvt_f32_u32_sdwa v48, v23 dst_sel:DWORD dst_unused:UNUSED_PAD src0_sel:WORD_0
	v_cvt_f32_u32_sdwa v49, v23 dst_sel:DWORD dst_unused:UNUSED_PAD src0_sel:WORD_1
	v_cvt_f32_u32_sdwa v46, v24 dst_sel:DWORD dst_unused:UNUSED_PAD src0_sel:WORD_0
	v_cvt_f32_u32_sdwa v47, v24 dst_sel:DWORD dst_unused:UNUSED_PAD src0_sel:WORD_1
	v_cvt_f32_u32_sdwa v44, v25 dst_sel:DWORD dst_unused:UNUSED_PAD src0_sel:WORD_0
	v_cvt_f32_u32_sdwa v45, v25 dst_sel:DWORD dst_unused:UNUSED_PAD src0_sel:WORD_1
	s_waitcnt vmcnt(4)
	v_cvt_f32_u32_sdwa v42, v14 dst_sel:DWORD dst_unused:UNUSED_PAD src0_sel:WORD_0
	v_cvt_f32_u32_sdwa v43, v14 dst_sel:DWORD dst_unused:UNUSED_PAD src0_sel:WORD_1
	v_cvt_f32_u32_sdwa v40, v15 dst_sel:DWORD dst_unused:UNUSED_PAD src0_sel:WORD_0
	v_cvt_f32_u32_sdwa v41, v15 dst_sel:DWORD dst_unused:UNUSED_PAD src0_sel:WORD_1
	v_cvt_f32_u32_sdwa v38, v16 dst_sel:DWORD dst_unused:UNUSED_PAD src0_sel:WORD_0
	v_cvt_f32_u32_sdwa v39, v16 dst_sel:DWORD dst_unused:UNUSED_PAD src0_sel:WORD_1
	v_cvt_f32_u32_sdwa v36, v17 dst_sel:DWORD dst_unused:UNUSED_PAD src0_sel:WORD_0
	v_cvt_f32_u32_sdwa v37, v17 dst_sel:DWORD dst_unused:UNUSED_PAD src0_sel:WORD_1
	;; [unrolled: 9-line block ×3, first 2 shown]
.LBB78_30:
	s_or_b64 exec, exec, s[2:3]
	s_waitcnt vmcnt(4)
	v_mul_f32_e32 v14, v27, v27
	v_fmac_f32_e32 v14, v26, v26
	v_fmac_f32_e32 v14, v48, v48
	;; [unrolled: 1-line block ×23, first 2 shown]
	s_nop 1
	v_mov_b32_dpp v15, v14 quad_perm:[1,0,3,2] row_mask:0xf bank_mask:0xf
	v_add_f32_e32 v14, v14, v15
	s_nop 1
	v_mov_b32_dpp v15, v14 quad_perm:[2,3,0,1] row_mask:0xf bank_mask:0xf
	v_add_f32_e32 v14, v14, v15
	s_nop 1
	v_mov_b32_dpp v15, v14 row_half_mirror row_mask:0xf bank_mask:0xf
	v_add_f32_e32 v14, v14, v15
	s_nop 1
	v_mov_b32_dpp v15, v14 row_mirror row_mask:0xf bank_mask:0xf
	v_add_f32_e32 v14, v14, v15
	s_nop 1
	v_mov_b32_dpp v15, v14 row_bcast:15 row_mask:0xf bank_mask:0xf
	v_add_f32_e32 v14, v14, v15
	s_nop 1
	v_mov_b32_dpp v15, v14 row_bcast:31 row_mask:0xf bank_mask:0xf
	s_and_saveexec_b64 s[2:3], s[0:1]
	s_cbranch_execz .LBB78_32
; %bb.31:
	v_lshrrev_b32_e32 v0, 4, v0
	v_add_f32_e32 v14, v14, v15
	v_and_b32_e32 v0, 60, v0
	ds_write_b32 v0, v14 offset:16
.LBB78_32:
	s_or_b64 exec, exec, s[2:3]
	s_waitcnt lgkmcnt(0)
	s_barrier
	ds_read_b32 v0, v50 offset:16
	s_waitcnt lgkmcnt(0)
	s_nop 0
	v_mov_b32_dpp v14, v0 quad_perm:[1,0,3,2] row_mask:0xf bank_mask:0xf
	v_add_f32_e32 v0, v0, v14
	s_nop 1
	v_mov_b32_dpp v14, v0 quad_perm:[2,3,0,1] row_mask:0xf bank_mask:0xf
	s_and_saveexec_b64 s[0:1], vcc
	s_cbranch_execz .LBB78_12
; %bb.33:
	v_cvt_f32_u32_e32 v15, s16
	v_add_f32_e32 v0, v0, v14
	s_mov_b32 s11, 0x20000
	v_div_scale_f32 v14, s[0:1], v15, v15, v0
	v_rcp_f32_e32 v16, v14
	v_div_scale_f32 v17, vcc, v0, v15, v0
	s_mov_b32 s0, 0x800000
	s_waitcnt vmcnt(3)
	v_fma_f32 v18, -v14, v16, 1.0
	v_fmac_f32_e32 v16, v18, v16
	v_mul_f32_e32 v18, v17, v16
	v_fma_f32 v19, -v14, v18, v17
	v_fmac_f32_e32 v18, v19, v16
	v_fma_f32 v14, -v14, v18, v17
	v_div_fmas_f32 v14, v14, v16, v18
	v_div_fixup_f32 v0, v14, v15, v0
	v_add_f32_e32 v0, s13, v0
	v_mul_f32_e32 v14, 0x4b800000, v0
	v_cmp_gt_f32_e32 vcc, s0, v0
	v_cndmask_b32_e32 v0, v0, v14, vcc
	v_rsq_f32_e32 v0, v0
	s_mul_hi_i32 s1, s7, s6
	s_mul_i32 s0, s7, s6
	s_lshl_b64 s[0:1], s[0:1], 1
	v_mul_f32_e32 v14, 0x45800000, v0
	v_cndmask_b32_e32 v14, v0, v14, vcc
	v_mov_b32_e32 v15, v14
	;;#ASMSTART
	v_pk_mul_f32 v[16:17], v[26:27], v[14:15]
	;;#ASMEND
	;;#ASMSTART
	v_pk_mul_f32 v[18:19], v[48:49], v[14:15]
	;;#ASMEND
	;;#ASMSTART
	v_pk_mul_f32 v[20:21], v[46:47], v[14:15]
	;;#ASMEND
	;;#ASMSTART
	v_pk_mul_f32 v[22:23], v[44:45], v[14:15]
	;;#ASMEND
	;;#ASMSTART
	v_pk_mul_f32 v[24:25], v[42:43], v[14:15]
	;;#ASMEND
	;;#ASMSTART
	v_pk_mul_f32 v[26:27], v[40:41], v[14:15]
	;;#ASMEND
	s_waitcnt vmcnt(2)
	v_cvt_f32_u32_sdwa v41, v10 dst_sel:DWORD dst_unused:UNUSED_PAD src0_sel:WORD_1
	v_cvt_f32_u32_sdwa v40, v10 dst_sel:DWORD dst_unused:UNUSED_PAD src0_sel:WORD_0
	v_cvt_f32_u32_sdwa v43, v11 dst_sel:DWORD dst_unused:UNUSED_PAD src0_sel:WORD_1
	v_cvt_f32_u32_sdwa v42, v11 dst_sel:DWORD dst_unused:UNUSED_PAD src0_sel:WORD_0
	;;#ASMSTART
	v_pk_mul_f32 v[38:39], v[38:39], v[14:15]
	;;#ASMEND
	;;#ASMSTART
	v_pk_mul_f32 v[36:37], v[36:37], v[14:15]
	;;#ASMEND
	;; [unrolled: 3-line block ×6, first 2 shown]
	v_cvt_f32_u32_sdwa v29, v12 dst_sel:DWORD dst_unused:UNUSED_PAD src0_sel:WORD_1
	v_cvt_f32_u32_sdwa v28, v12 dst_sel:DWORD dst_unused:UNUSED_PAD src0_sel:WORD_0
	v_pk_add_f32 v[14:15], v[40:41], 1.0 op_sel_hi:[1,0]
	;;#ASMSTART
	v_pk_mul_f32 v[14:15], v[16:17], v[14:15]
	;;#ASMEND
	v_pk_add_f32 v[16:17], v[42:43], 1.0 op_sel_hi:[1,0]
	v_cvt_f32_u32_sdwa v41, v13 dst_sel:DWORD dst_unused:UNUSED_PAD src0_sel:WORD_1
	v_cvt_f32_u32_sdwa v40, v13 dst_sel:DWORD dst_unused:UNUSED_PAD src0_sel:WORD_0
	;;#ASMSTART
	v_pk_mul_f32 v[12:13], v[18:19], v[16:17]
	;;#ASMEND
	v_pk_add_f32 v[16:17], v[28:29], 1.0 op_sel_hi:[1,0]
	;;#ASMSTART
	v_pk_mul_f32 v[16:17], v[20:21], v[16:17]
	;;#ASMEND
	s_waitcnt vmcnt(1)
	v_cvt_f32_u32_sdwa v21, v6 dst_sel:DWORD dst_unused:UNUSED_PAD src0_sel:WORD_1
	v_cvt_f32_u32_sdwa v20, v6 dst_sel:DWORD dst_unused:UNUSED_PAD src0_sel:WORD_0
	v_pk_add_f32 v[18:19], v[40:41], 1.0 op_sel_hi:[1,0]
	v_cvt_f32_u32_sdwa v29, v7 dst_sel:DWORD dst_unused:UNUSED_PAD src0_sel:WORD_1
	v_cvt_f32_u32_sdwa v28, v7 dst_sel:DWORD dst_unused:UNUSED_PAD src0_sel:WORD_0
	;;#ASMSTART
	v_pk_mul_f32 v[6:7], v[22:23], v[18:19]
	;;#ASMEND
	v_pk_add_f32 v[18:19], v[20:21], 1.0 op_sel_hi:[1,0]
	;;#ASMSTART
	v_pk_mul_f32 v[18:19], v[24:25], v[18:19]
	;;#ASMEND
	v_cvt_f32_u32_sdwa v23, v8 dst_sel:DWORD dst_unused:UNUSED_PAD src0_sel:WORD_1
	v_cvt_f32_u32_sdwa v22, v8 dst_sel:DWORD dst_unused:UNUSED_PAD src0_sel:WORD_0
	v_cvt_f32_u32_sdwa v25, v9 dst_sel:DWORD dst_unused:UNUSED_PAD src0_sel:WORD_1
	v_cvt_f32_u32_sdwa v24, v9 dst_sel:DWORD dst_unused:UNUSED_PAD src0_sel:WORD_0
	v_pk_add_f32 v[20:21], v[28:29], 1.0 op_sel_hi:[1,0]
	;;#ASMSTART
	v_pk_mul_f32 v[8:9], v[26:27], v[20:21]
	;;#ASMEND
	v_pk_add_f32 v[20:21], v[22:23], 1.0 op_sel_hi:[1,0]
	v_pk_add_f32 v[22:23], v[24:25], 1.0 op_sel_hi:[1,0]
	s_waitcnt vmcnt(0)
	v_cvt_f32_u32_sdwa v25, v2 dst_sel:DWORD dst_unused:UNUSED_PAD src0_sel:WORD_1
	v_cvt_f32_u32_sdwa v24, v2 dst_sel:DWORD dst_unused:UNUSED_PAD src0_sel:WORD_0
	v_cvt_f32_u32_sdwa v27, v3 dst_sel:DWORD dst_unused:UNUSED_PAD src0_sel:WORD_1
	v_cvt_f32_u32_sdwa v26, v3 dst_sel:DWORD dst_unused:UNUSED_PAD src0_sel:WORD_0
	;;#ASMSTART
	v_pk_mul_f32 v[20:21], v[38:39], v[20:21]
	;;#ASMEND
	v_pk_add_f32 v[2:3], v[24:25], 1.0 op_sel_hi:[1,0]
	;;#ASMSTART
	v_pk_mul_f32 v[22:23], v[36:37], v[22:23]
	;;#ASMEND
	;;#ASMSTART
	v_pk_mul_f32 v[24:25], v[34:35], v[2:3]
	;;#ASMEND
	v_pk_add_f32 v[2:3], v[26:27], 1.0 op_sel_hi:[1,0]
	v_cvt_f32_u32_sdwa v27, v4 dst_sel:DWORD dst_unused:UNUSED_PAD src0_sel:WORD_1
	v_cvt_f32_u32_sdwa v26, v4 dst_sel:DWORD dst_unused:UNUSED_PAD src0_sel:WORD_0
	v_cvt_f32_u32_sdwa v29, v5 dst_sel:DWORD dst_unused:UNUSED_PAD src0_sel:WORD_1
	v_cvt_f32_u32_sdwa v28, v5 dst_sel:DWORD dst_unused:UNUSED_PAD src0_sel:WORD_0
	s_add_u32 s8, s24, s0
	;;#ASMSTART
	v_pk_mul_f32 v[32:33], v[32:33], v[2:3]
	;;#ASMEND
	v_pk_add_f32 v[2:3], v[26:27], 1.0 op_sel_hi:[1,0]
	s_addc_u32 s0, s25, s1
	;;#ASMSTART
	v_pk_mul_f32 v[26:27], v[30:31], v[2:3]
	;;#ASMEND
	v_pk_add_f32 v[2:3], v[28:29], 1.0 op_sel_hi:[1,0]
	s_and_b32 s9, s0, 0xffff
	s_mov_b32 s0, 0x7060302
	;;#ASMSTART
	v_pk_mul_f32 v[10:11], v[10:11], v[2:3]
	;;#ASMEND
	v_perm_b32 v2, v15, v14, s0
	v_perm_b32 v3, v13, v12, s0
	;; [unrolled: 1-line block ×4, first 2 shown]
	buffer_store_dwordx4 v[2:5], v1, s[8:11], 0 offen
	s_movk_i32 s1, 0x400
	v_perm_b32 v2, v19, v18, s0
	v_perm_b32 v3, v9, v8, s0
	v_perm_b32 v4, v21, v20, s0
	v_perm_b32 v5, v23, v22, s0
	;;#ASMSTART
	s_nop 0
	;;#ASMEND
	buffer_store_dwordx4 v[2:5], v1, s[8:11], s1 offen
	v_perm_b32 v2, v25, v24, s0
	v_perm_b32 v3, v33, v32, s0
	;; [unrolled: 1-line block ×4, first 2 shown]
	s_movk_i32 s0, 0x800
	;;#ASMSTART
	s_nop 0
	;;#ASMEND
	buffer_store_dwordx4 v[2:5], v1, s[8:11], s0 offen
	;;#ASMSTART
	s_nop 0
	;;#ASMEND
	s_endpgm
	.section	.rodata,"a",@progbits
	.p2align	6, 0x0
	.amdhsa_kernel _ZN5aiter35fused_qk_rmsnorm_group_quant_kernelItDB8_Li256ELi24ELi1ELb0ELb0ELb1ELb0ELb1ELb1EEEvPT0_PvPT_S6_S6_PKS5_S8_S8_S8_S8_ffiiiiiiiiiiiii
		.amdhsa_group_segment_fixed_size 48
		.amdhsa_private_segment_fixed_size 0
		.amdhsa_kernarg_size 400
		.amdhsa_user_sgpr_count 6
		.amdhsa_user_sgpr_private_segment_buffer 1
		.amdhsa_user_sgpr_dispatch_ptr 0
		.amdhsa_user_sgpr_queue_ptr 0
		.amdhsa_user_sgpr_kernarg_segment_ptr 1
		.amdhsa_user_sgpr_dispatch_id 0
		.amdhsa_user_sgpr_flat_scratch_init 0
		.amdhsa_user_sgpr_kernarg_preload_length 0
		.amdhsa_user_sgpr_kernarg_preload_offset 0
		.amdhsa_user_sgpr_private_segment_size 0
		.amdhsa_uses_dynamic_stack 0
		.amdhsa_system_sgpr_private_segment_wavefront_offset 0
		.amdhsa_system_sgpr_workgroup_id_x 1
		.amdhsa_system_sgpr_workgroup_id_y 1
		.amdhsa_system_sgpr_workgroup_id_z 0
		.amdhsa_system_sgpr_workgroup_info 0
		.amdhsa_system_vgpr_workitem_id 0
		.amdhsa_next_free_vgpr 51
		.amdhsa_next_free_sgpr 30
		.amdhsa_accum_offset 52
		.amdhsa_reserve_vcc 1
		.amdhsa_reserve_flat_scratch 0
		.amdhsa_float_round_mode_32 0
		.amdhsa_float_round_mode_16_64 0
		.amdhsa_float_denorm_mode_32 3
		.amdhsa_float_denorm_mode_16_64 3
		.amdhsa_dx10_clamp 1
		.amdhsa_ieee_mode 1
		.amdhsa_fp16_overflow 0
		.amdhsa_tg_split 0
		.amdhsa_exception_fp_ieee_invalid_op 0
		.amdhsa_exception_fp_denorm_src 0
		.amdhsa_exception_fp_ieee_div_zero 0
		.amdhsa_exception_fp_ieee_overflow 0
		.amdhsa_exception_fp_ieee_underflow 0
		.amdhsa_exception_fp_ieee_inexact 0
		.amdhsa_exception_int_div_zero 0
	.end_amdhsa_kernel
	.section	.text._ZN5aiter35fused_qk_rmsnorm_group_quant_kernelItDB8_Li256ELi24ELi1ELb0ELb0ELb1ELb0ELb1ELb1EEEvPT0_PvPT_S6_S6_PKS5_S8_S8_S8_S8_ffiiiiiiiiiiiii,"axG",@progbits,_ZN5aiter35fused_qk_rmsnorm_group_quant_kernelItDB8_Li256ELi24ELi1ELb0ELb0ELb1ELb0ELb1ELb1EEEvPT0_PvPT_S6_S6_PKS5_S8_S8_S8_S8_ffiiiiiiiiiiiii,comdat
.Lfunc_end78:
	.size	_ZN5aiter35fused_qk_rmsnorm_group_quant_kernelItDB8_Li256ELi24ELi1ELb0ELb0ELb1ELb0ELb1ELb1EEEvPT0_PvPT_S6_S6_PKS5_S8_S8_S8_S8_ffiiiiiiiiiiiii, .Lfunc_end78-_ZN5aiter35fused_qk_rmsnorm_group_quant_kernelItDB8_Li256ELi24ELi1ELb0ELb0ELb1ELb0ELb1ELb1EEEvPT0_PvPT_S6_S6_PKS5_S8_S8_S8_S8_ffiiiiiiiiiiiii
                                        ; -- End function
	.section	.AMDGPU.csdata,"",@progbits
; Kernel info:
; codeLenInByte = 4948
; NumSgprs: 34
; NumVgprs: 51
; NumAgprs: 0
; TotalNumVgprs: 51
; ScratchSize: 0
; MemoryBound: 0
; FloatMode: 240
; IeeeMode: 1
; LDSByteSize: 48 bytes/workgroup (compile time only)
; SGPRBlocks: 4
; VGPRBlocks: 6
; NumSGPRsForWavesPerEU: 34
; NumVGPRsForWavesPerEU: 51
; AccumOffset: 52
; Occupancy: 8
; WaveLimiterHint : 0
; COMPUTE_PGM_RSRC2:SCRATCH_EN: 0
; COMPUTE_PGM_RSRC2:USER_SGPR: 6
; COMPUTE_PGM_RSRC2:TRAP_HANDLER: 0
; COMPUTE_PGM_RSRC2:TGID_X_EN: 1
; COMPUTE_PGM_RSRC2:TGID_Y_EN: 1
; COMPUTE_PGM_RSRC2:TGID_Z_EN: 0
; COMPUTE_PGM_RSRC2:TIDIG_COMP_CNT: 0
; COMPUTE_PGM_RSRC3_GFX90A:ACCUM_OFFSET: 12
; COMPUTE_PGM_RSRC3_GFX90A:TG_SPLIT: 0
	.section	.text._ZN5aiter35fused_qk_rmsnorm_group_quant_kernelIDF16_DB8_Li256ELi24ELi1ELb0ELb0ELb0ELb0ELb1ELb1EEEvPT0_PvPT_S6_S6_PKS5_S8_S8_S8_S8_ffiiiiiiiiiiiii,"axG",@progbits,_ZN5aiter35fused_qk_rmsnorm_group_quant_kernelIDF16_DB8_Li256ELi24ELi1ELb0ELb0ELb0ELb0ELb1ELb1EEEvPT0_PvPT_S6_S6_PKS5_S8_S8_S8_S8_ffiiiiiiiiiiiii,comdat
	.protected	_ZN5aiter35fused_qk_rmsnorm_group_quant_kernelIDF16_DB8_Li256ELi24ELi1ELb0ELb0ELb0ELb0ELb1ELb1EEEvPT0_PvPT_S6_S6_PKS5_S8_S8_S8_S8_ffiiiiiiiiiiiii ; -- Begin function _ZN5aiter35fused_qk_rmsnorm_group_quant_kernelIDF16_DB8_Li256ELi24ELi1ELb0ELb0ELb0ELb0ELb1ELb1EEEvPT0_PvPT_S6_S6_PKS5_S8_S8_S8_S8_ffiiiiiiiiiiiii
	.globl	_ZN5aiter35fused_qk_rmsnorm_group_quant_kernelIDF16_DB8_Li256ELi24ELi1ELb0ELb0ELb0ELb0ELb1ELb1EEEvPT0_PvPT_S6_S6_PKS5_S8_S8_S8_S8_ffiiiiiiiiiiiii
	.p2align	8
	.type	_ZN5aiter35fused_qk_rmsnorm_group_quant_kernelIDF16_DB8_Li256ELi24ELi1ELb0ELb0ELb0ELb0ELb1ELb1EEEvPT0_PvPT_S6_S6_PKS5_S8_S8_S8_S8_ffiiiiiiiiiiiii,@function
_ZN5aiter35fused_qk_rmsnorm_group_quant_kernelIDF16_DB8_Li256ELi24ELi1ELb0ELb0ELb0ELb0ELb1ELb1EEEvPT0_PvPT_S6_S6_PKS5_S8_S8_S8_S8_ffiiiiiiiiiiiii: ; @_ZN5aiter35fused_qk_rmsnorm_group_quant_kernelIDF16_DB8_Li256ELi24ELi1ELb0ELb0ELb0ELb0ELb1ELb1EEEvPT0_PvPT_S6_S6_PKS5_S8_S8_S8_S8_ffiiiiiiiiiiiii
; %bb.0:
	s_load_dwordx4 s[12:15], s[4:5], 0x50
	s_waitcnt lgkmcnt(0)
	s_cmp_ge_i32 s6, s14
	s_cbranch_scc1 .LBB79_12
; %bb.1:
	s_load_dwordx2 s[8:9], s[4:5], 0x48
	s_load_dwordx2 s[28:29], s[4:5], 0x30
	s_load_dwordx4 s[16:19], s[4:5], 0x60
	s_cmp_lg_u32 s7, 0
	s_cselect_b64 s[10:11], -1, 0
	s_cmp_eq_u32 s7, 0
	s_cselect_b64 vcc, -1, 0
	s_and_b64 s[0:1], vcc, exec
	s_waitcnt lgkmcnt(0)
	s_cselect_b32 s7, s15, s16
	s_add_i32 s0, s7, 1
	s_lshr_b32 s1, s0, 31
	s_add_i32 s0, s0, s1
	s_lshl_b32 s0, s0, 1
	v_and_b32_e32 v2, 0x3c0, v0
	s_and_b32 s22, s0, -4
	v_lshlrev_b32_e32 v1, 3, v0
	v_mul_u32_u24_e32 v2, 24, v2
	s_movk_i32 s0, 0x1f8
	v_and_or_b32 v1, v1, s0, v2
	v_cmp_gt_i32_e64 s[2:3], s7, v1
	v_mov_b32_e32 v26, 0
	v_mov_b32_e32 v10, 0
	;; [unrolled: 1-line block ×25, first 2 shown]
	s_and_saveexec_b64 s[0:1], s[2:3]
	s_cbranch_execz .LBB79_3
; %bb.2:
	s_load_dwordx2 s[20:21], s[4:5], 0x28
	s_load_dwordx2 s[26:27], s[4:5], 0x40
	s_and_b64 s[24:25], vcc, exec
	s_cselect_b32 s14, s17, s18
	s_mov_b32 s23, 0x20000
	s_waitcnt lgkmcnt(0)
	s_cselect_b32 s17, s21, s29
	s_cselect_b32 s19, s20, s28
	s_mul_hi_i32 s21, s14, s6
	s_mul_i32 s20, s14, s6
	s_lshl_b64 s[20:21], s[20:21], 1
	s_add_u32 s24, s19, s20
	s_addc_u32 s14, s17, s21
	s_and_b64 s[20:21], vcc, exec
	s_cselect_b32 s17, s27, s9
	s_cselect_b32 s20, s26, s8
	s_and_b32 s21, s17, 0xffff
	s_and_b32 s25, s14, 0xffff
	s_mov_b32 s26, s22
	s_mov_b32 s27, s23
	v_lshlrev_b32_e32 v27, 1, v1
	s_movk_i32 s17, 0x800
	s_movk_i32 s14, 0x400
	buffer_load_dwordx4 v[22:25], v27, s[24:27], 0 offen glc slc
	buffer_load_dwordx4 v[14:17], v27, s[24:27], s14 offen glc slc
	;; [unrolled: 1-line block ×3, first 2 shown]
	buffer_load_dwordx4 v[10:13], v27, s[20:23], 0 offen
	buffer_load_dwordx4 v[6:9], v27, s[20:23], s14 offen
	;; [unrolled: 1-line block ×3, first 2 shown]
.LBB79_3:
	s_or_b64 exec, exec, s[0:1]
	v_mov_b32_e32 v27, 0
	v_mov_b32_e32 v48, 0
	;; [unrolled: 1-line block ×23, first 2 shown]
	s_and_saveexec_b64 s[0:1], s[2:3]
	s_cbranch_execz .LBB79_5
; %bb.4:
	s_waitcnt vmcnt(5)
	v_cvt_f32_f16_sdwa v27, v22 dst_sel:DWORD dst_unused:UNUSED_PAD src0_sel:WORD_1
	v_cvt_f32_f16_e32 v26, v22
	v_cvt_f32_f16_sdwa v49, v23 dst_sel:DWORD dst_unused:UNUSED_PAD src0_sel:WORD_1
	v_cvt_f32_f16_e32 v48, v23
	v_cvt_f32_f16_sdwa v45, v24 dst_sel:DWORD dst_unused:UNUSED_PAD src0_sel:WORD_1
	v_cvt_f32_f16_e32 v44, v24
	v_cvt_f32_f16_sdwa v41, v25 dst_sel:DWORD dst_unused:UNUSED_PAD src0_sel:WORD_1
	v_cvt_f32_f16_e32 v40, v25
	s_waitcnt vmcnt(4)
	v_cvt_f32_f16_sdwa v47, v14 dst_sel:DWORD dst_unused:UNUSED_PAD src0_sel:WORD_1
	v_cvt_f32_f16_e32 v46, v14
	v_cvt_f32_f16_sdwa v43, v15 dst_sel:DWORD dst_unused:UNUSED_PAD src0_sel:WORD_1
	v_cvt_f32_f16_e32 v42, v15
	v_cvt_f32_f16_sdwa v37, v16 dst_sel:DWORD dst_unused:UNUSED_PAD src0_sel:WORD_1
	v_cvt_f32_f16_e32 v36, v16
	v_cvt_f32_f16_sdwa v33, v17 dst_sel:DWORD dst_unused:UNUSED_PAD src0_sel:WORD_1
	v_cvt_f32_f16_e32 v32, v17
	;; [unrolled: 9-line block ×3, first 2 shown]
.LBB79_5:
	s_or_b64 exec, exec, s[0:1]
	s_waitcnt vmcnt(4)
	v_mul_f32_e32 v14, v27, v27
	v_fmac_f32_e32 v14, v26, v26
	v_fmac_f32_e32 v14, v48, v48
	;; [unrolled: 1-line block ×23, first 2 shown]
	v_and_b32_e32 v16, 63, v0
	v_cmp_eq_u32_e64 s[0:1], 63, v16
	v_mov_b32_dpp v15, v14 quad_perm:[1,0,3,2] row_mask:0xf bank_mask:0xf
	v_add_f32_e32 v14, v14, v15
	s_nop 1
	v_mov_b32_dpp v15, v14 quad_perm:[2,3,0,1] row_mask:0xf bank_mask:0xf
	v_add_f32_e32 v14, v14, v15
	s_nop 1
	v_mov_b32_dpp v15, v14 row_half_mirror row_mask:0xf bank_mask:0xf
	v_add_f32_e32 v14, v14, v15
	s_nop 1
	v_mov_b32_dpp v15, v14 row_mirror row_mask:0xf bank_mask:0xf
	v_add_f32_e32 v14, v14, v15
	s_nop 1
	v_mov_b32_dpp v15, v14 row_bcast:15 row_mask:0xf bank_mask:0xf
	v_add_f32_e32 v14, v14, v15
	s_nop 1
	v_mov_b32_dpp v15, v14 row_bcast:31 row_mask:0xf bank_mask:0xf
	s_and_saveexec_b64 s[20:21], s[0:1]
	s_cbranch_execz .LBB79_7
; %bb.6:
	v_add_f32_e32 v14, v14, v15
	v_lshrrev_b32_e32 v15, 4, v0
	v_and_b32_e32 v15, 60, v15
	ds_write_b32 v15, v14 offset:32
.LBB79_7:
	s_or_b64 exec, exec, s[20:21]
	v_and_b32_e32 v14, 3, v0
	v_lshlrev_b32_e32 v50, 2, v14
	s_waitcnt lgkmcnt(0)
	s_barrier
	ds_read_b32 v14, v50 offset:32
	s_load_dwordx2 s[24:25], s[4:5], 0x18
	s_waitcnt lgkmcnt(0)
	v_mov_b32_dpp v15, v14 quad_perm:[1,0,3,2] row_mask:0xf bank_mask:0xf
	v_add_f32_e32 v14, v14, v15
	s_nop 1
	v_mov_b32_dpp v15, v14 quad_perm:[2,3,0,1] row_mask:0xf bank_mask:0xf
	s_and_saveexec_b64 s[20:21], s[2:3]
	s_cbranch_execz .LBB79_9
; %bb.8:
	v_cvt_f32_u32_e32 v16, s7
	v_add_f32_e32 v14, v14, v15
	s_waitcnt vmcnt(3)
	v_mov_b32_e32 v18, s13
	v_mov_b32_e32 v19, s12
	v_div_scale_f32 v15, s[26:27], v16, v16, v14
	v_rcp_f32_e32 v17, v15
	v_cndmask_b32_e32 v18, v18, v19, vcc
	s_mov_b32 s7, 0x800000
	v_fma_f32 v19, -v15, v17, 1.0
	v_fmac_f32_e32 v17, v19, v17
	v_div_scale_f32 v19, vcc, v14, v16, v14
	v_mul_f32_e32 v20, v19, v17
	v_fma_f32 v21, -v15, v20, v19
	v_fmac_f32_e32 v20, v21, v17
	v_fma_f32 v15, -v15, v20, v19
	v_div_fmas_f32 v15, v15, v17, v20
	v_div_fixup_f32 v14, v15, v16, v14
	v_add_f32_e32 v14, v18, v14
	v_mul_f32_e32 v15, 0x4b800000, v14
	v_cmp_gt_f32_e32 vcc, s7, v14
	v_cndmask_b32_e32 v14, v14, v15, vcc
	v_rsq_f32_e32 v14, v14
	v_mul_f32_e32 v15, 0x45800000, v14
	v_cndmask_b32_e32 v14, v14, v15, vcc
	v_mov_b32_e32 v15, v14
	;;#ASMSTART
	v_pk_mul_f32 v[16:17], v[26:27], v[14:15]
	;;#ASMEND
	;;#ASMSTART
	v_pk_mul_f32 v[18:19], v[48:49], v[14:15]
	;;#ASMEND
	;; [unrolled: 3-line block ×12, first 2 shown]
	s_waitcnt vmcnt(2)
	v_cvt_f32_f16_sdwa v27, v10 dst_sel:DWORD dst_unused:UNUSED_PAD src0_sel:WORD_1
	v_cvt_f32_f16_e32 v26, v10
	v_cvt_f32_f16_sdwa v29, v11 dst_sel:DWORD dst_unused:UNUSED_PAD src0_sel:WORD_1
	v_cvt_f32_f16_e32 v28, v11
	;; [unrolled: 2-line block ×4, first 2 shown]
	;;#ASMSTART
	v_pk_mul_f32 v[26:27], v[16:17], v[26:27]
	;;#ASMEND
	;;#ASMSTART
	v_pk_mul_f32 v[48:49], v[18:19], v[28:29]
	;;#ASMEND
	;; [unrolled: 3-line block ×3, first 2 shown]
	s_waitcnt vmcnt(1)
	v_cvt_f32_f16_sdwa v11, v6 dst_sel:DWORD dst_unused:UNUSED_PAD src0_sel:WORD_1
	v_cvt_f32_f16_e32 v10, v6
	v_cvt_f32_f16_sdwa v13, v7 dst_sel:DWORD dst_unused:UNUSED_PAD src0_sel:WORD_1
	v_cvt_f32_f16_e32 v12, v7
	;; [unrolled: 2-line block ×3, first 2 shown]
	;;#ASMSTART
	v_pk_mul_f32 v[40:41], v[22:23], v[40:41]
	;;#ASMEND
	v_cvt_f32_f16_sdwa v17, v9 dst_sel:DWORD dst_unused:UNUSED_PAD src0_sel:WORD_1
	v_cvt_f32_f16_e32 v16, v9
	;;#ASMSTART
	v_pk_mul_f32 v[46:47], v[24:25], v[10:11]
	;;#ASMEND
	;;#ASMSTART
	v_pk_mul_f32 v[42:43], v[42:43], v[12:13]
	;;#ASMEND
	;; [unrolled: 3-line block ×4, first 2 shown]
	s_waitcnt vmcnt(0)
	v_cvt_f32_f16_sdwa v7, v2 dst_sel:DWORD dst_unused:UNUSED_PAD src0_sel:WORD_1
	v_cvt_f32_f16_e32 v6, v2
	v_cvt_f32_f16_sdwa v9, v3 dst_sel:DWORD dst_unused:UNUSED_PAD src0_sel:WORD_1
	v_cvt_f32_f16_e32 v8, v3
	;; [unrolled: 2-line block ×4, first 2 shown]
	;;#ASMSTART
	v_pk_mul_f32 v[38:39], v[38:39], v[6:7]
	;;#ASMEND
	;;#ASMSTART
	v_pk_mul_f32 v[34:35], v[34:35], v[8:9]
	;;#ASMEND
	;; [unrolled: 3-line block ×4, first 2 shown]
.LBB79_9:
	s_or_b64 exec, exec, s[20:21]
	s_load_dword s7, s[4:5], 0x80
	s_mov_b64 s[20:21], -1
	s_and_b64 vcc, exec, s[10:11]
	s_cbranch_vccnz .LBB79_13
; %bb.10:
	s_andn2_b64 vcc, exec, s[20:21]
	s_cbranch_vccz .LBB79_16
.LBB79_11:
	s_cmp_lt_i32 s16, 1
	s_cbranch_scc0 .LBB79_25
.LBB79_12:
	s_endpgm
.LBB79_13:
	s_and_saveexec_b64 s[10:11], s[2:3]
	s_cbranch_execz .LBB79_15
; %bb.14:
	s_waitcnt lgkmcnt(0)
	s_mul_hi_i32 s21, s7, s6
	s_mul_i32 s20, s7, s6
	s_waitcnt vmcnt(0)
	v_cvt_f16_f32_e32 v2, v26
	v_cvt_f16_f32_e32 v3, v48
	;; [unrolled: 1-line block ×8, first 2 shown]
	s_lshl_b64 s[20:21], s[20:21], 1
	s_add_u32 s20, s24, s20
	s_addc_u32 s12, s25, s21
	s_and_b32 s21, s12, 0xffff
	s_mov_b32 s23, 0x20000
	v_pack_b32_f16 v5, v5, v6
	v_pack_b32_f16 v4, v4, v7
	;; [unrolled: 1-line block ×4, first 2 shown]
	v_lshlrev_b32_e32 v6, 1, v1
	buffer_store_dwordx4 v[2:5], v6, s[20:23], 0 offen
	v_cvt_f16_f32_e32 v7, v33
	v_cvt_f16_f32_e32 v2, v46
	;; [unrolled: 1-line block ×8, first 2 shown]
	v_pack_b32_f16 v5, v5, v7
	v_pack_b32_f16 v4, v4, v8
	;; [unrolled: 1-line block ×4, first 2 shown]
	s_movk_i32 s12, 0x400
	;;#ASMSTART
	s_nop 0
	;;#ASMEND
	buffer_store_dwordx4 v[2:5], v6, s[20:23], s12 offen
	v_cvt_f16_f32_e32 v2, v38
	v_cvt_f16_f32_e32 v3, v34
	;; [unrolled: 1-line block ×8, first 2 shown]
	v_pack_b32_f16 v5, v5, v7
	v_pack_b32_f16 v4, v4, v8
	;; [unrolled: 1-line block ×4, first 2 shown]
	s_movk_i32 s12, 0x800
	;;#ASMSTART
	s_nop 0
	;;#ASMEND
	buffer_store_dwordx4 v[2:5], v6, s[20:23], s12 offen
	;;#ASMSTART
	s_nop 0
	;;#ASMEND
.LBB79_15:
	s_or_b64 exec, exec, s[10:11]
	s_cbranch_execnz .LBB79_11
.LBB79_16:
	s_waitcnt vmcnt(0)
	v_mov_b32_e32 v2, 0
	s_and_saveexec_b64 s[10:11], s[2:3]
	s_cbranch_execz .LBB79_18
; %bb.17:
	v_and_b32_e32 v2, 0x7fffffff, v26
	v_and_b32_e32 v3, 0x7fffffff, v27
	v_mov_b32_e32 v4, 0x2edbe6ff
	;;#ASMSTART
	v_max3_f32 v2, v4, v2, v3

	;;#ASMEND
	v_and_b32_e32 v3, 0x7fffffff, v48
	v_and_b32_e32 v4, 0x7fffffff, v49
	;;#ASMSTART
	v_max3_f32 v2, v2, v3, v4

	;;#ASMEND
	v_and_b32_e32 v3, 0x7fffffff, v44
	v_and_b32_e32 v4, 0x7fffffff, v45
	;; [unrolled: 6-line block ×11, first 2 shown]
	;;#ASMSTART
	v_max3_f32 v2, v2, v3, v4

	;;#ASMEND
.LBB79_18:
	s_or_b64 exec, exec, s[10:11]
	s_nop 0
	v_mov_b32_dpp v3, v2 quad_perm:[1,0,3,2] row_mask:0xf bank_mask:0xf
	v_cmp_gt_f32_e32 vcc, v2, v3
	v_cndmask_b32_e32 v2, v3, v2, vcc
	s_nop 1
	v_mov_b32_dpp v3, v2 quad_perm:[2,3,0,1] row_mask:0xf bank_mask:0xf
	v_cmp_gt_f32_e32 vcc, v2, v3
	v_cndmask_b32_e32 v2, v3, v2, vcc
	s_nop 1
	v_mov_b32_dpp v3, v2 row_half_mirror row_mask:0xf bank_mask:0xf
	v_cmp_gt_f32_e32 vcc, v2, v3
	v_cndmask_b32_e32 v2, v3, v2, vcc
	s_nop 1
	v_mov_b32_dpp v3, v2 row_mirror row_mask:0xf bank_mask:0xf
	v_cmp_gt_f32_e32 vcc, v2, v3
	v_cndmask_b32_e32 v2, v3, v2, vcc
	s_nop 1
	v_mov_b32_dpp v3, v2 row_bcast:15 row_mask:0xf bank_mask:0xf
	v_cmp_gt_f32_e32 vcc, v2, v3
	v_cndmask_b32_e32 v2, v3, v2, vcc
	s_nop 1
	v_mov_b32_dpp v3, v2 row_bcast:31 row_mask:0xf bank_mask:0xf
	s_and_saveexec_b64 s[10:11], s[0:1]
	s_cbranch_execz .LBB79_20
; %bb.19:
	v_cmp_gt_f32_e32 vcc, v2, v3
	v_cndmask_b32_e32 v2, v3, v2, vcc
	v_lshrrev_b32_e32 v3, 4, v0
	v_and_b32_e32 v3, 60, v3
	ds_write_b32 v3, v2
.LBB79_20:
	s_or_b64 exec, exec, s[10:11]
	s_waitcnt lgkmcnt(0)
	s_barrier
	ds_read_b32 v2, v50
	s_load_dwordx2 s[20:21], s[4:5], 0x70
	s_waitcnt lgkmcnt(0)
	v_mov_b32_dpp v3, v2 quad_perm:[1,0,3,2] row_mask:0xf bank_mask:0xf
	v_cmp_gt_f32_e32 vcc, v2, v3
	v_cndmask_b32_e32 v2, v3, v2, vcc
	s_nop 1
	v_mov_b32_dpp v3, v2 quad_perm:[2,3,0,1] row_mask:0xf bank_mask:0xf
	v_cmp_gt_f32_e32 vcc, v2, v3
	v_cndmask_b32_e32 v2, v3, v2, vcc
	v_mul_f32_e32 v2, 0x3b124925, v2
	v_cmp_eq_u32_e32 vcc, 0, v0
	s_and_saveexec_b64 s[10:11], vcc
	s_cbranch_execz .LBB79_22
; %bb.21:
	s_load_dwordx2 s[22:23], s[4:5], 0x8
	s_mul_hi_i32 s27, s21, s6
	s_mul_i32 s26, s21, s6
	s_lshl_b64 s[26:27], s[26:27], 2
	v_mov_b32_e32 v3, 0
	s_waitcnt lgkmcnt(0)
	s_add_u32 s22, s22, s26
	s_addc_u32 s23, s23, s27
	global_store_dword v3, v2, s[22:23]
.LBB79_22:
	s_or_b64 exec, exec, s[10:11]
	;;#ASMSTART
	v_rcp_f32 v2, v2
	;;#ASMEND
	s_and_saveexec_b64 s[10:11], s[2:3]
	s_cbranch_execz .LBB79_24
; %bb.23:
	s_load_dwordx2 s[2:3], s[4:5], 0x0
	s_mul_i32 s14, s20, s6
	s_mul_hi_i32 s12, s20, s6
	v_mov_b32_e32 v3, v2
	;;#ASMSTART
	v_pk_mul_f32 v[4:5], v[26:27], v[2:3]
	;;#ASMEND
	s_waitcnt lgkmcnt(0)
	s_add_u32 s20, s2, s14
	s_addc_u32 s2, s3, s12
	s_add_i32 s3, s15, 3
	s_ashr_i32 s12, s3, 31
	v_mov_b32_e32 v8, 0xc3e00000
	v_mov_b32_e32 v9, 0x43e00000
	;;#ASMSTART
	v_med3_f32 v4, v4, v8, v9
v_med3_f32 v5, v5, v8, v9
v_cvt_pk_fp8_f32 v6, v4, v5
	;;#ASMEND
	s_lshr_b32 s12, s12, 30
	;;#ASMSTART
	v_pk_mul_f32 v[4:5], v[48:49], v[2:3]
	;;#ASMEND
	s_add_i32 s3, s3, s12
	s_and_b32 s21, s2, 0xffff
	;;#ASMSTART
	v_med3_f32 v4, v4, v8, v9
v_med3_f32 v5, v5, v8, v9
v_cvt_pk_fp8_f32 v7, v4, v5
	;;#ASMEND
	s_mov_b32 s2, 0x5040100
	s_and_b32 s22, s3, -4
	v_perm_b32 v5, v7, v6, s2
	s_movk_i32 s3, 0xff
	v_and_b32_e32 v4, 0xffffff00, v7
	v_and_b32_sdwa v6, v5, s3 dst_sel:DWORD dst_unused:UNUSED_PAD src0_sel:WORD_1 src1_sel:DWORD
	s_mov_b32 s17, 0xffff
	v_or_b32_sdwa v4, v6, v4 dst_sel:WORD_1 dst_unused:UNUSED_PAD src0_sel:DWORD src1_sel:DWORD
	v_and_or_b32 v4, v5, s17, v4
	;;#ASMSTART
	v_pk_mul_f32 v[6:7], v[44:45], v[2:3]
	;;#ASMEND
	v_mov_b32_e32 v5, v7
	;;#ASMSTART
	v_med3_f32 v6, v6, v8, v9
v_med3_f32 v5, v5, v8, v9
v_cvt_pk_fp8_f32 v10, v6, v5
	;;#ASMEND
	;;#ASMSTART
	v_pk_mul_f32 v[6:7], v[40:41], v[2:3]
	;;#ASMEND
	v_mov_b32_e32 v5, v7
	;;#ASMSTART
	v_med3_f32 v6, v6, v8, v9
v_med3_f32 v5, v5, v8, v9
v_cvt_pk_fp8_f32 v7, v6, v5
	;;#ASMEND
	v_lshlrev_b32_e32 v5, 16, v7
	s_mov_b32 s23, 0x20000
	v_and_or_b32 v5, v10, s17, v5
	buffer_store_dwordx2 v[4:5], v1, s[20:23], 0 offen
	;;#ASMSTART
	s_nop 0
	;;#ASMEND
	;;#ASMSTART
	v_pk_mul_f32 v[4:5], v[46:47], v[2:3]
	;;#ASMEND
	;;#ASMSTART
	v_med3_f32 v4, v4, v8, v9
v_med3_f32 v5, v5, v8, v9
v_cvt_pk_fp8_f32 v6, v4, v5
	;;#ASMEND
	;;#ASMSTART
	v_pk_mul_f32 v[4:5], v[42:43], v[2:3]
	;;#ASMEND
	;;#ASMSTART
	v_med3_f32 v4, v4, v8, v9
v_med3_f32 v5, v5, v8, v9
v_cvt_pk_fp8_f32 v7, v4, v5
	;;#ASMEND
	v_perm_b32 v5, v7, v6, s2
	v_and_b32_e32 v4, 0xffffff00, v7
	v_and_b32_sdwa v6, v5, s3 dst_sel:DWORD dst_unused:UNUSED_PAD src0_sel:WORD_1 src1_sel:DWORD
	v_or_b32_sdwa v4, v6, v4 dst_sel:WORD_1 dst_unused:UNUSED_PAD src0_sel:DWORD src1_sel:DWORD
	v_and_or_b32 v4, v5, s17, v4
	;;#ASMSTART
	v_pk_mul_f32 v[6:7], v[36:37], v[2:3]
	;;#ASMEND
	v_mov_b32_e32 v5, v7
	;;#ASMSTART
	v_med3_f32 v6, v6, v8, v9
v_med3_f32 v5, v5, v8, v9
v_cvt_pk_fp8_f32 v10, v6, v5
	;;#ASMEND
	;;#ASMSTART
	v_pk_mul_f32 v[6:7], v[32:33], v[2:3]
	;;#ASMEND
	v_mov_b32_e32 v5, v7
	;;#ASMSTART
	v_med3_f32 v6, v6, v8, v9
v_med3_f32 v5, v5, v8, v9
v_cvt_pk_fp8_f32 v7, v6, v5
	;;#ASMEND
	v_lshlrev_b32_e32 v5, 16, v7
	v_and_or_b32 v5, v10, s17, v5
	s_movk_i32 s12, 0x200
	buffer_store_dwordx2 v[4:5], v1, s[20:23], s12 offen
	;;#ASMSTART
	s_nop 0
	;;#ASMEND
	;;#ASMSTART
	v_pk_mul_f32 v[4:5], v[38:39], v[2:3]
	;;#ASMEND
	;;#ASMSTART
	v_med3_f32 v4, v4, v8, v9
v_med3_f32 v5, v5, v8, v9
v_cvt_pk_fp8_f32 v6, v4, v5
	;;#ASMEND
	;;#ASMSTART
	v_pk_mul_f32 v[4:5], v[34:35], v[2:3]
	;;#ASMEND
	;;#ASMSTART
	v_med3_f32 v4, v4, v8, v9
v_med3_f32 v5, v5, v8, v9
v_cvt_pk_fp8_f32 v7, v4, v5
	;;#ASMEND
	v_perm_b32 v5, v7, v6, s2
	v_and_b32_e32 v4, 0xffffff00, v7
	v_and_b32_sdwa v6, v5, s3 dst_sel:DWORD dst_unused:UNUSED_PAD src0_sel:WORD_1 src1_sel:DWORD
	v_or_b32_sdwa v4, v6, v4 dst_sel:WORD_1 dst_unused:UNUSED_PAD src0_sel:DWORD src1_sel:DWORD
	v_and_or_b32 v4, v5, s17, v4
	;;#ASMSTART
	v_pk_mul_f32 v[6:7], v[30:31], v[2:3]
	;;#ASMEND
	v_mov_b32_e32 v5, v7
	;;#ASMSTART
	v_med3_f32 v6, v6, v8, v9
v_med3_f32 v5, v5, v8, v9
v_cvt_pk_fp8_f32 v7, v6, v5
	;;#ASMEND
	;;#ASMSTART
	v_pk_mul_f32 v[2:3], v[28:29], v[2:3]
	;;#ASMEND
	;;#ASMSTART
	v_med3_f32 v2, v2, v8, v9
v_med3_f32 v3, v3, v8, v9
v_cvt_pk_fp8_f32 v5, v2, v3
	;;#ASMEND
	v_lshlrev_b32_e32 v2, 16, v5
	v_and_or_b32 v5, v7, s17, v2
	s_movk_i32 s2, 0x400
	buffer_store_dwordx2 v[4:5], v1, s[20:23], s2 offen
	;;#ASMSTART
	s_nop 0
	;;#ASMEND
.LBB79_24:
	s_or_b64 exec, exec, s[10:11]
	s_cmp_lt_i32 s16, 1
	s_cbranch_scc1 .LBB79_12
.LBB79_25:
	s_load_dword s2, s[4:5], 0x94
	s_waitcnt lgkmcnt(0)
	s_cmp_lg_u32 s2, 1
	s_cbranch_scc1 .LBB79_12
; %bb.26:
	s_lshl_b32 s2, s16, 1
	s_add_i32 s2, s2, 2
	v_cmp_gt_u32_e32 vcc, s16, v1
	s_and_b32 s10, s2, -4
	v_mov_b32_e32 v26, 0
	v_lshlrev_b32_e32 v1, 1, v1
	v_mov_b32_e32 v22, 0
	v_mov_b32_e32 v23, 0
	v_mov_b32_e32 v24, 0
	v_mov_b32_e32 v25, 0
	v_mov_b32_e32 v14, 0
	v_mov_b32_e32 v15, 0
	v_mov_b32_e32 v16, 0
	v_mov_b32_e32 v17, 0
	s_waitcnt vmcnt(3)
	v_mov_b32_e32 v18, 0
	v_mov_b32_e32 v19, 0
	v_mov_b32_e32 v20, 0
	v_mov_b32_e32 v21, 0
	s_waitcnt vmcnt(2)
	v_mov_b32_e32 v10, 0
	v_mov_b32_e32 v11, 0
	v_mov_b32_e32 v12, 0
	v_mov_b32_e32 v13, 0
	;; [unrolled: 5-line block ×4, first 2 shown]
	s_barrier
	s_and_saveexec_b64 s[2:3], vcc
	s_cbranch_execz .LBB79_28
; %bb.27:
	s_mul_hi_i32 s5, s18, s6
	s_mul_i32 s4, s18, s6
	s_and_b32 s9, s9, 0xffff
	s_lshl_b64 s[4:5], s[4:5], 1
	s_add_u32 s20, s28, s4
	s_mov_b32 s11, 0x20000
	s_addc_u32 s4, s29, s5
	s_and_b32 s21, s4, 0xffff
	s_mov_b32 s22, s10
	s_mov_b32 s23, s11
	s_movk_i32 s5, 0x800
	s_movk_i32 s4, 0x400
	buffer_load_dwordx4 v[22:25], v1, s[20:23], 0 offen glc slc
	buffer_load_dwordx4 v[14:17], v1, s[20:23], s4 offen glc slc
	;; [unrolled: 1-line block ×3, first 2 shown]
	buffer_load_dwordx4 v[10:13], v1, s[8:11], 0 offen
	buffer_load_dwordx4 v[6:9], v1, s[8:11], s4 offen
	buffer_load_dwordx4 v[2:5], v1, s[8:11], s5 offen
.LBB79_28:
	s_or_b64 exec, exec, s[2:3]
	v_mov_b32_e32 v27, 0
	v_mov_b32_e32 v48, 0
	;; [unrolled: 1-line block ×23, first 2 shown]
	s_and_saveexec_b64 s[2:3], vcc
	s_cbranch_execz .LBB79_30
; %bb.29:
	s_waitcnt vmcnt(5)
	v_cvt_f32_f16_sdwa v27, v22 dst_sel:DWORD dst_unused:UNUSED_PAD src0_sel:WORD_1
	v_cvt_f32_f16_e32 v26, v22
	v_cvt_f32_f16_sdwa v49, v23 dst_sel:DWORD dst_unused:UNUSED_PAD src0_sel:WORD_1
	v_cvt_f32_f16_e32 v48, v23
	v_cvt_f32_f16_sdwa v47, v24 dst_sel:DWORD dst_unused:UNUSED_PAD src0_sel:WORD_1
	v_cvt_f32_f16_e32 v46, v24
	v_cvt_f32_f16_sdwa v45, v25 dst_sel:DWORD dst_unused:UNUSED_PAD src0_sel:WORD_1
	v_cvt_f32_f16_e32 v44, v25
	s_waitcnt vmcnt(4)
	v_cvt_f32_f16_sdwa v43, v14 dst_sel:DWORD dst_unused:UNUSED_PAD src0_sel:WORD_1
	v_cvt_f32_f16_e32 v42, v14
	v_cvt_f32_f16_sdwa v41, v15 dst_sel:DWORD dst_unused:UNUSED_PAD src0_sel:WORD_1
	v_cvt_f32_f16_e32 v40, v15
	v_cvt_f32_f16_sdwa v39, v16 dst_sel:DWORD dst_unused:UNUSED_PAD src0_sel:WORD_1
	v_cvt_f32_f16_e32 v38, v16
	v_cvt_f32_f16_sdwa v37, v17 dst_sel:DWORD dst_unused:UNUSED_PAD src0_sel:WORD_1
	v_cvt_f32_f16_e32 v36, v17
	;; [unrolled: 9-line block ×3, first 2 shown]
.LBB79_30:
	s_or_b64 exec, exec, s[2:3]
	s_waitcnt vmcnt(4)
	v_mul_f32_e32 v14, v27, v27
	v_fmac_f32_e32 v14, v26, v26
	v_fmac_f32_e32 v14, v48, v48
	;; [unrolled: 1-line block ×23, first 2 shown]
	s_nop 1
	v_mov_b32_dpp v15, v14 quad_perm:[1,0,3,2] row_mask:0xf bank_mask:0xf
	v_add_f32_e32 v14, v14, v15
	s_nop 1
	v_mov_b32_dpp v15, v14 quad_perm:[2,3,0,1] row_mask:0xf bank_mask:0xf
	v_add_f32_e32 v14, v14, v15
	s_nop 1
	v_mov_b32_dpp v15, v14 row_half_mirror row_mask:0xf bank_mask:0xf
	v_add_f32_e32 v14, v14, v15
	s_nop 1
	v_mov_b32_dpp v15, v14 row_mirror row_mask:0xf bank_mask:0xf
	v_add_f32_e32 v14, v14, v15
	s_nop 1
	v_mov_b32_dpp v15, v14 row_bcast:15 row_mask:0xf bank_mask:0xf
	v_add_f32_e32 v14, v14, v15
	s_nop 1
	v_mov_b32_dpp v15, v14 row_bcast:31 row_mask:0xf bank_mask:0xf
	s_and_saveexec_b64 s[2:3], s[0:1]
	s_cbranch_execz .LBB79_32
; %bb.31:
	v_lshrrev_b32_e32 v0, 4, v0
	v_add_f32_e32 v14, v14, v15
	v_and_b32_e32 v0, 60, v0
	ds_write_b32 v0, v14 offset:16
.LBB79_32:
	s_or_b64 exec, exec, s[2:3]
	s_waitcnt lgkmcnt(0)
	s_barrier
	ds_read_b32 v0, v50 offset:16
	s_waitcnt lgkmcnt(0)
	s_nop 0
	v_mov_b32_dpp v14, v0 quad_perm:[1,0,3,2] row_mask:0xf bank_mask:0xf
	v_add_f32_e32 v0, v0, v14
	s_nop 1
	v_mov_b32_dpp v14, v0 quad_perm:[2,3,0,1] row_mask:0xf bank_mask:0xf
	s_and_saveexec_b64 s[0:1], vcc
	s_cbranch_execz .LBB79_12
; %bb.33:
	v_cvt_f32_u32_e32 v15, s16
	v_add_f32_e32 v0, v0, v14
	s_mov_b32 s11, 0x20000
	v_div_scale_f32 v14, s[0:1], v15, v15, v0
	v_rcp_f32_e32 v16, v14
	v_div_scale_f32 v17, vcc, v0, v15, v0
	s_mov_b32 s0, 0x800000
	s_waitcnt vmcnt(3)
	v_fma_f32 v18, -v14, v16, 1.0
	v_fmac_f32_e32 v16, v18, v16
	v_mul_f32_e32 v18, v17, v16
	v_fma_f32 v19, -v14, v18, v17
	v_fmac_f32_e32 v18, v19, v16
	v_fma_f32 v14, -v14, v18, v17
	v_div_fmas_f32 v14, v14, v16, v18
	v_div_fixup_f32 v0, v14, v15, v0
	v_add_f32_e32 v0, s13, v0
	v_mul_f32_e32 v14, 0x4b800000, v0
	v_cmp_gt_f32_e32 vcc, s0, v0
	v_cndmask_b32_e32 v0, v0, v14, vcc
	v_rsq_f32_e32 v0, v0
	s_mul_hi_i32 s1, s7, s6
	s_mul_i32 s0, s7, s6
	s_lshl_b64 s[0:1], s[0:1], 1
	v_mul_f32_e32 v14, 0x45800000, v0
	v_cndmask_b32_e32 v14, v0, v14, vcc
	v_mov_b32_e32 v15, v14
	;;#ASMSTART
	v_pk_mul_f32 v[16:17], v[26:27], v[14:15]
	;;#ASMEND
	;;#ASMSTART
	v_pk_mul_f32 v[18:19], v[48:49], v[14:15]
	;;#ASMEND
	;; [unrolled: 3-line block ×12, first 2 shown]
	s_waitcnt vmcnt(2)
	v_cvt_f32_f16_sdwa v29, v10 dst_sel:DWORD dst_unused:UNUSED_PAD src0_sel:WORD_1
	v_cvt_f32_f16_e32 v28, v10
	v_cvt_f32_f16_sdwa v41, v11 dst_sel:DWORD dst_unused:UNUSED_PAD src0_sel:WORD_1
	v_cvt_f32_f16_e32 v40, v11
	;; [unrolled: 2-line block ×4, first 2 shown]
	;;#ASMSTART
	v_pk_mul_f32 v[12:13], v[16:17], v[28:29]
	;;#ASMEND
	;;#ASMSTART
	v_pk_mul_f32 v[16:17], v[18:19], v[40:41]
	;;#ASMEND
	;; [unrolled: 3-line block ×3, first 2 shown]
	s_waitcnt vmcnt(1)
	v_cvt_f32_f16_sdwa v21, v6 dst_sel:DWORD dst_unused:UNUSED_PAD src0_sel:WORD_1
	v_cvt_f32_f16_e32 v20, v6
	;;#ASMSTART
	v_pk_mul_f32 v[18:19], v[22:23], v[42:43]
	;;#ASMEND
	v_cvt_f32_f16_sdwa v23, v7 dst_sel:DWORD dst_unused:UNUSED_PAD src0_sel:WORD_1
	v_cvt_f32_f16_e32 v22, v7
	v_cvt_f32_f16_sdwa v7, v8 dst_sel:DWORD dst_unused:UNUSED_PAD src0_sel:WORD_1
	v_cvt_f32_f16_e32 v6, v8
	;; [unrolled: 2-line block ×3, first 2 shown]
	;;#ASMSTART
	v_pk_mul_f32 v[8:9], v[24:25], v[20:21]
	;;#ASMEND
	;;#ASMSTART
	v_pk_mul_f32 v[20:21], v[26:27], v[22:23]
	;;#ASMEND
	s_waitcnt vmcnt(0)
	v_cvt_f32_f16_sdwa v25, v2 dst_sel:DWORD dst_unused:UNUSED_PAD src0_sel:WORD_1
	v_cvt_f32_f16_e32 v24, v2
	v_cvt_f32_f16_sdwa v27, v3 dst_sel:DWORD dst_unused:UNUSED_PAD src0_sel:WORD_1
	v_cvt_f32_f16_e32 v26, v3
	;; [unrolled: 2-line block ×3, first 2 shown]
	;;#ASMSTART
	v_pk_mul_f32 v[6:7], v[38:39], v[6:7]
	;;#ASMEND
	;;#ASMSTART
	v_pk_mul_f32 v[22:23], v[36:37], v[28:29]
	;;#ASMEND
	v_cvt_f32_f16_sdwa v29, v5 dst_sel:DWORD dst_unused:UNUSED_PAD src0_sel:WORD_1
	v_cvt_f32_f16_e32 v28, v5
	;;#ASMSTART
	v_pk_mul_f32 v[24:25], v[34:35], v[24:25]
	;;#ASMEND
	;;#ASMSTART
	v_pk_mul_f32 v[26:27], v[32:33], v[26:27]
	;;#ASMEND
	;; [unrolled: 3-line block ×3, first 2 shown]
	v_cvt_f16_f32_e32 v0, v12
	v_cvt_f16_f32_e32 v2, v13
	;; [unrolled: 1-line block ×8, first 2 shown]
	s_add_u32 s8, s24, s0
	s_addc_u32 s0, s25, s1
	s_and_b32 s9, s0, 0xffff
	v_pack_b32_f16 v2, v0, v2
	v_pack_b32_f16 v3, v3, v4
	;; [unrolled: 1-line block ×4, first 2 shown]
	;;#ASMSTART
	v_pk_mul_f32 v[14:15], v[14:15], v[28:29]
	;;#ASMEND
	buffer_store_dwordx4 v[2:5], v1, s[8:11], 0 offen
	v_cvt_f16_f32_e32 v0, v8
	v_cvt_f16_f32_e32 v2, v9
	;; [unrolled: 1-line block ×8, first 2 shown]
	v_pack_b32_f16 v2, v0, v2
	v_pack_b32_f16 v3, v3, v4
	;; [unrolled: 1-line block ×4, first 2 shown]
	s_movk_i32 s0, 0x400
	;;#ASMSTART
	s_nop 0
	;;#ASMEND
	buffer_store_dwordx4 v[2:5], v1, s[8:11], s0 offen
	v_cvt_f16_f32_e32 v0, v24
	v_cvt_f16_f32_e32 v2, v25
	;; [unrolled: 1-line block ×8, first 2 shown]
	v_pack_b32_f16 v2, v0, v2
	v_pack_b32_f16 v3, v3, v4
	;; [unrolled: 1-line block ×4, first 2 shown]
	s_movk_i32 s0, 0x800
	;;#ASMSTART
	s_nop 0
	;;#ASMEND
	buffer_store_dwordx4 v[2:5], v1, s[8:11], s0 offen
	;;#ASMSTART
	s_nop 0
	;;#ASMEND
	s_endpgm
	.section	.rodata,"a",@progbits
	.p2align	6, 0x0
	.amdhsa_kernel _ZN5aiter35fused_qk_rmsnorm_group_quant_kernelIDF16_DB8_Li256ELi24ELi1ELb0ELb0ELb0ELb0ELb1ELb1EEEvPT0_PvPT_S6_S6_PKS5_S8_S8_S8_S8_ffiiiiiiiiiiiii
		.amdhsa_group_segment_fixed_size 48
		.amdhsa_private_segment_fixed_size 0
		.amdhsa_kernarg_size 400
		.amdhsa_user_sgpr_count 6
		.amdhsa_user_sgpr_private_segment_buffer 1
		.amdhsa_user_sgpr_dispatch_ptr 0
		.amdhsa_user_sgpr_queue_ptr 0
		.amdhsa_user_sgpr_kernarg_segment_ptr 1
		.amdhsa_user_sgpr_dispatch_id 0
		.amdhsa_user_sgpr_flat_scratch_init 0
		.amdhsa_user_sgpr_kernarg_preload_length 0
		.amdhsa_user_sgpr_kernarg_preload_offset 0
		.amdhsa_user_sgpr_private_segment_size 0
		.amdhsa_uses_dynamic_stack 0
		.amdhsa_system_sgpr_private_segment_wavefront_offset 0
		.amdhsa_system_sgpr_workgroup_id_x 1
		.amdhsa_system_sgpr_workgroup_id_y 1
		.amdhsa_system_sgpr_workgroup_id_z 0
		.amdhsa_system_sgpr_workgroup_info 0
		.amdhsa_system_vgpr_workitem_id 0
		.amdhsa_next_free_vgpr 51
		.amdhsa_next_free_sgpr 30
		.amdhsa_accum_offset 52
		.amdhsa_reserve_vcc 1
		.amdhsa_reserve_flat_scratch 0
		.amdhsa_float_round_mode_32 0
		.amdhsa_float_round_mode_16_64 0
		.amdhsa_float_denorm_mode_32 3
		.amdhsa_float_denorm_mode_16_64 3
		.amdhsa_dx10_clamp 1
		.amdhsa_ieee_mode 1
		.amdhsa_fp16_overflow 0
		.amdhsa_tg_split 0
		.amdhsa_exception_fp_ieee_invalid_op 0
		.amdhsa_exception_fp_denorm_src 0
		.amdhsa_exception_fp_ieee_div_zero 0
		.amdhsa_exception_fp_ieee_overflow 0
		.amdhsa_exception_fp_ieee_underflow 0
		.amdhsa_exception_fp_ieee_inexact 0
		.amdhsa_exception_int_div_zero 0
	.end_amdhsa_kernel
	.section	.text._ZN5aiter35fused_qk_rmsnorm_group_quant_kernelIDF16_DB8_Li256ELi24ELi1ELb0ELb0ELb0ELb0ELb1ELb1EEEvPT0_PvPT_S6_S6_PKS5_S8_S8_S8_S8_ffiiiiiiiiiiiii,"axG",@progbits,_ZN5aiter35fused_qk_rmsnorm_group_quant_kernelIDF16_DB8_Li256ELi24ELi1ELb0ELb0ELb0ELb0ELb1ELb1EEEvPT0_PvPT_S6_S6_PKS5_S8_S8_S8_S8_ffiiiiiiiiiiiii,comdat
.Lfunc_end79:
	.size	_ZN5aiter35fused_qk_rmsnorm_group_quant_kernelIDF16_DB8_Li256ELi24ELi1ELb0ELb0ELb0ELb0ELb1ELb1EEEvPT0_PvPT_S6_S6_PKS5_S8_S8_S8_S8_ffiiiiiiiiiiiii, .Lfunc_end79-_ZN5aiter35fused_qk_rmsnorm_group_quant_kernelIDF16_DB8_Li256ELi24ELi1ELb0ELb0ELb0ELb0ELb1ELb1EEEvPT0_PvPT_S6_S6_PKS5_S8_S8_S8_S8_ffiiiiiiiiiiiii
                                        ; -- End function
	.section	.AMDGPU.csdata,"",@progbits
; Kernel info:
; codeLenInByte = 4740
; NumSgprs: 34
; NumVgprs: 51
; NumAgprs: 0
; TotalNumVgprs: 51
; ScratchSize: 0
; MemoryBound: 0
; FloatMode: 240
; IeeeMode: 1
; LDSByteSize: 48 bytes/workgroup (compile time only)
; SGPRBlocks: 4
; VGPRBlocks: 6
; NumSGPRsForWavesPerEU: 34
; NumVGPRsForWavesPerEU: 51
; AccumOffset: 52
; Occupancy: 8
; WaveLimiterHint : 0
; COMPUTE_PGM_RSRC2:SCRATCH_EN: 0
; COMPUTE_PGM_RSRC2:USER_SGPR: 6
; COMPUTE_PGM_RSRC2:TRAP_HANDLER: 0
; COMPUTE_PGM_RSRC2:TGID_X_EN: 1
; COMPUTE_PGM_RSRC2:TGID_Y_EN: 1
; COMPUTE_PGM_RSRC2:TGID_Z_EN: 0
; COMPUTE_PGM_RSRC2:TIDIG_COMP_CNT: 0
; COMPUTE_PGM_RSRC3_GFX90A:ACCUM_OFFSET: 12
; COMPUTE_PGM_RSRC3_GFX90A:TG_SPLIT: 0
	.section	.text._ZN5aiter35fused_qk_rmsnorm_group_quant_kernelItDB8_Li256ELi24ELi1ELb0ELb0ELb0ELb0ELb1ELb1EEEvPT0_PvPT_S6_S6_PKS5_S8_S8_S8_S8_ffiiiiiiiiiiiii,"axG",@progbits,_ZN5aiter35fused_qk_rmsnorm_group_quant_kernelItDB8_Li256ELi24ELi1ELb0ELb0ELb0ELb0ELb1ELb1EEEvPT0_PvPT_S6_S6_PKS5_S8_S8_S8_S8_ffiiiiiiiiiiiii,comdat
	.protected	_ZN5aiter35fused_qk_rmsnorm_group_quant_kernelItDB8_Li256ELi24ELi1ELb0ELb0ELb0ELb0ELb1ELb1EEEvPT0_PvPT_S6_S6_PKS5_S8_S8_S8_S8_ffiiiiiiiiiiiii ; -- Begin function _ZN5aiter35fused_qk_rmsnorm_group_quant_kernelItDB8_Li256ELi24ELi1ELb0ELb0ELb0ELb0ELb1ELb1EEEvPT0_PvPT_S6_S6_PKS5_S8_S8_S8_S8_ffiiiiiiiiiiiii
	.globl	_ZN5aiter35fused_qk_rmsnorm_group_quant_kernelItDB8_Li256ELi24ELi1ELb0ELb0ELb0ELb0ELb1ELb1EEEvPT0_PvPT_S6_S6_PKS5_S8_S8_S8_S8_ffiiiiiiiiiiiii
	.p2align	8
	.type	_ZN5aiter35fused_qk_rmsnorm_group_quant_kernelItDB8_Li256ELi24ELi1ELb0ELb0ELb0ELb0ELb1ELb1EEEvPT0_PvPT_S6_S6_PKS5_S8_S8_S8_S8_ffiiiiiiiiiiiii,@function
_ZN5aiter35fused_qk_rmsnorm_group_quant_kernelItDB8_Li256ELi24ELi1ELb0ELb0ELb0ELb0ELb1ELb1EEEvPT0_PvPT_S6_S6_PKS5_S8_S8_S8_S8_ffiiiiiiiiiiiii: ; @_ZN5aiter35fused_qk_rmsnorm_group_quant_kernelItDB8_Li256ELi24ELi1ELb0ELb0ELb0ELb0ELb1ELb1EEEvPT0_PvPT_S6_S6_PKS5_S8_S8_S8_S8_ffiiiiiiiiiiiii
; %bb.0:
	s_load_dwordx4 s[12:15], s[4:5], 0x50
	s_waitcnt lgkmcnt(0)
	s_cmp_ge_i32 s6, s14
	s_cbranch_scc1 .LBB80_12
; %bb.1:
	s_load_dwordx2 s[8:9], s[4:5], 0x48
	s_load_dwordx2 s[28:29], s[4:5], 0x30
	s_load_dwordx4 s[16:19], s[4:5], 0x60
	s_cmp_lg_u32 s7, 0
	s_cselect_b64 s[10:11], -1, 0
	s_cmp_eq_u32 s7, 0
	s_cselect_b64 vcc, -1, 0
	s_and_b64 s[0:1], vcc, exec
	s_waitcnt lgkmcnt(0)
	s_cselect_b32 s7, s15, s16
	s_add_i32 s0, s7, 1
	s_lshr_b32 s1, s0, 31
	s_add_i32 s0, s0, s1
	s_lshl_b32 s0, s0, 1
	v_and_b32_e32 v2, 0x3c0, v0
	s_and_b32 s22, s0, -4
	v_lshlrev_b32_e32 v1, 3, v0
	v_mul_u32_u24_e32 v2, 24, v2
	s_movk_i32 s0, 0x1f8
	v_and_or_b32 v1, v1, s0, v2
	v_cmp_gt_i32_e64 s[2:3], s7, v1
	v_mov_b32_e32 v26, 0
	v_mov_b32_e32 v10, 0
	;; [unrolled: 1-line block ×25, first 2 shown]
	s_and_saveexec_b64 s[0:1], s[2:3]
	s_cbranch_execz .LBB80_3
; %bb.2:
	s_load_dwordx2 s[20:21], s[4:5], 0x28
	s_load_dwordx2 s[26:27], s[4:5], 0x40
	s_and_b64 s[24:25], vcc, exec
	s_cselect_b32 s14, s17, s18
	s_mov_b32 s23, 0x20000
	s_waitcnt lgkmcnt(0)
	s_cselect_b32 s17, s21, s29
	s_cselect_b32 s19, s20, s28
	s_mul_hi_i32 s21, s14, s6
	s_mul_i32 s20, s14, s6
	s_lshl_b64 s[20:21], s[20:21], 1
	s_add_u32 s24, s19, s20
	s_addc_u32 s14, s17, s21
	s_and_b64 s[20:21], vcc, exec
	s_cselect_b32 s17, s27, s9
	s_cselect_b32 s20, s26, s8
	s_and_b32 s21, s17, 0xffff
	s_and_b32 s25, s14, 0xffff
	s_mov_b32 s26, s22
	s_mov_b32 s27, s23
	v_lshlrev_b32_e32 v27, 1, v1
	s_movk_i32 s17, 0x800
	s_movk_i32 s14, 0x400
	buffer_load_dwordx4 v[22:25], v27, s[24:27], 0 offen glc slc
	buffer_load_dwordx4 v[14:17], v27, s[24:27], s14 offen glc slc
	;; [unrolled: 1-line block ×3, first 2 shown]
	buffer_load_dwordx4 v[10:13], v27, s[20:23], 0 offen
	buffer_load_dwordx4 v[6:9], v27, s[20:23], s14 offen
	;; [unrolled: 1-line block ×3, first 2 shown]
.LBB80_3:
	s_or_b64 exec, exec, s[0:1]
	v_mov_b32_e32 v27, 0
	v_mov_b32_e32 v48, 0
	;; [unrolled: 1-line block ×23, first 2 shown]
	s_and_saveexec_b64 s[0:1], s[2:3]
	s_cbranch_execz .LBB80_5
; %bb.4:
	s_waitcnt vmcnt(5)
	v_cvt_f32_u32_sdwa v26, v22 dst_sel:DWORD dst_unused:UNUSED_PAD src0_sel:WORD_0
	v_cvt_f32_u32_sdwa v27, v22 dst_sel:DWORD dst_unused:UNUSED_PAD src0_sel:WORD_1
	v_cvt_f32_u32_sdwa v48, v23 dst_sel:DWORD dst_unused:UNUSED_PAD src0_sel:WORD_0
	v_cvt_f32_u32_sdwa v49, v23 dst_sel:DWORD dst_unused:UNUSED_PAD src0_sel:WORD_1
	v_cvt_f32_u32_sdwa v44, v24 dst_sel:DWORD dst_unused:UNUSED_PAD src0_sel:WORD_0
	v_cvt_f32_u32_sdwa v45, v24 dst_sel:DWORD dst_unused:UNUSED_PAD src0_sel:WORD_1
	v_cvt_f32_u32_sdwa v40, v25 dst_sel:DWORD dst_unused:UNUSED_PAD src0_sel:WORD_0
	v_cvt_f32_u32_sdwa v41, v25 dst_sel:DWORD dst_unused:UNUSED_PAD src0_sel:WORD_1
	s_waitcnt vmcnt(4)
	v_cvt_f32_u32_sdwa v46, v14 dst_sel:DWORD dst_unused:UNUSED_PAD src0_sel:WORD_0
	v_cvt_f32_u32_sdwa v47, v14 dst_sel:DWORD dst_unused:UNUSED_PAD src0_sel:WORD_1
	v_cvt_f32_u32_sdwa v42, v15 dst_sel:DWORD dst_unused:UNUSED_PAD src0_sel:WORD_0
	v_cvt_f32_u32_sdwa v43, v15 dst_sel:DWORD dst_unused:UNUSED_PAD src0_sel:WORD_1
	v_cvt_f32_u32_sdwa v36, v16 dst_sel:DWORD dst_unused:UNUSED_PAD src0_sel:WORD_0
	v_cvt_f32_u32_sdwa v37, v16 dst_sel:DWORD dst_unused:UNUSED_PAD src0_sel:WORD_1
	v_cvt_f32_u32_sdwa v32, v17 dst_sel:DWORD dst_unused:UNUSED_PAD src0_sel:WORD_0
	v_cvt_f32_u32_sdwa v33, v17 dst_sel:DWORD dst_unused:UNUSED_PAD src0_sel:WORD_1
	;; [unrolled: 9-line block ×3, first 2 shown]
.LBB80_5:
	s_or_b64 exec, exec, s[0:1]
	s_waitcnt vmcnt(4)
	v_mul_f32_e32 v14, v27, v27
	v_fmac_f32_e32 v14, v26, v26
	v_fmac_f32_e32 v14, v48, v48
	;; [unrolled: 1-line block ×23, first 2 shown]
	v_and_b32_e32 v16, 63, v0
	v_cmp_eq_u32_e64 s[0:1], 63, v16
	v_mov_b32_dpp v15, v14 quad_perm:[1,0,3,2] row_mask:0xf bank_mask:0xf
	v_add_f32_e32 v14, v14, v15
	s_nop 1
	v_mov_b32_dpp v15, v14 quad_perm:[2,3,0,1] row_mask:0xf bank_mask:0xf
	v_add_f32_e32 v14, v14, v15
	s_nop 1
	v_mov_b32_dpp v15, v14 row_half_mirror row_mask:0xf bank_mask:0xf
	v_add_f32_e32 v14, v14, v15
	s_nop 1
	v_mov_b32_dpp v15, v14 row_mirror row_mask:0xf bank_mask:0xf
	v_add_f32_e32 v14, v14, v15
	s_nop 1
	v_mov_b32_dpp v15, v14 row_bcast:15 row_mask:0xf bank_mask:0xf
	v_add_f32_e32 v14, v14, v15
	s_nop 1
	v_mov_b32_dpp v15, v14 row_bcast:31 row_mask:0xf bank_mask:0xf
	s_and_saveexec_b64 s[20:21], s[0:1]
	s_cbranch_execz .LBB80_7
; %bb.6:
	v_add_f32_e32 v14, v14, v15
	v_lshrrev_b32_e32 v15, 4, v0
	v_and_b32_e32 v15, 60, v15
	ds_write_b32 v15, v14 offset:32
.LBB80_7:
	s_or_b64 exec, exec, s[20:21]
	v_and_b32_e32 v14, 3, v0
	v_lshlrev_b32_e32 v50, 2, v14
	s_waitcnt lgkmcnt(0)
	s_barrier
	ds_read_b32 v14, v50 offset:32
	s_load_dwordx2 s[24:25], s[4:5], 0x18
	s_waitcnt lgkmcnt(0)
	v_mov_b32_dpp v15, v14 quad_perm:[1,0,3,2] row_mask:0xf bank_mask:0xf
	v_add_f32_e32 v14, v14, v15
	s_nop 1
	v_mov_b32_dpp v15, v14 quad_perm:[2,3,0,1] row_mask:0xf bank_mask:0xf
	s_and_saveexec_b64 s[20:21], s[2:3]
	s_cbranch_execz .LBB80_9
; %bb.8:
	v_cvt_f32_u32_e32 v16, s7
	v_add_f32_e32 v14, v14, v15
	s_waitcnt vmcnt(3)
	v_mov_b32_e32 v18, s13
	v_mov_b32_e32 v19, s12
	v_div_scale_f32 v15, s[26:27], v16, v16, v14
	v_rcp_f32_e32 v17, v15
	v_cndmask_b32_e32 v18, v18, v19, vcc
	s_mov_b32 s7, 0x800000
	v_fma_f32 v19, -v15, v17, 1.0
	v_fmac_f32_e32 v17, v19, v17
	v_div_scale_f32 v19, vcc, v14, v16, v14
	v_mul_f32_e32 v20, v19, v17
	v_fma_f32 v21, -v15, v20, v19
	v_fmac_f32_e32 v20, v21, v17
	v_fma_f32 v15, -v15, v20, v19
	v_div_fmas_f32 v15, v15, v17, v20
	v_div_fixup_f32 v14, v15, v16, v14
	v_add_f32_e32 v14, v18, v14
	v_mul_f32_e32 v15, 0x4b800000, v14
	v_cmp_gt_f32_e32 vcc, s7, v14
	v_cndmask_b32_e32 v14, v14, v15, vcc
	v_rsq_f32_e32 v14, v14
	v_mul_f32_e32 v15, 0x45800000, v14
	v_cndmask_b32_e32 v14, v14, v15, vcc
	v_mov_b32_e32 v15, v14
	;;#ASMSTART
	v_pk_mul_f32 v[16:17], v[26:27], v[14:15]
	;;#ASMEND
	;;#ASMSTART
	v_pk_mul_f32 v[18:19], v[48:49], v[14:15]
	;;#ASMEND
	;; [unrolled: 3-line block ×12, first 2 shown]
	s_waitcnt vmcnt(2)
	v_cvt_f32_u32_sdwa v27, v10 dst_sel:DWORD dst_unused:UNUSED_PAD src0_sel:WORD_1
	v_cvt_f32_u32_sdwa v26, v10 dst_sel:DWORD dst_unused:UNUSED_PAD src0_sel:WORD_0
	v_cvt_f32_u32_sdwa v29, v11 dst_sel:DWORD dst_unused:UNUSED_PAD src0_sel:WORD_1
	v_cvt_f32_u32_sdwa v28, v11 dst_sel:DWORD dst_unused:UNUSED_PAD src0_sel:WORD_0
	;; [unrolled: 2-line block ×4, first 2 shown]
	;;#ASMSTART
	v_pk_mul_f32 v[26:27], v[16:17], v[26:27]
	;;#ASMEND
	;;#ASMSTART
	v_pk_mul_f32 v[48:49], v[18:19], v[28:29]
	;;#ASMEND
	;;#ASMSTART
	v_pk_mul_f32 v[44:45], v[20:21], v[10:11]
	;;#ASMEND
	s_waitcnt vmcnt(1)
	v_cvt_f32_u32_sdwa v11, v6 dst_sel:DWORD dst_unused:UNUSED_PAD src0_sel:WORD_1
	v_cvt_f32_u32_sdwa v10, v6 dst_sel:DWORD dst_unused:UNUSED_PAD src0_sel:WORD_0
	v_cvt_f32_u32_sdwa v13, v7 dst_sel:DWORD dst_unused:UNUSED_PAD src0_sel:WORD_1
	v_cvt_f32_u32_sdwa v12, v7 dst_sel:DWORD dst_unused:UNUSED_PAD src0_sel:WORD_0
	;; [unrolled: 2-line block ×3, first 2 shown]
	;;#ASMSTART
	v_pk_mul_f32 v[40:41], v[22:23], v[40:41]
	;;#ASMEND
	v_cvt_f32_u32_sdwa v17, v9 dst_sel:DWORD dst_unused:UNUSED_PAD src0_sel:WORD_1
	v_cvt_f32_u32_sdwa v16, v9 dst_sel:DWORD dst_unused:UNUSED_PAD src0_sel:WORD_0
	;;#ASMSTART
	v_pk_mul_f32 v[46:47], v[24:25], v[10:11]
	;;#ASMEND
	;;#ASMSTART
	v_pk_mul_f32 v[42:43], v[42:43], v[12:13]
	;;#ASMEND
	;; [unrolled: 3-line block ×4, first 2 shown]
	s_waitcnt vmcnt(0)
	v_cvt_f32_u32_sdwa v7, v2 dst_sel:DWORD dst_unused:UNUSED_PAD src0_sel:WORD_1
	v_cvt_f32_u32_sdwa v6, v2 dst_sel:DWORD dst_unused:UNUSED_PAD src0_sel:WORD_0
	v_cvt_f32_u32_sdwa v9, v3 dst_sel:DWORD dst_unused:UNUSED_PAD src0_sel:WORD_1
	v_cvt_f32_u32_sdwa v8, v3 dst_sel:DWORD dst_unused:UNUSED_PAD src0_sel:WORD_0
	;; [unrolled: 2-line block ×4, first 2 shown]
	;;#ASMSTART
	v_pk_mul_f32 v[38:39], v[38:39], v[6:7]
	;;#ASMEND
	;;#ASMSTART
	v_pk_mul_f32 v[34:35], v[34:35], v[8:9]
	;;#ASMEND
	;; [unrolled: 3-line block ×4, first 2 shown]
.LBB80_9:
	s_or_b64 exec, exec, s[20:21]
	s_load_dword s7, s[4:5], 0x80
	s_mov_b64 s[20:21], -1
	s_and_b64 vcc, exec, s[10:11]
	s_cbranch_vccnz .LBB80_13
; %bb.10:
	s_andn2_b64 vcc, exec, s[20:21]
	s_cbranch_vccz .LBB80_16
.LBB80_11:
	s_cmp_lt_i32 s16, 1
	s_cbranch_scc0 .LBB80_25
.LBB80_12:
	s_endpgm
.LBB80_13:
	s_and_saveexec_b64 s[10:11], s[2:3]
	s_cbranch_execz .LBB80_15
; %bb.14:
	s_waitcnt lgkmcnt(0)
	s_mul_hi_i32 s21, s7, s6
	s_mul_i32 s20, s7, s6
	s_lshl_b64 s[20:21], s[20:21], 1
	s_add_u32 s20, s24, s20
	s_addc_u32 s12, s25, s21
	s_and_b32 s21, s12, 0xffff
	s_mov_b32 s12, 0x7060302
	s_mov_b32 s23, 0x20000
	s_waitcnt vmcnt(0)
	v_perm_b32 v5, v41, v40, s12
	v_perm_b32 v4, v45, v44, s12
	;; [unrolled: 1-line block ×4, first 2 shown]
	v_lshlrev_b32_e32 v6, 1, v1
	buffer_store_dwordx4 v[2:5], v6, s[20:23], 0 offen
	s_movk_i32 s14, 0x400
	v_perm_b32 v5, v33, v32, s12
	v_perm_b32 v4, v37, v36, s12
	;; [unrolled: 1-line block ×4, first 2 shown]
	;;#ASMSTART
	s_nop 0
	;;#ASMEND
	buffer_store_dwordx4 v[2:5], v6, s[20:23], s14 offen
	v_perm_b32 v5, v29, v28, s12
	v_perm_b32 v4, v31, v30, s12
	;; [unrolled: 1-line block ×4, first 2 shown]
	s_movk_i32 s12, 0x800
	;;#ASMSTART
	s_nop 0
	;;#ASMEND
	buffer_store_dwordx4 v[2:5], v6, s[20:23], s12 offen
	;;#ASMSTART
	s_nop 0
	;;#ASMEND
.LBB80_15:
	s_or_b64 exec, exec, s[10:11]
	s_cbranch_execnz .LBB80_11
.LBB80_16:
	s_waitcnt vmcnt(0)
	v_mov_b32_e32 v2, 0
	s_and_saveexec_b64 s[10:11], s[2:3]
	s_cbranch_execz .LBB80_18
; %bb.17:
	v_and_b32_e32 v2, 0x7fffffff, v26
	v_and_b32_e32 v3, 0x7fffffff, v27
	v_mov_b32_e32 v4, 0x2edbe6ff
	;;#ASMSTART
	v_max3_f32 v2, v4, v2, v3

	;;#ASMEND
	v_and_b32_e32 v3, 0x7fffffff, v48
	v_and_b32_e32 v4, 0x7fffffff, v49
	;;#ASMSTART
	v_max3_f32 v2, v2, v3, v4

	;;#ASMEND
	v_and_b32_e32 v3, 0x7fffffff, v44
	v_and_b32_e32 v4, 0x7fffffff, v45
	;; [unrolled: 6-line block ×11, first 2 shown]
	;;#ASMSTART
	v_max3_f32 v2, v2, v3, v4

	;;#ASMEND
.LBB80_18:
	s_or_b64 exec, exec, s[10:11]
	s_nop 0
	v_mov_b32_dpp v3, v2 quad_perm:[1,0,3,2] row_mask:0xf bank_mask:0xf
	v_cmp_gt_f32_e32 vcc, v2, v3
	v_cndmask_b32_e32 v2, v3, v2, vcc
	s_nop 1
	v_mov_b32_dpp v3, v2 quad_perm:[2,3,0,1] row_mask:0xf bank_mask:0xf
	v_cmp_gt_f32_e32 vcc, v2, v3
	v_cndmask_b32_e32 v2, v3, v2, vcc
	s_nop 1
	v_mov_b32_dpp v3, v2 row_half_mirror row_mask:0xf bank_mask:0xf
	v_cmp_gt_f32_e32 vcc, v2, v3
	v_cndmask_b32_e32 v2, v3, v2, vcc
	s_nop 1
	v_mov_b32_dpp v3, v2 row_mirror row_mask:0xf bank_mask:0xf
	v_cmp_gt_f32_e32 vcc, v2, v3
	v_cndmask_b32_e32 v2, v3, v2, vcc
	s_nop 1
	v_mov_b32_dpp v3, v2 row_bcast:15 row_mask:0xf bank_mask:0xf
	v_cmp_gt_f32_e32 vcc, v2, v3
	v_cndmask_b32_e32 v2, v3, v2, vcc
	s_nop 1
	v_mov_b32_dpp v3, v2 row_bcast:31 row_mask:0xf bank_mask:0xf
	s_and_saveexec_b64 s[10:11], s[0:1]
	s_cbranch_execz .LBB80_20
; %bb.19:
	v_cmp_gt_f32_e32 vcc, v2, v3
	v_cndmask_b32_e32 v2, v3, v2, vcc
	v_lshrrev_b32_e32 v3, 4, v0
	v_and_b32_e32 v3, 60, v3
	ds_write_b32 v3, v2
.LBB80_20:
	s_or_b64 exec, exec, s[10:11]
	s_waitcnt lgkmcnt(0)
	s_barrier
	ds_read_b32 v2, v50
	s_load_dwordx2 s[20:21], s[4:5], 0x70
	s_waitcnt lgkmcnt(0)
	v_mov_b32_dpp v3, v2 quad_perm:[1,0,3,2] row_mask:0xf bank_mask:0xf
	v_cmp_gt_f32_e32 vcc, v2, v3
	v_cndmask_b32_e32 v2, v3, v2, vcc
	s_nop 1
	v_mov_b32_dpp v3, v2 quad_perm:[2,3,0,1] row_mask:0xf bank_mask:0xf
	v_cmp_gt_f32_e32 vcc, v2, v3
	v_cndmask_b32_e32 v2, v3, v2, vcc
	v_mul_f32_e32 v2, 0x3b124925, v2
	v_cmp_eq_u32_e32 vcc, 0, v0
	s_and_saveexec_b64 s[10:11], vcc
	s_cbranch_execz .LBB80_22
; %bb.21:
	s_load_dwordx2 s[22:23], s[4:5], 0x8
	s_mul_hi_i32 s27, s21, s6
	s_mul_i32 s26, s21, s6
	s_lshl_b64 s[26:27], s[26:27], 2
	v_mov_b32_e32 v3, 0
	s_waitcnt lgkmcnt(0)
	s_add_u32 s22, s22, s26
	s_addc_u32 s23, s23, s27
	global_store_dword v3, v2, s[22:23]
.LBB80_22:
	s_or_b64 exec, exec, s[10:11]
	;;#ASMSTART
	v_rcp_f32 v2, v2
	;;#ASMEND
	s_and_saveexec_b64 s[10:11], s[2:3]
	s_cbranch_execz .LBB80_24
; %bb.23:
	s_load_dwordx2 s[2:3], s[4:5], 0x0
	s_mul_i32 s14, s20, s6
	s_mul_hi_i32 s12, s20, s6
	v_mov_b32_e32 v3, v2
	;;#ASMSTART
	v_pk_mul_f32 v[4:5], v[26:27], v[2:3]
	;;#ASMEND
	s_waitcnt lgkmcnt(0)
	s_add_u32 s20, s2, s14
	s_addc_u32 s2, s3, s12
	s_add_i32 s3, s15, 3
	s_ashr_i32 s12, s3, 31
	v_mov_b32_e32 v8, 0xc3e00000
	v_mov_b32_e32 v9, 0x43e00000
	;;#ASMSTART
	v_med3_f32 v4, v4, v8, v9
v_med3_f32 v5, v5, v8, v9
v_cvt_pk_fp8_f32 v6, v4, v5
	;;#ASMEND
	s_lshr_b32 s12, s12, 30
	;;#ASMSTART
	v_pk_mul_f32 v[4:5], v[48:49], v[2:3]
	;;#ASMEND
	s_add_i32 s3, s3, s12
	s_and_b32 s21, s2, 0xffff
	;;#ASMSTART
	v_med3_f32 v4, v4, v8, v9
v_med3_f32 v5, v5, v8, v9
v_cvt_pk_fp8_f32 v7, v4, v5
	;;#ASMEND
	s_mov_b32 s2, 0x5040100
	s_and_b32 s22, s3, -4
	v_perm_b32 v5, v7, v6, s2
	s_movk_i32 s3, 0xff
	v_and_b32_e32 v4, 0xffffff00, v7
	v_and_b32_sdwa v6, v5, s3 dst_sel:DWORD dst_unused:UNUSED_PAD src0_sel:WORD_1 src1_sel:DWORD
	s_mov_b32 s17, 0xffff
	v_or_b32_sdwa v4, v6, v4 dst_sel:WORD_1 dst_unused:UNUSED_PAD src0_sel:DWORD src1_sel:DWORD
	v_and_or_b32 v4, v5, s17, v4
	;;#ASMSTART
	v_pk_mul_f32 v[6:7], v[44:45], v[2:3]
	;;#ASMEND
	v_mov_b32_e32 v5, v7
	;;#ASMSTART
	v_med3_f32 v6, v6, v8, v9
v_med3_f32 v5, v5, v8, v9
v_cvt_pk_fp8_f32 v10, v6, v5
	;;#ASMEND
	;;#ASMSTART
	v_pk_mul_f32 v[6:7], v[40:41], v[2:3]
	;;#ASMEND
	v_mov_b32_e32 v5, v6
	;;#ASMSTART
	v_med3_f32 v5, v5, v8, v9
v_med3_f32 v7, v7, v8, v9
v_cvt_pk_fp8_f32 v6, v5, v7
	;;#ASMEND
	v_lshlrev_b32_e32 v5, 16, v6
	s_mov_b32 s23, 0x20000
	v_and_or_b32 v5, v10, s17, v5
	buffer_store_dwordx2 v[4:5], v1, s[20:23], 0 offen
	;;#ASMSTART
	s_nop 0
	;;#ASMEND
	;;#ASMSTART
	v_pk_mul_f32 v[4:5], v[46:47], v[2:3]
	;;#ASMEND
	;;#ASMSTART
	v_med3_f32 v4, v4, v8, v9
v_med3_f32 v5, v5, v8, v9
v_cvt_pk_fp8_f32 v6, v4, v5
	;;#ASMEND
	;;#ASMSTART
	v_pk_mul_f32 v[4:5], v[42:43], v[2:3]
	;;#ASMEND
	;;#ASMSTART
	v_med3_f32 v4, v4, v8, v9
v_med3_f32 v5, v5, v8, v9
v_cvt_pk_fp8_f32 v7, v4, v5
	;;#ASMEND
	v_perm_b32 v5, v7, v6, s2
	v_and_b32_e32 v4, 0xffffff00, v7
	v_and_b32_sdwa v6, v5, s3 dst_sel:DWORD dst_unused:UNUSED_PAD src0_sel:WORD_1 src1_sel:DWORD
	v_or_b32_sdwa v4, v6, v4 dst_sel:WORD_1 dst_unused:UNUSED_PAD src0_sel:DWORD src1_sel:DWORD
	v_and_or_b32 v4, v5, s17, v4
	;;#ASMSTART
	v_pk_mul_f32 v[6:7], v[36:37], v[2:3]
	;;#ASMEND
	v_mov_b32_e32 v5, v7
	;;#ASMSTART
	v_med3_f32 v6, v6, v8, v9
v_med3_f32 v5, v5, v8, v9
v_cvt_pk_fp8_f32 v10, v6, v5
	;;#ASMEND
	;;#ASMSTART
	v_pk_mul_f32 v[6:7], v[32:33], v[2:3]
	;;#ASMEND
	v_mov_b32_e32 v5, v6
	;;#ASMSTART
	v_med3_f32 v5, v5, v8, v9
v_med3_f32 v7, v7, v8, v9
v_cvt_pk_fp8_f32 v6, v5, v7
	;;#ASMEND
	v_lshlrev_b32_e32 v5, 16, v6
	v_and_or_b32 v5, v10, s17, v5
	s_movk_i32 s12, 0x200
	buffer_store_dwordx2 v[4:5], v1, s[20:23], s12 offen
	;;#ASMSTART
	s_nop 0
	;;#ASMEND
	;;#ASMSTART
	v_pk_mul_f32 v[4:5], v[38:39], v[2:3]
	;;#ASMEND
	;;#ASMSTART
	v_med3_f32 v4, v4, v8, v9
v_med3_f32 v5, v5, v8, v9
v_cvt_pk_fp8_f32 v6, v4, v5
	;;#ASMEND
	;;#ASMSTART
	v_pk_mul_f32 v[4:5], v[34:35], v[2:3]
	;;#ASMEND
	;;#ASMSTART
	v_med3_f32 v4, v4, v8, v9
v_med3_f32 v5, v5, v8, v9
v_cvt_pk_fp8_f32 v7, v4, v5
	;;#ASMEND
	v_perm_b32 v5, v7, v6, s2
	v_and_b32_e32 v4, 0xffffff00, v7
	v_and_b32_sdwa v6, v5, s3 dst_sel:DWORD dst_unused:UNUSED_PAD src0_sel:WORD_1 src1_sel:DWORD
	v_or_b32_sdwa v4, v6, v4 dst_sel:WORD_1 dst_unused:UNUSED_PAD src0_sel:DWORD src1_sel:DWORD
	v_and_or_b32 v4, v5, s17, v4
	;;#ASMSTART
	v_pk_mul_f32 v[6:7], v[30:31], v[2:3]
	;;#ASMEND
	v_mov_b32_e32 v5, v7
	;;#ASMSTART
	v_med3_f32 v6, v6, v8, v9
v_med3_f32 v5, v5, v8, v9
v_cvt_pk_fp8_f32 v7, v6, v5
	;;#ASMEND
	;;#ASMSTART
	v_pk_mul_f32 v[2:3], v[28:29], v[2:3]
	;;#ASMEND
	;;#ASMSTART
	v_med3_f32 v2, v2, v8, v9
v_med3_f32 v3, v3, v8, v9
v_cvt_pk_fp8_f32 v5, v2, v3
	;;#ASMEND
	v_lshlrev_b32_e32 v2, 16, v5
	v_and_or_b32 v5, v7, s17, v2
	s_movk_i32 s2, 0x400
	buffer_store_dwordx2 v[4:5], v1, s[20:23], s2 offen
	;;#ASMSTART
	s_nop 0
	;;#ASMEND
.LBB80_24:
	s_or_b64 exec, exec, s[10:11]
	s_cmp_lt_i32 s16, 1
	s_cbranch_scc1 .LBB80_12
.LBB80_25:
	s_load_dword s2, s[4:5], 0x94
	s_waitcnt lgkmcnt(0)
	s_cmp_lg_u32 s2, 1
	s_cbranch_scc1 .LBB80_12
; %bb.26:
	s_lshl_b32 s2, s16, 1
	s_add_i32 s2, s2, 2
	v_cmp_gt_u32_e32 vcc, s16, v1
	s_and_b32 s10, s2, -4
	v_mov_b32_e32 v26, 0
	v_lshlrev_b32_e32 v1, 1, v1
	v_mov_b32_e32 v22, 0
	v_mov_b32_e32 v23, 0
	;; [unrolled: 1-line block ×8, first 2 shown]
	s_waitcnt vmcnt(3)
	v_mov_b32_e32 v18, 0
	v_mov_b32_e32 v19, 0
	v_mov_b32_e32 v20, 0
	v_mov_b32_e32 v21, 0
	s_waitcnt vmcnt(2)
	v_mov_b32_e32 v10, 0
	v_mov_b32_e32 v11, 0
	v_mov_b32_e32 v12, 0
	v_mov_b32_e32 v13, 0
	;; [unrolled: 5-line block ×4, first 2 shown]
	s_barrier
	s_and_saveexec_b64 s[2:3], vcc
	s_cbranch_execz .LBB80_28
; %bb.27:
	s_mul_hi_i32 s5, s18, s6
	s_mul_i32 s4, s18, s6
	s_and_b32 s9, s9, 0xffff
	s_lshl_b64 s[4:5], s[4:5], 1
	s_add_u32 s20, s28, s4
	s_mov_b32 s11, 0x20000
	s_addc_u32 s4, s29, s5
	s_and_b32 s21, s4, 0xffff
	s_mov_b32 s22, s10
	s_mov_b32 s23, s11
	s_movk_i32 s5, 0x800
	s_movk_i32 s4, 0x400
	buffer_load_dwordx4 v[22:25], v1, s[20:23], 0 offen glc slc
	buffer_load_dwordx4 v[14:17], v1, s[20:23], s4 offen glc slc
	;; [unrolled: 1-line block ×3, first 2 shown]
	buffer_load_dwordx4 v[10:13], v1, s[8:11], 0 offen
	buffer_load_dwordx4 v[6:9], v1, s[8:11], s4 offen
	;; [unrolled: 1-line block ×3, first 2 shown]
.LBB80_28:
	s_or_b64 exec, exec, s[2:3]
	v_mov_b32_e32 v27, 0
	v_mov_b32_e32 v48, 0
	;; [unrolled: 1-line block ×23, first 2 shown]
	s_and_saveexec_b64 s[2:3], vcc
	s_cbranch_execz .LBB80_30
; %bb.29:
	s_waitcnt vmcnt(5)
	v_cvt_f32_u32_sdwa v26, v22 dst_sel:DWORD dst_unused:UNUSED_PAD src0_sel:WORD_0
	v_cvt_f32_u32_sdwa v27, v22 dst_sel:DWORD dst_unused:UNUSED_PAD src0_sel:WORD_1
	v_cvt_f32_u32_sdwa v48, v23 dst_sel:DWORD dst_unused:UNUSED_PAD src0_sel:WORD_0
	v_cvt_f32_u32_sdwa v49, v23 dst_sel:DWORD dst_unused:UNUSED_PAD src0_sel:WORD_1
	v_cvt_f32_u32_sdwa v46, v24 dst_sel:DWORD dst_unused:UNUSED_PAD src0_sel:WORD_0
	v_cvt_f32_u32_sdwa v47, v24 dst_sel:DWORD dst_unused:UNUSED_PAD src0_sel:WORD_1
	v_cvt_f32_u32_sdwa v44, v25 dst_sel:DWORD dst_unused:UNUSED_PAD src0_sel:WORD_0
	v_cvt_f32_u32_sdwa v45, v25 dst_sel:DWORD dst_unused:UNUSED_PAD src0_sel:WORD_1
	s_waitcnt vmcnt(4)
	v_cvt_f32_u32_sdwa v42, v14 dst_sel:DWORD dst_unused:UNUSED_PAD src0_sel:WORD_0
	v_cvt_f32_u32_sdwa v43, v14 dst_sel:DWORD dst_unused:UNUSED_PAD src0_sel:WORD_1
	v_cvt_f32_u32_sdwa v40, v15 dst_sel:DWORD dst_unused:UNUSED_PAD src0_sel:WORD_0
	v_cvt_f32_u32_sdwa v41, v15 dst_sel:DWORD dst_unused:UNUSED_PAD src0_sel:WORD_1
	v_cvt_f32_u32_sdwa v38, v16 dst_sel:DWORD dst_unused:UNUSED_PAD src0_sel:WORD_0
	v_cvt_f32_u32_sdwa v39, v16 dst_sel:DWORD dst_unused:UNUSED_PAD src0_sel:WORD_1
	v_cvt_f32_u32_sdwa v36, v17 dst_sel:DWORD dst_unused:UNUSED_PAD src0_sel:WORD_0
	v_cvt_f32_u32_sdwa v37, v17 dst_sel:DWORD dst_unused:UNUSED_PAD src0_sel:WORD_1
	;; [unrolled: 9-line block ×3, first 2 shown]
.LBB80_30:
	s_or_b64 exec, exec, s[2:3]
	s_waitcnt vmcnt(4)
	v_mul_f32_e32 v14, v27, v27
	v_fmac_f32_e32 v14, v26, v26
	v_fmac_f32_e32 v14, v48, v48
	;; [unrolled: 1-line block ×23, first 2 shown]
	s_nop 1
	v_mov_b32_dpp v15, v14 quad_perm:[1,0,3,2] row_mask:0xf bank_mask:0xf
	v_add_f32_e32 v14, v14, v15
	s_nop 1
	v_mov_b32_dpp v15, v14 quad_perm:[2,3,0,1] row_mask:0xf bank_mask:0xf
	v_add_f32_e32 v14, v14, v15
	s_nop 1
	v_mov_b32_dpp v15, v14 row_half_mirror row_mask:0xf bank_mask:0xf
	v_add_f32_e32 v14, v14, v15
	s_nop 1
	v_mov_b32_dpp v15, v14 row_mirror row_mask:0xf bank_mask:0xf
	v_add_f32_e32 v14, v14, v15
	s_nop 1
	v_mov_b32_dpp v15, v14 row_bcast:15 row_mask:0xf bank_mask:0xf
	v_add_f32_e32 v14, v14, v15
	s_nop 1
	v_mov_b32_dpp v15, v14 row_bcast:31 row_mask:0xf bank_mask:0xf
	s_and_saveexec_b64 s[2:3], s[0:1]
	s_cbranch_execz .LBB80_32
; %bb.31:
	v_lshrrev_b32_e32 v0, 4, v0
	v_add_f32_e32 v14, v14, v15
	v_and_b32_e32 v0, 60, v0
	ds_write_b32 v0, v14 offset:16
.LBB80_32:
	s_or_b64 exec, exec, s[2:3]
	s_waitcnt lgkmcnt(0)
	s_barrier
	ds_read_b32 v0, v50 offset:16
	s_waitcnt lgkmcnt(0)
	s_nop 0
	v_mov_b32_dpp v14, v0 quad_perm:[1,0,3,2] row_mask:0xf bank_mask:0xf
	v_add_f32_e32 v0, v0, v14
	s_nop 1
	v_mov_b32_dpp v14, v0 quad_perm:[2,3,0,1] row_mask:0xf bank_mask:0xf
	s_and_saveexec_b64 s[0:1], vcc
	s_cbranch_execz .LBB80_12
; %bb.33:
	v_cvt_f32_u32_e32 v15, s16
	v_add_f32_e32 v0, v0, v14
	s_mov_b32 s11, 0x20000
	v_div_scale_f32 v14, s[0:1], v15, v15, v0
	v_rcp_f32_e32 v16, v14
	v_div_scale_f32 v17, vcc, v0, v15, v0
	s_mov_b32 s0, 0x800000
	s_waitcnt vmcnt(3)
	v_fma_f32 v18, -v14, v16, 1.0
	v_fmac_f32_e32 v16, v18, v16
	v_mul_f32_e32 v18, v17, v16
	v_fma_f32 v19, -v14, v18, v17
	v_fmac_f32_e32 v18, v19, v16
	v_fma_f32 v14, -v14, v18, v17
	v_div_fmas_f32 v14, v14, v16, v18
	v_div_fixup_f32 v0, v14, v15, v0
	v_add_f32_e32 v0, s13, v0
	v_mul_f32_e32 v14, 0x4b800000, v0
	v_cmp_gt_f32_e32 vcc, s0, v0
	v_cndmask_b32_e32 v0, v0, v14, vcc
	v_rsq_f32_e32 v0, v0
	s_mul_hi_i32 s1, s7, s6
	s_mul_i32 s0, s7, s6
	s_lshl_b64 s[0:1], s[0:1], 1
	v_mul_f32_e32 v14, 0x45800000, v0
	v_cndmask_b32_e32 v14, v0, v14, vcc
	v_mov_b32_e32 v15, v14
	;;#ASMSTART
	v_pk_mul_f32 v[16:17], v[26:27], v[14:15]
	;;#ASMEND
	;;#ASMSTART
	v_pk_mul_f32 v[18:19], v[48:49], v[14:15]
	;;#ASMEND
	;;#ASMSTART
	v_pk_mul_f32 v[20:21], v[46:47], v[14:15]
	;;#ASMEND
	;;#ASMSTART
	v_pk_mul_f32 v[22:23], v[44:45], v[14:15]
	;;#ASMEND
	;;#ASMSTART
	v_pk_mul_f32 v[24:25], v[42:43], v[14:15]
	;;#ASMEND
	;;#ASMSTART
	v_pk_mul_f32 v[26:27], v[40:41], v[14:15]
	;;#ASMEND
	;;#ASMSTART
	v_pk_mul_f32 v[38:39], v[38:39], v[14:15]
	;;#ASMEND
	;;#ASMSTART
	v_pk_mul_f32 v[36:37], v[36:37], v[14:15]
	;;#ASMEND
	;;#ASMSTART
	v_pk_mul_f32 v[34:35], v[34:35], v[14:15]
	;;#ASMEND
	;;#ASMSTART
	v_pk_mul_f32 v[32:33], v[32:33], v[14:15]
	;;#ASMEND
	;;#ASMSTART
	v_pk_mul_f32 v[30:31], v[30:31], v[14:15]
	;;#ASMEND
	;;#ASMSTART
	v_pk_mul_f32 v[14:15], v[28:29], v[14:15]
	;;#ASMEND
	s_waitcnt vmcnt(2)
	v_cvt_f32_u32_sdwa v29, v10 dst_sel:DWORD dst_unused:UNUSED_PAD src0_sel:WORD_1
	v_cvt_f32_u32_sdwa v28, v10 dst_sel:DWORD dst_unused:UNUSED_PAD src0_sel:WORD_0
	v_cvt_f32_u32_sdwa v41, v11 dst_sel:DWORD dst_unused:UNUSED_PAD src0_sel:WORD_1
	v_cvt_f32_u32_sdwa v40, v11 dst_sel:DWORD dst_unused:UNUSED_PAD src0_sel:WORD_0
	;; [unrolled: 2-line block ×3, first 2 shown]
	s_add_u32 s8, s24, s0
	v_cvt_f32_u32_sdwa v43, v13 dst_sel:DWORD dst_unused:UNUSED_PAD src0_sel:WORD_1
	v_cvt_f32_u32_sdwa v42, v13 dst_sel:DWORD dst_unused:UNUSED_PAD src0_sel:WORD_0
	;;#ASMSTART
	v_pk_mul_f32 v[12:13], v[16:17], v[28:29]
	;;#ASMEND
	;;#ASMSTART
	v_pk_mul_f32 v[16:17], v[18:19], v[40:41]
	;;#ASMEND
	;; [unrolled: 3-line block ×3, first 2 shown]
	s_waitcnt vmcnt(1)
	v_cvt_f32_u32_sdwa v21, v6 dst_sel:DWORD dst_unused:UNUSED_PAD src0_sel:WORD_1
	v_cvt_f32_u32_sdwa v20, v6 dst_sel:DWORD dst_unused:UNUSED_PAD src0_sel:WORD_0
	s_addc_u32 s0, s25, s1
	;;#ASMSTART
	v_pk_mul_f32 v[18:19], v[22:23], v[42:43]
	;;#ASMEND
	v_cvt_f32_u32_sdwa v23, v7 dst_sel:DWORD dst_unused:UNUSED_PAD src0_sel:WORD_1
	v_cvt_f32_u32_sdwa v22, v7 dst_sel:DWORD dst_unused:UNUSED_PAD src0_sel:WORD_0
	v_cvt_f32_u32_sdwa v7, v8 dst_sel:DWORD dst_unused:UNUSED_PAD src0_sel:WORD_1
	v_cvt_f32_u32_sdwa v6, v8 dst_sel:DWORD dst_unused:UNUSED_PAD src0_sel:WORD_0
	;; [unrolled: 2-line block ×3, first 2 shown]
	;;#ASMSTART
	v_pk_mul_f32 v[8:9], v[24:25], v[20:21]
	;;#ASMEND
	;;#ASMSTART
	v_pk_mul_f32 v[20:21], v[26:27], v[22:23]
	;;#ASMEND
	s_waitcnt vmcnt(0)
	v_cvt_f32_u32_sdwa v25, v2 dst_sel:DWORD dst_unused:UNUSED_PAD src0_sel:WORD_1
	v_cvt_f32_u32_sdwa v24, v2 dst_sel:DWORD dst_unused:UNUSED_PAD src0_sel:WORD_0
	v_cvt_f32_u32_sdwa v27, v3 dst_sel:DWORD dst_unused:UNUSED_PAD src0_sel:WORD_1
	v_cvt_f32_u32_sdwa v26, v3 dst_sel:DWORD dst_unused:UNUSED_PAD src0_sel:WORD_0
	;; [unrolled: 2-line block ×3, first 2 shown]
	s_and_b32 s9, s0, 0xffff
	s_mov_b32 s0, 0x7060302
	;;#ASMSTART
	v_pk_mul_f32 v[6:7], v[38:39], v[6:7]
	;;#ASMEND
	;;#ASMSTART
	v_pk_mul_f32 v[22:23], v[36:37], v[28:29]
	;;#ASMEND
	v_cvt_f32_u32_sdwa v29, v5 dst_sel:DWORD dst_unused:UNUSED_PAD src0_sel:WORD_1
	v_cvt_f32_u32_sdwa v28, v5 dst_sel:DWORD dst_unused:UNUSED_PAD src0_sel:WORD_0
	;;#ASMSTART
	v_pk_mul_f32 v[24:25], v[34:35], v[24:25]
	;;#ASMEND
	;;#ASMSTART
	v_pk_mul_f32 v[26:27], v[32:33], v[26:27]
	;;#ASMEND
	;; [unrolled: 3-line block ×3, first 2 shown]
	v_perm_b32 v2, v13, v12, s0
	v_perm_b32 v3, v17, v16, s0
	;; [unrolled: 1-line block ×4, first 2 shown]
	;;#ASMSTART
	v_pk_mul_f32 v[14:15], v[14:15], v[28:29]
	;;#ASMEND
	buffer_store_dwordx4 v[2:5], v1, s[8:11], 0 offen
	s_movk_i32 s1, 0x400
	v_perm_b32 v2, v9, v8, s0
	v_perm_b32 v3, v21, v20, s0
	;; [unrolled: 1-line block ×4, first 2 shown]
	;;#ASMSTART
	s_nop 0
	;;#ASMEND
	buffer_store_dwordx4 v[2:5], v1, s[8:11], s1 offen
	v_perm_b32 v2, v25, v24, s0
	v_perm_b32 v3, v27, v26, s0
	;; [unrolled: 1-line block ×4, first 2 shown]
	s_movk_i32 s0, 0x800
	;;#ASMSTART
	s_nop 0
	;;#ASMEND
	buffer_store_dwordx4 v[2:5], v1, s[8:11], s0 offen
	;;#ASMSTART
	s_nop 0
	;;#ASMEND
	s_endpgm
	.section	.rodata,"a",@progbits
	.p2align	6, 0x0
	.amdhsa_kernel _ZN5aiter35fused_qk_rmsnorm_group_quant_kernelItDB8_Li256ELi24ELi1ELb0ELb0ELb0ELb0ELb1ELb1EEEvPT0_PvPT_S6_S6_PKS5_S8_S8_S8_S8_ffiiiiiiiiiiiii
		.amdhsa_group_segment_fixed_size 48
		.amdhsa_private_segment_fixed_size 0
		.amdhsa_kernarg_size 400
		.amdhsa_user_sgpr_count 6
		.amdhsa_user_sgpr_private_segment_buffer 1
		.amdhsa_user_sgpr_dispatch_ptr 0
		.amdhsa_user_sgpr_queue_ptr 0
		.amdhsa_user_sgpr_kernarg_segment_ptr 1
		.amdhsa_user_sgpr_dispatch_id 0
		.amdhsa_user_sgpr_flat_scratch_init 0
		.amdhsa_user_sgpr_kernarg_preload_length 0
		.amdhsa_user_sgpr_kernarg_preload_offset 0
		.amdhsa_user_sgpr_private_segment_size 0
		.amdhsa_uses_dynamic_stack 0
		.amdhsa_system_sgpr_private_segment_wavefront_offset 0
		.amdhsa_system_sgpr_workgroup_id_x 1
		.amdhsa_system_sgpr_workgroup_id_y 1
		.amdhsa_system_sgpr_workgroup_id_z 0
		.amdhsa_system_sgpr_workgroup_info 0
		.amdhsa_system_vgpr_workitem_id 0
		.amdhsa_next_free_vgpr 51
		.amdhsa_next_free_sgpr 30
		.amdhsa_accum_offset 52
		.amdhsa_reserve_vcc 1
		.amdhsa_reserve_flat_scratch 0
		.amdhsa_float_round_mode_32 0
		.amdhsa_float_round_mode_16_64 0
		.amdhsa_float_denorm_mode_32 3
		.amdhsa_float_denorm_mode_16_64 3
		.amdhsa_dx10_clamp 1
		.amdhsa_ieee_mode 1
		.amdhsa_fp16_overflow 0
		.amdhsa_tg_split 0
		.amdhsa_exception_fp_ieee_invalid_op 0
		.amdhsa_exception_fp_denorm_src 0
		.amdhsa_exception_fp_ieee_div_zero 0
		.amdhsa_exception_fp_ieee_overflow 0
		.amdhsa_exception_fp_ieee_underflow 0
		.amdhsa_exception_fp_ieee_inexact 0
		.amdhsa_exception_int_div_zero 0
	.end_amdhsa_kernel
	.section	.text._ZN5aiter35fused_qk_rmsnorm_group_quant_kernelItDB8_Li256ELi24ELi1ELb0ELb0ELb0ELb0ELb1ELb1EEEvPT0_PvPT_S6_S6_PKS5_S8_S8_S8_S8_ffiiiiiiiiiiiii,"axG",@progbits,_ZN5aiter35fused_qk_rmsnorm_group_quant_kernelItDB8_Li256ELi24ELi1ELb0ELb0ELb0ELb0ELb1ELb1EEEvPT0_PvPT_S6_S6_PKS5_S8_S8_S8_S8_ffiiiiiiiiiiiii,comdat
.Lfunc_end80:
	.size	_ZN5aiter35fused_qk_rmsnorm_group_quant_kernelItDB8_Li256ELi24ELi1ELb0ELb0ELb0ELb0ELb1ELb1EEEvPT0_PvPT_S6_S6_PKS5_S8_S8_S8_S8_ffiiiiiiiiiiiii, .Lfunc_end80-_ZN5aiter35fused_qk_rmsnorm_group_quant_kernelItDB8_Li256ELi24ELi1ELb0ELb0ELb0ELb0ELb1ELb1EEEvPT0_PvPT_S6_S6_PKS5_S8_S8_S8_S8_ffiiiiiiiiiiiii
                                        ; -- End function
	.section	.AMDGPU.csdata,"",@progbits
; Kernel info:
; codeLenInByte = 4756
; NumSgprs: 34
; NumVgprs: 51
; NumAgprs: 0
; TotalNumVgprs: 51
; ScratchSize: 0
; MemoryBound: 0
; FloatMode: 240
; IeeeMode: 1
; LDSByteSize: 48 bytes/workgroup (compile time only)
; SGPRBlocks: 4
; VGPRBlocks: 6
; NumSGPRsForWavesPerEU: 34
; NumVGPRsForWavesPerEU: 51
; AccumOffset: 52
; Occupancy: 8
; WaveLimiterHint : 0
; COMPUTE_PGM_RSRC2:SCRATCH_EN: 0
; COMPUTE_PGM_RSRC2:USER_SGPR: 6
; COMPUTE_PGM_RSRC2:TRAP_HANDLER: 0
; COMPUTE_PGM_RSRC2:TGID_X_EN: 1
; COMPUTE_PGM_RSRC2:TGID_Y_EN: 1
; COMPUTE_PGM_RSRC2:TGID_Z_EN: 0
; COMPUTE_PGM_RSRC2:TIDIG_COMP_CNT: 0
; COMPUTE_PGM_RSRC3_GFX90A:ACCUM_OFFSET: 12
; COMPUTE_PGM_RSRC3_GFX90A:TG_SPLIT: 0
	.section	.text._ZN5aiter35fused_qk_rmsnorm_group_quant_kernelIDF16_DB8_Li256ELi32ELi1ELb1ELb1ELb1ELb0ELb1ELb1EEEvPT0_PvPT_S6_S6_PKS5_S8_S8_S8_S8_ffiiiiiiiiiiiii,"axG",@progbits,_ZN5aiter35fused_qk_rmsnorm_group_quant_kernelIDF16_DB8_Li256ELi32ELi1ELb1ELb1ELb1ELb0ELb1ELb1EEEvPT0_PvPT_S6_S6_PKS5_S8_S8_S8_S8_ffiiiiiiiiiiiii,comdat
	.protected	_ZN5aiter35fused_qk_rmsnorm_group_quant_kernelIDF16_DB8_Li256ELi32ELi1ELb1ELb1ELb1ELb0ELb1ELb1EEEvPT0_PvPT_S6_S6_PKS5_S8_S8_S8_S8_ffiiiiiiiiiiiii ; -- Begin function _ZN5aiter35fused_qk_rmsnorm_group_quant_kernelIDF16_DB8_Li256ELi32ELi1ELb1ELb1ELb1ELb0ELb1ELb1EEEvPT0_PvPT_S6_S6_PKS5_S8_S8_S8_S8_ffiiiiiiiiiiiii
	.globl	_ZN5aiter35fused_qk_rmsnorm_group_quant_kernelIDF16_DB8_Li256ELi32ELi1ELb1ELb1ELb1ELb0ELb1ELb1EEEvPT0_PvPT_S6_S6_PKS5_S8_S8_S8_S8_ffiiiiiiiiiiiii
	.p2align	8
	.type	_ZN5aiter35fused_qk_rmsnorm_group_quant_kernelIDF16_DB8_Li256ELi32ELi1ELb1ELb1ELb1ELb0ELb1ELb1EEEvPT0_PvPT_S6_S6_PKS5_S8_S8_S8_S8_ffiiiiiiiiiiiii,@function
_ZN5aiter35fused_qk_rmsnorm_group_quant_kernelIDF16_DB8_Li256ELi32ELi1ELb1ELb1ELb1ELb0ELb1ELb1EEEvPT0_PvPT_S6_S6_PKS5_S8_S8_S8_S8_ffiiiiiiiiiiiii: ; @_ZN5aiter35fused_qk_rmsnorm_group_quant_kernelIDF16_DB8_Li256ELi32ELi1ELb1ELb1ELb1ELb0ELb1ELb1EEEvPT0_PvPT_S6_S6_PKS5_S8_S8_S8_S8_ffiiiiiiiiiiiii
; %bb.0:
	s_load_dwordx8 s[12:19], s[4:5], 0x50
	s_mov_b64 s[42:43], s[2:3]
	s_mov_b64 s[40:41], s[0:1]
	s_add_u32 s40, s40, s8
	s_addc_u32 s41, s41, 0
	s_waitcnt lgkmcnt(0)
	s_cmp_ge_i32 s6, s14
	s_cbranch_scc1 .LBB81_17
; %bb.1:
	s_cmp_lg_u32 s7, 0
	s_cselect_b64 s[22:23], -1, 0
	s_cmp_eq_u32 s7, 0
	s_cselect_b64 s[8:9], -1, 0
	s_and_b64 s[0:1], s[8:9], exec
	s_cselect_b32 s7, s15, s16
	s_add_i32 s0, s7, 1
	s_load_dwordx2 s[10:11], s[4:5], 0x70
	s_load_dwordx2 s[20:21], s[4:5], 0x48
	;; [unrolled: 1-line block ×3, first 2 shown]
	s_lshr_b32 s1, s0, 31
	s_add_i32 s0, s0, s1
	s_lshl_b32 s0, s0, 1
	v_lshlrev_b32_e32 v1, 5, v0
	s_and_b32 s30, s0, -4
	v_lshlrev_b32_e32 v2, 3, v0
	v_and_b32_e32 v1, 0x7800, v1
	s_movk_i32 s0, 0x1f8
	v_and_or_b32 v1, v2, s0, v1
	v_cmp_gt_i32_e64 s[0:1], s7, v1
	v_mov_b32_e32 v112, 0
	v_mov_b32_e32 v113, 0
	;; [unrolled: 1-line block ×32, first 2 shown]
	buffer_store_dword v1, off, s[40:43], 0 offset:1536 ; 4-byte Folded Spill
	s_and_saveexec_b64 s[2:3], s[0:1]
	s_cbranch_execz .LBB81_3
; %bb.2:
	s_load_dwordx2 s[24:25], s[4:5], 0x28
	s_load_dwordx2 s[26:27], s[4:5], 0x40
	buffer_load_dword v1, off, s[40:43], 0 offset:1536 ; 4-byte Folded Reload
	s_and_b64 s[28:29], s[8:9], exec
	s_cselect_b32 s14, s17, s18
	s_waitcnt lgkmcnt(0)
	s_cselect_b32 s17, s25, s35
	s_cselect_b32 s28, s24, s34
	s_mul_hi_i32 s25, s14, s6
	s_mul_i32 s24, s14, s6
	s_lshl_b64 s[24:25], s[24:25], 1
	s_add_u32 s24, s28, s24
	s_addc_u32 s14, s17, s25
	s_and_b64 s[28:29], s[8:9], exec
	s_cselect_b32 s17, s27, s21
	s_mov_b32 s31, 0x20000
	s_cselect_b32 s28, s26, s20
	s_and_b32 s29, s17, 0xffff
	s_and_b32 s25, s14, 0xffff
	s_mov_b32 s26, s30
	s_mov_b32 s27, s31
	s_movk_i32 s17, 0x800
	s_movk_i32 s14, 0x400
	;; [unrolled: 1-line block ×3, first 2 shown]
	s_waitcnt vmcnt(0)
	v_lshlrev_b32_e32 v1, 1, v1
	buffer_load_dwordx4 v[116:119], v1, s[24:27], 0 offen glc slc
	buffer_load_dwordx4 v[34:37], v1, s[24:27], s14 offen glc slc
	;; [unrolled: 1-line block ×4, first 2 shown]
	buffer_load_dwordx4 v[112:115], v1, s[28:31], 0 offen
	buffer_load_dwordx4 v[108:111], v1, s[28:31], s14 offen
	buffer_load_dwordx4 v[104:107], v1, s[28:31], s17 offen
	buffer_load_dwordx4 v[124:127], v1, s[28:31], s33 offen
.LBB81_3:
	s_or_b64 exec, exec, s[2:3]
	s_load_dwordx4 s[24:27], s[4:5], 0x7c
	s_and_b64 vcc, exec, s[22:23]
	s_cbranch_vccz .LBB81_7
; %bb.4:
	v_mov_b32_e32 v29, 0
	v_mov_b32_e32 v28, 0
	buffer_store_dword v0, off, s[40:43], 0 offset:1540 ; 4-byte Folded Spill
	s_nop 0
	buffer_store_dword v1, off, s[40:43], 0 offset:1544 ; 4-byte Folded Spill
	buffer_store_dword v2, off, s[40:43], 0 offset:1548 ; 4-byte Folded Spill
	;; [unrolled: 1-line block ×31, first 2 shown]
	v_mov_b32_e32 v27, 0
	v_mov_b32_e32 v26, 0
	;; [unrolled: 1-line block ×6, first 2 shown]
	buffer_store_dword v0, off, s[40:43], 0 offset:256 ; 4-byte Folded Spill
	s_nop 0
	buffer_store_dword v1, off, s[40:43], 0 offset:260 ; 4-byte Folded Spill
	buffer_store_dword v2, off, s[40:43], 0 offset:264 ; 4-byte Folded Spill
	;; [unrolled: 1-line block ×31, first 2 shown]
	v_mov_b32_e32 v25, 0
	v_mov_b32_e32 v24, 0
	buffer_store_dword v0, off, s[40:43], 0 offset:384 ; 4-byte Folded Spill
	s_nop 0
	buffer_store_dword v1, off, s[40:43], 0 offset:388 ; 4-byte Folded Spill
	buffer_store_dword v2, off, s[40:43], 0 offset:392 ; 4-byte Folded Spill
	;; [unrolled: 1-line block ×31, first 2 shown]
	v_mov_b32_e32 v23, 0
	v_mov_b32_e32 v22, 0
	buffer_store_dword v0, off, s[40:43], 0 ; 4-byte Folded Spill
	s_nop 0
	buffer_store_dword v1, off, s[40:43], 0 offset:4 ; 4-byte Folded Spill
	buffer_store_dword v2, off, s[40:43], 0 offset:8 ; 4-byte Folded Spill
	buffer_store_dword v3, off, s[40:43], 0 offset:12 ; 4-byte Folded Spill
	buffer_store_dword v4, off, s[40:43], 0 offset:16 ; 4-byte Folded Spill
	buffer_store_dword v5, off, s[40:43], 0 offset:20 ; 4-byte Folded Spill
	buffer_store_dword v6, off, s[40:43], 0 offset:24 ; 4-byte Folded Spill
	buffer_store_dword v7, off, s[40:43], 0 offset:28 ; 4-byte Folded Spill
	buffer_store_dword v8, off, s[40:43], 0 offset:32 ; 4-byte Folded Spill
	buffer_store_dword v9, off, s[40:43], 0 offset:36 ; 4-byte Folded Spill
	buffer_store_dword v10, off, s[40:43], 0 offset:40 ; 4-byte Folded Spill
	buffer_store_dword v11, off, s[40:43], 0 offset:44 ; 4-byte Folded Spill
	buffer_store_dword v12, off, s[40:43], 0 offset:48 ; 4-byte Folded Spill
	buffer_store_dword v13, off, s[40:43], 0 offset:52 ; 4-byte Folded Spill
	buffer_store_dword v14, off, s[40:43], 0 offset:56 ; 4-byte Folded Spill
	buffer_store_dword v15, off, s[40:43], 0 offset:60 ; 4-byte Folded Spill
	buffer_store_dword v16, off, s[40:43], 0 offset:64 ; 4-byte Folded Spill
	buffer_store_dword v17, off, s[40:43], 0 offset:68 ; 4-byte Folded Spill
	buffer_store_dword v18, off, s[40:43], 0 offset:72 ; 4-byte Folded Spill
	buffer_store_dword v19, off, s[40:43], 0 offset:76 ; 4-byte Folded Spill
	buffer_store_dword v20, off, s[40:43], 0 offset:80 ; 4-byte Folded Spill
	buffer_store_dword v21, off, s[40:43], 0 offset:84 ; 4-byte Folded Spill
	buffer_store_dword v22, off, s[40:43], 0 offset:88 ; 4-byte Folded Spill
	buffer_store_dword v23, off, s[40:43], 0 offset:92 ; 4-byte Folded Spill
	buffer_store_dword v24, off, s[40:43], 0 offset:96 ; 4-byte Folded Spill
	buffer_store_dword v25, off, s[40:43], 0 offset:100 ; 4-byte Folded Spill
	buffer_store_dword v26, off, s[40:43], 0 offset:104 ; 4-byte Folded Spill
	buffer_store_dword v27, off, s[40:43], 0 offset:108 ; 4-byte Folded Spill
	buffer_store_dword v28, off, s[40:43], 0 offset:112 ; 4-byte Folded Spill
	buffer_store_dword v29, off, s[40:43], 0 offset:116 ; 4-byte Folded Spill
	buffer_store_dword v30, off, s[40:43], 0 offset:120 ; 4-byte Folded Spill
	buffer_store_dword v31, off, s[40:43], 0 offset:124 ; 4-byte Folded Spill
	v_mov_b32_e32 v21, 0
	v_mov_b32_e32 v20, 0
	buffer_store_dword v0, off, s[40:43], 0 offset:128 ; 4-byte Folded Spill
	s_nop 0
	buffer_store_dword v1, off, s[40:43], 0 offset:132 ; 4-byte Folded Spill
	buffer_store_dword v2, off, s[40:43], 0 offset:136 ; 4-byte Folded Spill
	buffer_store_dword v3, off, s[40:43], 0 offset:140 ; 4-byte Folded Spill
	buffer_store_dword v4, off, s[40:43], 0 offset:144 ; 4-byte Folded Spill
	buffer_store_dword v5, off, s[40:43], 0 offset:148 ; 4-byte Folded Spill
	buffer_store_dword v6, off, s[40:43], 0 offset:152 ; 4-byte Folded Spill
	buffer_store_dword v7, off, s[40:43], 0 offset:156 ; 4-byte Folded Spill
	buffer_store_dword v8, off, s[40:43], 0 offset:160 ; 4-byte Folded Spill
	buffer_store_dword v9, off, s[40:43], 0 offset:164 ; 4-byte Folded Spill
	buffer_store_dword v10, off, s[40:43], 0 offset:168 ; 4-byte Folded Spill
	buffer_store_dword v11, off, s[40:43], 0 offset:172 ; 4-byte Folded Spill
	buffer_store_dword v12, off, s[40:43], 0 offset:176 ; 4-byte Folded Spill
	buffer_store_dword v13, off, s[40:43], 0 offset:180 ; 4-byte Folded Spill
	buffer_store_dword v14, off, s[40:43], 0 offset:184 ; 4-byte Folded Spill
	buffer_store_dword v15, off, s[40:43], 0 offset:188 ; 4-byte Folded Spill
	buffer_store_dword v16, off, s[40:43], 0 offset:192 ; 4-byte Folded Spill
	buffer_store_dword v17, off, s[40:43], 0 offset:196 ; 4-byte Folded Spill
	buffer_store_dword v18, off, s[40:43], 0 offset:200 ; 4-byte Folded Spill
	buffer_store_dword v19, off, s[40:43], 0 offset:204 ; 4-byte Folded Spill
	buffer_store_dword v20, off, s[40:43], 0 offset:208 ; 4-byte Folded Spill
	buffer_store_dword v21, off, s[40:43], 0 offset:212 ; 4-byte Folded Spill
	buffer_store_dword v22, off, s[40:43], 0 offset:216 ; 4-byte Folded Spill
	buffer_store_dword v23, off, s[40:43], 0 offset:220 ; 4-byte Folded Spill
	buffer_store_dword v24, off, s[40:43], 0 offset:224 ; 4-byte Folded Spill
	buffer_store_dword v25, off, s[40:43], 0 offset:228 ; 4-byte Folded Spill
	buffer_store_dword v26, off, s[40:43], 0 offset:232 ; 4-byte Folded Spill
	buffer_store_dword v27, off, s[40:43], 0 offset:236 ; 4-byte Folded Spill
	buffer_store_dword v28, off, s[40:43], 0 offset:240 ; 4-byte Folded Spill
	buffer_store_dword v29, off, s[40:43], 0 offset:244 ; 4-byte Folded Spill
	buffer_store_dword v30, off, s[40:43], 0 offset:248 ; 4-byte Folded Spill
	buffer_store_dword v31, off, s[40:43], 0 offset:252 ; 4-byte Folded Spill
	v_mov_b32_e32 v19, 0
	v_mov_b32_e32 v18, 0
	buffer_store_dword v0, off, s[40:43], 0 offset:768 ; 4-byte Folded Spill
	;; [unrolled: 35-line block ×9, first 2 shown]
	s_nop 0
	buffer_store_dword v1, off, s[40:43], 0 offset:1284 ; 4-byte Folded Spill
	buffer_store_dword v2, off, s[40:43], 0 offset:1288 ; 4-byte Folded Spill
	;; [unrolled: 1-line block ×31, first 2 shown]
	v_mov_b32_e32 v3, 0
	v_mov_b32_e32 v2, 0
	s_and_saveexec_b64 s[2:3], s[0:1]
	s_cbranch_execz .LBB81_6
; %bb.5:
	s_waitcnt vmcnt(62)
	v_cvt_f32_f16_sdwa v3, v116 dst_sel:DWORD dst_unused:UNUSED_PAD src0_sel:WORD_1
	v_cvt_f32_f16_e32 v2, v116
	v_cvt_f32_f16_sdwa v5, v118 dst_sel:DWORD dst_unused:UNUSED_PAD src0_sel:WORD_1
	v_cvt_f32_f16_e32 v4, v118
	buffer_store_dword v0, off, s[40:43], 0 offset:1280 ; 4-byte Folded Spill
	s_nop 0
	buffer_store_dword v1, off, s[40:43], 0 offset:1284 ; 4-byte Folded Spill
	buffer_store_dword v2, off, s[40:43], 0 offset:1288 ; 4-byte Folded Spill
	;; [unrolled: 1-line block ×31, first 2 shown]
	v_cvt_f32_f16_sdwa v7, v119 dst_sel:DWORD dst_unused:UNUSED_PAD src0_sel:WORD_1
	v_cvt_f32_f16_e32 v6, v119
	v_cvt_f32_f16_sdwa v75, v117 dst_sel:DWORD dst_unused:UNUSED_PAD src0_sel:WORD_1
	v_cvt_f32_f16_e32 v74, v117
	;; [unrolled: 2-line block ×3, first 2 shown]
	buffer_store_dword v0, off, s[40:43], 0 offset:1152 ; 4-byte Folded Spill
	s_nop 0
	buffer_store_dword v1, off, s[40:43], 0 offset:1156 ; 4-byte Folded Spill
	buffer_store_dword v2, off, s[40:43], 0 offset:1160 ; 4-byte Folded Spill
	buffer_store_dword v3, off, s[40:43], 0 offset:1164 ; 4-byte Folded Spill
	buffer_store_dword v4, off, s[40:43], 0 offset:1168 ; 4-byte Folded Spill
	buffer_store_dword v5, off, s[40:43], 0 offset:1172 ; 4-byte Folded Spill
	buffer_store_dword v6, off, s[40:43], 0 offset:1176 ; 4-byte Folded Spill
	buffer_store_dword v7, off, s[40:43], 0 offset:1180 ; 4-byte Folded Spill
	buffer_store_dword v8, off, s[40:43], 0 offset:1184 ; 4-byte Folded Spill
	buffer_store_dword v9, off, s[40:43], 0 offset:1188 ; 4-byte Folded Spill
	buffer_store_dword v10, off, s[40:43], 0 offset:1192 ; 4-byte Folded Spill
	buffer_store_dword v11, off, s[40:43], 0 offset:1196 ; 4-byte Folded Spill
	buffer_store_dword v12, off, s[40:43], 0 offset:1200 ; 4-byte Folded Spill
	buffer_store_dword v13, off, s[40:43], 0 offset:1204 ; 4-byte Folded Spill
	buffer_store_dword v14, off, s[40:43], 0 offset:1208 ; 4-byte Folded Spill
	buffer_store_dword v15, off, s[40:43], 0 offset:1212 ; 4-byte Folded Spill
	buffer_store_dword v16, off, s[40:43], 0 offset:1216 ; 4-byte Folded Spill
	buffer_store_dword v17, off, s[40:43], 0 offset:1220 ; 4-byte Folded Spill
	buffer_store_dword v18, off, s[40:43], 0 offset:1224 ; 4-byte Folded Spill
	buffer_store_dword v19, off, s[40:43], 0 offset:1228 ; 4-byte Folded Spill
	buffer_store_dword v20, off, s[40:43], 0 offset:1232 ; 4-byte Folded Spill
	buffer_store_dword v21, off, s[40:43], 0 offset:1236 ; 4-byte Folded Spill
	buffer_store_dword v22, off, s[40:43], 0 offset:1240 ; 4-byte Folded Spill
	buffer_store_dword v23, off, s[40:43], 0 offset:1244 ; 4-byte Folded Spill
	buffer_store_dword v24, off, s[40:43], 0 offset:1248 ; 4-byte Folded Spill
	buffer_store_dword v25, off, s[40:43], 0 offset:1252 ; 4-byte Folded Spill
	buffer_store_dword v26, off, s[40:43], 0 offset:1256 ; 4-byte Folded Spill
	buffer_store_dword v27, off, s[40:43], 0 offset:1260 ; 4-byte Folded Spill
	buffer_store_dword v28, off, s[40:43], 0 offset:1264 ; 4-byte Folded Spill
	buffer_store_dword v29, off, s[40:43], 0 offset:1268 ; 4-byte Folded Spill
	buffer_store_dword v30, off, s[40:43], 0 offset:1272 ; 4-byte Folded Spill
	buffer_store_dword v31, off, s[40:43], 0 offset:1276 ; 4-byte Folded Spill
	v_cvt_f32_f16_sdwa v9, v34 dst_sel:DWORD dst_unused:UNUSED_PAD src0_sel:WORD_1
	v_cvt_f32_f16_e32 v8, v34
	buffer_store_dword v0, off, s[40:43], 0 offset:1408 ; 4-byte Folded Spill
	s_nop 0
	buffer_store_dword v1, off, s[40:43], 0 offset:1412 ; 4-byte Folded Spill
	buffer_store_dword v2, off, s[40:43], 0 offset:1416 ; 4-byte Folded Spill
	buffer_store_dword v3, off, s[40:43], 0 offset:1420 ; 4-byte Folded Spill
	buffer_store_dword v4, off, s[40:43], 0 offset:1424 ; 4-byte Folded Spill
	buffer_store_dword v5, off, s[40:43], 0 offset:1428 ; 4-byte Folded Spill
	buffer_store_dword v6, off, s[40:43], 0 offset:1432 ; 4-byte Folded Spill
	buffer_store_dword v7, off, s[40:43], 0 offset:1436 ; 4-byte Folded Spill
	buffer_store_dword v8, off, s[40:43], 0 offset:1440 ; 4-byte Folded Spill
	buffer_store_dword v9, off, s[40:43], 0 offset:1444 ; 4-byte Folded Spill
	buffer_store_dword v10, off, s[40:43], 0 offset:1448 ; 4-byte Folded Spill
	buffer_store_dword v11, off, s[40:43], 0 offset:1452 ; 4-byte Folded Spill
	buffer_store_dword v12, off, s[40:43], 0 offset:1456 ; 4-byte Folded Spill
	buffer_store_dword v13, off, s[40:43], 0 offset:1460 ; 4-byte Folded Spill
	buffer_store_dword v14, off, s[40:43], 0 offset:1464 ; 4-byte Folded Spill
	buffer_store_dword v15, off, s[40:43], 0 offset:1468 ; 4-byte Folded Spill
	buffer_store_dword v16, off, s[40:43], 0 offset:1472 ; 4-byte Folded Spill
	buffer_store_dword v17, off, s[40:43], 0 offset:1476 ; 4-byte Folded Spill
	buffer_store_dword v18, off, s[40:43], 0 offset:1480 ; 4-byte Folded Spill
	buffer_store_dword v19, off, s[40:43], 0 offset:1484 ; 4-byte Folded Spill
	buffer_store_dword v20, off, s[40:43], 0 offset:1488 ; 4-byte Folded Spill
	buffer_store_dword v21, off, s[40:43], 0 offset:1492 ; 4-byte Folded Spill
	buffer_store_dword v22, off, s[40:43], 0 offset:1496 ; 4-byte Folded Spill
	buffer_store_dword v23, off, s[40:43], 0 offset:1500 ; 4-byte Folded Spill
	buffer_store_dword v24, off, s[40:43], 0 offset:1504 ; 4-byte Folded Spill
	buffer_store_dword v25, off, s[40:43], 0 offset:1508 ; 4-byte Folded Spill
	buffer_store_dword v26, off, s[40:43], 0 offset:1512 ; 4-byte Folded Spill
	buffer_store_dword v27, off, s[40:43], 0 offset:1516 ; 4-byte Folded Spill
	buffer_store_dword v28, off, s[40:43], 0 offset:1520 ; 4-byte Folded Spill
	buffer_store_dword v29, off, s[40:43], 0 offset:1524 ; 4-byte Folded Spill
	buffer_store_dword v30, off, s[40:43], 0 offset:1528 ; 4-byte Folded Spill
	buffer_store_dword v31, off, s[40:43], 0 offset:1532 ; 4-byte Folded Spill
	v_cvt_f32_f16_sdwa v11, v35 dst_sel:DWORD dst_unused:UNUSED_PAD src0_sel:WORD_1
	v_cvt_f32_f16_e32 v10, v35
	;; [unrolled: 35-line block ×8, first 2 shown]
	buffer_store_dword v0, off, s[40:43], 0 ; 4-byte Folded Spill
	s_nop 0
	buffer_store_dword v1, off, s[40:43], 0 offset:4 ; 4-byte Folded Spill
	buffer_store_dword v2, off, s[40:43], 0 offset:8 ; 4-byte Folded Spill
	buffer_store_dword v3, off, s[40:43], 0 offset:12 ; 4-byte Folded Spill
	buffer_store_dword v4, off, s[40:43], 0 offset:16 ; 4-byte Folded Spill
	buffer_store_dword v5, off, s[40:43], 0 offset:20 ; 4-byte Folded Spill
	buffer_store_dword v6, off, s[40:43], 0 offset:24 ; 4-byte Folded Spill
	buffer_store_dword v7, off, s[40:43], 0 offset:28 ; 4-byte Folded Spill
	buffer_store_dword v8, off, s[40:43], 0 offset:32 ; 4-byte Folded Spill
	buffer_store_dword v9, off, s[40:43], 0 offset:36 ; 4-byte Folded Spill
	buffer_store_dword v10, off, s[40:43], 0 offset:40 ; 4-byte Folded Spill
	buffer_store_dword v11, off, s[40:43], 0 offset:44 ; 4-byte Folded Spill
	buffer_store_dword v12, off, s[40:43], 0 offset:48 ; 4-byte Folded Spill
	buffer_store_dword v13, off, s[40:43], 0 offset:52 ; 4-byte Folded Spill
	buffer_store_dword v14, off, s[40:43], 0 offset:56 ; 4-byte Folded Spill
	buffer_store_dword v15, off, s[40:43], 0 offset:60 ; 4-byte Folded Spill
	buffer_store_dword v16, off, s[40:43], 0 offset:64 ; 4-byte Folded Spill
	buffer_store_dword v17, off, s[40:43], 0 offset:68 ; 4-byte Folded Spill
	buffer_store_dword v18, off, s[40:43], 0 offset:72 ; 4-byte Folded Spill
	buffer_store_dword v19, off, s[40:43], 0 offset:76 ; 4-byte Folded Spill
	buffer_store_dword v20, off, s[40:43], 0 offset:80 ; 4-byte Folded Spill
	buffer_store_dword v21, off, s[40:43], 0 offset:84 ; 4-byte Folded Spill
	buffer_store_dword v22, off, s[40:43], 0 offset:88 ; 4-byte Folded Spill
	buffer_store_dword v23, off, s[40:43], 0 offset:92 ; 4-byte Folded Spill
	buffer_store_dword v24, off, s[40:43], 0 offset:96 ; 4-byte Folded Spill
	buffer_store_dword v25, off, s[40:43], 0 offset:100 ; 4-byte Folded Spill
	buffer_store_dword v26, off, s[40:43], 0 offset:104 ; 4-byte Folded Spill
	buffer_store_dword v27, off, s[40:43], 0 offset:108 ; 4-byte Folded Spill
	buffer_store_dword v28, off, s[40:43], 0 offset:112 ; 4-byte Folded Spill
	buffer_store_dword v29, off, s[40:43], 0 offset:116 ; 4-byte Folded Spill
	buffer_store_dword v30, off, s[40:43], 0 offset:120 ; 4-byte Folded Spill
	buffer_store_dword v31, off, s[40:43], 0 offset:124 ; 4-byte Folded Spill
	v_cvt_f32_f16_sdwa v25, v120 dst_sel:DWORD dst_unused:UNUSED_PAD src0_sel:WORD_1
	v_cvt_f32_f16_e32 v24, v120
	buffer_store_dword v0, off, s[40:43], 0 offset:384 ; 4-byte Folded Spill
	s_nop 0
	buffer_store_dword v1, off, s[40:43], 0 offset:388 ; 4-byte Folded Spill
	buffer_store_dword v2, off, s[40:43], 0 offset:392 ; 4-byte Folded Spill
	buffer_store_dword v3, off, s[40:43], 0 offset:396 ; 4-byte Folded Spill
	buffer_store_dword v4, off, s[40:43], 0 offset:400 ; 4-byte Folded Spill
	buffer_store_dword v5, off, s[40:43], 0 offset:404 ; 4-byte Folded Spill
	buffer_store_dword v6, off, s[40:43], 0 offset:408 ; 4-byte Folded Spill
	buffer_store_dword v7, off, s[40:43], 0 offset:412 ; 4-byte Folded Spill
	buffer_store_dword v8, off, s[40:43], 0 offset:416 ; 4-byte Folded Spill
	buffer_store_dword v9, off, s[40:43], 0 offset:420 ; 4-byte Folded Spill
	buffer_store_dword v10, off, s[40:43], 0 offset:424 ; 4-byte Folded Spill
	buffer_store_dword v11, off, s[40:43], 0 offset:428 ; 4-byte Folded Spill
	buffer_store_dword v12, off, s[40:43], 0 offset:432 ; 4-byte Folded Spill
	buffer_store_dword v13, off, s[40:43], 0 offset:436 ; 4-byte Folded Spill
	buffer_store_dword v14, off, s[40:43], 0 offset:440 ; 4-byte Folded Spill
	buffer_store_dword v15, off, s[40:43], 0 offset:444 ; 4-byte Folded Spill
	buffer_store_dword v16, off, s[40:43], 0 offset:448 ; 4-byte Folded Spill
	buffer_store_dword v17, off, s[40:43], 0 offset:452 ; 4-byte Folded Spill
	buffer_store_dword v18, off, s[40:43], 0 offset:456 ; 4-byte Folded Spill
	buffer_store_dword v19, off, s[40:43], 0 offset:460 ; 4-byte Folded Spill
	buffer_store_dword v20, off, s[40:43], 0 offset:464 ; 4-byte Folded Spill
	buffer_store_dword v21, off, s[40:43], 0 offset:468 ; 4-byte Folded Spill
	buffer_store_dword v22, off, s[40:43], 0 offset:472 ; 4-byte Folded Spill
	buffer_store_dword v23, off, s[40:43], 0 offset:476 ; 4-byte Folded Spill
	buffer_store_dword v24, off, s[40:43], 0 offset:480 ; 4-byte Folded Spill
	buffer_store_dword v25, off, s[40:43], 0 offset:484 ; 4-byte Folded Spill
	buffer_store_dword v26, off, s[40:43], 0 offset:488 ; 4-byte Folded Spill
	buffer_store_dword v27, off, s[40:43], 0 offset:492 ; 4-byte Folded Spill
	buffer_store_dword v28, off, s[40:43], 0 offset:496 ; 4-byte Folded Spill
	buffer_store_dword v29, off, s[40:43], 0 offset:500 ; 4-byte Folded Spill
	buffer_store_dword v30, off, s[40:43], 0 offset:504 ; 4-byte Folded Spill
	buffer_store_dword v31, off, s[40:43], 0 offset:508 ; 4-byte Folded Spill
	v_cvt_f32_f16_sdwa v27, v121 dst_sel:DWORD dst_unused:UNUSED_PAD src0_sel:WORD_1
	v_cvt_f32_f16_e32 v26, v121
	buffer_store_dword v0, off, s[40:43], 0 offset:256 ; 4-byte Folded Spill
	s_nop 0
	buffer_store_dword v1, off, s[40:43], 0 offset:260 ; 4-byte Folded Spill
	buffer_store_dword v2, off, s[40:43], 0 offset:264 ; 4-byte Folded Spill
	buffer_store_dword v3, off, s[40:43], 0 offset:268 ; 4-byte Folded Spill
	buffer_store_dword v4, off, s[40:43], 0 offset:272 ; 4-byte Folded Spill
	buffer_store_dword v5, off, s[40:43], 0 offset:276 ; 4-byte Folded Spill
	buffer_store_dword v6, off, s[40:43], 0 offset:280 ; 4-byte Folded Spill
	buffer_store_dword v7, off, s[40:43], 0 offset:284 ; 4-byte Folded Spill
	buffer_store_dword v8, off, s[40:43], 0 offset:288 ; 4-byte Folded Spill
	buffer_store_dword v9, off, s[40:43], 0 offset:292 ; 4-byte Folded Spill
	buffer_store_dword v10, off, s[40:43], 0 offset:296 ; 4-byte Folded Spill
	buffer_store_dword v11, off, s[40:43], 0 offset:300 ; 4-byte Folded Spill
	buffer_store_dword v12, off, s[40:43], 0 offset:304 ; 4-byte Folded Spill
	buffer_store_dword v13, off, s[40:43], 0 offset:308 ; 4-byte Folded Spill
	buffer_store_dword v14, off, s[40:43], 0 offset:312 ; 4-byte Folded Spill
	buffer_store_dword v15, off, s[40:43], 0 offset:316 ; 4-byte Folded Spill
	buffer_store_dword v16, off, s[40:43], 0 offset:320 ; 4-byte Folded Spill
	buffer_store_dword v17, off, s[40:43], 0 offset:324 ; 4-byte Folded Spill
	buffer_store_dword v18, off, s[40:43], 0 offset:328 ; 4-byte Folded Spill
	buffer_store_dword v19, off, s[40:43], 0 offset:332 ; 4-byte Folded Spill
	buffer_store_dword v20, off, s[40:43], 0 offset:336 ; 4-byte Folded Spill
	buffer_store_dword v21, off, s[40:43], 0 offset:340 ; 4-byte Folded Spill
	buffer_store_dword v22, off, s[40:43], 0 offset:344 ; 4-byte Folded Spill
	buffer_store_dword v23, off, s[40:43], 0 offset:348 ; 4-byte Folded Spill
	buffer_store_dword v24, off, s[40:43], 0 offset:352 ; 4-byte Folded Spill
	buffer_store_dword v25, off, s[40:43], 0 offset:356 ; 4-byte Folded Spill
	buffer_store_dword v26, off, s[40:43], 0 offset:360 ; 4-byte Folded Spill
	buffer_store_dword v27, off, s[40:43], 0 offset:364 ; 4-byte Folded Spill
	buffer_store_dword v28, off, s[40:43], 0 offset:368 ; 4-byte Folded Spill
	buffer_store_dword v29, off, s[40:43], 0 offset:372 ; 4-byte Folded Spill
	buffer_store_dword v30, off, s[40:43], 0 offset:376 ; 4-byte Folded Spill
	buffer_store_dword v31, off, s[40:43], 0 offset:380 ; 4-byte Folded Spill
	v_cvt_f32_f16_sdwa v29, v122 dst_sel:DWORD dst_unused:UNUSED_PAD src0_sel:WORD_1
	v_cvt_f32_f16_e32 v28, v122
	buffer_store_dword v0, off, s[40:43], 0 offset:1540 ; 4-byte Folded Spill
	s_nop 0
	buffer_store_dword v1, off, s[40:43], 0 offset:1544 ; 4-byte Folded Spill
	buffer_store_dword v2, off, s[40:43], 0 offset:1548 ; 4-byte Folded Spill
	;; [unrolled: 1-line block ×31, first 2 shown]
.LBB81_6:
	s_or_b64 exec, exec, s[2:3]
	s_cbranch_execz .LBB81_8
	s_branch .LBB81_11
.LBB81_7:
                                        ; implicit-def: $vgpr72_vgpr73_vgpr74_vgpr75_vgpr76_vgpr77_vgpr78_vgpr79_vgpr80_vgpr81_vgpr82_vgpr83_vgpr84_vgpr85_vgpr86_vgpr87_vgpr88_vgpr89_vgpr90_vgpr91_vgpr92_vgpr93_vgpr94_vgpr95_vgpr96_vgpr97_vgpr98_vgpr99_vgpr100_vgpr101_vgpr102_vgpr103
                                        ; implicit-def: $vgpr42_vgpr43_vgpr44_vgpr45_vgpr46_vgpr47_vgpr48_vgpr49_vgpr50_vgpr51_vgpr52_vgpr53_vgpr54_vgpr55_vgpr56_vgpr57_vgpr58_vgpr59_vgpr60_vgpr61_vgpr62_vgpr63_vgpr64_vgpr65_vgpr66_vgpr67_vgpr68_vgpr69_vgpr70_vgpr71_vgpr72_vgpr73
                                        ; kill: killed $vgpr42_vgpr43_vgpr44_vgpr45_vgpr46_vgpr47_vgpr48_vgpr49_vgpr50_vgpr51_vgpr52_vgpr53_vgpr54_vgpr55_vgpr56_vgpr57_vgpr58_vgpr59_vgpr60_vgpr61_vgpr62_vgpr63_vgpr64_vgpr65_vgpr66_vgpr67_vgpr68_vgpr69_vgpr70_vgpr71_vgpr72_vgpr73
                                        ; implicit-def: $vgpr2_vgpr3_vgpr4_vgpr5_vgpr6_vgpr7_vgpr8_vgpr9_vgpr10_vgpr11_vgpr12_vgpr13_vgpr14_vgpr15_vgpr16_vgpr17_vgpr18_vgpr19_vgpr20_vgpr21_vgpr22_vgpr23_vgpr24_vgpr25_vgpr26_vgpr27_vgpr28_vgpr29_vgpr30_vgpr31_vgpr32_vgpr33
                                        ; implicit-def: $vgpr77
                                        ; implicit-def: $vgpr42_vgpr43_vgpr44_vgpr45_vgpr46_vgpr47_vgpr48_vgpr49_vgpr50_vgpr51_vgpr52_vgpr53_vgpr54_vgpr55_vgpr56_vgpr57_vgpr58_vgpr59_vgpr60_vgpr61_vgpr62_vgpr63_vgpr64_vgpr65_vgpr66_vgpr67_vgpr68_vgpr69_vgpr70_vgpr71_vgpr72_vgpr73
                                        ; kill: killed $vgpr42_vgpr43_vgpr44_vgpr45_vgpr46_vgpr47_vgpr48_vgpr49_vgpr50_vgpr51_vgpr52_vgpr53_vgpr54_vgpr55_vgpr56_vgpr57_vgpr58_vgpr59_vgpr60_vgpr61_vgpr62_vgpr63_vgpr64_vgpr65_vgpr66_vgpr67_vgpr68_vgpr69_vgpr70_vgpr71_vgpr72_vgpr73
                                        ; implicit-def: $vgpr42_vgpr43_vgpr44_vgpr45_vgpr46_vgpr47_vgpr48_vgpr49_vgpr50_vgpr51_vgpr52_vgpr53_vgpr54_vgpr55_vgpr56_vgpr57_vgpr58_vgpr59_vgpr60_vgpr61_vgpr62_vgpr63_vgpr64_vgpr65_vgpr66_vgpr67_vgpr68_vgpr69_vgpr70_vgpr71_vgpr72_vgpr73
                                        ; kill: killed $vgpr42_vgpr43_vgpr44_vgpr45_vgpr46_vgpr47_vgpr48_vgpr49_vgpr50_vgpr51_vgpr52_vgpr53_vgpr54_vgpr55_vgpr56_vgpr57_vgpr58_vgpr59_vgpr60_vgpr61_vgpr62_vgpr63_vgpr64_vgpr65_vgpr66_vgpr67_vgpr68_vgpr69_vgpr70_vgpr71_vgpr72_vgpr73
	;; [unrolled: 2-line block ×12, first 2 shown]
.LBB81_8:
	v_mov_b32_e32 v29, 0
	v_mov_b32_e32 v28, 0
	buffer_store_dword v0, off, s[40:43], 0 offset:1540 ; 4-byte Folded Spill
	s_nop 0
	buffer_store_dword v1, off, s[40:43], 0 offset:1544 ; 4-byte Folded Spill
	buffer_store_dword v2, off, s[40:43], 0 offset:1548 ; 4-byte Folded Spill
	;; [unrolled: 1-line block ×31, first 2 shown]
	v_mov_b32_e32 v27, 0
	v_mov_b32_e32 v26, 0
	;; [unrolled: 1-line block ×6, first 2 shown]
	buffer_store_dword v0, off, s[40:43], 0 offset:256 ; 4-byte Folded Spill
	s_nop 0
	buffer_store_dword v1, off, s[40:43], 0 offset:260 ; 4-byte Folded Spill
	buffer_store_dword v2, off, s[40:43], 0 offset:264 ; 4-byte Folded Spill
	;; [unrolled: 1-line block ×31, first 2 shown]
	v_mov_b32_e32 v25, 0
	v_mov_b32_e32 v24, 0
	buffer_store_dword v0, off, s[40:43], 0 offset:384 ; 4-byte Folded Spill
	s_nop 0
	buffer_store_dword v1, off, s[40:43], 0 offset:388 ; 4-byte Folded Spill
	buffer_store_dword v2, off, s[40:43], 0 offset:392 ; 4-byte Folded Spill
	;; [unrolled: 1-line block ×31, first 2 shown]
	v_mov_b32_e32 v23, 0
	v_mov_b32_e32 v22, 0
	buffer_store_dword v0, off, s[40:43], 0 ; 4-byte Folded Spill
	s_nop 0
	buffer_store_dword v1, off, s[40:43], 0 offset:4 ; 4-byte Folded Spill
	buffer_store_dword v2, off, s[40:43], 0 offset:8 ; 4-byte Folded Spill
	buffer_store_dword v3, off, s[40:43], 0 offset:12 ; 4-byte Folded Spill
	buffer_store_dword v4, off, s[40:43], 0 offset:16 ; 4-byte Folded Spill
	buffer_store_dword v5, off, s[40:43], 0 offset:20 ; 4-byte Folded Spill
	buffer_store_dword v6, off, s[40:43], 0 offset:24 ; 4-byte Folded Spill
	buffer_store_dword v7, off, s[40:43], 0 offset:28 ; 4-byte Folded Spill
	buffer_store_dword v8, off, s[40:43], 0 offset:32 ; 4-byte Folded Spill
	buffer_store_dword v9, off, s[40:43], 0 offset:36 ; 4-byte Folded Spill
	buffer_store_dword v10, off, s[40:43], 0 offset:40 ; 4-byte Folded Spill
	buffer_store_dword v11, off, s[40:43], 0 offset:44 ; 4-byte Folded Spill
	buffer_store_dword v12, off, s[40:43], 0 offset:48 ; 4-byte Folded Spill
	buffer_store_dword v13, off, s[40:43], 0 offset:52 ; 4-byte Folded Spill
	buffer_store_dword v14, off, s[40:43], 0 offset:56 ; 4-byte Folded Spill
	buffer_store_dword v15, off, s[40:43], 0 offset:60 ; 4-byte Folded Spill
	buffer_store_dword v16, off, s[40:43], 0 offset:64 ; 4-byte Folded Spill
	buffer_store_dword v17, off, s[40:43], 0 offset:68 ; 4-byte Folded Spill
	buffer_store_dword v18, off, s[40:43], 0 offset:72 ; 4-byte Folded Spill
	buffer_store_dword v19, off, s[40:43], 0 offset:76 ; 4-byte Folded Spill
	buffer_store_dword v20, off, s[40:43], 0 offset:80 ; 4-byte Folded Spill
	buffer_store_dword v21, off, s[40:43], 0 offset:84 ; 4-byte Folded Spill
	buffer_store_dword v22, off, s[40:43], 0 offset:88 ; 4-byte Folded Spill
	buffer_store_dword v23, off, s[40:43], 0 offset:92 ; 4-byte Folded Spill
	buffer_store_dword v24, off, s[40:43], 0 offset:96 ; 4-byte Folded Spill
	buffer_store_dword v25, off, s[40:43], 0 offset:100 ; 4-byte Folded Spill
	buffer_store_dword v26, off, s[40:43], 0 offset:104 ; 4-byte Folded Spill
	buffer_store_dword v27, off, s[40:43], 0 offset:108 ; 4-byte Folded Spill
	buffer_store_dword v28, off, s[40:43], 0 offset:112 ; 4-byte Folded Spill
	buffer_store_dword v29, off, s[40:43], 0 offset:116 ; 4-byte Folded Spill
	buffer_store_dword v30, off, s[40:43], 0 offset:120 ; 4-byte Folded Spill
	buffer_store_dword v31, off, s[40:43], 0 offset:124 ; 4-byte Folded Spill
	v_mov_b32_e32 v21, 0
	v_mov_b32_e32 v20, 0
	buffer_store_dword v0, off, s[40:43], 0 offset:128 ; 4-byte Folded Spill
	s_nop 0
	buffer_store_dword v1, off, s[40:43], 0 offset:132 ; 4-byte Folded Spill
	buffer_store_dword v2, off, s[40:43], 0 offset:136 ; 4-byte Folded Spill
	buffer_store_dword v3, off, s[40:43], 0 offset:140 ; 4-byte Folded Spill
	buffer_store_dword v4, off, s[40:43], 0 offset:144 ; 4-byte Folded Spill
	buffer_store_dword v5, off, s[40:43], 0 offset:148 ; 4-byte Folded Spill
	buffer_store_dword v6, off, s[40:43], 0 offset:152 ; 4-byte Folded Spill
	buffer_store_dword v7, off, s[40:43], 0 offset:156 ; 4-byte Folded Spill
	buffer_store_dword v8, off, s[40:43], 0 offset:160 ; 4-byte Folded Spill
	buffer_store_dword v9, off, s[40:43], 0 offset:164 ; 4-byte Folded Spill
	buffer_store_dword v10, off, s[40:43], 0 offset:168 ; 4-byte Folded Spill
	buffer_store_dword v11, off, s[40:43], 0 offset:172 ; 4-byte Folded Spill
	buffer_store_dword v12, off, s[40:43], 0 offset:176 ; 4-byte Folded Spill
	buffer_store_dword v13, off, s[40:43], 0 offset:180 ; 4-byte Folded Spill
	buffer_store_dword v14, off, s[40:43], 0 offset:184 ; 4-byte Folded Spill
	buffer_store_dword v15, off, s[40:43], 0 offset:188 ; 4-byte Folded Spill
	buffer_store_dword v16, off, s[40:43], 0 offset:192 ; 4-byte Folded Spill
	buffer_store_dword v17, off, s[40:43], 0 offset:196 ; 4-byte Folded Spill
	buffer_store_dword v18, off, s[40:43], 0 offset:200 ; 4-byte Folded Spill
	buffer_store_dword v19, off, s[40:43], 0 offset:204 ; 4-byte Folded Spill
	buffer_store_dword v20, off, s[40:43], 0 offset:208 ; 4-byte Folded Spill
	buffer_store_dword v21, off, s[40:43], 0 offset:212 ; 4-byte Folded Spill
	buffer_store_dword v22, off, s[40:43], 0 offset:216 ; 4-byte Folded Spill
	buffer_store_dword v23, off, s[40:43], 0 offset:220 ; 4-byte Folded Spill
	buffer_store_dword v24, off, s[40:43], 0 offset:224 ; 4-byte Folded Spill
	buffer_store_dword v25, off, s[40:43], 0 offset:228 ; 4-byte Folded Spill
	buffer_store_dword v26, off, s[40:43], 0 offset:232 ; 4-byte Folded Spill
	buffer_store_dword v27, off, s[40:43], 0 offset:236 ; 4-byte Folded Spill
	buffer_store_dword v28, off, s[40:43], 0 offset:240 ; 4-byte Folded Spill
	buffer_store_dword v29, off, s[40:43], 0 offset:244 ; 4-byte Folded Spill
	buffer_store_dword v30, off, s[40:43], 0 offset:248 ; 4-byte Folded Spill
	buffer_store_dword v31, off, s[40:43], 0 offset:252 ; 4-byte Folded Spill
	v_mov_b32_e32 v19, 0
	v_mov_b32_e32 v18, 0
	buffer_store_dword v0, off, s[40:43], 0 offset:768 ; 4-byte Folded Spill
	;; [unrolled: 35-line block ×9, first 2 shown]
	s_nop 0
	buffer_store_dword v1, off, s[40:43], 0 offset:1284 ; 4-byte Folded Spill
	buffer_store_dword v2, off, s[40:43], 0 offset:1288 ; 4-byte Folded Spill
	;; [unrolled: 1-line block ×31, first 2 shown]
	v_mov_b32_e32 v3, 0
	v_mov_b32_e32 v2, 0
	s_and_saveexec_b64 s[2:3], s[0:1]
	s_cbranch_execz .LBB81_10
; %bb.9:
	buffer_load_dword v1, off, s[40:43], 0 offset:1536 ; 4-byte Folded Reload
	s_load_dwordx2 s[28:29], s[4:5], 0x38
	s_load_dwordx2 s[38:39], s[4:5], 0x20
	s_mul_hi_i32 s37, s19, s6
	s_mul_i32 s36, s19, s6
	s_lshl_b64 s[36:37], s[36:37], 1
	s_waitcnt lgkmcnt(0)
	s_add_u32 s28, s28, s36
	s_addc_u32 s14, s29, s37
	s_mov_b32 s31, 0x20000
	s_and_b32 s29, s14, 0xffff
	s_movk_i32 s17, 0x400
	s_movk_i32 s19, 0x800
	;; [unrolled: 1-line block ×3, first 2 shown]
	s_waitcnt vmcnt(62)
	v_cvt_f32_f16_sdwa v49, v119 dst_sel:DWORD dst_unused:UNUSED_PAD src0_sel:WORD_1
	v_cvt_f32_f16_e32 v48, v119
	v_cvt_f32_f16_sdwa v47, v118 dst_sel:DWORD dst_unused:UNUSED_PAD src0_sel:WORD_1
	v_cvt_f32_f16_e32 v46, v118
	;; [unrolled: 2-line block ×12, first 2 shown]
	s_mul_hi_i32 s27, s26, s6
	s_mul_i32 s26, s26, s6
	s_lshl_b64 s[26:27], s[26:27], 1
	v_cvt_f32_f16_sdwa v7, v121 dst_sel:DWORD dst_unused:UNUSED_PAD src0_sel:WORD_1
	v_cvt_f32_f16_e32 v6, v121
	v_cvt_f32_f16_sdwa v9, v122 dst_sel:DWORD dst_unused:UNUSED_PAD src0_sel:WORD_1
	v_cvt_f32_f16_e32 v8, v122
	;; [unrolled: 2-line block ×4, first 2 shown]
	s_waitcnt vmcnt(0)
	v_lshlrev_b32_e32 v66, 1, v1
	buffer_load_dwordx4 v[16:19], v66, s[28:31], s17 offen glc slc
	buffer_load_dwordx4 v[20:23], v66, s[28:31], s19 offen glc slc
	;; [unrolled: 1-line block ×4, first 2 shown]
	s_add_u32 s28, s38, s26
	s_addc_u32 s26, s39, s27
	s_and_b32 s29, s26, 0xffff
	s_waitcnt vmcnt(3)
	v_cvt_f32_f16_e32 v50, v16
	s_waitcnt vmcnt(2)
	v_cvt_f32_f16_e32 v58, v20
	v_cvt_f32_f16_sdwa v59, v20 dst_sel:DWORD dst_unused:UNUSED_PAD src0_sel:WORD_1
	v_cvt_f32_f16_e32 v60, v21
	v_cvt_f32_f16_sdwa v61, v21 dst_sel:DWORD dst_unused:UNUSED_PAD src0_sel:WORD_1
	s_waitcnt vmcnt(0)
	v_cvt_f32_f16_e32 v20, v30
	v_cvt_f32_f16_sdwa v21, v30 dst_sel:DWORD dst_unused:UNUSED_PAD src0_sel:WORD_1
	v_cvt_f32_f16_e32 v30, v31
	v_cvt_f32_f16_sdwa v31, v31 dst_sel:DWORD dst_unused:UNUSED_PAD src0_sel:WORD_1
	v_cvt_f32_f16_sdwa v51, v16 dst_sel:DWORD dst_unused:UNUSED_PAD src0_sel:WORD_1
	v_cvt_f32_f16_e32 v52, v17
	v_cvt_f32_f16_sdwa v53, v17 dst_sel:DWORD dst_unused:UNUSED_PAD src0_sel:WORD_1
	v_cvt_f32_f16_e32 v54, v18
	;; [unrolled: 2-line block ×9, first 2 shown]
	v_cvt_f32_f16_sdwa v19, v29 dst_sel:DWORD dst_unused:UNUSED_PAD src0_sel:WORD_1
	v_pk_add_f32 v[28:29], v[48:49], v[30:31]
	v_pk_add_f32 v[46:47], v[46:47], v[20:21]
	v_pk_mov_b32 v[30:31], v[28:29], v[28:29] op_sel:[0,1]
	v_cvt_f16_f32_e32 v20, v47
	v_cvt_f16_f32_e32 v21, v29
	buffer_store_dword v24, off, s[40:43], 0 offset:1152 ; 4-byte Folded Spill
	s_nop 0
	buffer_store_dword v25, off, s[40:43], 0 offset:1156 ; 4-byte Folded Spill
	buffer_store_dword v26, off, s[40:43], 0 offset:1160 ; 4-byte Folded Spill
	buffer_store_dword v27, off, s[40:43], 0 offset:1164 ; 4-byte Folded Spill
	buffer_store_dword v28, off, s[40:43], 0 offset:1168 ; 4-byte Folded Spill
	buffer_store_dword v29, off, s[40:43], 0 offset:1172 ; 4-byte Folded Spill
	buffer_store_dword v30, off, s[40:43], 0 offset:1176 ; 4-byte Folded Spill
	buffer_store_dword v31, off, s[40:43], 0 offset:1180 ; 4-byte Folded Spill
	buffer_store_dword v32, off, s[40:43], 0 offset:1184 ; 4-byte Folded Spill
	buffer_store_dword v33, off, s[40:43], 0 offset:1188 ; 4-byte Folded Spill
	buffer_store_dword v34, off, s[40:43], 0 offset:1192 ; 4-byte Folded Spill
	buffer_store_dword v35, off, s[40:43], 0 offset:1196 ; 4-byte Folded Spill
	buffer_store_dword v36, off, s[40:43], 0 offset:1200 ; 4-byte Folded Spill
	buffer_store_dword v37, off, s[40:43], 0 offset:1204 ; 4-byte Folded Spill
	buffer_store_dword v38, off, s[40:43], 0 offset:1208 ; 4-byte Folded Spill
	buffer_store_dword v39, off, s[40:43], 0 offset:1212 ; 4-byte Folded Spill
	buffer_store_dword v40, off, s[40:43], 0 offset:1216 ; 4-byte Folded Spill
	buffer_store_dword v41, off, s[40:43], 0 offset:1220 ; 4-byte Folded Spill
	buffer_store_dword v42, off, s[40:43], 0 offset:1224 ; 4-byte Folded Spill
	buffer_store_dword v43, off, s[40:43], 0 offset:1228 ; 4-byte Folded Spill
	buffer_store_dword v44, off, s[40:43], 0 offset:1232 ; 4-byte Folded Spill
	buffer_store_dword v45, off, s[40:43], 0 offset:1236 ; 4-byte Folded Spill
	buffer_store_dword v46, off, s[40:43], 0 offset:1240 ; 4-byte Folded Spill
	buffer_store_dword v47, off, s[40:43], 0 offset:1244 ; 4-byte Folded Spill
	buffer_store_dword v48, off, s[40:43], 0 offset:1248 ; 4-byte Folded Spill
	buffer_store_dword v49, off, s[40:43], 0 offset:1252 ; 4-byte Folded Spill
	buffer_store_dword v50, off, s[40:43], 0 offset:1256 ; 4-byte Folded Spill
	buffer_store_dword v51, off, s[40:43], 0 offset:1260 ; 4-byte Folded Spill
	buffer_store_dword v52, off, s[40:43], 0 offset:1264 ; 4-byte Folded Spill
	buffer_store_dword v53, off, s[40:43], 0 offset:1268 ; 4-byte Folded Spill
	buffer_store_dword v54, off, s[40:43], 0 offset:1272 ; 4-byte Folded Spill
	buffer_store_dword v55, off, s[40:43], 0 offset:1276 ; 4-byte Folded Spill
	v_pk_add_f32 v[2:3], v[2:3], v[64:65]
	v_cvt_f32_f16_e32 v62, v22
	v_cvt_f32_f16_sdwa v63, v22 dst_sel:DWORD dst_unused:UNUSED_PAD src0_sel:WORD_1
	v_cvt_f32_f16_e32 v22, v23
	v_cvt_f32_f16_sdwa v23, v23 dst_sel:DWORD dst_unused:UNUSED_PAD src0_sel:WORD_1
	v_cvt_f16_f32_e32 v28, v28
	v_pk_mov_b32 v[30:31], v[46:47], v[46:47] op_sel:[0,1]
	buffer_store_dword v26, off, s[40:43], 0 offset:1280 ; 4-byte Folded Spill
	s_nop 0
	buffer_store_dword v27, off, s[40:43], 0 offset:1284 ; 4-byte Folded Spill
	buffer_store_dword v28, off, s[40:43], 0 offset:1288 ; 4-byte Folded Spill
	;; [unrolled: 1-line block ×31, first 2 shown]
	v_pk_add_f32 v[74:75], v[40:41], v[18:19]
	v_cvt_f16_f32_e32 v18, v75
	v_cvt_f16_f32_e32 v19, v74
	;; [unrolled: 1-line block ×3, first 2 shown]
	v_pack_b32_f16 v21, v28, v21
	v_cvt_f16_f32_e32 v28, v2
	v_pack_b32_f16 v19, v19, v18
	v_cvt_f16_f32_e32 v18, v3
	v_pack_b32_f16 v20, v29, v20
	v_pk_add_f32 v[30:31], v[34:35], v[54:55]
	v_pack_b32_f16 v18, v28, v18
	buffer_store_dwordx4 v[18:21], v66, s[28:31], 0 offen glc slc
	s_nop 0
	v_pk_add_f32 v[20:21], v[44:45], v[56:57]
	v_cvt_f16_f32_e32 v18, v30
	v_cvt_f16_f32_e32 v19, v20
	v_pk_mov_b32 v[28:29], v[20:21], v[20:21] op_sel:[0,1]
	buffer_store_dword v14, off, s[40:43], 0 offset:512 ; 4-byte Folded Spill
	s_nop 0
	buffer_store_dword v15, off, s[40:43], 0 offset:516 ; 4-byte Folded Spill
	buffer_store_dword v16, off, s[40:43], 0 offset:520 ; 4-byte Folded Spill
	;; [unrolled: 1-line block ×31, first 2 shown]
	v_cvt_f16_f32_e32 v20, v21
	v_pk_mov_b32 v[28:29], v[30:31], v[30:31] op_sel:[0,1]
	buffer_store_dword v16, off, s[40:43], 0 offset:640 ; 4-byte Folded Spill
	s_nop 0
	buffer_store_dword v17, off, s[40:43], 0 offset:644 ; 4-byte Folded Spill
	buffer_store_dword v18, off, s[40:43], 0 offset:648 ; 4-byte Folded Spill
	;; [unrolled: 1-line block ×31, first 2 shown]
	v_cvt_f16_f32_e32 v28, v31
	v_pack_b32_f16 v21, v19, v20
	v_pack_b32_f16 v20, v18, v28
	v_pk_add_f32 v[28:29], v[42:43], v[52:53]
	v_pk_mov_b32 v[30:31], v[28:29], v[28:29] op_sel:[0,1]
	v_cvt_f16_f32_e32 v18, v28
	buffer_store_dword v20, off, s[40:43], 0 offset:1024 ; 4-byte Folded Spill
	s_nop 0
	buffer_store_dword v21, off, s[40:43], 0 offset:1028 ; 4-byte Folded Spill
	buffer_store_dword v22, off, s[40:43], 0 offset:1032 ; 4-byte Folded Spill
	;; [unrolled: 1-line block ×31, first 2 shown]
	v_cvt_f16_f32_e32 v19, v29
	v_pk_add_f32 v[28:29], v[32:33], v[50:51]
	v_pk_mov_b32 v[30:31], v[28:29], v[28:29] op_sel:[0,1]
	v_pack_b32_f16 v19, v18, v19
	v_cvt_f16_f32_e32 v18, v28
	buffer_store_dword v22, off, s[40:43], 0 offset:1408 ; 4-byte Folded Spill
	s_nop 0
	buffer_store_dword v23, off, s[40:43], 0 offset:1412 ; 4-byte Folded Spill
	buffer_store_dword v24, off, s[40:43], 0 offset:1416 ; 4-byte Folded Spill
	;; [unrolled: 1-line block ×31, first 2 shown]
	;;#ASMSTART
	s_nop 0
	;;#ASMEND
	v_cvt_f16_f32_e32 v28, v29
	v_pk_add_f32 v[30:31], v[36:37], v[62:63]
	v_pk_add_f32 v[22:23], v[38:39], v[22:23]
	v_pack_b32_f16 v18, v18, v28
	buffer_store_dwordx4 v[18:21], v66, s[28:31], s17 offen glc slc
	v_cvt_f16_f32_e32 v18, v30
	v_cvt_f16_f32_e32 v19, v22
	v_pk_mov_b32 v[28:29], v[22:23], v[22:23] op_sel:[0,1]
	buffer_store_dword v6, off, s[40:43], 0 ; 4-byte Folded Spill
	s_nop 0
	buffer_store_dword v7, off, s[40:43], 0 offset:4 ; 4-byte Folded Spill
	buffer_store_dword v8, off, s[40:43], 0 offset:8 ; 4-byte Folded Spill
	;; [unrolled: 1-line block ×31, first 2 shown]
	v_cvt_f16_f32_e32 v20, v23
	v_pk_mov_b32 v[22:23], v[30:31], v[30:31] op_sel:[0,1]
	buffer_store_dword v2, off, s[40:43], 0 offset:128 ; 4-byte Folded Spill
	s_nop 0
	buffer_store_dword v3, off, s[40:43], 0 offset:132 ; 4-byte Folded Spill
	buffer_store_dword v4, off, s[40:43], 0 offset:136 ; 4-byte Folded Spill
	;; [unrolled: 1-line block ×31, first 2 shown]
	v_cvt_f16_f32_e32 v22, v31
	v_pack_b32_f16 v21, v19, v20
	v_pack_b32_f16 v20, v18, v22
	v_pk_add_f32 v[18:19], v[14:15], v[60:61]
	v_cvt_f16_f32_e32 v14, v18
	v_pk_mov_b32 v[22:23], v[18:19], v[18:19] op_sel:[0,1]
	buffer_store_dword v4, off, s[40:43], 0 offset:768 ; 4-byte Folded Spill
	s_nop 0
	buffer_store_dword v5, off, s[40:43], 0 offset:772 ; 4-byte Folded Spill
	buffer_store_dword v6, off, s[40:43], 0 offset:776 ; 4-byte Folded Spill
	;; [unrolled: 1-line block ×31, first 2 shown]
	v_pk_add_f32 v[22:23], v[68:69], v[58:59]
	v_pk_mov_b32 v[28:29], v[22:23], v[22:23] op_sel:[0,1]
	v_cvt_f16_f32_e32 v15, v19
	v_pack_b32_f16 v19, v14, v15
	v_cvt_f16_f32_e32 v14, v22
	buffer_store_dword v12, off, s[40:43], 0 offset:896 ; 4-byte Folded Spill
	s_nop 0
	buffer_store_dword v13, off, s[40:43], 0 offset:900 ; 4-byte Folded Spill
	buffer_store_dword v14, off, s[40:43], 0 offset:904 ; 4-byte Folded Spill
	;; [unrolled: 1-line block ×31, first 2 shown]
	;;#ASMSTART
	s_nop 0
	;;#ASMEND
	v_cvt_f16_f32_e32 v1, v23
	v_pk_add_f32 v[76:77], v[10:11], v[26:27]
	v_pk_add_f32 v[28:29], v[8:9], v[24:25]
	v_cvt_f16_f32_e32 v8, v28
	v_cvt_f16_f32_e32 v9, v76
	;; [unrolled: 1-line block ×3, first 2 shown]
	v_pack_b32_f16 v18, v14, v1
	v_pk_mov_b32 v[30:31], v[28:29], v[28:29] op_sel:[0,1]
	buffer_store_dwordx4 v[18:21], v66, s[28:31], s19 offen glc slc
	buffer_store_dword v2, off, s[40:43], 0 offset:1540 ; 4-byte Folded Spill
	s_nop 0
	buffer_store_dword v3, off, s[40:43], 0 offset:1544 ; 4-byte Folded Spill
	buffer_store_dword v4, off, s[40:43], 0 offset:1548 ; 4-byte Folded Spill
	;; [unrolled: 1-line block ×31, first 2 shown]
	v_cvt_f16_f32_e32 v11, v29
	v_pk_add_f32 v[26:27], v[6:7], v[16:17]
	v_cvt_f16_f32_e32 v6, v26
	v_pack_b32_f16 v9, v9, v10
	v_pack_b32_f16 v8, v8, v11
	v_pk_mov_b32 v[28:29], v[26:27], v[26:27] op_sel:[0,1]
	buffer_store_dword v2, off, s[40:43], 0 offset:256 ; 4-byte Folded Spill
	s_nop 0
	buffer_store_dword v3, off, s[40:43], 0 offset:260 ; 4-byte Folded Spill
	buffer_store_dword v4, off, s[40:43], 0 offset:264 ; 4-byte Folded Spill
	;; [unrolled: 1-line block ×31, first 2 shown]
	v_cvt_f16_f32_e32 v7, v27
	v_pk_add_f32 v[24:25], v[4:5], v[12:13]
	v_cvt_f16_f32_e32 v4, v24
	v_pk_mov_b32 v[26:27], v[24:25], v[24:25] op_sel:[0,1]
	v_pack_b32_f16 v7, v6, v7
	buffer_store_dword v2, off, s[40:43], 0 offset:384 ; 4-byte Folded Spill
	s_nop 0
	buffer_store_dword v3, off, s[40:43], 0 offset:388 ; 4-byte Folded Spill
	buffer_store_dword v4, off, s[40:43], 0 offset:392 ; 4-byte Folded Spill
	;; [unrolled: 1-line block ×31, first 2 shown]
	;;#ASMSTART
	s_nop 0
	;;#ASMEND
	v_cvt_f16_f32_e32 v5, v25
	v_pack_b32_f16 v6, v4, v5
	buffer_store_dwordx4 v[6:9], v66, s[28:31], s14 offen glc slc
	;;#ASMSTART
	s_nop 0
	;;#ASMEND
.LBB81_10:
	s_or_b64 exec, exec, s[2:3]
.LBB81_11:
	buffer_load_dword v6, off, s[40:43], 0 offset:1280 ; 4-byte Folded Reload
	buffer_load_dword v7, off, s[40:43], 0 offset:1284 ; 4-byte Folded Reload
	;; [unrolled: 1-line block ×32, first 2 shown]
	v_mul_f32_e32 v4, v3, v3
	v_fmac_f32_e32 v4, v2, v2
	v_fmac_f32_e32 v4, v74, v74
	v_fmac_f32_e32 v4, v75, v75
	s_waitcnt vmcnt(26)
	v_pk_mov_b32 v[6:7], v[10:11], v[10:11] op_sel:[0,1]
	v_fmac_f32_e32 v4, v6, v6
	v_fmac_f32_e32 v4, v7, v7
	buffer_load_dword v6, off, s[40:43], 0 offset:1152 ; 4-byte Folded Reload
	buffer_load_dword v7, off, s[40:43], 0 offset:1156 ; 4-byte Folded Reload
	buffer_load_dword v8, off, s[40:43], 0 offset:1160 ; 4-byte Folded Reload
	buffer_load_dword v9, off, s[40:43], 0 offset:1164 ; 4-byte Folded Reload
	buffer_load_dword v10, off, s[40:43], 0 offset:1168 ; 4-byte Folded Reload
	buffer_load_dword v11, off, s[40:43], 0 offset:1172 ; 4-byte Folded Reload
	buffer_load_dword v12, off, s[40:43], 0 offset:1176 ; 4-byte Folded Reload
	buffer_load_dword v13, off, s[40:43], 0 offset:1180 ; 4-byte Folded Reload
	buffer_load_dword v14, off, s[40:43], 0 offset:1184 ; 4-byte Folded Reload
	buffer_load_dword v15, off, s[40:43], 0 offset:1188 ; 4-byte Folded Reload
	buffer_load_dword v16, off, s[40:43], 0 offset:1192 ; 4-byte Folded Reload
	buffer_load_dword v17, off, s[40:43], 0 offset:1196 ; 4-byte Folded Reload
	buffer_load_dword v18, off, s[40:43], 0 offset:1200 ; 4-byte Folded Reload
	buffer_load_dword v19, off, s[40:43], 0 offset:1204 ; 4-byte Folded Reload
	buffer_load_dword v20, off, s[40:43], 0 offset:1208 ; 4-byte Folded Reload
	buffer_load_dword v21, off, s[40:43], 0 offset:1212 ; 4-byte Folded Reload
	buffer_load_dword v22, off, s[40:43], 0 offset:1216 ; 4-byte Folded Reload
	buffer_load_dword v23, off, s[40:43], 0 offset:1220 ; 4-byte Folded Reload
	buffer_load_dword v24, off, s[40:43], 0 offset:1224 ; 4-byte Folded Reload
	buffer_load_dword v25, off, s[40:43], 0 offset:1228 ; 4-byte Folded Reload
	buffer_load_dword v26, off, s[40:43], 0 offset:1232 ; 4-byte Folded Reload
	buffer_load_dword v27, off, s[40:43], 0 offset:1236 ; 4-byte Folded Reload
	buffer_load_dword v28, off, s[40:43], 0 offset:1240 ; 4-byte Folded Reload
	buffer_load_dword v29, off, s[40:43], 0 offset:1244 ; 4-byte Folded Reload
	buffer_load_dword v30, off, s[40:43], 0 offset:1248 ; 4-byte Folded Reload
	buffer_load_dword v31, off, s[40:43], 0 offset:1252 ; 4-byte Folded Reload
	buffer_load_dword v32, off, s[40:43], 0 offset:1256 ; 4-byte Folded Reload
	buffer_load_dword v33, off, s[40:43], 0 offset:1260 ; 4-byte Folded Reload
	buffer_load_dword v34, off, s[40:43], 0 offset:1264 ; 4-byte Folded Reload
	buffer_load_dword v35, off, s[40:43], 0 offset:1268 ; 4-byte Folded Reload
	buffer_load_dword v36, off, s[40:43], 0 offset:1272 ; 4-byte Folded Reload
	buffer_load_dword v37, off, s[40:43], 0 offset:1276 ; 4-byte Folded Reload
	s_waitcnt vmcnt(24)
	v_pk_mov_b32 v[6:7], v[12:13], v[12:13] op_sel:[0,1]
	v_fmac_f32_e32 v4, v6, v6
	v_fmac_f32_e32 v4, v7, v7
	buffer_load_dword v6, off, s[40:43], 0 offset:1408 ; 4-byte Folded Reload
	buffer_load_dword v7, off, s[40:43], 0 offset:1412 ; 4-byte Folded Reload
	buffer_load_dword v8, off, s[40:43], 0 offset:1416 ; 4-byte Folded Reload
	buffer_load_dword v9, off, s[40:43], 0 offset:1420 ; 4-byte Folded Reload
	buffer_load_dword v10, off, s[40:43], 0 offset:1424 ; 4-byte Folded Reload
	buffer_load_dword v11, off, s[40:43], 0 offset:1428 ; 4-byte Folded Reload
	buffer_load_dword v12, off, s[40:43], 0 offset:1432 ; 4-byte Folded Reload
	buffer_load_dword v13, off, s[40:43], 0 offset:1436 ; 4-byte Folded Reload
	buffer_load_dword v14, off, s[40:43], 0 offset:1440 ; 4-byte Folded Reload
	buffer_load_dword v15, off, s[40:43], 0 offset:1444 ; 4-byte Folded Reload
	buffer_load_dword v16, off, s[40:43], 0 offset:1448 ; 4-byte Folded Reload
	buffer_load_dword v17, off, s[40:43], 0 offset:1452 ; 4-byte Folded Reload
	buffer_load_dword v18, off, s[40:43], 0 offset:1456 ; 4-byte Folded Reload
	buffer_load_dword v19, off, s[40:43], 0 offset:1460 ; 4-byte Folded Reload
	buffer_load_dword v20, off, s[40:43], 0 offset:1464 ; 4-byte Folded Reload
	buffer_load_dword v21, off, s[40:43], 0 offset:1468 ; 4-byte Folded Reload
	buffer_load_dword v22, off, s[40:43], 0 offset:1472 ; 4-byte Folded Reload
	buffer_load_dword v23, off, s[40:43], 0 offset:1476 ; 4-byte Folded Reload
	buffer_load_dword v24, off, s[40:43], 0 offset:1480 ; 4-byte Folded Reload
	buffer_load_dword v25, off, s[40:43], 0 offset:1484 ; 4-byte Folded Reload
	buffer_load_dword v26, off, s[40:43], 0 offset:1488 ; 4-byte Folded Reload
	buffer_load_dword v27, off, s[40:43], 0 offset:1492 ; 4-byte Folded Reload
	buffer_load_dword v28, off, s[40:43], 0 offset:1496 ; 4-byte Folded Reload
	buffer_load_dword v29, off, s[40:43], 0 offset:1500 ; 4-byte Folded Reload
	buffer_load_dword v30, off, s[40:43], 0 offset:1504 ; 4-byte Folded Reload
	buffer_load_dword v31, off, s[40:43], 0 offset:1508 ; 4-byte Folded Reload
	buffer_load_dword v32, off, s[40:43], 0 offset:1512 ; 4-byte Folded Reload
	buffer_load_dword v33, off, s[40:43], 0 offset:1516 ; 4-byte Folded Reload
	buffer_load_dword v34, off, s[40:43], 0 offset:1520 ; 4-byte Folded Reload
	buffer_load_dword v35, off, s[40:43], 0 offset:1524 ; 4-byte Folded Reload
	buffer_load_dword v36, off, s[40:43], 0 offset:1528 ; 4-byte Folded Reload
	buffer_load_dword v37, off, s[40:43], 0 offset:1532 ; 4-byte Folded Reload
	;; [unrolled: 36-line block ×8, first 2 shown]
	s_waitcnt vmcnt(10)
	v_pk_mov_b32 v[20:21], v[26:27], v[26:27] op_sel:[0,1]
	v_fmac_f32_e32 v4, v20, v20
	v_fmac_f32_e32 v4, v21, v21
	buffer_load_dword v6, off, s[40:43], 0  ; 4-byte Folded Reload
	buffer_load_dword v7, off, s[40:43], 0 offset:4 ; 4-byte Folded Reload
	buffer_load_dword v8, off, s[40:43], 0 offset:8 ; 4-byte Folded Reload
	buffer_load_dword v9, off, s[40:43], 0 offset:12 ; 4-byte Folded Reload
	buffer_load_dword v10, off, s[40:43], 0 offset:16 ; 4-byte Folded Reload
	buffer_load_dword v11, off, s[40:43], 0 offset:20 ; 4-byte Folded Reload
	buffer_load_dword v12, off, s[40:43], 0 offset:24 ; 4-byte Folded Reload
	buffer_load_dword v13, off, s[40:43], 0 offset:28 ; 4-byte Folded Reload
	buffer_load_dword v14, off, s[40:43], 0 offset:32 ; 4-byte Folded Reload
	buffer_load_dword v15, off, s[40:43], 0 offset:36 ; 4-byte Folded Reload
	buffer_load_dword v16, off, s[40:43], 0 offset:40 ; 4-byte Folded Reload
	buffer_load_dword v17, off, s[40:43], 0 offset:44 ; 4-byte Folded Reload
	buffer_load_dword v18, off, s[40:43], 0 offset:48 ; 4-byte Folded Reload
	buffer_load_dword v19, off, s[40:43], 0 offset:52 ; 4-byte Folded Reload
	buffer_load_dword v20, off, s[40:43], 0 offset:56 ; 4-byte Folded Reload
	buffer_load_dword v21, off, s[40:43], 0 offset:60 ; 4-byte Folded Reload
	buffer_load_dword v22, off, s[40:43], 0 offset:64 ; 4-byte Folded Reload
	buffer_load_dword v23, off, s[40:43], 0 offset:68 ; 4-byte Folded Reload
	buffer_load_dword v24, off, s[40:43], 0 offset:72 ; 4-byte Folded Reload
	buffer_load_dword v25, off, s[40:43], 0 offset:76 ; 4-byte Folded Reload
	buffer_load_dword v26, off, s[40:43], 0 offset:80 ; 4-byte Folded Reload
	buffer_load_dword v27, off, s[40:43], 0 offset:84 ; 4-byte Folded Reload
	buffer_load_dword v28, off, s[40:43], 0 offset:88 ; 4-byte Folded Reload
	buffer_load_dword v29, off, s[40:43], 0 offset:92 ; 4-byte Folded Reload
	buffer_load_dword v30, off, s[40:43], 0 offset:96 ; 4-byte Folded Reload
	buffer_load_dword v31, off, s[40:43], 0 offset:100 ; 4-byte Folded Reload
	buffer_load_dword v32, off, s[40:43], 0 offset:104 ; 4-byte Folded Reload
	buffer_load_dword v33, off, s[40:43], 0 offset:108 ; 4-byte Folded Reload
	buffer_load_dword v34, off, s[40:43], 0 offset:112 ; 4-byte Folded Reload
	buffer_load_dword v35, off, s[40:43], 0 offset:116 ; 4-byte Folded Reload
	buffer_load_dword v36, off, s[40:43], 0 offset:120 ; 4-byte Folded Reload
	buffer_load_dword v37, off, s[40:43], 0 offset:124 ; 4-byte Folded Reload
	s_waitcnt vmcnt(8)
	v_pk_mov_b32 v[22:23], v[28:29], v[28:29] op_sel:[0,1]
	v_fmac_f32_e32 v4, v22, v22
	v_fmac_f32_e32 v4, v23, v23
	buffer_load_dword v6, off, s[40:43], 0 offset:384 ; 4-byte Folded Reload
	buffer_load_dword v7, off, s[40:43], 0 offset:388 ; 4-byte Folded Reload
	buffer_load_dword v8, off, s[40:43], 0 offset:392 ; 4-byte Folded Reload
	buffer_load_dword v9, off, s[40:43], 0 offset:396 ; 4-byte Folded Reload
	buffer_load_dword v10, off, s[40:43], 0 offset:400 ; 4-byte Folded Reload
	buffer_load_dword v11, off, s[40:43], 0 offset:404 ; 4-byte Folded Reload
	buffer_load_dword v12, off, s[40:43], 0 offset:408 ; 4-byte Folded Reload
	buffer_load_dword v13, off, s[40:43], 0 offset:412 ; 4-byte Folded Reload
	buffer_load_dword v14, off, s[40:43], 0 offset:416 ; 4-byte Folded Reload
	buffer_load_dword v15, off, s[40:43], 0 offset:420 ; 4-byte Folded Reload
	buffer_load_dword v16, off, s[40:43], 0 offset:424 ; 4-byte Folded Reload
	buffer_load_dword v17, off, s[40:43], 0 offset:428 ; 4-byte Folded Reload
	buffer_load_dword v18, off, s[40:43], 0 offset:432 ; 4-byte Folded Reload
	buffer_load_dword v19, off, s[40:43], 0 offset:436 ; 4-byte Folded Reload
	buffer_load_dword v20, off, s[40:43], 0 offset:440 ; 4-byte Folded Reload
	buffer_load_dword v21, off, s[40:43], 0 offset:444 ; 4-byte Folded Reload
	buffer_load_dword v22, off, s[40:43], 0 offset:448 ; 4-byte Folded Reload
	buffer_load_dword v23, off, s[40:43], 0 offset:452 ; 4-byte Folded Reload
	buffer_load_dword v24, off, s[40:43], 0 offset:456 ; 4-byte Folded Reload
	buffer_load_dword v25, off, s[40:43], 0 offset:460 ; 4-byte Folded Reload
	buffer_load_dword v26, off, s[40:43], 0 offset:464 ; 4-byte Folded Reload
	buffer_load_dword v27, off, s[40:43], 0 offset:468 ; 4-byte Folded Reload
	buffer_load_dword v28, off, s[40:43], 0 offset:472 ; 4-byte Folded Reload
	buffer_load_dword v29, off, s[40:43], 0 offset:476 ; 4-byte Folded Reload
	buffer_load_dword v30, off, s[40:43], 0 offset:480 ; 4-byte Folded Reload
	buffer_load_dword v31, off, s[40:43], 0 offset:484 ; 4-byte Folded Reload
	buffer_load_dword v32, off, s[40:43], 0 offset:488 ; 4-byte Folded Reload
	buffer_load_dword v33, off, s[40:43], 0 offset:492 ; 4-byte Folded Reload
	buffer_load_dword v34, off, s[40:43], 0 offset:496 ; 4-byte Folded Reload
	buffer_load_dword v35, off, s[40:43], 0 offset:500 ; 4-byte Folded Reload
	buffer_load_dword v36, off, s[40:43], 0 offset:504 ; 4-byte Folded Reload
	buffer_load_dword v37, off, s[40:43], 0 offset:508 ; 4-byte Folded Reload
	s_waitcnt vmcnt(6)
	v_pk_mov_b32 v[24:25], v[30:31], v[30:31] op_sel:[0,1]
	v_fmac_f32_e32 v4, v24, v24
	v_fmac_f32_e32 v4, v25, v25
	buffer_load_dword v6, off, s[40:43], 0 offset:256 ; 4-byte Folded Reload
	;; [unrolled: 36-line block ×3, first 2 shown]
	buffer_load_dword v7, off, s[40:43], 0 offset:1544 ; 4-byte Folded Reload
	buffer_load_dword v8, off, s[40:43], 0 offset:1548 ; 4-byte Folded Reload
	;; [unrolled: 1-line block ×31, first 2 shown]
	s_waitcnt vmcnt(2)
	v_pk_mov_b32 v[28:29], v[34:35], v[34:35] op_sel:[0,1]
	v_fmac_f32_e32 v4, v28, v28
	v_fmac_f32_e32 v4, v29, v29
	;; [unrolled: 1-line block ×4, first 2 shown]
	s_nop 1
	v_mov_b32_dpp v5, v4 quad_perm:[1,0,3,2] row_mask:0xf bank_mask:0xf
	v_add_f32_e32 v4, v4, v5
	s_nop 1
	v_mov_b32_dpp v5, v4 quad_perm:[2,3,0,1] row_mask:0xf bank_mask:0xf
	v_add_f32_e32 v4, v4, v5
	s_nop 1
	v_mov_b32_dpp v5, v4 row_half_mirror row_mask:0xf bank_mask:0xf
	v_add_f32_e32 v4, v4, v5
	s_nop 1
	v_mov_b32_dpp v5, v4 row_mirror row_mask:0xf bank_mask:0xf
	v_add_f32_e32 v4, v4, v5
	s_nop 1
	v_mov_b32_dpp v5, v4 row_bcast:15 row_mask:0xf bank_mask:0xf
	v_add_f32_e32 v4, v4, v5
	v_and_b32_e32 v5, 63, v0
	v_cmp_eq_u32_e64 s[2:3], 63, v5
	s_nop 0
	v_mov_b32_dpp v5, v4 row_bcast:31 row_mask:0xf bank_mask:0xf
	s_waitcnt lgkmcnt(0)
	s_and_saveexec_b64 s[26:27], s[2:3]
	s_cbranch_execz .LBB81_13
; %bb.12:
	v_add_f32_e32 v4, v4, v5
	v_lshrrev_b32_e32 v5, 4, v0
	v_and_b32_e32 v5, 60, v5
	ds_write_b32 v5, v4 offset:32
.LBB81_13:
	s_or_b64 exec, exec, s[26:27]
	v_and_b32_e32 v4, 3, v0
	v_lshlrev_b32_e32 v68, 2, v4
	s_waitcnt lgkmcnt(0)
	s_barrier
	ds_read_b32 v4, v68 offset:32
	s_load_dwordx2 s[26:27], s[4:5], 0x18
	s_waitcnt lgkmcnt(0)
	v_mov_b32_dpp v5, v4 quad_perm:[1,0,3,2] row_mask:0xf bank_mask:0xf
	v_add_f32_e32 v4, v4, v5
	s_nop 1
	v_mov_b32_dpp v5, v4 quad_perm:[2,3,0,1] row_mask:0xf bank_mask:0xf
	s_and_saveexec_b64 s[28:29], s[0:1]
	s_cbranch_execnz .LBB81_18
; %bb.14:
	s_or_b64 exec, exec, s[28:29]
	s_mov_b64 s[8:9], -1
	s_and_b64 vcc, exec, s[22:23]
	s_cbranch_vccnz .LBB81_19
.LBB81_15:
	s_andn2_b64 vcc, exec, s[8:9]
	s_cbranch_vccz .LBB81_22
.LBB81_16:
	s_cmp_lt_i32 s16, 1
	s_cbranch_scc0 .LBB81_33
.LBB81_17:
	s_endpgm
.LBB81_18:
	v_add_f32_e32 v4, v4, v5
	v_cvt_f32_u32_e32 v5, s7
	s_mov_b32 s7, 0x800000
	v_pk_mov_b32 v[30:31], v[28:29], v[28:29] op_sel:[0,1]
	v_div_scale_f32 v6, s[36:37], v5, v5, v4
	v_rcp_f32_e32 v7, v6
	v_fma_f32 v8, -v6, v7, 1.0
	v_fmac_f32_e32 v7, v8, v7
	v_div_scale_f32 v8, vcc, v4, v5, v4
	v_mul_f32_e32 v9, v8, v7
	v_fma_f32 v10, -v6, v9, v8
	v_fmac_f32_e32 v9, v10, v7
	v_fma_f32 v6, -v6, v9, v8
	v_div_fmas_f32 v6, v6, v7, v9
	v_div_fixup_f32 v4, v6, v5, v4
	v_mov_b32_e32 v5, s13
	v_mov_b32_e32 v6, s12
	v_cndmask_b32_e64 v5, v5, v6, s[8:9]
	v_add_f32_e32 v4, v5, v4
	v_mul_f32_e32 v5, 0x4b800000, v4
	v_cmp_gt_f32_e32 vcc, s7, v4
	v_cndmask_b32_e32 v4, v4, v5, vcc
	v_rsq_f32_e32 v4, v4
	v_mul_f32_e32 v5, 0x45800000, v4
	v_cndmask_b32_e32 v32, v4, v5, vcc
	v_mov_b32_e32 v33, v32
	;;#ASMSTART
	v_pk_mul_f32 v[2:3], v[2:3], v[32:33]
	;;#ASMEND
	;;#ASMSTART
	v_pk_mul_f32 v[4:5], v[74:75], v[32:33]
	;;#ASMEND
	buffer_load_dword v34, off, s[40:43], 0 offset:1280 ; 4-byte Folded Reload
	buffer_load_dword v35, off, s[40:43], 0 offset:1284 ; 4-byte Folded Reload
	buffer_load_dword v36, off, s[40:43], 0 offset:1288 ; 4-byte Folded Reload
	buffer_load_dword v37, off, s[40:43], 0 offset:1292 ; 4-byte Folded Reload
	buffer_load_dword v38, off, s[40:43], 0 offset:1296 ; 4-byte Folded Reload
	buffer_load_dword v39, off, s[40:43], 0 offset:1300 ; 4-byte Folded Reload
	buffer_load_dword v40, off, s[40:43], 0 offset:1304 ; 4-byte Folded Reload
	buffer_load_dword v41, off, s[40:43], 0 offset:1308 ; 4-byte Folded Reload
	buffer_load_dword v42, off, s[40:43], 0 offset:1312 ; 4-byte Folded Reload
	buffer_load_dword v43, off, s[40:43], 0 offset:1316 ; 4-byte Folded Reload
	buffer_load_dword v44, off, s[40:43], 0 offset:1320 ; 4-byte Folded Reload
	buffer_load_dword v45, off, s[40:43], 0 offset:1324 ; 4-byte Folded Reload
	buffer_load_dword v46, off, s[40:43], 0 offset:1328 ; 4-byte Folded Reload
	buffer_load_dword v47, off, s[40:43], 0 offset:1332 ; 4-byte Folded Reload
	buffer_load_dword v48, off, s[40:43], 0 offset:1336 ; 4-byte Folded Reload
	buffer_load_dword v49, off, s[40:43], 0 offset:1340 ; 4-byte Folded Reload
	buffer_load_dword v50, off, s[40:43], 0 offset:1344 ; 4-byte Folded Reload
	buffer_load_dword v51, off, s[40:43], 0 offset:1348 ; 4-byte Folded Reload
	buffer_load_dword v52, off, s[40:43], 0 offset:1352 ; 4-byte Folded Reload
	buffer_load_dword v53, off, s[40:43], 0 offset:1356 ; 4-byte Folded Reload
	buffer_load_dword v54, off, s[40:43], 0 offset:1360 ; 4-byte Folded Reload
	buffer_load_dword v55, off, s[40:43], 0 offset:1364 ; 4-byte Folded Reload
	buffer_load_dword v56, off, s[40:43], 0 offset:1368 ; 4-byte Folded Reload
	buffer_load_dword v57, off, s[40:43], 0 offset:1372 ; 4-byte Folded Reload
	buffer_load_dword v58, off, s[40:43], 0 offset:1376 ; 4-byte Folded Reload
	buffer_load_dword v59, off, s[40:43], 0 offset:1380 ; 4-byte Folded Reload
	buffer_load_dword v60, off, s[40:43], 0 offset:1384 ; 4-byte Folded Reload
	buffer_load_dword v61, off, s[40:43], 0 offset:1388 ; 4-byte Folded Reload
	buffer_load_dword v62, off, s[40:43], 0 offset:1392 ; 4-byte Folded Reload
	buffer_load_dword v63, off, s[40:43], 0 offset:1396 ; 4-byte Folded Reload
	buffer_load_dword v64, off, s[40:43], 0 offset:1400 ; 4-byte Folded Reload
	buffer_load_dword v65, off, s[40:43], 0 offset:1404 ; 4-byte Folded Reload
	s_waitcnt vmcnt(26)
	;;#ASMSTART
	v_pk_mul_f32 v[6:7], v[38:39], v[32:33]
	;;#ASMEND
	buffer_load_dword v34, off, s[40:43], 0 offset:1152 ; 4-byte Folded Reload
	buffer_load_dword v35, off, s[40:43], 0 offset:1156 ; 4-byte Folded Reload
	buffer_load_dword v36, off, s[40:43], 0 offset:1160 ; 4-byte Folded Reload
	buffer_load_dword v37, off, s[40:43], 0 offset:1164 ; 4-byte Folded Reload
	buffer_load_dword v38, off, s[40:43], 0 offset:1168 ; 4-byte Folded Reload
	buffer_load_dword v39, off, s[40:43], 0 offset:1172 ; 4-byte Folded Reload
	buffer_load_dword v40, off, s[40:43], 0 offset:1176 ; 4-byte Folded Reload
	buffer_load_dword v41, off, s[40:43], 0 offset:1180 ; 4-byte Folded Reload
	buffer_load_dword v42, off, s[40:43], 0 offset:1184 ; 4-byte Folded Reload
	buffer_load_dword v43, off, s[40:43], 0 offset:1188 ; 4-byte Folded Reload
	buffer_load_dword v44, off, s[40:43], 0 offset:1192 ; 4-byte Folded Reload
	buffer_load_dword v45, off, s[40:43], 0 offset:1196 ; 4-byte Folded Reload
	buffer_load_dword v46, off, s[40:43], 0 offset:1200 ; 4-byte Folded Reload
	buffer_load_dword v47, off, s[40:43], 0 offset:1204 ; 4-byte Folded Reload
	buffer_load_dword v48, off, s[40:43], 0 offset:1208 ; 4-byte Folded Reload
	buffer_load_dword v49, off, s[40:43], 0 offset:1212 ; 4-byte Folded Reload
	buffer_load_dword v50, off, s[40:43], 0 offset:1216 ; 4-byte Folded Reload
	buffer_load_dword v51, off, s[40:43], 0 offset:1220 ; 4-byte Folded Reload
	buffer_load_dword v52, off, s[40:43], 0 offset:1224 ; 4-byte Folded Reload
	buffer_load_dword v53, off, s[40:43], 0 offset:1228 ; 4-byte Folded Reload
	buffer_load_dword v54, off, s[40:43], 0 offset:1232 ; 4-byte Folded Reload
	buffer_load_dword v55, off, s[40:43], 0 offset:1236 ; 4-byte Folded Reload
	buffer_load_dword v56, off, s[40:43], 0 offset:1240 ; 4-byte Folded Reload
	buffer_load_dword v57, off, s[40:43], 0 offset:1244 ; 4-byte Folded Reload
	buffer_load_dword v58, off, s[40:43], 0 offset:1248 ; 4-byte Folded Reload
	buffer_load_dword v59, off, s[40:43], 0 offset:1252 ; 4-byte Folded Reload
	buffer_load_dword v60, off, s[40:43], 0 offset:1256 ; 4-byte Folded Reload
	buffer_load_dword v61, off, s[40:43], 0 offset:1260 ; 4-byte Folded Reload
	buffer_load_dword v62, off, s[40:43], 0 offset:1264 ; 4-byte Folded Reload
	buffer_load_dword v63, off, s[40:43], 0 offset:1268 ; 4-byte Folded Reload
	buffer_load_dword v64, off, s[40:43], 0 offset:1272 ; 4-byte Folded Reload
	buffer_load_dword v65, off, s[40:43], 0 offset:1276 ; 4-byte Folded Reload
	s_waitcnt vmcnt(24)
	;; [unrolled: 36-line block ×9, first 2 shown]
	;;#ASMSTART
	v_pk_mul_f32 v[22:23], v[54:55], v[32:33]
	;;#ASMEND
	buffer_load_dword v34, off, s[40:43], 0 ; 4-byte Folded Reload
	buffer_load_dword v35, off, s[40:43], 0 offset:4 ; 4-byte Folded Reload
	buffer_load_dword v36, off, s[40:43], 0 offset:8 ; 4-byte Folded Reload
	;; [unrolled: 1-line block ×31, first 2 shown]
	s_waitcnt vmcnt(8)
	;;#ASMSTART
	v_pk_mul_f32 v[24:25], v[56:57], v[32:33]
	;;#ASMEND
	buffer_load_dword v34, off, s[40:43], 0 offset:384 ; 4-byte Folded Reload
	buffer_load_dword v35, off, s[40:43], 0 offset:388 ; 4-byte Folded Reload
	;; [unrolled: 1-line block ×32, first 2 shown]
	s_waitcnt vmcnt(6)
	;;#ASMSTART
	v_pk_mul_f32 v[26:27], v[58:59], v[32:33]
	;;#ASMEND
	buffer_load_dword v34, off, s[40:43], 0 offset:256 ; 4-byte Folded Reload
	buffer_load_dword v35, off, s[40:43], 0 offset:260 ; 4-byte Folded Reload
	buffer_load_dword v36, off, s[40:43], 0 offset:264 ; 4-byte Folded Reload
	buffer_load_dword v37, off, s[40:43], 0 offset:268 ; 4-byte Folded Reload
	buffer_load_dword v38, off, s[40:43], 0 offset:272 ; 4-byte Folded Reload
	buffer_load_dword v39, off, s[40:43], 0 offset:276 ; 4-byte Folded Reload
	buffer_load_dword v40, off, s[40:43], 0 offset:280 ; 4-byte Folded Reload
	buffer_load_dword v41, off, s[40:43], 0 offset:284 ; 4-byte Folded Reload
	buffer_load_dword v42, off, s[40:43], 0 offset:288 ; 4-byte Folded Reload
	buffer_load_dword v43, off, s[40:43], 0 offset:292 ; 4-byte Folded Reload
	buffer_load_dword v44, off, s[40:43], 0 offset:296 ; 4-byte Folded Reload
	buffer_load_dword v45, off, s[40:43], 0 offset:300 ; 4-byte Folded Reload
	buffer_load_dword v46, off, s[40:43], 0 offset:304 ; 4-byte Folded Reload
	buffer_load_dword v47, off, s[40:43], 0 offset:308 ; 4-byte Folded Reload
	buffer_load_dword v48, off, s[40:43], 0 offset:312 ; 4-byte Folded Reload
	buffer_load_dword v49, off, s[40:43], 0 offset:316 ; 4-byte Folded Reload
	buffer_load_dword v50, off, s[40:43], 0 offset:320 ; 4-byte Folded Reload
	buffer_load_dword v51, off, s[40:43], 0 offset:324 ; 4-byte Folded Reload
	buffer_load_dword v52, off, s[40:43], 0 offset:328 ; 4-byte Folded Reload
	buffer_load_dword v53, off, s[40:43], 0 offset:332 ; 4-byte Folded Reload
	buffer_load_dword v54, off, s[40:43], 0 offset:336 ; 4-byte Folded Reload
	buffer_load_dword v55, off, s[40:43], 0 offset:340 ; 4-byte Folded Reload
	buffer_load_dword v56, off, s[40:43], 0 offset:344 ; 4-byte Folded Reload
	buffer_load_dword v57, off, s[40:43], 0 offset:348 ; 4-byte Folded Reload
	buffer_load_dword v58, off, s[40:43], 0 offset:352 ; 4-byte Folded Reload
	buffer_load_dword v59, off, s[40:43], 0 offset:356 ; 4-byte Folded Reload
	buffer_load_dword v60, off, s[40:43], 0 offset:360 ; 4-byte Folded Reload
	buffer_load_dword v61, off, s[40:43], 0 offset:364 ; 4-byte Folded Reload
	buffer_load_dword v62, off, s[40:43], 0 offset:368 ; 4-byte Folded Reload
	buffer_load_dword v63, off, s[40:43], 0 offset:372 ; 4-byte Folded Reload
	buffer_load_dword v64, off, s[40:43], 0 offset:376 ; 4-byte Folded Reload
	buffer_load_dword v65, off, s[40:43], 0 offset:380 ; 4-byte Folded Reload
	s_waitcnt vmcnt(30)
	v_cvt_f32_f16_sdwa v35, v112 dst_sel:DWORD dst_unused:UNUSED_PAD src0_sel:WORD_1
	v_cvt_f32_f16_e32 v34, v112
	s_waitcnt vmcnt(28)
	v_cvt_f32_f16_sdwa v37, v114 dst_sel:DWORD dst_unused:UNUSED_PAD src0_sel:WORD_1
	v_cvt_f32_f16_e32 v36, v114
	;; [unrolled: 3-line block ×11, first 2 shown]
	s_waitcnt vmcnt(8)
	v_cvt_f32_f16_sdwa v57, v124 dst_sel:DWORD dst_unused:UNUSED_PAD src0_sel:WORD_1
	v_pk_add_f32 v[52:53], v[52:53], 1.0 op_sel_hi:[1,0]
	v_cvt_f32_f16_e32 v56, v124
	v_pk_add_f32 v[54:55], v[54:55], 1.0 op_sel_hi:[1,0]
	s_waitcnt vmcnt(6)
	v_cvt_f32_f16_sdwa v59, v125 dst_sel:DWORD dst_unused:UNUSED_PAD src0_sel:WORD_1
	v_cvt_f32_f16_e32 v58, v125
	v_pk_add_f32 v[56:57], v[56:57], 1.0 op_sel_hi:[1,0]
	s_waitcnt vmcnt(2)
	v_cvt_f32_f16_sdwa v63, v127 dst_sel:DWORD dst_unused:UNUSED_PAD src0_sel:WORD_1
	v_cvt_f32_f16_e32 v62, v127
	v_pk_add_f32 v[58:59], v[58:59], 1.0 op_sel_hi:[1,0]
	;;#ASMSTART
	v_pk_mul_f32 v[28:29], v[60:61], v[32:33]
	;;#ASMEND
	;;#ASMSTART
	v_pk_mul_f32 v[30:31], v[30:31], v[32:33]
	;;#ASMEND
	;; [unrolled: 3-line block ×3, first 2 shown]
	v_pk_add_f32 v[32:33], v[34:35], 1.0 op_sel_hi:[1,0]
	v_cvt_f32_f16_sdwa v35, v113 dst_sel:DWORD dst_unused:UNUSED_PAD src0_sel:WORD_1
	v_cvt_f32_f16_e32 v34, v113
	;;#ASMSTART
	v_pk_mul_f32 v[2:3], v[2:3], v[32:33]
	;;#ASMEND
	v_cvt_f32_f16_sdwa v61, v126 dst_sel:DWORD dst_unused:UNUSED_PAD src0_sel:WORD_1
	v_cvt_f32_f16_e32 v60, v126
	v_pk_add_f32 v[32:33], v[34:35], 1.0 op_sel_hi:[1,0]
	v_pk_add_f32 v[34:35], v[36:37], 1.0 op_sel_hi:[1,0]
	;;#ASMSTART
	v_pk_mul_f32 v[74:75], v[4:5], v[32:33]
	;;#ASMEND
	;;#ASMSTART
	v_pk_mul_f32 v[4:5], v[6:7], v[34:35]
	;;#ASMEND
	buffer_store_dword v0, off, s[40:43], 0 offset:1280 ; 4-byte Folded Spill
	s_nop 0
	buffer_store_dword v1, off, s[40:43], 0 offset:1284 ; 4-byte Folded Spill
	buffer_store_dword v2, off, s[40:43], 0 offset:1288 ; 4-byte Folded Spill
	;; [unrolled: 1-line block ×31, first 2 shown]
	v_pk_add_f32 v[36:37], v[38:39], 1.0 op_sel_hi:[1,0]
	v_pk_add_f32 v[38:39], v[40:41], 1.0 op_sel_hi:[1,0]
	;; [unrolled: 1-line block ×9, first 2 shown]
	;;#ASMSTART
	v_pk_mul_f32 v[6:7], v[8:9], v[36:37]
	;;#ASMEND
	buffer_store_dword v0, off, s[40:43], 0 offset:1152 ; 4-byte Folded Spill
	s_nop 0
	buffer_store_dword v1, off, s[40:43], 0 offset:1156 ; 4-byte Folded Spill
	buffer_store_dword v2, off, s[40:43], 0 offset:1160 ; 4-byte Folded Spill
	buffer_store_dword v3, off, s[40:43], 0 offset:1164 ; 4-byte Folded Spill
	buffer_store_dword v4, off, s[40:43], 0 offset:1168 ; 4-byte Folded Spill
	buffer_store_dword v5, off, s[40:43], 0 offset:1172 ; 4-byte Folded Spill
	buffer_store_dword v6, off, s[40:43], 0 offset:1176 ; 4-byte Folded Spill
	buffer_store_dword v7, off, s[40:43], 0 offset:1180 ; 4-byte Folded Spill
	buffer_store_dword v8, off, s[40:43], 0 offset:1184 ; 4-byte Folded Spill
	buffer_store_dword v9, off, s[40:43], 0 offset:1188 ; 4-byte Folded Spill
	buffer_store_dword v10, off, s[40:43], 0 offset:1192 ; 4-byte Folded Spill
	buffer_store_dword v11, off, s[40:43], 0 offset:1196 ; 4-byte Folded Spill
	buffer_store_dword v12, off, s[40:43], 0 offset:1200 ; 4-byte Folded Spill
	buffer_store_dword v13, off, s[40:43], 0 offset:1204 ; 4-byte Folded Spill
	buffer_store_dword v14, off, s[40:43], 0 offset:1208 ; 4-byte Folded Spill
	buffer_store_dword v15, off, s[40:43], 0 offset:1212 ; 4-byte Folded Spill
	buffer_store_dword v16, off, s[40:43], 0 offset:1216 ; 4-byte Folded Spill
	buffer_store_dword v17, off, s[40:43], 0 offset:1220 ; 4-byte Folded Spill
	buffer_store_dword v18, off, s[40:43], 0 offset:1224 ; 4-byte Folded Spill
	buffer_store_dword v19, off, s[40:43], 0 offset:1228 ; 4-byte Folded Spill
	buffer_store_dword v20, off, s[40:43], 0 offset:1232 ; 4-byte Folded Spill
	buffer_store_dword v21, off, s[40:43], 0 offset:1236 ; 4-byte Folded Spill
	buffer_store_dword v22, off, s[40:43], 0 offset:1240 ; 4-byte Folded Spill
	buffer_store_dword v23, off, s[40:43], 0 offset:1244 ; 4-byte Folded Spill
	buffer_store_dword v24, off, s[40:43], 0 offset:1248 ; 4-byte Folded Spill
	buffer_store_dword v25, off, s[40:43], 0 offset:1252 ; 4-byte Folded Spill
	buffer_store_dword v26, off, s[40:43], 0 offset:1256 ; 4-byte Folded Spill
	buffer_store_dword v27, off, s[40:43], 0 offset:1260 ; 4-byte Folded Spill
	buffer_store_dword v28, off, s[40:43], 0 offset:1264 ; 4-byte Folded Spill
	buffer_store_dword v29, off, s[40:43], 0 offset:1268 ; 4-byte Folded Spill
	buffer_store_dword v30, off, s[40:43], 0 offset:1272 ; 4-byte Folded Spill
	buffer_store_dword v31, off, s[40:43], 0 offset:1276 ; 4-byte Folded Spill
	;;#ASMSTART
	v_pk_mul_f32 v[8:9], v[10:11], v[38:39]
	;;#ASMEND
	buffer_store_dword v0, off, s[40:43], 0 offset:1408 ; 4-byte Folded Spill
	s_nop 0
	buffer_store_dword v1, off, s[40:43], 0 offset:1412 ; 4-byte Folded Spill
	buffer_store_dword v2, off, s[40:43], 0 offset:1416 ; 4-byte Folded Spill
	buffer_store_dword v3, off, s[40:43], 0 offset:1420 ; 4-byte Folded Spill
	buffer_store_dword v4, off, s[40:43], 0 offset:1424 ; 4-byte Folded Spill
	buffer_store_dword v5, off, s[40:43], 0 offset:1428 ; 4-byte Folded Spill
	buffer_store_dword v6, off, s[40:43], 0 offset:1432 ; 4-byte Folded Spill
	buffer_store_dword v7, off, s[40:43], 0 offset:1436 ; 4-byte Folded Spill
	buffer_store_dword v8, off, s[40:43], 0 offset:1440 ; 4-byte Folded Spill
	buffer_store_dword v9, off, s[40:43], 0 offset:1444 ; 4-byte Folded Spill
	buffer_store_dword v10, off, s[40:43], 0 offset:1448 ; 4-byte Folded Spill
	buffer_store_dword v11, off, s[40:43], 0 offset:1452 ; 4-byte Folded Spill
	buffer_store_dword v12, off, s[40:43], 0 offset:1456 ; 4-byte Folded Spill
	buffer_store_dword v13, off, s[40:43], 0 offset:1460 ; 4-byte Folded Spill
	buffer_store_dword v14, off, s[40:43], 0 offset:1464 ; 4-byte Folded Spill
	buffer_store_dword v15, off, s[40:43], 0 offset:1468 ; 4-byte Folded Spill
	buffer_store_dword v16, off, s[40:43], 0 offset:1472 ; 4-byte Folded Spill
	buffer_store_dword v17, off, s[40:43], 0 offset:1476 ; 4-byte Folded Spill
	buffer_store_dword v18, off, s[40:43], 0 offset:1480 ; 4-byte Folded Spill
	buffer_store_dword v19, off, s[40:43], 0 offset:1484 ; 4-byte Folded Spill
	buffer_store_dword v20, off, s[40:43], 0 offset:1488 ; 4-byte Folded Spill
	buffer_store_dword v21, off, s[40:43], 0 offset:1492 ; 4-byte Folded Spill
	buffer_store_dword v22, off, s[40:43], 0 offset:1496 ; 4-byte Folded Spill
	buffer_store_dword v23, off, s[40:43], 0 offset:1500 ; 4-byte Folded Spill
	buffer_store_dword v24, off, s[40:43], 0 offset:1504 ; 4-byte Folded Spill
	buffer_store_dword v25, off, s[40:43], 0 offset:1508 ; 4-byte Folded Spill
	buffer_store_dword v26, off, s[40:43], 0 offset:1512 ; 4-byte Folded Spill
	buffer_store_dword v27, off, s[40:43], 0 offset:1516 ; 4-byte Folded Spill
	buffer_store_dword v28, off, s[40:43], 0 offset:1520 ; 4-byte Folded Spill
	buffer_store_dword v29, off, s[40:43], 0 offset:1524 ; 4-byte Folded Spill
	buffer_store_dword v30, off, s[40:43], 0 offset:1528 ; 4-byte Folded Spill
	buffer_store_dword v31, off, s[40:43], 0 offset:1532 ; 4-byte Folded Spill
	;; [unrolled: 36-line block ×8, first 2 shown]
	;;#ASMSTART
	v_pk_mul_f32 v[22:23], v[24:25], v[54:55]
	;;#ASMEND
	buffer_store_dword v0, off, s[40:43], 0 ; 4-byte Folded Spill
	s_nop 0
	buffer_store_dword v1, off, s[40:43], 0 offset:4 ; 4-byte Folded Spill
	buffer_store_dword v2, off, s[40:43], 0 offset:8 ; 4-byte Folded Spill
	;; [unrolled: 1-line block ×31, first 2 shown]
	;;#ASMSTART
	v_pk_mul_f32 v[24:25], v[26:27], v[56:57]
	;;#ASMEND
	buffer_store_dword v0, off, s[40:43], 0 offset:384 ; 4-byte Folded Spill
	s_nop 0
	buffer_store_dword v1, off, s[40:43], 0 offset:388 ; 4-byte Folded Spill
	buffer_store_dword v2, off, s[40:43], 0 offset:392 ; 4-byte Folded Spill
	;; [unrolled: 1-line block ×31, first 2 shown]
	;;#ASMSTART
	v_pk_mul_f32 v[26:27], v[28:29], v[58:59]
	;;#ASMEND
	buffer_store_dword v0, off, s[40:43], 0 offset:256 ; 4-byte Folded Spill
	s_nop 0
	buffer_store_dword v1, off, s[40:43], 0 offset:260 ; 4-byte Folded Spill
	buffer_store_dword v2, off, s[40:43], 0 offset:264 ; 4-byte Folded Spill
	;; [unrolled: 1-line block ×31, first 2 shown]
	;;#ASMSTART
	v_pk_mul_f32 v[28:29], v[30:31], v[60:61]
	;;#ASMEND
	;;#ASMSTART
	v_pk_mul_f32 v[76:77], v[66:67], v[62:63]
	;;#ASMEND
	s_or_b64 exec, exec, s[28:29]
	s_mov_b64 s[8:9], -1
	s_and_b64 vcc, exec, s[22:23]
	s_cbranch_vccz .LBB81_15
.LBB81_19:
	s_and_saveexec_b64 s[8:9], s[0:1]
	s_cbranch_execz .LBB81_21
; %bb.20:
	buffer_load_dword v30, off, s[40:43], 0 offset:1280 ; 4-byte Folded Reload
	buffer_load_dword v31, off, s[40:43], 0 offset:1284 ; 4-byte Folded Reload
	;; [unrolled: 1-line block ×32, first 2 shown]
	s_mul_hi_i32 s23, s25, s6
	s_mul_i32 s22, s25, s6
	s_lshl_b64 s[22:23], s[22:23], 1
	s_add_u32 s28, s26, s22
	s_addc_u32 s7, s27, s23
	s_and_b32 s29, s7, 0xffff
	s_mov_b32 s31, 0x20000
	s_movk_i32 s7, 0x400
	s_waitcnt vmcnt(26)
	v_pk_mov_b32 v[8:9], v[34:35], v[34:35] op_sel:[0,1]
	buffer_load_dword v30, off, s[40:43], 0 offset:1152 ; 4-byte Folded Reload
	buffer_load_dword v31, off, s[40:43], 0 offset:1156 ; 4-byte Folded Reload
	;; [unrolled: 1-line block ×33, first 2 shown]
	v_cvt_f16_f32_e32 v4, v8
	v_cvt_f16_f32_e32 v8, v9
	s_waitcnt vmcnt(25)
	v_pk_mov_b32 v[6:7], v[36:37], v[36:37] op_sel:[0,1]
	v_cvt_f16_f32_e32 v5, v6
	v_cvt_f16_f32_e32 v6, v7
	v_pack_b32_f16 v7, v5, v6
	v_pack_b32_f16 v6, v4, v8
	v_cvt_f16_f32_e32 v4, v74
	v_cvt_f16_f32_e32 v5, v75
	;; [unrolled: 1-line block ×3, first 2 shown]
	v_pack_b32_f16 v5, v4, v5
	v_cvt_f16_f32_e32 v4, v2
	v_pack_b32_f16 v4, v4, v8
	s_waitcnt vmcnt(0)
	v_lshlrev_b32_e32 v8, 1, v1
	buffer_store_dwordx4 v[4:7], v8, s[28:31], 0 offen
	buffer_load_dword v30, off, s[40:43], 0 offset:640 ; 4-byte Folded Reload
	buffer_load_dword v31, off, s[40:43], 0 offset:644 ; 4-byte Folded Reload
	;; [unrolled: 1-line block ×32, first 2 shown]
	s_waitcnt vmcnt(18)
	v_pk_mov_b32 v[12:13], v[42:43], v[42:43] op_sel:[0,1]
	buffer_load_dword v30, off, s[40:43], 0 offset:512 ; 4-byte Folded Reload
	buffer_load_dword v31, off, s[40:43], 0 offset:516 ; 4-byte Folded Reload
	;; [unrolled: 1-line block ×32, first 2 shown]
	v_cvt_f16_f32_e32 v4, v12
	v_cvt_f16_f32_e32 v9, v13
	s_waitcnt vmcnt(16)
	v_pk_mov_b32 v[14:15], v[44:45], v[44:45] op_sel:[0,1]
	buffer_load_dword v30, off, s[40:43], 0 offset:1024 ; 4-byte Folded Reload
	buffer_load_dword v31, off, s[40:43], 0 offset:1028 ; 4-byte Folded Reload
	;; [unrolled: 1-line block ×32, first 2 shown]
	v_cvt_f16_f32_e32 v5, v14
	v_cvt_f16_f32_e32 v6, v15
	v_pack_b32_f16 v7, v5, v6
	v_pack_b32_f16 v6, v4, v9
	s_waitcnt vmcnt(20)
	v_pk_mov_b32 v[10:11], v[40:41], v[40:41] op_sel:[0,1]
	buffer_load_dword v30, off, s[40:43], 0 offset:1408 ; 4-byte Folded Reload
	buffer_load_dword v31, off, s[40:43], 0 offset:1412 ; 4-byte Folded Reload
	;; [unrolled: 1-line block ×32, first 2 shown]
	v_cvt_f16_f32_e32 v4, v10
	v_cvt_f16_f32_e32 v5, v11
	;;#ASMSTART
	s_nop 0
	;;#ASMEND
	v_pack_b32_f16 v5, v4, v5
	s_waitcnt vmcnt(22)
	v_pk_mov_b32 v[10:11], v[38:39], v[38:39] op_sel:[0,1]
	v_cvt_f16_f32_e32 v4, v10
	v_cvt_f16_f32_e32 v9, v11
	v_pack_b32_f16 v4, v4, v9
	buffer_store_dwordx4 v[4:7], v8, s[28:31], s7 offen
	buffer_load_dword v30, off, s[40:43], 0 offset:128 ; 4-byte Folded Reload
	buffer_load_dword v31, off, s[40:43], 0 offset:132 ; 4-byte Folded Reload
	;; [unrolled: 1-line block ×32, first 2 shown]
	s_movk_i32 s7, 0x800
	s_waitcnt vmcnt(10)
	v_pk_mov_b32 v[20:21], v[50:51], v[50:51] op_sel:[0,1]
	buffer_load_dword v30, off, s[40:43], 0 ; 4-byte Folded Reload
	buffer_load_dword v31, off, s[40:43], 0 offset:4 ; 4-byte Folded Reload
	buffer_load_dword v32, off, s[40:43], 0 offset:8 ; 4-byte Folded Reload
	;; [unrolled: 1-line block ×31, first 2 shown]
	v_cvt_f16_f32_e32 v4, v20
	v_cvt_f16_f32_e32 v9, v21
	s_waitcnt vmcnt(8)
	v_pk_mov_b32 v[22:23], v[52:53], v[52:53] op_sel:[0,1]
	buffer_load_dword v30, off, s[40:43], 0 offset:768 ; 4-byte Folded Reload
	buffer_load_dword v31, off, s[40:43], 0 offset:772 ; 4-byte Folded Reload
	;; [unrolled: 1-line block ×32, first 2 shown]
	v_cvt_f16_f32_e32 v5, v22
	v_cvt_f16_f32_e32 v6, v23
	v_pack_b32_f16 v7, v5, v6
	v_pack_b32_f16 v6, v4, v9
	s_waitcnt vmcnt(12)
	v_pk_mov_b32 v[18:19], v[48:49], v[48:49] op_sel:[0,1]
	buffer_load_dword v30, off, s[40:43], 0 offset:896 ; 4-byte Folded Reload
	buffer_load_dword v31, off, s[40:43], 0 offset:900 ; 4-byte Folded Reload
	;; [unrolled: 1-line block ×32, first 2 shown]
	v_cvt_f16_f32_e32 v4, v18
	v_cvt_f16_f32_e32 v5, v19
	;;#ASMSTART
	s_nop 0
	;;#ASMEND
	v_pack_b32_f16 v5, v4, v5
	s_waitcnt vmcnt(14)
	v_pk_mov_b32 v[16:17], v[46:47], v[46:47] op_sel:[0,1]
	v_cvt_f16_f32_e32 v4, v16
	v_cvt_f16_f32_e32 v9, v17
	v_pack_b32_f16 v4, v4, v9
	buffer_store_dwordx4 v[4:7], v8, s[28:31], s7 offen
	buffer_load_dword v30, off, s[40:43], 0 offset:256 ; 4-byte Folded Reload
	buffer_load_dword v31, off, s[40:43], 0 offset:260 ; 4-byte Folded Reload
	;; [unrolled: 1-line block ×32, first 2 shown]
	v_cvt_f16_f32_e32 v4, v28
	v_cvt_f16_f32_e32 v5, v76
	;; [unrolled: 1-line block ×4, first 2 shown]
	s_movk_i32 s7, 0xc00
	v_pack_b32_f16 v7, v5, v6
	v_pack_b32_f16 v6, v4, v9
	s_waitcnt vmcnt(4)
	v_pk_mov_b32 v[26:27], v[56:57], v[56:57] op_sel:[0,1]
	buffer_load_dword v30, off, s[40:43], 0 offset:384 ; 4-byte Folded Reload
	buffer_load_dword v31, off, s[40:43], 0 offset:388 ; 4-byte Folded Reload
	;; [unrolled: 1-line block ×32, first 2 shown]
	v_cvt_f16_f32_e32 v4, v26
	v_cvt_f16_f32_e32 v5, v27
	;;#ASMSTART
	s_nop 0
	;;#ASMEND
	v_pack_b32_f16 v5, v4, v5
	s_waitcnt vmcnt(6)
	v_pk_mov_b32 v[24:25], v[54:55], v[54:55] op_sel:[0,1]
	v_cvt_f16_f32_e32 v4, v24
	v_cvt_f16_f32_e32 v9, v25
	v_pack_b32_f16 v4, v4, v9
	buffer_store_dwordx4 v[4:7], v8, s[28:31], s7 offen
	;;#ASMSTART
	s_nop 0
	;;#ASMEND
.LBB81_21:
	s_or_b64 exec, exec, s[8:9]
	s_cbranch_execnz .LBB81_16
.LBB81_22:
	v_mov_b32_e32 v4, 0
	s_and_saveexec_b64 s[8:9], s[0:1]
	s_cbranch_execz .LBB81_24
; %bb.23:
	buffer_load_dword v30, off, s[40:43], 0 offset:1280 ; 4-byte Folded Reload
	buffer_load_dword v31, off, s[40:43], 0 offset:1284 ; 4-byte Folded Reload
	;; [unrolled: 1-line block ×32, first 2 shown]
	s_load_dwordx2 s[22:23], s[4:5], 0x10
	s_mul_hi_i32 s29, s24, s6
	s_mul_i32 s28, s24, s6
	s_lshl_b64 s[28:29], s[28:29], 1
	s_mov_b32 s31, 0x20000
	s_waitcnt lgkmcnt(0)
	s_add_u32 s28, s22, s28
	s_addc_u32 s7, s23, s29
	s_and_b32 s29, s7, 0xffff
	s_movk_i32 s7, 0x400
	s_waitcnt vmcnt(26)
	v_pk_mov_b32 v[8:9], v[34:35], v[34:35] op_sel:[0,1]
	buffer_load_dword v30, off, s[40:43], 0 offset:1152 ; 4-byte Folded Reload
	buffer_load_dword v31, off, s[40:43], 0 offset:1156 ; 4-byte Folded Reload
	;; [unrolled: 1-line block ×33, first 2 shown]
	v_cvt_f16_f32_e32 v4, v8
	v_cvt_f16_f32_e32 v8, v9
	s_waitcnt vmcnt(25)
	v_pk_mov_b32 v[6:7], v[36:37], v[36:37] op_sel:[0,1]
	v_cvt_f16_f32_e32 v5, v6
	v_cvt_f16_f32_e32 v6, v7
	v_pack_b32_f16 v7, v5, v6
	v_pack_b32_f16 v6, v4, v8
	v_cvt_f16_f32_e32 v4, v74
	v_cvt_f16_f32_e32 v5, v75
	;; [unrolled: 1-line block ×3, first 2 shown]
	v_pack_b32_f16 v5, v4, v5
	v_cvt_f16_f32_e32 v4, v2
	v_pack_b32_f16 v4, v4, v8
	s_waitcnt vmcnt(0)
	v_lshlrev_b32_e32 v8, 1, v1
	buffer_store_dwordx4 v[4:7], v8, s[28:31], 0 offen
	buffer_load_dword v30, off, s[40:43], 0 offset:640 ; 4-byte Folded Reload
	buffer_load_dword v31, off, s[40:43], 0 offset:644 ; 4-byte Folded Reload
	;; [unrolled: 1-line block ×32, first 2 shown]
	s_waitcnt vmcnt(18)
	v_pk_mov_b32 v[12:13], v[42:43], v[42:43] op_sel:[0,1]
	buffer_load_dword v30, off, s[40:43], 0 offset:512 ; 4-byte Folded Reload
	buffer_load_dword v31, off, s[40:43], 0 offset:516 ; 4-byte Folded Reload
	;; [unrolled: 1-line block ×32, first 2 shown]
	v_cvt_f16_f32_e32 v4, v12
	v_cvt_f16_f32_e32 v9, v13
	s_waitcnt vmcnt(16)
	v_pk_mov_b32 v[14:15], v[44:45], v[44:45] op_sel:[0,1]
	buffer_load_dword v30, off, s[40:43], 0 offset:1024 ; 4-byte Folded Reload
	buffer_load_dword v31, off, s[40:43], 0 offset:1028 ; 4-byte Folded Reload
	;; [unrolled: 1-line block ×32, first 2 shown]
	v_cvt_f16_f32_e32 v5, v14
	v_cvt_f16_f32_e32 v6, v15
	v_pack_b32_f16 v7, v5, v6
	v_pack_b32_f16 v6, v4, v9
	s_waitcnt vmcnt(20)
	v_pk_mov_b32 v[10:11], v[40:41], v[40:41] op_sel:[0,1]
	buffer_load_dword v30, off, s[40:43], 0 offset:1408 ; 4-byte Folded Reload
	buffer_load_dword v31, off, s[40:43], 0 offset:1412 ; 4-byte Folded Reload
	buffer_load_dword v32, off, s[40:43], 0 offset:1416 ; 4-byte Folded Reload
	buffer_load_dword v33, off, s[40:43], 0 offset:1420 ; 4-byte Folded Reload
	buffer_load_dword v34, off, s[40:43], 0 offset:1424 ; 4-byte Folded Reload
	buffer_load_dword v35, off, s[40:43], 0 offset:1428 ; 4-byte Folded Reload
	buffer_load_dword v36, off, s[40:43], 0 offset:1432 ; 4-byte Folded Reload
	buffer_load_dword v37, off, s[40:43], 0 offset:1436 ; 4-byte Folded Reload
	buffer_load_dword v38, off, s[40:43], 0 offset:1440 ; 4-byte Folded Reload
	buffer_load_dword v39, off, s[40:43], 0 offset:1444 ; 4-byte Folded Reload
	buffer_load_dword v40, off, s[40:43], 0 offset:1448 ; 4-byte Folded Reload
	buffer_load_dword v41, off, s[40:43], 0 offset:1452 ; 4-byte Folded Reload
	buffer_load_dword v42, off, s[40:43], 0 offset:1456 ; 4-byte Folded Reload
	buffer_load_dword v43, off, s[40:43], 0 offset:1460 ; 4-byte Folded Reload
	buffer_load_dword v44, off, s[40:43], 0 offset:1464 ; 4-byte Folded Reload
	buffer_load_dword v45, off, s[40:43], 0 offset:1468 ; 4-byte Folded Reload
	buffer_load_dword v46, off, s[40:43], 0 offset:1472 ; 4-byte Folded Reload
	buffer_load_dword v47, off, s[40:43], 0 offset:1476 ; 4-byte Folded Reload
	buffer_load_dword v48, off, s[40:43], 0 offset:1480 ; 4-byte Folded Reload
	buffer_load_dword v49, off, s[40:43], 0 offset:1484 ; 4-byte Folded Reload
	buffer_load_dword v50, off, s[40:43], 0 offset:1488 ; 4-byte Folded Reload
	buffer_load_dword v51, off, s[40:43], 0 offset:1492 ; 4-byte Folded Reload
	buffer_load_dword v52, off, s[40:43], 0 offset:1496 ; 4-byte Folded Reload
	buffer_load_dword v53, off, s[40:43], 0 offset:1500 ; 4-byte Folded Reload
	buffer_load_dword v54, off, s[40:43], 0 offset:1504 ; 4-byte Folded Reload
	buffer_load_dword v55, off, s[40:43], 0 offset:1508 ; 4-byte Folded Reload
	buffer_load_dword v56, off, s[40:43], 0 offset:1512 ; 4-byte Folded Reload
	buffer_load_dword v57, off, s[40:43], 0 offset:1516 ; 4-byte Folded Reload
	buffer_load_dword v58, off, s[40:43], 0 offset:1520 ; 4-byte Folded Reload
	buffer_load_dword v59, off, s[40:43], 0 offset:1524 ; 4-byte Folded Reload
	buffer_load_dword v60, off, s[40:43], 0 offset:1528 ; 4-byte Folded Reload
	buffer_load_dword v61, off, s[40:43], 0 offset:1532 ; 4-byte Folded Reload
	v_cvt_f16_f32_e32 v4, v10
	v_cvt_f16_f32_e32 v5, v11
	;;#ASMSTART
	s_nop 0
	;;#ASMEND
	v_pack_b32_f16 v5, v4, v5
	s_waitcnt vmcnt(22)
	v_pk_mov_b32 v[10:11], v[38:39], v[38:39] op_sel:[0,1]
	v_cvt_f16_f32_e32 v4, v10
	v_cvt_f16_f32_e32 v9, v11
	v_pack_b32_f16 v4, v4, v9
	buffer_store_dwordx4 v[4:7], v8, s[28:31], s7 offen
	buffer_load_dword v30, off, s[40:43], 0 offset:128 ; 4-byte Folded Reload
	buffer_load_dword v31, off, s[40:43], 0 offset:132 ; 4-byte Folded Reload
	;; [unrolled: 1-line block ×32, first 2 shown]
	s_movk_i32 s7, 0x800
	s_waitcnt vmcnt(10)
	v_pk_mov_b32 v[20:21], v[50:51], v[50:51] op_sel:[0,1]
	buffer_load_dword v30, off, s[40:43], 0 ; 4-byte Folded Reload
	buffer_load_dword v31, off, s[40:43], 0 offset:4 ; 4-byte Folded Reload
	buffer_load_dword v32, off, s[40:43], 0 offset:8 ; 4-byte Folded Reload
	buffer_load_dword v33, off, s[40:43], 0 offset:12 ; 4-byte Folded Reload
	buffer_load_dword v34, off, s[40:43], 0 offset:16 ; 4-byte Folded Reload
	buffer_load_dword v35, off, s[40:43], 0 offset:20 ; 4-byte Folded Reload
	buffer_load_dword v36, off, s[40:43], 0 offset:24 ; 4-byte Folded Reload
	buffer_load_dword v37, off, s[40:43], 0 offset:28 ; 4-byte Folded Reload
	buffer_load_dword v38, off, s[40:43], 0 offset:32 ; 4-byte Folded Reload
	buffer_load_dword v39, off, s[40:43], 0 offset:36 ; 4-byte Folded Reload
	buffer_load_dword v40, off, s[40:43], 0 offset:40 ; 4-byte Folded Reload
	buffer_load_dword v41, off, s[40:43], 0 offset:44 ; 4-byte Folded Reload
	buffer_load_dword v42, off, s[40:43], 0 offset:48 ; 4-byte Folded Reload
	buffer_load_dword v43, off, s[40:43], 0 offset:52 ; 4-byte Folded Reload
	buffer_load_dword v44, off, s[40:43], 0 offset:56 ; 4-byte Folded Reload
	buffer_load_dword v45, off, s[40:43], 0 offset:60 ; 4-byte Folded Reload
	buffer_load_dword v46, off, s[40:43], 0 offset:64 ; 4-byte Folded Reload
	buffer_load_dword v47, off, s[40:43], 0 offset:68 ; 4-byte Folded Reload
	buffer_load_dword v48, off, s[40:43], 0 offset:72 ; 4-byte Folded Reload
	buffer_load_dword v49, off, s[40:43], 0 offset:76 ; 4-byte Folded Reload
	buffer_load_dword v50, off, s[40:43], 0 offset:80 ; 4-byte Folded Reload
	buffer_load_dword v51, off, s[40:43], 0 offset:84 ; 4-byte Folded Reload
	buffer_load_dword v52, off, s[40:43], 0 offset:88 ; 4-byte Folded Reload
	buffer_load_dword v53, off, s[40:43], 0 offset:92 ; 4-byte Folded Reload
	buffer_load_dword v54, off, s[40:43], 0 offset:96 ; 4-byte Folded Reload
	buffer_load_dword v55, off, s[40:43], 0 offset:100 ; 4-byte Folded Reload
	buffer_load_dword v56, off, s[40:43], 0 offset:104 ; 4-byte Folded Reload
	buffer_load_dword v57, off, s[40:43], 0 offset:108 ; 4-byte Folded Reload
	buffer_load_dword v58, off, s[40:43], 0 offset:112 ; 4-byte Folded Reload
	buffer_load_dword v59, off, s[40:43], 0 offset:116 ; 4-byte Folded Reload
	buffer_load_dword v60, off, s[40:43], 0 offset:120 ; 4-byte Folded Reload
	buffer_load_dword v61, off, s[40:43], 0 offset:124 ; 4-byte Folded Reload
	v_cvt_f16_f32_e32 v4, v20
	v_cvt_f16_f32_e32 v9, v21
	s_waitcnt vmcnt(8)
	v_pk_mov_b32 v[22:23], v[52:53], v[52:53] op_sel:[0,1]
	buffer_load_dword v30, off, s[40:43], 0 offset:768 ; 4-byte Folded Reload
	buffer_load_dword v31, off, s[40:43], 0 offset:772 ; 4-byte Folded Reload
	;; [unrolled: 1-line block ×32, first 2 shown]
	v_cvt_f16_f32_e32 v5, v22
	v_cvt_f16_f32_e32 v6, v23
	v_pack_b32_f16 v7, v5, v6
	v_pack_b32_f16 v6, v4, v9
	s_waitcnt vmcnt(12)
	v_pk_mov_b32 v[18:19], v[48:49], v[48:49] op_sel:[0,1]
	buffer_load_dword v30, off, s[40:43], 0 offset:896 ; 4-byte Folded Reload
	buffer_load_dword v31, off, s[40:43], 0 offset:900 ; 4-byte Folded Reload
	;; [unrolled: 1-line block ×32, first 2 shown]
	v_cvt_f16_f32_e32 v4, v18
	v_cvt_f16_f32_e32 v5, v19
	;;#ASMSTART
	s_nop 0
	;;#ASMEND
	v_pack_b32_f16 v5, v4, v5
	s_waitcnt vmcnt(14)
	v_pk_mov_b32 v[16:17], v[46:47], v[46:47] op_sel:[0,1]
	v_cvt_f16_f32_e32 v4, v16
	v_cvt_f16_f32_e32 v9, v17
	v_pack_b32_f16 v4, v4, v9
	buffer_store_dwordx4 v[4:7], v8, s[28:31], s7 offen
	buffer_load_dword v30, off, s[40:43], 0 offset:256 ; 4-byte Folded Reload
	buffer_load_dword v31, off, s[40:43], 0 offset:260 ; 4-byte Folded Reload
	;; [unrolled: 1-line block ×32, first 2 shown]
	v_cvt_f16_f32_e32 v4, v28
	v_cvt_f16_f32_e32 v5, v76
	;; [unrolled: 1-line block ×4, first 2 shown]
	s_movk_i32 s7, 0xc00
	v_pack_b32_f16 v7, v5, v6
	v_pack_b32_f16 v6, v4, v9
	s_waitcnt vmcnt(4)
	v_pk_mov_b32 v[26:27], v[56:57], v[56:57] op_sel:[0,1]
	buffer_load_dword v30, off, s[40:43], 0 offset:384 ; 4-byte Folded Reload
	buffer_load_dword v31, off, s[40:43], 0 offset:388 ; 4-byte Folded Reload
	;; [unrolled: 1-line block ×32, first 2 shown]
	v_cvt_f16_f32_e32 v4, v26
	v_cvt_f16_f32_e32 v5, v27
	;;#ASMSTART
	s_nop 0
	;;#ASMEND
	v_pack_b32_f16 v5, v4, v5
	s_waitcnt vmcnt(6)
	v_pk_mov_b32 v[24:25], v[54:55], v[54:55] op_sel:[0,1]
	v_cvt_f16_f32_e32 v4, v24
	v_cvt_f16_f32_e32 v9, v25
	v_pack_b32_f16 v4, v4, v9
	buffer_store_dwordx4 v[4:7], v8, s[28:31], s7 offen
	v_mov_b32_e32 v4, 0x2edbe6ff
	;;#ASMSTART
	s_nop 0
	;;#ASMEND
.LBB81_24:
	s_or_b64 exec, exec, s[8:9]
	s_and_saveexec_b64 s[8:9], s[0:1]
	s_cbranch_execz .LBB81_26
; %bb.25:
	v_and_b32_e32 v5, 0x7fffffff, v2
	v_and_b32_e32 v6, 0x7fffffff, v3
	;;#ASMSTART
	v_max3_f32 v4, v4, v5, v6

	;;#ASMEND
	v_and_b32_e32 v5, 0x7fffffff, v74
	v_and_b32_e32 v6, 0x7fffffff, v75
	;;#ASMSTART
	v_max3_f32 v4, v4, v5, v6

	;;#ASMEND
	buffer_load_dword v30, off, s[40:43], 0 offset:1280 ; 4-byte Folded Reload
	buffer_load_dword v31, off, s[40:43], 0 offset:1284 ; 4-byte Folded Reload
	buffer_load_dword v32, off, s[40:43], 0 offset:1288 ; 4-byte Folded Reload
	buffer_load_dword v33, off, s[40:43], 0 offset:1292 ; 4-byte Folded Reload
	buffer_load_dword v34, off, s[40:43], 0 offset:1296 ; 4-byte Folded Reload
	buffer_load_dword v35, off, s[40:43], 0 offset:1300 ; 4-byte Folded Reload
	buffer_load_dword v36, off, s[40:43], 0 offset:1304 ; 4-byte Folded Reload
	buffer_load_dword v37, off, s[40:43], 0 offset:1308 ; 4-byte Folded Reload
	buffer_load_dword v38, off, s[40:43], 0 offset:1312 ; 4-byte Folded Reload
	buffer_load_dword v39, off, s[40:43], 0 offset:1316 ; 4-byte Folded Reload
	buffer_load_dword v40, off, s[40:43], 0 offset:1320 ; 4-byte Folded Reload
	buffer_load_dword v41, off, s[40:43], 0 offset:1324 ; 4-byte Folded Reload
	buffer_load_dword v42, off, s[40:43], 0 offset:1328 ; 4-byte Folded Reload
	buffer_load_dword v43, off, s[40:43], 0 offset:1332 ; 4-byte Folded Reload
	buffer_load_dword v44, off, s[40:43], 0 offset:1336 ; 4-byte Folded Reload
	buffer_load_dword v45, off, s[40:43], 0 offset:1340 ; 4-byte Folded Reload
	buffer_load_dword v46, off, s[40:43], 0 offset:1344 ; 4-byte Folded Reload
	buffer_load_dword v47, off, s[40:43], 0 offset:1348 ; 4-byte Folded Reload
	buffer_load_dword v48, off, s[40:43], 0 offset:1352 ; 4-byte Folded Reload
	buffer_load_dword v49, off, s[40:43], 0 offset:1356 ; 4-byte Folded Reload
	buffer_load_dword v50, off, s[40:43], 0 offset:1360 ; 4-byte Folded Reload
	buffer_load_dword v51, off, s[40:43], 0 offset:1364 ; 4-byte Folded Reload
	buffer_load_dword v52, off, s[40:43], 0 offset:1368 ; 4-byte Folded Reload
	buffer_load_dword v53, off, s[40:43], 0 offset:1372 ; 4-byte Folded Reload
	buffer_load_dword v54, off, s[40:43], 0 offset:1376 ; 4-byte Folded Reload
	buffer_load_dword v55, off, s[40:43], 0 offset:1380 ; 4-byte Folded Reload
	buffer_load_dword v56, off, s[40:43], 0 offset:1384 ; 4-byte Folded Reload
	buffer_load_dword v57, off, s[40:43], 0 offset:1388 ; 4-byte Folded Reload
	buffer_load_dword v58, off, s[40:43], 0 offset:1392 ; 4-byte Folded Reload
	buffer_load_dword v59, off, s[40:43], 0 offset:1396 ; 4-byte Folded Reload
	buffer_load_dword v60, off, s[40:43], 0 offset:1400 ; 4-byte Folded Reload
	buffer_load_dword v61, off, s[40:43], 0 offset:1404 ; 4-byte Folded Reload
	s_waitcnt vmcnt(26)
	v_pk_mov_b32 v[6:7], v[34:35], v[34:35] op_sel:[0,1]
	v_and_b32_e32 v5, 0x7fffffff, v6
	v_and_b32_e32 v6, 0x7fffffff, v7
	;;#ASMSTART
	v_max3_f32 v4, v4, v5, v6

	;;#ASMEND
	buffer_load_dword v30, off, s[40:43], 0 offset:1152 ; 4-byte Folded Reload
	buffer_load_dword v31, off, s[40:43], 0 offset:1156 ; 4-byte Folded Reload
	buffer_load_dword v32, off, s[40:43], 0 offset:1160 ; 4-byte Folded Reload
	buffer_load_dword v33, off, s[40:43], 0 offset:1164 ; 4-byte Folded Reload
	buffer_load_dword v34, off, s[40:43], 0 offset:1168 ; 4-byte Folded Reload
	buffer_load_dword v35, off, s[40:43], 0 offset:1172 ; 4-byte Folded Reload
	buffer_load_dword v36, off, s[40:43], 0 offset:1176 ; 4-byte Folded Reload
	buffer_load_dword v37, off, s[40:43], 0 offset:1180 ; 4-byte Folded Reload
	buffer_load_dword v38, off, s[40:43], 0 offset:1184 ; 4-byte Folded Reload
	buffer_load_dword v39, off, s[40:43], 0 offset:1188 ; 4-byte Folded Reload
	buffer_load_dword v40, off, s[40:43], 0 offset:1192 ; 4-byte Folded Reload
	buffer_load_dword v41, off, s[40:43], 0 offset:1196 ; 4-byte Folded Reload
	buffer_load_dword v42, off, s[40:43], 0 offset:1200 ; 4-byte Folded Reload
	buffer_load_dword v43, off, s[40:43], 0 offset:1204 ; 4-byte Folded Reload
	buffer_load_dword v44, off, s[40:43], 0 offset:1208 ; 4-byte Folded Reload
	buffer_load_dword v45, off, s[40:43], 0 offset:1212 ; 4-byte Folded Reload
	buffer_load_dword v46, off, s[40:43], 0 offset:1216 ; 4-byte Folded Reload
	buffer_load_dword v47, off, s[40:43], 0 offset:1220 ; 4-byte Folded Reload
	buffer_load_dword v48, off, s[40:43], 0 offset:1224 ; 4-byte Folded Reload
	buffer_load_dword v49, off, s[40:43], 0 offset:1228 ; 4-byte Folded Reload
	buffer_load_dword v50, off, s[40:43], 0 offset:1232 ; 4-byte Folded Reload
	buffer_load_dword v51, off, s[40:43], 0 offset:1236 ; 4-byte Folded Reload
	buffer_load_dword v52, off, s[40:43], 0 offset:1240 ; 4-byte Folded Reload
	buffer_load_dword v53, off, s[40:43], 0 offset:1244 ; 4-byte Folded Reload
	buffer_load_dword v54, off, s[40:43], 0 offset:1248 ; 4-byte Folded Reload
	buffer_load_dword v55, off, s[40:43], 0 offset:1252 ; 4-byte Folded Reload
	buffer_load_dword v56, off, s[40:43], 0 offset:1256 ; 4-byte Folded Reload
	buffer_load_dword v57, off, s[40:43], 0 offset:1260 ; 4-byte Folded Reload
	buffer_load_dword v58, off, s[40:43], 0 offset:1264 ; 4-byte Folded Reload
	buffer_load_dword v59, off, s[40:43], 0 offset:1268 ; 4-byte Folded Reload
	buffer_load_dword v60, off, s[40:43], 0 offset:1272 ; 4-byte Folded Reload
	buffer_load_dword v61, off, s[40:43], 0 offset:1276 ; 4-byte Folded Reload
	s_waitcnt vmcnt(24)
	v_pk_mov_b32 v[6:7], v[36:37], v[36:37] op_sel:[0,1]
	;; [unrolled: 40-line block ×9, first 2 shown]
	v_and_b32_e32 v5, 0x7fffffff, v20
	v_and_b32_e32 v6, 0x7fffffff, v21
	;;#ASMSTART
	v_max3_f32 v4, v4, v5, v6

	;;#ASMEND
	buffer_load_dword v30, off, s[40:43], 0 ; 4-byte Folded Reload
	buffer_load_dword v31, off, s[40:43], 0 offset:4 ; 4-byte Folded Reload
	buffer_load_dword v32, off, s[40:43], 0 offset:8 ; 4-byte Folded Reload
	buffer_load_dword v33, off, s[40:43], 0 offset:12 ; 4-byte Folded Reload
	buffer_load_dword v34, off, s[40:43], 0 offset:16 ; 4-byte Folded Reload
	buffer_load_dword v35, off, s[40:43], 0 offset:20 ; 4-byte Folded Reload
	buffer_load_dword v36, off, s[40:43], 0 offset:24 ; 4-byte Folded Reload
	buffer_load_dword v37, off, s[40:43], 0 offset:28 ; 4-byte Folded Reload
	buffer_load_dword v38, off, s[40:43], 0 offset:32 ; 4-byte Folded Reload
	buffer_load_dword v39, off, s[40:43], 0 offset:36 ; 4-byte Folded Reload
	buffer_load_dword v40, off, s[40:43], 0 offset:40 ; 4-byte Folded Reload
	buffer_load_dword v41, off, s[40:43], 0 offset:44 ; 4-byte Folded Reload
	buffer_load_dword v42, off, s[40:43], 0 offset:48 ; 4-byte Folded Reload
	buffer_load_dword v43, off, s[40:43], 0 offset:52 ; 4-byte Folded Reload
	buffer_load_dword v44, off, s[40:43], 0 offset:56 ; 4-byte Folded Reload
	buffer_load_dword v45, off, s[40:43], 0 offset:60 ; 4-byte Folded Reload
	buffer_load_dword v46, off, s[40:43], 0 offset:64 ; 4-byte Folded Reload
	buffer_load_dword v47, off, s[40:43], 0 offset:68 ; 4-byte Folded Reload
	buffer_load_dword v48, off, s[40:43], 0 offset:72 ; 4-byte Folded Reload
	buffer_load_dword v49, off, s[40:43], 0 offset:76 ; 4-byte Folded Reload
	buffer_load_dword v50, off, s[40:43], 0 offset:80 ; 4-byte Folded Reload
	buffer_load_dword v51, off, s[40:43], 0 offset:84 ; 4-byte Folded Reload
	buffer_load_dword v52, off, s[40:43], 0 offset:88 ; 4-byte Folded Reload
	buffer_load_dword v53, off, s[40:43], 0 offset:92 ; 4-byte Folded Reload
	buffer_load_dword v54, off, s[40:43], 0 offset:96 ; 4-byte Folded Reload
	buffer_load_dword v55, off, s[40:43], 0 offset:100 ; 4-byte Folded Reload
	buffer_load_dword v56, off, s[40:43], 0 offset:104 ; 4-byte Folded Reload
	buffer_load_dword v57, off, s[40:43], 0 offset:108 ; 4-byte Folded Reload
	buffer_load_dword v58, off, s[40:43], 0 offset:112 ; 4-byte Folded Reload
	buffer_load_dword v59, off, s[40:43], 0 offset:116 ; 4-byte Folded Reload
	buffer_load_dword v60, off, s[40:43], 0 offset:120 ; 4-byte Folded Reload
	buffer_load_dword v61, off, s[40:43], 0 offset:124 ; 4-byte Folded Reload
	s_waitcnt vmcnt(8)
	v_pk_mov_b32 v[22:23], v[52:53], v[52:53] op_sel:[0,1]
	v_and_b32_e32 v5, 0x7fffffff, v22
	v_and_b32_e32 v6, 0x7fffffff, v23
	;;#ASMSTART
	v_max3_f32 v4, v4, v5, v6

	;;#ASMEND
	buffer_load_dword v30, off, s[40:43], 0 offset:384 ; 4-byte Folded Reload
	buffer_load_dword v31, off, s[40:43], 0 offset:388 ; 4-byte Folded Reload
	;; [unrolled: 1-line block ×32, first 2 shown]
	s_waitcnt vmcnt(6)
	v_pk_mov_b32 v[24:25], v[54:55], v[54:55] op_sel:[0,1]
	v_and_b32_e32 v5, 0x7fffffff, v24
	v_and_b32_e32 v6, 0x7fffffff, v25
	;;#ASMSTART
	v_max3_f32 v4, v4, v5, v6

	;;#ASMEND
	buffer_load_dword v30, off, s[40:43], 0 offset:256 ; 4-byte Folded Reload
	buffer_load_dword v31, off, s[40:43], 0 offset:260 ; 4-byte Folded Reload
	;; [unrolled: 1-line block ×32, first 2 shown]
	s_waitcnt vmcnt(4)
	v_pk_mov_b32 v[26:27], v[56:57], v[56:57] op_sel:[0,1]
	v_and_b32_e32 v5, 0x7fffffff, v26
	v_and_b32_e32 v6, 0x7fffffff, v27
	;;#ASMSTART
	v_max3_f32 v4, v4, v5, v6

	;;#ASMEND
	v_and_b32_e32 v5, 0x7fffffff, v28
	v_and_b32_e32 v6, 0x7fffffff, v29
	;;#ASMSTART
	v_max3_f32 v4, v4, v5, v6

	;;#ASMEND
	;; [unrolled: 6-line block ×3, first 2 shown]
.LBB81_26:
	s_or_b64 exec, exec, s[8:9]
	s_nop 0
	v_mov_b32_dpp v5, v4 quad_perm:[1,0,3,2] row_mask:0xf bank_mask:0xf
	v_cmp_gt_f32_e32 vcc, v4, v5
	v_cndmask_b32_e32 v4, v5, v4, vcc
	s_nop 1
	v_mov_b32_dpp v5, v4 quad_perm:[2,3,0,1] row_mask:0xf bank_mask:0xf
	v_cmp_gt_f32_e32 vcc, v4, v5
	v_cndmask_b32_e32 v4, v5, v4, vcc
	s_nop 1
	v_mov_b32_dpp v5, v4 row_half_mirror row_mask:0xf bank_mask:0xf
	v_cmp_gt_f32_e32 vcc, v4, v5
	v_cndmask_b32_e32 v4, v5, v4, vcc
	s_nop 1
	v_mov_b32_dpp v5, v4 row_mirror row_mask:0xf bank_mask:0xf
	v_cmp_gt_f32_e32 vcc, v4, v5
	v_cndmask_b32_e32 v4, v5, v4, vcc
	s_nop 1
	v_mov_b32_dpp v5, v4 row_bcast:15 row_mask:0xf bank_mask:0xf
	v_cmp_gt_f32_e32 vcc, v4, v5
	v_cndmask_b32_e32 v4, v5, v4, vcc
	s_nop 1
	v_mov_b32_dpp v5, v4 row_bcast:31 row_mask:0xf bank_mask:0xf
	s_and_saveexec_b64 s[8:9], s[2:3]
	s_cbranch_execz .LBB81_28
; %bb.27:
	v_cmp_gt_f32_e32 vcc, v4, v5
	v_cndmask_b32_e32 v4, v5, v4, vcc
	v_lshrrev_b32_e32 v5, 4, v0
	v_and_b32_e32 v5, 60, v5
	ds_write_b32 v5, v4
.LBB81_28:
	s_or_b64 exec, exec, s[8:9]
	s_waitcnt lgkmcnt(0)
	s_barrier
	ds_read_b32 v4, v68
	s_waitcnt lgkmcnt(0)
	s_nop 0
	v_mov_b32_dpp v5, v4 quad_perm:[1,0,3,2] row_mask:0xf bank_mask:0xf
	v_cmp_gt_f32_e32 vcc, v4, v5
	v_cndmask_b32_e32 v4, v5, v4, vcc
	s_nop 1
	v_mov_b32_dpp v5, v4 quad_perm:[2,3,0,1] row_mask:0xf bank_mask:0xf
	v_cmp_gt_f32_e32 vcc, v4, v5
	v_cndmask_b32_e32 v4, v5, v4, vcc
	v_mul_f32_e32 v4, 0x3b124925, v4
	v_cmp_eq_u32_e32 vcc, 0, v0
	s_and_saveexec_b64 s[8:9], vcc
	s_cbranch_execz .LBB81_30
; %bb.29:
	s_load_dwordx2 s[22:23], s[4:5], 0x8
	s_mul_hi_i32 s29, s11, s6
	s_mul_i32 s28, s11, s6
	s_lshl_b64 s[28:29], s[28:29], 2
	v_mov_b32_e32 v5, 0
	s_waitcnt lgkmcnt(0)
	s_add_u32 s22, s22, s28
	s_addc_u32 s23, s23, s29
	global_store_dword v5, v4, s[22:23]
.LBB81_30:
	s_or_b64 exec, exec, s[8:9]
	;;#ASMSTART
	v_rcp_f32 v4, v4
	;;#ASMEND
	s_and_saveexec_b64 s[22:23], s[0:1]
	s_cbranch_execz .LBB81_32
; %bb.31:
	v_mov_b32_e32 v5, v4
	;;#ASMSTART
	v_pk_mul_f32 v[2:3], v[2:3], v[4:5]
	;;#ASMEND
	v_mov_b32_e32 v8, 0xc3e00000
	v_mov_b32_e32 v9, 0x43e00000
	;;#ASMSTART
	v_med3_f32 v2, v2, v8, v9
v_med3_f32 v3, v3, v8, v9
v_cvt_pk_fp8_f32 v6, v2, v3
	;;#ASMEND
	;;#ASMSTART
	v_pk_mul_f32 v[2:3], v[74:75], v[4:5]
	;;#ASMEND
	;;#ASMSTART
	v_med3_f32 v2, v2, v8, v9
v_med3_f32 v3, v3, v8, v9
v_cvt_pk_fp8_f32 v7, v2, v3
	;;#ASMEND
	buffer_load_dword v30, off, s[40:43], 0 offset:1280 ; 4-byte Folded Reload
	buffer_load_dword v31, off, s[40:43], 0 offset:1284 ; 4-byte Folded Reload
	;; [unrolled: 1-line block ×32, first 2 shown]
	s_load_dwordx2 s[0:1], s[4:5], 0x0
	s_mul_i32 s8, s10, s6
	s_mov_b32 s7, 0x5040100
	s_mul_hi_i32 s9, s10, s6
	s_movk_i32 s12, 0xff
	s_waitcnt lgkmcnt(0)
	s_add_u32 s8, s0, s8
	s_addc_u32 s0, s1, s9
	s_add_i32 s1, s15, 3
	s_ashr_i32 s9, s1, 31
	s_mov_b32 s14, 0xffff
	s_lshr_b32 s9, s9, 30
	s_add_i32 s1, s1, s9
	s_and_b32 s10, s1, -4
	s_and_b32 s9, s0, 0xffff
	s_mov_b32 s11, 0x20000
	s_movk_i32 s0, 0x200
	s_waitcnt vmcnt(26)
	;;#ASMSTART
	v_pk_mul_f32 v[2:3], v[34:35], v[4:5]
	;;#ASMEND
	;;#ASMSTART
	v_med3_f32 v2, v2, v8, v9
v_med3_f32 v3, v3, v8, v9
v_cvt_pk_fp8_f32 v10, v2, v3
	;;#ASMEND
	buffer_load_dword v30, off, s[40:43], 0 offset:1152 ; 4-byte Folded Reload
	buffer_load_dword v31, off, s[40:43], 0 offset:1156 ; 4-byte Folded Reload
	;; [unrolled: 1-line block ×32, first 2 shown]
	s_waitcnt vmcnt(24)
	;;#ASMSTART
	v_pk_mul_f32 v[2:3], v[36:37], v[4:5]
	;;#ASMEND
	;;#ASMSTART
	v_med3_f32 v2, v2, v8, v9
v_med3_f32 v3, v3, v8, v9
v_cvt_pk_fp8_f32 v11, v2, v3
	;;#ASMEND
	buffer_load_dword v12, off, s[40:43], 0 offset:1536 ; 4-byte Folded Reload
	v_perm_b32 v2, v7, v6, s7
	v_and_b32_e32 v3, 0xffffff00, v7
	v_and_b32_sdwa v6, v2, s12 dst_sel:DWORD dst_unused:UNUSED_PAD src0_sel:WORD_1 src1_sel:DWORD
	v_or_b32_sdwa v3, v6, v3 dst_sel:WORD_1 dst_unused:UNUSED_PAD src0_sel:DWORD src1_sel:DWORD
	v_and_or_b32 v2, v2, s14, v3
	v_lshlrev_b32_e32 v3, 16, v11
	v_and_or_b32 v3, v10, s14, v3
	s_waitcnt vmcnt(0)
	buffer_store_dwordx2 v[2:3], v12, s[8:11], 0 offen
	;;#ASMSTART
	s_nop 0
	;;#ASMEND
	buffer_load_dword v30, off, s[40:43], 0 offset:1408 ; 4-byte Folded Reload
	buffer_load_dword v31, off, s[40:43], 0 offset:1412 ; 4-byte Folded Reload
	buffer_load_dword v32, off, s[40:43], 0 offset:1416 ; 4-byte Folded Reload
	buffer_load_dword v33, off, s[40:43], 0 offset:1420 ; 4-byte Folded Reload
	buffer_load_dword v34, off, s[40:43], 0 offset:1424 ; 4-byte Folded Reload
	buffer_load_dword v35, off, s[40:43], 0 offset:1428 ; 4-byte Folded Reload
	buffer_load_dword v36, off, s[40:43], 0 offset:1432 ; 4-byte Folded Reload
	buffer_load_dword v37, off, s[40:43], 0 offset:1436 ; 4-byte Folded Reload
	buffer_load_dword v38, off, s[40:43], 0 offset:1440 ; 4-byte Folded Reload
	buffer_load_dword v39, off, s[40:43], 0 offset:1444 ; 4-byte Folded Reload
	buffer_load_dword v40, off, s[40:43], 0 offset:1448 ; 4-byte Folded Reload
	buffer_load_dword v41, off, s[40:43], 0 offset:1452 ; 4-byte Folded Reload
	buffer_load_dword v42, off, s[40:43], 0 offset:1456 ; 4-byte Folded Reload
	buffer_load_dword v43, off, s[40:43], 0 offset:1460 ; 4-byte Folded Reload
	buffer_load_dword v44, off, s[40:43], 0 offset:1464 ; 4-byte Folded Reload
	buffer_load_dword v45, off, s[40:43], 0 offset:1468 ; 4-byte Folded Reload
	buffer_load_dword v46, off, s[40:43], 0 offset:1472 ; 4-byte Folded Reload
	buffer_load_dword v47, off, s[40:43], 0 offset:1476 ; 4-byte Folded Reload
	buffer_load_dword v48, off, s[40:43], 0 offset:1480 ; 4-byte Folded Reload
	buffer_load_dword v49, off, s[40:43], 0 offset:1484 ; 4-byte Folded Reload
	buffer_load_dword v50, off, s[40:43], 0 offset:1488 ; 4-byte Folded Reload
	buffer_load_dword v51, off, s[40:43], 0 offset:1492 ; 4-byte Folded Reload
	buffer_load_dword v52, off, s[40:43], 0 offset:1496 ; 4-byte Folded Reload
	buffer_load_dword v53, off, s[40:43], 0 offset:1500 ; 4-byte Folded Reload
	buffer_load_dword v54, off, s[40:43], 0 offset:1504 ; 4-byte Folded Reload
	buffer_load_dword v55, off, s[40:43], 0 offset:1508 ; 4-byte Folded Reload
	buffer_load_dword v56, off, s[40:43], 0 offset:1512 ; 4-byte Folded Reload
	buffer_load_dword v57, off, s[40:43], 0 offset:1516 ; 4-byte Folded Reload
	buffer_load_dword v58, off, s[40:43], 0 offset:1520 ; 4-byte Folded Reload
	buffer_load_dword v59, off, s[40:43], 0 offset:1524 ; 4-byte Folded Reload
	buffer_load_dword v60, off, s[40:43], 0 offset:1528 ; 4-byte Folded Reload
	buffer_load_dword v61, off, s[40:43], 0 offset:1532 ; 4-byte Folded Reload
	s_waitcnt vmcnt(22)
	;;#ASMSTART
	v_pk_mul_f32 v[2:3], v[38:39], v[4:5]
	;;#ASMEND
	;;#ASMSTART
	v_med3_f32 v2, v2, v8, v9
v_med3_f32 v3, v3, v8, v9
v_cvt_pk_fp8_f32 v6, v2, v3
	;;#ASMEND
	buffer_load_dword v30, off, s[40:43], 0 offset:1024 ; 4-byte Folded Reload
	buffer_load_dword v31, off, s[40:43], 0 offset:1028 ; 4-byte Folded Reload
	buffer_load_dword v32, off, s[40:43], 0 offset:1032 ; 4-byte Folded Reload
	buffer_load_dword v33, off, s[40:43], 0 offset:1036 ; 4-byte Folded Reload
	buffer_load_dword v34, off, s[40:43], 0 offset:1040 ; 4-byte Folded Reload
	buffer_load_dword v35, off, s[40:43], 0 offset:1044 ; 4-byte Folded Reload
	buffer_load_dword v36, off, s[40:43], 0 offset:1048 ; 4-byte Folded Reload
	buffer_load_dword v37, off, s[40:43], 0 offset:1052 ; 4-byte Folded Reload
	buffer_load_dword v38, off, s[40:43], 0 offset:1056 ; 4-byte Folded Reload
	buffer_load_dword v39, off, s[40:43], 0 offset:1060 ; 4-byte Folded Reload
	buffer_load_dword v40, off, s[40:43], 0 offset:1064 ; 4-byte Folded Reload
	buffer_load_dword v41, off, s[40:43], 0 offset:1068 ; 4-byte Folded Reload
	buffer_load_dword v42, off, s[40:43], 0 offset:1072 ; 4-byte Folded Reload
	buffer_load_dword v43, off, s[40:43], 0 offset:1076 ; 4-byte Folded Reload
	buffer_load_dword v44, off, s[40:43], 0 offset:1080 ; 4-byte Folded Reload
	buffer_load_dword v45, off, s[40:43], 0 offset:1084 ; 4-byte Folded Reload
	buffer_load_dword v46, off, s[40:43], 0 offset:1088 ; 4-byte Folded Reload
	buffer_load_dword v47, off, s[40:43], 0 offset:1092 ; 4-byte Folded Reload
	buffer_load_dword v48, off, s[40:43], 0 offset:1096 ; 4-byte Folded Reload
	buffer_load_dword v49, off, s[40:43], 0 offset:1100 ; 4-byte Folded Reload
	buffer_load_dword v50, off, s[40:43], 0 offset:1104 ; 4-byte Folded Reload
	buffer_load_dword v51, off, s[40:43], 0 offset:1108 ; 4-byte Folded Reload
	buffer_load_dword v52, off, s[40:43], 0 offset:1112 ; 4-byte Folded Reload
	buffer_load_dword v53, off, s[40:43], 0 offset:1116 ; 4-byte Folded Reload
	buffer_load_dword v54, off, s[40:43], 0 offset:1120 ; 4-byte Folded Reload
	buffer_load_dword v55, off, s[40:43], 0 offset:1124 ; 4-byte Folded Reload
	buffer_load_dword v56, off, s[40:43], 0 offset:1128 ; 4-byte Folded Reload
	buffer_load_dword v57, off, s[40:43], 0 offset:1132 ; 4-byte Folded Reload
	buffer_load_dword v58, off, s[40:43], 0 offset:1136 ; 4-byte Folded Reload
	buffer_load_dword v59, off, s[40:43], 0 offset:1140 ; 4-byte Folded Reload
	buffer_load_dword v60, off, s[40:43], 0 offset:1144 ; 4-byte Folded Reload
	buffer_load_dword v61, off, s[40:43], 0 offset:1148 ; 4-byte Folded Reload
	s_waitcnt vmcnt(20)
	;;#ASMSTART
	v_pk_mul_f32 v[2:3], v[40:41], v[4:5]
	;;#ASMEND
	;;#ASMSTART
	v_med3_f32 v2, v2, v8, v9
v_med3_f32 v3, v3, v8, v9
v_cvt_pk_fp8_f32 v7, v2, v3
	;; [unrolled: 41-line block ×4, first 2 shown]
	;;#ASMEND
	v_perm_b32 v2, v7, v6, s7
	v_and_b32_e32 v3, 0xffffff00, v7
	v_and_b32_sdwa v6, v2, s12 dst_sel:DWORD dst_unused:UNUSED_PAD src0_sel:WORD_1 src1_sel:DWORD
	v_or_b32_sdwa v3, v6, v3 dst_sel:WORD_1 dst_unused:UNUSED_PAD src0_sel:DWORD src1_sel:DWORD
	v_and_or_b32 v2, v2, s14, v3
	v_lshlrev_b32_e32 v3, 16, v11
	v_and_or_b32 v3, v10, s14, v3
	buffer_store_dwordx2 v[2:3], v12, s[8:11], s0 offen
	;;#ASMSTART
	s_nop 0
	;;#ASMEND
	buffer_load_dword v30, off, s[40:43], 0 offset:896 ; 4-byte Folded Reload
	buffer_load_dword v31, off, s[40:43], 0 offset:900 ; 4-byte Folded Reload
	;; [unrolled: 1-line block ×32, first 2 shown]
	s_movk_i32 s0, 0x400
	s_waitcnt vmcnt(14)
	;;#ASMSTART
	v_pk_mul_f32 v[2:3], v[46:47], v[4:5]
	;;#ASMEND
	;;#ASMSTART
	v_med3_f32 v2, v2, v8, v9
v_med3_f32 v3, v3, v8, v9
v_cvt_pk_fp8_f32 v6, v2, v3
	;;#ASMEND
	buffer_load_dword v30, off, s[40:43], 0 offset:768 ; 4-byte Folded Reload
	buffer_load_dword v31, off, s[40:43], 0 offset:772 ; 4-byte Folded Reload
	;; [unrolled: 1-line block ×32, first 2 shown]
	s_waitcnt vmcnt(12)
	;;#ASMSTART
	v_pk_mul_f32 v[2:3], v[48:49], v[4:5]
	;;#ASMEND
	;;#ASMSTART
	v_med3_f32 v2, v2, v8, v9
v_med3_f32 v3, v3, v8, v9
v_cvt_pk_fp8_f32 v7, v2, v3
	;;#ASMEND
	buffer_load_dword v30, off, s[40:43], 0 offset:128 ; 4-byte Folded Reload
	buffer_load_dword v31, off, s[40:43], 0 offset:132 ; 4-byte Folded Reload
	buffer_load_dword v32, off, s[40:43], 0 offset:136 ; 4-byte Folded Reload
	buffer_load_dword v33, off, s[40:43], 0 offset:140 ; 4-byte Folded Reload
	buffer_load_dword v34, off, s[40:43], 0 offset:144 ; 4-byte Folded Reload
	buffer_load_dword v35, off, s[40:43], 0 offset:148 ; 4-byte Folded Reload
	buffer_load_dword v36, off, s[40:43], 0 offset:152 ; 4-byte Folded Reload
	buffer_load_dword v37, off, s[40:43], 0 offset:156 ; 4-byte Folded Reload
	buffer_load_dword v38, off, s[40:43], 0 offset:160 ; 4-byte Folded Reload
	buffer_load_dword v39, off, s[40:43], 0 offset:164 ; 4-byte Folded Reload
	buffer_load_dword v40, off, s[40:43], 0 offset:168 ; 4-byte Folded Reload
	buffer_load_dword v41, off, s[40:43], 0 offset:172 ; 4-byte Folded Reload
	buffer_load_dword v42, off, s[40:43], 0 offset:176 ; 4-byte Folded Reload
	buffer_load_dword v43, off, s[40:43], 0 offset:180 ; 4-byte Folded Reload
	buffer_load_dword v44, off, s[40:43], 0 offset:184 ; 4-byte Folded Reload
	buffer_load_dword v45, off, s[40:43], 0 offset:188 ; 4-byte Folded Reload
	buffer_load_dword v46, off, s[40:43], 0 offset:192 ; 4-byte Folded Reload
	buffer_load_dword v47, off, s[40:43], 0 offset:196 ; 4-byte Folded Reload
	buffer_load_dword v48, off, s[40:43], 0 offset:200 ; 4-byte Folded Reload
	buffer_load_dword v49, off, s[40:43], 0 offset:204 ; 4-byte Folded Reload
	buffer_load_dword v50, off, s[40:43], 0 offset:208 ; 4-byte Folded Reload
	buffer_load_dword v51, off, s[40:43], 0 offset:212 ; 4-byte Folded Reload
	buffer_load_dword v52, off, s[40:43], 0 offset:216 ; 4-byte Folded Reload
	buffer_load_dword v53, off, s[40:43], 0 offset:220 ; 4-byte Folded Reload
	buffer_load_dword v54, off, s[40:43], 0 offset:224 ; 4-byte Folded Reload
	buffer_load_dword v55, off, s[40:43], 0 offset:228 ; 4-byte Folded Reload
	buffer_load_dword v56, off, s[40:43], 0 offset:232 ; 4-byte Folded Reload
	buffer_load_dword v57, off, s[40:43], 0 offset:236 ; 4-byte Folded Reload
	buffer_load_dword v58, off, s[40:43], 0 offset:240 ; 4-byte Folded Reload
	buffer_load_dword v59, off, s[40:43], 0 offset:244 ; 4-byte Folded Reload
	buffer_load_dword v60, off, s[40:43], 0 offset:248 ; 4-byte Folded Reload
	buffer_load_dword v61, off, s[40:43], 0 offset:252 ; 4-byte Folded Reload
	s_waitcnt vmcnt(10)
	;;#ASMSTART
	v_pk_mul_f32 v[2:3], v[50:51], v[4:5]
	;;#ASMEND
	;;#ASMSTART
	v_med3_f32 v2, v2, v8, v9
v_med3_f32 v3, v3, v8, v9
v_cvt_pk_fp8_f32 v10, v2, v3
	;;#ASMEND
	buffer_load_dword v30, off, s[40:43], 0 ; 4-byte Folded Reload
	buffer_load_dword v31, off, s[40:43], 0 offset:4 ; 4-byte Folded Reload
	buffer_load_dword v32, off, s[40:43], 0 offset:8 ; 4-byte Folded Reload
	;; [unrolled: 1-line block ×31, first 2 shown]
	s_waitcnt vmcnt(8)
	;;#ASMSTART
	v_pk_mul_f32 v[2:3], v[52:53], v[4:5]
	;;#ASMEND
	;;#ASMSTART
	v_med3_f32 v2, v2, v8, v9
v_med3_f32 v3, v3, v8, v9
v_cvt_pk_fp8_f32 v11, v2, v3
	;;#ASMEND
	v_perm_b32 v2, v7, v6, s7
	v_and_b32_e32 v3, 0xffffff00, v7
	v_and_b32_sdwa v6, v2, s12 dst_sel:DWORD dst_unused:UNUSED_PAD src0_sel:WORD_1 src1_sel:DWORD
	v_or_b32_sdwa v3, v6, v3 dst_sel:WORD_1 dst_unused:UNUSED_PAD src0_sel:DWORD src1_sel:DWORD
	v_and_or_b32 v2, v2, s14, v3
	v_lshlrev_b32_e32 v3, 16, v11
	v_and_or_b32 v3, v10, s14, v3
	buffer_store_dwordx2 v[2:3], v12, s[8:11], s0 offen
	;;#ASMSTART
	s_nop 0
	;;#ASMEND
	buffer_load_dword v30, off, s[40:43], 0 offset:384 ; 4-byte Folded Reload
	buffer_load_dword v31, off, s[40:43], 0 offset:388 ; 4-byte Folded Reload
	;; [unrolled: 1-line block ×32, first 2 shown]
	s_movk_i32 s0, 0x600
	s_waitcnt vmcnt(6)
	;;#ASMSTART
	v_pk_mul_f32 v[2:3], v[54:55], v[4:5]
	;;#ASMEND
	;;#ASMSTART
	v_med3_f32 v2, v2, v8, v9
v_med3_f32 v3, v3, v8, v9
v_cvt_pk_fp8_f32 v6, v2, v3
	;;#ASMEND
	buffer_load_dword v30, off, s[40:43], 0 offset:256 ; 4-byte Folded Reload
	buffer_load_dword v31, off, s[40:43], 0 offset:260 ; 4-byte Folded Reload
	;; [unrolled: 1-line block ×32, first 2 shown]
	s_waitcnt vmcnt(4)
	;;#ASMSTART
	v_pk_mul_f32 v[2:3], v[56:57], v[4:5]
	;;#ASMEND
	;;#ASMSTART
	v_med3_f32 v2, v2, v8, v9
v_med3_f32 v3, v3, v8, v9
v_cvt_pk_fp8_f32 v7, v2, v3
	;;#ASMEND
	v_perm_b32 v3, v7, v6, s7
	v_and_b32_e32 v2, 0xffffff00, v7
	v_and_b32_sdwa v6, v3, s12 dst_sel:DWORD dst_unused:UNUSED_PAD src0_sel:WORD_1 src1_sel:DWORD
	v_or_b32_sdwa v2, v6, v2 dst_sel:WORD_1 dst_unused:UNUSED_PAD src0_sel:DWORD src1_sel:DWORD
	v_and_or_b32 v2, v3, s14, v2
	;;#ASMSTART
	v_pk_mul_f32 v[6:7], v[28:29], v[4:5]
	;;#ASMEND
	v_mov_b32_e32 v3, v7
	;;#ASMSTART
	v_med3_f32 v6, v6, v8, v9
v_med3_f32 v3, v3, v8, v9
v_cvt_pk_fp8_f32 v7, v6, v3
	;;#ASMEND
	;;#ASMSTART
	v_pk_mul_f32 v[4:5], v[76:77], v[4:5]
	;;#ASMEND
	v_mov_b32_e32 v1, v5
	;;#ASMSTART
	v_med3_f32 v4, v4, v8, v9
v_med3_f32 v1, v1, v8, v9
v_cvt_pk_fp8_f32 v3, v4, v1
	;;#ASMEND
	v_lshlrev_b32_e32 v1, 16, v3
	v_and_or_b32 v3, v7, s14, v1
	buffer_store_dwordx2 v[2:3], v12, s[8:11], s0 offen
	;;#ASMSTART
	s_nop 0
	;;#ASMEND
.LBB81_32:
	s_or_b64 exec, exec, s[22:23]
	s_cmp_lt_i32 s16, 1
	s_cbranch_scc1 .LBB81_17
.LBB81_33:
	s_load_dword s0, s[4:5], 0x94
	s_waitcnt lgkmcnt(0)
	s_cmp_lg_u32 s0, 1
	s_cbranch_scc1 .LBB81_17
; %bb.34:
	s_waitcnt vmcnt(63) expcnt(7) lgkmcnt(15)
	s_barrier
	buffer_load_dword v1, off, s[40:43], 0 offset:1536 ; 4-byte Folded Reload
	s_lshl_b32 s0, s16, 1
	s_add_i32 s0, s0, 2
	s_and_b32 s22, s0, -4
	v_mov_b32_e32 v66, 0
	v_mov_b32_e32 v30, 0
	;; [unrolled: 1-line block ×33, first 2 shown]
	s_waitcnt vmcnt(0)
	v_cmp_gt_u32_e32 vcc, s16, v1
	v_lshlrev_b32_e32 v65, 1, v1
	s_and_saveexec_b64 s[0:1], vcc
	s_cbranch_execz .LBB81_36
; %bb.35:
	s_mul_hi_i32 s5, s18, s6
	s_mul_i32 s4, s18, s6
	s_and_b32 s21, s21, 0xffff
	s_lshl_b64 s[4:5], s[4:5], 1
	s_add_u32 s8, s34, s4
	s_mov_b32 s23, 0x20000
	s_addc_u32 s4, s35, s5
	s_and_b32 s9, s4, 0xffff
	s_mov_b32 s10, s22
	s_mov_b32 s11, s23
	s_movk_i32 s5, 0x800
	s_movk_i32 s4, 0x400
	buffer_load_dwordx4 v[30:33], v65, s[8:11], 0 offen glc slc
	buffer_load_dwordx4 v[22:25], v65, s[8:11], s4 offen glc slc
	s_movk_i32 s7, 0xc00
	buffer_load_dwordx4 v[26:29], v65, s[8:11], s5 offen glc slc
	buffer_load_dwordx4 v[18:21], v65, s[8:11], s7 offen glc slc
	buffer_load_dwordx4 v[14:17], v65, s[20:23], 0 offen
	buffer_load_dwordx4 v[10:13], v65, s[20:23], s4 offen
	;; [unrolled: 1-line block ×4, first 2 shown]
.LBB81_36:
	s_or_b64 exec, exec, s[0:1]
	v_mov_b32_e32 v67, 0
	v_mov_b32_e32 v62, 0
	;; [unrolled: 1-line block ×31, first 2 shown]
	s_and_saveexec_b64 s[0:1], vcc
	s_cbranch_execz .LBB81_38
; %bb.37:
	s_waitcnt vmcnt(7)
	v_cvt_f32_f16_sdwa v67, v30 dst_sel:DWORD dst_unused:UNUSED_PAD src0_sel:WORD_1
	v_cvt_f32_f16_e32 v66, v30
	v_cvt_f32_f16_sdwa v63, v31 dst_sel:DWORD dst_unused:UNUSED_PAD src0_sel:WORD_1
	v_cvt_f32_f16_e32 v62, v31
	v_cvt_f32_f16_sdwa v61, v32 dst_sel:DWORD dst_unused:UNUSED_PAD src0_sel:WORD_1
	v_cvt_f32_f16_e32 v60, v32
	v_cvt_f32_f16_sdwa v59, v33 dst_sel:DWORD dst_unused:UNUSED_PAD src0_sel:WORD_1
	v_cvt_f32_f16_e32 v58, v33
	s_waitcnt vmcnt(6)
	v_cvt_f32_f16_sdwa v57, v22 dst_sel:DWORD dst_unused:UNUSED_PAD src0_sel:WORD_1
	v_cvt_f32_f16_e32 v56, v22
	v_cvt_f32_f16_sdwa v55, v23 dst_sel:DWORD dst_unused:UNUSED_PAD src0_sel:WORD_1
	v_cvt_f32_f16_e32 v54, v23
	v_cvt_f32_f16_sdwa v53, v24 dst_sel:DWORD dst_unused:UNUSED_PAD src0_sel:WORD_1
	v_cvt_f32_f16_e32 v52, v24
	v_cvt_f32_f16_sdwa v51, v25 dst_sel:DWORD dst_unused:UNUSED_PAD src0_sel:WORD_1
	v_cvt_f32_f16_e32 v50, v25
	;; [unrolled: 9-line block ×4, first 2 shown]
.LBB81_38:
	s_or_b64 exec, exec, s[0:1]
	s_waitcnt vmcnt(4)
	v_mul_f32_e32 v18, v67, v67
	v_fmac_f32_e32 v18, v66, v66
	v_fmac_f32_e32 v18, v62, v62
	;; [unrolled: 1-line block ×31, first 2 shown]
	s_nop 1
	v_mov_b32_dpp v19, v18 quad_perm:[1,0,3,2] row_mask:0xf bank_mask:0xf
	v_add_f32_e32 v18, v18, v19
	s_nop 1
	v_mov_b32_dpp v19, v18 quad_perm:[2,3,0,1] row_mask:0xf bank_mask:0xf
	v_add_f32_e32 v18, v18, v19
	s_nop 1
	v_mov_b32_dpp v19, v18 row_half_mirror row_mask:0xf bank_mask:0xf
	v_add_f32_e32 v18, v18, v19
	s_nop 1
	v_mov_b32_dpp v19, v18 row_mirror row_mask:0xf bank_mask:0xf
	v_add_f32_e32 v18, v18, v19
	s_nop 1
	v_mov_b32_dpp v19, v18 row_bcast:15 row_mask:0xf bank_mask:0xf
	v_add_f32_e32 v18, v18, v19
	s_nop 1
	v_mov_b32_dpp v19, v18 row_bcast:31 row_mask:0xf bank_mask:0xf
	s_and_saveexec_b64 s[0:1], s[2:3]
	s_cbranch_execz .LBB81_40
; %bb.39:
	v_add_f32_e32 v18, v18, v19
	v_lshrrev_b32_e32 v19, 4, v0
	v_and_b32_e32 v19, 60, v19
	ds_write_b32 v19, v18 offset:16
.LBB81_40:
	s_or_b64 exec, exec, s[0:1]
	s_waitcnt lgkmcnt(0)
	s_barrier
	ds_read_b32 v18, v68 offset:16
	s_waitcnt lgkmcnt(0)
	s_nop 0
	v_mov_b32_dpp v19, v18 quad_perm:[1,0,3,2] row_mask:0xf bank_mask:0xf
	v_add_f32_e32 v18, v18, v19
	s_nop 1
	v_mov_b32_dpp v19, v18 quad_perm:[2,3,0,1] row_mask:0xf bank_mask:0xf
	s_and_saveexec_b64 s[0:1], vcc
	s_cbranch_execz .LBB81_17
; %bb.41:
	v_cvt_f32_u32_e32 v20, s16
	v_add_f32_e32 v18, v18, v19
	s_mov_b32 s23, 0x20000
	v_div_scale_f32 v19, s[0:1], v20, v20, v18
	v_rcp_f32_e32 v21, v19
	v_div_scale_f32 v22, vcc, v18, v20, v18
	s_mov_b32 s0, 0x800000
	v_fma_f32 v23, -v19, v21, 1.0
	v_fmac_f32_e32 v21, v23, v21
	v_mul_f32_e32 v23, v22, v21
	v_fma_f32 v24, -v19, v23, v22
	v_fmac_f32_e32 v23, v24, v21
	v_fma_f32 v19, -v19, v23, v22
	v_div_fmas_f32 v19, v19, v21, v23
	v_div_fixup_f32 v18, v19, v20, v18
	v_add_f32_e32 v18, s13, v18
	v_mul_f32_e32 v19, 0x4b800000, v18
	v_cmp_gt_f32_e32 vcc, s0, v18
	v_cndmask_b32_e32 v18, v18, v19, vcc
	v_rsq_f32_e32 v18, v18
	s_mul_hi_i32 s1, s25, s6
	s_mul_i32 s0, s25, s6
	s_lshl_b64 s[0:1], s[0:1], 1
	v_mul_f32_e32 v19, 0x45800000, v18
	v_cndmask_b32_e32 v22, v18, v19, vcc
	v_mov_b32_e32 v23, v22
	;;#ASMSTART
	v_pk_mul_f32 v[0:1], v[66:67], v[22:23]
	;;#ASMEND
	;;#ASMSTART
	v_pk_mul_f32 v[24:25], v[62:63], v[22:23]
	;;#ASMEND
	;; [unrolled: 3-line block ×15, first 2 shown]
	s_waitcnt vmcnt(3)
	v_cvt_f32_f16_sdwa v37, v14 dst_sel:DWORD dst_unused:UNUSED_PAD src0_sel:WORD_1
	v_cvt_f32_f16_e32 v36, v14
	v_cvt_f32_f16_sdwa v39, v15 dst_sel:DWORD dst_unused:UNUSED_PAD src0_sel:WORD_1
	v_cvt_f32_f16_e32 v38, v15
	;;#ASMSTART
	v_pk_mul_f32 v[14:15], v[34:35], v[22:23]
	;;#ASMEND
	v_cvt_f32_f16_sdwa v35, v16 dst_sel:DWORD dst_unused:UNUSED_PAD src0_sel:WORD_1
	v_cvt_f32_f16_e32 v34, v16
	v_pk_add_f32 v[22:23], v[36:37], 1.0 op_sel_hi:[1,0]
	;;#ASMSTART
	v_pk_mul_f32 v[0:1], v[0:1], v[22:23]
	;;#ASMEND
	v_pk_add_f32 v[22:23], v[38:39], 1.0 op_sel_hi:[1,0]
	v_cvt_f32_f16_sdwa v37, v17 dst_sel:DWORD dst_unused:UNUSED_PAD src0_sel:WORD_1
	v_cvt_f32_f16_e32 v36, v17
	;;#ASMSTART
	v_pk_mul_f32 v[16:17], v[24:25], v[22:23]
	;;#ASMEND
	v_pk_add_f32 v[22:23], v[34:35], 1.0 op_sel_hi:[1,0]
	;;#ASMSTART
	v_pk_mul_f32 v[22:23], v[26:27], v[22:23]
	;;#ASMEND
	s_waitcnt vmcnt(2)
	v_cvt_f32_f16_sdwa v27, v10 dst_sel:DWORD dst_unused:UNUSED_PAD src0_sel:WORD_1
	v_cvt_f32_f16_e32 v26, v10
	v_pk_add_f32 v[24:25], v[36:37], 1.0 op_sel_hi:[1,0]
	v_cvt_f32_f16_sdwa v35, v11 dst_sel:DWORD dst_unused:UNUSED_PAD src0_sel:WORD_1
	v_cvt_f32_f16_e32 v34, v11
	;;#ASMSTART
	v_pk_mul_f32 v[10:11], v[28:29], v[24:25]
	;;#ASMEND
	v_pk_add_f32 v[24:25], v[26:27], 1.0 op_sel_hi:[1,0]
	;;#ASMSTART
	v_pk_mul_f32 v[24:25], v[30:31], v[24:25]
	;;#ASMEND
	v_cvt_f32_f16_sdwa v29, v12 dst_sel:DWORD dst_unused:UNUSED_PAD src0_sel:WORD_1
	v_cvt_f32_f16_e32 v28, v12
	v_cvt_f32_f16_sdwa v31, v13 dst_sel:DWORD dst_unused:UNUSED_PAD src0_sel:WORD_1
	v_cvt_f32_f16_e32 v30, v13
	v_pk_add_f32 v[26:27], v[34:35], 1.0 op_sel_hi:[1,0]
	;;#ASMSTART
	v_pk_mul_f32 v[12:13], v[32:33], v[26:27]
	;;#ASMEND
	v_pk_add_f32 v[26:27], v[28:29], 1.0 op_sel_hi:[1,0]
	v_pk_add_f32 v[28:29], v[30:31], 1.0 op_sel_hi:[1,0]
	s_waitcnt vmcnt(1)
	v_cvt_f32_f16_sdwa v31, v6 dst_sel:DWORD dst_unused:UNUSED_PAD src0_sel:WORD_1
	v_cvt_f32_f16_e32 v30, v6
	v_cvt_f32_f16_sdwa v33, v7 dst_sel:DWORD dst_unused:UNUSED_PAD src0_sel:WORD_1
	v_cvt_f32_f16_e32 v32, v7
	;;#ASMSTART
	v_pk_mul_f32 v[26:27], v[52:53], v[26:27]
	;;#ASMEND
	;;#ASMSTART
	v_pk_mul_f32 v[6:7], v[50:51], v[28:29]
	;;#ASMEND
	v_pk_add_f32 v[28:29], v[30:31], 1.0 op_sel_hi:[1,0]
	v_pk_add_f32 v[30:31], v[32:33], 1.0 op_sel_hi:[1,0]
	v_cvt_f32_f16_sdwa v33, v8 dst_sel:DWORD dst_unused:UNUSED_PAD src0_sel:WORD_1
	v_cvt_f32_f16_e32 v32, v8
	v_cvt_f32_f16_sdwa v35, v9 dst_sel:DWORD dst_unused:UNUSED_PAD src0_sel:WORD_1
	v_cvt_f32_f16_e32 v34, v9
	;;#ASMSTART
	v_pk_mul_f32 v[28:29], v[48:49], v[28:29]
	;;#ASMEND
	;;#ASMSTART
	v_pk_mul_f32 v[8:9], v[46:47], v[30:31]
	;;#ASMEND
	v_pk_add_f32 v[30:31], v[32:33], 1.0 op_sel_hi:[1,0]
	v_pk_add_f32 v[32:33], v[34:35], 1.0 op_sel_hi:[1,0]
	s_waitcnt vmcnt(0)
	v_cvt_f32_f16_sdwa v35, v2 dst_sel:DWORD dst_unused:UNUSED_PAD src0_sel:WORD_1
	v_cvt_f32_f16_e32 v34, v2
	v_cvt_f32_f16_sdwa v37, v3 dst_sel:DWORD dst_unused:UNUSED_PAD src0_sel:WORD_1
	v_cvt_f32_f16_e32 v36, v3
	;;#ASMSTART
	v_pk_mul_f32 v[30:31], v[44:45], v[30:31]
	;;#ASMEND
	v_pk_add_f32 v[2:3], v[34:35], 1.0 op_sel_hi:[1,0]
	;;#ASMSTART
	v_pk_mul_f32 v[32:33], v[42:43], v[32:33]
	;;#ASMEND
	;;#ASMSTART
	v_pk_mul_f32 v[34:35], v[40:41], v[2:3]
	;;#ASMEND
	v_pk_add_f32 v[2:3], v[36:37], 1.0 op_sel_hi:[1,0]
	v_cvt_f32_f16_sdwa v37, v4 dst_sel:DWORD dst_unused:UNUSED_PAD src0_sel:WORD_1
	v_cvt_f32_f16_e32 v36, v4
	v_cvt_f32_f16_sdwa v39, v5 dst_sel:DWORD dst_unused:UNUSED_PAD src0_sel:WORD_1
	v_cvt_f32_f16_e32 v38, v5
	;;#ASMSTART
	v_pk_mul_f32 v[4:5], v[18:19], v[2:3]
	;;#ASMEND
	v_pk_add_f32 v[2:3], v[36:37], 1.0 op_sel_hi:[1,0]
	;;#ASMSTART
	v_pk_mul_f32 v[18:19], v[20:21], v[2:3]
	;;#ASMEND
	v_pk_add_f32 v[2:3], v[38:39], 1.0 op_sel_hi:[1,0]
	;;#ASMSTART
	v_pk_mul_f32 v[14:15], v[14:15], v[2:3]
	;;#ASMEND
	v_cvt_f16_f32_e32 v0, v0
	v_cvt_f16_f32_e32 v1, v1
	;; [unrolled: 1-line block ×8, first 2 shown]
	s_add_u32 s20, s26, s0
	s_addc_u32 s0, s27, s1
	s_and_b32 s21, s0, 0xffff
	v_pack_b32_f16 v0, v0, v1
	v_pack_b32_f16 v1, v2, v3
	;; [unrolled: 1-line block ×4, first 2 shown]
	buffer_store_dwordx4 v[0:3], v65, s[20:23], 0 offen
	v_cvt_f16_f32_e32 v10, v26
	v_cvt_f16_f32_e32 v0, v24
	v_cvt_f16_f32_e32 v1, v25
	v_cvt_f16_f32_e32 v2, v12
	v_cvt_f16_f32_e32 v3, v13
	v_cvt_f16_f32_e32 v11, v27
	v_cvt_f16_f32_e32 v6, v6
	v_cvt_f16_f32_e32 v7, v7
	v_pack_b32_f16 v0, v0, v1
	v_pack_b32_f16 v1, v2, v3
	v_pack_b32_f16 v2, v10, v11
	v_pack_b32_f16 v3, v6, v7
	s_movk_i32 s0, 0x400
	;;#ASMSTART
	s_nop 0
	;;#ASMEND
	buffer_store_dwordx4 v[0:3], v65, s[20:23], s0 offen
	v_cvt_f16_f32_e32 v0, v28
	v_cvt_f16_f32_e32 v1, v29
	v_cvt_f16_f32_e32 v2, v8
	v_cvt_f16_f32_e32 v3, v9
	v_cvt_f16_f32_e32 v6, v30
	v_cvt_f16_f32_e32 v7, v31
	v_cvt_f16_f32_e32 v8, v32
	v_cvt_f16_f32_e32 v9, v33
	v_pack_b32_f16 v0, v0, v1
	v_pack_b32_f16 v1, v2, v3
	v_pack_b32_f16 v2, v6, v7
	v_pack_b32_f16 v3, v8, v9
	s_movk_i32 s0, 0x800
	;;#ASMSTART
	s_nop 0
	;;#ASMEND
	;; [unrolled: 17-line block ×3, first 2 shown]
	buffer_store_dwordx4 v[0:3], v65, s[20:23], s0 offen
	;;#ASMSTART
	s_nop 0
	;;#ASMEND
	s_endpgm
	.section	.rodata,"a",@progbits
	.p2align	6, 0x0
	.amdhsa_kernel _ZN5aiter35fused_qk_rmsnorm_group_quant_kernelIDF16_DB8_Li256ELi32ELi1ELb1ELb1ELb1ELb0ELb1ELb1EEEvPT0_PvPT_S6_S6_PKS5_S8_S8_S8_S8_ffiiiiiiiiiiiii
		.amdhsa_group_segment_fixed_size 48
		.amdhsa_private_segment_fixed_size 1672
		.amdhsa_kernarg_size 400
		.amdhsa_user_sgpr_count 6
		.amdhsa_user_sgpr_private_segment_buffer 1
		.amdhsa_user_sgpr_dispatch_ptr 0
		.amdhsa_user_sgpr_queue_ptr 0
		.amdhsa_user_sgpr_kernarg_segment_ptr 1
		.amdhsa_user_sgpr_dispatch_id 0
		.amdhsa_user_sgpr_flat_scratch_init 0
		.amdhsa_user_sgpr_kernarg_preload_length 0
		.amdhsa_user_sgpr_kernarg_preload_offset 0
		.amdhsa_user_sgpr_private_segment_size 0
		.amdhsa_uses_dynamic_stack 0
		.amdhsa_system_sgpr_private_segment_wavefront_offset 1
		.amdhsa_system_sgpr_workgroup_id_x 1
		.amdhsa_system_sgpr_workgroup_id_y 1
		.amdhsa_system_sgpr_workgroup_id_z 0
		.amdhsa_system_sgpr_workgroup_info 0
		.amdhsa_system_vgpr_workitem_id 0
		.amdhsa_next_free_vgpr 128
		.amdhsa_next_free_sgpr 44
		.amdhsa_accum_offset 128
		.amdhsa_reserve_vcc 1
		.amdhsa_reserve_flat_scratch 0
		.amdhsa_float_round_mode_32 0
		.amdhsa_float_round_mode_16_64 0
		.amdhsa_float_denorm_mode_32 3
		.amdhsa_float_denorm_mode_16_64 3
		.amdhsa_dx10_clamp 1
		.amdhsa_ieee_mode 1
		.amdhsa_fp16_overflow 0
		.amdhsa_tg_split 0
		.amdhsa_exception_fp_ieee_invalid_op 0
		.amdhsa_exception_fp_denorm_src 0
		.amdhsa_exception_fp_ieee_div_zero 0
		.amdhsa_exception_fp_ieee_overflow 0
		.amdhsa_exception_fp_ieee_underflow 0
		.amdhsa_exception_fp_ieee_inexact 0
		.amdhsa_exception_int_div_zero 0
	.end_amdhsa_kernel
	.section	.text._ZN5aiter35fused_qk_rmsnorm_group_quant_kernelIDF16_DB8_Li256ELi32ELi1ELb1ELb1ELb1ELb0ELb1ELb1EEEvPT0_PvPT_S6_S6_PKS5_S8_S8_S8_S8_ffiiiiiiiiiiiii,"axG",@progbits,_ZN5aiter35fused_qk_rmsnorm_group_quant_kernelIDF16_DB8_Li256ELi32ELi1ELb1ELb1ELb1ELb0ELb1ELb1EEEvPT0_PvPT_S6_S6_PKS5_S8_S8_S8_S8_ffiiiiiiiiiiiii,comdat
.Lfunc_end81:
	.size	_ZN5aiter35fused_qk_rmsnorm_group_quant_kernelIDF16_DB8_Li256ELi32ELi1ELb1ELb1ELb1ELb0ELb1ELb1EEEvPT0_PvPT_S6_S6_PKS5_S8_S8_S8_S8_ffiiiiiiiiiiiii, .Lfunc_end81-_ZN5aiter35fused_qk_rmsnorm_group_quant_kernelIDF16_DB8_Li256ELi32ELi1ELb1ELb1ELb1ELb0ELb1ELb1EEEvPT0_PvPT_S6_S6_PKS5_S8_S8_S8_S8_ffiiiiiiiiiiiii
                                        ; -- End function
	.section	.AMDGPU.csdata,"",@progbits
; Kernel info:
; codeLenInByte = 43780
; NumSgprs: 48
; NumVgprs: 128
; NumAgprs: 0
; TotalNumVgprs: 128
; ScratchSize: 1672
; MemoryBound: 0
; FloatMode: 240
; IeeeMode: 1
; LDSByteSize: 48 bytes/workgroup (compile time only)
; SGPRBlocks: 5
; VGPRBlocks: 15
; NumSGPRsForWavesPerEU: 48
; NumVGPRsForWavesPerEU: 128
; AccumOffset: 128
; Occupancy: 4
; WaveLimiterHint : 0
; COMPUTE_PGM_RSRC2:SCRATCH_EN: 1
; COMPUTE_PGM_RSRC2:USER_SGPR: 6
; COMPUTE_PGM_RSRC2:TRAP_HANDLER: 0
; COMPUTE_PGM_RSRC2:TGID_X_EN: 1
; COMPUTE_PGM_RSRC2:TGID_Y_EN: 1
; COMPUTE_PGM_RSRC2:TGID_Z_EN: 0
; COMPUTE_PGM_RSRC2:TIDIG_COMP_CNT: 0
; COMPUTE_PGM_RSRC3_GFX90A:ACCUM_OFFSET: 31
; COMPUTE_PGM_RSRC3_GFX90A:TG_SPLIT: 0
	.section	.text._ZN5aiter35fused_qk_rmsnorm_group_quant_kernelItDB8_Li256ELi32ELi1ELb1ELb1ELb1ELb0ELb1ELb1EEEvPT0_PvPT_S6_S6_PKS5_S8_S8_S8_S8_ffiiiiiiiiiiiii,"axG",@progbits,_ZN5aiter35fused_qk_rmsnorm_group_quant_kernelItDB8_Li256ELi32ELi1ELb1ELb1ELb1ELb0ELb1ELb1EEEvPT0_PvPT_S6_S6_PKS5_S8_S8_S8_S8_ffiiiiiiiiiiiii,comdat
	.protected	_ZN5aiter35fused_qk_rmsnorm_group_quant_kernelItDB8_Li256ELi32ELi1ELb1ELb1ELb1ELb0ELb1ELb1EEEvPT0_PvPT_S6_S6_PKS5_S8_S8_S8_S8_ffiiiiiiiiiiiii ; -- Begin function _ZN5aiter35fused_qk_rmsnorm_group_quant_kernelItDB8_Li256ELi32ELi1ELb1ELb1ELb1ELb0ELb1ELb1EEEvPT0_PvPT_S6_S6_PKS5_S8_S8_S8_S8_ffiiiiiiiiiiiii
	.globl	_ZN5aiter35fused_qk_rmsnorm_group_quant_kernelItDB8_Li256ELi32ELi1ELb1ELb1ELb1ELb0ELb1ELb1EEEvPT0_PvPT_S6_S6_PKS5_S8_S8_S8_S8_ffiiiiiiiiiiiii
	.p2align	8
	.type	_ZN5aiter35fused_qk_rmsnorm_group_quant_kernelItDB8_Li256ELi32ELi1ELb1ELb1ELb1ELb0ELb1ELb1EEEvPT0_PvPT_S6_S6_PKS5_S8_S8_S8_S8_ffiiiiiiiiiiiii,@function
_ZN5aiter35fused_qk_rmsnorm_group_quant_kernelItDB8_Li256ELi32ELi1ELb1ELb1ELb1ELb0ELb1ELb1EEEvPT0_PvPT_S6_S6_PKS5_S8_S8_S8_S8_ffiiiiiiiiiiiii: ; @_ZN5aiter35fused_qk_rmsnorm_group_quant_kernelItDB8_Li256ELi32ELi1ELb1ELb1ELb1ELb0ELb1ELb1EEEvPT0_PvPT_S6_S6_PKS5_S8_S8_S8_S8_ffiiiiiiiiiiiii
; %bb.0:
	s_load_dwordx8 s[12:19], s[4:5], 0x50
	s_mov_b64 s[42:43], s[2:3]
	s_mov_b64 s[40:41], s[0:1]
	s_add_u32 s40, s40, s8
	s_addc_u32 s41, s41, 0
	s_waitcnt lgkmcnt(0)
	s_cmp_ge_i32 s6, s14
	s_cbranch_scc1 .LBB82_17
; %bb.1:
	s_cmp_lg_u32 s7, 0
	s_cselect_b64 s[22:23], -1, 0
	s_cmp_eq_u32 s7, 0
	s_cselect_b64 s[8:9], -1, 0
	s_and_b64 s[0:1], s[8:9], exec
	s_cselect_b32 s7, s15, s16
	s_add_i32 s0, s7, 1
	s_load_dwordx2 s[10:11], s[4:5], 0x70
	s_load_dwordx2 s[20:21], s[4:5], 0x48
	;; [unrolled: 1-line block ×3, first 2 shown]
	s_lshr_b32 s1, s0, 31
	s_add_i32 s0, s0, s1
	s_lshl_b32 s0, s0, 1
	v_lshlrev_b32_e32 v2, 5, v0
	s_and_b32 s30, s0, -4
	v_lshlrev_b32_e32 v1, 3, v0
	v_and_b32_e32 v2, 0x7800, v2
	s_movk_i32 s0, 0x1f8
	v_and_or_b32 v1, v1, s0, v2
	v_cmp_gt_i32_e64 s[0:1], s7, v1
	v_mov_b32_e32 v116, 0
	v_mov_b32_e32 v117, 0
	;; [unrolled: 1-line block ×32, first 2 shown]
	s_and_saveexec_b64 s[2:3], s[0:1]
	s_cbranch_execz .LBB82_3
; %bb.2:
	s_load_dwordx2 s[24:25], s[4:5], 0x28
	s_load_dwordx2 s[26:27], s[4:5], 0x40
	s_and_b64 s[28:29], s[8:9], exec
	s_cselect_b32 s14, s17, s18
	s_mov_b32 s31, 0x20000
	s_waitcnt lgkmcnt(0)
	s_cselect_b32 s17, s25, s35
	s_cselect_b32 s28, s24, s34
	s_mul_hi_i32 s25, s14, s6
	s_mul_i32 s24, s14, s6
	s_lshl_b64 s[24:25], s[24:25], 1
	s_add_u32 s24, s28, s24
	s_addc_u32 s14, s17, s25
	s_and_b64 s[28:29], s[8:9], exec
	s_cselect_b32 s17, s27, s21
	s_cselect_b32 s28, s26, s20
	s_and_b32 s29, s17, 0xffff
	s_and_b32 s25, s14, 0xffff
	s_mov_b32 s26, s30
	s_mov_b32 s27, s31
	v_lshlrev_b32_e32 v2, 1, v1
	s_movk_i32 s17, 0x800
	s_movk_i32 s14, 0x400
	buffer_load_dwordx4 v[120:123], v2, s[24:27], 0 offen glc slc
	buffer_load_dwordx4 v[66:69], v2, s[24:27], s14 offen glc slc
	s_movk_i32 s33, 0xc00
	buffer_load_dwordx4 v[98:101], v2, s[24:27], s17 offen glc slc
	buffer_load_dwordx4 v[124:127], v2, s[24:27], s33 offen glc slc
	buffer_load_dwordx4 v[116:119], v2, s[28:31], 0 offen
	buffer_load_dwordx4 v[112:115], v2, s[28:31], s14 offen
	;; [unrolled: 1-line block ×4, first 2 shown]
.LBB82_3:
	s_or_b64 exec, exec, s[2:3]
	s_load_dwordx4 s[24:27], s[4:5], 0x7c
	s_and_b64 vcc, exec, s[22:23]
	s_cbranch_vccz .LBB82_7
; %bb.4:
	v_mov_b32_e32 v29, 0
	v_mov_b32_e32 v28, 0
	buffer_store_dword v0, off, s[40:43], 0 offset:256 ; 4-byte Folded Spill
	s_nop 0
	buffer_store_dword v1, off, s[40:43], 0 offset:260 ; 4-byte Folded Spill
	buffer_store_dword v2, off, s[40:43], 0 offset:264 ; 4-byte Folded Spill
	;; [unrolled: 1-line block ×31, first 2 shown]
	v_mov_b32_e32 v27, 0
	v_mov_b32_e32 v26, 0
	;; [unrolled: 1-line block ×6, first 2 shown]
	buffer_store_dword v0, off, s[40:43], 0 offset:384 ; 4-byte Folded Spill
	s_nop 0
	buffer_store_dword v1, off, s[40:43], 0 offset:388 ; 4-byte Folded Spill
	buffer_store_dword v2, off, s[40:43], 0 offset:392 ; 4-byte Folded Spill
	buffer_store_dword v3, off, s[40:43], 0 offset:396 ; 4-byte Folded Spill
	buffer_store_dword v4, off, s[40:43], 0 offset:400 ; 4-byte Folded Spill
	buffer_store_dword v5, off, s[40:43], 0 offset:404 ; 4-byte Folded Spill
	buffer_store_dword v6, off, s[40:43], 0 offset:408 ; 4-byte Folded Spill
	buffer_store_dword v7, off, s[40:43], 0 offset:412 ; 4-byte Folded Spill
	buffer_store_dword v8, off, s[40:43], 0 offset:416 ; 4-byte Folded Spill
	buffer_store_dword v9, off, s[40:43], 0 offset:420 ; 4-byte Folded Spill
	buffer_store_dword v10, off, s[40:43], 0 offset:424 ; 4-byte Folded Spill
	buffer_store_dword v11, off, s[40:43], 0 offset:428 ; 4-byte Folded Spill
	buffer_store_dword v12, off, s[40:43], 0 offset:432 ; 4-byte Folded Spill
	buffer_store_dword v13, off, s[40:43], 0 offset:436 ; 4-byte Folded Spill
	buffer_store_dword v14, off, s[40:43], 0 offset:440 ; 4-byte Folded Spill
	buffer_store_dword v15, off, s[40:43], 0 offset:444 ; 4-byte Folded Spill
	buffer_store_dword v16, off, s[40:43], 0 offset:448 ; 4-byte Folded Spill
	buffer_store_dword v17, off, s[40:43], 0 offset:452 ; 4-byte Folded Spill
	buffer_store_dword v18, off, s[40:43], 0 offset:456 ; 4-byte Folded Spill
	buffer_store_dword v19, off, s[40:43], 0 offset:460 ; 4-byte Folded Spill
	buffer_store_dword v20, off, s[40:43], 0 offset:464 ; 4-byte Folded Spill
	buffer_store_dword v21, off, s[40:43], 0 offset:468 ; 4-byte Folded Spill
	buffer_store_dword v22, off, s[40:43], 0 offset:472 ; 4-byte Folded Spill
	buffer_store_dword v23, off, s[40:43], 0 offset:476 ; 4-byte Folded Spill
	buffer_store_dword v24, off, s[40:43], 0 offset:480 ; 4-byte Folded Spill
	buffer_store_dword v25, off, s[40:43], 0 offset:484 ; 4-byte Folded Spill
	buffer_store_dword v26, off, s[40:43], 0 offset:488 ; 4-byte Folded Spill
	buffer_store_dword v27, off, s[40:43], 0 offset:492 ; 4-byte Folded Spill
	buffer_store_dword v28, off, s[40:43], 0 offset:496 ; 4-byte Folded Spill
	buffer_store_dword v29, off, s[40:43], 0 offset:500 ; 4-byte Folded Spill
	buffer_store_dword v30, off, s[40:43], 0 offset:504 ; 4-byte Folded Spill
	buffer_store_dword v31, off, s[40:43], 0 offset:508 ; 4-byte Folded Spill
	v_mov_b32_e32 v25, 0
	v_mov_b32_e32 v24, 0
	buffer_store_dword v0, off, s[40:43], 0 offset:640 ; 4-byte Folded Spill
	s_nop 0
	buffer_store_dword v1, off, s[40:43], 0 offset:644 ; 4-byte Folded Spill
	buffer_store_dword v2, off, s[40:43], 0 offset:648 ; 4-byte Folded Spill
	buffer_store_dword v3, off, s[40:43], 0 offset:652 ; 4-byte Folded Spill
	buffer_store_dword v4, off, s[40:43], 0 offset:656 ; 4-byte Folded Spill
	buffer_store_dword v5, off, s[40:43], 0 offset:660 ; 4-byte Folded Spill
	buffer_store_dword v6, off, s[40:43], 0 offset:664 ; 4-byte Folded Spill
	buffer_store_dword v7, off, s[40:43], 0 offset:668 ; 4-byte Folded Spill
	buffer_store_dword v8, off, s[40:43], 0 offset:672 ; 4-byte Folded Spill
	buffer_store_dword v9, off, s[40:43], 0 offset:676 ; 4-byte Folded Spill
	buffer_store_dword v10, off, s[40:43], 0 offset:680 ; 4-byte Folded Spill
	buffer_store_dword v11, off, s[40:43], 0 offset:684 ; 4-byte Folded Spill
	buffer_store_dword v12, off, s[40:43], 0 offset:688 ; 4-byte Folded Spill
	buffer_store_dword v13, off, s[40:43], 0 offset:692 ; 4-byte Folded Spill
	buffer_store_dword v14, off, s[40:43], 0 offset:696 ; 4-byte Folded Spill
	buffer_store_dword v15, off, s[40:43], 0 offset:700 ; 4-byte Folded Spill
	buffer_store_dword v16, off, s[40:43], 0 offset:704 ; 4-byte Folded Spill
	buffer_store_dword v17, off, s[40:43], 0 offset:708 ; 4-byte Folded Spill
	buffer_store_dword v18, off, s[40:43], 0 offset:712 ; 4-byte Folded Spill
	buffer_store_dword v19, off, s[40:43], 0 offset:716 ; 4-byte Folded Spill
	buffer_store_dword v20, off, s[40:43], 0 offset:720 ; 4-byte Folded Spill
	buffer_store_dword v21, off, s[40:43], 0 offset:724 ; 4-byte Folded Spill
	buffer_store_dword v22, off, s[40:43], 0 offset:728 ; 4-byte Folded Spill
	buffer_store_dword v23, off, s[40:43], 0 offset:732 ; 4-byte Folded Spill
	buffer_store_dword v24, off, s[40:43], 0 offset:736 ; 4-byte Folded Spill
	buffer_store_dword v25, off, s[40:43], 0 offset:740 ; 4-byte Folded Spill
	buffer_store_dword v26, off, s[40:43], 0 offset:744 ; 4-byte Folded Spill
	buffer_store_dword v27, off, s[40:43], 0 offset:748 ; 4-byte Folded Spill
	buffer_store_dword v28, off, s[40:43], 0 offset:752 ; 4-byte Folded Spill
	buffer_store_dword v29, off, s[40:43], 0 offset:756 ; 4-byte Folded Spill
	buffer_store_dword v30, off, s[40:43], 0 offset:760 ; 4-byte Folded Spill
	buffer_store_dword v31, off, s[40:43], 0 offset:764 ; 4-byte Folded Spill
	v_mov_b32_e32 v23, 0
	v_mov_b32_e32 v22, 0
	;; [unrolled: 35-line block ×11, first 2 shown]
	buffer_store_dword v0, off, s[40:43], 0 ; 4-byte Folded Spill
	s_nop 0
	buffer_store_dword v1, off, s[40:43], 0 offset:4 ; 4-byte Folded Spill
	buffer_store_dword v2, off, s[40:43], 0 offset:8 ; 4-byte Folded Spill
	;; [unrolled: 1-line block ×31, first 2 shown]
	v_mov_b32_e32 v3, 0
	v_mov_b32_e32 v2, 0
	buffer_store_dword v0, off, s[40:43], 0 offset:128 ; 4-byte Folded Spill
	s_nop 0
	buffer_store_dword v1, off, s[40:43], 0 offset:132 ; 4-byte Folded Spill
	buffer_store_dword v2, off, s[40:43], 0 offset:136 ; 4-byte Folded Spill
	;; [unrolled: 1-line block ×31, first 2 shown]
	s_and_saveexec_b64 s[2:3], s[0:1]
	s_cbranch_execz .LBB82_6
; %bb.5:
	s_waitcnt vmcnt(62)
	v_cvt_f32_u32_sdwa v2, v121 dst_sel:DWORD dst_unused:UNUSED_PAD src0_sel:WORD_0
	v_cvt_f32_u32_sdwa v3, v121 dst_sel:DWORD dst_unused:UNUSED_PAD src0_sel:WORD_1
	v_cvt_f32_u32_sdwa v34, v120 dst_sel:DWORD dst_unused:UNUSED_PAD src0_sel:WORD_0
	v_cvt_f32_u32_sdwa v35, v120 dst_sel:DWORD dst_unused:UNUSED_PAD src0_sel:WORD_1
	buffer_store_dword v0, off, s[40:43], 0 offset:128 ; 4-byte Folded Spill
	s_nop 0
	buffer_store_dword v1, off, s[40:43], 0 offset:132 ; 4-byte Folded Spill
	buffer_store_dword v2, off, s[40:43], 0 offset:136 ; 4-byte Folded Spill
	;; [unrolled: 1-line block ×31, first 2 shown]
	v_cvt_f32_u32_sdwa v4, v122 dst_sel:DWORD dst_unused:UNUSED_PAD src0_sel:WORD_0
	v_cvt_f32_u32_sdwa v5, v122 dst_sel:DWORD dst_unused:UNUSED_PAD src0_sel:WORD_1
	v_cvt_f32_u32_sdwa v70, v127 dst_sel:DWORD dst_unused:UNUSED_PAD src0_sel:WORD_0
	v_cvt_f32_u32_sdwa v71, v127 dst_sel:DWORD dst_unused:UNUSED_PAD src0_sel:WORD_1
	buffer_store_dword v0, off, s[40:43], 0 ; 4-byte Folded Spill
	s_nop 0
	buffer_store_dword v1, off, s[40:43], 0 offset:4 ; 4-byte Folded Spill
	buffer_store_dword v2, off, s[40:43], 0 offset:8 ; 4-byte Folded Spill
	buffer_store_dword v3, off, s[40:43], 0 offset:12 ; 4-byte Folded Spill
	buffer_store_dword v4, off, s[40:43], 0 offset:16 ; 4-byte Folded Spill
	buffer_store_dword v5, off, s[40:43], 0 offset:20 ; 4-byte Folded Spill
	buffer_store_dword v6, off, s[40:43], 0 offset:24 ; 4-byte Folded Spill
	buffer_store_dword v7, off, s[40:43], 0 offset:28 ; 4-byte Folded Spill
	buffer_store_dword v8, off, s[40:43], 0 offset:32 ; 4-byte Folded Spill
	buffer_store_dword v9, off, s[40:43], 0 offset:36 ; 4-byte Folded Spill
	buffer_store_dword v10, off, s[40:43], 0 offset:40 ; 4-byte Folded Spill
	buffer_store_dword v11, off, s[40:43], 0 offset:44 ; 4-byte Folded Spill
	buffer_store_dword v12, off, s[40:43], 0 offset:48 ; 4-byte Folded Spill
	buffer_store_dword v13, off, s[40:43], 0 offset:52 ; 4-byte Folded Spill
	buffer_store_dword v14, off, s[40:43], 0 offset:56 ; 4-byte Folded Spill
	buffer_store_dword v15, off, s[40:43], 0 offset:60 ; 4-byte Folded Spill
	buffer_store_dword v16, off, s[40:43], 0 offset:64 ; 4-byte Folded Spill
	buffer_store_dword v17, off, s[40:43], 0 offset:68 ; 4-byte Folded Spill
	buffer_store_dword v18, off, s[40:43], 0 offset:72 ; 4-byte Folded Spill
	buffer_store_dword v19, off, s[40:43], 0 offset:76 ; 4-byte Folded Spill
	buffer_store_dword v20, off, s[40:43], 0 offset:80 ; 4-byte Folded Spill
	buffer_store_dword v21, off, s[40:43], 0 offset:84 ; 4-byte Folded Spill
	buffer_store_dword v22, off, s[40:43], 0 offset:88 ; 4-byte Folded Spill
	buffer_store_dword v23, off, s[40:43], 0 offset:92 ; 4-byte Folded Spill
	buffer_store_dword v24, off, s[40:43], 0 offset:96 ; 4-byte Folded Spill
	buffer_store_dword v25, off, s[40:43], 0 offset:100 ; 4-byte Folded Spill
	buffer_store_dword v26, off, s[40:43], 0 offset:104 ; 4-byte Folded Spill
	buffer_store_dword v27, off, s[40:43], 0 offset:108 ; 4-byte Folded Spill
	buffer_store_dword v28, off, s[40:43], 0 offset:112 ; 4-byte Folded Spill
	buffer_store_dword v29, off, s[40:43], 0 offset:116 ; 4-byte Folded Spill
	buffer_store_dword v30, off, s[40:43], 0 offset:120 ; 4-byte Folded Spill
	buffer_store_dword v31, off, s[40:43], 0 offset:124 ; 4-byte Folded Spill
	v_cvt_f32_u32_sdwa v6, v123 dst_sel:DWORD dst_unused:UNUSED_PAD src0_sel:WORD_0
	v_cvt_f32_u32_sdwa v7, v123 dst_sel:DWORD dst_unused:UNUSED_PAD src0_sel:WORD_1
	buffer_store_dword v0, off, s[40:43], 0 offset:1664 ; 4-byte Folded Spill
	s_nop 0
	buffer_store_dword v1, off, s[40:43], 0 offset:1668 ; 4-byte Folded Spill
	buffer_store_dword v2, off, s[40:43], 0 offset:1672 ; 4-byte Folded Spill
	buffer_store_dword v3, off, s[40:43], 0 offset:1676 ; 4-byte Folded Spill
	buffer_store_dword v4, off, s[40:43], 0 offset:1680 ; 4-byte Folded Spill
	buffer_store_dword v5, off, s[40:43], 0 offset:1684 ; 4-byte Folded Spill
	buffer_store_dword v6, off, s[40:43], 0 offset:1688 ; 4-byte Folded Spill
	buffer_store_dword v7, off, s[40:43], 0 offset:1692 ; 4-byte Folded Spill
	buffer_store_dword v8, off, s[40:43], 0 offset:1696 ; 4-byte Folded Spill
	buffer_store_dword v9, off, s[40:43], 0 offset:1700 ; 4-byte Folded Spill
	buffer_store_dword v10, off, s[40:43], 0 offset:1704 ; 4-byte Folded Spill
	buffer_store_dword v11, off, s[40:43], 0 offset:1708 ; 4-byte Folded Spill
	buffer_store_dword v12, off, s[40:43], 0 offset:1712 ; 4-byte Folded Spill
	buffer_store_dword v13, off, s[40:43], 0 offset:1716 ; 4-byte Folded Spill
	buffer_store_dword v14, off, s[40:43], 0 offset:1720 ; 4-byte Folded Spill
	buffer_store_dword v15, off, s[40:43], 0 offset:1724 ; 4-byte Folded Spill
	buffer_store_dword v16, off, s[40:43], 0 offset:1728 ; 4-byte Folded Spill
	buffer_store_dword v17, off, s[40:43], 0 offset:1732 ; 4-byte Folded Spill
	buffer_store_dword v18, off, s[40:43], 0 offset:1736 ; 4-byte Folded Spill
	buffer_store_dword v19, off, s[40:43], 0 offset:1740 ; 4-byte Folded Spill
	buffer_store_dword v20, off, s[40:43], 0 offset:1744 ; 4-byte Folded Spill
	buffer_store_dword v21, off, s[40:43], 0 offset:1748 ; 4-byte Folded Spill
	buffer_store_dword v22, off, s[40:43], 0 offset:1752 ; 4-byte Folded Spill
	buffer_store_dword v23, off, s[40:43], 0 offset:1756 ; 4-byte Folded Spill
	buffer_store_dword v24, off, s[40:43], 0 offset:1760 ; 4-byte Folded Spill
	buffer_store_dword v25, off, s[40:43], 0 offset:1764 ; 4-byte Folded Spill
	buffer_store_dword v26, off, s[40:43], 0 offset:1768 ; 4-byte Folded Spill
	buffer_store_dword v27, off, s[40:43], 0 offset:1772 ; 4-byte Folded Spill
	buffer_store_dword v28, off, s[40:43], 0 offset:1776 ; 4-byte Folded Spill
	buffer_store_dword v29, off, s[40:43], 0 offset:1780 ; 4-byte Folded Spill
	buffer_store_dword v30, off, s[40:43], 0 offset:1784 ; 4-byte Folded Spill
	buffer_store_dword v31, off, s[40:43], 0 offset:1788 ; 4-byte Folded Spill
	v_cvt_f32_u32_sdwa v8, v66 dst_sel:DWORD dst_unused:UNUSED_PAD src0_sel:WORD_0
	v_cvt_f32_u32_sdwa v9, v66 dst_sel:DWORD dst_unused:UNUSED_PAD src0_sel:WORD_1
	buffer_store_dword v0, off, s[40:43], 0 offset:1536 ; 4-byte Folded Spill
	s_nop 0
	buffer_store_dword v1, off, s[40:43], 0 offset:1540 ; 4-byte Folded Spill
	buffer_store_dword v2, off, s[40:43], 0 offset:1544 ; 4-byte Folded Spill
	buffer_store_dword v3, off, s[40:43], 0 offset:1548 ; 4-byte Folded Spill
	buffer_store_dword v4, off, s[40:43], 0 offset:1552 ; 4-byte Folded Spill
	buffer_store_dword v5, off, s[40:43], 0 offset:1556 ; 4-byte Folded Spill
	buffer_store_dword v6, off, s[40:43], 0 offset:1560 ; 4-byte Folded Spill
	buffer_store_dword v7, off, s[40:43], 0 offset:1564 ; 4-byte Folded Spill
	buffer_store_dword v8, off, s[40:43], 0 offset:1568 ; 4-byte Folded Spill
	buffer_store_dword v9, off, s[40:43], 0 offset:1572 ; 4-byte Folded Spill
	buffer_store_dword v10, off, s[40:43], 0 offset:1576 ; 4-byte Folded Spill
	buffer_store_dword v11, off, s[40:43], 0 offset:1580 ; 4-byte Folded Spill
	buffer_store_dword v12, off, s[40:43], 0 offset:1584 ; 4-byte Folded Spill
	buffer_store_dword v13, off, s[40:43], 0 offset:1588 ; 4-byte Folded Spill
	buffer_store_dword v14, off, s[40:43], 0 offset:1592 ; 4-byte Folded Spill
	buffer_store_dword v15, off, s[40:43], 0 offset:1596 ; 4-byte Folded Spill
	buffer_store_dword v16, off, s[40:43], 0 offset:1600 ; 4-byte Folded Spill
	buffer_store_dword v17, off, s[40:43], 0 offset:1604 ; 4-byte Folded Spill
	buffer_store_dword v18, off, s[40:43], 0 offset:1608 ; 4-byte Folded Spill
	buffer_store_dword v19, off, s[40:43], 0 offset:1612 ; 4-byte Folded Spill
	buffer_store_dword v20, off, s[40:43], 0 offset:1616 ; 4-byte Folded Spill
	buffer_store_dword v21, off, s[40:43], 0 offset:1620 ; 4-byte Folded Spill
	buffer_store_dword v22, off, s[40:43], 0 offset:1624 ; 4-byte Folded Spill
	buffer_store_dword v23, off, s[40:43], 0 offset:1628 ; 4-byte Folded Spill
	buffer_store_dword v24, off, s[40:43], 0 offset:1632 ; 4-byte Folded Spill
	buffer_store_dword v25, off, s[40:43], 0 offset:1636 ; 4-byte Folded Spill
	buffer_store_dword v26, off, s[40:43], 0 offset:1640 ; 4-byte Folded Spill
	buffer_store_dword v27, off, s[40:43], 0 offset:1644 ; 4-byte Folded Spill
	buffer_store_dword v28, off, s[40:43], 0 offset:1648 ; 4-byte Folded Spill
	buffer_store_dword v29, off, s[40:43], 0 offset:1652 ; 4-byte Folded Spill
	buffer_store_dword v30, off, s[40:43], 0 offset:1656 ; 4-byte Folded Spill
	buffer_store_dword v31, off, s[40:43], 0 offset:1660 ; 4-byte Folded Spill
	v_cvt_f32_u32_sdwa v10, v67 dst_sel:DWORD dst_unused:UNUSED_PAD src0_sel:WORD_0
	v_cvt_f32_u32_sdwa v11, v67 dst_sel:DWORD dst_unused:UNUSED_PAD src0_sel:WORD_1
	buffer_store_dword v0, off, s[40:43], 0 offset:1408 ; 4-byte Folded Spill
	s_nop 0
	buffer_store_dword v1, off, s[40:43], 0 offset:1412 ; 4-byte Folded Spill
	buffer_store_dword v2, off, s[40:43], 0 offset:1416 ; 4-byte Folded Spill
	buffer_store_dword v3, off, s[40:43], 0 offset:1420 ; 4-byte Folded Spill
	buffer_store_dword v4, off, s[40:43], 0 offset:1424 ; 4-byte Folded Spill
	buffer_store_dword v5, off, s[40:43], 0 offset:1428 ; 4-byte Folded Spill
	buffer_store_dword v6, off, s[40:43], 0 offset:1432 ; 4-byte Folded Spill
	buffer_store_dword v7, off, s[40:43], 0 offset:1436 ; 4-byte Folded Spill
	buffer_store_dword v8, off, s[40:43], 0 offset:1440 ; 4-byte Folded Spill
	buffer_store_dword v9, off, s[40:43], 0 offset:1444 ; 4-byte Folded Spill
	buffer_store_dword v10, off, s[40:43], 0 offset:1448 ; 4-byte Folded Spill
	buffer_store_dword v11, off, s[40:43], 0 offset:1452 ; 4-byte Folded Spill
	buffer_store_dword v12, off, s[40:43], 0 offset:1456 ; 4-byte Folded Spill
	buffer_store_dword v13, off, s[40:43], 0 offset:1460 ; 4-byte Folded Spill
	buffer_store_dword v14, off, s[40:43], 0 offset:1464 ; 4-byte Folded Spill
	buffer_store_dword v15, off, s[40:43], 0 offset:1468 ; 4-byte Folded Spill
	buffer_store_dword v16, off, s[40:43], 0 offset:1472 ; 4-byte Folded Spill
	buffer_store_dword v17, off, s[40:43], 0 offset:1476 ; 4-byte Folded Spill
	buffer_store_dword v18, off, s[40:43], 0 offset:1480 ; 4-byte Folded Spill
	buffer_store_dword v19, off, s[40:43], 0 offset:1484 ; 4-byte Folded Spill
	buffer_store_dword v20, off, s[40:43], 0 offset:1488 ; 4-byte Folded Spill
	buffer_store_dword v21, off, s[40:43], 0 offset:1492 ; 4-byte Folded Spill
	buffer_store_dword v22, off, s[40:43], 0 offset:1496 ; 4-byte Folded Spill
	buffer_store_dword v23, off, s[40:43], 0 offset:1500 ; 4-byte Folded Spill
	buffer_store_dword v24, off, s[40:43], 0 offset:1504 ; 4-byte Folded Spill
	buffer_store_dword v25, off, s[40:43], 0 offset:1508 ; 4-byte Folded Spill
	buffer_store_dword v26, off, s[40:43], 0 offset:1512 ; 4-byte Folded Spill
	buffer_store_dword v27, off, s[40:43], 0 offset:1516 ; 4-byte Folded Spill
	buffer_store_dword v28, off, s[40:43], 0 offset:1520 ; 4-byte Folded Spill
	buffer_store_dword v29, off, s[40:43], 0 offset:1524 ; 4-byte Folded Spill
	buffer_store_dword v30, off, s[40:43], 0 offset:1528 ; 4-byte Folded Spill
	buffer_store_dword v31, off, s[40:43], 0 offset:1532 ; 4-byte Folded Spill
	v_cvt_f32_u32_sdwa v12, v68 dst_sel:DWORD dst_unused:UNUSED_PAD src0_sel:WORD_0
	v_cvt_f32_u32_sdwa v13, v68 dst_sel:DWORD dst_unused:UNUSED_PAD src0_sel:WORD_1
	buffer_store_dword v0, off, s[40:43], 0 offset:1280 ; 4-byte Folded Spill
	s_nop 0
	buffer_store_dword v1, off, s[40:43], 0 offset:1284 ; 4-byte Folded Spill
	buffer_store_dword v2, off, s[40:43], 0 offset:1288 ; 4-byte Folded Spill
	buffer_store_dword v3, off, s[40:43], 0 offset:1292 ; 4-byte Folded Spill
	buffer_store_dword v4, off, s[40:43], 0 offset:1296 ; 4-byte Folded Spill
	buffer_store_dword v5, off, s[40:43], 0 offset:1300 ; 4-byte Folded Spill
	buffer_store_dword v6, off, s[40:43], 0 offset:1304 ; 4-byte Folded Spill
	buffer_store_dword v7, off, s[40:43], 0 offset:1308 ; 4-byte Folded Spill
	buffer_store_dword v8, off, s[40:43], 0 offset:1312 ; 4-byte Folded Spill
	buffer_store_dword v9, off, s[40:43], 0 offset:1316 ; 4-byte Folded Spill
	buffer_store_dword v10, off, s[40:43], 0 offset:1320 ; 4-byte Folded Spill
	buffer_store_dword v11, off, s[40:43], 0 offset:1324 ; 4-byte Folded Spill
	buffer_store_dword v12, off, s[40:43], 0 offset:1328 ; 4-byte Folded Spill
	buffer_store_dword v13, off, s[40:43], 0 offset:1332 ; 4-byte Folded Spill
	buffer_store_dword v14, off, s[40:43], 0 offset:1336 ; 4-byte Folded Spill
	buffer_store_dword v15, off, s[40:43], 0 offset:1340 ; 4-byte Folded Spill
	buffer_store_dword v16, off, s[40:43], 0 offset:1344 ; 4-byte Folded Spill
	buffer_store_dword v17, off, s[40:43], 0 offset:1348 ; 4-byte Folded Spill
	buffer_store_dword v18, off, s[40:43], 0 offset:1352 ; 4-byte Folded Spill
	buffer_store_dword v19, off, s[40:43], 0 offset:1356 ; 4-byte Folded Spill
	buffer_store_dword v20, off, s[40:43], 0 offset:1360 ; 4-byte Folded Spill
	buffer_store_dword v21, off, s[40:43], 0 offset:1364 ; 4-byte Folded Spill
	buffer_store_dword v22, off, s[40:43], 0 offset:1368 ; 4-byte Folded Spill
	buffer_store_dword v23, off, s[40:43], 0 offset:1372 ; 4-byte Folded Spill
	buffer_store_dword v24, off, s[40:43], 0 offset:1376 ; 4-byte Folded Spill
	buffer_store_dword v25, off, s[40:43], 0 offset:1380 ; 4-byte Folded Spill
	buffer_store_dword v26, off, s[40:43], 0 offset:1384 ; 4-byte Folded Spill
	buffer_store_dword v27, off, s[40:43], 0 offset:1388 ; 4-byte Folded Spill
	buffer_store_dword v28, off, s[40:43], 0 offset:1392 ; 4-byte Folded Spill
	buffer_store_dword v29, off, s[40:43], 0 offset:1396 ; 4-byte Folded Spill
	buffer_store_dword v30, off, s[40:43], 0 offset:1400 ; 4-byte Folded Spill
	buffer_store_dword v31, off, s[40:43], 0 offset:1404 ; 4-byte Folded Spill
	v_cvt_f32_u32_sdwa v14, v69 dst_sel:DWORD dst_unused:UNUSED_PAD src0_sel:WORD_0
	v_cvt_f32_u32_sdwa v15, v69 dst_sel:DWORD dst_unused:UNUSED_PAD src0_sel:WORD_1
	buffer_store_dword v0, off, s[40:43], 0 offset:1024 ; 4-byte Folded Spill
	s_nop 0
	buffer_store_dword v1, off, s[40:43], 0 offset:1028 ; 4-byte Folded Spill
	buffer_store_dword v2, off, s[40:43], 0 offset:1032 ; 4-byte Folded Spill
	buffer_store_dword v3, off, s[40:43], 0 offset:1036 ; 4-byte Folded Spill
	buffer_store_dword v4, off, s[40:43], 0 offset:1040 ; 4-byte Folded Spill
	buffer_store_dword v5, off, s[40:43], 0 offset:1044 ; 4-byte Folded Spill
	buffer_store_dword v6, off, s[40:43], 0 offset:1048 ; 4-byte Folded Spill
	buffer_store_dword v7, off, s[40:43], 0 offset:1052 ; 4-byte Folded Spill
	buffer_store_dword v8, off, s[40:43], 0 offset:1056 ; 4-byte Folded Spill
	buffer_store_dword v9, off, s[40:43], 0 offset:1060 ; 4-byte Folded Spill
	buffer_store_dword v10, off, s[40:43], 0 offset:1064 ; 4-byte Folded Spill
	buffer_store_dword v11, off, s[40:43], 0 offset:1068 ; 4-byte Folded Spill
	buffer_store_dword v12, off, s[40:43], 0 offset:1072 ; 4-byte Folded Spill
	buffer_store_dword v13, off, s[40:43], 0 offset:1076 ; 4-byte Folded Spill
	buffer_store_dword v14, off, s[40:43], 0 offset:1080 ; 4-byte Folded Spill
	buffer_store_dword v15, off, s[40:43], 0 offset:1084 ; 4-byte Folded Spill
	buffer_store_dword v16, off, s[40:43], 0 offset:1088 ; 4-byte Folded Spill
	buffer_store_dword v17, off, s[40:43], 0 offset:1092 ; 4-byte Folded Spill
	buffer_store_dword v18, off, s[40:43], 0 offset:1096 ; 4-byte Folded Spill
	buffer_store_dword v19, off, s[40:43], 0 offset:1100 ; 4-byte Folded Spill
	buffer_store_dword v20, off, s[40:43], 0 offset:1104 ; 4-byte Folded Spill
	buffer_store_dword v21, off, s[40:43], 0 offset:1108 ; 4-byte Folded Spill
	buffer_store_dword v22, off, s[40:43], 0 offset:1112 ; 4-byte Folded Spill
	buffer_store_dword v23, off, s[40:43], 0 offset:1116 ; 4-byte Folded Spill
	buffer_store_dword v24, off, s[40:43], 0 offset:1120 ; 4-byte Folded Spill
	buffer_store_dword v25, off, s[40:43], 0 offset:1124 ; 4-byte Folded Spill
	buffer_store_dword v26, off, s[40:43], 0 offset:1128 ; 4-byte Folded Spill
	buffer_store_dword v27, off, s[40:43], 0 offset:1132 ; 4-byte Folded Spill
	buffer_store_dword v28, off, s[40:43], 0 offset:1136 ; 4-byte Folded Spill
	buffer_store_dword v29, off, s[40:43], 0 offset:1140 ; 4-byte Folded Spill
	buffer_store_dword v30, off, s[40:43], 0 offset:1144 ; 4-byte Folded Spill
	buffer_store_dword v31, off, s[40:43], 0 offset:1148 ; 4-byte Folded Spill
	v_cvt_f32_u32_sdwa v16, v98 dst_sel:DWORD dst_unused:UNUSED_PAD src0_sel:WORD_0
	v_cvt_f32_u32_sdwa v17, v98 dst_sel:DWORD dst_unused:UNUSED_PAD src0_sel:WORD_1
	buffer_store_dword v0, off, s[40:43], 0 offset:1152 ; 4-byte Folded Spill
	s_nop 0
	buffer_store_dword v1, off, s[40:43], 0 offset:1156 ; 4-byte Folded Spill
	buffer_store_dword v2, off, s[40:43], 0 offset:1160 ; 4-byte Folded Spill
	buffer_store_dword v3, off, s[40:43], 0 offset:1164 ; 4-byte Folded Spill
	buffer_store_dword v4, off, s[40:43], 0 offset:1168 ; 4-byte Folded Spill
	buffer_store_dword v5, off, s[40:43], 0 offset:1172 ; 4-byte Folded Spill
	buffer_store_dword v6, off, s[40:43], 0 offset:1176 ; 4-byte Folded Spill
	buffer_store_dword v7, off, s[40:43], 0 offset:1180 ; 4-byte Folded Spill
	buffer_store_dword v8, off, s[40:43], 0 offset:1184 ; 4-byte Folded Spill
	buffer_store_dword v9, off, s[40:43], 0 offset:1188 ; 4-byte Folded Spill
	buffer_store_dword v10, off, s[40:43], 0 offset:1192 ; 4-byte Folded Spill
	buffer_store_dword v11, off, s[40:43], 0 offset:1196 ; 4-byte Folded Spill
	buffer_store_dword v12, off, s[40:43], 0 offset:1200 ; 4-byte Folded Spill
	buffer_store_dword v13, off, s[40:43], 0 offset:1204 ; 4-byte Folded Spill
	buffer_store_dword v14, off, s[40:43], 0 offset:1208 ; 4-byte Folded Spill
	buffer_store_dword v15, off, s[40:43], 0 offset:1212 ; 4-byte Folded Spill
	buffer_store_dword v16, off, s[40:43], 0 offset:1216 ; 4-byte Folded Spill
	buffer_store_dword v17, off, s[40:43], 0 offset:1220 ; 4-byte Folded Spill
	buffer_store_dword v18, off, s[40:43], 0 offset:1224 ; 4-byte Folded Spill
	buffer_store_dword v19, off, s[40:43], 0 offset:1228 ; 4-byte Folded Spill
	buffer_store_dword v20, off, s[40:43], 0 offset:1232 ; 4-byte Folded Spill
	buffer_store_dword v21, off, s[40:43], 0 offset:1236 ; 4-byte Folded Spill
	buffer_store_dword v22, off, s[40:43], 0 offset:1240 ; 4-byte Folded Spill
	buffer_store_dword v23, off, s[40:43], 0 offset:1244 ; 4-byte Folded Spill
	buffer_store_dword v24, off, s[40:43], 0 offset:1248 ; 4-byte Folded Spill
	buffer_store_dword v25, off, s[40:43], 0 offset:1252 ; 4-byte Folded Spill
	buffer_store_dword v26, off, s[40:43], 0 offset:1256 ; 4-byte Folded Spill
	buffer_store_dword v27, off, s[40:43], 0 offset:1260 ; 4-byte Folded Spill
	buffer_store_dword v28, off, s[40:43], 0 offset:1264 ; 4-byte Folded Spill
	buffer_store_dword v29, off, s[40:43], 0 offset:1268 ; 4-byte Folded Spill
	buffer_store_dword v30, off, s[40:43], 0 offset:1272 ; 4-byte Folded Spill
	buffer_store_dword v31, off, s[40:43], 0 offset:1276 ; 4-byte Folded Spill
	v_cvt_f32_u32_sdwa v18, v99 dst_sel:DWORD dst_unused:UNUSED_PAD src0_sel:WORD_0
	v_cvt_f32_u32_sdwa v19, v99 dst_sel:DWORD dst_unused:UNUSED_PAD src0_sel:WORD_1
	buffer_store_dword v0, off, s[40:43], 0 offset:896 ; 4-byte Folded Spill
	s_nop 0
	buffer_store_dword v1, off, s[40:43], 0 offset:900 ; 4-byte Folded Spill
	buffer_store_dword v2, off, s[40:43], 0 offset:904 ; 4-byte Folded Spill
	buffer_store_dword v3, off, s[40:43], 0 offset:908 ; 4-byte Folded Spill
	buffer_store_dword v4, off, s[40:43], 0 offset:912 ; 4-byte Folded Spill
	buffer_store_dword v5, off, s[40:43], 0 offset:916 ; 4-byte Folded Spill
	buffer_store_dword v6, off, s[40:43], 0 offset:920 ; 4-byte Folded Spill
	buffer_store_dword v7, off, s[40:43], 0 offset:924 ; 4-byte Folded Spill
	buffer_store_dword v8, off, s[40:43], 0 offset:928 ; 4-byte Folded Spill
	buffer_store_dword v9, off, s[40:43], 0 offset:932 ; 4-byte Folded Spill
	buffer_store_dword v10, off, s[40:43], 0 offset:936 ; 4-byte Folded Spill
	buffer_store_dword v11, off, s[40:43], 0 offset:940 ; 4-byte Folded Spill
	buffer_store_dword v12, off, s[40:43], 0 offset:944 ; 4-byte Folded Spill
	buffer_store_dword v13, off, s[40:43], 0 offset:948 ; 4-byte Folded Spill
	buffer_store_dword v14, off, s[40:43], 0 offset:952 ; 4-byte Folded Spill
	buffer_store_dword v15, off, s[40:43], 0 offset:956 ; 4-byte Folded Spill
	buffer_store_dword v16, off, s[40:43], 0 offset:960 ; 4-byte Folded Spill
	buffer_store_dword v17, off, s[40:43], 0 offset:964 ; 4-byte Folded Spill
	buffer_store_dword v18, off, s[40:43], 0 offset:968 ; 4-byte Folded Spill
	buffer_store_dword v19, off, s[40:43], 0 offset:972 ; 4-byte Folded Spill
	buffer_store_dword v20, off, s[40:43], 0 offset:976 ; 4-byte Folded Spill
	buffer_store_dword v21, off, s[40:43], 0 offset:980 ; 4-byte Folded Spill
	buffer_store_dword v22, off, s[40:43], 0 offset:984 ; 4-byte Folded Spill
	buffer_store_dword v23, off, s[40:43], 0 offset:988 ; 4-byte Folded Spill
	buffer_store_dword v24, off, s[40:43], 0 offset:992 ; 4-byte Folded Spill
	buffer_store_dword v25, off, s[40:43], 0 offset:996 ; 4-byte Folded Spill
	buffer_store_dword v26, off, s[40:43], 0 offset:1000 ; 4-byte Folded Spill
	buffer_store_dword v27, off, s[40:43], 0 offset:1004 ; 4-byte Folded Spill
	buffer_store_dword v28, off, s[40:43], 0 offset:1008 ; 4-byte Folded Spill
	buffer_store_dword v29, off, s[40:43], 0 offset:1012 ; 4-byte Folded Spill
	buffer_store_dword v30, off, s[40:43], 0 offset:1016 ; 4-byte Folded Spill
	buffer_store_dword v31, off, s[40:43], 0 offset:1020 ; 4-byte Folded Spill
	v_cvt_f32_u32_sdwa v20, v100 dst_sel:DWORD dst_unused:UNUSED_PAD src0_sel:WORD_0
	v_cvt_f32_u32_sdwa v21, v100 dst_sel:DWORD dst_unused:UNUSED_PAD src0_sel:WORD_1
	buffer_store_dword v0, off, s[40:43], 0 offset:768 ; 4-byte Folded Spill
	s_nop 0
	buffer_store_dword v1, off, s[40:43], 0 offset:772 ; 4-byte Folded Spill
	buffer_store_dword v2, off, s[40:43], 0 offset:776 ; 4-byte Folded Spill
	buffer_store_dword v3, off, s[40:43], 0 offset:780 ; 4-byte Folded Spill
	buffer_store_dword v4, off, s[40:43], 0 offset:784 ; 4-byte Folded Spill
	buffer_store_dword v5, off, s[40:43], 0 offset:788 ; 4-byte Folded Spill
	buffer_store_dword v6, off, s[40:43], 0 offset:792 ; 4-byte Folded Spill
	buffer_store_dword v7, off, s[40:43], 0 offset:796 ; 4-byte Folded Spill
	buffer_store_dword v8, off, s[40:43], 0 offset:800 ; 4-byte Folded Spill
	buffer_store_dword v9, off, s[40:43], 0 offset:804 ; 4-byte Folded Spill
	buffer_store_dword v10, off, s[40:43], 0 offset:808 ; 4-byte Folded Spill
	buffer_store_dword v11, off, s[40:43], 0 offset:812 ; 4-byte Folded Spill
	buffer_store_dword v12, off, s[40:43], 0 offset:816 ; 4-byte Folded Spill
	buffer_store_dword v13, off, s[40:43], 0 offset:820 ; 4-byte Folded Spill
	buffer_store_dword v14, off, s[40:43], 0 offset:824 ; 4-byte Folded Spill
	buffer_store_dword v15, off, s[40:43], 0 offset:828 ; 4-byte Folded Spill
	buffer_store_dword v16, off, s[40:43], 0 offset:832 ; 4-byte Folded Spill
	buffer_store_dword v17, off, s[40:43], 0 offset:836 ; 4-byte Folded Spill
	buffer_store_dword v18, off, s[40:43], 0 offset:840 ; 4-byte Folded Spill
	buffer_store_dword v19, off, s[40:43], 0 offset:844 ; 4-byte Folded Spill
	buffer_store_dword v20, off, s[40:43], 0 offset:848 ; 4-byte Folded Spill
	buffer_store_dword v21, off, s[40:43], 0 offset:852 ; 4-byte Folded Spill
	buffer_store_dword v22, off, s[40:43], 0 offset:856 ; 4-byte Folded Spill
	buffer_store_dword v23, off, s[40:43], 0 offset:860 ; 4-byte Folded Spill
	buffer_store_dword v24, off, s[40:43], 0 offset:864 ; 4-byte Folded Spill
	buffer_store_dword v25, off, s[40:43], 0 offset:868 ; 4-byte Folded Spill
	buffer_store_dword v26, off, s[40:43], 0 offset:872 ; 4-byte Folded Spill
	buffer_store_dword v27, off, s[40:43], 0 offset:876 ; 4-byte Folded Spill
	buffer_store_dword v28, off, s[40:43], 0 offset:880 ; 4-byte Folded Spill
	buffer_store_dword v29, off, s[40:43], 0 offset:884 ; 4-byte Folded Spill
	buffer_store_dword v30, off, s[40:43], 0 offset:888 ; 4-byte Folded Spill
	buffer_store_dword v31, off, s[40:43], 0 offset:892 ; 4-byte Folded Spill
	v_cvt_f32_u32_sdwa v22, v101 dst_sel:DWORD dst_unused:UNUSED_PAD src0_sel:WORD_0
	v_cvt_f32_u32_sdwa v23, v101 dst_sel:DWORD dst_unused:UNUSED_PAD src0_sel:WORD_1
	buffer_store_dword v0, off, s[40:43], 0 offset:512 ; 4-byte Folded Spill
	s_nop 0
	buffer_store_dword v1, off, s[40:43], 0 offset:516 ; 4-byte Folded Spill
	buffer_store_dword v2, off, s[40:43], 0 offset:520 ; 4-byte Folded Spill
	buffer_store_dword v3, off, s[40:43], 0 offset:524 ; 4-byte Folded Spill
	buffer_store_dword v4, off, s[40:43], 0 offset:528 ; 4-byte Folded Spill
	buffer_store_dword v5, off, s[40:43], 0 offset:532 ; 4-byte Folded Spill
	buffer_store_dword v6, off, s[40:43], 0 offset:536 ; 4-byte Folded Spill
	buffer_store_dword v7, off, s[40:43], 0 offset:540 ; 4-byte Folded Spill
	buffer_store_dword v8, off, s[40:43], 0 offset:544 ; 4-byte Folded Spill
	buffer_store_dword v9, off, s[40:43], 0 offset:548 ; 4-byte Folded Spill
	buffer_store_dword v10, off, s[40:43], 0 offset:552 ; 4-byte Folded Spill
	buffer_store_dword v11, off, s[40:43], 0 offset:556 ; 4-byte Folded Spill
	buffer_store_dword v12, off, s[40:43], 0 offset:560 ; 4-byte Folded Spill
	buffer_store_dword v13, off, s[40:43], 0 offset:564 ; 4-byte Folded Spill
	buffer_store_dword v14, off, s[40:43], 0 offset:568 ; 4-byte Folded Spill
	buffer_store_dword v15, off, s[40:43], 0 offset:572 ; 4-byte Folded Spill
	buffer_store_dword v16, off, s[40:43], 0 offset:576 ; 4-byte Folded Spill
	buffer_store_dword v17, off, s[40:43], 0 offset:580 ; 4-byte Folded Spill
	buffer_store_dword v18, off, s[40:43], 0 offset:584 ; 4-byte Folded Spill
	buffer_store_dword v19, off, s[40:43], 0 offset:588 ; 4-byte Folded Spill
	buffer_store_dword v20, off, s[40:43], 0 offset:592 ; 4-byte Folded Spill
	buffer_store_dword v21, off, s[40:43], 0 offset:596 ; 4-byte Folded Spill
	buffer_store_dword v22, off, s[40:43], 0 offset:600 ; 4-byte Folded Spill
	buffer_store_dword v23, off, s[40:43], 0 offset:604 ; 4-byte Folded Spill
	buffer_store_dword v24, off, s[40:43], 0 offset:608 ; 4-byte Folded Spill
	buffer_store_dword v25, off, s[40:43], 0 offset:612 ; 4-byte Folded Spill
	buffer_store_dword v26, off, s[40:43], 0 offset:616 ; 4-byte Folded Spill
	buffer_store_dword v27, off, s[40:43], 0 offset:620 ; 4-byte Folded Spill
	buffer_store_dword v28, off, s[40:43], 0 offset:624 ; 4-byte Folded Spill
	buffer_store_dword v29, off, s[40:43], 0 offset:628 ; 4-byte Folded Spill
	buffer_store_dword v30, off, s[40:43], 0 offset:632 ; 4-byte Folded Spill
	buffer_store_dword v31, off, s[40:43], 0 offset:636 ; 4-byte Folded Spill
	v_cvt_f32_u32_sdwa v24, v124 dst_sel:DWORD dst_unused:UNUSED_PAD src0_sel:WORD_0
	v_cvt_f32_u32_sdwa v25, v124 dst_sel:DWORD dst_unused:UNUSED_PAD src0_sel:WORD_1
	buffer_store_dword v0, off, s[40:43], 0 offset:640 ; 4-byte Folded Spill
	s_nop 0
	buffer_store_dword v1, off, s[40:43], 0 offset:644 ; 4-byte Folded Spill
	buffer_store_dword v2, off, s[40:43], 0 offset:648 ; 4-byte Folded Spill
	buffer_store_dword v3, off, s[40:43], 0 offset:652 ; 4-byte Folded Spill
	buffer_store_dword v4, off, s[40:43], 0 offset:656 ; 4-byte Folded Spill
	buffer_store_dword v5, off, s[40:43], 0 offset:660 ; 4-byte Folded Spill
	buffer_store_dword v6, off, s[40:43], 0 offset:664 ; 4-byte Folded Spill
	buffer_store_dword v7, off, s[40:43], 0 offset:668 ; 4-byte Folded Spill
	buffer_store_dword v8, off, s[40:43], 0 offset:672 ; 4-byte Folded Spill
	buffer_store_dword v9, off, s[40:43], 0 offset:676 ; 4-byte Folded Spill
	buffer_store_dword v10, off, s[40:43], 0 offset:680 ; 4-byte Folded Spill
	buffer_store_dword v11, off, s[40:43], 0 offset:684 ; 4-byte Folded Spill
	buffer_store_dword v12, off, s[40:43], 0 offset:688 ; 4-byte Folded Spill
	buffer_store_dword v13, off, s[40:43], 0 offset:692 ; 4-byte Folded Spill
	buffer_store_dword v14, off, s[40:43], 0 offset:696 ; 4-byte Folded Spill
	buffer_store_dword v15, off, s[40:43], 0 offset:700 ; 4-byte Folded Spill
	buffer_store_dword v16, off, s[40:43], 0 offset:704 ; 4-byte Folded Spill
	buffer_store_dword v17, off, s[40:43], 0 offset:708 ; 4-byte Folded Spill
	buffer_store_dword v18, off, s[40:43], 0 offset:712 ; 4-byte Folded Spill
	buffer_store_dword v19, off, s[40:43], 0 offset:716 ; 4-byte Folded Spill
	buffer_store_dword v20, off, s[40:43], 0 offset:720 ; 4-byte Folded Spill
	buffer_store_dword v21, off, s[40:43], 0 offset:724 ; 4-byte Folded Spill
	buffer_store_dword v22, off, s[40:43], 0 offset:728 ; 4-byte Folded Spill
	buffer_store_dword v23, off, s[40:43], 0 offset:732 ; 4-byte Folded Spill
	buffer_store_dword v24, off, s[40:43], 0 offset:736 ; 4-byte Folded Spill
	buffer_store_dword v25, off, s[40:43], 0 offset:740 ; 4-byte Folded Spill
	buffer_store_dword v26, off, s[40:43], 0 offset:744 ; 4-byte Folded Spill
	buffer_store_dword v27, off, s[40:43], 0 offset:748 ; 4-byte Folded Spill
	buffer_store_dword v28, off, s[40:43], 0 offset:752 ; 4-byte Folded Spill
	buffer_store_dword v29, off, s[40:43], 0 offset:756 ; 4-byte Folded Spill
	buffer_store_dword v30, off, s[40:43], 0 offset:760 ; 4-byte Folded Spill
	buffer_store_dword v31, off, s[40:43], 0 offset:764 ; 4-byte Folded Spill
	v_cvt_f32_u32_sdwa v26, v125 dst_sel:DWORD dst_unused:UNUSED_PAD src0_sel:WORD_0
	v_cvt_f32_u32_sdwa v27, v125 dst_sel:DWORD dst_unused:UNUSED_PAD src0_sel:WORD_1
	buffer_store_dword v0, off, s[40:43], 0 offset:384 ; 4-byte Folded Spill
	s_nop 0
	buffer_store_dword v1, off, s[40:43], 0 offset:388 ; 4-byte Folded Spill
	buffer_store_dword v2, off, s[40:43], 0 offset:392 ; 4-byte Folded Spill
	buffer_store_dword v3, off, s[40:43], 0 offset:396 ; 4-byte Folded Spill
	buffer_store_dword v4, off, s[40:43], 0 offset:400 ; 4-byte Folded Spill
	buffer_store_dword v5, off, s[40:43], 0 offset:404 ; 4-byte Folded Spill
	buffer_store_dword v6, off, s[40:43], 0 offset:408 ; 4-byte Folded Spill
	buffer_store_dword v7, off, s[40:43], 0 offset:412 ; 4-byte Folded Spill
	buffer_store_dword v8, off, s[40:43], 0 offset:416 ; 4-byte Folded Spill
	buffer_store_dword v9, off, s[40:43], 0 offset:420 ; 4-byte Folded Spill
	buffer_store_dword v10, off, s[40:43], 0 offset:424 ; 4-byte Folded Spill
	buffer_store_dword v11, off, s[40:43], 0 offset:428 ; 4-byte Folded Spill
	buffer_store_dword v12, off, s[40:43], 0 offset:432 ; 4-byte Folded Spill
	buffer_store_dword v13, off, s[40:43], 0 offset:436 ; 4-byte Folded Spill
	buffer_store_dword v14, off, s[40:43], 0 offset:440 ; 4-byte Folded Spill
	buffer_store_dword v15, off, s[40:43], 0 offset:444 ; 4-byte Folded Spill
	buffer_store_dword v16, off, s[40:43], 0 offset:448 ; 4-byte Folded Spill
	buffer_store_dword v17, off, s[40:43], 0 offset:452 ; 4-byte Folded Spill
	buffer_store_dword v18, off, s[40:43], 0 offset:456 ; 4-byte Folded Spill
	buffer_store_dword v19, off, s[40:43], 0 offset:460 ; 4-byte Folded Spill
	buffer_store_dword v20, off, s[40:43], 0 offset:464 ; 4-byte Folded Spill
	buffer_store_dword v21, off, s[40:43], 0 offset:468 ; 4-byte Folded Spill
	buffer_store_dword v22, off, s[40:43], 0 offset:472 ; 4-byte Folded Spill
	buffer_store_dword v23, off, s[40:43], 0 offset:476 ; 4-byte Folded Spill
	buffer_store_dword v24, off, s[40:43], 0 offset:480 ; 4-byte Folded Spill
	buffer_store_dword v25, off, s[40:43], 0 offset:484 ; 4-byte Folded Spill
	buffer_store_dword v26, off, s[40:43], 0 offset:488 ; 4-byte Folded Spill
	buffer_store_dword v27, off, s[40:43], 0 offset:492 ; 4-byte Folded Spill
	buffer_store_dword v28, off, s[40:43], 0 offset:496 ; 4-byte Folded Spill
	buffer_store_dword v29, off, s[40:43], 0 offset:500 ; 4-byte Folded Spill
	buffer_store_dword v30, off, s[40:43], 0 offset:504 ; 4-byte Folded Spill
	buffer_store_dword v31, off, s[40:43], 0 offset:508 ; 4-byte Folded Spill
	v_cvt_f32_u32_sdwa v28, v126 dst_sel:DWORD dst_unused:UNUSED_PAD src0_sel:WORD_0
	v_cvt_f32_u32_sdwa v29, v126 dst_sel:DWORD dst_unused:UNUSED_PAD src0_sel:WORD_1
	buffer_store_dword v0, off, s[40:43], 0 offset:256 ; 4-byte Folded Spill
	s_nop 0
	buffer_store_dword v1, off, s[40:43], 0 offset:260 ; 4-byte Folded Spill
	buffer_store_dword v2, off, s[40:43], 0 offset:264 ; 4-byte Folded Spill
	;; [unrolled: 1-line block ×31, first 2 shown]
.LBB82_6:
	s_or_b64 exec, exec, s[2:3]
	s_cbranch_execz .LBB82_8
	s_branch .LBB82_11
.LBB82_7:
                                        ; implicit-def: $vgpr2_vgpr3_vgpr4_vgpr5_vgpr6_vgpr7_vgpr8_vgpr9_vgpr10_vgpr11_vgpr12_vgpr13_vgpr14_vgpr15_vgpr16_vgpr17_vgpr18_vgpr19_vgpr20_vgpr21_vgpr22_vgpr23_vgpr24_vgpr25_vgpr26_vgpr27_vgpr28_vgpr29_vgpr30_vgpr31_vgpr32_vgpr33
                                        ; kill: killed $vgpr2_vgpr3_vgpr4_vgpr5_vgpr6_vgpr7_vgpr8_vgpr9_vgpr10_vgpr11_vgpr12_vgpr13_vgpr14_vgpr15_vgpr16_vgpr17_vgpr18_vgpr19_vgpr20_vgpr21_vgpr22_vgpr23_vgpr24_vgpr25_vgpr26_vgpr27_vgpr28_vgpr29_vgpr30_vgpr31_vgpr32_vgpr33
                                        ; implicit-def: $vgpr2_vgpr3_vgpr4_vgpr5_vgpr6_vgpr7_vgpr8_vgpr9_vgpr10_vgpr11_vgpr12_vgpr13_vgpr14_vgpr15_vgpr16_vgpr17_vgpr18_vgpr19_vgpr20_vgpr21_vgpr22_vgpr23_vgpr24_vgpr25_vgpr26_vgpr27_vgpr28_vgpr29_vgpr30_vgpr31_vgpr32_vgpr33
                                        ; kill: killed $vgpr2_vgpr3_vgpr4_vgpr5_vgpr6_vgpr7_vgpr8_vgpr9_vgpr10_vgpr11_vgpr12_vgpr13_vgpr14_vgpr15_vgpr16_vgpr17_vgpr18_vgpr19_vgpr20_vgpr21_vgpr22_vgpr23_vgpr24_vgpr25_vgpr26_vgpr27_vgpr28_vgpr29_vgpr30_vgpr31_vgpr32_vgpr33
                                        ; implicit-def: $vgpr71
                                        ; implicit-def: $vgpr34_vgpr35_vgpr36_vgpr37_vgpr38_vgpr39_vgpr40_vgpr41_vgpr42_vgpr43_vgpr44_vgpr45_vgpr46_vgpr47_vgpr48_vgpr49_vgpr50_vgpr51_vgpr52_vgpr53_vgpr54_vgpr55_vgpr56_vgpr57_vgpr58_vgpr59_vgpr60_vgpr61_vgpr62_vgpr63_vgpr64_vgpr65
                                        ; implicit-def: $vgpr2_vgpr3_vgpr4_vgpr5_vgpr6_vgpr7_vgpr8_vgpr9_vgpr10_vgpr11_vgpr12_vgpr13_vgpr14_vgpr15_vgpr16_vgpr17_vgpr18_vgpr19_vgpr20_vgpr21_vgpr22_vgpr23_vgpr24_vgpr25_vgpr26_vgpr27_vgpr28_vgpr29_vgpr30_vgpr31_vgpr32_vgpr33
                                        ; kill: killed $vgpr2_vgpr3_vgpr4_vgpr5_vgpr6_vgpr7_vgpr8_vgpr9_vgpr10_vgpr11_vgpr12_vgpr13_vgpr14_vgpr15_vgpr16_vgpr17_vgpr18_vgpr19_vgpr20_vgpr21_vgpr22_vgpr23_vgpr24_vgpr25_vgpr26_vgpr27_vgpr28_vgpr29_vgpr30_vgpr31_vgpr32_vgpr33
                                        ; implicit-def: $vgpr2_vgpr3_vgpr4_vgpr5_vgpr6_vgpr7_vgpr8_vgpr9_vgpr10_vgpr11_vgpr12_vgpr13_vgpr14_vgpr15_vgpr16_vgpr17_vgpr18_vgpr19_vgpr20_vgpr21_vgpr22_vgpr23_vgpr24_vgpr25_vgpr26_vgpr27_vgpr28_vgpr29_vgpr30_vgpr31_vgpr32_vgpr33
                                        ; kill: killed $vgpr2_vgpr3_vgpr4_vgpr5_vgpr6_vgpr7_vgpr8_vgpr9_vgpr10_vgpr11_vgpr12_vgpr13_vgpr14_vgpr15_vgpr16_vgpr17_vgpr18_vgpr19_vgpr20_vgpr21_vgpr22_vgpr23_vgpr24_vgpr25_vgpr26_vgpr27_vgpr28_vgpr29_vgpr30_vgpr31_vgpr32_vgpr33
	;; [unrolled: 2-line block ×12, first 2 shown]
.LBB82_8:
	v_mov_b32_e32 v29, 0
	v_mov_b32_e32 v28, 0
	buffer_store_dword v0, off, s[40:43], 0 offset:256 ; 4-byte Folded Spill
	s_nop 0
	buffer_store_dword v1, off, s[40:43], 0 offset:260 ; 4-byte Folded Spill
	buffer_store_dword v2, off, s[40:43], 0 offset:264 ; 4-byte Folded Spill
	;; [unrolled: 1-line block ×31, first 2 shown]
	v_mov_b32_e32 v27, 0
	v_mov_b32_e32 v26, 0
	;; [unrolled: 1-line block ×6, first 2 shown]
	buffer_store_dword v0, off, s[40:43], 0 offset:384 ; 4-byte Folded Spill
	s_nop 0
	buffer_store_dword v1, off, s[40:43], 0 offset:388 ; 4-byte Folded Spill
	buffer_store_dword v2, off, s[40:43], 0 offset:392 ; 4-byte Folded Spill
	buffer_store_dword v3, off, s[40:43], 0 offset:396 ; 4-byte Folded Spill
	buffer_store_dword v4, off, s[40:43], 0 offset:400 ; 4-byte Folded Spill
	buffer_store_dword v5, off, s[40:43], 0 offset:404 ; 4-byte Folded Spill
	buffer_store_dword v6, off, s[40:43], 0 offset:408 ; 4-byte Folded Spill
	buffer_store_dword v7, off, s[40:43], 0 offset:412 ; 4-byte Folded Spill
	buffer_store_dword v8, off, s[40:43], 0 offset:416 ; 4-byte Folded Spill
	buffer_store_dword v9, off, s[40:43], 0 offset:420 ; 4-byte Folded Spill
	buffer_store_dword v10, off, s[40:43], 0 offset:424 ; 4-byte Folded Spill
	buffer_store_dword v11, off, s[40:43], 0 offset:428 ; 4-byte Folded Spill
	buffer_store_dword v12, off, s[40:43], 0 offset:432 ; 4-byte Folded Spill
	buffer_store_dword v13, off, s[40:43], 0 offset:436 ; 4-byte Folded Spill
	buffer_store_dword v14, off, s[40:43], 0 offset:440 ; 4-byte Folded Spill
	buffer_store_dword v15, off, s[40:43], 0 offset:444 ; 4-byte Folded Spill
	buffer_store_dword v16, off, s[40:43], 0 offset:448 ; 4-byte Folded Spill
	buffer_store_dword v17, off, s[40:43], 0 offset:452 ; 4-byte Folded Spill
	buffer_store_dword v18, off, s[40:43], 0 offset:456 ; 4-byte Folded Spill
	buffer_store_dword v19, off, s[40:43], 0 offset:460 ; 4-byte Folded Spill
	buffer_store_dword v20, off, s[40:43], 0 offset:464 ; 4-byte Folded Spill
	buffer_store_dword v21, off, s[40:43], 0 offset:468 ; 4-byte Folded Spill
	buffer_store_dword v22, off, s[40:43], 0 offset:472 ; 4-byte Folded Spill
	buffer_store_dword v23, off, s[40:43], 0 offset:476 ; 4-byte Folded Spill
	buffer_store_dword v24, off, s[40:43], 0 offset:480 ; 4-byte Folded Spill
	buffer_store_dword v25, off, s[40:43], 0 offset:484 ; 4-byte Folded Spill
	buffer_store_dword v26, off, s[40:43], 0 offset:488 ; 4-byte Folded Spill
	buffer_store_dword v27, off, s[40:43], 0 offset:492 ; 4-byte Folded Spill
	buffer_store_dword v28, off, s[40:43], 0 offset:496 ; 4-byte Folded Spill
	buffer_store_dword v29, off, s[40:43], 0 offset:500 ; 4-byte Folded Spill
	buffer_store_dword v30, off, s[40:43], 0 offset:504 ; 4-byte Folded Spill
	buffer_store_dword v31, off, s[40:43], 0 offset:508 ; 4-byte Folded Spill
	v_mov_b32_e32 v25, 0
	v_mov_b32_e32 v24, 0
	buffer_store_dword v0, off, s[40:43], 0 offset:640 ; 4-byte Folded Spill
	s_nop 0
	buffer_store_dword v1, off, s[40:43], 0 offset:644 ; 4-byte Folded Spill
	buffer_store_dword v2, off, s[40:43], 0 offset:648 ; 4-byte Folded Spill
	buffer_store_dword v3, off, s[40:43], 0 offset:652 ; 4-byte Folded Spill
	buffer_store_dword v4, off, s[40:43], 0 offset:656 ; 4-byte Folded Spill
	buffer_store_dword v5, off, s[40:43], 0 offset:660 ; 4-byte Folded Spill
	buffer_store_dword v6, off, s[40:43], 0 offset:664 ; 4-byte Folded Spill
	buffer_store_dword v7, off, s[40:43], 0 offset:668 ; 4-byte Folded Spill
	buffer_store_dword v8, off, s[40:43], 0 offset:672 ; 4-byte Folded Spill
	buffer_store_dword v9, off, s[40:43], 0 offset:676 ; 4-byte Folded Spill
	buffer_store_dword v10, off, s[40:43], 0 offset:680 ; 4-byte Folded Spill
	buffer_store_dword v11, off, s[40:43], 0 offset:684 ; 4-byte Folded Spill
	buffer_store_dword v12, off, s[40:43], 0 offset:688 ; 4-byte Folded Spill
	buffer_store_dword v13, off, s[40:43], 0 offset:692 ; 4-byte Folded Spill
	buffer_store_dword v14, off, s[40:43], 0 offset:696 ; 4-byte Folded Spill
	buffer_store_dword v15, off, s[40:43], 0 offset:700 ; 4-byte Folded Spill
	buffer_store_dword v16, off, s[40:43], 0 offset:704 ; 4-byte Folded Spill
	buffer_store_dword v17, off, s[40:43], 0 offset:708 ; 4-byte Folded Spill
	buffer_store_dword v18, off, s[40:43], 0 offset:712 ; 4-byte Folded Spill
	buffer_store_dword v19, off, s[40:43], 0 offset:716 ; 4-byte Folded Spill
	buffer_store_dword v20, off, s[40:43], 0 offset:720 ; 4-byte Folded Spill
	buffer_store_dword v21, off, s[40:43], 0 offset:724 ; 4-byte Folded Spill
	buffer_store_dword v22, off, s[40:43], 0 offset:728 ; 4-byte Folded Spill
	buffer_store_dword v23, off, s[40:43], 0 offset:732 ; 4-byte Folded Spill
	buffer_store_dword v24, off, s[40:43], 0 offset:736 ; 4-byte Folded Spill
	buffer_store_dword v25, off, s[40:43], 0 offset:740 ; 4-byte Folded Spill
	buffer_store_dword v26, off, s[40:43], 0 offset:744 ; 4-byte Folded Spill
	buffer_store_dword v27, off, s[40:43], 0 offset:748 ; 4-byte Folded Spill
	buffer_store_dword v28, off, s[40:43], 0 offset:752 ; 4-byte Folded Spill
	buffer_store_dword v29, off, s[40:43], 0 offset:756 ; 4-byte Folded Spill
	buffer_store_dword v30, off, s[40:43], 0 offset:760 ; 4-byte Folded Spill
	buffer_store_dword v31, off, s[40:43], 0 offset:764 ; 4-byte Folded Spill
	v_mov_b32_e32 v23, 0
	v_mov_b32_e32 v22, 0
	;; [unrolled: 35-line block ×11, first 2 shown]
	buffer_store_dword v0, off, s[40:43], 0 ; 4-byte Folded Spill
	s_nop 0
	buffer_store_dword v1, off, s[40:43], 0 offset:4 ; 4-byte Folded Spill
	buffer_store_dword v2, off, s[40:43], 0 offset:8 ; 4-byte Folded Spill
	;; [unrolled: 1-line block ×31, first 2 shown]
	v_mov_b32_e32 v3, 0
	v_mov_b32_e32 v2, 0
	buffer_store_dword v0, off, s[40:43], 0 offset:128 ; 4-byte Folded Spill
	s_nop 0
	buffer_store_dword v1, off, s[40:43], 0 offset:132 ; 4-byte Folded Spill
	buffer_store_dword v2, off, s[40:43], 0 offset:136 ; 4-byte Folded Spill
	;; [unrolled: 1-line block ×31, first 2 shown]
	s_and_saveexec_b64 s[2:3], s[0:1]
	s_cbranch_execz .LBB82_10
; %bb.9:
	s_load_dwordx2 s[38:39], s[4:5], 0x38
	s_load_dwordx2 s[36:37], s[4:5], 0x20
	s_mul_hi_i32 s29, s19, s6
	s_mul_i32 s28, s19, s6
	s_lshl_b64 s[28:29], s[28:29], 1
	s_waitcnt lgkmcnt(0)
	s_add_u32 s28, s38, s28
	s_addc_u32 s14, s39, s29
	s_mov_b32 s31, 0x20000
	s_and_b32 s29, s14, 0xffff
	v_lshlrev_b32_e32 v44, 1, v1
	s_movk_i32 s19, 0x400
	s_movk_i32 s17, 0x800
	;; [unrolled: 1-line block ×3, first 2 shown]
	buffer_load_dwordx4 v[14:17], v44, s[28:31], s19 offen glc slc
	buffer_load_dwordx4 v[10:13], v44, s[28:31], s17 offen glc slc
	;; [unrolled: 1-line block ×4, first 2 shown]
	s_waitcnt vmcnt(62)
	v_cvt_f32_u32_sdwa v19, v66 dst_sel:DWORD dst_unused:UNUSED_PAD src0_sel:WORD_1
	v_cvt_f32_u32_sdwa v18, v66 dst_sel:DWORD dst_unused:UNUSED_PAD src0_sel:WORD_0
	v_cvt_f32_u32_sdwa v21, v67 dst_sel:DWORD dst_unused:UNUSED_PAD src0_sel:WORD_1
	v_cvt_f32_u32_sdwa v20, v67 dst_sel:DWORD dst_unused:UNUSED_PAD src0_sel:WORD_0
	;; [unrolled: 2-line block ×11, first 2 shown]
	s_mov_b32 s33, 0x7060302
	v_cvt_f32_u32_sdwa v35, v120 dst_sel:DWORD dst_unused:UNUSED_PAD src0_sel:WORD_1
	v_cvt_f32_u32_sdwa v34, v120 dst_sel:DWORD dst_unused:UNUSED_PAD src0_sel:WORD_0
	s_mul_hi_i32 s27, s26, s6
	s_mul_i32 s26, s26, s6
	v_cvt_f32_u32_sdwa v39, v101 dst_sel:DWORD dst_unused:UNUSED_PAD src0_sel:WORD_1
	v_cvt_f32_u32_sdwa v38, v101 dst_sel:DWORD dst_unused:UNUSED_PAD src0_sel:WORD_0
	v_cvt_f32_u32_sdwa v37, v125 dst_sel:DWORD dst_unused:UNUSED_PAD src0_sel:WORD_1
	v_cvt_f32_u32_sdwa v36, v125 dst_sel:DWORD dst_unused:UNUSED_PAD src0_sel:WORD_0
	;; [unrolled: 2-line block ×3, first 2 shown]
	v_cvt_f32_u32_sdwa v42, v127 dst_sel:DWORD dst_unused:UNUSED_PAD src0_sel:WORD_0
	v_cvt_f32_u32_sdwa v43, v127 dst_sel:DWORD dst_unused:UNUSED_PAD src0_sel:WORD_1
	s_lshl_b64 s[26:27], s[26:27], 1
	s_add_u32 s28, s36, s26
	s_addc_u32 s26, s37, s27
	s_and_b32 s29, s26, 0xffff
	s_waitcnt vmcnt(3)
	v_cvt_f32_u32_sdwa v53, v14 dst_sel:DWORD dst_unused:UNUSED_PAD src0_sel:WORD_1
	s_waitcnt vmcnt(1)
	v_cvt_f32_u32_sdwa v65, v8 dst_sel:DWORD dst_unused:UNUSED_PAD src0_sel:WORD_1
	v_cvt_f32_u32_sdwa v64, v8 dst_sel:DWORD dst_unused:UNUSED_PAD src0_sel:WORD_0
	v_cvt_f32_u32_sdwa v66, v9 dst_sel:DWORD dst_unused:UNUSED_PAD src0_sel:WORD_0
	v_cvt_f32_u32_sdwa v67, v9 dst_sel:DWORD dst_unused:UNUSED_PAD src0_sel:WORD_1
	s_waitcnt vmcnt(0)
	v_cvt_f32_u32_sdwa v9, v5 dst_sel:DWORD dst_unused:UNUSED_PAD src0_sel:WORD_1
	v_cvt_f32_u32_sdwa v8, v5 dst_sel:DWORD dst_unused:UNUSED_PAD src0_sel:WORD_0
	v_cvt_f32_u32_sdwa v52, v14 dst_sel:DWORD dst_unused:UNUSED_PAD src0_sel:WORD_0
	v_cvt_f32_u32_sdwa v55, v15 dst_sel:DWORD dst_unused:UNUSED_PAD src0_sel:WORD_1
	v_cvt_f32_u32_sdwa v54, v15 dst_sel:DWORD dst_unused:UNUSED_PAD src0_sel:WORD_0
	v_cvt_f32_u32_sdwa v57, v17 dst_sel:DWORD dst_unused:UNUSED_PAD src0_sel:WORD_1
	;; [unrolled: 2-line block ×6, first 2 shown]
	v_cvt_f32_u32_sdwa v68, v2 dst_sel:DWORD dst_unused:UNUSED_PAD src0_sel:WORD_0
	v_pk_add_f32 v[8:9], v[50:51], v[8:9]
	v_pk_mov_b32 v[50:51], v[8:9], v[8:9] op_sel:[0,1]
	buffer_store_dword v44, off, s[40:43], 0 offset:1664 ; 4-byte Folded Spill
	s_nop 0
	buffer_store_dword v45, off, s[40:43], 0 offset:1668 ; 4-byte Folded Spill
	buffer_store_dword v46, off, s[40:43], 0 offset:1672 ; 4-byte Folded Spill
	;; [unrolled: 1-line block ×31, first 2 shown]
	v_cvt_f32_u32_sdwa v5, v4 dst_sel:DWORD dst_unused:UNUSED_PAD src0_sel:WORD_1
	v_cvt_f32_u32_sdwa v4, v4 dst_sel:DWORD dst_unused:UNUSED_PAD src0_sel:WORD_0
	v_cvt_f32_u32_sdwa v15, v16 dst_sel:DWORD dst_unused:UNUSED_PAD src0_sel:WORD_1
	v_cvt_f32_u32_sdwa v14, v16 dst_sel:DWORD dst_unused:UNUSED_PAD src0_sel:WORD_0
	;; [unrolled: 2-line block ×6, first 2 shown]
	v_perm_b32 v9, v9, v8, s33
	v_pk_add_f32 v[4:5], v[48:49], v[4:5]
	v_pk_mov_b32 v[48:49], v[4:5], v[4:5] op_sel:[0,1]
	buffer_store_dword v44, off, s[40:43], 0 ; 4-byte Folded Spill
	s_nop 0
	buffer_store_dword v45, off, s[40:43], 0 offset:4 ; 4-byte Folded Spill
	buffer_store_dword v46, off, s[40:43], 0 offset:8 ; 4-byte Folded Spill
	;; [unrolled: 1-line block ×31, first 2 shown]
	v_perm_b32 v8, v5, v4, s33
	v_pk_add_f32 v[2:3], v[46:47], v[6:7]
	v_pk_mov_b32 v[4:5], v[2:3], v[2:3] op_sel:[0,1]
	buffer_store_dword v2, off, s[40:43], 0 offset:128 ; 4-byte Folded Spill
	s_nop 0
	buffer_store_dword v3, off, s[40:43], 0 offset:132 ; 4-byte Folded Spill
	buffer_store_dword v4, off, s[40:43], 0 offset:136 ; 4-byte Folded Spill
	;; [unrolled: 1-line block ×31, first 2 shown]
	v_pk_add_f32 v[34:35], v[34:35], v[68:69]
	v_perm_b32 v6, v35, v34, s33
	v_pk_add_f32 v[30:31], v[30:31], v[56:57]
	v_perm_b32 v7, v3, v2, s33
	v_pk_mov_b32 v[46:47], v[30:31], v[30:31] op_sel:[0,1]
	buffer_store_dwordx4 v[6:9], v44, s[28:31], 0 offen glc slc
	;;#ASMSTART
	s_nop 0
	;;#ASMEND
	buffer_store_dword v32, off, s[40:43], 0 offset:1024 ; 4-byte Folded Spill
	s_nop 0
	buffer_store_dword v33, off, s[40:43], 0 offset:1028 ; 4-byte Folded Spill
	buffer_store_dword v34, off, s[40:43], 0 offset:1032 ; 4-byte Folded Spill
	;; [unrolled: 1-line block ×31, first 2 shown]
	v_pk_add_f32 v[14:15], v[24:25], v[14:15]
	v_pk_mov_b32 v[24:25], v[14:15], v[14:15] op_sel:[0,1]
	v_perm_b32 v9, v31, v30, s33
	buffer_store_dword v12, off, s[40:43], 0 offset:1280 ; 4-byte Folded Spill
	s_nop 0
	buffer_store_dword v13, off, s[40:43], 0 offset:1284 ; 4-byte Folded Spill
	buffer_store_dword v14, off, s[40:43], 0 offset:1288 ; 4-byte Folded Spill
	;; [unrolled: 1-line block ×31, first 2 shown]
	v_perm_b32 v8, v15, v14, s33
	v_pk_add_f32 v[14:15], v[20:21], v[54:55]
	v_pk_mov_b32 v[20:21], v[14:15], v[14:15] op_sel:[0,1]
	buffer_store_dword v10, off, s[40:43], 0 offset:1408 ; 4-byte Folded Spill
	s_nop 0
	buffer_store_dword v11, off, s[40:43], 0 offset:1412 ; 4-byte Folded Spill
	buffer_store_dword v12, off, s[40:43], 0 offset:1416 ; 4-byte Folded Spill
	;; [unrolled: 1-line block ×31, first 2 shown]
	v_pk_add_f32 v[70:71], v[42:43], v[66:67]
	v_perm_b32 v7, v15, v14, s33
	v_pk_add_f32 v[14:15], v[18:19], v[52:53]
	v_pk_mov_b32 v[18:19], v[14:15], v[14:15] op_sel:[0,1]
	buffer_store_dword v10, off, s[40:43], 0 offset:1536 ; 4-byte Folded Spill
	s_nop 0
	buffer_store_dword v11, off, s[40:43], 0 offset:1540 ; 4-byte Folded Spill
	buffer_store_dword v12, off, s[40:43], 0 offset:1544 ; 4-byte Folded Spill
	;; [unrolled: 1-line block ×31, first 2 shown]
	v_pk_add_f32 v[24:25], v[38:39], v[60:61]
	v_perm_b32 v6, v15, v14, s33
	v_pk_mov_b32 v[30:31], v[24:25], v[24:25] op_sel:[0,1]
	buffer_store_dwordx4 v[6:9], v44, s[28:31], s19 offen glc slc
	;;#ASMSTART
	s_nop 0
	;;#ASMEND
	buffer_store_dword v8, off, s[40:43], 0 offset:512 ; 4-byte Folded Spill
	s_nop 0
	buffer_store_dword v9, off, s[40:43], 0 offset:516 ; 4-byte Folded Spill
	buffer_store_dword v10, off, s[40:43], 0 offset:520 ; 4-byte Folded Spill
	buffer_store_dword v11, off, s[40:43], 0 offset:524 ; 4-byte Folded Spill
	buffer_store_dword v12, off, s[40:43], 0 offset:528 ; 4-byte Folded Spill
	buffer_store_dword v13, off, s[40:43], 0 offset:532 ; 4-byte Folded Spill
	buffer_store_dword v14, off, s[40:43], 0 offset:536 ; 4-byte Folded Spill
	buffer_store_dword v15, off, s[40:43], 0 offset:540 ; 4-byte Folded Spill
	buffer_store_dword v16, off, s[40:43], 0 offset:544 ; 4-byte Folded Spill
	buffer_store_dword v17, off, s[40:43], 0 offset:548 ; 4-byte Folded Spill
	buffer_store_dword v18, off, s[40:43], 0 offset:552 ; 4-byte Folded Spill
	buffer_store_dword v19, off, s[40:43], 0 offset:556 ; 4-byte Folded Spill
	buffer_store_dword v20, off, s[40:43], 0 offset:560 ; 4-byte Folded Spill
	buffer_store_dword v21, off, s[40:43], 0 offset:564 ; 4-byte Folded Spill
	buffer_store_dword v22, off, s[40:43], 0 offset:568 ; 4-byte Folded Spill
	buffer_store_dword v23, off, s[40:43], 0 offset:572 ; 4-byte Folded Spill
	buffer_store_dword v24, off, s[40:43], 0 offset:576 ; 4-byte Folded Spill
	buffer_store_dword v25, off, s[40:43], 0 offset:580 ; 4-byte Folded Spill
	buffer_store_dword v26, off, s[40:43], 0 offset:584 ; 4-byte Folded Spill
	buffer_store_dword v27, off, s[40:43], 0 offset:588 ; 4-byte Folded Spill
	buffer_store_dword v28, off, s[40:43], 0 offset:592 ; 4-byte Folded Spill
	buffer_store_dword v29, off, s[40:43], 0 offset:596 ; 4-byte Folded Spill
	buffer_store_dword v30, off, s[40:43], 0 offset:600 ; 4-byte Folded Spill
	buffer_store_dword v31, off, s[40:43], 0 offset:604 ; 4-byte Folded Spill
	buffer_store_dword v32, off, s[40:43], 0 offset:608 ; 4-byte Folded Spill
	buffer_store_dword v33, off, s[40:43], 0 offset:612 ; 4-byte Folded Spill
	buffer_store_dword v34, off, s[40:43], 0 offset:616 ; 4-byte Folded Spill
	buffer_store_dword v35, off, s[40:43], 0 offset:620 ; 4-byte Folded Spill
	buffer_store_dword v36, off, s[40:43], 0 offset:624 ; 4-byte Folded Spill
	buffer_store_dword v37, off, s[40:43], 0 offset:628 ; 4-byte Folded Spill
	buffer_store_dword v38, off, s[40:43], 0 offset:632 ; 4-byte Folded Spill
	buffer_store_dword v39, off, s[40:43], 0 offset:636 ; 4-byte Folded Spill
	v_pk_add_f32 v[20:21], v[32:33], v[10:11]
	v_perm_b32 v9, v25, v24, s33
	v_pk_mov_b32 v[24:25], v[20:21], v[20:21] op_sel:[0,1]
	buffer_store_dword v4, off, s[40:43], 0 offset:768 ; 4-byte Folded Spill
	s_nop 0
	buffer_store_dword v5, off, s[40:43], 0 offset:772 ; 4-byte Folded Spill
	buffer_store_dword v6, off, s[40:43], 0 offset:776 ; 4-byte Folded Spill
	buffer_store_dword v7, off, s[40:43], 0 offset:780 ; 4-byte Folded Spill
	buffer_store_dword v8, off, s[40:43], 0 offset:784 ; 4-byte Folded Spill
	buffer_store_dword v9, off, s[40:43], 0 offset:788 ; 4-byte Folded Spill
	buffer_store_dword v10, off, s[40:43], 0 offset:792 ; 4-byte Folded Spill
	buffer_store_dword v11, off, s[40:43], 0 offset:796 ; 4-byte Folded Spill
	buffer_store_dword v12, off, s[40:43], 0 offset:800 ; 4-byte Folded Spill
	buffer_store_dword v13, off, s[40:43], 0 offset:804 ; 4-byte Folded Spill
	buffer_store_dword v14, off, s[40:43], 0 offset:808 ; 4-byte Folded Spill
	buffer_store_dword v15, off, s[40:43], 0 offset:812 ; 4-byte Folded Spill
	buffer_store_dword v16, off, s[40:43], 0 offset:816 ; 4-byte Folded Spill
	buffer_store_dword v17, off, s[40:43], 0 offset:820 ; 4-byte Folded Spill
	buffer_store_dword v18, off, s[40:43], 0 offset:824 ; 4-byte Folded Spill
	buffer_store_dword v19, off, s[40:43], 0 offset:828 ; 4-byte Folded Spill
	buffer_store_dword v20, off, s[40:43], 0 offset:832 ; 4-byte Folded Spill
	buffer_store_dword v21, off, s[40:43], 0 offset:836 ; 4-byte Folded Spill
	buffer_store_dword v22, off, s[40:43], 0 offset:840 ; 4-byte Folded Spill
	buffer_store_dword v23, off, s[40:43], 0 offset:844 ; 4-byte Folded Spill
	buffer_store_dword v24, off, s[40:43], 0 offset:848 ; 4-byte Folded Spill
	buffer_store_dword v25, off, s[40:43], 0 offset:852 ; 4-byte Folded Spill
	buffer_store_dword v26, off, s[40:43], 0 offset:856 ; 4-byte Folded Spill
	buffer_store_dword v27, off, s[40:43], 0 offset:860 ; 4-byte Folded Spill
	buffer_store_dword v28, off, s[40:43], 0 offset:864 ; 4-byte Folded Spill
	buffer_store_dword v29, off, s[40:43], 0 offset:868 ; 4-byte Folded Spill
	buffer_store_dword v30, off, s[40:43], 0 offset:872 ; 4-byte Folded Spill
	buffer_store_dword v31, off, s[40:43], 0 offset:876 ; 4-byte Folded Spill
	buffer_store_dword v32, off, s[40:43], 0 offset:880 ; 4-byte Folded Spill
	buffer_store_dword v33, off, s[40:43], 0 offset:884 ; 4-byte Folded Spill
	buffer_store_dword v34, off, s[40:43], 0 offset:888 ; 4-byte Folded Spill
	buffer_store_dword v35, off, s[40:43], 0 offset:892 ; 4-byte Folded Spill
	v_pk_add_f32 v[18:19], v[26:27], v[58:59]
	v_perm_b32 v8, v21, v20, s33
	v_pk_mov_b32 v[20:21], v[18:19], v[18:19] op_sel:[0,1]
	;; [unrolled: 36-line block ×3, first 2 shown]
	buffer_store_dword v2, off, s[40:43], 0 offset:1152 ; 4-byte Folded Spill
	s_nop 0
	buffer_store_dword v3, off, s[40:43], 0 offset:1156 ; 4-byte Folded Spill
	buffer_store_dword v4, off, s[40:43], 0 offset:1160 ; 4-byte Folded Spill
	;; [unrolled: 1-line block ×31, first 2 shown]
	v_pk_add_f32 v[30:31], v[40:41], v[64:65]
	v_pk_mov_b32 v[32:33], v[30:31], v[30:31] op_sel:[0,1]
	v_perm_b32 v6, v17, v16, s33
	buffer_store_dwordx4 v[6:9], v44, s[28:31], s17 offen glc slc
	v_perm_b32 v9, v71, v70, s33
	;;#ASMSTART
	s_nop 0
	;;#ASMEND
	buffer_store_dword v4, off, s[40:43], 0 offset:256 ; 4-byte Folded Spill
	s_nop 0
	buffer_store_dword v5, off, s[40:43], 0 offset:260 ; 4-byte Folded Spill
	buffer_store_dword v6, off, s[40:43], 0 offset:264 ; 4-byte Folded Spill
	;; [unrolled: 1-line block ×31, first 2 shown]
	v_pk_add_f32 v[26:27], v[36:37], v[62:63]
	v_perm_b32 v8, v31, v30, s33
	v_pk_mov_b32 v[30:31], v[26:27], v[26:27] op_sel:[0,1]
	buffer_store_dword v4, off, s[40:43], 0 offset:384 ; 4-byte Folded Spill
	s_nop 0
	buffer_store_dword v5, off, s[40:43], 0 offset:388 ; 4-byte Folded Spill
	buffer_store_dword v6, off, s[40:43], 0 offset:392 ; 4-byte Folded Spill
	;; [unrolled: 1-line block ×31, first 2 shown]
	v_pk_add_f32 v[24:25], v[28:29], v[12:13]
	v_perm_b32 v7, v27, v26, s33
	v_pk_mov_b32 v[26:27], v[24:25], v[24:25] op_sel:[0,1]
	buffer_store_dword v2, off, s[40:43], 0 offset:640 ; 4-byte Folded Spill
	s_nop 0
	buffer_store_dword v3, off, s[40:43], 0 offset:644 ; 4-byte Folded Spill
	buffer_store_dword v4, off, s[40:43], 0 offset:648 ; 4-byte Folded Spill
	;; [unrolled: 1-line block ×31, first 2 shown]
	v_perm_b32 v6, v25, v24, s33
	buffer_store_dwordx4 v[6:9], v44, s[28:31], s14 offen glc slc
	;;#ASMSTART
	s_nop 0
	;;#ASMEND
.LBB82_10:
	s_or_b64 exec, exec, s[2:3]
.LBB82_11:
	buffer_load_dword v36, off, s[40:43], 0 offset:128 ; 4-byte Folded Reload
	buffer_load_dword v37, off, s[40:43], 0 offset:132 ; 4-byte Folded Reload
	;; [unrolled: 1-line block ×32, first 2 shown]
	v_mul_f32_e32 v2, v35, v35
	v_fmac_f32_e32 v2, v34, v34
	s_waitcnt vmcnt(28)
	v_pk_mov_b32 v[4:5], v[38:39], v[38:39] op_sel:[0,1]
	buffer_load_dword v36, off, s[40:43], 0 ; 4-byte Folded Reload
	buffer_load_dword v37, off, s[40:43], 0 offset:4 ; 4-byte Folded Reload
	buffer_load_dword v38, off, s[40:43], 0 offset:8 ; 4-byte Folded Reload
	buffer_load_dword v39, off, s[40:43], 0 offset:12 ; 4-byte Folded Reload
	buffer_load_dword v40, off, s[40:43], 0 offset:16 ; 4-byte Folded Reload
	buffer_load_dword v41, off, s[40:43], 0 offset:20 ; 4-byte Folded Reload
	buffer_load_dword v42, off, s[40:43], 0 offset:24 ; 4-byte Folded Reload
	buffer_load_dword v43, off, s[40:43], 0 offset:28 ; 4-byte Folded Reload
	buffer_load_dword v44, off, s[40:43], 0 offset:32 ; 4-byte Folded Reload
	buffer_load_dword v45, off, s[40:43], 0 offset:36 ; 4-byte Folded Reload
	buffer_load_dword v46, off, s[40:43], 0 offset:40 ; 4-byte Folded Reload
	buffer_load_dword v47, off, s[40:43], 0 offset:44 ; 4-byte Folded Reload
	buffer_load_dword v48, off, s[40:43], 0 offset:48 ; 4-byte Folded Reload
	buffer_load_dword v49, off, s[40:43], 0 offset:52 ; 4-byte Folded Reload
	buffer_load_dword v50, off, s[40:43], 0 offset:56 ; 4-byte Folded Reload
	buffer_load_dword v51, off, s[40:43], 0 offset:60 ; 4-byte Folded Reload
	buffer_load_dword v52, off, s[40:43], 0 offset:64 ; 4-byte Folded Reload
	buffer_load_dword v53, off, s[40:43], 0 offset:68 ; 4-byte Folded Reload
	buffer_load_dword v54, off, s[40:43], 0 offset:72 ; 4-byte Folded Reload
	buffer_load_dword v55, off, s[40:43], 0 offset:76 ; 4-byte Folded Reload
	buffer_load_dword v56, off, s[40:43], 0 offset:80 ; 4-byte Folded Reload
	buffer_load_dword v57, off, s[40:43], 0 offset:84 ; 4-byte Folded Reload
	buffer_load_dword v58, off, s[40:43], 0 offset:88 ; 4-byte Folded Reload
	buffer_load_dword v59, off, s[40:43], 0 offset:92 ; 4-byte Folded Reload
	buffer_load_dword v60, off, s[40:43], 0 offset:96 ; 4-byte Folded Reload
	buffer_load_dword v61, off, s[40:43], 0 offset:100 ; 4-byte Folded Reload
	buffer_load_dword v62, off, s[40:43], 0 offset:104 ; 4-byte Folded Reload
	buffer_load_dword v63, off, s[40:43], 0 offset:108 ; 4-byte Folded Reload
	buffer_load_dword v64, off, s[40:43], 0 offset:112 ; 4-byte Folded Reload
	buffer_load_dword v65, off, s[40:43], 0 offset:116 ; 4-byte Folded Reload
	buffer_load_dword v66, off, s[40:43], 0 offset:120 ; 4-byte Folded Reload
	buffer_load_dword v67, off, s[40:43], 0 offset:124 ; 4-byte Folded Reload
	v_fmac_f32_e32 v2, v4, v4
	v_fmac_f32_e32 v2, v5, v5
	s_waitcnt vmcnt(26)
	v_pk_mov_b32 v[4:5], v[40:41], v[40:41] op_sel:[0,1]
	buffer_load_dword v36, off, s[40:43], 0 offset:1664 ; 4-byte Folded Reload
	buffer_load_dword v37, off, s[40:43], 0 offset:1668 ; 4-byte Folded Reload
	buffer_load_dword v38, off, s[40:43], 0 offset:1672 ; 4-byte Folded Reload
	buffer_load_dword v39, off, s[40:43], 0 offset:1676 ; 4-byte Folded Reload
	buffer_load_dword v40, off, s[40:43], 0 offset:1680 ; 4-byte Folded Reload
	buffer_load_dword v41, off, s[40:43], 0 offset:1684 ; 4-byte Folded Reload
	buffer_load_dword v42, off, s[40:43], 0 offset:1688 ; 4-byte Folded Reload
	buffer_load_dword v43, off, s[40:43], 0 offset:1692 ; 4-byte Folded Reload
	buffer_load_dword v44, off, s[40:43], 0 offset:1696 ; 4-byte Folded Reload
	buffer_load_dword v45, off, s[40:43], 0 offset:1700 ; 4-byte Folded Reload
	buffer_load_dword v46, off, s[40:43], 0 offset:1704 ; 4-byte Folded Reload
	buffer_load_dword v47, off, s[40:43], 0 offset:1708 ; 4-byte Folded Reload
	buffer_load_dword v48, off, s[40:43], 0 offset:1712 ; 4-byte Folded Reload
	buffer_load_dword v49, off, s[40:43], 0 offset:1716 ; 4-byte Folded Reload
	buffer_load_dword v50, off, s[40:43], 0 offset:1720 ; 4-byte Folded Reload
	buffer_load_dword v51, off, s[40:43], 0 offset:1724 ; 4-byte Folded Reload
	buffer_load_dword v52, off, s[40:43], 0 offset:1728 ; 4-byte Folded Reload
	buffer_load_dword v53, off, s[40:43], 0 offset:1732 ; 4-byte Folded Reload
	buffer_load_dword v54, off, s[40:43], 0 offset:1736 ; 4-byte Folded Reload
	buffer_load_dword v55, off, s[40:43], 0 offset:1740 ; 4-byte Folded Reload
	buffer_load_dword v56, off, s[40:43], 0 offset:1744 ; 4-byte Folded Reload
	buffer_load_dword v57, off, s[40:43], 0 offset:1748 ; 4-byte Folded Reload
	buffer_load_dword v58, off, s[40:43], 0 offset:1752 ; 4-byte Folded Reload
	buffer_load_dword v59, off, s[40:43], 0 offset:1756 ; 4-byte Folded Reload
	buffer_load_dword v60, off, s[40:43], 0 offset:1760 ; 4-byte Folded Reload
	buffer_load_dword v61, off, s[40:43], 0 offset:1764 ; 4-byte Folded Reload
	buffer_load_dword v62, off, s[40:43], 0 offset:1768 ; 4-byte Folded Reload
	buffer_load_dword v63, off, s[40:43], 0 offset:1772 ; 4-byte Folded Reload
	buffer_load_dword v64, off, s[40:43], 0 offset:1776 ; 4-byte Folded Reload
	buffer_load_dword v65, off, s[40:43], 0 offset:1780 ; 4-byte Folded Reload
	buffer_load_dword v66, off, s[40:43], 0 offset:1784 ; 4-byte Folded Reload
	buffer_load_dword v67, off, s[40:43], 0 offset:1788 ; 4-byte Folded Reload
	v_fmac_f32_e32 v2, v4, v4
	v_fmac_f32_e32 v2, v5, v5
	s_waitcnt vmcnt(24)
	v_pk_mov_b32 v[72:73], v[42:43], v[42:43] op_sel:[0,1]
	buffer_load_dword v36, off, s[40:43], 0 offset:1536 ; 4-byte Folded Reload
	;; [unrolled: 36-line block ×12, first 2 shown]
	buffer_load_dword v37, off, s[40:43], 0 offset:260 ; 4-byte Folded Reload
	buffer_load_dword v38, off, s[40:43], 0 offset:264 ; 4-byte Folded Reload
	;; [unrolled: 1-line block ×31, first 2 shown]
	v_fmac_f32_e32 v2, v30, v30
	v_fmac_f32_e32 v2, v31, v31
	s_waitcnt vmcnt(2)
	v_pk_mov_b32 v[120:121], v[64:65], v[64:65] op_sel:[0,1]
	v_fmac_f32_e32 v2, v120, v120
	v_fmac_f32_e32 v2, v121, v121
	;; [unrolled: 1-line block ×4, first 2 shown]
	s_nop 1
	v_mov_b32_dpp v3, v2 quad_perm:[1,0,3,2] row_mask:0xf bank_mask:0xf
	v_add_f32_e32 v2, v2, v3
	s_nop 1
	v_mov_b32_dpp v3, v2 quad_perm:[2,3,0,1] row_mask:0xf bank_mask:0xf
	v_add_f32_e32 v2, v2, v3
	s_nop 1
	v_mov_b32_dpp v3, v2 row_half_mirror row_mask:0xf bank_mask:0xf
	v_add_f32_e32 v2, v2, v3
	s_nop 1
	v_mov_b32_dpp v3, v2 row_mirror row_mask:0xf bank_mask:0xf
	v_add_f32_e32 v2, v2, v3
	s_nop 1
	v_mov_b32_dpp v3, v2 row_bcast:15 row_mask:0xf bank_mask:0xf
	v_add_f32_e32 v2, v2, v3
	v_and_b32_e32 v3, 63, v0
	v_cmp_eq_u32_e64 s[2:3], 63, v3
	s_nop 0
	v_mov_b32_dpp v3, v2 row_bcast:31 row_mask:0xf bank_mask:0xf
	s_waitcnt lgkmcnt(0)
	s_and_saveexec_b64 s[26:27], s[2:3]
	s_cbranch_execz .LBB82_13
; %bb.12:
	v_add_f32_e32 v2, v2, v3
	v_lshrrev_b32_e32 v3, 4, v0
	v_and_b32_e32 v3, 60, v3
	ds_write_b32 v3, v2 offset:32
.LBB82_13:
	s_or_b64 exec, exec, s[26:27]
	v_and_b32_e32 v2, 3, v0
	s_waitcnt vmcnt(1)
	v_lshlrev_b32_e32 v66, 2, v2
	s_waitcnt lgkmcnt(0)
	s_barrier
	ds_read_b32 v2, v66 offset:32
	s_load_dwordx2 s[26:27], s[4:5], 0x18
	s_waitcnt lgkmcnt(0)
	v_mov_b32_dpp v3, v2 quad_perm:[1,0,3,2] row_mask:0xf bank_mask:0xf
	v_add_f32_e32 v2, v2, v3
	s_nop 1
	v_mov_b32_dpp v3, v2 quad_perm:[2,3,0,1] row_mask:0xf bank_mask:0xf
	s_and_saveexec_b64 s[28:29], s[0:1]
	s_cbranch_execnz .LBB82_18
; %bb.14:
	s_or_b64 exec, exec, s[28:29]
	s_mov_b64 s[8:9], -1
	s_and_b64 vcc, exec, s[22:23]
	s_cbranch_vccnz .LBB82_19
.LBB82_15:
	s_andn2_b64 vcc, exec, s[8:9]
	s_cbranch_vccz .LBB82_22
.LBB82_16:
	s_cmp_lt_i32 s16, 1
	s_cbranch_scc0 .LBB82_33
.LBB82_17:
	s_endpgm
.LBB82_18:
	v_add_f32_e32 v2, v2, v3
	v_cvt_f32_u32_e32 v3, s7
	s_mov_b32 s7, 0x800000
	v_cvt_f32_u32_sdwa v5, v116 dst_sel:DWORD dst_unused:UNUSED_PAD src0_sel:WORD_1
	v_cvt_f32_u32_sdwa v4, v116 dst_sel:DWORD dst_unused:UNUSED_PAD src0_sel:WORD_0
	v_div_scale_f32 v6, s[36:37], v3, v3, v2
	v_rcp_f32_e32 v7, v6
	v_pk_add_f32 v[4:5], v[4:5], 1.0 op_sel_hi:[1,0]
	v_fma_f32 v8, -v6, v7, 1.0
	v_fmac_f32_e32 v7, v8, v7
	v_div_scale_f32 v8, vcc, v2, v3, v2
	v_mul_f32_e32 v9, v8, v7
	v_fma_f32 v10, -v6, v9, v8
	v_fmac_f32_e32 v9, v10, v7
	v_fma_f32 v6, -v6, v9, v8
	v_div_fmas_f32 v6, v6, v7, v9
	v_div_fixup_f32 v2, v6, v3, v2
	v_mov_b32_e32 v3, s13
	v_mov_b32_e32 v6, s12
	v_cndmask_b32_e64 v3, v3, v6, s[8:9]
	v_add_f32_e32 v2, v3, v2
	v_mul_f32_e32 v3, 0x4b800000, v2
	v_cmp_gt_f32_e32 vcc, s7, v2
	v_cndmask_b32_e32 v2, v2, v3, vcc
	v_rsq_f32_e32 v2, v2
	v_mul_f32_e32 v3, 0x45800000, v2
	v_cndmask_b32_e32 v32, v2, v3, vcc
	v_mov_b32_e32 v33, v32
	;;#ASMSTART
	v_pk_mul_f32 v[14:15], v[34:35], v[32:33]
	;;#ASMEND
	buffer_load_dword v34, off, s[40:43], 0 offset:128 ; 4-byte Folded Reload
	buffer_load_dword v35, off, s[40:43], 0 offset:132 ; 4-byte Folded Reload
	;; [unrolled: 1-line block ×32, first 2 shown]
	s_waitcnt vmcnt(28)
	;;#ASMSTART
	v_pk_mul_f32 v[2:3], v[36:37], v[32:33]
	;;#ASMEND
	buffer_load_dword v34, off, s[40:43], 0 ; 4-byte Folded Reload
	buffer_load_dword v35, off, s[40:43], 0 offset:4 ; 4-byte Folded Reload
	buffer_load_dword v36, off, s[40:43], 0 offset:8 ; 4-byte Folded Reload
	;; [unrolled: 1-line block ×31, first 2 shown]
	s_waitcnt vmcnt(24)
	v_cvt_f32_u32_sdwa v41, v118 dst_sel:DWORD dst_unused:UNUSED_PAD src0_sel:WORD_1
	v_cvt_f32_u32_sdwa v40, v118 dst_sel:DWORD dst_unused:UNUSED_PAD src0_sel:WORD_0
	s_waitcnt vmcnt(22)
	v_cvt_f32_u32_sdwa v43, v119 dst_sel:DWORD dst_unused:UNUSED_PAD src0_sel:WORD_1
	v_cvt_f32_u32_sdwa v42, v119 dst_sel:DWORD dst_unused:UNUSED_PAD src0_sel:WORD_0
	;; [unrolled: 3-line block ×13, first 2 shown]
	;;#ASMSTART
	v_pk_mul_f32 v[6:7], v[38:39], v[32:33]
	;;#ASMEND
	v_cvt_f32_u32_sdwa v39, v117 dst_sel:DWORD dst_unused:UNUSED_PAD src0_sel:WORD_1
	v_cvt_f32_u32_sdwa v38, v117 dst_sel:DWORD dst_unused:UNUSED_PAD src0_sel:WORD_0
	;;#ASMSTART
	v_pk_mul_f32 v[8:9], v[72:73], v[32:33]
	;;#ASMEND
	;;#ASMSTART
	v_pk_mul_f32 v[10:11], v[68:69], v[32:33]
	;;#ASMEND
	;; [unrolled: 3-line block ×14, first 2 shown]
	v_pk_add_f32 v[4:5], v[38:39], 1.0 op_sel_hi:[1,0]
	v_pk_add_f32 v[14:15], v[40:41], 1.0 op_sel_hi:[1,0]
	;;#ASMSTART
	v_pk_mul_f32 v[2:3], v[2:3], v[4:5]
	;;#ASMEND
	buffer_store_dword v0, off, s[40:43], 0 offset:128 ; 4-byte Folded Spill
	s_nop 0
	buffer_store_dword v1, off, s[40:43], 0 offset:132 ; 4-byte Folded Spill
	buffer_store_dword v2, off, s[40:43], 0 offset:136 ; 4-byte Folded Spill
	;; [unrolled: 1-line block ×31, first 2 shown]
	v_cvt_f32_u32_sdwa v69, v107 dst_sel:DWORD dst_unused:UNUSED_PAD src0_sel:WORD_1
	v_cvt_f32_u32_sdwa v68, v107 dst_sel:DWORD dst_unused:UNUSED_PAD src0_sel:WORD_0
	v_pk_add_f32 v[38:39], v[42:43], 1.0 op_sel_hi:[1,0]
	v_pk_add_f32 v[40:41], v[44:45], 1.0 op_sel_hi:[1,0]
	v_pk_add_f32 v[42:43], v[46:47], 1.0 op_sel_hi:[1,0]
	v_pk_add_f32 v[44:45], v[48:49], 1.0 op_sel_hi:[1,0]
	v_pk_add_f32 v[46:47], v[50:51], 1.0 op_sel_hi:[1,0]
	v_pk_add_f32 v[48:49], v[52:53], 1.0 op_sel_hi:[1,0]
	v_pk_add_f32 v[50:51], v[54:55], 1.0 op_sel_hi:[1,0]
	v_pk_add_f32 v[52:53], v[56:57], 1.0 op_sel_hi:[1,0]
	v_pk_add_f32 v[54:55], v[58:59], 1.0 op_sel_hi:[1,0]
	v_pk_add_f32 v[56:57], v[60:61], 1.0 op_sel_hi:[1,0]
	v_pk_add_f32 v[58:59], v[62:63], 1.0 op_sel_hi:[1,0]
	v_pk_add_f32 v[60:61], v[64:65], 1.0 op_sel_hi:[1,0]
	v_pk_add_f32 v[62:63], v[68:69], 1.0 op_sel_hi:[1,0]
	;;#ASMSTART
	v_pk_mul_f32 v[4:5], v[6:7], v[14:15]
	;;#ASMEND
	buffer_store_dword v0, off, s[40:43], 0 ; 4-byte Folded Spill
	s_nop 0
	buffer_store_dword v1, off, s[40:43], 0 offset:4 ; 4-byte Folded Spill
	buffer_store_dword v2, off, s[40:43], 0 offset:8 ; 4-byte Folded Spill
	;; [unrolled: 1-line block ×31, first 2 shown]
	;;#ASMSTART
	v_pk_mul_f32 v[72:73], v[8:9], v[38:39]
	;;#ASMEND
	;;#ASMSTART
	v_pk_mul_f32 v[68:69], v[10:11], v[40:41]
	;;#ASMEND
	;; [unrolled: 3-line block ×13, first 2 shown]
	s_or_b64 exec, exec, s[28:29]
	s_mov_b64 s[8:9], -1
	s_and_b64 vcc, exec, s[22:23]
	s_cbranch_vccz .LBB82_15
.LBB82_19:
	s_and_saveexec_b64 s[8:9], s[0:1]
	s_cbranch_execz .LBB82_21
; %bb.20:
	buffer_load_dword v74, off, s[40:43], 0 ; 4-byte Folded Reload
	buffer_load_dword v75, off, s[40:43], 0 offset:4 ; 4-byte Folded Reload
	buffer_load_dword v76, off, s[40:43], 0 offset:8 ; 4-byte Folded Reload
	;; [unrolled: 1-line block ×31, first 2 shown]
	s_mul_hi_i32 s23, s25, s6
	s_mul_i32 s22, s25, s6
	s_lshl_b64 s[22:23], s[22:23], 1
	s_add_u32 s28, s26, s22
	s_addc_u32 s7, s27, s23
	s_and_b32 s29, s7, 0xffff
	s_mov_b32 s7, 0x7060302
	s_mov_b32 s31, 0x20000
	v_perm_b32 v9, v73, v72, s7
	v_perm_b32 v6, v35, v34, s7
	v_lshlrev_b32_e32 v2, 1, v1
	s_movk_i32 s12, 0x400
	s_waitcnt vmcnt(26)
	v_perm_b32 v8, v79, v78, s7
	buffer_load_dword v74, off, s[40:43], 0 offset:128 ; 4-byte Folded Reload
	buffer_load_dword v75, off, s[40:43], 0 offset:132 ; 4-byte Folded Reload
	;; [unrolled: 1-line block ×32, first 2 shown]
	s_waitcnt vmcnt(28)
	v_perm_b32 v7, v77, v76, s7
	buffer_store_dwordx4 v[6:9], v2, s[28:31], 0 offen
	;;#ASMSTART
	s_nop 0
	;;#ASMEND
	s_nop 0
	v_perm_b32 v9, v19, v18, s7
	v_perm_b32 v8, v17, v16, s7
	;; [unrolled: 1-line block ×4, first 2 shown]
	buffer_store_dwordx4 v[6:9], v2, s[28:31], s12 offen
	v_perm_b32 v9, v27, v26, s7
	v_perm_b32 v8, v25, v24, s7
	;; [unrolled: 1-line block ×4, first 2 shown]
	s_movk_i32 s12, 0x800
	;;#ASMSTART
	s_nop 0
	;;#ASMEND
	buffer_store_dwordx4 v[6:9], v2, s[28:31], s12 offen
	v_perm_b32 v9, v71, v70, s7
	v_perm_b32 v8, v121, v120, s7
	;; [unrolled: 1-line block ×4, first 2 shown]
	s_movk_i32 s7, 0xc00
	;;#ASMSTART
	s_nop 0
	;;#ASMEND
	buffer_store_dwordx4 v[6:9], v2, s[28:31], s7 offen
	;;#ASMSTART
	s_nop 0
	;;#ASMEND
.LBB82_21:
	s_or_b64 exec, exec, s[8:9]
	s_cbranch_execnz .LBB82_16
.LBB82_22:
	v_mov_b32_e32 v2, 0
	s_and_saveexec_b64 s[8:9], s[0:1]
	s_cbranch_execz .LBB82_24
; %bb.23:
	buffer_load_dword v74, off, s[40:43], 0 ; 4-byte Folded Reload
	buffer_load_dword v75, off, s[40:43], 0 offset:4 ; 4-byte Folded Reload
	buffer_load_dword v76, off, s[40:43], 0 offset:8 ; 4-byte Folded Reload
	;; [unrolled: 1-line block ×31, first 2 shown]
	s_load_dwordx2 s[22:23], s[4:5], 0x10
	s_mul_hi_i32 s29, s24, s6
	s_mul_i32 s28, s24, s6
	s_lshl_b64 s[28:29], s[28:29], 1
	s_mov_b32 s31, 0x20000
	s_waitcnt lgkmcnt(0)
	s_add_u32 s28, s22, s28
	s_addc_u32 s7, s23, s29
	s_and_b32 s29, s7, 0xffff
	s_mov_b32 s7, 0x7060302
	v_perm_b32 v9, v73, v72, s7
	v_perm_b32 v6, v35, v34, s7
	v_lshlrev_b32_e32 v2, 1, v1
	s_movk_i32 s12, 0x400
	s_waitcnt vmcnt(26)
	v_perm_b32 v8, v79, v78, s7
	buffer_load_dword v74, off, s[40:43], 0 offset:128 ; 4-byte Folded Reload
	buffer_load_dword v75, off, s[40:43], 0 offset:132 ; 4-byte Folded Reload
	;; [unrolled: 1-line block ×32, first 2 shown]
	s_waitcnt vmcnt(28)
	v_perm_b32 v7, v77, v76, s7
	buffer_store_dwordx4 v[6:9], v2, s[28:31], 0 offen
	;;#ASMSTART
	s_nop 0
	;;#ASMEND
	s_nop 0
	v_perm_b32 v9, v19, v18, s7
	v_perm_b32 v8, v17, v16, s7
	v_perm_b32 v7, v13, v12, s7
	v_perm_b32 v6, v69, v68, s7
	buffer_store_dwordx4 v[6:9], v2, s[28:31], s12 offen
	v_perm_b32 v9, v27, v26, s7
	v_perm_b32 v8, v25, v24, s7
	;; [unrolled: 1-line block ×4, first 2 shown]
	s_movk_i32 s12, 0x800
	;;#ASMSTART
	s_nop 0
	;;#ASMEND
	buffer_store_dwordx4 v[6:9], v2, s[28:31], s12 offen
	v_perm_b32 v9, v71, v70, s7
	v_perm_b32 v8, v121, v120, s7
	;; [unrolled: 1-line block ×4, first 2 shown]
	s_movk_i32 s7, 0xc00
	;;#ASMSTART
	s_nop 0
	;;#ASMEND
	buffer_store_dwordx4 v[6:9], v2, s[28:31], s7 offen
	v_mov_b32_e32 v2, 0x2edbe6ff
	;;#ASMSTART
	s_nop 0
	;;#ASMEND
.LBB82_24:
	s_or_b64 exec, exec, s[8:9]
	s_and_saveexec_b64 s[8:9], s[0:1]
	s_cbranch_execz .LBB82_26
; %bb.25:
	v_and_b32_e32 v3, 0x7fffffff, v34
	v_and_b32_e32 v6, 0x7fffffff, v35
	;;#ASMSTART
	v_max3_f32 v2, v2, v3, v6

	;;#ASMEND
	buffer_load_dword v74, off, s[40:43], 0 offset:128 ; 4-byte Folded Reload
	buffer_load_dword v75, off, s[40:43], 0 offset:132 ; 4-byte Folded Reload
	;; [unrolled: 1-line block ×32, first 2 shown]
	s_waitcnt vmcnt(28)
	v_pk_mov_b32 v[4:5], v[76:77], v[76:77] op_sel:[0,1]
	v_and_b32_e32 v3, 0x7fffffff, v4
	v_and_b32_e32 v6, 0x7fffffff, v5
	;;#ASMSTART
	v_max3_f32 v2, v2, v3, v6

	;;#ASMEND
	buffer_load_dword v74, off, s[40:43], 0 ; 4-byte Folded Reload
	buffer_load_dword v75, off, s[40:43], 0 offset:4 ; 4-byte Folded Reload
	buffer_load_dword v76, off, s[40:43], 0 offset:8 ; 4-byte Folded Reload
	;; [unrolled: 1-line block ×31, first 2 shown]
	s_waitcnt vmcnt(26)
	v_pk_mov_b32 v[4:5], v[78:79], v[78:79] op_sel:[0,1]
	v_and_b32_e32 v3, 0x7fffffff, v4
	v_and_b32_e32 v6, 0x7fffffff, v5
	;;#ASMSTART
	v_max3_f32 v2, v2, v3, v6

	;;#ASMEND
	v_and_b32_e32 v3, 0x7fffffff, v72
	v_and_b32_e32 v6, 0x7fffffff, v73
	;;#ASMSTART
	v_max3_f32 v2, v2, v3, v6

	;;#ASMEND
	;; [unrolled: 6-line block ×14, first 2 shown]
.LBB82_26:
	s_or_b64 exec, exec, s[8:9]
	s_nop 0
	v_mov_b32_dpp v3, v2 quad_perm:[1,0,3,2] row_mask:0xf bank_mask:0xf
	v_cmp_gt_f32_e32 vcc, v2, v3
	v_cndmask_b32_e32 v2, v3, v2, vcc
	s_nop 1
	v_mov_b32_dpp v3, v2 quad_perm:[2,3,0,1] row_mask:0xf bank_mask:0xf
	v_cmp_gt_f32_e32 vcc, v2, v3
	v_cndmask_b32_e32 v2, v3, v2, vcc
	s_nop 1
	v_mov_b32_dpp v3, v2 row_half_mirror row_mask:0xf bank_mask:0xf
	v_cmp_gt_f32_e32 vcc, v2, v3
	v_cndmask_b32_e32 v2, v3, v2, vcc
	s_nop 1
	v_mov_b32_dpp v3, v2 row_mirror row_mask:0xf bank_mask:0xf
	v_cmp_gt_f32_e32 vcc, v2, v3
	v_cndmask_b32_e32 v2, v3, v2, vcc
	s_nop 1
	v_mov_b32_dpp v3, v2 row_bcast:15 row_mask:0xf bank_mask:0xf
	v_cmp_gt_f32_e32 vcc, v2, v3
	v_cndmask_b32_e32 v2, v3, v2, vcc
	s_nop 1
	v_mov_b32_dpp v3, v2 row_bcast:31 row_mask:0xf bank_mask:0xf
	s_and_saveexec_b64 s[8:9], s[2:3]
	s_cbranch_execz .LBB82_28
; %bb.27:
	v_cmp_gt_f32_e32 vcc, v2, v3
	v_cndmask_b32_e32 v2, v3, v2, vcc
	v_lshrrev_b32_e32 v3, 4, v0
	v_and_b32_e32 v3, 60, v3
	ds_write_b32 v3, v2
.LBB82_28:
	s_or_b64 exec, exec, s[8:9]
	s_waitcnt lgkmcnt(0)
	s_barrier
	ds_read_b32 v2, v66
	s_waitcnt lgkmcnt(0)
	s_nop 0
	v_mov_b32_dpp v3, v2 quad_perm:[1,0,3,2] row_mask:0xf bank_mask:0xf
	v_cmp_gt_f32_e32 vcc, v2, v3
	v_cndmask_b32_e32 v2, v3, v2, vcc
	s_nop 1
	v_mov_b32_dpp v3, v2 quad_perm:[2,3,0,1] row_mask:0xf bank_mask:0xf
	v_cmp_gt_f32_e32 vcc, v2, v3
	v_cndmask_b32_e32 v2, v3, v2, vcc
	v_mul_f32_e32 v2, 0x3b124925, v2
	v_cmp_eq_u32_e32 vcc, 0, v0
	s_and_saveexec_b64 s[8:9], vcc
	s_cbranch_execz .LBB82_30
; %bb.29:
	s_load_dwordx2 s[22:23], s[4:5], 0x8
	s_mul_hi_i32 s29, s11, s6
	s_mul_i32 s28, s11, s6
	s_lshl_b64 s[28:29], s[28:29], 2
	v_mov_b32_e32 v3, 0
	s_waitcnt lgkmcnt(0)
	s_add_u32 s22, s22, s28
	s_addc_u32 s23, s23, s29
	global_store_dword v3, v2, s[22:23]
.LBB82_30:
	s_or_b64 exec, exec, s[8:9]
	;;#ASMSTART
	v_rcp_f32 v2, v2
	;;#ASMEND
	s_and_saveexec_b64 s[22:23], s[0:1]
	s_cbranch_execz .LBB82_32
; %bb.31:
	v_mov_b32_e32 v3, v2
	;;#ASMSTART
	v_pk_mul_f32 v[6:7], v[34:35], v[2:3]
	;;#ASMEND
	v_mov_b32_e32 v8, 0xc3e00000
	v_mov_b32_e32 v9, 0x43e00000
	;;#ASMSTART
	v_med3_f32 v6, v6, v8, v9
v_med3_f32 v7, v7, v8, v9
v_cvt_pk_fp8_f32 v10, v6, v7
	;;#ASMEND
	buffer_load_dword v32, off, s[40:43], 0 offset:128 ; 4-byte Folded Reload
	buffer_load_dword v33, off, s[40:43], 0 offset:132 ; 4-byte Folded Reload
	;; [unrolled: 1-line block ×32, first 2 shown]
	s_load_dwordx2 s[0:1], s[4:5], 0x0
	s_mul_i32 s8, s10, s6
	s_mov_b32 s7, 0x5040100
	s_mul_hi_i32 s9, s10, s6
	s_movk_i32 s12, 0xff
	s_waitcnt lgkmcnt(0)
	s_add_u32 s8, s0, s8
	s_addc_u32 s0, s1, s9
	s_add_i32 s1, s15, 3
	s_ashr_i32 s9, s1, 31
	s_mov_b32 s14, 0xffff
	s_lshr_b32 s9, s9, 30
	s_add_i32 s1, s1, s9
	s_and_b32 s10, s1, -4
	s_and_b32 s9, s0, 0xffff
	s_mov_b32 s11, 0x20000
	s_movk_i32 s0, 0x200
	s_waitcnt vmcnt(28)
	;;#ASMSTART
	v_pk_mul_f32 v[4:5], v[34:35], v[2:3]
	;;#ASMEND
	;;#ASMSTART
	v_med3_f32 v4, v4, v8, v9
v_med3_f32 v5, v5, v8, v9
v_cvt_pk_fp8_f32 v6, v4, v5
	;;#ASMEND
	buffer_load_dword v74, off, s[40:43], 0 ; 4-byte Folded Reload
	buffer_load_dword v75, off, s[40:43], 0 offset:4 ; 4-byte Folded Reload
	buffer_load_dword v76, off, s[40:43], 0 offset:8 ; 4-byte Folded Reload
	;; [unrolled: 1-line block ×31, first 2 shown]
	s_waitcnt vmcnt(26)
	;;#ASMSTART
	v_pk_mul_f32 v[4:5], v[78:79], v[2:3]
	;;#ASMEND
	;;#ASMSTART
	v_med3_f32 v4, v4, v8, v9
v_med3_f32 v5, v5, v8, v9
v_cvt_pk_fp8_f32 v7, v4, v5
	;;#ASMEND
	;;#ASMSTART
	v_pk_mul_f32 v[4:5], v[72:73], v[2:3]
	;;#ASMEND
	;;#ASMSTART
	v_med3_f32 v4, v4, v8, v9
v_med3_f32 v5, v5, v8, v9
v_cvt_pk_fp8_f32 v11, v4, v5
	;;#ASMEND
	v_perm_b32 v4, v6, v10, s7
	v_and_b32_e32 v5, 0xffffff00, v6
	v_and_b32_sdwa v6, v4, s12 dst_sel:DWORD dst_unused:UNUSED_PAD src0_sel:WORD_1 src1_sel:DWORD
	v_or_b32_sdwa v5, v6, v5 dst_sel:WORD_1 dst_unused:UNUSED_PAD src0_sel:DWORD src1_sel:DWORD
	v_and_or_b32 v4, v4, s14, v5
	v_lshlrev_b32_e32 v5, 16, v11
	v_and_or_b32 v5, v7, s14, v5
	buffer_store_dwordx2 v[4:5], v1, s[8:11], 0 offen
	;;#ASMSTART
	s_nop 0
	;;#ASMEND
	;;#ASMSTART
	v_pk_mul_f32 v[4:5], v[68:69], v[2:3]
	;;#ASMEND
	;;#ASMSTART
	v_med3_f32 v4, v4, v8, v9
v_med3_f32 v5, v5, v8, v9
v_cvt_pk_fp8_f32 v6, v4, v5
	;;#ASMEND
	;;#ASMSTART
	v_pk_mul_f32 v[4:5], v[12:13], v[2:3]
	;;#ASMEND
	;;#ASMSTART
	v_med3_f32 v4, v4, v8, v9
v_med3_f32 v5, v5, v8, v9
v_cvt_pk_fp8_f32 v7, v4, v5
	;; [unrolled: 8-line block ×4, first 2 shown]
	;;#ASMEND
	v_perm_b32 v4, v7, v6, s7
	v_and_b32_e32 v5, 0xffffff00, v7
	v_and_b32_sdwa v6, v4, s12 dst_sel:DWORD dst_unused:UNUSED_PAD src0_sel:WORD_1 src1_sel:DWORD
	v_or_b32_sdwa v5, v6, v5 dst_sel:WORD_1 dst_unused:UNUSED_PAD src0_sel:DWORD src1_sel:DWORD
	v_and_or_b32 v4, v4, s14, v5
	v_lshlrev_b32_e32 v5, 16, v11
	v_and_or_b32 v5, v10, s14, v5
	buffer_store_dwordx2 v[4:5], v1, s[8:11], s0 offen
	;;#ASMSTART
	s_nop 0
	;;#ASMEND
	;;#ASMSTART
	v_pk_mul_f32 v[4:5], v[20:21], v[2:3]
	;;#ASMEND
	;;#ASMSTART
	v_med3_f32 v4, v4, v8, v9
v_med3_f32 v5, v5, v8, v9
v_cvt_pk_fp8_f32 v6, v4, v5
	;;#ASMEND
	;;#ASMSTART
	v_pk_mul_f32 v[4:5], v[22:23], v[2:3]
	;;#ASMEND
	;;#ASMSTART
	v_med3_f32 v4, v4, v8, v9
v_med3_f32 v5, v5, v8, v9
v_cvt_pk_fp8_f32 v7, v4, v5
	;;#ASMEND
	;;#ASMSTART
	v_pk_mul_f32 v[4:5], v[24:25], v[2:3]
	;;#ASMEND
	;;#ASMSTART
	v_med3_f32 v4, v4, v8, v9
v_med3_f32 v5, v5, v8, v9
v_cvt_pk_fp8_f32 v10, v4, v5
	;;#ASMEND
	;;#ASMSTART
	v_pk_mul_f32 v[4:5], v[26:27], v[2:3]
	;;#ASMEND
	;;#ASMSTART
	v_med3_f32 v4, v4, v8, v9
v_med3_f32 v5, v5, v8, v9
v_cvt_pk_fp8_f32 v11, v4, v5
	;;#ASMEND
	v_perm_b32 v4, v7, v6, s7
	v_and_b32_e32 v5, 0xffffff00, v7
	v_and_b32_sdwa v6, v4, s12 dst_sel:DWORD dst_unused:UNUSED_PAD src0_sel:WORD_1 src1_sel:DWORD
	v_or_b32_sdwa v5, v6, v5 dst_sel:WORD_1 dst_unused:UNUSED_PAD src0_sel:DWORD src1_sel:DWORD
	v_and_or_b32 v4, v4, s14, v5
	v_lshlrev_b32_e32 v5, 16, v11
	v_and_or_b32 v5, v10, s14, v5
	s_movk_i32 s0, 0x400
	buffer_store_dwordx2 v[4:5], v1, s[8:11], s0 offen
	;;#ASMSTART
	s_nop 0
	;;#ASMEND
	;;#ASMSTART
	v_pk_mul_f32 v[4:5], v[28:29], v[2:3]
	;;#ASMEND
	;;#ASMSTART
	v_med3_f32 v4, v4, v8, v9
v_med3_f32 v5, v5, v8, v9
v_cvt_pk_fp8_f32 v6, v4, v5
	;;#ASMEND
	;;#ASMSTART
	v_pk_mul_f32 v[4:5], v[30:31], v[2:3]
	;;#ASMEND
	;;#ASMSTART
	v_med3_f32 v4, v4, v8, v9
v_med3_f32 v5, v5, v8, v9
v_cvt_pk_fp8_f32 v7, v4, v5
	;;#ASMEND
	v_perm_b32 v5, v7, v6, s7
	v_and_b32_e32 v4, 0xffffff00, v7
	v_and_b32_sdwa v6, v5, s12 dst_sel:DWORD dst_unused:UNUSED_PAD src0_sel:WORD_1 src1_sel:DWORD
	v_or_b32_sdwa v4, v6, v4 dst_sel:WORD_1 dst_unused:UNUSED_PAD src0_sel:DWORD src1_sel:DWORD
	v_and_or_b32 v4, v5, s14, v4
	;;#ASMSTART
	v_pk_mul_f32 v[6:7], v[120:121], v[2:3]
	;;#ASMEND
	v_mov_b32_e32 v5, v7
	;;#ASMSTART
	v_med3_f32 v6, v6, v8, v9
v_med3_f32 v5, v5, v8, v9
v_cvt_pk_fp8_f32 v7, v6, v5
	;;#ASMEND
	;;#ASMSTART
	v_pk_mul_f32 v[2:3], v[70:71], v[2:3]
	;;#ASMEND
	;;#ASMSTART
	v_med3_f32 v2, v2, v8, v9
v_med3_f32 v3, v3, v8, v9
v_cvt_pk_fp8_f32 v5, v2, v3
	;;#ASMEND
	v_lshlrev_b32_e32 v2, 16, v5
	v_and_or_b32 v5, v7, s14, v2
	s_movk_i32 s0, 0x600
	buffer_store_dwordx2 v[4:5], v1, s[8:11], s0 offen
	;;#ASMSTART
	s_nop 0
	;;#ASMEND
.LBB82_32:
	s_or_b64 exec, exec, s[22:23]
	s_cmp_lt_i32 s16, 1
	s_cbranch_scc1 .LBB82_17
.LBB82_33:
	s_load_dword s0, s[4:5], 0x94
	s_waitcnt lgkmcnt(0)
	s_cmp_lg_u32 s0, 1
	s_cbranch_scc1 .LBB82_17
; %bb.34:
	s_lshl_b32 s0, s16, 1
	s_add_i32 s0, s0, 2
	v_cmp_gt_u32_e32 vcc, s16, v1
	s_and_b32 s22, s0, -4
	v_mov_b32_e32 v34, 0
	s_waitcnt vmcnt(0)
	v_lshlrev_b32_e32 v67, 1, v1
	v_mov_b32_e32 v30, 0
	v_mov_b32_e32 v31, 0
	;; [unrolled: 1-line block ×32, first 2 shown]
	s_barrier
	s_and_saveexec_b64 s[0:1], vcc
	s_cbranch_execz .LBB82_36
; %bb.35:
	s_mul_hi_i32 s5, s18, s6
	s_mul_i32 s4, s18, s6
	s_and_b32 s21, s21, 0xffff
	s_lshl_b64 s[4:5], s[4:5], 1
	s_add_u32 s8, s34, s4
	s_mov_b32 s23, 0x20000
	s_addc_u32 s4, s35, s5
	s_and_b32 s9, s4, 0xffff
	s_mov_b32 s10, s22
	s_mov_b32 s11, s23
	s_movk_i32 s5, 0x800
	s_movk_i32 s4, 0x400
	buffer_load_dwordx4 v[30:33], v67, s[8:11], 0 offen glc slc
	buffer_load_dwordx4 v[22:25], v67, s[8:11], s4 offen glc slc
	s_movk_i32 s7, 0xc00
	buffer_load_dwordx4 v[26:29], v67, s[8:11], s5 offen glc slc
	buffer_load_dwordx4 v[18:21], v67, s[8:11], s7 offen glc slc
	buffer_load_dwordx4 v[14:17], v67, s[20:23], 0 offen
	buffer_load_dwordx4 v[10:13], v67, s[20:23], s4 offen
	;; [unrolled: 1-line block ×4, first 2 shown]
.LBB82_36:
	s_or_b64 exec, exec, s[0:1]
	v_mov_b32_e32 v35, 0
	v_mov_b32_e32 v64, 0
	;; [unrolled: 1-line block ×31, first 2 shown]
	s_and_saveexec_b64 s[0:1], vcc
	s_cbranch_execz .LBB82_38
; %bb.37:
	s_waitcnt vmcnt(7)
	v_cvt_f32_u32_sdwa v34, v30 dst_sel:DWORD dst_unused:UNUSED_PAD src0_sel:WORD_0
	v_cvt_f32_u32_sdwa v35, v30 dst_sel:DWORD dst_unused:UNUSED_PAD src0_sel:WORD_1
	v_cvt_f32_u32_sdwa v64, v31 dst_sel:DWORD dst_unused:UNUSED_PAD src0_sel:WORD_0
	v_cvt_f32_u32_sdwa v65, v31 dst_sel:DWORD dst_unused:UNUSED_PAD src0_sel:WORD_1
	v_cvt_f32_u32_sdwa v62, v32 dst_sel:DWORD dst_unused:UNUSED_PAD src0_sel:WORD_0
	v_cvt_f32_u32_sdwa v63, v32 dst_sel:DWORD dst_unused:UNUSED_PAD src0_sel:WORD_1
	v_cvt_f32_u32_sdwa v60, v33 dst_sel:DWORD dst_unused:UNUSED_PAD src0_sel:WORD_0
	v_cvt_f32_u32_sdwa v61, v33 dst_sel:DWORD dst_unused:UNUSED_PAD src0_sel:WORD_1
	s_waitcnt vmcnt(6)
	v_cvt_f32_u32_sdwa v58, v22 dst_sel:DWORD dst_unused:UNUSED_PAD src0_sel:WORD_0
	v_cvt_f32_u32_sdwa v59, v22 dst_sel:DWORD dst_unused:UNUSED_PAD src0_sel:WORD_1
	v_cvt_f32_u32_sdwa v56, v23 dst_sel:DWORD dst_unused:UNUSED_PAD src0_sel:WORD_0
	v_cvt_f32_u32_sdwa v57, v23 dst_sel:DWORD dst_unused:UNUSED_PAD src0_sel:WORD_1
	v_cvt_f32_u32_sdwa v54, v24 dst_sel:DWORD dst_unused:UNUSED_PAD src0_sel:WORD_0
	v_cvt_f32_u32_sdwa v55, v24 dst_sel:DWORD dst_unused:UNUSED_PAD src0_sel:WORD_1
	v_cvt_f32_u32_sdwa v52, v25 dst_sel:DWORD dst_unused:UNUSED_PAD src0_sel:WORD_0
	v_cvt_f32_u32_sdwa v53, v25 dst_sel:DWORD dst_unused:UNUSED_PAD src0_sel:WORD_1
	;; [unrolled: 9-line block ×4, first 2 shown]
.LBB82_38:
	s_or_b64 exec, exec, s[0:1]
	v_mul_f32_e32 v1, v35, v35
	v_fmac_f32_e32 v1, v34, v34
	v_fmac_f32_e32 v1, v64, v64
	;; [unrolled: 1-line block ×31, first 2 shown]
	s_waitcnt vmcnt(4)
	s_nop 0
	v_mov_b32_dpp v18, v1 quad_perm:[1,0,3,2] row_mask:0xf bank_mask:0xf
	v_add_f32_e32 v1, v1, v18
	s_nop 1
	v_mov_b32_dpp v18, v1 quad_perm:[2,3,0,1] row_mask:0xf bank_mask:0xf
	v_add_f32_e32 v1, v1, v18
	s_nop 1
	v_mov_b32_dpp v18, v1 row_half_mirror row_mask:0xf bank_mask:0xf
	v_add_f32_e32 v1, v1, v18
	s_nop 1
	v_mov_b32_dpp v18, v1 row_mirror row_mask:0xf bank_mask:0xf
	v_add_f32_e32 v1, v1, v18
	s_nop 1
	v_mov_b32_dpp v18, v1 row_bcast:15 row_mask:0xf bank_mask:0xf
	v_add_f32_e32 v1, v1, v18
	s_nop 1
	v_mov_b32_dpp v18, v1 row_bcast:31 row_mask:0xf bank_mask:0xf
	s_and_saveexec_b64 s[0:1], s[2:3]
	s_cbranch_execz .LBB82_40
; %bb.39:
	v_lshrrev_b32_e32 v0, 4, v0
	v_add_f32_e32 v1, v1, v18
	v_and_b32_e32 v0, 60, v0
	ds_write_b32 v0, v1 offset:16
.LBB82_40:
	s_or_b64 exec, exec, s[0:1]
	s_waitcnt lgkmcnt(0)
	s_barrier
	ds_read_b32 v0, v66 offset:16
	s_waitcnt lgkmcnt(0)
	s_nop 0
	v_mov_b32_dpp v1, v0 quad_perm:[1,0,3,2] row_mask:0xf bank_mask:0xf
	v_add_f32_e32 v0, v0, v1
	s_nop 1
	v_mov_b32_dpp v1, v0 quad_perm:[2,3,0,1] row_mask:0xf bank_mask:0xf
	s_and_saveexec_b64 s[0:1], vcc
	s_cbranch_execz .LBB82_17
; %bb.41:
	v_cvt_f32_u32_e32 v18, s16
	v_add_f32_e32 v0, v0, v1
	s_mov_b32 s23, 0x20000
	v_div_scale_f32 v1, s[0:1], v18, v18, v0
	v_rcp_f32_e32 v19, v1
	v_div_scale_f32 v20, vcc, v0, v18, v0
	s_mov_b32 s0, 0x800000
	v_fma_f32 v21, -v1, v19, 1.0
	v_fmac_f32_e32 v19, v21, v19
	v_mul_f32_e32 v21, v20, v19
	v_fma_f32 v22, -v1, v21, v20
	v_fmac_f32_e32 v21, v22, v19
	v_fma_f32 v1, -v1, v21, v20
	v_div_fmas_f32 v1, v1, v19, v21
	v_div_fixup_f32 v0, v1, v18, v0
	v_add_f32_e32 v0, s13, v0
	v_mul_f32_e32 v1, 0x4b800000, v0
	v_cmp_gt_f32_e32 vcc, s0, v0
	v_cndmask_b32_e32 v0, v0, v1, vcc
	v_rsq_f32_e32 v0, v0
	s_mul_hi_i32 s1, s25, s6
	s_mul_i32 s0, s25, s6
	s_lshl_b64 s[0:1], s[0:1], 1
	v_mul_f32_e32 v1, 0x45800000, v0
	v_cndmask_b32_e32 v0, v0, v1, vcc
	v_mov_b32_e32 v1, v0
	;;#ASMSTART
	v_pk_mul_f32 v[22:23], v[34:35], v[0:1]
	;;#ASMEND
	;;#ASMSTART
	v_pk_mul_f32 v[24:25], v[64:65], v[0:1]
	;;#ASMEND
	;; [unrolled: 3-line block ×15, first 2 shown]
	s_waitcnt vmcnt(3)
	v_cvt_f32_u32_sdwa v39, v14 dst_sel:DWORD dst_unused:UNUSED_PAD src0_sel:WORD_1
	v_cvt_f32_u32_sdwa v38, v14 dst_sel:DWORD dst_unused:UNUSED_PAD src0_sel:WORD_0
	v_cvt_f32_u32_sdwa v41, v15 dst_sel:DWORD dst_unused:UNUSED_PAD src0_sel:WORD_1
	v_cvt_f32_u32_sdwa v40, v15 dst_sel:DWORD dst_unused:UNUSED_PAD src0_sel:WORD_0
	;;#ASMSTART
	v_pk_mul_f32 v[14:15], v[36:37], v[0:1]
	;;#ASMEND
	v_cvt_f32_u32_sdwa v37, v16 dst_sel:DWORD dst_unused:UNUSED_PAD src0_sel:WORD_1
	v_cvt_f32_u32_sdwa v36, v16 dst_sel:DWORD dst_unused:UNUSED_PAD src0_sel:WORD_0
	v_pk_add_f32 v[0:1], v[38:39], 1.0 op_sel_hi:[1,0]
	;;#ASMSTART
	v_pk_mul_f32 v[0:1], v[22:23], v[0:1]
	;;#ASMEND
	v_pk_add_f32 v[22:23], v[40:41], 1.0 op_sel_hi:[1,0]
	v_cvt_f32_u32_sdwa v39, v17 dst_sel:DWORD dst_unused:UNUSED_PAD src0_sel:WORD_1
	v_cvt_f32_u32_sdwa v38, v17 dst_sel:DWORD dst_unused:UNUSED_PAD src0_sel:WORD_0
	;;#ASMSTART
	v_pk_mul_f32 v[16:17], v[24:25], v[22:23]
	;;#ASMEND
	v_pk_add_f32 v[22:23], v[36:37], 1.0 op_sel_hi:[1,0]
	;;#ASMSTART
	v_pk_mul_f32 v[22:23], v[26:27], v[22:23]
	;;#ASMEND
	s_waitcnt vmcnt(2)
	v_cvt_f32_u32_sdwa v27, v10 dst_sel:DWORD dst_unused:UNUSED_PAD src0_sel:WORD_1
	v_cvt_f32_u32_sdwa v26, v10 dst_sel:DWORD dst_unused:UNUSED_PAD src0_sel:WORD_0
	v_pk_add_f32 v[24:25], v[38:39], 1.0 op_sel_hi:[1,0]
	v_cvt_f32_u32_sdwa v37, v11 dst_sel:DWORD dst_unused:UNUSED_PAD src0_sel:WORD_1
	v_cvt_f32_u32_sdwa v36, v11 dst_sel:DWORD dst_unused:UNUSED_PAD src0_sel:WORD_0
	;;#ASMSTART
	v_pk_mul_f32 v[10:11], v[28:29], v[24:25]
	;;#ASMEND
	v_pk_add_f32 v[24:25], v[26:27], 1.0 op_sel_hi:[1,0]
	;;#ASMSTART
	v_pk_mul_f32 v[24:25], v[30:31], v[24:25]
	;;#ASMEND
	v_cvt_f32_u32_sdwa v29, v12 dst_sel:DWORD dst_unused:UNUSED_PAD src0_sel:WORD_1
	v_cvt_f32_u32_sdwa v28, v12 dst_sel:DWORD dst_unused:UNUSED_PAD src0_sel:WORD_0
	v_cvt_f32_u32_sdwa v31, v13 dst_sel:DWORD dst_unused:UNUSED_PAD src0_sel:WORD_1
	v_cvt_f32_u32_sdwa v30, v13 dst_sel:DWORD dst_unused:UNUSED_PAD src0_sel:WORD_0
	v_pk_add_f32 v[26:27], v[36:37], 1.0 op_sel_hi:[1,0]
	;;#ASMSTART
	v_pk_mul_f32 v[12:13], v[32:33], v[26:27]
	;;#ASMEND
	v_pk_add_f32 v[26:27], v[28:29], 1.0 op_sel_hi:[1,0]
	v_pk_add_f32 v[28:29], v[30:31], 1.0 op_sel_hi:[1,0]
	s_waitcnt vmcnt(1)
	v_cvt_f32_u32_sdwa v31, v6 dst_sel:DWORD dst_unused:UNUSED_PAD src0_sel:WORD_1
	v_cvt_f32_u32_sdwa v30, v6 dst_sel:DWORD dst_unused:UNUSED_PAD src0_sel:WORD_0
	v_cvt_f32_u32_sdwa v33, v7 dst_sel:DWORD dst_unused:UNUSED_PAD src0_sel:WORD_1
	v_cvt_f32_u32_sdwa v32, v7 dst_sel:DWORD dst_unused:UNUSED_PAD src0_sel:WORD_0
	;;#ASMSTART
	v_pk_mul_f32 v[26:27], v[34:35], v[26:27]
	;;#ASMEND
	;;#ASMSTART
	v_pk_mul_f32 v[6:7], v[52:53], v[28:29]
	;;#ASMEND
	v_pk_add_f32 v[28:29], v[30:31], 1.0 op_sel_hi:[1,0]
	v_pk_add_f32 v[30:31], v[32:33], 1.0 op_sel_hi:[1,0]
	v_cvt_f32_u32_sdwa v33, v8 dst_sel:DWORD dst_unused:UNUSED_PAD src0_sel:WORD_1
	v_cvt_f32_u32_sdwa v32, v8 dst_sel:DWORD dst_unused:UNUSED_PAD src0_sel:WORD_0
	v_cvt_f32_u32_sdwa v35, v9 dst_sel:DWORD dst_unused:UNUSED_PAD src0_sel:WORD_1
	v_cvt_f32_u32_sdwa v34, v9 dst_sel:DWORD dst_unused:UNUSED_PAD src0_sel:WORD_0
	;;#ASMSTART
	v_pk_mul_f32 v[28:29], v[50:51], v[28:29]
	;;#ASMEND
	;;#ASMSTART
	v_pk_mul_f32 v[8:9], v[48:49], v[30:31]
	;;#ASMEND
	v_pk_add_f32 v[30:31], v[32:33], 1.0 op_sel_hi:[1,0]
	v_pk_add_f32 v[32:33], v[34:35], 1.0 op_sel_hi:[1,0]
	s_waitcnt vmcnt(0)
	v_cvt_f32_u32_sdwa v35, v2 dst_sel:DWORD dst_unused:UNUSED_PAD src0_sel:WORD_1
	v_cvt_f32_u32_sdwa v34, v2 dst_sel:DWORD dst_unused:UNUSED_PAD src0_sel:WORD_0
	v_cvt_f32_u32_sdwa v37, v3 dst_sel:DWORD dst_unused:UNUSED_PAD src0_sel:WORD_1
	v_cvt_f32_u32_sdwa v36, v3 dst_sel:DWORD dst_unused:UNUSED_PAD src0_sel:WORD_0
	;;#ASMSTART
	v_pk_mul_f32 v[30:31], v[46:47], v[30:31]
	;;#ASMEND
	v_pk_add_f32 v[2:3], v[34:35], 1.0 op_sel_hi:[1,0]
	;;#ASMSTART
	v_pk_mul_f32 v[32:33], v[44:45], v[32:33]
	;;#ASMEND
	;;#ASMSTART
	v_pk_mul_f32 v[34:35], v[42:43], v[2:3]
	;;#ASMEND
	v_pk_add_f32 v[2:3], v[36:37], 1.0 op_sel_hi:[1,0]
	v_cvt_f32_u32_sdwa v37, v4 dst_sel:DWORD dst_unused:UNUSED_PAD src0_sel:WORD_1
	v_cvt_f32_u32_sdwa v36, v4 dst_sel:DWORD dst_unused:UNUSED_PAD src0_sel:WORD_0
	v_cvt_f32_u32_sdwa v39, v5 dst_sel:DWORD dst_unused:UNUSED_PAD src0_sel:WORD_1
	v_cvt_f32_u32_sdwa v38, v5 dst_sel:DWORD dst_unused:UNUSED_PAD src0_sel:WORD_0
	s_add_u32 s20, s26, s0
	;;#ASMSTART
	v_pk_mul_f32 v[4:5], v[18:19], v[2:3]
	;;#ASMEND
	v_pk_add_f32 v[2:3], v[36:37], 1.0 op_sel_hi:[1,0]
	s_addc_u32 s0, s27, s1
	;;#ASMSTART
	v_pk_mul_f32 v[18:19], v[20:21], v[2:3]
	;;#ASMEND
	v_pk_add_f32 v[2:3], v[38:39], 1.0 op_sel_hi:[1,0]
	s_and_b32 s21, s0, 0xffff
	s_mov_b32 s0, 0x7060302
	;;#ASMSTART
	v_pk_mul_f32 v[14:15], v[14:15], v[2:3]
	;;#ASMEND
	v_perm_b32 v0, v1, v0, s0
	v_perm_b32 v1, v17, v16, s0
	;; [unrolled: 1-line block ×4, first 2 shown]
	buffer_store_dwordx4 v[0:3], v67, s[20:23], 0 offen
	s_movk_i32 s1, 0x400
	v_perm_b32 v0, v25, v24, s0
	v_perm_b32 v1, v13, v12, s0
	;; [unrolled: 1-line block ×4, first 2 shown]
	;;#ASMSTART
	s_nop 0
	;;#ASMEND
	buffer_store_dwordx4 v[0:3], v67, s[20:23], s1 offen
	v_perm_b32 v0, v29, v28, s0
	v_perm_b32 v1, v9, v8, s0
	;; [unrolled: 1-line block ×4, first 2 shown]
	s_movk_i32 s1, 0x800
	;;#ASMSTART
	s_nop 0
	;;#ASMEND
	buffer_store_dwordx4 v[0:3], v67, s[20:23], s1 offen
	v_perm_b32 v0, v35, v34, s0
	v_perm_b32 v1, v5, v4, s0
	;; [unrolled: 1-line block ×4, first 2 shown]
	s_movk_i32 s0, 0xc00
	;;#ASMSTART
	s_nop 0
	;;#ASMEND
	buffer_store_dwordx4 v[0:3], v67, s[20:23], s0 offen
	;;#ASMSTART
	s_nop 0
	;;#ASMEND
	s_endpgm
	.section	.rodata,"a",@progbits
	.p2align	6, 0x0
	.amdhsa_kernel _ZN5aiter35fused_qk_rmsnorm_group_quant_kernelItDB8_Li256ELi32ELi1ELb1ELb1ELb1ELb0ELb1ELb1EEEvPT0_PvPT_S6_S6_PKS5_S8_S8_S8_S8_ffiiiiiiiiiiiii
		.amdhsa_group_segment_fixed_size 48
		.amdhsa_private_segment_fixed_size 1796
		.amdhsa_kernarg_size 400
		.amdhsa_user_sgpr_count 6
		.amdhsa_user_sgpr_private_segment_buffer 1
		.amdhsa_user_sgpr_dispatch_ptr 0
		.amdhsa_user_sgpr_queue_ptr 0
		.amdhsa_user_sgpr_kernarg_segment_ptr 1
		.amdhsa_user_sgpr_dispatch_id 0
		.amdhsa_user_sgpr_flat_scratch_init 0
		.amdhsa_user_sgpr_kernarg_preload_length 0
		.amdhsa_user_sgpr_kernarg_preload_offset 0
		.amdhsa_user_sgpr_private_segment_size 0
		.amdhsa_uses_dynamic_stack 0
		.amdhsa_system_sgpr_private_segment_wavefront_offset 1
		.amdhsa_system_sgpr_workgroup_id_x 1
		.amdhsa_system_sgpr_workgroup_id_y 1
		.amdhsa_system_sgpr_workgroup_id_z 0
		.amdhsa_system_sgpr_workgroup_info 0
		.amdhsa_system_vgpr_workitem_id 0
		.amdhsa_next_free_vgpr 128
		.amdhsa_next_free_sgpr 44
		.amdhsa_accum_offset 128
		.amdhsa_reserve_vcc 1
		.amdhsa_reserve_flat_scratch 0
		.amdhsa_float_round_mode_32 0
		.amdhsa_float_round_mode_16_64 0
		.amdhsa_float_denorm_mode_32 3
		.amdhsa_float_denorm_mode_16_64 3
		.amdhsa_dx10_clamp 1
		.amdhsa_ieee_mode 1
		.amdhsa_fp16_overflow 0
		.amdhsa_tg_split 0
		.amdhsa_exception_fp_ieee_invalid_op 0
		.amdhsa_exception_fp_denorm_src 0
		.amdhsa_exception_fp_ieee_div_zero 0
		.amdhsa_exception_fp_ieee_overflow 0
		.amdhsa_exception_fp_ieee_underflow 0
		.amdhsa_exception_fp_ieee_inexact 0
		.amdhsa_exception_int_div_zero 0
	.end_amdhsa_kernel
	.section	.text._ZN5aiter35fused_qk_rmsnorm_group_quant_kernelItDB8_Li256ELi32ELi1ELb1ELb1ELb1ELb0ELb1ELb1EEEvPT0_PvPT_S6_S6_PKS5_S8_S8_S8_S8_ffiiiiiiiiiiiii,"axG",@progbits,_ZN5aiter35fused_qk_rmsnorm_group_quant_kernelItDB8_Li256ELi32ELi1ELb1ELb1ELb1ELb0ELb1ELb1EEEvPT0_PvPT_S6_S6_PKS5_S8_S8_S8_S8_ffiiiiiiiiiiiii,comdat
.Lfunc_end82:
	.size	_ZN5aiter35fused_qk_rmsnorm_group_quant_kernelItDB8_Li256ELi32ELi1ELb1ELb1ELb1ELb0ELb1ELb1EEEvPT0_PvPT_S6_S6_PKS5_S8_S8_S8_S8_ffiiiiiiiiiiiii, .Lfunc_end82-_ZN5aiter35fused_qk_rmsnorm_group_quant_kernelItDB8_Li256ELi32ELi1ELb1ELb1ELb1ELb0ELb1ELb1EEEvPT0_PvPT_S6_S6_PKS5_S8_S8_S8_S8_ffiiiiiiiiiiiii
                                        ; -- End function
	.section	.AMDGPU.csdata,"",@progbits
; Kernel info:
; codeLenInByte = 29040
; NumSgprs: 48
; NumVgprs: 128
; NumAgprs: 0
; TotalNumVgprs: 128
; ScratchSize: 1796
; MemoryBound: 0
; FloatMode: 240
; IeeeMode: 1
; LDSByteSize: 48 bytes/workgroup (compile time only)
; SGPRBlocks: 5
; VGPRBlocks: 15
; NumSGPRsForWavesPerEU: 48
; NumVGPRsForWavesPerEU: 128
; AccumOffset: 128
; Occupancy: 4
; WaveLimiterHint : 0
; COMPUTE_PGM_RSRC2:SCRATCH_EN: 1
; COMPUTE_PGM_RSRC2:USER_SGPR: 6
; COMPUTE_PGM_RSRC2:TRAP_HANDLER: 0
; COMPUTE_PGM_RSRC2:TGID_X_EN: 1
; COMPUTE_PGM_RSRC2:TGID_Y_EN: 1
; COMPUTE_PGM_RSRC2:TGID_Z_EN: 0
; COMPUTE_PGM_RSRC2:TIDIG_COMP_CNT: 0
; COMPUTE_PGM_RSRC3_GFX90A:ACCUM_OFFSET: 31
; COMPUTE_PGM_RSRC3_GFX90A:TG_SPLIT: 0
	.section	.text._ZN5aiter35fused_qk_rmsnorm_group_quant_kernelIDF16_DB8_Li256ELi32ELi1ELb1ELb1ELb0ELb0ELb1ELb1EEEvPT0_PvPT_S6_S6_PKS5_S8_S8_S8_S8_ffiiiiiiiiiiiii,"axG",@progbits,_ZN5aiter35fused_qk_rmsnorm_group_quant_kernelIDF16_DB8_Li256ELi32ELi1ELb1ELb1ELb0ELb0ELb1ELb1EEEvPT0_PvPT_S6_S6_PKS5_S8_S8_S8_S8_ffiiiiiiiiiiiii,comdat
	.protected	_ZN5aiter35fused_qk_rmsnorm_group_quant_kernelIDF16_DB8_Li256ELi32ELi1ELb1ELb1ELb0ELb0ELb1ELb1EEEvPT0_PvPT_S6_S6_PKS5_S8_S8_S8_S8_ffiiiiiiiiiiiii ; -- Begin function _ZN5aiter35fused_qk_rmsnorm_group_quant_kernelIDF16_DB8_Li256ELi32ELi1ELb1ELb1ELb0ELb0ELb1ELb1EEEvPT0_PvPT_S6_S6_PKS5_S8_S8_S8_S8_ffiiiiiiiiiiiii
	.globl	_ZN5aiter35fused_qk_rmsnorm_group_quant_kernelIDF16_DB8_Li256ELi32ELi1ELb1ELb1ELb0ELb0ELb1ELb1EEEvPT0_PvPT_S6_S6_PKS5_S8_S8_S8_S8_ffiiiiiiiiiiiii
	.p2align	8
	.type	_ZN5aiter35fused_qk_rmsnorm_group_quant_kernelIDF16_DB8_Li256ELi32ELi1ELb1ELb1ELb0ELb0ELb1ELb1EEEvPT0_PvPT_S6_S6_PKS5_S8_S8_S8_S8_ffiiiiiiiiiiiii,@function
_ZN5aiter35fused_qk_rmsnorm_group_quant_kernelIDF16_DB8_Li256ELi32ELi1ELb1ELb1ELb0ELb0ELb1ELb1EEEvPT0_PvPT_S6_S6_PKS5_S8_S8_S8_S8_ffiiiiiiiiiiiii: ; @_ZN5aiter35fused_qk_rmsnorm_group_quant_kernelIDF16_DB8_Li256ELi32ELi1ELb1ELb1ELb0ELb0ELb1ELb1EEEvPT0_PvPT_S6_S6_PKS5_S8_S8_S8_S8_ffiiiiiiiiiiiii
; %bb.0:
	s_load_dwordx8 s[12:19], s[4:5], 0x50
	s_mov_b64 s[42:43], s[2:3]
	s_mov_b64 s[40:41], s[0:1]
	s_add_u32 s40, s40, s8
	s_addc_u32 s41, s41, 0
	s_waitcnt lgkmcnt(0)
	s_cmp_ge_i32 s6, s14
	s_cbranch_scc1 .LBB83_17
; %bb.1:
	s_cmp_lg_u32 s7, 0
	s_cselect_b64 s[22:23], -1, 0
	s_cmp_eq_u32 s7, 0
	s_cselect_b64 s[8:9], -1, 0
	s_and_b64 s[0:1], s[8:9], exec
	s_cselect_b32 s7, s15, s16
	s_add_i32 s0, s7, 1
	s_load_dwordx2 s[10:11], s[4:5], 0x70
	s_load_dwordx2 s[20:21], s[4:5], 0x48
	;; [unrolled: 1-line block ×3, first 2 shown]
	s_lshr_b32 s1, s0, 31
	s_add_i32 s0, s0, s1
	s_lshl_b32 s0, s0, 1
	v_lshlrev_b32_e32 v1, 5, v0
	s_and_b32 s30, s0, -4
	v_lshlrev_b32_e32 v2, 3, v0
	v_and_b32_e32 v1, 0x7800, v1
	s_movk_i32 s0, 0x1f8
	v_and_or_b32 v1, v2, s0, v1
	v_cmp_gt_i32_e64 s[0:1], s7, v1
	v_mov_b32_e32 v112, 0
	v_mov_b32_e32 v113, 0
	;; [unrolled: 1-line block ×32, first 2 shown]
	buffer_store_dword v1, off, s[40:43], 0 offset:1536 ; 4-byte Folded Spill
	s_and_saveexec_b64 s[2:3], s[0:1]
	s_cbranch_execz .LBB83_3
; %bb.2:
	s_load_dwordx2 s[24:25], s[4:5], 0x28
	s_load_dwordx2 s[26:27], s[4:5], 0x40
	buffer_load_dword v1, off, s[40:43], 0 offset:1536 ; 4-byte Folded Reload
	s_and_b64 s[28:29], s[8:9], exec
	s_cselect_b32 s14, s17, s18
	s_waitcnt lgkmcnt(0)
	s_cselect_b32 s17, s25, s35
	s_cselect_b32 s28, s24, s34
	s_mul_hi_i32 s25, s14, s6
	s_mul_i32 s24, s14, s6
	s_lshl_b64 s[24:25], s[24:25], 1
	s_add_u32 s24, s28, s24
	s_addc_u32 s14, s17, s25
	s_and_b64 s[28:29], s[8:9], exec
	s_cselect_b32 s17, s27, s21
	s_mov_b32 s31, 0x20000
	s_cselect_b32 s28, s26, s20
	s_and_b32 s29, s17, 0xffff
	s_and_b32 s25, s14, 0xffff
	s_mov_b32 s26, s30
	s_mov_b32 s27, s31
	s_movk_i32 s17, 0x800
	s_movk_i32 s14, 0x400
	;; [unrolled: 1-line block ×3, first 2 shown]
	s_waitcnt vmcnt(0)
	v_lshlrev_b32_e32 v1, 1, v1
	buffer_load_dwordx4 v[116:119], v1, s[24:27], 0 offen glc slc
	buffer_load_dwordx4 v[34:37], v1, s[24:27], s14 offen glc slc
	;; [unrolled: 1-line block ×4, first 2 shown]
	buffer_load_dwordx4 v[112:115], v1, s[28:31], 0 offen
	buffer_load_dwordx4 v[108:111], v1, s[28:31], s14 offen
	;; [unrolled: 1-line block ×4, first 2 shown]
.LBB83_3:
	s_or_b64 exec, exec, s[2:3]
	s_load_dwordx4 s[24:27], s[4:5], 0x7c
	s_and_b64 vcc, exec, s[22:23]
	s_cbranch_vccz .LBB83_7
; %bb.4:
	v_mov_b32_e32 v29, 0
	v_mov_b32_e32 v28, 0
	buffer_store_dword v0, off, s[40:43], 0 offset:1540 ; 4-byte Folded Spill
	s_nop 0
	buffer_store_dword v1, off, s[40:43], 0 offset:1544 ; 4-byte Folded Spill
	buffer_store_dword v2, off, s[40:43], 0 offset:1548 ; 4-byte Folded Spill
	;; [unrolled: 1-line block ×31, first 2 shown]
	v_mov_b32_e32 v27, 0
	v_mov_b32_e32 v26, 0
	;; [unrolled: 1-line block ×6, first 2 shown]
	buffer_store_dword v0, off, s[40:43], 0 offset:256 ; 4-byte Folded Spill
	s_nop 0
	buffer_store_dword v1, off, s[40:43], 0 offset:260 ; 4-byte Folded Spill
	buffer_store_dword v2, off, s[40:43], 0 offset:264 ; 4-byte Folded Spill
	;; [unrolled: 1-line block ×31, first 2 shown]
	v_mov_b32_e32 v25, 0
	v_mov_b32_e32 v24, 0
	buffer_store_dword v0, off, s[40:43], 0 offset:384 ; 4-byte Folded Spill
	s_nop 0
	buffer_store_dword v1, off, s[40:43], 0 offset:388 ; 4-byte Folded Spill
	buffer_store_dword v2, off, s[40:43], 0 offset:392 ; 4-byte Folded Spill
	;; [unrolled: 1-line block ×31, first 2 shown]
	v_mov_b32_e32 v23, 0
	v_mov_b32_e32 v22, 0
	buffer_store_dword v0, off, s[40:43], 0 ; 4-byte Folded Spill
	s_nop 0
	buffer_store_dword v1, off, s[40:43], 0 offset:4 ; 4-byte Folded Spill
	buffer_store_dword v2, off, s[40:43], 0 offset:8 ; 4-byte Folded Spill
	buffer_store_dword v3, off, s[40:43], 0 offset:12 ; 4-byte Folded Spill
	buffer_store_dword v4, off, s[40:43], 0 offset:16 ; 4-byte Folded Spill
	buffer_store_dword v5, off, s[40:43], 0 offset:20 ; 4-byte Folded Spill
	buffer_store_dword v6, off, s[40:43], 0 offset:24 ; 4-byte Folded Spill
	buffer_store_dword v7, off, s[40:43], 0 offset:28 ; 4-byte Folded Spill
	buffer_store_dword v8, off, s[40:43], 0 offset:32 ; 4-byte Folded Spill
	buffer_store_dword v9, off, s[40:43], 0 offset:36 ; 4-byte Folded Spill
	buffer_store_dword v10, off, s[40:43], 0 offset:40 ; 4-byte Folded Spill
	buffer_store_dword v11, off, s[40:43], 0 offset:44 ; 4-byte Folded Spill
	buffer_store_dword v12, off, s[40:43], 0 offset:48 ; 4-byte Folded Spill
	buffer_store_dword v13, off, s[40:43], 0 offset:52 ; 4-byte Folded Spill
	buffer_store_dword v14, off, s[40:43], 0 offset:56 ; 4-byte Folded Spill
	buffer_store_dword v15, off, s[40:43], 0 offset:60 ; 4-byte Folded Spill
	buffer_store_dword v16, off, s[40:43], 0 offset:64 ; 4-byte Folded Spill
	buffer_store_dword v17, off, s[40:43], 0 offset:68 ; 4-byte Folded Spill
	buffer_store_dword v18, off, s[40:43], 0 offset:72 ; 4-byte Folded Spill
	buffer_store_dword v19, off, s[40:43], 0 offset:76 ; 4-byte Folded Spill
	buffer_store_dword v20, off, s[40:43], 0 offset:80 ; 4-byte Folded Spill
	buffer_store_dword v21, off, s[40:43], 0 offset:84 ; 4-byte Folded Spill
	buffer_store_dword v22, off, s[40:43], 0 offset:88 ; 4-byte Folded Spill
	buffer_store_dword v23, off, s[40:43], 0 offset:92 ; 4-byte Folded Spill
	buffer_store_dword v24, off, s[40:43], 0 offset:96 ; 4-byte Folded Spill
	buffer_store_dword v25, off, s[40:43], 0 offset:100 ; 4-byte Folded Spill
	buffer_store_dword v26, off, s[40:43], 0 offset:104 ; 4-byte Folded Spill
	buffer_store_dword v27, off, s[40:43], 0 offset:108 ; 4-byte Folded Spill
	buffer_store_dword v28, off, s[40:43], 0 offset:112 ; 4-byte Folded Spill
	buffer_store_dword v29, off, s[40:43], 0 offset:116 ; 4-byte Folded Spill
	buffer_store_dword v30, off, s[40:43], 0 offset:120 ; 4-byte Folded Spill
	buffer_store_dword v31, off, s[40:43], 0 offset:124 ; 4-byte Folded Spill
	v_mov_b32_e32 v21, 0
	v_mov_b32_e32 v20, 0
	buffer_store_dword v0, off, s[40:43], 0 offset:128 ; 4-byte Folded Spill
	s_nop 0
	buffer_store_dword v1, off, s[40:43], 0 offset:132 ; 4-byte Folded Spill
	buffer_store_dword v2, off, s[40:43], 0 offset:136 ; 4-byte Folded Spill
	buffer_store_dword v3, off, s[40:43], 0 offset:140 ; 4-byte Folded Spill
	buffer_store_dword v4, off, s[40:43], 0 offset:144 ; 4-byte Folded Spill
	buffer_store_dword v5, off, s[40:43], 0 offset:148 ; 4-byte Folded Spill
	buffer_store_dword v6, off, s[40:43], 0 offset:152 ; 4-byte Folded Spill
	buffer_store_dword v7, off, s[40:43], 0 offset:156 ; 4-byte Folded Spill
	buffer_store_dword v8, off, s[40:43], 0 offset:160 ; 4-byte Folded Spill
	buffer_store_dword v9, off, s[40:43], 0 offset:164 ; 4-byte Folded Spill
	buffer_store_dword v10, off, s[40:43], 0 offset:168 ; 4-byte Folded Spill
	buffer_store_dword v11, off, s[40:43], 0 offset:172 ; 4-byte Folded Spill
	buffer_store_dword v12, off, s[40:43], 0 offset:176 ; 4-byte Folded Spill
	buffer_store_dword v13, off, s[40:43], 0 offset:180 ; 4-byte Folded Spill
	buffer_store_dword v14, off, s[40:43], 0 offset:184 ; 4-byte Folded Spill
	buffer_store_dword v15, off, s[40:43], 0 offset:188 ; 4-byte Folded Spill
	buffer_store_dword v16, off, s[40:43], 0 offset:192 ; 4-byte Folded Spill
	buffer_store_dword v17, off, s[40:43], 0 offset:196 ; 4-byte Folded Spill
	buffer_store_dword v18, off, s[40:43], 0 offset:200 ; 4-byte Folded Spill
	buffer_store_dword v19, off, s[40:43], 0 offset:204 ; 4-byte Folded Spill
	buffer_store_dword v20, off, s[40:43], 0 offset:208 ; 4-byte Folded Spill
	buffer_store_dword v21, off, s[40:43], 0 offset:212 ; 4-byte Folded Spill
	buffer_store_dword v22, off, s[40:43], 0 offset:216 ; 4-byte Folded Spill
	buffer_store_dword v23, off, s[40:43], 0 offset:220 ; 4-byte Folded Spill
	buffer_store_dword v24, off, s[40:43], 0 offset:224 ; 4-byte Folded Spill
	buffer_store_dword v25, off, s[40:43], 0 offset:228 ; 4-byte Folded Spill
	buffer_store_dword v26, off, s[40:43], 0 offset:232 ; 4-byte Folded Spill
	buffer_store_dword v27, off, s[40:43], 0 offset:236 ; 4-byte Folded Spill
	buffer_store_dword v28, off, s[40:43], 0 offset:240 ; 4-byte Folded Spill
	buffer_store_dword v29, off, s[40:43], 0 offset:244 ; 4-byte Folded Spill
	buffer_store_dword v30, off, s[40:43], 0 offset:248 ; 4-byte Folded Spill
	buffer_store_dword v31, off, s[40:43], 0 offset:252 ; 4-byte Folded Spill
	v_mov_b32_e32 v19, 0
	v_mov_b32_e32 v18, 0
	buffer_store_dword v0, off, s[40:43], 0 offset:768 ; 4-byte Folded Spill
	s_nop 0
	buffer_store_dword v1, off, s[40:43], 0 offset:772 ; 4-byte Folded Spill
	buffer_store_dword v2, off, s[40:43], 0 offset:776 ; 4-byte Folded Spill
	buffer_store_dword v3, off, s[40:43], 0 offset:780 ; 4-byte Folded Spill
	buffer_store_dword v4, off, s[40:43], 0 offset:784 ; 4-byte Folded Spill
	buffer_store_dword v5, off, s[40:43], 0 offset:788 ; 4-byte Folded Spill
	buffer_store_dword v6, off, s[40:43], 0 offset:792 ; 4-byte Folded Spill
	buffer_store_dword v7, off, s[40:43], 0 offset:796 ; 4-byte Folded Spill
	buffer_store_dword v8, off, s[40:43], 0 offset:800 ; 4-byte Folded Spill
	buffer_store_dword v9, off, s[40:43], 0 offset:804 ; 4-byte Folded Spill
	buffer_store_dword v10, off, s[40:43], 0 offset:808 ; 4-byte Folded Spill
	buffer_store_dword v11, off, s[40:43], 0 offset:812 ; 4-byte Folded Spill
	buffer_store_dword v12, off, s[40:43], 0 offset:816 ; 4-byte Folded Spill
	buffer_store_dword v13, off, s[40:43], 0 offset:820 ; 4-byte Folded Spill
	buffer_store_dword v14, off, s[40:43], 0 offset:824 ; 4-byte Folded Spill
	buffer_store_dword v15, off, s[40:43], 0 offset:828 ; 4-byte Folded Spill
	buffer_store_dword v16, off, s[40:43], 0 offset:832 ; 4-byte Folded Spill
	buffer_store_dword v17, off, s[40:43], 0 offset:836 ; 4-byte Folded Spill
	buffer_store_dword v18, off, s[40:43], 0 offset:840 ; 4-byte Folded Spill
	buffer_store_dword v19, off, s[40:43], 0 offset:844 ; 4-byte Folded Spill
	buffer_store_dword v20, off, s[40:43], 0 offset:848 ; 4-byte Folded Spill
	buffer_store_dword v21, off, s[40:43], 0 offset:852 ; 4-byte Folded Spill
	buffer_store_dword v22, off, s[40:43], 0 offset:856 ; 4-byte Folded Spill
	buffer_store_dword v23, off, s[40:43], 0 offset:860 ; 4-byte Folded Spill
	buffer_store_dword v24, off, s[40:43], 0 offset:864 ; 4-byte Folded Spill
	buffer_store_dword v25, off, s[40:43], 0 offset:868 ; 4-byte Folded Spill
	buffer_store_dword v26, off, s[40:43], 0 offset:872 ; 4-byte Folded Spill
	buffer_store_dword v27, off, s[40:43], 0 offset:876 ; 4-byte Folded Spill
	buffer_store_dword v28, off, s[40:43], 0 offset:880 ; 4-byte Folded Spill
	buffer_store_dword v29, off, s[40:43], 0 offset:884 ; 4-byte Folded Spill
	buffer_store_dword v30, off, s[40:43], 0 offset:888 ; 4-byte Folded Spill
	buffer_store_dword v31, off, s[40:43], 0 offset:892 ; 4-byte Folded Spill
	v_mov_b32_e32 v17, 0
	v_mov_b32_e32 v16, 0
	buffer_store_dword v0, off, s[40:43], 0 offset:896 ; 4-byte Folded Spill
	s_nop 0
	buffer_store_dword v1, off, s[40:43], 0 offset:900 ; 4-byte Folded Spill
	buffer_store_dword v2, off, s[40:43], 0 offset:904 ; 4-byte Folded Spill
	buffer_store_dword v3, off, s[40:43], 0 offset:908 ; 4-byte Folded Spill
	buffer_store_dword v4, off, s[40:43], 0 offset:912 ; 4-byte Folded Spill
	buffer_store_dword v5, off, s[40:43], 0 offset:916 ; 4-byte Folded Spill
	buffer_store_dword v6, off, s[40:43], 0 offset:920 ; 4-byte Folded Spill
	buffer_store_dword v7, off, s[40:43], 0 offset:924 ; 4-byte Folded Spill
	buffer_store_dword v8, off, s[40:43], 0 offset:928 ; 4-byte Folded Spill
	buffer_store_dword v9, off, s[40:43], 0 offset:932 ; 4-byte Folded Spill
	buffer_store_dword v10, off, s[40:43], 0 offset:936 ; 4-byte Folded Spill
	buffer_store_dword v11, off, s[40:43], 0 offset:940 ; 4-byte Folded Spill
	buffer_store_dword v12, off, s[40:43], 0 offset:944 ; 4-byte Folded Spill
	buffer_store_dword v13, off, s[40:43], 0 offset:948 ; 4-byte Folded Spill
	buffer_store_dword v14, off, s[40:43], 0 offset:952 ; 4-byte Folded Spill
	buffer_store_dword v15, off, s[40:43], 0 offset:956 ; 4-byte Folded Spill
	buffer_store_dword v16, off, s[40:43], 0 offset:960 ; 4-byte Folded Spill
	buffer_store_dword v17, off, s[40:43], 0 offset:964 ; 4-byte Folded Spill
	buffer_store_dword v18, off, s[40:43], 0 offset:968 ; 4-byte Folded Spill
	buffer_store_dword v19, off, s[40:43], 0 offset:972 ; 4-byte Folded Spill
	buffer_store_dword v20, off, s[40:43], 0 offset:976 ; 4-byte Folded Spill
	buffer_store_dword v21, off, s[40:43], 0 offset:980 ; 4-byte Folded Spill
	buffer_store_dword v22, off, s[40:43], 0 offset:984 ; 4-byte Folded Spill
	buffer_store_dword v23, off, s[40:43], 0 offset:988 ; 4-byte Folded Spill
	buffer_store_dword v24, off, s[40:43], 0 offset:992 ; 4-byte Folded Spill
	buffer_store_dword v25, off, s[40:43], 0 offset:996 ; 4-byte Folded Spill
	buffer_store_dword v26, off, s[40:43], 0 offset:1000 ; 4-byte Folded Spill
	buffer_store_dword v27, off, s[40:43], 0 offset:1004 ; 4-byte Folded Spill
	buffer_store_dword v28, off, s[40:43], 0 offset:1008 ; 4-byte Folded Spill
	buffer_store_dword v29, off, s[40:43], 0 offset:1012 ; 4-byte Folded Spill
	buffer_store_dword v30, off, s[40:43], 0 offset:1016 ; 4-byte Folded Spill
	buffer_store_dword v31, off, s[40:43], 0 offset:1020 ; 4-byte Folded Spill
	v_mov_b32_e32 v15, 0
	v_mov_b32_e32 v14, 0
	buffer_store_dword v0, off, s[40:43], 0 offset:512 ; 4-byte Folded Spill
	s_nop 0
	buffer_store_dword v1, off, s[40:43], 0 offset:516 ; 4-byte Folded Spill
	buffer_store_dword v2, off, s[40:43], 0 offset:520 ; 4-byte Folded Spill
	buffer_store_dword v3, off, s[40:43], 0 offset:524 ; 4-byte Folded Spill
	buffer_store_dword v4, off, s[40:43], 0 offset:528 ; 4-byte Folded Spill
	buffer_store_dword v5, off, s[40:43], 0 offset:532 ; 4-byte Folded Spill
	buffer_store_dword v6, off, s[40:43], 0 offset:536 ; 4-byte Folded Spill
	buffer_store_dword v7, off, s[40:43], 0 offset:540 ; 4-byte Folded Spill
	buffer_store_dword v8, off, s[40:43], 0 offset:544 ; 4-byte Folded Spill
	buffer_store_dword v9, off, s[40:43], 0 offset:548 ; 4-byte Folded Spill
	buffer_store_dword v10, off, s[40:43], 0 offset:552 ; 4-byte Folded Spill
	buffer_store_dword v11, off, s[40:43], 0 offset:556 ; 4-byte Folded Spill
	buffer_store_dword v12, off, s[40:43], 0 offset:560 ; 4-byte Folded Spill
	buffer_store_dword v13, off, s[40:43], 0 offset:564 ; 4-byte Folded Spill
	buffer_store_dword v14, off, s[40:43], 0 offset:568 ; 4-byte Folded Spill
	buffer_store_dword v15, off, s[40:43], 0 offset:572 ; 4-byte Folded Spill
	buffer_store_dword v16, off, s[40:43], 0 offset:576 ; 4-byte Folded Spill
	buffer_store_dword v17, off, s[40:43], 0 offset:580 ; 4-byte Folded Spill
	buffer_store_dword v18, off, s[40:43], 0 offset:584 ; 4-byte Folded Spill
	buffer_store_dword v19, off, s[40:43], 0 offset:588 ; 4-byte Folded Spill
	buffer_store_dword v20, off, s[40:43], 0 offset:592 ; 4-byte Folded Spill
	buffer_store_dword v21, off, s[40:43], 0 offset:596 ; 4-byte Folded Spill
	buffer_store_dword v22, off, s[40:43], 0 offset:600 ; 4-byte Folded Spill
	buffer_store_dword v23, off, s[40:43], 0 offset:604 ; 4-byte Folded Spill
	buffer_store_dword v24, off, s[40:43], 0 offset:608 ; 4-byte Folded Spill
	buffer_store_dword v25, off, s[40:43], 0 offset:612 ; 4-byte Folded Spill
	buffer_store_dword v26, off, s[40:43], 0 offset:616 ; 4-byte Folded Spill
	buffer_store_dword v27, off, s[40:43], 0 offset:620 ; 4-byte Folded Spill
	buffer_store_dword v28, off, s[40:43], 0 offset:624 ; 4-byte Folded Spill
	buffer_store_dword v29, off, s[40:43], 0 offset:628 ; 4-byte Folded Spill
	buffer_store_dword v30, off, s[40:43], 0 offset:632 ; 4-byte Folded Spill
	buffer_store_dword v31, off, s[40:43], 0 offset:636 ; 4-byte Folded Spill
	v_mov_b32_e32 v13, 0
	v_mov_b32_e32 v12, 0
	buffer_store_dword v0, off, s[40:43], 0 offset:640 ; 4-byte Folded Spill
	s_nop 0
	buffer_store_dword v1, off, s[40:43], 0 offset:644 ; 4-byte Folded Spill
	buffer_store_dword v2, off, s[40:43], 0 offset:648 ; 4-byte Folded Spill
	buffer_store_dword v3, off, s[40:43], 0 offset:652 ; 4-byte Folded Spill
	buffer_store_dword v4, off, s[40:43], 0 offset:656 ; 4-byte Folded Spill
	buffer_store_dword v5, off, s[40:43], 0 offset:660 ; 4-byte Folded Spill
	buffer_store_dword v6, off, s[40:43], 0 offset:664 ; 4-byte Folded Spill
	buffer_store_dword v7, off, s[40:43], 0 offset:668 ; 4-byte Folded Spill
	buffer_store_dword v8, off, s[40:43], 0 offset:672 ; 4-byte Folded Spill
	buffer_store_dword v9, off, s[40:43], 0 offset:676 ; 4-byte Folded Spill
	buffer_store_dword v10, off, s[40:43], 0 offset:680 ; 4-byte Folded Spill
	buffer_store_dword v11, off, s[40:43], 0 offset:684 ; 4-byte Folded Spill
	buffer_store_dword v12, off, s[40:43], 0 offset:688 ; 4-byte Folded Spill
	buffer_store_dword v13, off, s[40:43], 0 offset:692 ; 4-byte Folded Spill
	buffer_store_dword v14, off, s[40:43], 0 offset:696 ; 4-byte Folded Spill
	buffer_store_dword v15, off, s[40:43], 0 offset:700 ; 4-byte Folded Spill
	buffer_store_dword v16, off, s[40:43], 0 offset:704 ; 4-byte Folded Spill
	buffer_store_dword v17, off, s[40:43], 0 offset:708 ; 4-byte Folded Spill
	buffer_store_dword v18, off, s[40:43], 0 offset:712 ; 4-byte Folded Spill
	buffer_store_dword v19, off, s[40:43], 0 offset:716 ; 4-byte Folded Spill
	buffer_store_dword v20, off, s[40:43], 0 offset:720 ; 4-byte Folded Spill
	buffer_store_dword v21, off, s[40:43], 0 offset:724 ; 4-byte Folded Spill
	buffer_store_dword v22, off, s[40:43], 0 offset:728 ; 4-byte Folded Spill
	buffer_store_dword v23, off, s[40:43], 0 offset:732 ; 4-byte Folded Spill
	buffer_store_dword v24, off, s[40:43], 0 offset:736 ; 4-byte Folded Spill
	buffer_store_dword v25, off, s[40:43], 0 offset:740 ; 4-byte Folded Spill
	buffer_store_dword v26, off, s[40:43], 0 offset:744 ; 4-byte Folded Spill
	buffer_store_dword v27, off, s[40:43], 0 offset:748 ; 4-byte Folded Spill
	buffer_store_dword v28, off, s[40:43], 0 offset:752 ; 4-byte Folded Spill
	buffer_store_dword v29, off, s[40:43], 0 offset:756 ; 4-byte Folded Spill
	buffer_store_dword v30, off, s[40:43], 0 offset:760 ; 4-byte Folded Spill
	buffer_store_dword v31, off, s[40:43], 0 offset:764 ; 4-byte Folded Spill
	v_mov_b32_e32 v11, 0
	v_mov_b32_e32 v10, 0
	buffer_store_dword v0, off, s[40:43], 0 offset:1024 ; 4-byte Folded Spill
	s_nop 0
	buffer_store_dword v1, off, s[40:43], 0 offset:1028 ; 4-byte Folded Spill
	buffer_store_dword v2, off, s[40:43], 0 offset:1032 ; 4-byte Folded Spill
	buffer_store_dword v3, off, s[40:43], 0 offset:1036 ; 4-byte Folded Spill
	buffer_store_dword v4, off, s[40:43], 0 offset:1040 ; 4-byte Folded Spill
	buffer_store_dword v5, off, s[40:43], 0 offset:1044 ; 4-byte Folded Spill
	buffer_store_dword v6, off, s[40:43], 0 offset:1048 ; 4-byte Folded Spill
	buffer_store_dword v7, off, s[40:43], 0 offset:1052 ; 4-byte Folded Spill
	buffer_store_dword v8, off, s[40:43], 0 offset:1056 ; 4-byte Folded Spill
	buffer_store_dword v9, off, s[40:43], 0 offset:1060 ; 4-byte Folded Spill
	buffer_store_dword v10, off, s[40:43], 0 offset:1064 ; 4-byte Folded Spill
	buffer_store_dword v11, off, s[40:43], 0 offset:1068 ; 4-byte Folded Spill
	buffer_store_dword v12, off, s[40:43], 0 offset:1072 ; 4-byte Folded Spill
	buffer_store_dword v13, off, s[40:43], 0 offset:1076 ; 4-byte Folded Spill
	buffer_store_dword v14, off, s[40:43], 0 offset:1080 ; 4-byte Folded Spill
	buffer_store_dword v15, off, s[40:43], 0 offset:1084 ; 4-byte Folded Spill
	buffer_store_dword v16, off, s[40:43], 0 offset:1088 ; 4-byte Folded Spill
	buffer_store_dword v17, off, s[40:43], 0 offset:1092 ; 4-byte Folded Spill
	buffer_store_dword v18, off, s[40:43], 0 offset:1096 ; 4-byte Folded Spill
	buffer_store_dword v19, off, s[40:43], 0 offset:1100 ; 4-byte Folded Spill
	buffer_store_dword v20, off, s[40:43], 0 offset:1104 ; 4-byte Folded Spill
	buffer_store_dword v21, off, s[40:43], 0 offset:1108 ; 4-byte Folded Spill
	buffer_store_dword v22, off, s[40:43], 0 offset:1112 ; 4-byte Folded Spill
	buffer_store_dword v23, off, s[40:43], 0 offset:1116 ; 4-byte Folded Spill
	buffer_store_dword v24, off, s[40:43], 0 offset:1120 ; 4-byte Folded Spill
	buffer_store_dword v25, off, s[40:43], 0 offset:1124 ; 4-byte Folded Spill
	buffer_store_dword v26, off, s[40:43], 0 offset:1128 ; 4-byte Folded Spill
	buffer_store_dword v27, off, s[40:43], 0 offset:1132 ; 4-byte Folded Spill
	buffer_store_dword v28, off, s[40:43], 0 offset:1136 ; 4-byte Folded Spill
	buffer_store_dword v29, off, s[40:43], 0 offset:1140 ; 4-byte Folded Spill
	buffer_store_dword v30, off, s[40:43], 0 offset:1144 ; 4-byte Folded Spill
	buffer_store_dword v31, off, s[40:43], 0 offset:1148 ; 4-byte Folded Spill
	v_mov_b32_e32 v9, 0
	v_mov_b32_e32 v8, 0
	buffer_store_dword v0, off, s[40:43], 0 offset:1408 ; 4-byte Folded Spill
	s_nop 0
	buffer_store_dword v1, off, s[40:43], 0 offset:1412 ; 4-byte Folded Spill
	buffer_store_dword v2, off, s[40:43], 0 offset:1416 ; 4-byte Folded Spill
	buffer_store_dword v3, off, s[40:43], 0 offset:1420 ; 4-byte Folded Spill
	buffer_store_dword v4, off, s[40:43], 0 offset:1424 ; 4-byte Folded Spill
	buffer_store_dword v5, off, s[40:43], 0 offset:1428 ; 4-byte Folded Spill
	buffer_store_dword v6, off, s[40:43], 0 offset:1432 ; 4-byte Folded Spill
	buffer_store_dword v7, off, s[40:43], 0 offset:1436 ; 4-byte Folded Spill
	buffer_store_dword v8, off, s[40:43], 0 offset:1440 ; 4-byte Folded Spill
	buffer_store_dword v9, off, s[40:43], 0 offset:1444 ; 4-byte Folded Spill
	buffer_store_dword v10, off, s[40:43], 0 offset:1448 ; 4-byte Folded Spill
	buffer_store_dword v11, off, s[40:43], 0 offset:1452 ; 4-byte Folded Spill
	buffer_store_dword v12, off, s[40:43], 0 offset:1456 ; 4-byte Folded Spill
	buffer_store_dword v13, off, s[40:43], 0 offset:1460 ; 4-byte Folded Spill
	buffer_store_dword v14, off, s[40:43], 0 offset:1464 ; 4-byte Folded Spill
	buffer_store_dword v15, off, s[40:43], 0 offset:1468 ; 4-byte Folded Spill
	buffer_store_dword v16, off, s[40:43], 0 offset:1472 ; 4-byte Folded Spill
	buffer_store_dword v17, off, s[40:43], 0 offset:1476 ; 4-byte Folded Spill
	buffer_store_dword v18, off, s[40:43], 0 offset:1480 ; 4-byte Folded Spill
	buffer_store_dword v19, off, s[40:43], 0 offset:1484 ; 4-byte Folded Spill
	buffer_store_dword v20, off, s[40:43], 0 offset:1488 ; 4-byte Folded Spill
	buffer_store_dword v21, off, s[40:43], 0 offset:1492 ; 4-byte Folded Spill
	buffer_store_dword v22, off, s[40:43], 0 offset:1496 ; 4-byte Folded Spill
	buffer_store_dword v23, off, s[40:43], 0 offset:1500 ; 4-byte Folded Spill
	buffer_store_dword v24, off, s[40:43], 0 offset:1504 ; 4-byte Folded Spill
	buffer_store_dword v25, off, s[40:43], 0 offset:1508 ; 4-byte Folded Spill
	buffer_store_dword v26, off, s[40:43], 0 offset:1512 ; 4-byte Folded Spill
	buffer_store_dword v27, off, s[40:43], 0 offset:1516 ; 4-byte Folded Spill
	buffer_store_dword v28, off, s[40:43], 0 offset:1520 ; 4-byte Folded Spill
	buffer_store_dword v29, off, s[40:43], 0 offset:1524 ; 4-byte Folded Spill
	buffer_store_dword v30, off, s[40:43], 0 offset:1528 ; 4-byte Folded Spill
	buffer_store_dword v31, off, s[40:43], 0 offset:1532 ; 4-byte Folded Spill
	v_mov_b32_e32 v7, 0
	v_mov_b32_e32 v6, 0
	buffer_store_dword v0, off, s[40:43], 0 offset:1152 ; 4-byte Folded Spill
	s_nop 0
	buffer_store_dword v1, off, s[40:43], 0 offset:1156 ; 4-byte Folded Spill
	buffer_store_dword v2, off, s[40:43], 0 offset:1160 ; 4-byte Folded Spill
	buffer_store_dword v3, off, s[40:43], 0 offset:1164 ; 4-byte Folded Spill
	buffer_store_dword v4, off, s[40:43], 0 offset:1168 ; 4-byte Folded Spill
	buffer_store_dword v5, off, s[40:43], 0 offset:1172 ; 4-byte Folded Spill
	buffer_store_dword v6, off, s[40:43], 0 offset:1176 ; 4-byte Folded Spill
	buffer_store_dword v7, off, s[40:43], 0 offset:1180 ; 4-byte Folded Spill
	buffer_store_dword v8, off, s[40:43], 0 offset:1184 ; 4-byte Folded Spill
	buffer_store_dword v9, off, s[40:43], 0 offset:1188 ; 4-byte Folded Spill
	buffer_store_dword v10, off, s[40:43], 0 offset:1192 ; 4-byte Folded Spill
	buffer_store_dword v11, off, s[40:43], 0 offset:1196 ; 4-byte Folded Spill
	buffer_store_dword v12, off, s[40:43], 0 offset:1200 ; 4-byte Folded Spill
	buffer_store_dword v13, off, s[40:43], 0 offset:1204 ; 4-byte Folded Spill
	buffer_store_dword v14, off, s[40:43], 0 offset:1208 ; 4-byte Folded Spill
	buffer_store_dword v15, off, s[40:43], 0 offset:1212 ; 4-byte Folded Spill
	buffer_store_dword v16, off, s[40:43], 0 offset:1216 ; 4-byte Folded Spill
	buffer_store_dword v17, off, s[40:43], 0 offset:1220 ; 4-byte Folded Spill
	buffer_store_dword v18, off, s[40:43], 0 offset:1224 ; 4-byte Folded Spill
	buffer_store_dword v19, off, s[40:43], 0 offset:1228 ; 4-byte Folded Spill
	buffer_store_dword v20, off, s[40:43], 0 offset:1232 ; 4-byte Folded Spill
	buffer_store_dword v21, off, s[40:43], 0 offset:1236 ; 4-byte Folded Spill
	buffer_store_dword v22, off, s[40:43], 0 offset:1240 ; 4-byte Folded Spill
	buffer_store_dword v23, off, s[40:43], 0 offset:1244 ; 4-byte Folded Spill
	buffer_store_dword v24, off, s[40:43], 0 offset:1248 ; 4-byte Folded Spill
	buffer_store_dword v25, off, s[40:43], 0 offset:1252 ; 4-byte Folded Spill
	buffer_store_dword v26, off, s[40:43], 0 offset:1256 ; 4-byte Folded Spill
	buffer_store_dword v27, off, s[40:43], 0 offset:1260 ; 4-byte Folded Spill
	buffer_store_dword v28, off, s[40:43], 0 offset:1264 ; 4-byte Folded Spill
	buffer_store_dword v29, off, s[40:43], 0 offset:1268 ; 4-byte Folded Spill
	buffer_store_dword v30, off, s[40:43], 0 offset:1272 ; 4-byte Folded Spill
	buffer_store_dword v31, off, s[40:43], 0 offset:1276 ; 4-byte Folded Spill
	v_mov_b32_e32 v5, 0
	v_mov_b32_e32 v4, 0
	buffer_store_dword v0, off, s[40:43], 0 offset:1280 ; 4-byte Folded Spill
	s_nop 0
	buffer_store_dword v1, off, s[40:43], 0 offset:1284 ; 4-byte Folded Spill
	buffer_store_dword v2, off, s[40:43], 0 offset:1288 ; 4-byte Folded Spill
	;; [unrolled: 1-line block ×31, first 2 shown]
	v_mov_b32_e32 v3, 0
	v_mov_b32_e32 v2, 0
	s_and_saveexec_b64 s[2:3], s[0:1]
	s_cbranch_execz .LBB83_6
; %bb.5:
	s_waitcnt vmcnt(62)
	v_cvt_f32_f16_sdwa v3, v116 dst_sel:DWORD dst_unused:UNUSED_PAD src0_sel:WORD_1
	v_cvt_f32_f16_e32 v2, v116
	v_cvt_f32_f16_sdwa v5, v118 dst_sel:DWORD dst_unused:UNUSED_PAD src0_sel:WORD_1
	v_cvt_f32_f16_e32 v4, v118
	buffer_store_dword v0, off, s[40:43], 0 offset:1280 ; 4-byte Folded Spill
	s_nop 0
	buffer_store_dword v1, off, s[40:43], 0 offset:1284 ; 4-byte Folded Spill
	buffer_store_dword v2, off, s[40:43], 0 offset:1288 ; 4-byte Folded Spill
	;; [unrolled: 1-line block ×31, first 2 shown]
	v_cvt_f32_f16_sdwa v7, v119 dst_sel:DWORD dst_unused:UNUSED_PAD src0_sel:WORD_1
	v_cvt_f32_f16_e32 v6, v119
	v_cvt_f32_f16_sdwa v75, v117 dst_sel:DWORD dst_unused:UNUSED_PAD src0_sel:WORD_1
	v_cvt_f32_f16_e32 v74, v117
	;; [unrolled: 2-line block ×3, first 2 shown]
	buffer_store_dword v0, off, s[40:43], 0 offset:1152 ; 4-byte Folded Spill
	s_nop 0
	buffer_store_dword v1, off, s[40:43], 0 offset:1156 ; 4-byte Folded Spill
	buffer_store_dword v2, off, s[40:43], 0 offset:1160 ; 4-byte Folded Spill
	buffer_store_dword v3, off, s[40:43], 0 offset:1164 ; 4-byte Folded Spill
	buffer_store_dword v4, off, s[40:43], 0 offset:1168 ; 4-byte Folded Spill
	buffer_store_dword v5, off, s[40:43], 0 offset:1172 ; 4-byte Folded Spill
	buffer_store_dword v6, off, s[40:43], 0 offset:1176 ; 4-byte Folded Spill
	buffer_store_dword v7, off, s[40:43], 0 offset:1180 ; 4-byte Folded Spill
	buffer_store_dword v8, off, s[40:43], 0 offset:1184 ; 4-byte Folded Spill
	buffer_store_dword v9, off, s[40:43], 0 offset:1188 ; 4-byte Folded Spill
	buffer_store_dword v10, off, s[40:43], 0 offset:1192 ; 4-byte Folded Spill
	buffer_store_dword v11, off, s[40:43], 0 offset:1196 ; 4-byte Folded Spill
	buffer_store_dword v12, off, s[40:43], 0 offset:1200 ; 4-byte Folded Spill
	buffer_store_dword v13, off, s[40:43], 0 offset:1204 ; 4-byte Folded Spill
	buffer_store_dword v14, off, s[40:43], 0 offset:1208 ; 4-byte Folded Spill
	buffer_store_dword v15, off, s[40:43], 0 offset:1212 ; 4-byte Folded Spill
	buffer_store_dword v16, off, s[40:43], 0 offset:1216 ; 4-byte Folded Spill
	buffer_store_dword v17, off, s[40:43], 0 offset:1220 ; 4-byte Folded Spill
	buffer_store_dword v18, off, s[40:43], 0 offset:1224 ; 4-byte Folded Spill
	buffer_store_dword v19, off, s[40:43], 0 offset:1228 ; 4-byte Folded Spill
	buffer_store_dword v20, off, s[40:43], 0 offset:1232 ; 4-byte Folded Spill
	buffer_store_dword v21, off, s[40:43], 0 offset:1236 ; 4-byte Folded Spill
	buffer_store_dword v22, off, s[40:43], 0 offset:1240 ; 4-byte Folded Spill
	buffer_store_dword v23, off, s[40:43], 0 offset:1244 ; 4-byte Folded Spill
	buffer_store_dword v24, off, s[40:43], 0 offset:1248 ; 4-byte Folded Spill
	buffer_store_dword v25, off, s[40:43], 0 offset:1252 ; 4-byte Folded Spill
	buffer_store_dword v26, off, s[40:43], 0 offset:1256 ; 4-byte Folded Spill
	buffer_store_dword v27, off, s[40:43], 0 offset:1260 ; 4-byte Folded Spill
	buffer_store_dword v28, off, s[40:43], 0 offset:1264 ; 4-byte Folded Spill
	buffer_store_dword v29, off, s[40:43], 0 offset:1268 ; 4-byte Folded Spill
	buffer_store_dword v30, off, s[40:43], 0 offset:1272 ; 4-byte Folded Spill
	buffer_store_dword v31, off, s[40:43], 0 offset:1276 ; 4-byte Folded Spill
	v_cvt_f32_f16_sdwa v9, v34 dst_sel:DWORD dst_unused:UNUSED_PAD src0_sel:WORD_1
	v_cvt_f32_f16_e32 v8, v34
	buffer_store_dword v0, off, s[40:43], 0 offset:1408 ; 4-byte Folded Spill
	s_nop 0
	buffer_store_dword v1, off, s[40:43], 0 offset:1412 ; 4-byte Folded Spill
	buffer_store_dword v2, off, s[40:43], 0 offset:1416 ; 4-byte Folded Spill
	buffer_store_dword v3, off, s[40:43], 0 offset:1420 ; 4-byte Folded Spill
	buffer_store_dword v4, off, s[40:43], 0 offset:1424 ; 4-byte Folded Spill
	buffer_store_dword v5, off, s[40:43], 0 offset:1428 ; 4-byte Folded Spill
	buffer_store_dword v6, off, s[40:43], 0 offset:1432 ; 4-byte Folded Spill
	buffer_store_dword v7, off, s[40:43], 0 offset:1436 ; 4-byte Folded Spill
	buffer_store_dword v8, off, s[40:43], 0 offset:1440 ; 4-byte Folded Spill
	buffer_store_dword v9, off, s[40:43], 0 offset:1444 ; 4-byte Folded Spill
	buffer_store_dword v10, off, s[40:43], 0 offset:1448 ; 4-byte Folded Spill
	buffer_store_dword v11, off, s[40:43], 0 offset:1452 ; 4-byte Folded Spill
	buffer_store_dword v12, off, s[40:43], 0 offset:1456 ; 4-byte Folded Spill
	buffer_store_dword v13, off, s[40:43], 0 offset:1460 ; 4-byte Folded Spill
	buffer_store_dword v14, off, s[40:43], 0 offset:1464 ; 4-byte Folded Spill
	buffer_store_dword v15, off, s[40:43], 0 offset:1468 ; 4-byte Folded Spill
	buffer_store_dword v16, off, s[40:43], 0 offset:1472 ; 4-byte Folded Spill
	buffer_store_dword v17, off, s[40:43], 0 offset:1476 ; 4-byte Folded Spill
	buffer_store_dword v18, off, s[40:43], 0 offset:1480 ; 4-byte Folded Spill
	buffer_store_dword v19, off, s[40:43], 0 offset:1484 ; 4-byte Folded Spill
	buffer_store_dword v20, off, s[40:43], 0 offset:1488 ; 4-byte Folded Spill
	buffer_store_dword v21, off, s[40:43], 0 offset:1492 ; 4-byte Folded Spill
	buffer_store_dword v22, off, s[40:43], 0 offset:1496 ; 4-byte Folded Spill
	buffer_store_dword v23, off, s[40:43], 0 offset:1500 ; 4-byte Folded Spill
	buffer_store_dword v24, off, s[40:43], 0 offset:1504 ; 4-byte Folded Spill
	buffer_store_dword v25, off, s[40:43], 0 offset:1508 ; 4-byte Folded Spill
	buffer_store_dword v26, off, s[40:43], 0 offset:1512 ; 4-byte Folded Spill
	buffer_store_dword v27, off, s[40:43], 0 offset:1516 ; 4-byte Folded Spill
	buffer_store_dword v28, off, s[40:43], 0 offset:1520 ; 4-byte Folded Spill
	buffer_store_dword v29, off, s[40:43], 0 offset:1524 ; 4-byte Folded Spill
	buffer_store_dword v30, off, s[40:43], 0 offset:1528 ; 4-byte Folded Spill
	buffer_store_dword v31, off, s[40:43], 0 offset:1532 ; 4-byte Folded Spill
	v_cvt_f32_f16_sdwa v11, v35 dst_sel:DWORD dst_unused:UNUSED_PAD src0_sel:WORD_1
	v_cvt_f32_f16_e32 v10, v35
	;; [unrolled: 35-line block ×8, first 2 shown]
	buffer_store_dword v0, off, s[40:43], 0 ; 4-byte Folded Spill
	s_nop 0
	buffer_store_dword v1, off, s[40:43], 0 offset:4 ; 4-byte Folded Spill
	buffer_store_dword v2, off, s[40:43], 0 offset:8 ; 4-byte Folded Spill
	buffer_store_dword v3, off, s[40:43], 0 offset:12 ; 4-byte Folded Spill
	buffer_store_dword v4, off, s[40:43], 0 offset:16 ; 4-byte Folded Spill
	buffer_store_dword v5, off, s[40:43], 0 offset:20 ; 4-byte Folded Spill
	buffer_store_dword v6, off, s[40:43], 0 offset:24 ; 4-byte Folded Spill
	buffer_store_dword v7, off, s[40:43], 0 offset:28 ; 4-byte Folded Spill
	buffer_store_dword v8, off, s[40:43], 0 offset:32 ; 4-byte Folded Spill
	buffer_store_dword v9, off, s[40:43], 0 offset:36 ; 4-byte Folded Spill
	buffer_store_dword v10, off, s[40:43], 0 offset:40 ; 4-byte Folded Spill
	buffer_store_dword v11, off, s[40:43], 0 offset:44 ; 4-byte Folded Spill
	buffer_store_dword v12, off, s[40:43], 0 offset:48 ; 4-byte Folded Spill
	buffer_store_dword v13, off, s[40:43], 0 offset:52 ; 4-byte Folded Spill
	buffer_store_dword v14, off, s[40:43], 0 offset:56 ; 4-byte Folded Spill
	buffer_store_dword v15, off, s[40:43], 0 offset:60 ; 4-byte Folded Spill
	buffer_store_dword v16, off, s[40:43], 0 offset:64 ; 4-byte Folded Spill
	buffer_store_dword v17, off, s[40:43], 0 offset:68 ; 4-byte Folded Spill
	buffer_store_dword v18, off, s[40:43], 0 offset:72 ; 4-byte Folded Spill
	buffer_store_dword v19, off, s[40:43], 0 offset:76 ; 4-byte Folded Spill
	buffer_store_dword v20, off, s[40:43], 0 offset:80 ; 4-byte Folded Spill
	buffer_store_dword v21, off, s[40:43], 0 offset:84 ; 4-byte Folded Spill
	buffer_store_dword v22, off, s[40:43], 0 offset:88 ; 4-byte Folded Spill
	buffer_store_dword v23, off, s[40:43], 0 offset:92 ; 4-byte Folded Spill
	buffer_store_dword v24, off, s[40:43], 0 offset:96 ; 4-byte Folded Spill
	buffer_store_dword v25, off, s[40:43], 0 offset:100 ; 4-byte Folded Spill
	buffer_store_dword v26, off, s[40:43], 0 offset:104 ; 4-byte Folded Spill
	buffer_store_dword v27, off, s[40:43], 0 offset:108 ; 4-byte Folded Spill
	buffer_store_dword v28, off, s[40:43], 0 offset:112 ; 4-byte Folded Spill
	buffer_store_dword v29, off, s[40:43], 0 offset:116 ; 4-byte Folded Spill
	buffer_store_dword v30, off, s[40:43], 0 offset:120 ; 4-byte Folded Spill
	buffer_store_dword v31, off, s[40:43], 0 offset:124 ; 4-byte Folded Spill
	v_cvt_f32_f16_sdwa v25, v120 dst_sel:DWORD dst_unused:UNUSED_PAD src0_sel:WORD_1
	v_cvt_f32_f16_e32 v24, v120
	buffer_store_dword v0, off, s[40:43], 0 offset:384 ; 4-byte Folded Spill
	s_nop 0
	buffer_store_dword v1, off, s[40:43], 0 offset:388 ; 4-byte Folded Spill
	buffer_store_dword v2, off, s[40:43], 0 offset:392 ; 4-byte Folded Spill
	buffer_store_dword v3, off, s[40:43], 0 offset:396 ; 4-byte Folded Spill
	buffer_store_dword v4, off, s[40:43], 0 offset:400 ; 4-byte Folded Spill
	buffer_store_dword v5, off, s[40:43], 0 offset:404 ; 4-byte Folded Spill
	buffer_store_dword v6, off, s[40:43], 0 offset:408 ; 4-byte Folded Spill
	buffer_store_dword v7, off, s[40:43], 0 offset:412 ; 4-byte Folded Spill
	buffer_store_dword v8, off, s[40:43], 0 offset:416 ; 4-byte Folded Spill
	buffer_store_dword v9, off, s[40:43], 0 offset:420 ; 4-byte Folded Spill
	buffer_store_dword v10, off, s[40:43], 0 offset:424 ; 4-byte Folded Spill
	buffer_store_dword v11, off, s[40:43], 0 offset:428 ; 4-byte Folded Spill
	buffer_store_dword v12, off, s[40:43], 0 offset:432 ; 4-byte Folded Spill
	buffer_store_dword v13, off, s[40:43], 0 offset:436 ; 4-byte Folded Spill
	buffer_store_dword v14, off, s[40:43], 0 offset:440 ; 4-byte Folded Spill
	buffer_store_dword v15, off, s[40:43], 0 offset:444 ; 4-byte Folded Spill
	buffer_store_dword v16, off, s[40:43], 0 offset:448 ; 4-byte Folded Spill
	buffer_store_dword v17, off, s[40:43], 0 offset:452 ; 4-byte Folded Spill
	buffer_store_dword v18, off, s[40:43], 0 offset:456 ; 4-byte Folded Spill
	buffer_store_dword v19, off, s[40:43], 0 offset:460 ; 4-byte Folded Spill
	buffer_store_dword v20, off, s[40:43], 0 offset:464 ; 4-byte Folded Spill
	buffer_store_dword v21, off, s[40:43], 0 offset:468 ; 4-byte Folded Spill
	buffer_store_dword v22, off, s[40:43], 0 offset:472 ; 4-byte Folded Spill
	buffer_store_dword v23, off, s[40:43], 0 offset:476 ; 4-byte Folded Spill
	buffer_store_dword v24, off, s[40:43], 0 offset:480 ; 4-byte Folded Spill
	buffer_store_dword v25, off, s[40:43], 0 offset:484 ; 4-byte Folded Spill
	buffer_store_dword v26, off, s[40:43], 0 offset:488 ; 4-byte Folded Spill
	buffer_store_dword v27, off, s[40:43], 0 offset:492 ; 4-byte Folded Spill
	buffer_store_dword v28, off, s[40:43], 0 offset:496 ; 4-byte Folded Spill
	buffer_store_dword v29, off, s[40:43], 0 offset:500 ; 4-byte Folded Spill
	buffer_store_dword v30, off, s[40:43], 0 offset:504 ; 4-byte Folded Spill
	buffer_store_dword v31, off, s[40:43], 0 offset:508 ; 4-byte Folded Spill
	v_cvt_f32_f16_sdwa v27, v121 dst_sel:DWORD dst_unused:UNUSED_PAD src0_sel:WORD_1
	v_cvt_f32_f16_e32 v26, v121
	buffer_store_dword v0, off, s[40:43], 0 offset:256 ; 4-byte Folded Spill
	s_nop 0
	buffer_store_dword v1, off, s[40:43], 0 offset:260 ; 4-byte Folded Spill
	buffer_store_dword v2, off, s[40:43], 0 offset:264 ; 4-byte Folded Spill
	buffer_store_dword v3, off, s[40:43], 0 offset:268 ; 4-byte Folded Spill
	buffer_store_dword v4, off, s[40:43], 0 offset:272 ; 4-byte Folded Spill
	buffer_store_dword v5, off, s[40:43], 0 offset:276 ; 4-byte Folded Spill
	buffer_store_dword v6, off, s[40:43], 0 offset:280 ; 4-byte Folded Spill
	buffer_store_dword v7, off, s[40:43], 0 offset:284 ; 4-byte Folded Spill
	buffer_store_dword v8, off, s[40:43], 0 offset:288 ; 4-byte Folded Spill
	buffer_store_dword v9, off, s[40:43], 0 offset:292 ; 4-byte Folded Spill
	buffer_store_dword v10, off, s[40:43], 0 offset:296 ; 4-byte Folded Spill
	buffer_store_dword v11, off, s[40:43], 0 offset:300 ; 4-byte Folded Spill
	buffer_store_dword v12, off, s[40:43], 0 offset:304 ; 4-byte Folded Spill
	buffer_store_dword v13, off, s[40:43], 0 offset:308 ; 4-byte Folded Spill
	buffer_store_dword v14, off, s[40:43], 0 offset:312 ; 4-byte Folded Spill
	buffer_store_dword v15, off, s[40:43], 0 offset:316 ; 4-byte Folded Spill
	buffer_store_dword v16, off, s[40:43], 0 offset:320 ; 4-byte Folded Spill
	buffer_store_dword v17, off, s[40:43], 0 offset:324 ; 4-byte Folded Spill
	buffer_store_dword v18, off, s[40:43], 0 offset:328 ; 4-byte Folded Spill
	buffer_store_dword v19, off, s[40:43], 0 offset:332 ; 4-byte Folded Spill
	buffer_store_dword v20, off, s[40:43], 0 offset:336 ; 4-byte Folded Spill
	buffer_store_dword v21, off, s[40:43], 0 offset:340 ; 4-byte Folded Spill
	buffer_store_dword v22, off, s[40:43], 0 offset:344 ; 4-byte Folded Spill
	buffer_store_dword v23, off, s[40:43], 0 offset:348 ; 4-byte Folded Spill
	buffer_store_dword v24, off, s[40:43], 0 offset:352 ; 4-byte Folded Spill
	buffer_store_dword v25, off, s[40:43], 0 offset:356 ; 4-byte Folded Spill
	buffer_store_dword v26, off, s[40:43], 0 offset:360 ; 4-byte Folded Spill
	buffer_store_dword v27, off, s[40:43], 0 offset:364 ; 4-byte Folded Spill
	buffer_store_dword v28, off, s[40:43], 0 offset:368 ; 4-byte Folded Spill
	buffer_store_dword v29, off, s[40:43], 0 offset:372 ; 4-byte Folded Spill
	buffer_store_dword v30, off, s[40:43], 0 offset:376 ; 4-byte Folded Spill
	buffer_store_dword v31, off, s[40:43], 0 offset:380 ; 4-byte Folded Spill
	v_cvt_f32_f16_sdwa v29, v122 dst_sel:DWORD dst_unused:UNUSED_PAD src0_sel:WORD_1
	v_cvt_f32_f16_e32 v28, v122
	buffer_store_dword v0, off, s[40:43], 0 offset:1540 ; 4-byte Folded Spill
	s_nop 0
	buffer_store_dword v1, off, s[40:43], 0 offset:1544 ; 4-byte Folded Spill
	buffer_store_dword v2, off, s[40:43], 0 offset:1548 ; 4-byte Folded Spill
	;; [unrolled: 1-line block ×31, first 2 shown]
.LBB83_6:
	s_or_b64 exec, exec, s[2:3]
	s_cbranch_execz .LBB83_8
	s_branch .LBB83_11
.LBB83_7:
                                        ; implicit-def: $vgpr72_vgpr73_vgpr74_vgpr75_vgpr76_vgpr77_vgpr78_vgpr79_vgpr80_vgpr81_vgpr82_vgpr83_vgpr84_vgpr85_vgpr86_vgpr87_vgpr88_vgpr89_vgpr90_vgpr91_vgpr92_vgpr93_vgpr94_vgpr95_vgpr96_vgpr97_vgpr98_vgpr99_vgpr100_vgpr101_vgpr102_vgpr103
                                        ; implicit-def: $vgpr42_vgpr43_vgpr44_vgpr45_vgpr46_vgpr47_vgpr48_vgpr49_vgpr50_vgpr51_vgpr52_vgpr53_vgpr54_vgpr55_vgpr56_vgpr57_vgpr58_vgpr59_vgpr60_vgpr61_vgpr62_vgpr63_vgpr64_vgpr65_vgpr66_vgpr67_vgpr68_vgpr69_vgpr70_vgpr71_vgpr72_vgpr73
                                        ; kill: killed $vgpr42_vgpr43_vgpr44_vgpr45_vgpr46_vgpr47_vgpr48_vgpr49_vgpr50_vgpr51_vgpr52_vgpr53_vgpr54_vgpr55_vgpr56_vgpr57_vgpr58_vgpr59_vgpr60_vgpr61_vgpr62_vgpr63_vgpr64_vgpr65_vgpr66_vgpr67_vgpr68_vgpr69_vgpr70_vgpr71_vgpr72_vgpr73
                                        ; implicit-def: $vgpr2_vgpr3_vgpr4_vgpr5_vgpr6_vgpr7_vgpr8_vgpr9_vgpr10_vgpr11_vgpr12_vgpr13_vgpr14_vgpr15_vgpr16_vgpr17_vgpr18_vgpr19_vgpr20_vgpr21_vgpr22_vgpr23_vgpr24_vgpr25_vgpr26_vgpr27_vgpr28_vgpr29_vgpr30_vgpr31_vgpr32_vgpr33
                                        ; implicit-def: $vgpr77
                                        ; implicit-def: $vgpr42_vgpr43_vgpr44_vgpr45_vgpr46_vgpr47_vgpr48_vgpr49_vgpr50_vgpr51_vgpr52_vgpr53_vgpr54_vgpr55_vgpr56_vgpr57_vgpr58_vgpr59_vgpr60_vgpr61_vgpr62_vgpr63_vgpr64_vgpr65_vgpr66_vgpr67_vgpr68_vgpr69_vgpr70_vgpr71_vgpr72_vgpr73
                                        ; kill: killed $vgpr42_vgpr43_vgpr44_vgpr45_vgpr46_vgpr47_vgpr48_vgpr49_vgpr50_vgpr51_vgpr52_vgpr53_vgpr54_vgpr55_vgpr56_vgpr57_vgpr58_vgpr59_vgpr60_vgpr61_vgpr62_vgpr63_vgpr64_vgpr65_vgpr66_vgpr67_vgpr68_vgpr69_vgpr70_vgpr71_vgpr72_vgpr73
                                        ; implicit-def: $vgpr42_vgpr43_vgpr44_vgpr45_vgpr46_vgpr47_vgpr48_vgpr49_vgpr50_vgpr51_vgpr52_vgpr53_vgpr54_vgpr55_vgpr56_vgpr57_vgpr58_vgpr59_vgpr60_vgpr61_vgpr62_vgpr63_vgpr64_vgpr65_vgpr66_vgpr67_vgpr68_vgpr69_vgpr70_vgpr71_vgpr72_vgpr73
                                        ; kill: killed $vgpr42_vgpr43_vgpr44_vgpr45_vgpr46_vgpr47_vgpr48_vgpr49_vgpr50_vgpr51_vgpr52_vgpr53_vgpr54_vgpr55_vgpr56_vgpr57_vgpr58_vgpr59_vgpr60_vgpr61_vgpr62_vgpr63_vgpr64_vgpr65_vgpr66_vgpr67_vgpr68_vgpr69_vgpr70_vgpr71_vgpr72_vgpr73
	;; [unrolled: 2-line block ×12, first 2 shown]
.LBB83_8:
	v_mov_b32_e32 v29, 0
	v_mov_b32_e32 v28, 0
	buffer_store_dword v0, off, s[40:43], 0 offset:1540 ; 4-byte Folded Spill
	s_nop 0
	buffer_store_dword v1, off, s[40:43], 0 offset:1544 ; 4-byte Folded Spill
	buffer_store_dword v2, off, s[40:43], 0 offset:1548 ; 4-byte Folded Spill
	;; [unrolled: 1-line block ×31, first 2 shown]
	v_mov_b32_e32 v27, 0
	v_mov_b32_e32 v26, 0
	v_mov_b32_e32 v77, 0
	v_mov_b32_e32 v76, 0
	v_mov_b32_e32 v75, 0
	v_mov_b32_e32 v74, 0
	buffer_store_dword v0, off, s[40:43], 0 offset:256 ; 4-byte Folded Spill
	s_nop 0
	buffer_store_dword v1, off, s[40:43], 0 offset:260 ; 4-byte Folded Spill
	buffer_store_dword v2, off, s[40:43], 0 offset:264 ; 4-byte Folded Spill
	;; [unrolled: 1-line block ×31, first 2 shown]
	v_mov_b32_e32 v25, 0
	v_mov_b32_e32 v24, 0
	buffer_store_dword v0, off, s[40:43], 0 offset:384 ; 4-byte Folded Spill
	s_nop 0
	buffer_store_dword v1, off, s[40:43], 0 offset:388 ; 4-byte Folded Spill
	buffer_store_dword v2, off, s[40:43], 0 offset:392 ; 4-byte Folded Spill
	;; [unrolled: 1-line block ×31, first 2 shown]
	v_mov_b32_e32 v23, 0
	v_mov_b32_e32 v22, 0
	buffer_store_dword v0, off, s[40:43], 0 ; 4-byte Folded Spill
	s_nop 0
	buffer_store_dword v1, off, s[40:43], 0 offset:4 ; 4-byte Folded Spill
	buffer_store_dword v2, off, s[40:43], 0 offset:8 ; 4-byte Folded Spill
	buffer_store_dword v3, off, s[40:43], 0 offset:12 ; 4-byte Folded Spill
	buffer_store_dword v4, off, s[40:43], 0 offset:16 ; 4-byte Folded Spill
	buffer_store_dword v5, off, s[40:43], 0 offset:20 ; 4-byte Folded Spill
	buffer_store_dword v6, off, s[40:43], 0 offset:24 ; 4-byte Folded Spill
	buffer_store_dword v7, off, s[40:43], 0 offset:28 ; 4-byte Folded Spill
	buffer_store_dword v8, off, s[40:43], 0 offset:32 ; 4-byte Folded Spill
	buffer_store_dword v9, off, s[40:43], 0 offset:36 ; 4-byte Folded Spill
	buffer_store_dword v10, off, s[40:43], 0 offset:40 ; 4-byte Folded Spill
	buffer_store_dword v11, off, s[40:43], 0 offset:44 ; 4-byte Folded Spill
	buffer_store_dword v12, off, s[40:43], 0 offset:48 ; 4-byte Folded Spill
	buffer_store_dword v13, off, s[40:43], 0 offset:52 ; 4-byte Folded Spill
	buffer_store_dword v14, off, s[40:43], 0 offset:56 ; 4-byte Folded Spill
	buffer_store_dword v15, off, s[40:43], 0 offset:60 ; 4-byte Folded Spill
	buffer_store_dword v16, off, s[40:43], 0 offset:64 ; 4-byte Folded Spill
	buffer_store_dword v17, off, s[40:43], 0 offset:68 ; 4-byte Folded Spill
	buffer_store_dword v18, off, s[40:43], 0 offset:72 ; 4-byte Folded Spill
	buffer_store_dword v19, off, s[40:43], 0 offset:76 ; 4-byte Folded Spill
	buffer_store_dword v20, off, s[40:43], 0 offset:80 ; 4-byte Folded Spill
	buffer_store_dword v21, off, s[40:43], 0 offset:84 ; 4-byte Folded Spill
	buffer_store_dword v22, off, s[40:43], 0 offset:88 ; 4-byte Folded Spill
	buffer_store_dword v23, off, s[40:43], 0 offset:92 ; 4-byte Folded Spill
	buffer_store_dword v24, off, s[40:43], 0 offset:96 ; 4-byte Folded Spill
	buffer_store_dword v25, off, s[40:43], 0 offset:100 ; 4-byte Folded Spill
	buffer_store_dword v26, off, s[40:43], 0 offset:104 ; 4-byte Folded Spill
	buffer_store_dword v27, off, s[40:43], 0 offset:108 ; 4-byte Folded Spill
	buffer_store_dword v28, off, s[40:43], 0 offset:112 ; 4-byte Folded Spill
	buffer_store_dword v29, off, s[40:43], 0 offset:116 ; 4-byte Folded Spill
	buffer_store_dword v30, off, s[40:43], 0 offset:120 ; 4-byte Folded Spill
	buffer_store_dword v31, off, s[40:43], 0 offset:124 ; 4-byte Folded Spill
	v_mov_b32_e32 v21, 0
	v_mov_b32_e32 v20, 0
	buffer_store_dword v0, off, s[40:43], 0 offset:128 ; 4-byte Folded Spill
	s_nop 0
	buffer_store_dword v1, off, s[40:43], 0 offset:132 ; 4-byte Folded Spill
	buffer_store_dword v2, off, s[40:43], 0 offset:136 ; 4-byte Folded Spill
	buffer_store_dword v3, off, s[40:43], 0 offset:140 ; 4-byte Folded Spill
	buffer_store_dword v4, off, s[40:43], 0 offset:144 ; 4-byte Folded Spill
	buffer_store_dword v5, off, s[40:43], 0 offset:148 ; 4-byte Folded Spill
	buffer_store_dword v6, off, s[40:43], 0 offset:152 ; 4-byte Folded Spill
	buffer_store_dword v7, off, s[40:43], 0 offset:156 ; 4-byte Folded Spill
	buffer_store_dword v8, off, s[40:43], 0 offset:160 ; 4-byte Folded Spill
	buffer_store_dword v9, off, s[40:43], 0 offset:164 ; 4-byte Folded Spill
	buffer_store_dword v10, off, s[40:43], 0 offset:168 ; 4-byte Folded Spill
	buffer_store_dword v11, off, s[40:43], 0 offset:172 ; 4-byte Folded Spill
	buffer_store_dword v12, off, s[40:43], 0 offset:176 ; 4-byte Folded Spill
	buffer_store_dword v13, off, s[40:43], 0 offset:180 ; 4-byte Folded Spill
	buffer_store_dword v14, off, s[40:43], 0 offset:184 ; 4-byte Folded Spill
	buffer_store_dword v15, off, s[40:43], 0 offset:188 ; 4-byte Folded Spill
	buffer_store_dword v16, off, s[40:43], 0 offset:192 ; 4-byte Folded Spill
	buffer_store_dword v17, off, s[40:43], 0 offset:196 ; 4-byte Folded Spill
	buffer_store_dword v18, off, s[40:43], 0 offset:200 ; 4-byte Folded Spill
	buffer_store_dword v19, off, s[40:43], 0 offset:204 ; 4-byte Folded Spill
	buffer_store_dword v20, off, s[40:43], 0 offset:208 ; 4-byte Folded Spill
	buffer_store_dword v21, off, s[40:43], 0 offset:212 ; 4-byte Folded Spill
	buffer_store_dword v22, off, s[40:43], 0 offset:216 ; 4-byte Folded Spill
	buffer_store_dword v23, off, s[40:43], 0 offset:220 ; 4-byte Folded Spill
	buffer_store_dword v24, off, s[40:43], 0 offset:224 ; 4-byte Folded Spill
	buffer_store_dword v25, off, s[40:43], 0 offset:228 ; 4-byte Folded Spill
	buffer_store_dword v26, off, s[40:43], 0 offset:232 ; 4-byte Folded Spill
	buffer_store_dword v27, off, s[40:43], 0 offset:236 ; 4-byte Folded Spill
	buffer_store_dword v28, off, s[40:43], 0 offset:240 ; 4-byte Folded Spill
	buffer_store_dword v29, off, s[40:43], 0 offset:244 ; 4-byte Folded Spill
	buffer_store_dword v30, off, s[40:43], 0 offset:248 ; 4-byte Folded Spill
	buffer_store_dword v31, off, s[40:43], 0 offset:252 ; 4-byte Folded Spill
	v_mov_b32_e32 v19, 0
	v_mov_b32_e32 v18, 0
	buffer_store_dword v0, off, s[40:43], 0 offset:768 ; 4-byte Folded Spill
	;; [unrolled: 35-line block ×9, first 2 shown]
	s_nop 0
	buffer_store_dword v1, off, s[40:43], 0 offset:1284 ; 4-byte Folded Spill
	buffer_store_dword v2, off, s[40:43], 0 offset:1288 ; 4-byte Folded Spill
	;; [unrolled: 1-line block ×31, first 2 shown]
	v_mov_b32_e32 v3, 0
	v_mov_b32_e32 v2, 0
	s_and_saveexec_b64 s[2:3], s[0:1]
	s_cbranch_execz .LBB83_10
; %bb.9:
	buffer_load_dword v1, off, s[40:43], 0 offset:1536 ; 4-byte Folded Reload
	s_load_dwordx2 s[28:29], s[4:5], 0x38
	s_load_dwordx2 s[38:39], s[4:5], 0x20
	s_mul_hi_i32 s37, s19, s6
	s_mul_i32 s36, s19, s6
	s_lshl_b64 s[36:37], s[36:37], 1
	s_waitcnt lgkmcnt(0)
	s_add_u32 s28, s28, s36
	s_addc_u32 s14, s29, s37
	s_mov_b32 s31, 0x20000
	s_and_b32 s29, s14, 0xffff
	s_movk_i32 s17, 0x400
	s_movk_i32 s19, 0x800
	s_movk_i32 s14, 0xc00
	s_waitcnt vmcnt(62)
	v_cvt_f32_f16_sdwa v49, v119 dst_sel:DWORD dst_unused:UNUSED_PAD src0_sel:WORD_1
	v_cvt_f32_f16_e32 v48, v119
	v_cvt_f32_f16_sdwa v47, v118 dst_sel:DWORD dst_unused:UNUSED_PAD src0_sel:WORD_1
	v_cvt_f32_f16_e32 v46, v118
	;; [unrolled: 2-line block ×12, first 2 shown]
	s_mul_hi_i32 s27, s26, s6
	s_mul_i32 s26, s26, s6
	s_lshl_b64 s[26:27], s[26:27], 1
	v_cvt_f32_f16_sdwa v7, v121 dst_sel:DWORD dst_unused:UNUSED_PAD src0_sel:WORD_1
	v_cvt_f32_f16_e32 v6, v121
	v_cvt_f32_f16_sdwa v9, v122 dst_sel:DWORD dst_unused:UNUSED_PAD src0_sel:WORD_1
	v_cvt_f32_f16_e32 v8, v122
	;; [unrolled: 2-line block ×4, first 2 shown]
	s_waitcnt vmcnt(0)
	v_lshlrev_b32_e32 v66, 1, v1
	buffer_load_dwordx4 v[16:19], v66, s[28:31], s17 offen glc slc
	buffer_load_dwordx4 v[20:23], v66, s[28:31], s19 offen glc slc
	;; [unrolled: 1-line block ×4, first 2 shown]
	s_add_u32 s28, s38, s26
	s_addc_u32 s26, s39, s27
	s_and_b32 s29, s26, 0xffff
	s_waitcnt vmcnt(3)
	v_cvt_f32_f16_e32 v50, v16
	s_waitcnt vmcnt(2)
	v_cvt_f32_f16_e32 v58, v20
	v_cvt_f32_f16_sdwa v59, v20 dst_sel:DWORD dst_unused:UNUSED_PAD src0_sel:WORD_1
	v_cvt_f32_f16_e32 v60, v21
	v_cvt_f32_f16_sdwa v61, v21 dst_sel:DWORD dst_unused:UNUSED_PAD src0_sel:WORD_1
	s_waitcnt vmcnt(0)
	v_cvt_f32_f16_e32 v20, v30
	v_cvt_f32_f16_sdwa v21, v30 dst_sel:DWORD dst_unused:UNUSED_PAD src0_sel:WORD_1
	v_cvt_f32_f16_e32 v30, v31
	v_cvt_f32_f16_sdwa v31, v31 dst_sel:DWORD dst_unused:UNUSED_PAD src0_sel:WORD_1
	v_cvt_f32_f16_sdwa v51, v16 dst_sel:DWORD dst_unused:UNUSED_PAD src0_sel:WORD_1
	v_cvt_f32_f16_e32 v52, v17
	v_cvt_f32_f16_sdwa v53, v17 dst_sel:DWORD dst_unused:UNUSED_PAD src0_sel:WORD_1
	v_cvt_f32_f16_e32 v54, v18
	;; [unrolled: 2-line block ×9, first 2 shown]
	v_cvt_f32_f16_sdwa v19, v29 dst_sel:DWORD dst_unused:UNUSED_PAD src0_sel:WORD_1
	v_pk_add_f32 v[28:29], v[48:49], v[30:31]
	v_pk_add_f32 v[46:47], v[46:47], v[20:21]
	v_pk_mov_b32 v[30:31], v[28:29], v[28:29] op_sel:[0,1]
	v_cvt_f16_f32_e32 v20, v47
	v_cvt_f16_f32_e32 v21, v29
	buffer_store_dword v24, off, s[40:43], 0 offset:1152 ; 4-byte Folded Spill
	s_nop 0
	buffer_store_dword v25, off, s[40:43], 0 offset:1156 ; 4-byte Folded Spill
	buffer_store_dword v26, off, s[40:43], 0 offset:1160 ; 4-byte Folded Spill
	;; [unrolled: 1-line block ×31, first 2 shown]
	v_pk_add_f32 v[2:3], v[2:3], v[64:65]
	v_cvt_f32_f16_e32 v62, v22
	v_cvt_f32_f16_sdwa v63, v22 dst_sel:DWORD dst_unused:UNUSED_PAD src0_sel:WORD_1
	v_cvt_f32_f16_e32 v22, v23
	v_cvt_f32_f16_sdwa v23, v23 dst_sel:DWORD dst_unused:UNUSED_PAD src0_sel:WORD_1
	v_cvt_f16_f32_e32 v28, v28
	v_pk_mov_b32 v[30:31], v[46:47], v[46:47] op_sel:[0,1]
	buffer_store_dword v26, off, s[40:43], 0 offset:1280 ; 4-byte Folded Spill
	s_nop 0
	buffer_store_dword v27, off, s[40:43], 0 offset:1284 ; 4-byte Folded Spill
	buffer_store_dword v28, off, s[40:43], 0 offset:1288 ; 4-byte Folded Spill
	;; [unrolled: 1-line block ×31, first 2 shown]
	v_pk_add_f32 v[74:75], v[40:41], v[18:19]
	v_cvt_f16_f32_e32 v18, v75
	v_cvt_f16_f32_e32 v19, v74
	v_cvt_f16_f32_e32 v29, v46
	v_pack_b32_f16 v21, v28, v21
	v_cvt_f16_f32_e32 v28, v2
	v_pack_b32_f16 v19, v19, v18
	v_cvt_f16_f32_e32 v18, v3
	v_pack_b32_f16 v20, v29, v20
	v_pk_add_f32 v[30:31], v[34:35], v[54:55]
	v_pack_b32_f16 v18, v28, v18
	buffer_store_dwordx4 v[18:21], v66, s[28:31], 0 offen glc slc
	s_nop 0
	v_pk_add_f32 v[20:21], v[44:45], v[56:57]
	v_cvt_f16_f32_e32 v18, v30
	v_cvt_f16_f32_e32 v19, v20
	v_pk_mov_b32 v[28:29], v[20:21], v[20:21] op_sel:[0,1]
	buffer_store_dword v14, off, s[40:43], 0 offset:512 ; 4-byte Folded Spill
	s_nop 0
	buffer_store_dword v15, off, s[40:43], 0 offset:516 ; 4-byte Folded Spill
	buffer_store_dword v16, off, s[40:43], 0 offset:520 ; 4-byte Folded Spill
	;; [unrolled: 1-line block ×31, first 2 shown]
	v_cvt_f16_f32_e32 v20, v21
	v_pk_mov_b32 v[28:29], v[30:31], v[30:31] op_sel:[0,1]
	buffer_store_dword v16, off, s[40:43], 0 offset:640 ; 4-byte Folded Spill
	s_nop 0
	buffer_store_dword v17, off, s[40:43], 0 offset:644 ; 4-byte Folded Spill
	buffer_store_dword v18, off, s[40:43], 0 offset:648 ; 4-byte Folded Spill
	;; [unrolled: 1-line block ×31, first 2 shown]
	v_cvt_f16_f32_e32 v28, v31
	v_pack_b32_f16 v21, v19, v20
	v_pack_b32_f16 v20, v18, v28
	v_pk_add_f32 v[28:29], v[42:43], v[52:53]
	v_pk_mov_b32 v[30:31], v[28:29], v[28:29] op_sel:[0,1]
	v_cvt_f16_f32_e32 v18, v28
	buffer_store_dword v20, off, s[40:43], 0 offset:1024 ; 4-byte Folded Spill
	s_nop 0
	buffer_store_dword v21, off, s[40:43], 0 offset:1028 ; 4-byte Folded Spill
	buffer_store_dword v22, off, s[40:43], 0 offset:1032 ; 4-byte Folded Spill
	;; [unrolled: 1-line block ×31, first 2 shown]
	v_cvt_f16_f32_e32 v19, v29
	v_pk_add_f32 v[28:29], v[32:33], v[50:51]
	v_pk_mov_b32 v[30:31], v[28:29], v[28:29] op_sel:[0,1]
	v_pack_b32_f16 v19, v18, v19
	v_cvt_f16_f32_e32 v18, v28
	buffer_store_dword v22, off, s[40:43], 0 offset:1408 ; 4-byte Folded Spill
	s_nop 0
	buffer_store_dword v23, off, s[40:43], 0 offset:1412 ; 4-byte Folded Spill
	buffer_store_dword v24, off, s[40:43], 0 offset:1416 ; 4-byte Folded Spill
	;; [unrolled: 1-line block ×31, first 2 shown]
	;;#ASMSTART
	s_nop 0
	;;#ASMEND
	v_cvt_f16_f32_e32 v28, v29
	v_pk_add_f32 v[30:31], v[36:37], v[62:63]
	v_pk_add_f32 v[22:23], v[38:39], v[22:23]
	v_pack_b32_f16 v18, v18, v28
	buffer_store_dwordx4 v[18:21], v66, s[28:31], s17 offen glc slc
	v_cvt_f16_f32_e32 v18, v30
	v_cvt_f16_f32_e32 v19, v22
	v_pk_mov_b32 v[28:29], v[22:23], v[22:23] op_sel:[0,1]
	buffer_store_dword v6, off, s[40:43], 0 ; 4-byte Folded Spill
	s_nop 0
	buffer_store_dword v7, off, s[40:43], 0 offset:4 ; 4-byte Folded Spill
	buffer_store_dword v8, off, s[40:43], 0 offset:8 ; 4-byte Folded Spill
	;; [unrolled: 1-line block ×31, first 2 shown]
	v_cvt_f16_f32_e32 v20, v23
	v_pk_mov_b32 v[22:23], v[30:31], v[30:31] op_sel:[0,1]
	buffer_store_dword v2, off, s[40:43], 0 offset:128 ; 4-byte Folded Spill
	s_nop 0
	buffer_store_dword v3, off, s[40:43], 0 offset:132 ; 4-byte Folded Spill
	buffer_store_dword v4, off, s[40:43], 0 offset:136 ; 4-byte Folded Spill
	;; [unrolled: 1-line block ×31, first 2 shown]
	v_cvt_f16_f32_e32 v22, v31
	v_pack_b32_f16 v21, v19, v20
	v_pack_b32_f16 v20, v18, v22
	v_pk_add_f32 v[18:19], v[14:15], v[60:61]
	v_cvt_f16_f32_e32 v14, v18
	v_pk_mov_b32 v[22:23], v[18:19], v[18:19] op_sel:[0,1]
	buffer_store_dword v4, off, s[40:43], 0 offset:768 ; 4-byte Folded Spill
	s_nop 0
	buffer_store_dword v5, off, s[40:43], 0 offset:772 ; 4-byte Folded Spill
	buffer_store_dword v6, off, s[40:43], 0 offset:776 ; 4-byte Folded Spill
	buffer_store_dword v7, off, s[40:43], 0 offset:780 ; 4-byte Folded Spill
	buffer_store_dword v8, off, s[40:43], 0 offset:784 ; 4-byte Folded Spill
	buffer_store_dword v9, off, s[40:43], 0 offset:788 ; 4-byte Folded Spill
	buffer_store_dword v10, off, s[40:43], 0 offset:792 ; 4-byte Folded Spill
	buffer_store_dword v11, off, s[40:43], 0 offset:796 ; 4-byte Folded Spill
	buffer_store_dword v12, off, s[40:43], 0 offset:800 ; 4-byte Folded Spill
	buffer_store_dword v13, off, s[40:43], 0 offset:804 ; 4-byte Folded Spill
	buffer_store_dword v14, off, s[40:43], 0 offset:808 ; 4-byte Folded Spill
	buffer_store_dword v15, off, s[40:43], 0 offset:812 ; 4-byte Folded Spill
	buffer_store_dword v16, off, s[40:43], 0 offset:816 ; 4-byte Folded Spill
	buffer_store_dword v17, off, s[40:43], 0 offset:820 ; 4-byte Folded Spill
	buffer_store_dword v18, off, s[40:43], 0 offset:824 ; 4-byte Folded Spill
	buffer_store_dword v19, off, s[40:43], 0 offset:828 ; 4-byte Folded Spill
	buffer_store_dword v20, off, s[40:43], 0 offset:832 ; 4-byte Folded Spill
	buffer_store_dword v21, off, s[40:43], 0 offset:836 ; 4-byte Folded Spill
	buffer_store_dword v22, off, s[40:43], 0 offset:840 ; 4-byte Folded Spill
	buffer_store_dword v23, off, s[40:43], 0 offset:844 ; 4-byte Folded Spill
	buffer_store_dword v24, off, s[40:43], 0 offset:848 ; 4-byte Folded Spill
	buffer_store_dword v25, off, s[40:43], 0 offset:852 ; 4-byte Folded Spill
	buffer_store_dword v26, off, s[40:43], 0 offset:856 ; 4-byte Folded Spill
	buffer_store_dword v27, off, s[40:43], 0 offset:860 ; 4-byte Folded Spill
	buffer_store_dword v28, off, s[40:43], 0 offset:864 ; 4-byte Folded Spill
	buffer_store_dword v29, off, s[40:43], 0 offset:868 ; 4-byte Folded Spill
	buffer_store_dword v30, off, s[40:43], 0 offset:872 ; 4-byte Folded Spill
	buffer_store_dword v31, off, s[40:43], 0 offset:876 ; 4-byte Folded Spill
	buffer_store_dword v32, off, s[40:43], 0 offset:880 ; 4-byte Folded Spill
	buffer_store_dword v33, off, s[40:43], 0 offset:884 ; 4-byte Folded Spill
	buffer_store_dword v34, off, s[40:43], 0 offset:888 ; 4-byte Folded Spill
	buffer_store_dword v35, off, s[40:43], 0 offset:892 ; 4-byte Folded Spill
	v_pk_add_f32 v[22:23], v[68:69], v[58:59]
	v_pk_mov_b32 v[28:29], v[22:23], v[22:23] op_sel:[0,1]
	v_cvt_f16_f32_e32 v15, v19
	v_pack_b32_f16 v19, v14, v15
	v_cvt_f16_f32_e32 v14, v22
	buffer_store_dword v12, off, s[40:43], 0 offset:896 ; 4-byte Folded Spill
	s_nop 0
	buffer_store_dword v13, off, s[40:43], 0 offset:900 ; 4-byte Folded Spill
	buffer_store_dword v14, off, s[40:43], 0 offset:904 ; 4-byte Folded Spill
	buffer_store_dword v15, off, s[40:43], 0 offset:908 ; 4-byte Folded Spill
	buffer_store_dword v16, off, s[40:43], 0 offset:912 ; 4-byte Folded Spill
	buffer_store_dword v17, off, s[40:43], 0 offset:916 ; 4-byte Folded Spill
	buffer_store_dword v18, off, s[40:43], 0 offset:920 ; 4-byte Folded Spill
	buffer_store_dword v19, off, s[40:43], 0 offset:924 ; 4-byte Folded Spill
	buffer_store_dword v20, off, s[40:43], 0 offset:928 ; 4-byte Folded Spill
	buffer_store_dword v21, off, s[40:43], 0 offset:932 ; 4-byte Folded Spill
	buffer_store_dword v22, off, s[40:43], 0 offset:936 ; 4-byte Folded Spill
	buffer_store_dword v23, off, s[40:43], 0 offset:940 ; 4-byte Folded Spill
	buffer_store_dword v24, off, s[40:43], 0 offset:944 ; 4-byte Folded Spill
	buffer_store_dword v25, off, s[40:43], 0 offset:948 ; 4-byte Folded Spill
	buffer_store_dword v26, off, s[40:43], 0 offset:952 ; 4-byte Folded Spill
	buffer_store_dword v27, off, s[40:43], 0 offset:956 ; 4-byte Folded Spill
	buffer_store_dword v28, off, s[40:43], 0 offset:960 ; 4-byte Folded Spill
	buffer_store_dword v29, off, s[40:43], 0 offset:964 ; 4-byte Folded Spill
	buffer_store_dword v30, off, s[40:43], 0 offset:968 ; 4-byte Folded Spill
	buffer_store_dword v31, off, s[40:43], 0 offset:972 ; 4-byte Folded Spill
	buffer_store_dword v32, off, s[40:43], 0 offset:976 ; 4-byte Folded Spill
	buffer_store_dword v33, off, s[40:43], 0 offset:980 ; 4-byte Folded Spill
	buffer_store_dword v34, off, s[40:43], 0 offset:984 ; 4-byte Folded Spill
	buffer_store_dword v35, off, s[40:43], 0 offset:988 ; 4-byte Folded Spill
	buffer_store_dword v36, off, s[40:43], 0 offset:992 ; 4-byte Folded Spill
	buffer_store_dword v37, off, s[40:43], 0 offset:996 ; 4-byte Folded Spill
	buffer_store_dword v38, off, s[40:43], 0 offset:1000 ; 4-byte Folded Spill
	buffer_store_dword v39, off, s[40:43], 0 offset:1004 ; 4-byte Folded Spill
	buffer_store_dword v40, off, s[40:43], 0 offset:1008 ; 4-byte Folded Spill
	buffer_store_dword v41, off, s[40:43], 0 offset:1012 ; 4-byte Folded Spill
	buffer_store_dword v42, off, s[40:43], 0 offset:1016 ; 4-byte Folded Spill
	buffer_store_dword v43, off, s[40:43], 0 offset:1020 ; 4-byte Folded Spill
	;;#ASMSTART
	s_nop 0
	;;#ASMEND
	v_cvt_f16_f32_e32 v1, v23
	v_pk_add_f32 v[76:77], v[10:11], v[26:27]
	v_pk_add_f32 v[28:29], v[8:9], v[24:25]
	v_cvt_f16_f32_e32 v8, v28
	v_cvt_f16_f32_e32 v9, v76
	;; [unrolled: 1-line block ×3, first 2 shown]
	v_pack_b32_f16 v18, v14, v1
	v_pk_mov_b32 v[30:31], v[28:29], v[28:29] op_sel:[0,1]
	buffer_store_dwordx4 v[18:21], v66, s[28:31], s19 offen glc slc
	buffer_store_dword v2, off, s[40:43], 0 offset:1540 ; 4-byte Folded Spill
	s_nop 0
	buffer_store_dword v3, off, s[40:43], 0 offset:1544 ; 4-byte Folded Spill
	buffer_store_dword v4, off, s[40:43], 0 offset:1548 ; 4-byte Folded Spill
	;; [unrolled: 1-line block ×31, first 2 shown]
	v_cvt_f16_f32_e32 v11, v29
	v_pk_add_f32 v[26:27], v[6:7], v[16:17]
	v_cvt_f16_f32_e32 v6, v26
	v_pack_b32_f16 v9, v9, v10
	v_pack_b32_f16 v8, v8, v11
	v_pk_mov_b32 v[28:29], v[26:27], v[26:27] op_sel:[0,1]
	buffer_store_dword v2, off, s[40:43], 0 offset:256 ; 4-byte Folded Spill
	s_nop 0
	buffer_store_dword v3, off, s[40:43], 0 offset:260 ; 4-byte Folded Spill
	buffer_store_dword v4, off, s[40:43], 0 offset:264 ; 4-byte Folded Spill
	;; [unrolled: 1-line block ×31, first 2 shown]
	v_cvt_f16_f32_e32 v7, v27
	v_pk_add_f32 v[24:25], v[4:5], v[12:13]
	v_cvt_f16_f32_e32 v4, v24
	v_pk_mov_b32 v[26:27], v[24:25], v[24:25] op_sel:[0,1]
	v_pack_b32_f16 v7, v6, v7
	buffer_store_dword v2, off, s[40:43], 0 offset:384 ; 4-byte Folded Spill
	s_nop 0
	buffer_store_dword v3, off, s[40:43], 0 offset:388 ; 4-byte Folded Spill
	buffer_store_dword v4, off, s[40:43], 0 offset:392 ; 4-byte Folded Spill
	;; [unrolled: 1-line block ×31, first 2 shown]
	;;#ASMSTART
	s_nop 0
	;;#ASMEND
	v_cvt_f16_f32_e32 v5, v25
	v_pack_b32_f16 v6, v4, v5
	buffer_store_dwordx4 v[6:9], v66, s[28:31], s14 offen glc slc
	;;#ASMSTART
	s_nop 0
	;;#ASMEND
.LBB83_10:
	s_or_b64 exec, exec, s[2:3]
.LBB83_11:
	buffer_load_dword v6, off, s[40:43], 0 offset:1280 ; 4-byte Folded Reload
	buffer_load_dword v7, off, s[40:43], 0 offset:1284 ; 4-byte Folded Reload
	;; [unrolled: 1-line block ×32, first 2 shown]
	v_mul_f32_e32 v4, v3, v3
	v_fmac_f32_e32 v4, v2, v2
	v_fmac_f32_e32 v4, v74, v74
	;; [unrolled: 1-line block ×3, first 2 shown]
	s_waitcnt vmcnt(26)
	v_pk_mov_b32 v[6:7], v[10:11], v[10:11] op_sel:[0,1]
	v_fmac_f32_e32 v4, v6, v6
	v_fmac_f32_e32 v4, v7, v7
	buffer_load_dword v6, off, s[40:43], 0 offset:1152 ; 4-byte Folded Reload
	buffer_load_dword v7, off, s[40:43], 0 offset:1156 ; 4-byte Folded Reload
	buffer_load_dword v8, off, s[40:43], 0 offset:1160 ; 4-byte Folded Reload
	buffer_load_dword v9, off, s[40:43], 0 offset:1164 ; 4-byte Folded Reload
	buffer_load_dword v10, off, s[40:43], 0 offset:1168 ; 4-byte Folded Reload
	buffer_load_dword v11, off, s[40:43], 0 offset:1172 ; 4-byte Folded Reload
	buffer_load_dword v12, off, s[40:43], 0 offset:1176 ; 4-byte Folded Reload
	buffer_load_dword v13, off, s[40:43], 0 offset:1180 ; 4-byte Folded Reload
	buffer_load_dword v14, off, s[40:43], 0 offset:1184 ; 4-byte Folded Reload
	buffer_load_dword v15, off, s[40:43], 0 offset:1188 ; 4-byte Folded Reload
	buffer_load_dword v16, off, s[40:43], 0 offset:1192 ; 4-byte Folded Reload
	buffer_load_dword v17, off, s[40:43], 0 offset:1196 ; 4-byte Folded Reload
	buffer_load_dword v18, off, s[40:43], 0 offset:1200 ; 4-byte Folded Reload
	buffer_load_dword v19, off, s[40:43], 0 offset:1204 ; 4-byte Folded Reload
	buffer_load_dword v20, off, s[40:43], 0 offset:1208 ; 4-byte Folded Reload
	buffer_load_dword v21, off, s[40:43], 0 offset:1212 ; 4-byte Folded Reload
	buffer_load_dword v22, off, s[40:43], 0 offset:1216 ; 4-byte Folded Reload
	buffer_load_dword v23, off, s[40:43], 0 offset:1220 ; 4-byte Folded Reload
	buffer_load_dword v24, off, s[40:43], 0 offset:1224 ; 4-byte Folded Reload
	buffer_load_dword v25, off, s[40:43], 0 offset:1228 ; 4-byte Folded Reload
	buffer_load_dword v26, off, s[40:43], 0 offset:1232 ; 4-byte Folded Reload
	buffer_load_dword v27, off, s[40:43], 0 offset:1236 ; 4-byte Folded Reload
	buffer_load_dword v28, off, s[40:43], 0 offset:1240 ; 4-byte Folded Reload
	buffer_load_dword v29, off, s[40:43], 0 offset:1244 ; 4-byte Folded Reload
	buffer_load_dword v30, off, s[40:43], 0 offset:1248 ; 4-byte Folded Reload
	buffer_load_dword v31, off, s[40:43], 0 offset:1252 ; 4-byte Folded Reload
	buffer_load_dword v32, off, s[40:43], 0 offset:1256 ; 4-byte Folded Reload
	buffer_load_dword v33, off, s[40:43], 0 offset:1260 ; 4-byte Folded Reload
	buffer_load_dword v34, off, s[40:43], 0 offset:1264 ; 4-byte Folded Reload
	buffer_load_dword v35, off, s[40:43], 0 offset:1268 ; 4-byte Folded Reload
	buffer_load_dword v36, off, s[40:43], 0 offset:1272 ; 4-byte Folded Reload
	buffer_load_dword v37, off, s[40:43], 0 offset:1276 ; 4-byte Folded Reload
	s_waitcnt vmcnt(24)
	v_pk_mov_b32 v[6:7], v[12:13], v[12:13] op_sel:[0,1]
	v_fmac_f32_e32 v4, v6, v6
	v_fmac_f32_e32 v4, v7, v7
	buffer_load_dword v6, off, s[40:43], 0 offset:1408 ; 4-byte Folded Reload
	buffer_load_dword v7, off, s[40:43], 0 offset:1412 ; 4-byte Folded Reload
	buffer_load_dword v8, off, s[40:43], 0 offset:1416 ; 4-byte Folded Reload
	buffer_load_dword v9, off, s[40:43], 0 offset:1420 ; 4-byte Folded Reload
	buffer_load_dword v10, off, s[40:43], 0 offset:1424 ; 4-byte Folded Reload
	buffer_load_dword v11, off, s[40:43], 0 offset:1428 ; 4-byte Folded Reload
	buffer_load_dword v12, off, s[40:43], 0 offset:1432 ; 4-byte Folded Reload
	buffer_load_dword v13, off, s[40:43], 0 offset:1436 ; 4-byte Folded Reload
	buffer_load_dword v14, off, s[40:43], 0 offset:1440 ; 4-byte Folded Reload
	buffer_load_dword v15, off, s[40:43], 0 offset:1444 ; 4-byte Folded Reload
	buffer_load_dword v16, off, s[40:43], 0 offset:1448 ; 4-byte Folded Reload
	buffer_load_dword v17, off, s[40:43], 0 offset:1452 ; 4-byte Folded Reload
	buffer_load_dword v18, off, s[40:43], 0 offset:1456 ; 4-byte Folded Reload
	buffer_load_dword v19, off, s[40:43], 0 offset:1460 ; 4-byte Folded Reload
	buffer_load_dword v20, off, s[40:43], 0 offset:1464 ; 4-byte Folded Reload
	buffer_load_dword v21, off, s[40:43], 0 offset:1468 ; 4-byte Folded Reload
	buffer_load_dword v22, off, s[40:43], 0 offset:1472 ; 4-byte Folded Reload
	buffer_load_dword v23, off, s[40:43], 0 offset:1476 ; 4-byte Folded Reload
	buffer_load_dword v24, off, s[40:43], 0 offset:1480 ; 4-byte Folded Reload
	buffer_load_dword v25, off, s[40:43], 0 offset:1484 ; 4-byte Folded Reload
	buffer_load_dword v26, off, s[40:43], 0 offset:1488 ; 4-byte Folded Reload
	buffer_load_dword v27, off, s[40:43], 0 offset:1492 ; 4-byte Folded Reload
	buffer_load_dword v28, off, s[40:43], 0 offset:1496 ; 4-byte Folded Reload
	buffer_load_dword v29, off, s[40:43], 0 offset:1500 ; 4-byte Folded Reload
	buffer_load_dword v30, off, s[40:43], 0 offset:1504 ; 4-byte Folded Reload
	buffer_load_dword v31, off, s[40:43], 0 offset:1508 ; 4-byte Folded Reload
	buffer_load_dword v32, off, s[40:43], 0 offset:1512 ; 4-byte Folded Reload
	buffer_load_dword v33, off, s[40:43], 0 offset:1516 ; 4-byte Folded Reload
	buffer_load_dword v34, off, s[40:43], 0 offset:1520 ; 4-byte Folded Reload
	buffer_load_dword v35, off, s[40:43], 0 offset:1524 ; 4-byte Folded Reload
	buffer_load_dword v36, off, s[40:43], 0 offset:1528 ; 4-byte Folded Reload
	buffer_load_dword v37, off, s[40:43], 0 offset:1532 ; 4-byte Folded Reload
	;; [unrolled: 36-line block ×8, first 2 shown]
	s_waitcnt vmcnt(10)
	v_pk_mov_b32 v[20:21], v[26:27], v[26:27] op_sel:[0,1]
	v_fmac_f32_e32 v4, v20, v20
	v_fmac_f32_e32 v4, v21, v21
	buffer_load_dword v6, off, s[40:43], 0  ; 4-byte Folded Reload
	buffer_load_dword v7, off, s[40:43], 0 offset:4 ; 4-byte Folded Reload
	buffer_load_dword v8, off, s[40:43], 0 offset:8 ; 4-byte Folded Reload
	buffer_load_dword v9, off, s[40:43], 0 offset:12 ; 4-byte Folded Reload
	buffer_load_dword v10, off, s[40:43], 0 offset:16 ; 4-byte Folded Reload
	buffer_load_dword v11, off, s[40:43], 0 offset:20 ; 4-byte Folded Reload
	buffer_load_dword v12, off, s[40:43], 0 offset:24 ; 4-byte Folded Reload
	buffer_load_dword v13, off, s[40:43], 0 offset:28 ; 4-byte Folded Reload
	buffer_load_dword v14, off, s[40:43], 0 offset:32 ; 4-byte Folded Reload
	buffer_load_dword v15, off, s[40:43], 0 offset:36 ; 4-byte Folded Reload
	buffer_load_dword v16, off, s[40:43], 0 offset:40 ; 4-byte Folded Reload
	buffer_load_dword v17, off, s[40:43], 0 offset:44 ; 4-byte Folded Reload
	buffer_load_dword v18, off, s[40:43], 0 offset:48 ; 4-byte Folded Reload
	buffer_load_dword v19, off, s[40:43], 0 offset:52 ; 4-byte Folded Reload
	buffer_load_dword v20, off, s[40:43], 0 offset:56 ; 4-byte Folded Reload
	buffer_load_dword v21, off, s[40:43], 0 offset:60 ; 4-byte Folded Reload
	buffer_load_dword v22, off, s[40:43], 0 offset:64 ; 4-byte Folded Reload
	buffer_load_dword v23, off, s[40:43], 0 offset:68 ; 4-byte Folded Reload
	buffer_load_dword v24, off, s[40:43], 0 offset:72 ; 4-byte Folded Reload
	buffer_load_dword v25, off, s[40:43], 0 offset:76 ; 4-byte Folded Reload
	buffer_load_dword v26, off, s[40:43], 0 offset:80 ; 4-byte Folded Reload
	buffer_load_dword v27, off, s[40:43], 0 offset:84 ; 4-byte Folded Reload
	buffer_load_dword v28, off, s[40:43], 0 offset:88 ; 4-byte Folded Reload
	buffer_load_dword v29, off, s[40:43], 0 offset:92 ; 4-byte Folded Reload
	buffer_load_dword v30, off, s[40:43], 0 offset:96 ; 4-byte Folded Reload
	buffer_load_dword v31, off, s[40:43], 0 offset:100 ; 4-byte Folded Reload
	buffer_load_dword v32, off, s[40:43], 0 offset:104 ; 4-byte Folded Reload
	buffer_load_dword v33, off, s[40:43], 0 offset:108 ; 4-byte Folded Reload
	buffer_load_dword v34, off, s[40:43], 0 offset:112 ; 4-byte Folded Reload
	buffer_load_dword v35, off, s[40:43], 0 offset:116 ; 4-byte Folded Reload
	buffer_load_dword v36, off, s[40:43], 0 offset:120 ; 4-byte Folded Reload
	buffer_load_dword v37, off, s[40:43], 0 offset:124 ; 4-byte Folded Reload
	s_waitcnt vmcnt(8)
	v_pk_mov_b32 v[22:23], v[28:29], v[28:29] op_sel:[0,1]
	v_fmac_f32_e32 v4, v22, v22
	v_fmac_f32_e32 v4, v23, v23
	buffer_load_dword v6, off, s[40:43], 0 offset:384 ; 4-byte Folded Reload
	buffer_load_dword v7, off, s[40:43], 0 offset:388 ; 4-byte Folded Reload
	buffer_load_dword v8, off, s[40:43], 0 offset:392 ; 4-byte Folded Reload
	buffer_load_dword v9, off, s[40:43], 0 offset:396 ; 4-byte Folded Reload
	buffer_load_dword v10, off, s[40:43], 0 offset:400 ; 4-byte Folded Reload
	buffer_load_dword v11, off, s[40:43], 0 offset:404 ; 4-byte Folded Reload
	buffer_load_dword v12, off, s[40:43], 0 offset:408 ; 4-byte Folded Reload
	buffer_load_dword v13, off, s[40:43], 0 offset:412 ; 4-byte Folded Reload
	buffer_load_dword v14, off, s[40:43], 0 offset:416 ; 4-byte Folded Reload
	buffer_load_dword v15, off, s[40:43], 0 offset:420 ; 4-byte Folded Reload
	buffer_load_dword v16, off, s[40:43], 0 offset:424 ; 4-byte Folded Reload
	buffer_load_dword v17, off, s[40:43], 0 offset:428 ; 4-byte Folded Reload
	buffer_load_dword v18, off, s[40:43], 0 offset:432 ; 4-byte Folded Reload
	buffer_load_dword v19, off, s[40:43], 0 offset:436 ; 4-byte Folded Reload
	buffer_load_dword v20, off, s[40:43], 0 offset:440 ; 4-byte Folded Reload
	buffer_load_dword v21, off, s[40:43], 0 offset:444 ; 4-byte Folded Reload
	buffer_load_dword v22, off, s[40:43], 0 offset:448 ; 4-byte Folded Reload
	buffer_load_dword v23, off, s[40:43], 0 offset:452 ; 4-byte Folded Reload
	buffer_load_dword v24, off, s[40:43], 0 offset:456 ; 4-byte Folded Reload
	buffer_load_dword v25, off, s[40:43], 0 offset:460 ; 4-byte Folded Reload
	buffer_load_dword v26, off, s[40:43], 0 offset:464 ; 4-byte Folded Reload
	buffer_load_dword v27, off, s[40:43], 0 offset:468 ; 4-byte Folded Reload
	buffer_load_dword v28, off, s[40:43], 0 offset:472 ; 4-byte Folded Reload
	buffer_load_dword v29, off, s[40:43], 0 offset:476 ; 4-byte Folded Reload
	buffer_load_dword v30, off, s[40:43], 0 offset:480 ; 4-byte Folded Reload
	buffer_load_dword v31, off, s[40:43], 0 offset:484 ; 4-byte Folded Reload
	buffer_load_dword v32, off, s[40:43], 0 offset:488 ; 4-byte Folded Reload
	buffer_load_dword v33, off, s[40:43], 0 offset:492 ; 4-byte Folded Reload
	buffer_load_dword v34, off, s[40:43], 0 offset:496 ; 4-byte Folded Reload
	buffer_load_dword v35, off, s[40:43], 0 offset:500 ; 4-byte Folded Reload
	buffer_load_dword v36, off, s[40:43], 0 offset:504 ; 4-byte Folded Reload
	buffer_load_dword v37, off, s[40:43], 0 offset:508 ; 4-byte Folded Reload
	s_waitcnt vmcnt(6)
	v_pk_mov_b32 v[24:25], v[30:31], v[30:31] op_sel:[0,1]
	v_fmac_f32_e32 v4, v24, v24
	v_fmac_f32_e32 v4, v25, v25
	buffer_load_dword v6, off, s[40:43], 0 offset:256 ; 4-byte Folded Reload
	buffer_load_dword v7, off, s[40:43], 0 offset:260 ; 4-byte Folded Reload
	buffer_load_dword v8, off, s[40:43], 0 offset:264 ; 4-byte Folded Reload
	buffer_load_dword v9, off, s[40:43], 0 offset:268 ; 4-byte Folded Reload
	buffer_load_dword v10, off, s[40:43], 0 offset:272 ; 4-byte Folded Reload
	buffer_load_dword v11, off, s[40:43], 0 offset:276 ; 4-byte Folded Reload
	buffer_load_dword v12, off, s[40:43], 0 offset:280 ; 4-byte Folded Reload
	buffer_load_dword v13, off, s[40:43], 0 offset:284 ; 4-byte Folded Reload
	buffer_load_dword v14, off, s[40:43], 0 offset:288 ; 4-byte Folded Reload
	buffer_load_dword v15, off, s[40:43], 0 offset:292 ; 4-byte Folded Reload
	buffer_load_dword v16, off, s[40:43], 0 offset:296 ; 4-byte Folded Reload
	buffer_load_dword v17, off, s[40:43], 0 offset:300 ; 4-byte Folded Reload
	buffer_load_dword v18, off, s[40:43], 0 offset:304 ; 4-byte Folded Reload
	buffer_load_dword v19, off, s[40:43], 0 offset:308 ; 4-byte Folded Reload
	buffer_load_dword v20, off, s[40:43], 0 offset:312 ; 4-byte Folded Reload
	buffer_load_dword v21, off, s[40:43], 0 offset:316 ; 4-byte Folded Reload
	buffer_load_dword v22, off, s[40:43], 0 offset:320 ; 4-byte Folded Reload
	buffer_load_dword v23, off, s[40:43], 0 offset:324 ; 4-byte Folded Reload
	buffer_load_dword v24, off, s[40:43], 0 offset:328 ; 4-byte Folded Reload
	buffer_load_dword v25, off, s[40:43], 0 offset:332 ; 4-byte Folded Reload
	buffer_load_dword v26, off, s[40:43], 0 offset:336 ; 4-byte Folded Reload
	buffer_load_dword v27, off, s[40:43], 0 offset:340 ; 4-byte Folded Reload
	buffer_load_dword v28, off, s[40:43], 0 offset:344 ; 4-byte Folded Reload
	buffer_load_dword v29, off, s[40:43], 0 offset:348 ; 4-byte Folded Reload
	buffer_load_dword v30, off, s[40:43], 0 offset:352 ; 4-byte Folded Reload
	buffer_load_dword v31, off, s[40:43], 0 offset:356 ; 4-byte Folded Reload
	buffer_load_dword v32, off, s[40:43], 0 offset:360 ; 4-byte Folded Reload
	buffer_load_dword v33, off, s[40:43], 0 offset:364 ; 4-byte Folded Reload
	buffer_load_dword v34, off, s[40:43], 0 offset:368 ; 4-byte Folded Reload
	buffer_load_dword v35, off, s[40:43], 0 offset:372 ; 4-byte Folded Reload
	buffer_load_dword v36, off, s[40:43], 0 offset:376 ; 4-byte Folded Reload
	buffer_load_dword v37, off, s[40:43], 0 offset:380 ; 4-byte Folded Reload
	s_waitcnt vmcnt(4)
	v_pk_mov_b32 v[26:27], v[32:33], v[32:33] op_sel:[0,1]
	v_fmac_f32_e32 v4, v26, v26
	v_fmac_f32_e32 v4, v27, v27
	buffer_load_dword v6, off, s[40:43], 0 offset:1540 ; 4-byte Folded Reload
	buffer_load_dword v7, off, s[40:43], 0 offset:1544 ; 4-byte Folded Reload
	buffer_load_dword v8, off, s[40:43], 0 offset:1548 ; 4-byte Folded Reload
	;; [unrolled: 1-line block ×31, first 2 shown]
	s_waitcnt vmcnt(2)
	v_pk_mov_b32 v[28:29], v[34:35], v[34:35] op_sel:[0,1]
	v_fmac_f32_e32 v4, v28, v28
	v_fmac_f32_e32 v4, v29, v29
	;; [unrolled: 1-line block ×4, first 2 shown]
	s_nop 1
	v_mov_b32_dpp v5, v4 quad_perm:[1,0,3,2] row_mask:0xf bank_mask:0xf
	v_add_f32_e32 v4, v4, v5
	s_nop 1
	v_mov_b32_dpp v5, v4 quad_perm:[2,3,0,1] row_mask:0xf bank_mask:0xf
	v_add_f32_e32 v4, v4, v5
	s_nop 1
	v_mov_b32_dpp v5, v4 row_half_mirror row_mask:0xf bank_mask:0xf
	v_add_f32_e32 v4, v4, v5
	s_nop 1
	v_mov_b32_dpp v5, v4 row_mirror row_mask:0xf bank_mask:0xf
	v_add_f32_e32 v4, v4, v5
	s_nop 1
	v_mov_b32_dpp v5, v4 row_bcast:15 row_mask:0xf bank_mask:0xf
	v_add_f32_e32 v4, v4, v5
	v_and_b32_e32 v5, 63, v0
	v_cmp_eq_u32_e64 s[2:3], 63, v5
	s_nop 0
	v_mov_b32_dpp v5, v4 row_bcast:31 row_mask:0xf bank_mask:0xf
	s_waitcnt lgkmcnt(0)
	s_and_saveexec_b64 s[26:27], s[2:3]
	s_cbranch_execz .LBB83_13
; %bb.12:
	v_add_f32_e32 v4, v4, v5
	v_lshrrev_b32_e32 v5, 4, v0
	v_and_b32_e32 v5, 60, v5
	ds_write_b32 v5, v4 offset:32
.LBB83_13:
	s_or_b64 exec, exec, s[26:27]
	v_and_b32_e32 v4, 3, v0
	v_lshlrev_b32_e32 v70, 2, v4
	s_waitcnt lgkmcnt(0)
	s_barrier
	ds_read_b32 v4, v70 offset:32
	s_load_dwordx2 s[26:27], s[4:5], 0x18
	s_waitcnt lgkmcnt(0)
	v_mov_b32_dpp v5, v4 quad_perm:[1,0,3,2] row_mask:0xf bank_mask:0xf
	v_add_f32_e32 v4, v4, v5
	s_nop 1
	v_mov_b32_dpp v5, v4 quad_perm:[2,3,0,1] row_mask:0xf bank_mask:0xf
	s_and_saveexec_b64 s[28:29], s[0:1]
	s_cbranch_execnz .LBB83_18
; %bb.14:
	s_or_b64 exec, exec, s[28:29]
	s_mov_b64 s[8:9], -1
	s_and_b64 vcc, exec, s[22:23]
	s_cbranch_vccnz .LBB83_19
.LBB83_15:
	s_andn2_b64 vcc, exec, s[8:9]
	s_cbranch_vccz .LBB83_22
.LBB83_16:
	s_cmp_lt_i32 s16, 1
	s_cbranch_scc0 .LBB83_33
.LBB83_17:
	s_endpgm
.LBB83_18:
	v_add_f32_e32 v4, v4, v5
	v_cvt_f32_u32_e32 v5, s7
	s_mov_b32 s7, 0x800000
	v_pk_mov_b32 v[32:33], v[28:29], v[28:29] op_sel:[0,1]
	v_cvt_f32_f16_sdwa v67, v127 dst_sel:DWORD dst_unused:UNUSED_PAD src0_sel:WORD_1
	v_div_scale_f32 v6, s[36:37], v5, v5, v4
	v_rcp_f32_e32 v7, v6
	v_cvt_f32_f16_e32 v66, v127
	v_fma_f32 v8, -v6, v7, 1.0
	v_fmac_f32_e32 v7, v8, v7
	v_div_scale_f32 v8, vcc, v4, v5, v4
	v_mul_f32_e32 v9, v8, v7
	v_fma_f32 v10, -v6, v9, v8
	v_fmac_f32_e32 v9, v10, v7
	v_fma_f32 v6, -v6, v9, v8
	v_div_fmas_f32 v6, v6, v7, v9
	v_div_fixup_f32 v4, v6, v5, v4
	v_mov_b32_e32 v5, s13
	v_mov_b32_e32 v6, s12
	v_cndmask_b32_e64 v5, v5, v6, s[8:9]
	v_add_f32_e32 v4, v5, v4
	v_mul_f32_e32 v5, 0x4b800000, v4
	v_cmp_gt_f32_e32 vcc, s7, v4
	v_cndmask_b32_e32 v4, v4, v5, vcc
	v_rsq_f32_e32 v4, v4
	v_mul_f32_e32 v5, 0x45800000, v4
	v_cndmask_b32_e32 v30, v4, v5, vcc
	v_mov_b32_e32 v31, v30
	;;#ASMSTART
	v_pk_mul_f32 v[2:3], v[2:3], v[30:31]
	;;#ASMEND
	;;#ASMSTART
	v_pk_mul_f32 v[4:5], v[74:75], v[30:31]
	;;#ASMEND
	buffer_load_dword v34, off, s[40:43], 0 offset:1280 ; 4-byte Folded Reload
	buffer_load_dword v35, off, s[40:43], 0 offset:1284 ; 4-byte Folded Reload
	buffer_load_dword v36, off, s[40:43], 0 offset:1288 ; 4-byte Folded Reload
	buffer_load_dword v37, off, s[40:43], 0 offset:1292 ; 4-byte Folded Reload
	buffer_load_dword v38, off, s[40:43], 0 offset:1296 ; 4-byte Folded Reload
	buffer_load_dword v39, off, s[40:43], 0 offset:1300 ; 4-byte Folded Reload
	buffer_load_dword v40, off, s[40:43], 0 offset:1304 ; 4-byte Folded Reload
	buffer_load_dword v41, off, s[40:43], 0 offset:1308 ; 4-byte Folded Reload
	buffer_load_dword v42, off, s[40:43], 0 offset:1312 ; 4-byte Folded Reload
	buffer_load_dword v43, off, s[40:43], 0 offset:1316 ; 4-byte Folded Reload
	buffer_load_dword v44, off, s[40:43], 0 offset:1320 ; 4-byte Folded Reload
	buffer_load_dword v45, off, s[40:43], 0 offset:1324 ; 4-byte Folded Reload
	buffer_load_dword v46, off, s[40:43], 0 offset:1328 ; 4-byte Folded Reload
	buffer_load_dword v47, off, s[40:43], 0 offset:1332 ; 4-byte Folded Reload
	buffer_load_dword v48, off, s[40:43], 0 offset:1336 ; 4-byte Folded Reload
	buffer_load_dword v49, off, s[40:43], 0 offset:1340 ; 4-byte Folded Reload
	buffer_load_dword v50, off, s[40:43], 0 offset:1344 ; 4-byte Folded Reload
	buffer_load_dword v51, off, s[40:43], 0 offset:1348 ; 4-byte Folded Reload
	buffer_load_dword v52, off, s[40:43], 0 offset:1352 ; 4-byte Folded Reload
	buffer_load_dword v53, off, s[40:43], 0 offset:1356 ; 4-byte Folded Reload
	buffer_load_dword v54, off, s[40:43], 0 offset:1360 ; 4-byte Folded Reload
	buffer_load_dword v55, off, s[40:43], 0 offset:1364 ; 4-byte Folded Reload
	buffer_load_dword v56, off, s[40:43], 0 offset:1368 ; 4-byte Folded Reload
	buffer_load_dword v57, off, s[40:43], 0 offset:1372 ; 4-byte Folded Reload
	buffer_load_dword v58, off, s[40:43], 0 offset:1376 ; 4-byte Folded Reload
	buffer_load_dword v59, off, s[40:43], 0 offset:1380 ; 4-byte Folded Reload
	buffer_load_dword v60, off, s[40:43], 0 offset:1384 ; 4-byte Folded Reload
	buffer_load_dword v61, off, s[40:43], 0 offset:1388 ; 4-byte Folded Reload
	buffer_load_dword v62, off, s[40:43], 0 offset:1392 ; 4-byte Folded Reload
	buffer_load_dword v63, off, s[40:43], 0 offset:1396 ; 4-byte Folded Reload
	buffer_load_dword v64, off, s[40:43], 0 offset:1400 ; 4-byte Folded Reload
	buffer_load_dword v65, off, s[40:43], 0 offset:1404 ; 4-byte Folded Reload
	s_waitcnt vmcnt(26)
	;;#ASMSTART
	v_pk_mul_f32 v[6:7], v[38:39], v[30:31]
	;;#ASMEND
	buffer_load_dword v34, off, s[40:43], 0 offset:1152 ; 4-byte Folded Reload
	buffer_load_dword v35, off, s[40:43], 0 offset:1156 ; 4-byte Folded Reload
	buffer_load_dword v36, off, s[40:43], 0 offset:1160 ; 4-byte Folded Reload
	buffer_load_dword v37, off, s[40:43], 0 offset:1164 ; 4-byte Folded Reload
	buffer_load_dword v38, off, s[40:43], 0 offset:1168 ; 4-byte Folded Reload
	buffer_load_dword v39, off, s[40:43], 0 offset:1172 ; 4-byte Folded Reload
	buffer_load_dword v40, off, s[40:43], 0 offset:1176 ; 4-byte Folded Reload
	buffer_load_dword v41, off, s[40:43], 0 offset:1180 ; 4-byte Folded Reload
	buffer_load_dword v42, off, s[40:43], 0 offset:1184 ; 4-byte Folded Reload
	buffer_load_dword v43, off, s[40:43], 0 offset:1188 ; 4-byte Folded Reload
	buffer_load_dword v44, off, s[40:43], 0 offset:1192 ; 4-byte Folded Reload
	buffer_load_dword v45, off, s[40:43], 0 offset:1196 ; 4-byte Folded Reload
	buffer_load_dword v46, off, s[40:43], 0 offset:1200 ; 4-byte Folded Reload
	buffer_load_dword v47, off, s[40:43], 0 offset:1204 ; 4-byte Folded Reload
	buffer_load_dword v48, off, s[40:43], 0 offset:1208 ; 4-byte Folded Reload
	buffer_load_dword v49, off, s[40:43], 0 offset:1212 ; 4-byte Folded Reload
	buffer_load_dword v50, off, s[40:43], 0 offset:1216 ; 4-byte Folded Reload
	buffer_load_dword v51, off, s[40:43], 0 offset:1220 ; 4-byte Folded Reload
	buffer_load_dword v52, off, s[40:43], 0 offset:1224 ; 4-byte Folded Reload
	buffer_load_dword v53, off, s[40:43], 0 offset:1228 ; 4-byte Folded Reload
	buffer_load_dword v54, off, s[40:43], 0 offset:1232 ; 4-byte Folded Reload
	buffer_load_dword v55, off, s[40:43], 0 offset:1236 ; 4-byte Folded Reload
	buffer_load_dword v56, off, s[40:43], 0 offset:1240 ; 4-byte Folded Reload
	buffer_load_dword v57, off, s[40:43], 0 offset:1244 ; 4-byte Folded Reload
	buffer_load_dword v58, off, s[40:43], 0 offset:1248 ; 4-byte Folded Reload
	buffer_load_dword v59, off, s[40:43], 0 offset:1252 ; 4-byte Folded Reload
	buffer_load_dword v60, off, s[40:43], 0 offset:1256 ; 4-byte Folded Reload
	buffer_load_dword v61, off, s[40:43], 0 offset:1260 ; 4-byte Folded Reload
	buffer_load_dword v62, off, s[40:43], 0 offset:1264 ; 4-byte Folded Reload
	buffer_load_dword v63, off, s[40:43], 0 offset:1268 ; 4-byte Folded Reload
	buffer_load_dword v64, off, s[40:43], 0 offset:1272 ; 4-byte Folded Reload
	buffer_load_dword v65, off, s[40:43], 0 offset:1276 ; 4-byte Folded Reload
	s_waitcnt vmcnt(24)
	;; [unrolled: 36-line block ×9, first 2 shown]
	;;#ASMSTART
	v_pk_mul_f32 v[22:23], v[54:55], v[30:31]
	;;#ASMEND
	buffer_load_dword v34, off, s[40:43], 0 ; 4-byte Folded Reload
	buffer_load_dword v35, off, s[40:43], 0 offset:4 ; 4-byte Folded Reload
	buffer_load_dword v36, off, s[40:43], 0 offset:8 ; 4-byte Folded Reload
	;; [unrolled: 1-line block ×31, first 2 shown]
	s_waitcnt vmcnt(8)
	;;#ASMSTART
	v_pk_mul_f32 v[24:25], v[56:57], v[30:31]
	;;#ASMEND
	buffer_load_dword v34, off, s[40:43], 0 offset:384 ; 4-byte Folded Reload
	buffer_load_dword v35, off, s[40:43], 0 offset:388 ; 4-byte Folded Reload
	;; [unrolled: 1-line block ×32, first 2 shown]
	s_waitcnt vmcnt(6)
	;;#ASMSTART
	v_pk_mul_f32 v[26:27], v[58:59], v[30:31]
	;;#ASMEND
	buffer_load_dword v34, off, s[40:43], 0 offset:256 ; 4-byte Folded Reload
	buffer_load_dword v35, off, s[40:43], 0 offset:260 ; 4-byte Folded Reload
	;; [unrolled: 1-line block ×32, first 2 shown]
	s_waitcnt vmcnt(30)
	v_cvt_f32_f16_sdwa v35, v113 dst_sel:DWORD dst_unused:UNUSED_PAD src0_sel:WORD_1
	v_cvt_f32_f16_e32 v34, v113
	s_waitcnt vmcnt(28)
	v_cvt_f32_f16_sdwa v37, v114 dst_sel:DWORD dst_unused:UNUSED_PAD src0_sel:WORD_1
	v_cvt_f32_f16_e32 v36, v114
	s_waitcnt vmcnt(26)
	v_cvt_f32_f16_sdwa v39, v115 dst_sel:DWORD dst_unused:UNUSED_PAD src0_sel:WORD_1
	v_cvt_f32_f16_e32 v38, v115
	s_waitcnt vmcnt(24)
	v_cvt_f32_f16_sdwa v41, v108 dst_sel:DWORD dst_unused:UNUSED_PAD src0_sel:WORD_1
	v_cvt_f32_f16_e32 v40, v108
	s_waitcnt vmcnt(22)
	v_cvt_f32_f16_sdwa v43, v109 dst_sel:DWORD dst_unused:UNUSED_PAD src0_sel:WORD_1
	v_cvt_f32_f16_e32 v42, v109
	s_waitcnt vmcnt(20)
	v_cvt_f32_f16_sdwa v45, v110 dst_sel:DWORD dst_unused:UNUSED_PAD src0_sel:WORD_1
	v_cvt_f32_f16_e32 v44, v110
	s_waitcnt vmcnt(18)
	v_cvt_f32_f16_sdwa v47, v111 dst_sel:DWORD dst_unused:UNUSED_PAD src0_sel:WORD_1
	v_cvt_f32_f16_e32 v46, v111
	s_waitcnt vmcnt(16)
	v_cvt_f32_f16_sdwa v49, v104 dst_sel:DWORD dst_unused:UNUSED_PAD src0_sel:WORD_1
	v_cvt_f32_f16_e32 v48, v104
	s_waitcnt vmcnt(12)
	v_cvt_f32_f16_sdwa v53, v105 dst_sel:DWORD dst_unused:UNUSED_PAD src0_sel:WORD_1
	v_cvt_f32_f16_e32 v52, v105
	s_waitcnt vmcnt(10)
	v_cvt_f32_f16_sdwa v55, v106 dst_sel:DWORD dst_unused:UNUSED_PAD src0_sel:WORD_1
	v_cvt_f32_f16_e32 v54, v106
	s_waitcnt vmcnt(8)
	v_cvt_f32_f16_sdwa v57, v107 dst_sel:DWORD dst_unused:UNUSED_PAD src0_sel:WORD_1
	v_cvt_f32_f16_e32 v56, v107
	s_waitcnt vmcnt(6)
	v_cvt_f32_f16_sdwa v59, v124 dst_sel:DWORD dst_unused:UNUSED_PAD src0_sel:WORD_1
	v_cvt_f32_f16_e32 v58, v124
	s_waitcnt vmcnt(2)
	v_cvt_f32_f16_sdwa v63, v126 dst_sel:DWORD dst_unused:UNUSED_PAD src0_sel:WORD_1
	v_cvt_f32_f16_e32 v62, v126
	;;#ASMSTART
	v_pk_mul_f32 v[28:29], v[60:61], v[30:31]
	;;#ASMEND
	;;#ASMSTART
	v_pk_mul_f32 v[32:33], v[32:33], v[30:31]
	;;#ASMEND
	;; [unrolled: 3-line block ×3, first 2 shown]
	v_cvt_f32_f16_sdwa v31, v112 dst_sel:DWORD dst_unused:UNUSED_PAD src0_sel:WORD_1
	v_cvt_f32_f16_e32 v30, v112
	;;#ASMSTART
	v_pk_mul_f32 v[2:3], v[2:3], v[30:31]
	;;#ASMEND
	;;#ASMSTART
	v_pk_mul_f32 v[74:75], v[4:5], v[34:35]
	;;#ASMEND
	;; [unrolled: 3-line block ×3, first 2 shown]
	buffer_store_dword v0, off, s[40:43], 0 offset:1280 ; 4-byte Folded Spill
	s_nop 0
	buffer_store_dword v1, off, s[40:43], 0 offset:1284 ; 4-byte Folded Spill
	buffer_store_dword v2, off, s[40:43], 0 offset:1288 ; 4-byte Folded Spill
	;; [unrolled: 1-line block ×31, first 2 shown]
	v_cvt_f32_f16_sdwa v61, v125 dst_sel:DWORD dst_unused:UNUSED_PAD src0_sel:WORD_1
	v_cvt_f32_f16_e32 v60, v125
	;;#ASMSTART
	v_pk_mul_f32 v[6:7], v[8:9], v[38:39]
	;;#ASMEND
	buffer_store_dword v0, off, s[40:43], 0 offset:1152 ; 4-byte Folded Spill
	s_nop 0
	buffer_store_dword v1, off, s[40:43], 0 offset:1156 ; 4-byte Folded Spill
	buffer_store_dword v2, off, s[40:43], 0 offset:1160 ; 4-byte Folded Spill
	buffer_store_dword v3, off, s[40:43], 0 offset:1164 ; 4-byte Folded Spill
	buffer_store_dword v4, off, s[40:43], 0 offset:1168 ; 4-byte Folded Spill
	buffer_store_dword v5, off, s[40:43], 0 offset:1172 ; 4-byte Folded Spill
	buffer_store_dword v6, off, s[40:43], 0 offset:1176 ; 4-byte Folded Spill
	buffer_store_dword v7, off, s[40:43], 0 offset:1180 ; 4-byte Folded Spill
	buffer_store_dword v8, off, s[40:43], 0 offset:1184 ; 4-byte Folded Spill
	buffer_store_dword v9, off, s[40:43], 0 offset:1188 ; 4-byte Folded Spill
	buffer_store_dword v10, off, s[40:43], 0 offset:1192 ; 4-byte Folded Spill
	buffer_store_dword v11, off, s[40:43], 0 offset:1196 ; 4-byte Folded Spill
	buffer_store_dword v12, off, s[40:43], 0 offset:1200 ; 4-byte Folded Spill
	buffer_store_dword v13, off, s[40:43], 0 offset:1204 ; 4-byte Folded Spill
	buffer_store_dword v14, off, s[40:43], 0 offset:1208 ; 4-byte Folded Spill
	buffer_store_dword v15, off, s[40:43], 0 offset:1212 ; 4-byte Folded Spill
	buffer_store_dword v16, off, s[40:43], 0 offset:1216 ; 4-byte Folded Spill
	buffer_store_dword v17, off, s[40:43], 0 offset:1220 ; 4-byte Folded Spill
	buffer_store_dword v18, off, s[40:43], 0 offset:1224 ; 4-byte Folded Spill
	buffer_store_dword v19, off, s[40:43], 0 offset:1228 ; 4-byte Folded Spill
	buffer_store_dword v20, off, s[40:43], 0 offset:1232 ; 4-byte Folded Spill
	buffer_store_dword v21, off, s[40:43], 0 offset:1236 ; 4-byte Folded Spill
	buffer_store_dword v22, off, s[40:43], 0 offset:1240 ; 4-byte Folded Spill
	buffer_store_dword v23, off, s[40:43], 0 offset:1244 ; 4-byte Folded Spill
	buffer_store_dword v24, off, s[40:43], 0 offset:1248 ; 4-byte Folded Spill
	buffer_store_dword v25, off, s[40:43], 0 offset:1252 ; 4-byte Folded Spill
	buffer_store_dword v26, off, s[40:43], 0 offset:1256 ; 4-byte Folded Spill
	buffer_store_dword v27, off, s[40:43], 0 offset:1260 ; 4-byte Folded Spill
	buffer_store_dword v28, off, s[40:43], 0 offset:1264 ; 4-byte Folded Spill
	buffer_store_dword v29, off, s[40:43], 0 offset:1268 ; 4-byte Folded Spill
	buffer_store_dword v30, off, s[40:43], 0 offset:1272 ; 4-byte Folded Spill
	buffer_store_dword v31, off, s[40:43], 0 offset:1276 ; 4-byte Folded Spill
	;;#ASMSTART
	v_pk_mul_f32 v[8:9], v[10:11], v[40:41]
	;;#ASMEND
	buffer_store_dword v0, off, s[40:43], 0 offset:1408 ; 4-byte Folded Spill
	s_nop 0
	buffer_store_dword v1, off, s[40:43], 0 offset:1412 ; 4-byte Folded Spill
	buffer_store_dword v2, off, s[40:43], 0 offset:1416 ; 4-byte Folded Spill
	buffer_store_dword v3, off, s[40:43], 0 offset:1420 ; 4-byte Folded Spill
	buffer_store_dword v4, off, s[40:43], 0 offset:1424 ; 4-byte Folded Spill
	buffer_store_dword v5, off, s[40:43], 0 offset:1428 ; 4-byte Folded Spill
	buffer_store_dword v6, off, s[40:43], 0 offset:1432 ; 4-byte Folded Spill
	buffer_store_dword v7, off, s[40:43], 0 offset:1436 ; 4-byte Folded Spill
	buffer_store_dword v8, off, s[40:43], 0 offset:1440 ; 4-byte Folded Spill
	buffer_store_dword v9, off, s[40:43], 0 offset:1444 ; 4-byte Folded Spill
	buffer_store_dword v10, off, s[40:43], 0 offset:1448 ; 4-byte Folded Spill
	buffer_store_dword v11, off, s[40:43], 0 offset:1452 ; 4-byte Folded Spill
	buffer_store_dword v12, off, s[40:43], 0 offset:1456 ; 4-byte Folded Spill
	buffer_store_dword v13, off, s[40:43], 0 offset:1460 ; 4-byte Folded Spill
	buffer_store_dword v14, off, s[40:43], 0 offset:1464 ; 4-byte Folded Spill
	buffer_store_dword v15, off, s[40:43], 0 offset:1468 ; 4-byte Folded Spill
	buffer_store_dword v16, off, s[40:43], 0 offset:1472 ; 4-byte Folded Spill
	buffer_store_dword v17, off, s[40:43], 0 offset:1476 ; 4-byte Folded Spill
	buffer_store_dword v18, off, s[40:43], 0 offset:1480 ; 4-byte Folded Spill
	buffer_store_dword v19, off, s[40:43], 0 offset:1484 ; 4-byte Folded Spill
	buffer_store_dword v20, off, s[40:43], 0 offset:1488 ; 4-byte Folded Spill
	buffer_store_dword v21, off, s[40:43], 0 offset:1492 ; 4-byte Folded Spill
	buffer_store_dword v22, off, s[40:43], 0 offset:1496 ; 4-byte Folded Spill
	buffer_store_dword v23, off, s[40:43], 0 offset:1500 ; 4-byte Folded Spill
	buffer_store_dword v24, off, s[40:43], 0 offset:1504 ; 4-byte Folded Spill
	buffer_store_dword v25, off, s[40:43], 0 offset:1508 ; 4-byte Folded Spill
	buffer_store_dword v26, off, s[40:43], 0 offset:1512 ; 4-byte Folded Spill
	buffer_store_dword v27, off, s[40:43], 0 offset:1516 ; 4-byte Folded Spill
	buffer_store_dword v28, off, s[40:43], 0 offset:1520 ; 4-byte Folded Spill
	buffer_store_dword v29, off, s[40:43], 0 offset:1524 ; 4-byte Folded Spill
	buffer_store_dword v30, off, s[40:43], 0 offset:1528 ; 4-byte Folded Spill
	buffer_store_dword v31, off, s[40:43], 0 offset:1532 ; 4-byte Folded Spill
	;; [unrolled: 36-line block ×8, first 2 shown]
	;;#ASMSTART
	v_pk_mul_f32 v[22:23], v[24:25], v[56:57]
	;;#ASMEND
	buffer_store_dword v0, off, s[40:43], 0 ; 4-byte Folded Spill
	s_nop 0
	buffer_store_dword v1, off, s[40:43], 0 offset:4 ; 4-byte Folded Spill
	buffer_store_dword v2, off, s[40:43], 0 offset:8 ; 4-byte Folded Spill
	;; [unrolled: 1-line block ×31, first 2 shown]
	;;#ASMSTART
	v_pk_mul_f32 v[24:25], v[26:27], v[58:59]
	;;#ASMEND
	buffer_store_dword v0, off, s[40:43], 0 offset:384 ; 4-byte Folded Spill
	s_nop 0
	buffer_store_dword v1, off, s[40:43], 0 offset:388 ; 4-byte Folded Spill
	buffer_store_dword v2, off, s[40:43], 0 offset:392 ; 4-byte Folded Spill
	buffer_store_dword v3, off, s[40:43], 0 offset:396 ; 4-byte Folded Spill
	buffer_store_dword v4, off, s[40:43], 0 offset:400 ; 4-byte Folded Spill
	buffer_store_dword v5, off, s[40:43], 0 offset:404 ; 4-byte Folded Spill
	buffer_store_dword v6, off, s[40:43], 0 offset:408 ; 4-byte Folded Spill
	buffer_store_dword v7, off, s[40:43], 0 offset:412 ; 4-byte Folded Spill
	buffer_store_dword v8, off, s[40:43], 0 offset:416 ; 4-byte Folded Spill
	buffer_store_dword v9, off, s[40:43], 0 offset:420 ; 4-byte Folded Spill
	buffer_store_dword v10, off, s[40:43], 0 offset:424 ; 4-byte Folded Spill
	buffer_store_dword v11, off, s[40:43], 0 offset:428 ; 4-byte Folded Spill
	buffer_store_dword v12, off, s[40:43], 0 offset:432 ; 4-byte Folded Spill
	buffer_store_dword v13, off, s[40:43], 0 offset:436 ; 4-byte Folded Spill
	buffer_store_dword v14, off, s[40:43], 0 offset:440 ; 4-byte Folded Spill
	buffer_store_dword v15, off, s[40:43], 0 offset:444 ; 4-byte Folded Spill
	buffer_store_dword v16, off, s[40:43], 0 offset:448 ; 4-byte Folded Spill
	buffer_store_dword v17, off, s[40:43], 0 offset:452 ; 4-byte Folded Spill
	buffer_store_dword v18, off, s[40:43], 0 offset:456 ; 4-byte Folded Spill
	buffer_store_dword v19, off, s[40:43], 0 offset:460 ; 4-byte Folded Spill
	buffer_store_dword v20, off, s[40:43], 0 offset:464 ; 4-byte Folded Spill
	buffer_store_dword v21, off, s[40:43], 0 offset:468 ; 4-byte Folded Spill
	buffer_store_dword v22, off, s[40:43], 0 offset:472 ; 4-byte Folded Spill
	buffer_store_dword v23, off, s[40:43], 0 offset:476 ; 4-byte Folded Spill
	buffer_store_dword v24, off, s[40:43], 0 offset:480 ; 4-byte Folded Spill
	buffer_store_dword v25, off, s[40:43], 0 offset:484 ; 4-byte Folded Spill
	buffer_store_dword v26, off, s[40:43], 0 offset:488 ; 4-byte Folded Spill
	buffer_store_dword v27, off, s[40:43], 0 offset:492 ; 4-byte Folded Spill
	buffer_store_dword v28, off, s[40:43], 0 offset:496 ; 4-byte Folded Spill
	buffer_store_dword v29, off, s[40:43], 0 offset:500 ; 4-byte Folded Spill
	buffer_store_dword v30, off, s[40:43], 0 offset:504 ; 4-byte Folded Spill
	buffer_store_dword v31, off, s[40:43], 0 offset:508 ; 4-byte Folded Spill
	;;#ASMSTART
	v_pk_mul_f32 v[26:27], v[28:29], v[60:61]
	;;#ASMEND
	buffer_store_dword v0, off, s[40:43], 0 offset:256 ; 4-byte Folded Spill
	s_nop 0
	buffer_store_dword v1, off, s[40:43], 0 offset:260 ; 4-byte Folded Spill
	buffer_store_dword v2, off, s[40:43], 0 offset:264 ; 4-byte Folded Spill
	;; [unrolled: 1-line block ×31, first 2 shown]
	;;#ASMSTART
	v_pk_mul_f32 v[28:29], v[32:33], v[62:63]
	;;#ASMEND
	;;#ASMSTART
	v_pk_mul_f32 v[76:77], v[68:69], v[66:67]
	;;#ASMEND
	s_or_b64 exec, exec, s[28:29]
	s_mov_b64 s[8:9], -1
	s_and_b64 vcc, exec, s[22:23]
	s_cbranch_vccz .LBB83_15
.LBB83_19:
	s_and_saveexec_b64 s[8:9], s[0:1]
	s_cbranch_execz .LBB83_21
; %bb.20:
	buffer_load_dword v30, off, s[40:43], 0 offset:1280 ; 4-byte Folded Reload
	buffer_load_dword v31, off, s[40:43], 0 offset:1284 ; 4-byte Folded Reload
	;; [unrolled: 1-line block ×32, first 2 shown]
	s_mul_hi_i32 s23, s25, s6
	s_mul_i32 s22, s25, s6
	s_lshl_b64 s[22:23], s[22:23], 1
	s_add_u32 s28, s26, s22
	s_addc_u32 s7, s27, s23
	s_and_b32 s29, s7, 0xffff
	s_mov_b32 s31, 0x20000
	s_movk_i32 s7, 0x400
	s_waitcnt vmcnt(26)
	v_pk_mov_b32 v[8:9], v[34:35], v[34:35] op_sel:[0,1]
	buffer_load_dword v30, off, s[40:43], 0 offset:1152 ; 4-byte Folded Reload
	buffer_load_dword v31, off, s[40:43], 0 offset:1156 ; 4-byte Folded Reload
	;; [unrolled: 1-line block ×33, first 2 shown]
	v_cvt_f16_f32_e32 v4, v8
	v_cvt_f16_f32_e32 v8, v9
	s_waitcnt vmcnt(25)
	v_pk_mov_b32 v[6:7], v[36:37], v[36:37] op_sel:[0,1]
	v_cvt_f16_f32_e32 v5, v6
	v_cvt_f16_f32_e32 v6, v7
	v_pack_b32_f16 v7, v5, v6
	v_pack_b32_f16 v6, v4, v8
	v_cvt_f16_f32_e32 v4, v74
	v_cvt_f16_f32_e32 v5, v75
	;; [unrolled: 1-line block ×3, first 2 shown]
	v_pack_b32_f16 v5, v4, v5
	v_cvt_f16_f32_e32 v4, v2
	v_pack_b32_f16 v4, v4, v8
	s_waitcnt vmcnt(0)
	v_lshlrev_b32_e32 v8, 1, v1
	buffer_store_dwordx4 v[4:7], v8, s[28:31], 0 offen
	buffer_load_dword v30, off, s[40:43], 0 offset:640 ; 4-byte Folded Reload
	buffer_load_dword v31, off, s[40:43], 0 offset:644 ; 4-byte Folded Reload
	;; [unrolled: 1-line block ×32, first 2 shown]
	s_waitcnt vmcnt(18)
	v_pk_mov_b32 v[12:13], v[42:43], v[42:43] op_sel:[0,1]
	buffer_load_dword v30, off, s[40:43], 0 offset:512 ; 4-byte Folded Reload
	buffer_load_dword v31, off, s[40:43], 0 offset:516 ; 4-byte Folded Reload
	buffer_load_dword v32, off, s[40:43], 0 offset:520 ; 4-byte Folded Reload
	buffer_load_dword v33, off, s[40:43], 0 offset:524 ; 4-byte Folded Reload
	buffer_load_dword v34, off, s[40:43], 0 offset:528 ; 4-byte Folded Reload
	buffer_load_dword v35, off, s[40:43], 0 offset:532 ; 4-byte Folded Reload
	buffer_load_dword v36, off, s[40:43], 0 offset:536 ; 4-byte Folded Reload
	buffer_load_dword v37, off, s[40:43], 0 offset:540 ; 4-byte Folded Reload
	buffer_load_dword v38, off, s[40:43], 0 offset:544 ; 4-byte Folded Reload
	buffer_load_dword v39, off, s[40:43], 0 offset:548 ; 4-byte Folded Reload
	buffer_load_dword v40, off, s[40:43], 0 offset:552 ; 4-byte Folded Reload
	buffer_load_dword v41, off, s[40:43], 0 offset:556 ; 4-byte Folded Reload
	buffer_load_dword v42, off, s[40:43], 0 offset:560 ; 4-byte Folded Reload
	buffer_load_dword v43, off, s[40:43], 0 offset:564 ; 4-byte Folded Reload
	buffer_load_dword v44, off, s[40:43], 0 offset:568 ; 4-byte Folded Reload
	buffer_load_dword v45, off, s[40:43], 0 offset:572 ; 4-byte Folded Reload
	buffer_load_dword v46, off, s[40:43], 0 offset:576 ; 4-byte Folded Reload
	buffer_load_dword v47, off, s[40:43], 0 offset:580 ; 4-byte Folded Reload
	buffer_load_dword v48, off, s[40:43], 0 offset:584 ; 4-byte Folded Reload
	buffer_load_dword v49, off, s[40:43], 0 offset:588 ; 4-byte Folded Reload
	buffer_load_dword v50, off, s[40:43], 0 offset:592 ; 4-byte Folded Reload
	buffer_load_dword v51, off, s[40:43], 0 offset:596 ; 4-byte Folded Reload
	buffer_load_dword v52, off, s[40:43], 0 offset:600 ; 4-byte Folded Reload
	buffer_load_dword v53, off, s[40:43], 0 offset:604 ; 4-byte Folded Reload
	buffer_load_dword v54, off, s[40:43], 0 offset:608 ; 4-byte Folded Reload
	buffer_load_dword v55, off, s[40:43], 0 offset:612 ; 4-byte Folded Reload
	buffer_load_dword v56, off, s[40:43], 0 offset:616 ; 4-byte Folded Reload
	buffer_load_dword v57, off, s[40:43], 0 offset:620 ; 4-byte Folded Reload
	buffer_load_dword v58, off, s[40:43], 0 offset:624 ; 4-byte Folded Reload
	buffer_load_dword v59, off, s[40:43], 0 offset:628 ; 4-byte Folded Reload
	buffer_load_dword v60, off, s[40:43], 0 offset:632 ; 4-byte Folded Reload
	buffer_load_dword v61, off, s[40:43], 0 offset:636 ; 4-byte Folded Reload
	v_cvt_f16_f32_e32 v4, v12
	v_cvt_f16_f32_e32 v9, v13
	s_waitcnt vmcnt(16)
	v_pk_mov_b32 v[14:15], v[44:45], v[44:45] op_sel:[0,1]
	buffer_load_dword v30, off, s[40:43], 0 offset:1024 ; 4-byte Folded Reload
	buffer_load_dword v31, off, s[40:43], 0 offset:1028 ; 4-byte Folded Reload
	;; [unrolled: 1-line block ×32, first 2 shown]
	v_cvt_f16_f32_e32 v5, v14
	v_cvt_f16_f32_e32 v6, v15
	v_pack_b32_f16 v7, v5, v6
	v_pack_b32_f16 v6, v4, v9
	s_waitcnt vmcnt(20)
	v_pk_mov_b32 v[10:11], v[40:41], v[40:41] op_sel:[0,1]
	buffer_load_dword v30, off, s[40:43], 0 offset:1408 ; 4-byte Folded Reload
	buffer_load_dword v31, off, s[40:43], 0 offset:1412 ; 4-byte Folded Reload
	;; [unrolled: 1-line block ×32, first 2 shown]
	v_cvt_f16_f32_e32 v4, v10
	v_cvt_f16_f32_e32 v5, v11
	;;#ASMSTART
	s_nop 0
	;;#ASMEND
	v_pack_b32_f16 v5, v4, v5
	s_waitcnt vmcnt(22)
	v_pk_mov_b32 v[10:11], v[38:39], v[38:39] op_sel:[0,1]
	v_cvt_f16_f32_e32 v4, v10
	v_cvt_f16_f32_e32 v9, v11
	v_pack_b32_f16 v4, v4, v9
	buffer_store_dwordx4 v[4:7], v8, s[28:31], s7 offen
	buffer_load_dword v30, off, s[40:43], 0 offset:128 ; 4-byte Folded Reload
	buffer_load_dword v31, off, s[40:43], 0 offset:132 ; 4-byte Folded Reload
	;; [unrolled: 1-line block ×32, first 2 shown]
	s_movk_i32 s7, 0x800
	s_waitcnt vmcnt(10)
	v_pk_mov_b32 v[20:21], v[50:51], v[50:51] op_sel:[0,1]
	buffer_load_dword v30, off, s[40:43], 0 ; 4-byte Folded Reload
	buffer_load_dword v31, off, s[40:43], 0 offset:4 ; 4-byte Folded Reload
	buffer_load_dword v32, off, s[40:43], 0 offset:8 ; 4-byte Folded Reload
	;; [unrolled: 1-line block ×31, first 2 shown]
	v_cvt_f16_f32_e32 v4, v20
	v_cvt_f16_f32_e32 v9, v21
	s_waitcnt vmcnt(8)
	v_pk_mov_b32 v[22:23], v[52:53], v[52:53] op_sel:[0,1]
	buffer_load_dword v30, off, s[40:43], 0 offset:768 ; 4-byte Folded Reload
	buffer_load_dword v31, off, s[40:43], 0 offset:772 ; 4-byte Folded Reload
	;; [unrolled: 1-line block ×32, first 2 shown]
	v_cvt_f16_f32_e32 v5, v22
	v_cvt_f16_f32_e32 v6, v23
	v_pack_b32_f16 v7, v5, v6
	v_pack_b32_f16 v6, v4, v9
	s_waitcnt vmcnt(12)
	v_pk_mov_b32 v[18:19], v[48:49], v[48:49] op_sel:[0,1]
	buffer_load_dword v30, off, s[40:43], 0 offset:896 ; 4-byte Folded Reload
	buffer_load_dword v31, off, s[40:43], 0 offset:900 ; 4-byte Folded Reload
	;; [unrolled: 1-line block ×32, first 2 shown]
	v_cvt_f16_f32_e32 v4, v18
	v_cvt_f16_f32_e32 v5, v19
	;;#ASMSTART
	s_nop 0
	;;#ASMEND
	v_pack_b32_f16 v5, v4, v5
	s_waitcnt vmcnt(14)
	v_pk_mov_b32 v[16:17], v[46:47], v[46:47] op_sel:[0,1]
	v_cvt_f16_f32_e32 v4, v16
	v_cvt_f16_f32_e32 v9, v17
	v_pack_b32_f16 v4, v4, v9
	buffer_store_dwordx4 v[4:7], v8, s[28:31], s7 offen
	buffer_load_dword v30, off, s[40:43], 0 offset:256 ; 4-byte Folded Reload
	buffer_load_dword v31, off, s[40:43], 0 offset:260 ; 4-byte Folded Reload
	;; [unrolled: 1-line block ×32, first 2 shown]
	v_cvt_f16_f32_e32 v4, v28
	v_cvt_f16_f32_e32 v5, v76
	;; [unrolled: 1-line block ×4, first 2 shown]
	s_movk_i32 s7, 0xc00
	v_pack_b32_f16 v7, v5, v6
	v_pack_b32_f16 v6, v4, v9
	s_waitcnt vmcnt(4)
	v_pk_mov_b32 v[26:27], v[56:57], v[56:57] op_sel:[0,1]
	buffer_load_dword v30, off, s[40:43], 0 offset:384 ; 4-byte Folded Reload
	buffer_load_dword v31, off, s[40:43], 0 offset:388 ; 4-byte Folded Reload
	;; [unrolled: 1-line block ×32, first 2 shown]
	v_cvt_f16_f32_e32 v4, v26
	v_cvt_f16_f32_e32 v5, v27
	;;#ASMSTART
	s_nop 0
	;;#ASMEND
	v_pack_b32_f16 v5, v4, v5
	s_waitcnt vmcnt(6)
	v_pk_mov_b32 v[24:25], v[54:55], v[54:55] op_sel:[0,1]
	v_cvt_f16_f32_e32 v4, v24
	v_cvt_f16_f32_e32 v9, v25
	v_pack_b32_f16 v4, v4, v9
	buffer_store_dwordx4 v[4:7], v8, s[28:31], s7 offen
	;;#ASMSTART
	s_nop 0
	;;#ASMEND
.LBB83_21:
	s_or_b64 exec, exec, s[8:9]
	s_cbranch_execnz .LBB83_16
.LBB83_22:
	v_mov_b32_e32 v4, 0
	s_and_saveexec_b64 s[8:9], s[0:1]
	s_cbranch_execz .LBB83_24
; %bb.23:
	buffer_load_dword v30, off, s[40:43], 0 offset:1280 ; 4-byte Folded Reload
	buffer_load_dword v31, off, s[40:43], 0 offset:1284 ; 4-byte Folded Reload
	;; [unrolled: 1-line block ×32, first 2 shown]
	s_load_dwordx2 s[22:23], s[4:5], 0x10
	s_mul_hi_i32 s29, s24, s6
	s_mul_i32 s28, s24, s6
	s_lshl_b64 s[28:29], s[28:29], 1
	s_mov_b32 s31, 0x20000
	s_waitcnt lgkmcnt(0)
	s_add_u32 s28, s22, s28
	s_addc_u32 s7, s23, s29
	s_and_b32 s29, s7, 0xffff
	s_movk_i32 s7, 0x400
	s_waitcnt vmcnt(26)
	v_pk_mov_b32 v[8:9], v[34:35], v[34:35] op_sel:[0,1]
	buffer_load_dword v30, off, s[40:43], 0 offset:1152 ; 4-byte Folded Reload
	buffer_load_dword v31, off, s[40:43], 0 offset:1156 ; 4-byte Folded Reload
	;; [unrolled: 1-line block ×33, first 2 shown]
	v_cvt_f16_f32_e32 v4, v8
	v_cvt_f16_f32_e32 v8, v9
	s_waitcnt vmcnt(25)
	v_pk_mov_b32 v[6:7], v[36:37], v[36:37] op_sel:[0,1]
	v_cvt_f16_f32_e32 v5, v6
	v_cvt_f16_f32_e32 v6, v7
	v_pack_b32_f16 v7, v5, v6
	v_pack_b32_f16 v6, v4, v8
	v_cvt_f16_f32_e32 v4, v74
	v_cvt_f16_f32_e32 v5, v75
	;; [unrolled: 1-line block ×3, first 2 shown]
	v_pack_b32_f16 v5, v4, v5
	v_cvt_f16_f32_e32 v4, v2
	v_pack_b32_f16 v4, v4, v8
	s_waitcnt vmcnt(0)
	v_lshlrev_b32_e32 v8, 1, v1
	buffer_store_dwordx4 v[4:7], v8, s[28:31], 0 offen
	buffer_load_dword v30, off, s[40:43], 0 offset:640 ; 4-byte Folded Reload
	buffer_load_dword v31, off, s[40:43], 0 offset:644 ; 4-byte Folded Reload
	;; [unrolled: 1-line block ×32, first 2 shown]
	s_waitcnt vmcnt(18)
	v_pk_mov_b32 v[12:13], v[42:43], v[42:43] op_sel:[0,1]
	buffer_load_dword v30, off, s[40:43], 0 offset:512 ; 4-byte Folded Reload
	buffer_load_dword v31, off, s[40:43], 0 offset:516 ; 4-byte Folded Reload
	;; [unrolled: 1-line block ×32, first 2 shown]
	v_cvt_f16_f32_e32 v4, v12
	v_cvt_f16_f32_e32 v9, v13
	s_waitcnt vmcnt(16)
	v_pk_mov_b32 v[14:15], v[44:45], v[44:45] op_sel:[0,1]
	buffer_load_dword v30, off, s[40:43], 0 offset:1024 ; 4-byte Folded Reload
	buffer_load_dword v31, off, s[40:43], 0 offset:1028 ; 4-byte Folded Reload
	;; [unrolled: 1-line block ×32, first 2 shown]
	v_cvt_f16_f32_e32 v5, v14
	v_cvt_f16_f32_e32 v6, v15
	v_pack_b32_f16 v7, v5, v6
	v_pack_b32_f16 v6, v4, v9
	s_waitcnt vmcnt(20)
	v_pk_mov_b32 v[10:11], v[40:41], v[40:41] op_sel:[0,1]
	buffer_load_dword v30, off, s[40:43], 0 offset:1408 ; 4-byte Folded Reload
	buffer_load_dword v31, off, s[40:43], 0 offset:1412 ; 4-byte Folded Reload
	;; [unrolled: 1-line block ×32, first 2 shown]
	v_cvt_f16_f32_e32 v4, v10
	v_cvt_f16_f32_e32 v5, v11
	;;#ASMSTART
	s_nop 0
	;;#ASMEND
	v_pack_b32_f16 v5, v4, v5
	s_waitcnt vmcnt(22)
	v_pk_mov_b32 v[10:11], v[38:39], v[38:39] op_sel:[0,1]
	v_cvt_f16_f32_e32 v4, v10
	v_cvt_f16_f32_e32 v9, v11
	v_pack_b32_f16 v4, v4, v9
	buffer_store_dwordx4 v[4:7], v8, s[28:31], s7 offen
	buffer_load_dword v30, off, s[40:43], 0 offset:128 ; 4-byte Folded Reload
	buffer_load_dword v31, off, s[40:43], 0 offset:132 ; 4-byte Folded Reload
	;; [unrolled: 1-line block ×32, first 2 shown]
	s_movk_i32 s7, 0x800
	s_waitcnt vmcnt(10)
	v_pk_mov_b32 v[20:21], v[50:51], v[50:51] op_sel:[0,1]
	buffer_load_dword v30, off, s[40:43], 0 ; 4-byte Folded Reload
	buffer_load_dword v31, off, s[40:43], 0 offset:4 ; 4-byte Folded Reload
	buffer_load_dword v32, off, s[40:43], 0 offset:8 ; 4-byte Folded Reload
	;; [unrolled: 1-line block ×31, first 2 shown]
	v_cvt_f16_f32_e32 v4, v20
	v_cvt_f16_f32_e32 v9, v21
	s_waitcnt vmcnt(8)
	v_pk_mov_b32 v[22:23], v[52:53], v[52:53] op_sel:[0,1]
	buffer_load_dword v30, off, s[40:43], 0 offset:768 ; 4-byte Folded Reload
	buffer_load_dword v31, off, s[40:43], 0 offset:772 ; 4-byte Folded Reload
	;; [unrolled: 1-line block ×32, first 2 shown]
	v_cvt_f16_f32_e32 v5, v22
	v_cvt_f16_f32_e32 v6, v23
	v_pack_b32_f16 v7, v5, v6
	v_pack_b32_f16 v6, v4, v9
	s_waitcnt vmcnt(12)
	v_pk_mov_b32 v[18:19], v[48:49], v[48:49] op_sel:[0,1]
	buffer_load_dword v30, off, s[40:43], 0 offset:896 ; 4-byte Folded Reload
	buffer_load_dword v31, off, s[40:43], 0 offset:900 ; 4-byte Folded Reload
	;; [unrolled: 1-line block ×32, first 2 shown]
	v_cvt_f16_f32_e32 v4, v18
	v_cvt_f16_f32_e32 v5, v19
	;;#ASMSTART
	s_nop 0
	;;#ASMEND
	v_pack_b32_f16 v5, v4, v5
	s_waitcnt vmcnt(14)
	v_pk_mov_b32 v[16:17], v[46:47], v[46:47] op_sel:[0,1]
	v_cvt_f16_f32_e32 v4, v16
	v_cvt_f16_f32_e32 v9, v17
	v_pack_b32_f16 v4, v4, v9
	buffer_store_dwordx4 v[4:7], v8, s[28:31], s7 offen
	buffer_load_dword v30, off, s[40:43], 0 offset:256 ; 4-byte Folded Reload
	buffer_load_dword v31, off, s[40:43], 0 offset:260 ; 4-byte Folded Reload
	buffer_load_dword v32, off, s[40:43], 0 offset:264 ; 4-byte Folded Reload
	buffer_load_dword v33, off, s[40:43], 0 offset:268 ; 4-byte Folded Reload
	buffer_load_dword v34, off, s[40:43], 0 offset:272 ; 4-byte Folded Reload
	buffer_load_dword v35, off, s[40:43], 0 offset:276 ; 4-byte Folded Reload
	buffer_load_dword v36, off, s[40:43], 0 offset:280 ; 4-byte Folded Reload
	buffer_load_dword v37, off, s[40:43], 0 offset:284 ; 4-byte Folded Reload
	buffer_load_dword v38, off, s[40:43], 0 offset:288 ; 4-byte Folded Reload
	buffer_load_dword v39, off, s[40:43], 0 offset:292 ; 4-byte Folded Reload
	buffer_load_dword v40, off, s[40:43], 0 offset:296 ; 4-byte Folded Reload
	buffer_load_dword v41, off, s[40:43], 0 offset:300 ; 4-byte Folded Reload
	buffer_load_dword v42, off, s[40:43], 0 offset:304 ; 4-byte Folded Reload
	buffer_load_dword v43, off, s[40:43], 0 offset:308 ; 4-byte Folded Reload
	buffer_load_dword v44, off, s[40:43], 0 offset:312 ; 4-byte Folded Reload
	buffer_load_dword v45, off, s[40:43], 0 offset:316 ; 4-byte Folded Reload
	buffer_load_dword v46, off, s[40:43], 0 offset:320 ; 4-byte Folded Reload
	buffer_load_dword v47, off, s[40:43], 0 offset:324 ; 4-byte Folded Reload
	buffer_load_dword v48, off, s[40:43], 0 offset:328 ; 4-byte Folded Reload
	buffer_load_dword v49, off, s[40:43], 0 offset:332 ; 4-byte Folded Reload
	buffer_load_dword v50, off, s[40:43], 0 offset:336 ; 4-byte Folded Reload
	buffer_load_dword v51, off, s[40:43], 0 offset:340 ; 4-byte Folded Reload
	buffer_load_dword v52, off, s[40:43], 0 offset:344 ; 4-byte Folded Reload
	buffer_load_dword v53, off, s[40:43], 0 offset:348 ; 4-byte Folded Reload
	buffer_load_dword v54, off, s[40:43], 0 offset:352 ; 4-byte Folded Reload
	buffer_load_dword v55, off, s[40:43], 0 offset:356 ; 4-byte Folded Reload
	buffer_load_dword v56, off, s[40:43], 0 offset:360 ; 4-byte Folded Reload
	buffer_load_dword v57, off, s[40:43], 0 offset:364 ; 4-byte Folded Reload
	buffer_load_dword v58, off, s[40:43], 0 offset:368 ; 4-byte Folded Reload
	buffer_load_dword v59, off, s[40:43], 0 offset:372 ; 4-byte Folded Reload
	buffer_load_dword v60, off, s[40:43], 0 offset:376 ; 4-byte Folded Reload
	buffer_load_dword v61, off, s[40:43], 0 offset:380 ; 4-byte Folded Reload
	v_cvt_f16_f32_e32 v4, v28
	v_cvt_f16_f32_e32 v5, v76
	;; [unrolled: 1-line block ×4, first 2 shown]
	s_movk_i32 s7, 0xc00
	v_pack_b32_f16 v7, v5, v6
	v_pack_b32_f16 v6, v4, v9
	s_waitcnt vmcnt(4)
	v_pk_mov_b32 v[26:27], v[56:57], v[56:57] op_sel:[0,1]
	buffer_load_dword v30, off, s[40:43], 0 offset:384 ; 4-byte Folded Reload
	buffer_load_dword v31, off, s[40:43], 0 offset:388 ; 4-byte Folded Reload
	;; [unrolled: 1-line block ×32, first 2 shown]
	v_cvt_f16_f32_e32 v4, v26
	v_cvt_f16_f32_e32 v5, v27
	;;#ASMSTART
	s_nop 0
	;;#ASMEND
	v_pack_b32_f16 v5, v4, v5
	s_waitcnt vmcnt(6)
	v_pk_mov_b32 v[24:25], v[54:55], v[54:55] op_sel:[0,1]
	v_cvt_f16_f32_e32 v4, v24
	v_cvt_f16_f32_e32 v9, v25
	v_pack_b32_f16 v4, v4, v9
	buffer_store_dwordx4 v[4:7], v8, s[28:31], s7 offen
	v_mov_b32_e32 v4, 0x2edbe6ff
	;;#ASMSTART
	s_nop 0
	;;#ASMEND
.LBB83_24:
	s_or_b64 exec, exec, s[8:9]
	s_and_saveexec_b64 s[8:9], s[0:1]
	s_cbranch_execz .LBB83_26
; %bb.25:
	v_and_b32_e32 v5, 0x7fffffff, v2
	v_and_b32_e32 v6, 0x7fffffff, v3
	;;#ASMSTART
	v_max3_f32 v4, v4, v5, v6

	;;#ASMEND
	v_and_b32_e32 v5, 0x7fffffff, v74
	v_and_b32_e32 v6, 0x7fffffff, v75
	;;#ASMSTART
	v_max3_f32 v4, v4, v5, v6

	;;#ASMEND
	buffer_load_dword v30, off, s[40:43], 0 offset:1280 ; 4-byte Folded Reload
	buffer_load_dword v31, off, s[40:43], 0 offset:1284 ; 4-byte Folded Reload
	buffer_load_dword v32, off, s[40:43], 0 offset:1288 ; 4-byte Folded Reload
	buffer_load_dword v33, off, s[40:43], 0 offset:1292 ; 4-byte Folded Reload
	buffer_load_dword v34, off, s[40:43], 0 offset:1296 ; 4-byte Folded Reload
	buffer_load_dword v35, off, s[40:43], 0 offset:1300 ; 4-byte Folded Reload
	buffer_load_dword v36, off, s[40:43], 0 offset:1304 ; 4-byte Folded Reload
	buffer_load_dword v37, off, s[40:43], 0 offset:1308 ; 4-byte Folded Reload
	buffer_load_dword v38, off, s[40:43], 0 offset:1312 ; 4-byte Folded Reload
	buffer_load_dword v39, off, s[40:43], 0 offset:1316 ; 4-byte Folded Reload
	buffer_load_dword v40, off, s[40:43], 0 offset:1320 ; 4-byte Folded Reload
	buffer_load_dword v41, off, s[40:43], 0 offset:1324 ; 4-byte Folded Reload
	buffer_load_dword v42, off, s[40:43], 0 offset:1328 ; 4-byte Folded Reload
	buffer_load_dword v43, off, s[40:43], 0 offset:1332 ; 4-byte Folded Reload
	buffer_load_dword v44, off, s[40:43], 0 offset:1336 ; 4-byte Folded Reload
	buffer_load_dword v45, off, s[40:43], 0 offset:1340 ; 4-byte Folded Reload
	buffer_load_dword v46, off, s[40:43], 0 offset:1344 ; 4-byte Folded Reload
	buffer_load_dword v47, off, s[40:43], 0 offset:1348 ; 4-byte Folded Reload
	buffer_load_dword v48, off, s[40:43], 0 offset:1352 ; 4-byte Folded Reload
	buffer_load_dword v49, off, s[40:43], 0 offset:1356 ; 4-byte Folded Reload
	buffer_load_dword v50, off, s[40:43], 0 offset:1360 ; 4-byte Folded Reload
	buffer_load_dword v51, off, s[40:43], 0 offset:1364 ; 4-byte Folded Reload
	buffer_load_dword v52, off, s[40:43], 0 offset:1368 ; 4-byte Folded Reload
	buffer_load_dword v53, off, s[40:43], 0 offset:1372 ; 4-byte Folded Reload
	buffer_load_dword v54, off, s[40:43], 0 offset:1376 ; 4-byte Folded Reload
	buffer_load_dword v55, off, s[40:43], 0 offset:1380 ; 4-byte Folded Reload
	buffer_load_dword v56, off, s[40:43], 0 offset:1384 ; 4-byte Folded Reload
	buffer_load_dword v57, off, s[40:43], 0 offset:1388 ; 4-byte Folded Reload
	buffer_load_dword v58, off, s[40:43], 0 offset:1392 ; 4-byte Folded Reload
	buffer_load_dword v59, off, s[40:43], 0 offset:1396 ; 4-byte Folded Reload
	buffer_load_dword v60, off, s[40:43], 0 offset:1400 ; 4-byte Folded Reload
	buffer_load_dword v61, off, s[40:43], 0 offset:1404 ; 4-byte Folded Reload
	s_waitcnt vmcnt(26)
	v_pk_mov_b32 v[6:7], v[34:35], v[34:35] op_sel:[0,1]
	v_and_b32_e32 v5, 0x7fffffff, v6
	v_and_b32_e32 v6, 0x7fffffff, v7
	;;#ASMSTART
	v_max3_f32 v4, v4, v5, v6

	;;#ASMEND
	buffer_load_dword v30, off, s[40:43], 0 offset:1152 ; 4-byte Folded Reload
	buffer_load_dword v31, off, s[40:43], 0 offset:1156 ; 4-byte Folded Reload
	buffer_load_dword v32, off, s[40:43], 0 offset:1160 ; 4-byte Folded Reload
	buffer_load_dword v33, off, s[40:43], 0 offset:1164 ; 4-byte Folded Reload
	buffer_load_dword v34, off, s[40:43], 0 offset:1168 ; 4-byte Folded Reload
	buffer_load_dword v35, off, s[40:43], 0 offset:1172 ; 4-byte Folded Reload
	buffer_load_dword v36, off, s[40:43], 0 offset:1176 ; 4-byte Folded Reload
	buffer_load_dword v37, off, s[40:43], 0 offset:1180 ; 4-byte Folded Reload
	buffer_load_dword v38, off, s[40:43], 0 offset:1184 ; 4-byte Folded Reload
	buffer_load_dword v39, off, s[40:43], 0 offset:1188 ; 4-byte Folded Reload
	buffer_load_dword v40, off, s[40:43], 0 offset:1192 ; 4-byte Folded Reload
	buffer_load_dword v41, off, s[40:43], 0 offset:1196 ; 4-byte Folded Reload
	buffer_load_dword v42, off, s[40:43], 0 offset:1200 ; 4-byte Folded Reload
	buffer_load_dword v43, off, s[40:43], 0 offset:1204 ; 4-byte Folded Reload
	buffer_load_dword v44, off, s[40:43], 0 offset:1208 ; 4-byte Folded Reload
	buffer_load_dword v45, off, s[40:43], 0 offset:1212 ; 4-byte Folded Reload
	buffer_load_dword v46, off, s[40:43], 0 offset:1216 ; 4-byte Folded Reload
	buffer_load_dword v47, off, s[40:43], 0 offset:1220 ; 4-byte Folded Reload
	buffer_load_dword v48, off, s[40:43], 0 offset:1224 ; 4-byte Folded Reload
	buffer_load_dword v49, off, s[40:43], 0 offset:1228 ; 4-byte Folded Reload
	buffer_load_dword v50, off, s[40:43], 0 offset:1232 ; 4-byte Folded Reload
	buffer_load_dword v51, off, s[40:43], 0 offset:1236 ; 4-byte Folded Reload
	buffer_load_dword v52, off, s[40:43], 0 offset:1240 ; 4-byte Folded Reload
	buffer_load_dword v53, off, s[40:43], 0 offset:1244 ; 4-byte Folded Reload
	buffer_load_dword v54, off, s[40:43], 0 offset:1248 ; 4-byte Folded Reload
	buffer_load_dword v55, off, s[40:43], 0 offset:1252 ; 4-byte Folded Reload
	buffer_load_dword v56, off, s[40:43], 0 offset:1256 ; 4-byte Folded Reload
	buffer_load_dword v57, off, s[40:43], 0 offset:1260 ; 4-byte Folded Reload
	buffer_load_dword v58, off, s[40:43], 0 offset:1264 ; 4-byte Folded Reload
	buffer_load_dword v59, off, s[40:43], 0 offset:1268 ; 4-byte Folded Reload
	buffer_load_dword v60, off, s[40:43], 0 offset:1272 ; 4-byte Folded Reload
	buffer_load_dword v61, off, s[40:43], 0 offset:1276 ; 4-byte Folded Reload
	s_waitcnt vmcnt(24)
	v_pk_mov_b32 v[6:7], v[36:37], v[36:37] op_sel:[0,1]
	;; [unrolled: 40-line block ×9, first 2 shown]
	v_and_b32_e32 v5, 0x7fffffff, v20
	v_and_b32_e32 v6, 0x7fffffff, v21
	;;#ASMSTART
	v_max3_f32 v4, v4, v5, v6

	;;#ASMEND
	buffer_load_dword v30, off, s[40:43], 0 ; 4-byte Folded Reload
	buffer_load_dword v31, off, s[40:43], 0 offset:4 ; 4-byte Folded Reload
	buffer_load_dword v32, off, s[40:43], 0 offset:8 ; 4-byte Folded Reload
	;; [unrolled: 1-line block ×31, first 2 shown]
	s_waitcnt vmcnt(8)
	v_pk_mov_b32 v[22:23], v[52:53], v[52:53] op_sel:[0,1]
	v_and_b32_e32 v5, 0x7fffffff, v22
	v_and_b32_e32 v6, 0x7fffffff, v23
	;;#ASMSTART
	v_max3_f32 v4, v4, v5, v6

	;;#ASMEND
	buffer_load_dword v30, off, s[40:43], 0 offset:384 ; 4-byte Folded Reload
	buffer_load_dword v31, off, s[40:43], 0 offset:388 ; 4-byte Folded Reload
	;; [unrolled: 1-line block ×32, first 2 shown]
	s_waitcnt vmcnt(6)
	v_pk_mov_b32 v[24:25], v[54:55], v[54:55] op_sel:[0,1]
	v_and_b32_e32 v5, 0x7fffffff, v24
	v_and_b32_e32 v6, 0x7fffffff, v25
	;;#ASMSTART
	v_max3_f32 v4, v4, v5, v6

	;;#ASMEND
	buffer_load_dword v30, off, s[40:43], 0 offset:256 ; 4-byte Folded Reload
	buffer_load_dword v31, off, s[40:43], 0 offset:260 ; 4-byte Folded Reload
	;; [unrolled: 1-line block ×32, first 2 shown]
	s_waitcnt vmcnt(4)
	v_pk_mov_b32 v[26:27], v[56:57], v[56:57] op_sel:[0,1]
	v_and_b32_e32 v5, 0x7fffffff, v26
	v_and_b32_e32 v6, 0x7fffffff, v27
	;;#ASMSTART
	v_max3_f32 v4, v4, v5, v6

	;;#ASMEND
	v_and_b32_e32 v5, 0x7fffffff, v28
	v_and_b32_e32 v6, 0x7fffffff, v29
	;;#ASMSTART
	v_max3_f32 v4, v4, v5, v6

	;;#ASMEND
	;; [unrolled: 6-line block ×3, first 2 shown]
.LBB83_26:
	s_or_b64 exec, exec, s[8:9]
	s_nop 0
	v_mov_b32_dpp v5, v4 quad_perm:[1,0,3,2] row_mask:0xf bank_mask:0xf
	v_cmp_gt_f32_e32 vcc, v4, v5
	v_cndmask_b32_e32 v4, v5, v4, vcc
	s_nop 1
	v_mov_b32_dpp v5, v4 quad_perm:[2,3,0,1] row_mask:0xf bank_mask:0xf
	v_cmp_gt_f32_e32 vcc, v4, v5
	v_cndmask_b32_e32 v4, v5, v4, vcc
	s_nop 1
	v_mov_b32_dpp v5, v4 row_half_mirror row_mask:0xf bank_mask:0xf
	v_cmp_gt_f32_e32 vcc, v4, v5
	v_cndmask_b32_e32 v4, v5, v4, vcc
	s_nop 1
	v_mov_b32_dpp v5, v4 row_mirror row_mask:0xf bank_mask:0xf
	v_cmp_gt_f32_e32 vcc, v4, v5
	v_cndmask_b32_e32 v4, v5, v4, vcc
	s_nop 1
	v_mov_b32_dpp v5, v4 row_bcast:15 row_mask:0xf bank_mask:0xf
	v_cmp_gt_f32_e32 vcc, v4, v5
	v_cndmask_b32_e32 v4, v5, v4, vcc
	s_nop 1
	v_mov_b32_dpp v5, v4 row_bcast:31 row_mask:0xf bank_mask:0xf
	s_and_saveexec_b64 s[8:9], s[2:3]
	s_cbranch_execz .LBB83_28
; %bb.27:
	v_cmp_gt_f32_e32 vcc, v4, v5
	v_cndmask_b32_e32 v4, v5, v4, vcc
	v_lshrrev_b32_e32 v5, 4, v0
	v_and_b32_e32 v5, 60, v5
	ds_write_b32 v5, v4
.LBB83_28:
	s_or_b64 exec, exec, s[8:9]
	s_waitcnt lgkmcnt(0)
	s_barrier
	ds_read_b32 v4, v70
	s_waitcnt lgkmcnt(0)
	s_nop 0
	v_mov_b32_dpp v5, v4 quad_perm:[1,0,3,2] row_mask:0xf bank_mask:0xf
	v_cmp_gt_f32_e32 vcc, v4, v5
	v_cndmask_b32_e32 v4, v5, v4, vcc
	s_nop 1
	v_mov_b32_dpp v5, v4 quad_perm:[2,3,0,1] row_mask:0xf bank_mask:0xf
	v_cmp_gt_f32_e32 vcc, v4, v5
	v_cndmask_b32_e32 v4, v5, v4, vcc
	v_mul_f32_e32 v4, 0x3b124925, v4
	v_cmp_eq_u32_e32 vcc, 0, v0
	s_and_saveexec_b64 s[8:9], vcc
	s_cbranch_execz .LBB83_30
; %bb.29:
	s_load_dwordx2 s[22:23], s[4:5], 0x8
	s_mul_hi_i32 s29, s11, s6
	s_mul_i32 s28, s11, s6
	s_lshl_b64 s[28:29], s[28:29], 2
	v_mov_b32_e32 v5, 0
	s_waitcnt lgkmcnt(0)
	s_add_u32 s22, s22, s28
	s_addc_u32 s23, s23, s29
	global_store_dword v5, v4, s[22:23]
.LBB83_30:
	s_or_b64 exec, exec, s[8:9]
	;;#ASMSTART
	v_rcp_f32 v4, v4
	;;#ASMEND
	s_and_saveexec_b64 s[22:23], s[0:1]
	s_cbranch_execz .LBB83_32
; %bb.31:
	v_mov_b32_e32 v5, v4
	;;#ASMSTART
	v_pk_mul_f32 v[2:3], v[2:3], v[4:5]
	;;#ASMEND
	v_mov_b32_e32 v8, 0xc3e00000
	v_mov_b32_e32 v9, 0x43e00000
	;;#ASMSTART
	v_med3_f32 v2, v2, v8, v9
v_med3_f32 v3, v3, v8, v9
v_cvt_pk_fp8_f32 v6, v2, v3
	;;#ASMEND
	;;#ASMSTART
	v_pk_mul_f32 v[2:3], v[74:75], v[4:5]
	;;#ASMEND
	;;#ASMSTART
	v_med3_f32 v2, v2, v8, v9
v_med3_f32 v3, v3, v8, v9
v_cvt_pk_fp8_f32 v7, v2, v3
	;;#ASMEND
	buffer_load_dword v30, off, s[40:43], 0 offset:1280 ; 4-byte Folded Reload
	buffer_load_dword v31, off, s[40:43], 0 offset:1284 ; 4-byte Folded Reload
	;; [unrolled: 1-line block ×32, first 2 shown]
	s_load_dwordx2 s[0:1], s[4:5], 0x0
	s_mul_i32 s8, s10, s6
	s_mov_b32 s7, 0x5040100
	s_mul_hi_i32 s9, s10, s6
	s_movk_i32 s12, 0xff
	s_waitcnt lgkmcnt(0)
	s_add_u32 s8, s0, s8
	s_addc_u32 s0, s1, s9
	s_add_i32 s1, s15, 3
	s_ashr_i32 s9, s1, 31
	s_mov_b32 s14, 0xffff
	s_lshr_b32 s9, s9, 30
	s_add_i32 s1, s1, s9
	s_and_b32 s10, s1, -4
	s_and_b32 s9, s0, 0xffff
	s_mov_b32 s11, 0x20000
	s_movk_i32 s0, 0x200
	s_waitcnt vmcnt(26)
	;;#ASMSTART
	v_pk_mul_f32 v[2:3], v[34:35], v[4:5]
	;;#ASMEND
	;;#ASMSTART
	v_med3_f32 v2, v2, v8, v9
v_med3_f32 v3, v3, v8, v9
v_cvt_pk_fp8_f32 v10, v2, v3
	;;#ASMEND
	buffer_load_dword v30, off, s[40:43], 0 offset:1152 ; 4-byte Folded Reload
	buffer_load_dword v31, off, s[40:43], 0 offset:1156 ; 4-byte Folded Reload
	;; [unrolled: 1-line block ×32, first 2 shown]
	s_waitcnt vmcnt(24)
	;;#ASMSTART
	v_pk_mul_f32 v[2:3], v[36:37], v[4:5]
	;;#ASMEND
	;;#ASMSTART
	v_med3_f32 v2, v2, v8, v9
v_med3_f32 v3, v3, v8, v9
v_cvt_pk_fp8_f32 v11, v2, v3
	;;#ASMEND
	buffer_load_dword v12, off, s[40:43], 0 offset:1536 ; 4-byte Folded Reload
	v_perm_b32 v2, v7, v6, s7
	v_and_b32_e32 v3, 0xffffff00, v7
	v_and_b32_sdwa v6, v2, s12 dst_sel:DWORD dst_unused:UNUSED_PAD src0_sel:WORD_1 src1_sel:DWORD
	v_or_b32_sdwa v3, v6, v3 dst_sel:WORD_1 dst_unused:UNUSED_PAD src0_sel:DWORD src1_sel:DWORD
	v_and_or_b32 v2, v2, s14, v3
	v_lshlrev_b32_e32 v3, 16, v11
	v_and_or_b32 v3, v10, s14, v3
	s_waitcnt vmcnt(0)
	buffer_store_dwordx2 v[2:3], v12, s[8:11], 0 offen
	;;#ASMSTART
	s_nop 0
	;;#ASMEND
	buffer_load_dword v30, off, s[40:43], 0 offset:1408 ; 4-byte Folded Reload
	buffer_load_dword v31, off, s[40:43], 0 offset:1412 ; 4-byte Folded Reload
	buffer_load_dword v32, off, s[40:43], 0 offset:1416 ; 4-byte Folded Reload
	buffer_load_dword v33, off, s[40:43], 0 offset:1420 ; 4-byte Folded Reload
	buffer_load_dword v34, off, s[40:43], 0 offset:1424 ; 4-byte Folded Reload
	buffer_load_dword v35, off, s[40:43], 0 offset:1428 ; 4-byte Folded Reload
	buffer_load_dword v36, off, s[40:43], 0 offset:1432 ; 4-byte Folded Reload
	buffer_load_dword v37, off, s[40:43], 0 offset:1436 ; 4-byte Folded Reload
	buffer_load_dword v38, off, s[40:43], 0 offset:1440 ; 4-byte Folded Reload
	buffer_load_dword v39, off, s[40:43], 0 offset:1444 ; 4-byte Folded Reload
	buffer_load_dword v40, off, s[40:43], 0 offset:1448 ; 4-byte Folded Reload
	buffer_load_dword v41, off, s[40:43], 0 offset:1452 ; 4-byte Folded Reload
	buffer_load_dword v42, off, s[40:43], 0 offset:1456 ; 4-byte Folded Reload
	buffer_load_dword v43, off, s[40:43], 0 offset:1460 ; 4-byte Folded Reload
	buffer_load_dword v44, off, s[40:43], 0 offset:1464 ; 4-byte Folded Reload
	buffer_load_dword v45, off, s[40:43], 0 offset:1468 ; 4-byte Folded Reload
	buffer_load_dword v46, off, s[40:43], 0 offset:1472 ; 4-byte Folded Reload
	buffer_load_dword v47, off, s[40:43], 0 offset:1476 ; 4-byte Folded Reload
	buffer_load_dword v48, off, s[40:43], 0 offset:1480 ; 4-byte Folded Reload
	buffer_load_dword v49, off, s[40:43], 0 offset:1484 ; 4-byte Folded Reload
	buffer_load_dword v50, off, s[40:43], 0 offset:1488 ; 4-byte Folded Reload
	buffer_load_dword v51, off, s[40:43], 0 offset:1492 ; 4-byte Folded Reload
	buffer_load_dword v52, off, s[40:43], 0 offset:1496 ; 4-byte Folded Reload
	buffer_load_dword v53, off, s[40:43], 0 offset:1500 ; 4-byte Folded Reload
	buffer_load_dword v54, off, s[40:43], 0 offset:1504 ; 4-byte Folded Reload
	buffer_load_dword v55, off, s[40:43], 0 offset:1508 ; 4-byte Folded Reload
	buffer_load_dword v56, off, s[40:43], 0 offset:1512 ; 4-byte Folded Reload
	buffer_load_dword v57, off, s[40:43], 0 offset:1516 ; 4-byte Folded Reload
	buffer_load_dword v58, off, s[40:43], 0 offset:1520 ; 4-byte Folded Reload
	buffer_load_dword v59, off, s[40:43], 0 offset:1524 ; 4-byte Folded Reload
	buffer_load_dword v60, off, s[40:43], 0 offset:1528 ; 4-byte Folded Reload
	buffer_load_dword v61, off, s[40:43], 0 offset:1532 ; 4-byte Folded Reload
	s_waitcnt vmcnt(22)
	;;#ASMSTART
	v_pk_mul_f32 v[2:3], v[38:39], v[4:5]
	;;#ASMEND
	;;#ASMSTART
	v_med3_f32 v2, v2, v8, v9
v_med3_f32 v3, v3, v8, v9
v_cvt_pk_fp8_f32 v6, v2, v3
	;;#ASMEND
	buffer_load_dword v30, off, s[40:43], 0 offset:1024 ; 4-byte Folded Reload
	buffer_load_dword v31, off, s[40:43], 0 offset:1028 ; 4-byte Folded Reload
	buffer_load_dword v32, off, s[40:43], 0 offset:1032 ; 4-byte Folded Reload
	buffer_load_dword v33, off, s[40:43], 0 offset:1036 ; 4-byte Folded Reload
	buffer_load_dword v34, off, s[40:43], 0 offset:1040 ; 4-byte Folded Reload
	buffer_load_dword v35, off, s[40:43], 0 offset:1044 ; 4-byte Folded Reload
	buffer_load_dword v36, off, s[40:43], 0 offset:1048 ; 4-byte Folded Reload
	buffer_load_dword v37, off, s[40:43], 0 offset:1052 ; 4-byte Folded Reload
	buffer_load_dword v38, off, s[40:43], 0 offset:1056 ; 4-byte Folded Reload
	buffer_load_dword v39, off, s[40:43], 0 offset:1060 ; 4-byte Folded Reload
	buffer_load_dword v40, off, s[40:43], 0 offset:1064 ; 4-byte Folded Reload
	buffer_load_dword v41, off, s[40:43], 0 offset:1068 ; 4-byte Folded Reload
	buffer_load_dword v42, off, s[40:43], 0 offset:1072 ; 4-byte Folded Reload
	buffer_load_dword v43, off, s[40:43], 0 offset:1076 ; 4-byte Folded Reload
	buffer_load_dword v44, off, s[40:43], 0 offset:1080 ; 4-byte Folded Reload
	buffer_load_dword v45, off, s[40:43], 0 offset:1084 ; 4-byte Folded Reload
	buffer_load_dword v46, off, s[40:43], 0 offset:1088 ; 4-byte Folded Reload
	buffer_load_dword v47, off, s[40:43], 0 offset:1092 ; 4-byte Folded Reload
	buffer_load_dword v48, off, s[40:43], 0 offset:1096 ; 4-byte Folded Reload
	buffer_load_dword v49, off, s[40:43], 0 offset:1100 ; 4-byte Folded Reload
	buffer_load_dword v50, off, s[40:43], 0 offset:1104 ; 4-byte Folded Reload
	buffer_load_dword v51, off, s[40:43], 0 offset:1108 ; 4-byte Folded Reload
	buffer_load_dword v52, off, s[40:43], 0 offset:1112 ; 4-byte Folded Reload
	buffer_load_dword v53, off, s[40:43], 0 offset:1116 ; 4-byte Folded Reload
	buffer_load_dword v54, off, s[40:43], 0 offset:1120 ; 4-byte Folded Reload
	buffer_load_dword v55, off, s[40:43], 0 offset:1124 ; 4-byte Folded Reload
	buffer_load_dword v56, off, s[40:43], 0 offset:1128 ; 4-byte Folded Reload
	buffer_load_dword v57, off, s[40:43], 0 offset:1132 ; 4-byte Folded Reload
	buffer_load_dword v58, off, s[40:43], 0 offset:1136 ; 4-byte Folded Reload
	buffer_load_dword v59, off, s[40:43], 0 offset:1140 ; 4-byte Folded Reload
	buffer_load_dword v60, off, s[40:43], 0 offset:1144 ; 4-byte Folded Reload
	buffer_load_dword v61, off, s[40:43], 0 offset:1148 ; 4-byte Folded Reload
	s_waitcnt vmcnt(20)
	;;#ASMSTART
	v_pk_mul_f32 v[2:3], v[40:41], v[4:5]
	;;#ASMEND
	;;#ASMSTART
	v_med3_f32 v2, v2, v8, v9
v_med3_f32 v3, v3, v8, v9
v_cvt_pk_fp8_f32 v7, v2, v3
	;; [unrolled: 41-line block ×4, first 2 shown]
	;;#ASMEND
	v_perm_b32 v2, v7, v6, s7
	v_and_b32_e32 v3, 0xffffff00, v7
	v_and_b32_sdwa v6, v2, s12 dst_sel:DWORD dst_unused:UNUSED_PAD src0_sel:WORD_1 src1_sel:DWORD
	v_or_b32_sdwa v3, v6, v3 dst_sel:WORD_1 dst_unused:UNUSED_PAD src0_sel:DWORD src1_sel:DWORD
	v_and_or_b32 v2, v2, s14, v3
	v_lshlrev_b32_e32 v3, 16, v11
	v_and_or_b32 v3, v10, s14, v3
	buffer_store_dwordx2 v[2:3], v12, s[8:11], s0 offen
	;;#ASMSTART
	s_nop 0
	;;#ASMEND
	buffer_load_dword v30, off, s[40:43], 0 offset:896 ; 4-byte Folded Reload
	buffer_load_dword v31, off, s[40:43], 0 offset:900 ; 4-byte Folded Reload
	;; [unrolled: 1-line block ×32, first 2 shown]
	s_movk_i32 s0, 0x400
	s_waitcnt vmcnt(14)
	;;#ASMSTART
	v_pk_mul_f32 v[2:3], v[46:47], v[4:5]
	;;#ASMEND
	;;#ASMSTART
	v_med3_f32 v2, v2, v8, v9
v_med3_f32 v3, v3, v8, v9
v_cvt_pk_fp8_f32 v6, v2, v3
	;;#ASMEND
	buffer_load_dword v30, off, s[40:43], 0 offset:768 ; 4-byte Folded Reload
	buffer_load_dword v31, off, s[40:43], 0 offset:772 ; 4-byte Folded Reload
	;; [unrolled: 1-line block ×32, first 2 shown]
	s_waitcnt vmcnt(12)
	;;#ASMSTART
	v_pk_mul_f32 v[2:3], v[48:49], v[4:5]
	;;#ASMEND
	;;#ASMSTART
	v_med3_f32 v2, v2, v8, v9
v_med3_f32 v3, v3, v8, v9
v_cvt_pk_fp8_f32 v7, v2, v3
	;;#ASMEND
	buffer_load_dword v30, off, s[40:43], 0 offset:128 ; 4-byte Folded Reload
	buffer_load_dword v31, off, s[40:43], 0 offset:132 ; 4-byte Folded Reload
	;; [unrolled: 1-line block ×32, first 2 shown]
	s_waitcnt vmcnt(10)
	;;#ASMSTART
	v_pk_mul_f32 v[2:3], v[50:51], v[4:5]
	;;#ASMEND
	;;#ASMSTART
	v_med3_f32 v2, v2, v8, v9
v_med3_f32 v3, v3, v8, v9
v_cvt_pk_fp8_f32 v10, v2, v3
	;;#ASMEND
	buffer_load_dword v30, off, s[40:43], 0 ; 4-byte Folded Reload
	buffer_load_dword v31, off, s[40:43], 0 offset:4 ; 4-byte Folded Reload
	buffer_load_dword v32, off, s[40:43], 0 offset:8 ; 4-byte Folded Reload
	;; [unrolled: 1-line block ×31, first 2 shown]
	s_waitcnt vmcnt(8)
	;;#ASMSTART
	v_pk_mul_f32 v[2:3], v[52:53], v[4:5]
	;;#ASMEND
	;;#ASMSTART
	v_med3_f32 v2, v2, v8, v9
v_med3_f32 v3, v3, v8, v9
v_cvt_pk_fp8_f32 v11, v2, v3
	;;#ASMEND
	v_perm_b32 v2, v7, v6, s7
	v_and_b32_e32 v3, 0xffffff00, v7
	v_and_b32_sdwa v6, v2, s12 dst_sel:DWORD dst_unused:UNUSED_PAD src0_sel:WORD_1 src1_sel:DWORD
	v_or_b32_sdwa v3, v6, v3 dst_sel:WORD_1 dst_unused:UNUSED_PAD src0_sel:DWORD src1_sel:DWORD
	v_and_or_b32 v2, v2, s14, v3
	v_lshlrev_b32_e32 v3, 16, v11
	v_and_or_b32 v3, v10, s14, v3
	buffer_store_dwordx2 v[2:3], v12, s[8:11], s0 offen
	;;#ASMSTART
	s_nop 0
	;;#ASMEND
	buffer_load_dword v30, off, s[40:43], 0 offset:384 ; 4-byte Folded Reload
	buffer_load_dword v31, off, s[40:43], 0 offset:388 ; 4-byte Folded Reload
	;; [unrolled: 1-line block ×32, first 2 shown]
	s_movk_i32 s0, 0x600
	s_waitcnt vmcnt(6)
	;;#ASMSTART
	v_pk_mul_f32 v[2:3], v[54:55], v[4:5]
	;;#ASMEND
	;;#ASMSTART
	v_med3_f32 v2, v2, v8, v9
v_med3_f32 v3, v3, v8, v9
v_cvt_pk_fp8_f32 v6, v2, v3
	;;#ASMEND
	buffer_load_dword v30, off, s[40:43], 0 offset:256 ; 4-byte Folded Reload
	buffer_load_dword v31, off, s[40:43], 0 offset:260 ; 4-byte Folded Reload
	;; [unrolled: 1-line block ×32, first 2 shown]
	s_waitcnt vmcnt(4)
	;;#ASMSTART
	v_pk_mul_f32 v[2:3], v[56:57], v[4:5]
	;;#ASMEND
	;;#ASMSTART
	v_med3_f32 v2, v2, v8, v9
v_med3_f32 v3, v3, v8, v9
v_cvt_pk_fp8_f32 v7, v2, v3
	;;#ASMEND
	v_perm_b32 v3, v7, v6, s7
	v_and_b32_e32 v2, 0xffffff00, v7
	v_and_b32_sdwa v6, v3, s12 dst_sel:DWORD dst_unused:UNUSED_PAD src0_sel:WORD_1 src1_sel:DWORD
	v_or_b32_sdwa v2, v6, v2 dst_sel:WORD_1 dst_unused:UNUSED_PAD src0_sel:DWORD src1_sel:DWORD
	v_and_or_b32 v2, v3, s14, v2
	;;#ASMSTART
	v_pk_mul_f32 v[6:7], v[28:29], v[4:5]
	;;#ASMEND
	v_mov_b32_e32 v3, v7
	;;#ASMSTART
	v_med3_f32 v6, v6, v8, v9
v_med3_f32 v3, v3, v8, v9
v_cvt_pk_fp8_f32 v7, v6, v3
	;;#ASMEND
	;;#ASMSTART
	v_pk_mul_f32 v[4:5], v[76:77], v[4:5]
	;;#ASMEND
	v_mov_b32_e32 v1, v5
	;;#ASMSTART
	v_med3_f32 v4, v4, v8, v9
v_med3_f32 v1, v1, v8, v9
v_cvt_pk_fp8_f32 v3, v4, v1
	;;#ASMEND
	v_lshlrev_b32_e32 v1, 16, v3
	v_and_or_b32 v3, v7, s14, v1
	buffer_store_dwordx2 v[2:3], v12, s[8:11], s0 offen
	;;#ASMSTART
	s_nop 0
	;;#ASMEND
.LBB83_32:
	s_or_b64 exec, exec, s[22:23]
	s_cmp_lt_i32 s16, 1
	s_cbranch_scc1 .LBB83_17
.LBB83_33:
	s_load_dword s0, s[4:5], 0x94
	s_waitcnt lgkmcnt(0)
	s_cmp_lg_u32 s0, 1
	s_cbranch_scc1 .LBB83_17
; %bb.34:
	s_waitcnt vmcnt(63) expcnt(7) lgkmcnt(15)
	s_barrier
	buffer_load_dword v1, off, s[40:43], 0 offset:1536 ; 4-byte Folded Reload
	s_lshl_b32 s0, s16, 1
	s_add_i32 s0, s0, 2
	s_and_b32 s22, s0, -4
	v_mov_b32_e32 v66, 0
	v_mov_b32_e32 v30, 0
	;; [unrolled: 1-line block ×33, first 2 shown]
	s_waitcnt vmcnt(0)
	v_cmp_gt_u32_e32 vcc, s16, v1
	v_lshlrev_b32_e32 v65, 1, v1
	s_and_saveexec_b64 s[0:1], vcc
	s_cbranch_execz .LBB83_36
; %bb.35:
	s_mul_hi_i32 s5, s18, s6
	s_mul_i32 s4, s18, s6
	s_and_b32 s21, s21, 0xffff
	s_lshl_b64 s[4:5], s[4:5], 1
	s_add_u32 s8, s34, s4
	s_mov_b32 s23, 0x20000
	s_addc_u32 s4, s35, s5
	s_and_b32 s9, s4, 0xffff
	s_mov_b32 s10, s22
	s_mov_b32 s11, s23
	s_movk_i32 s5, 0x800
	s_movk_i32 s4, 0x400
	buffer_load_dwordx4 v[30:33], v65, s[8:11], 0 offen glc slc
	buffer_load_dwordx4 v[22:25], v65, s[8:11], s4 offen glc slc
	s_movk_i32 s7, 0xc00
	buffer_load_dwordx4 v[26:29], v65, s[8:11], s5 offen glc slc
	buffer_load_dwordx4 v[18:21], v65, s[8:11], s7 offen glc slc
	buffer_load_dwordx4 v[14:17], v65, s[20:23], 0 offen
	buffer_load_dwordx4 v[10:13], v65, s[20:23], s4 offen
	;; [unrolled: 1-line block ×4, first 2 shown]
.LBB83_36:
	s_or_b64 exec, exec, s[0:1]
	v_mov_b32_e32 v67, 0
	v_mov_b32_e32 v62, 0
	;; [unrolled: 1-line block ×31, first 2 shown]
	s_and_saveexec_b64 s[0:1], vcc
	s_cbranch_execz .LBB83_38
; %bb.37:
	s_waitcnt vmcnt(7)
	v_cvt_f32_f16_sdwa v67, v30 dst_sel:DWORD dst_unused:UNUSED_PAD src0_sel:WORD_1
	v_cvt_f32_f16_e32 v66, v30
	v_cvt_f32_f16_sdwa v63, v31 dst_sel:DWORD dst_unused:UNUSED_PAD src0_sel:WORD_1
	v_cvt_f32_f16_e32 v62, v31
	v_cvt_f32_f16_sdwa v61, v32 dst_sel:DWORD dst_unused:UNUSED_PAD src0_sel:WORD_1
	v_cvt_f32_f16_e32 v60, v32
	v_cvt_f32_f16_sdwa v59, v33 dst_sel:DWORD dst_unused:UNUSED_PAD src0_sel:WORD_1
	v_cvt_f32_f16_e32 v58, v33
	s_waitcnt vmcnt(6)
	v_cvt_f32_f16_sdwa v57, v22 dst_sel:DWORD dst_unused:UNUSED_PAD src0_sel:WORD_1
	v_cvt_f32_f16_e32 v56, v22
	v_cvt_f32_f16_sdwa v55, v23 dst_sel:DWORD dst_unused:UNUSED_PAD src0_sel:WORD_1
	v_cvt_f32_f16_e32 v54, v23
	v_cvt_f32_f16_sdwa v53, v24 dst_sel:DWORD dst_unused:UNUSED_PAD src0_sel:WORD_1
	v_cvt_f32_f16_e32 v52, v24
	v_cvt_f32_f16_sdwa v51, v25 dst_sel:DWORD dst_unused:UNUSED_PAD src0_sel:WORD_1
	v_cvt_f32_f16_e32 v50, v25
	;; [unrolled: 9-line block ×4, first 2 shown]
.LBB83_38:
	s_or_b64 exec, exec, s[0:1]
	s_waitcnt vmcnt(4)
	v_mul_f32_e32 v18, v67, v67
	v_fmac_f32_e32 v18, v66, v66
	v_fmac_f32_e32 v18, v62, v62
	;; [unrolled: 1-line block ×31, first 2 shown]
	s_nop 1
	v_mov_b32_dpp v19, v18 quad_perm:[1,0,3,2] row_mask:0xf bank_mask:0xf
	v_add_f32_e32 v18, v18, v19
	s_nop 1
	v_mov_b32_dpp v19, v18 quad_perm:[2,3,0,1] row_mask:0xf bank_mask:0xf
	v_add_f32_e32 v18, v18, v19
	s_nop 1
	v_mov_b32_dpp v19, v18 row_half_mirror row_mask:0xf bank_mask:0xf
	v_add_f32_e32 v18, v18, v19
	s_nop 1
	v_mov_b32_dpp v19, v18 row_mirror row_mask:0xf bank_mask:0xf
	v_add_f32_e32 v18, v18, v19
	s_nop 1
	v_mov_b32_dpp v19, v18 row_bcast:15 row_mask:0xf bank_mask:0xf
	v_add_f32_e32 v18, v18, v19
	s_nop 1
	v_mov_b32_dpp v19, v18 row_bcast:31 row_mask:0xf bank_mask:0xf
	s_and_saveexec_b64 s[0:1], s[2:3]
	s_cbranch_execz .LBB83_40
; %bb.39:
	v_add_f32_e32 v18, v18, v19
	v_lshrrev_b32_e32 v19, 4, v0
	v_and_b32_e32 v19, 60, v19
	ds_write_b32 v19, v18 offset:16
.LBB83_40:
	s_or_b64 exec, exec, s[0:1]
	s_waitcnt lgkmcnt(0)
	s_barrier
	ds_read_b32 v18, v70 offset:16
	s_waitcnt lgkmcnt(0)
	s_nop 0
	v_mov_b32_dpp v19, v18 quad_perm:[1,0,3,2] row_mask:0xf bank_mask:0xf
	v_add_f32_e32 v18, v18, v19
	s_nop 1
	v_mov_b32_dpp v19, v18 quad_perm:[2,3,0,1] row_mask:0xf bank_mask:0xf
	s_and_saveexec_b64 s[0:1], vcc
	s_cbranch_execz .LBB83_17
; %bb.41:
	v_cvt_f32_u32_e32 v20, s16
	v_add_f32_e32 v18, v18, v19
	s_mov_b32 s23, 0x20000
	v_div_scale_f32 v19, s[0:1], v20, v20, v18
	v_rcp_f32_e32 v21, v19
	v_div_scale_f32 v22, vcc, v18, v20, v18
	s_mov_b32 s0, 0x800000
	v_fma_f32 v23, -v19, v21, 1.0
	v_fmac_f32_e32 v21, v23, v21
	v_mul_f32_e32 v23, v22, v21
	v_fma_f32 v24, -v19, v23, v22
	v_fmac_f32_e32 v23, v24, v21
	v_fma_f32 v19, -v19, v23, v22
	v_div_fmas_f32 v19, v19, v21, v23
	v_div_fixup_f32 v18, v19, v20, v18
	v_add_f32_e32 v18, s13, v18
	v_mul_f32_e32 v19, 0x4b800000, v18
	v_cmp_gt_f32_e32 vcc, s0, v18
	v_cndmask_b32_e32 v18, v18, v19, vcc
	v_rsq_f32_e32 v18, v18
	s_mul_hi_i32 s1, s25, s6
	s_mul_i32 s0, s25, s6
	s_lshl_b64 s[0:1], s[0:1], 1
	v_mul_f32_e32 v19, 0x45800000, v18
	v_cndmask_b32_e32 v18, v18, v19, vcc
	v_mov_b32_e32 v19, v18
	;;#ASMSTART
	v_pk_mul_f32 v[20:21], v[66:67], v[18:19]
	;;#ASMEND
	;;#ASMSTART
	v_pk_mul_f32 v[22:23], v[62:63], v[18:19]
	;;#ASMEND
	;; [unrolled: 3-line block ×16, first 2 shown]
	s_waitcnt vmcnt(3)
	v_cvt_f32_f16_sdwa v35, v14 dst_sel:DWORD dst_unused:UNUSED_PAD src0_sel:WORD_1
	v_cvt_f32_f16_e32 v34, v14
	v_cvt_f32_f16_sdwa v41, v15 dst_sel:DWORD dst_unused:UNUSED_PAD src0_sel:WORD_1
	v_cvt_f32_f16_e32 v40, v15
	;; [unrolled: 2-line block ×4, first 2 shown]
	;;#ASMSTART
	v_pk_mul_f32 v[16:17], v[20:21], v[34:35]
	;;#ASMEND
	;;#ASMSTART
	v_pk_mul_f32 v[20:21], v[22:23], v[40:41]
	;;#ASMEND
	;; [unrolled: 3-line block ×4, first 2 shown]
	s_waitcnt vmcnt(2)
	v_cvt_f32_f16_sdwa v25, v10 dst_sel:DWORD dst_unused:UNUSED_PAD src0_sel:WORD_1
	v_cvt_f32_f16_e32 v24, v10
	v_cvt_f32_f16_sdwa v27, v11 dst_sel:DWORD dst_unused:UNUSED_PAD src0_sel:WORD_1
	v_cvt_f32_f16_e32 v26, v11
	;; [unrolled: 2-line block ×4, first 2 shown]
	;;#ASMSTART
	v_pk_mul_f32 v[12:13], v[28:29], v[24:25]
	;;#ASMEND
	;;#ASMSTART
	v_pk_mul_f32 v[24:25], v[30:31], v[26:27]
	;;#ASMEND
	;; [unrolled: 3-line block ×3, first 2 shown]
	s_waitcnt vmcnt(1)
	v_cvt_f32_f16_sdwa v29, v6 dst_sel:DWORD dst_unused:UNUSED_PAD src0_sel:WORD_1
	v_cvt_f32_f16_e32 v28, v6
	v_cvt_f32_f16_sdwa v31, v7 dst_sel:DWORD dst_unused:UNUSED_PAD src0_sel:WORD_1
	v_cvt_f32_f16_e32 v30, v7
	;; [unrolled: 2-line block ×4, first 2 shown]
	;;#ASMSTART
	v_pk_mul_f32 v[26:27], v[50:51], v[34:35]
	;;#ASMEND
	;;#ASMSTART
	v_pk_mul_f32 v[8:9], v[48:49], v[28:29]
	;;#ASMEND
	;; [unrolled: 3-line block ×5, first 2 shown]
	s_waitcnt vmcnt(0)
	v_cvt_f32_f16_sdwa v33, v2 dst_sel:DWORD dst_unused:UNUSED_PAD src0_sel:WORD_1
	v_cvt_f32_f16_e32 v32, v2
	v_cvt_f32_f16_sdwa v35, v3 dst_sel:DWORD dst_unused:UNUSED_PAD src0_sel:WORD_1
	v_cvt_f32_f16_e32 v34, v3
	;; [unrolled: 2-line block ×4, first 2 shown]
	;;#ASMSTART
	v_pk_mul_f32 v[4:5], v[0:1], v[32:33]
	;;#ASMEND
	;;#ASMSTART
	v_pk_mul_f32 v[32:33], v[38:39], v[34:35]
	;;#ASMEND
	;;#ASMSTART
	v_pk_mul_f32 v[34:35], v[36:37], v[2:3]
	;;#ASMEND
	v_cvt_f16_f32_e32 v0, v16
	v_cvt_f16_f32_e32 v1, v17
	v_cvt_f16_f32_e32 v2, v20
	v_cvt_f16_f32_e32 v3, v21
	v_cvt_f16_f32_e32 v14, v14
	v_cvt_f16_f32_e32 v15, v15
	v_cvt_f16_f32_e32 v16, v22
	v_cvt_f16_f32_e32 v17, v23
	s_add_u32 s20, s26, s0
	s_addc_u32 s0, s27, s1
	s_and_b32 s21, s0, 0xffff
	v_pack_b32_f16 v0, v0, v1
	v_pack_b32_f16 v1, v2, v3
	;; [unrolled: 1-line block ×4, first 2 shown]
	;;#ASMSTART
	v_pk_mul_f32 v[18:19], v[18:19], v[40:41]
	;;#ASMEND
	buffer_store_dwordx4 v[0:3], v65, s[20:23], 0 offen
	v_cvt_f16_f32_e32 v10, v10
	v_cvt_f16_f32_e32 v0, v12
	v_cvt_f16_f32_e32 v1, v13
	v_cvt_f16_f32_e32 v2, v24
	v_cvt_f16_f32_e32 v3, v25
	v_cvt_f16_f32_e32 v11, v11
	v_cvt_f16_f32_e32 v12, v26
	v_cvt_f16_f32_e32 v13, v27
	v_pack_b32_f16 v0, v0, v1
	v_pack_b32_f16 v1, v2, v3
	v_pack_b32_f16 v2, v10, v11
	v_pack_b32_f16 v3, v12, v13
	s_movk_i32 s0, 0x400
	;;#ASMSTART
	s_nop 0
	;;#ASMEND
	buffer_store_dwordx4 v[0:3], v65, s[20:23], s0 offen
	v_cvt_f16_f32_e32 v0, v8
	v_cvt_f16_f32_e32 v1, v9
	v_cvt_f16_f32_e32 v2, v28
	v_cvt_f16_f32_e32 v3, v29
	v_cvt_f16_f32_e32 v6, v6
	v_cvt_f16_f32_e32 v7, v7
	v_cvt_f16_f32_e32 v8, v30
	v_cvt_f16_f32_e32 v9, v31
	v_pack_b32_f16 v0, v0, v1
	v_pack_b32_f16 v1, v2, v3
	v_pack_b32_f16 v2, v6, v7
	v_pack_b32_f16 v3, v8, v9
	s_movk_i32 s0, 0x800
	;;#ASMSTART
	s_nop 0
	;; [unrolled: 17-line block ×3, first 2 shown]
	;;#ASMEND
	buffer_store_dwordx4 v[0:3], v65, s[20:23], s0 offen
	;;#ASMSTART
	s_nop 0
	;;#ASMEND
	s_endpgm
	.section	.rodata,"a",@progbits
	.p2align	6, 0x0
	.amdhsa_kernel _ZN5aiter35fused_qk_rmsnorm_group_quant_kernelIDF16_DB8_Li256ELi32ELi1ELb1ELb1ELb0ELb0ELb1ELb1EEEvPT0_PvPT_S6_S6_PKS5_S8_S8_S8_S8_ffiiiiiiiiiiiii
		.amdhsa_group_segment_fixed_size 48
		.amdhsa_private_segment_fixed_size 1672
		.amdhsa_kernarg_size 400
		.amdhsa_user_sgpr_count 6
		.amdhsa_user_sgpr_private_segment_buffer 1
		.amdhsa_user_sgpr_dispatch_ptr 0
		.amdhsa_user_sgpr_queue_ptr 0
		.amdhsa_user_sgpr_kernarg_segment_ptr 1
		.amdhsa_user_sgpr_dispatch_id 0
		.amdhsa_user_sgpr_flat_scratch_init 0
		.amdhsa_user_sgpr_kernarg_preload_length 0
		.amdhsa_user_sgpr_kernarg_preload_offset 0
		.amdhsa_user_sgpr_private_segment_size 0
		.amdhsa_uses_dynamic_stack 0
		.amdhsa_system_sgpr_private_segment_wavefront_offset 1
		.amdhsa_system_sgpr_workgroup_id_x 1
		.amdhsa_system_sgpr_workgroup_id_y 1
		.amdhsa_system_sgpr_workgroup_id_z 0
		.amdhsa_system_sgpr_workgroup_info 0
		.amdhsa_system_vgpr_workitem_id 0
		.amdhsa_next_free_vgpr 128
		.amdhsa_next_free_sgpr 44
		.amdhsa_accum_offset 128
		.amdhsa_reserve_vcc 1
		.amdhsa_reserve_flat_scratch 0
		.amdhsa_float_round_mode_32 0
		.amdhsa_float_round_mode_16_64 0
		.amdhsa_float_denorm_mode_32 3
		.amdhsa_float_denorm_mode_16_64 3
		.amdhsa_dx10_clamp 1
		.amdhsa_ieee_mode 1
		.amdhsa_fp16_overflow 0
		.amdhsa_tg_split 0
		.amdhsa_exception_fp_ieee_invalid_op 0
		.amdhsa_exception_fp_denorm_src 0
		.amdhsa_exception_fp_ieee_div_zero 0
		.amdhsa_exception_fp_ieee_overflow 0
		.amdhsa_exception_fp_ieee_underflow 0
		.amdhsa_exception_fp_ieee_inexact 0
		.amdhsa_exception_int_div_zero 0
	.end_amdhsa_kernel
	.section	.text._ZN5aiter35fused_qk_rmsnorm_group_quant_kernelIDF16_DB8_Li256ELi32ELi1ELb1ELb1ELb0ELb0ELb1ELb1EEEvPT0_PvPT_S6_S6_PKS5_S8_S8_S8_S8_ffiiiiiiiiiiiii,"axG",@progbits,_ZN5aiter35fused_qk_rmsnorm_group_quant_kernelIDF16_DB8_Li256ELi32ELi1ELb1ELb1ELb0ELb0ELb1ELb1EEEvPT0_PvPT_S6_S6_PKS5_S8_S8_S8_S8_ffiiiiiiiiiiiii,comdat
.Lfunc_end83:
	.size	_ZN5aiter35fused_qk_rmsnorm_group_quant_kernelIDF16_DB8_Li256ELi32ELi1ELb1ELb1ELb0ELb0ELb1ELb1EEEvPT0_PvPT_S6_S6_PKS5_S8_S8_S8_S8_ffiiiiiiiiiiiii, .Lfunc_end83-_ZN5aiter35fused_qk_rmsnorm_group_quant_kernelIDF16_DB8_Li256ELi32ELi1ELb1ELb1ELb0ELb0ELb1ELb1EEEvPT0_PvPT_S6_S6_PKS5_S8_S8_S8_S8_ffiiiiiiiiiiiii
                                        ; -- End function
	.section	.AMDGPU.csdata,"",@progbits
; Kernel info:
; codeLenInByte = 43520
; NumSgprs: 48
; NumVgprs: 128
; NumAgprs: 0
; TotalNumVgprs: 128
; ScratchSize: 1672
; MemoryBound: 0
; FloatMode: 240
; IeeeMode: 1
; LDSByteSize: 48 bytes/workgroup (compile time only)
; SGPRBlocks: 5
; VGPRBlocks: 15
; NumSGPRsForWavesPerEU: 48
; NumVGPRsForWavesPerEU: 128
; AccumOffset: 128
; Occupancy: 4
; WaveLimiterHint : 0
; COMPUTE_PGM_RSRC2:SCRATCH_EN: 1
; COMPUTE_PGM_RSRC2:USER_SGPR: 6
; COMPUTE_PGM_RSRC2:TRAP_HANDLER: 0
; COMPUTE_PGM_RSRC2:TGID_X_EN: 1
; COMPUTE_PGM_RSRC2:TGID_Y_EN: 1
; COMPUTE_PGM_RSRC2:TGID_Z_EN: 0
; COMPUTE_PGM_RSRC2:TIDIG_COMP_CNT: 0
; COMPUTE_PGM_RSRC3_GFX90A:ACCUM_OFFSET: 31
; COMPUTE_PGM_RSRC3_GFX90A:TG_SPLIT: 0
	.section	.text._ZN5aiter35fused_qk_rmsnorm_group_quant_kernelItDB8_Li256ELi32ELi1ELb1ELb1ELb0ELb0ELb1ELb1EEEvPT0_PvPT_S6_S6_PKS5_S8_S8_S8_S8_ffiiiiiiiiiiiii,"axG",@progbits,_ZN5aiter35fused_qk_rmsnorm_group_quant_kernelItDB8_Li256ELi32ELi1ELb1ELb1ELb0ELb0ELb1ELb1EEEvPT0_PvPT_S6_S6_PKS5_S8_S8_S8_S8_ffiiiiiiiiiiiii,comdat
	.protected	_ZN5aiter35fused_qk_rmsnorm_group_quant_kernelItDB8_Li256ELi32ELi1ELb1ELb1ELb0ELb0ELb1ELb1EEEvPT0_PvPT_S6_S6_PKS5_S8_S8_S8_S8_ffiiiiiiiiiiiii ; -- Begin function _ZN5aiter35fused_qk_rmsnorm_group_quant_kernelItDB8_Li256ELi32ELi1ELb1ELb1ELb0ELb0ELb1ELb1EEEvPT0_PvPT_S6_S6_PKS5_S8_S8_S8_S8_ffiiiiiiiiiiiii
	.globl	_ZN5aiter35fused_qk_rmsnorm_group_quant_kernelItDB8_Li256ELi32ELi1ELb1ELb1ELb0ELb0ELb1ELb1EEEvPT0_PvPT_S6_S6_PKS5_S8_S8_S8_S8_ffiiiiiiiiiiiii
	.p2align	8
	.type	_ZN5aiter35fused_qk_rmsnorm_group_quant_kernelItDB8_Li256ELi32ELi1ELb1ELb1ELb0ELb0ELb1ELb1EEEvPT0_PvPT_S6_S6_PKS5_S8_S8_S8_S8_ffiiiiiiiiiiiii,@function
_ZN5aiter35fused_qk_rmsnorm_group_quant_kernelItDB8_Li256ELi32ELi1ELb1ELb1ELb0ELb0ELb1ELb1EEEvPT0_PvPT_S6_S6_PKS5_S8_S8_S8_S8_ffiiiiiiiiiiiii: ; @_ZN5aiter35fused_qk_rmsnorm_group_quant_kernelItDB8_Li256ELi32ELi1ELb1ELb1ELb0ELb0ELb1ELb1EEEvPT0_PvPT_S6_S6_PKS5_S8_S8_S8_S8_ffiiiiiiiiiiiii
; %bb.0:
	s_load_dwordx8 s[12:19], s[4:5], 0x50
	s_mov_b64 s[42:43], s[2:3]
	s_mov_b64 s[40:41], s[0:1]
	s_add_u32 s40, s40, s8
	s_addc_u32 s41, s41, 0
	s_waitcnt lgkmcnt(0)
	s_cmp_ge_i32 s6, s14
	s_cbranch_scc1 .LBB84_17
; %bb.1:
	s_cmp_lg_u32 s7, 0
	s_cselect_b64 s[22:23], -1, 0
	s_cmp_eq_u32 s7, 0
	s_cselect_b64 s[8:9], -1, 0
	s_and_b64 s[0:1], s[8:9], exec
	s_cselect_b32 s7, s15, s16
	s_add_i32 s0, s7, 1
	s_load_dwordx2 s[10:11], s[4:5], 0x70
	s_load_dwordx2 s[20:21], s[4:5], 0x48
	;; [unrolled: 1-line block ×3, first 2 shown]
	s_lshr_b32 s1, s0, 31
	s_add_i32 s0, s0, s1
	s_lshl_b32 s0, s0, 1
	v_lshlrev_b32_e32 v2, 5, v0
	s_and_b32 s30, s0, -4
	v_lshlrev_b32_e32 v1, 3, v0
	v_and_b32_e32 v2, 0x7800, v2
	s_movk_i32 s0, 0x1f8
	v_and_or_b32 v1, v1, s0, v2
	v_cmp_gt_i32_e64 s[0:1], s7, v1
	v_mov_b32_e32 v116, 0
	v_mov_b32_e32 v117, 0
	;; [unrolled: 1-line block ×32, first 2 shown]
	s_and_saveexec_b64 s[2:3], s[0:1]
	s_cbranch_execz .LBB84_3
; %bb.2:
	s_load_dwordx2 s[24:25], s[4:5], 0x28
	s_load_dwordx2 s[26:27], s[4:5], 0x40
	s_and_b64 s[28:29], s[8:9], exec
	s_cselect_b32 s14, s17, s18
	s_mov_b32 s31, 0x20000
	s_waitcnt lgkmcnt(0)
	s_cselect_b32 s17, s25, s35
	s_cselect_b32 s28, s24, s34
	s_mul_hi_i32 s25, s14, s6
	s_mul_i32 s24, s14, s6
	s_lshl_b64 s[24:25], s[24:25], 1
	s_add_u32 s24, s28, s24
	s_addc_u32 s14, s17, s25
	s_and_b64 s[28:29], s[8:9], exec
	s_cselect_b32 s17, s27, s21
	s_cselect_b32 s28, s26, s20
	s_and_b32 s29, s17, 0xffff
	s_and_b32 s25, s14, 0xffff
	s_mov_b32 s26, s30
	s_mov_b32 s27, s31
	v_lshlrev_b32_e32 v2, 1, v1
	s_movk_i32 s17, 0x800
	s_movk_i32 s14, 0x400
	buffer_load_dwordx4 v[120:123], v2, s[24:27], 0 offen glc slc
	buffer_load_dwordx4 v[66:69], v2, s[24:27], s14 offen glc slc
	s_movk_i32 s33, 0xc00
	buffer_load_dwordx4 v[98:101], v2, s[24:27], s17 offen glc slc
	buffer_load_dwordx4 v[124:127], v2, s[24:27], s33 offen glc slc
	buffer_load_dwordx4 v[116:119], v2, s[28:31], 0 offen
	buffer_load_dwordx4 v[112:115], v2, s[28:31], s14 offen
	buffer_load_dwordx4 v[108:111], v2, s[28:31], s17 offen
	buffer_load_dwordx4 v[104:107], v2, s[28:31], s33 offen
.LBB84_3:
	s_or_b64 exec, exec, s[2:3]
	s_load_dwordx4 s[24:27], s[4:5], 0x7c
	s_and_b64 vcc, exec, s[22:23]
	s_cbranch_vccz .LBB84_7
; %bb.4:
	v_mov_b32_e32 v29, 0
	v_mov_b32_e32 v28, 0
	buffer_store_dword v0, off, s[40:43], 0 offset:256 ; 4-byte Folded Spill
	s_nop 0
	buffer_store_dword v1, off, s[40:43], 0 offset:260 ; 4-byte Folded Spill
	buffer_store_dword v2, off, s[40:43], 0 offset:264 ; 4-byte Folded Spill
	;; [unrolled: 1-line block ×31, first 2 shown]
	v_mov_b32_e32 v27, 0
	v_mov_b32_e32 v26, 0
	;; [unrolled: 1-line block ×6, first 2 shown]
	buffer_store_dword v0, off, s[40:43], 0 offset:384 ; 4-byte Folded Spill
	s_nop 0
	buffer_store_dword v1, off, s[40:43], 0 offset:388 ; 4-byte Folded Spill
	buffer_store_dword v2, off, s[40:43], 0 offset:392 ; 4-byte Folded Spill
	buffer_store_dword v3, off, s[40:43], 0 offset:396 ; 4-byte Folded Spill
	buffer_store_dword v4, off, s[40:43], 0 offset:400 ; 4-byte Folded Spill
	buffer_store_dword v5, off, s[40:43], 0 offset:404 ; 4-byte Folded Spill
	buffer_store_dword v6, off, s[40:43], 0 offset:408 ; 4-byte Folded Spill
	buffer_store_dword v7, off, s[40:43], 0 offset:412 ; 4-byte Folded Spill
	buffer_store_dword v8, off, s[40:43], 0 offset:416 ; 4-byte Folded Spill
	buffer_store_dword v9, off, s[40:43], 0 offset:420 ; 4-byte Folded Spill
	buffer_store_dword v10, off, s[40:43], 0 offset:424 ; 4-byte Folded Spill
	buffer_store_dword v11, off, s[40:43], 0 offset:428 ; 4-byte Folded Spill
	buffer_store_dword v12, off, s[40:43], 0 offset:432 ; 4-byte Folded Spill
	buffer_store_dword v13, off, s[40:43], 0 offset:436 ; 4-byte Folded Spill
	buffer_store_dword v14, off, s[40:43], 0 offset:440 ; 4-byte Folded Spill
	buffer_store_dword v15, off, s[40:43], 0 offset:444 ; 4-byte Folded Spill
	buffer_store_dword v16, off, s[40:43], 0 offset:448 ; 4-byte Folded Spill
	buffer_store_dword v17, off, s[40:43], 0 offset:452 ; 4-byte Folded Spill
	buffer_store_dword v18, off, s[40:43], 0 offset:456 ; 4-byte Folded Spill
	buffer_store_dword v19, off, s[40:43], 0 offset:460 ; 4-byte Folded Spill
	buffer_store_dword v20, off, s[40:43], 0 offset:464 ; 4-byte Folded Spill
	buffer_store_dword v21, off, s[40:43], 0 offset:468 ; 4-byte Folded Spill
	buffer_store_dword v22, off, s[40:43], 0 offset:472 ; 4-byte Folded Spill
	buffer_store_dword v23, off, s[40:43], 0 offset:476 ; 4-byte Folded Spill
	buffer_store_dword v24, off, s[40:43], 0 offset:480 ; 4-byte Folded Spill
	buffer_store_dword v25, off, s[40:43], 0 offset:484 ; 4-byte Folded Spill
	buffer_store_dword v26, off, s[40:43], 0 offset:488 ; 4-byte Folded Spill
	buffer_store_dword v27, off, s[40:43], 0 offset:492 ; 4-byte Folded Spill
	buffer_store_dword v28, off, s[40:43], 0 offset:496 ; 4-byte Folded Spill
	buffer_store_dword v29, off, s[40:43], 0 offset:500 ; 4-byte Folded Spill
	buffer_store_dword v30, off, s[40:43], 0 offset:504 ; 4-byte Folded Spill
	buffer_store_dword v31, off, s[40:43], 0 offset:508 ; 4-byte Folded Spill
	v_mov_b32_e32 v25, 0
	v_mov_b32_e32 v24, 0
	buffer_store_dword v0, off, s[40:43], 0 offset:640 ; 4-byte Folded Spill
	s_nop 0
	buffer_store_dword v1, off, s[40:43], 0 offset:644 ; 4-byte Folded Spill
	buffer_store_dword v2, off, s[40:43], 0 offset:648 ; 4-byte Folded Spill
	buffer_store_dword v3, off, s[40:43], 0 offset:652 ; 4-byte Folded Spill
	buffer_store_dword v4, off, s[40:43], 0 offset:656 ; 4-byte Folded Spill
	buffer_store_dword v5, off, s[40:43], 0 offset:660 ; 4-byte Folded Spill
	buffer_store_dword v6, off, s[40:43], 0 offset:664 ; 4-byte Folded Spill
	buffer_store_dword v7, off, s[40:43], 0 offset:668 ; 4-byte Folded Spill
	buffer_store_dword v8, off, s[40:43], 0 offset:672 ; 4-byte Folded Spill
	buffer_store_dword v9, off, s[40:43], 0 offset:676 ; 4-byte Folded Spill
	buffer_store_dword v10, off, s[40:43], 0 offset:680 ; 4-byte Folded Spill
	buffer_store_dword v11, off, s[40:43], 0 offset:684 ; 4-byte Folded Spill
	buffer_store_dword v12, off, s[40:43], 0 offset:688 ; 4-byte Folded Spill
	buffer_store_dword v13, off, s[40:43], 0 offset:692 ; 4-byte Folded Spill
	buffer_store_dword v14, off, s[40:43], 0 offset:696 ; 4-byte Folded Spill
	buffer_store_dword v15, off, s[40:43], 0 offset:700 ; 4-byte Folded Spill
	buffer_store_dword v16, off, s[40:43], 0 offset:704 ; 4-byte Folded Spill
	buffer_store_dword v17, off, s[40:43], 0 offset:708 ; 4-byte Folded Spill
	buffer_store_dword v18, off, s[40:43], 0 offset:712 ; 4-byte Folded Spill
	buffer_store_dword v19, off, s[40:43], 0 offset:716 ; 4-byte Folded Spill
	buffer_store_dword v20, off, s[40:43], 0 offset:720 ; 4-byte Folded Spill
	buffer_store_dword v21, off, s[40:43], 0 offset:724 ; 4-byte Folded Spill
	buffer_store_dword v22, off, s[40:43], 0 offset:728 ; 4-byte Folded Spill
	buffer_store_dword v23, off, s[40:43], 0 offset:732 ; 4-byte Folded Spill
	buffer_store_dword v24, off, s[40:43], 0 offset:736 ; 4-byte Folded Spill
	buffer_store_dword v25, off, s[40:43], 0 offset:740 ; 4-byte Folded Spill
	buffer_store_dword v26, off, s[40:43], 0 offset:744 ; 4-byte Folded Spill
	buffer_store_dword v27, off, s[40:43], 0 offset:748 ; 4-byte Folded Spill
	buffer_store_dword v28, off, s[40:43], 0 offset:752 ; 4-byte Folded Spill
	buffer_store_dword v29, off, s[40:43], 0 offset:756 ; 4-byte Folded Spill
	buffer_store_dword v30, off, s[40:43], 0 offset:760 ; 4-byte Folded Spill
	buffer_store_dword v31, off, s[40:43], 0 offset:764 ; 4-byte Folded Spill
	v_mov_b32_e32 v23, 0
	v_mov_b32_e32 v22, 0
	buffer_store_dword v0, off, s[40:43], 0 offset:512 ; 4-byte Folded Spill
	s_nop 0
	buffer_store_dword v1, off, s[40:43], 0 offset:516 ; 4-byte Folded Spill
	buffer_store_dword v2, off, s[40:43], 0 offset:520 ; 4-byte Folded Spill
	buffer_store_dword v3, off, s[40:43], 0 offset:524 ; 4-byte Folded Spill
	buffer_store_dword v4, off, s[40:43], 0 offset:528 ; 4-byte Folded Spill
	buffer_store_dword v5, off, s[40:43], 0 offset:532 ; 4-byte Folded Spill
	buffer_store_dword v6, off, s[40:43], 0 offset:536 ; 4-byte Folded Spill
	buffer_store_dword v7, off, s[40:43], 0 offset:540 ; 4-byte Folded Spill
	buffer_store_dword v8, off, s[40:43], 0 offset:544 ; 4-byte Folded Spill
	buffer_store_dword v9, off, s[40:43], 0 offset:548 ; 4-byte Folded Spill
	buffer_store_dword v10, off, s[40:43], 0 offset:552 ; 4-byte Folded Spill
	buffer_store_dword v11, off, s[40:43], 0 offset:556 ; 4-byte Folded Spill
	buffer_store_dword v12, off, s[40:43], 0 offset:560 ; 4-byte Folded Spill
	buffer_store_dword v13, off, s[40:43], 0 offset:564 ; 4-byte Folded Spill
	buffer_store_dword v14, off, s[40:43], 0 offset:568 ; 4-byte Folded Spill
	buffer_store_dword v15, off, s[40:43], 0 offset:572 ; 4-byte Folded Spill
	buffer_store_dword v16, off, s[40:43], 0 offset:576 ; 4-byte Folded Spill
	buffer_store_dword v17, off, s[40:43], 0 offset:580 ; 4-byte Folded Spill
	buffer_store_dword v18, off, s[40:43], 0 offset:584 ; 4-byte Folded Spill
	buffer_store_dword v19, off, s[40:43], 0 offset:588 ; 4-byte Folded Spill
	buffer_store_dword v20, off, s[40:43], 0 offset:592 ; 4-byte Folded Spill
	buffer_store_dword v21, off, s[40:43], 0 offset:596 ; 4-byte Folded Spill
	buffer_store_dword v22, off, s[40:43], 0 offset:600 ; 4-byte Folded Spill
	buffer_store_dword v23, off, s[40:43], 0 offset:604 ; 4-byte Folded Spill
	buffer_store_dword v24, off, s[40:43], 0 offset:608 ; 4-byte Folded Spill
	buffer_store_dword v25, off, s[40:43], 0 offset:612 ; 4-byte Folded Spill
	buffer_store_dword v26, off, s[40:43], 0 offset:616 ; 4-byte Folded Spill
	buffer_store_dword v27, off, s[40:43], 0 offset:620 ; 4-byte Folded Spill
	buffer_store_dword v28, off, s[40:43], 0 offset:624 ; 4-byte Folded Spill
	buffer_store_dword v29, off, s[40:43], 0 offset:628 ; 4-byte Folded Spill
	buffer_store_dword v30, off, s[40:43], 0 offset:632 ; 4-byte Folded Spill
	buffer_store_dword v31, off, s[40:43], 0 offset:636 ; 4-byte Folded Spill
	v_mov_b32_e32 v21, 0
	v_mov_b32_e32 v20, 0
	buffer_store_dword v0, off, s[40:43], 0 offset:768 ; 4-byte Folded Spill
	s_nop 0
	buffer_store_dword v1, off, s[40:43], 0 offset:772 ; 4-byte Folded Spill
	buffer_store_dword v2, off, s[40:43], 0 offset:776 ; 4-byte Folded Spill
	buffer_store_dword v3, off, s[40:43], 0 offset:780 ; 4-byte Folded Spill
	buffer_store_dword v4, off, s[40:43], 0 offset:784 ; 4-byte Folded Spill
	buffer_store_dword v5, off, s[40:43], 0 offset:788 ; 4-byte Folded Spill
	buffer_store_dword v6, off, s[40:43], 0 offset:792 ; 4-byte Folded Spill
	buffer_store_dword v7, off, s[40:43], 0 offset:796 ; 4-byte Folded Spill
	buffer_store_dword v8, off, s[40:43], 0 offset:800 ; 4-byte Folded Spill
	buffer_store_dword v9, off, s[40:43], 0 offset:804 ; 4-byte Folded Spill
	buffer_store_dword v10, off, s[40:43], 0 offset:808 ; 4-byte Folded Spill
	buffer_store_dword v11, off, s[40:43], 0 offset:812 ; 4-byte Folded Spill
	buffer_store_dword v12, off, s[40:43], 0 offset:816 ; 4-byte Folded Spill
	buffer_store_dword v13, off, s[40:43], 0 offset:820 ; 4-byte Folded Spill
	buffer_store_dword v14, off, s[40:43], 0 offset:824 ; 4-byte Folded Spill
	buffer_store_dword v15, off, s[40:43], 0 offset:828 ; 4-byte Folded Spill
	buffer_store_dword v16, off, s[40:43], 0 offset:832 ; 4-byte Folded Spill
	buffer_store_dword v17, off, s[40:43], 0 offset:836 ; 4-byte Folded Spill
	buffer_store_dword v18, off, s[40:43], 0 offset:840 ; 4-byte Folded Spill
	buffer_store_dword v19, off, s[40:43], 0 offset:844 ; 4-byte Folded Spill
	buffer_store_dword v20, off, s[40:43], 0 offset:848 ; 4-byte Folded Spill
	buffer_store_dword v21, off, s[40:43], 0 offset:852 ; 4-byte Folded Spill
	buffer_store_dword v22, off, s[40:43], 0 offset:856 ; 4-byte Folded Spill
	buffer_store_dword v23, off, s[40:43], 0 offset:860 ; 4-byte Folded Spill
	buffer_store_dword v24, off, s[40:43], 0 offset:864 ; 4-byte Folded Spill
	buffer_store_dword v25, off, s[40:43], 0 offset:868 ; 4-byte Folded Spill
	buffer_store_dword v26, off, s[40:43], 0 offset:872 ; 4-byte Folded Spill
	buffer_store_dword v27, off, s[40:43], 0 offset:876 ; 4-byte Folded Spill
	buffer_store_dword v28, off, s[40:43], 0 offset:880 ; 4-byte Folded Spill
	buffer_store_dword v29, off, s[40:43], 0 offset:884 ; 4-byte Folded Spill
	buffer_store_dword v30, off, s[40:43], 0 offset:888 ; 4-byte Folded Spill
	buffer_store_dword v31, off, s[40:43], 0 offset:892 ; 4-byte Folded Spill
	v_mov_b32_e32 v19, 0
	v_mov_b32_e32 v18, 0
	buffer_store_dword v0, off, s[40:43], 0 offset:896 ; 4-byte Folded Spill
	s_nop 0
	buffer_store_dword v1, off, s[40:43], 0 offset:900 ; 4-byte Folded Spill
	buffer_store_dword v2, off, s[40:43], 0 offset:904 ; 4-byte Folded Spill
	buffer_store_dword v3, off, s[40:43], 0 offset:908 ; 4-byte Folded Spill
	buffer_store_dword v4, off, s[40:43], 0 offset:912 ; 4-byte Folded Spill
	buffer_store_dword v5, off, s[40:43], 0 offset:916 ; 4-byte Folded Spill
	buffer_store_dword v6, off, s[40:43], 0 offset:920 ; 4-byte Folded Spill
	buffer_store_dword v7, off, s[40:43], 0 offset:924 ; 4-byte Folded Spill
	buffer_store_dword v8, off, s[40:43], 0 offset:928 ; 4-byte Folded Spill
	buffer_store_dword v9, off, s[40:43], 0 offset:932 ; 4-byte Folded Spill
	buffer_store_dword v10, off, s[40:43], 0 offset:936 ; 4-byte Folded Spill
	buffer_store_dword v11, off, s[40:43], 0 offset:940 ; 4-byte Folded Spill
	buffer_store_dword v12, off, s[40:43], 0 offset:944 ; 4-byte Folded Spill
	buffer_store_dword v13, off, s[40:43], 0 offset:948 ; 4-byte Folded Spill
	buffer_store_dword v14, off, s[40:43], 0 offset:952 ; 4-byte Folded Spill
	buffer_store_dword v15, off, s[40:43], 0 offset:956 ; 4-byte Folded Spill
	buffer_store_dword v16, off, s[40:43], 0 offset:960 ; 4-byte Folded Spill
	buffer_store_dword v17, off, s[40:43], 0 offset:964 ; 4-byte Folded Spill
	buffer_store_dword v18, off, s[40:43], 0 offset:968 ; 4-byte Folded Spill
	buffer_store_dword v19, off, s[40:43], 0 offset:972 ; 4-byte Folded Spill
	buffer_store_dword v20, off, s[40:43], 0 offset:976 ; 4-byte Folded Spill
	buffer_store_dword v21, off, s[40:43], 0 offset:980 ; 4-byte Folded Spill
	buffer_store_dword v22, off, s[40:43], 0 offset:984 ; 4-byte Folded Spill
	buffer_store_dword v23, off, s[40:43], 0 offset:988 ; 4-byte Folded Spill
	buffer_store_dword v24, off, s[40:43], 0 offset:992 ; 4-byte Folded Spill
	buffer_store_dword v25, off, s[40:43], 0 offset:996 ; 4-byte Folded Spill
	buffer_store_dword v26, off, s[40:43], 0 offset:1000 ; 4-byte Folded Spill
	buffer_store_dword v27, off, s[40:43], 0 offset:1004 ; 4-byte Folded Spill
	buffer_store_dword v28, off, s[40:43], 0 offset:1008 ; 4-byte Folded Spill
	buffer_store_dword v29, off, s[40:43], 0 offset:1012 ; 4-byte Folded Spill
	buffer_store_dword v30, off, s[40:43], 0 offset:1016 ; 4-byte Folded Spill
	buffer_store_dword v31, off, s[40:43], 0 offset:1020 ; 4-byte Folded Spill
	v_mov_b32_e32 v17, 0
	v_mov_b32_e32 v16, 0
	buffer_store_dword v0, off, s[40:43], 0 offset:1152 ; 4-byte Folded Spill
	s_nop 0
	buffer_store_dword v1, off, s[40:43], 0 offset:1156 ; 4-byte Folded Spill
	buffer_store_dword v2, off, s[40:43], 0 offset:1160 ; 4-byte Folded Spill
	buffer_store_dword v3, off, s[40:43], 0 offset:1164 ; 4-byte Folded Spill
	buffer_store_dword v4, off, s[40:43], 0 offset:1168 ; 4-byte Folded Spill
	buffer_store_dword v5, off, s[40:43], 0 offset:1172 ; 4-byte Folded Spill
	buffer_store_dword v6, off, s[40:43], 0 offset:1176 ; 4-byte Folded Spill
	buffer_store_dword v7, off, s[40:43], 0 offset:1180 ; 4-byte Folded Spill
	buffer_store_dword v8, off, s[40:43], 0 offset:1184 ; 4-byte Folded Spill
	buffer_store_dword v9, off, s[40:43], 0 offset:1188 ; 4-byte Folded Spill
	buffer_store_dword v10, off, s[40:43], 0 offset:1192 ; 4-byte Folded Spill
	buffer_store_dword v11, off, s[40:43], 0 offset:1196 ; 4-byte Folded Spill
	buffer_store_dword v12, off, s[40:43], 0 offset:1200 ; 4-byte Folded Spill
	buffer_store_dword v13, off, s[40:43], 0 offset:1204 ; 4-byte Folded Spill
	buffer_store_dword v14, off, s[40:43], 0 offset:1208 ; 4-byte Folded Spill
	buffer_store_dword v15, off, s[40:43], 0 offset:1212 ; 4-byte Folded Spill
	buffer_store_dword v16, off, s[40:43], 0 offset:1216 ; 4-byte Folded Spill
	buffer_store_dword v17, off, s[40:43], 0 offset:1220 ; 4-byte Folded Spill
	buffer_store_dword v18, off, s[40:43], 0 offset:1224 ; 4-byte Folded Spill
	buffer_store_dword v19, off, s[40:43], 0 offset:1228 ; 4-byte Folded Spill
	buffer_store_dword v20, off, s[40:43], 0 offset:1232 ; 4-byte Folded Spill
	buffer_store_dword v21, off, s[40:43], 0 offset:1236 ; 4-byte Folded Spill
	buffer_store_dword v22, off, s[40:43], 0 offset:1240 ; 4-byte Folded Spill
	buffer_store_dword v23, off, s[40:43], 0 offset:1244 ; 4-byte Folded Spill
	buffer_store_dword v24, off, s[40:43], 0 offset:1248 ; 4-byte Folded Spill
	buffer_store_dword v25, off, s[40:43], 0 offset:1252 ; 4-byte Folded Spill
	buffer_store_dword v26, off, s[40:43], 0 offset:1256 ; 4-byte Folded Spill
	buffer_store_dword v27, off, s[40:43], 0 offset:1260 ; 4-byte Folded Spill
	buffer_store_dword v28, off, s[40:43], 0 offset:1264 ; 4-byte Folded Spill
	buffer_store_dword v29, off, s[40:43], 0 offset:1268 ; 4-byte Folded Spill
	buffer_store_dword v30, off, s[40:43], 0 offset:1272 ; 4-byte Folded Spill
	buffer_store_dword v31, off, s[40:43], 0 offset:1276 ; 4-byte Folded Spill
	v_mov_b32_e32 v15, 0
	v_mov_b32_e32 v14, 0
	buffer_store_dword v0, off, s[40:43], 0 offset:1024 ; 4-byte Folded Spill
	s_nop 0
	buffer_store_dword v1, off, s[40:43], 0 offset:1028 ; 4-byte Folded Spill
	buffer_store_dword v2, off, s[40:43], 0 offset:1032 ; 4-byte Folded Spill
	buffer_store_dword v3, off, s[40:43], 0 offset:1036 ; 4-byte Folded Spill
	buffer_store_dword v4, off, s[40:43], 0 offset:1040 ; 4-byte Folded Spill
	buffer_store_dword v5, off, s[40:43], 0 offset:1044 ; 4-byte Folded Spill
	buffer_store_dword v6, off, s[40:43], 0 offset:1048 ; 4-byte Folded Spill
	buffer_store_dword v7, off, s[40:43], 0 offset:1052 ; 4-byte Folded Spill
	buffer_store_dword v8, off, s[40:43], 0 offset:1056 ; 4-byte Folded Spill
	buffer_store_dword v9, off, s[40:43], 0 offset:1060 ; 4-byte Folded Spill
	buffer_store_dword v10, off, s[40:43], 0 offset:1064 ; 4-byte Folded Spill
	buffer_store_dword v11, off, s[40:43], 0 offset:1068 ; 4-byte Folded Spill
	buffer_store_dword v12, off, s[40:43], 0 offset:1072 ; 4-byte Folded Spill
	buffer_store_dword v13, off, s[40:43], 0 offset:1076 ; 4-byte Folded Spill
	buffer_store_dword v14, off, s[40:43], 0 offset:1080 ; 4-byte Folded Spill
	buffer_store_dword v15, off, s[40:43], 0 offset:1084 ; 4-byte Folded Spill
	buffer_store_dword v16, off, s[40:43], 0 offset:1088 ; 4-byte Folded Spill
	buffer_store_dword v17, off, s[40:43], 0 offset:1092 ; 4-byte Folded Spill
	buffer_store_dword v18, off, s[40:43], 0 offset:1096 ; 4-byte Folded Spill
	buffer_store_dword v19, off, s[40:43], 0 offset:1100 ; 4-byte Folded Spill
	buffer_store_dword v20, off, s[40:43], 0 offset:1104 ; 4-byte Folded Spill
	buffer_store_dword v21, off, s[40:43], 0 offset:1108 ; 4-byte Folded Spill
	buffer_store_dword v22, off, s[40:43], 0 offset:1112 ; 4-byte Folded Spill
	buffer_store_dword v23, off, s[40:43], 0 offset:1116 ; 4-byte Folded Spill
	buffer_store_dword v24, off, s[40:43], 0 offset:1120 ; 4-byte Folded Spill
	buffer_store_dword v25, off, s[40:43], 0 offset:1124 ; 4-byte Folded Spill
	buffer_store_dword v26, off, s[40:43], 0 offset:1128 ; 4-byte Folded Spill
	buffer_store_dword v27, off, s[40:43], 0 offset:1132 ; 4-byte Folded Spill
	buffer_store_dword v28, off, s[40:43], 0 offset:1136 ; 4-byte Folded Spill
	buffer_store_dword v29, off, s[40:43], 0 offset:1140 ; 4-byte Folded Spill
	buffer_store_dword v30, off, s[40:43], 0 offset:1144 ; 4-byte Folded Spill
	buffer_store_dword v31, off, s[40:43], 0 offset:1148 ; 4-byte Folded Spill
	v_mov_b32_e32 v13, 0
	v_mov_b32_e32 v12, 0
	buffer_store_dword v0, off, s[40:43], 0 offset:1280 ; 4-byte Folded Spill
	s_nop 0
	buffer_store_dword v1, off, s[40:43], 0 offset:1284 ; 4-byte Folded Spill
	buffer_store_dword v2, off, s[40:43], 0 offset:1288 ; 4-byte Folded Spill
	buffer_store_dword v3, off, s[40:43], 0 offset:1292 ; 4-byte Folded Spill
	buffer_store_dword v4, off, s[40:43], 0 offset:1296 ; 4-byte Folded Spill
	buffer_store_dword v5, off, s[40:43], 0 offset:1300 ; 4-byte Folded Spill
	buffer_store_dword v6, off, s[40:43], 0 offset:1304 ; 4-byte Folded Spill
	buffer_store_dword v7, off, s[40:43], 0 offset:1308 ; 4-byte Folded Spill
	buffer_store_dword v8, off, s[40:43], 0 offset:1312 ; 4-byte Folded Spill
	buffer_store_dword v9, off, s[40:43], 0 offset:1316 ; 4-byte Folded Spill
	buffer_store_dword v10, off, s[40:43], 0 offset:1320 ; 4-byte Folded Spill
	buffer_store_dword v11, off, s[40:43], 0 offset:1324 ; 4-byte Folded Spill
	buffer_store_dword v12, off, s[40:43], 0 offset:1328 ; 4-byte Folded Spill
	buffer_store_dword v13, off, s[40:43], 0 offset:1332 ; 4-byte Folded Spill
	buffer_store_dword v14, off, s[40:43], 0 offset:1336 ; 4-byte Folded Spill
	buffer_store_dword v15, off, s[40:43], 0 offset:1340 ; 4-byte Folded Spill
	buffer_store_dword v16, off, s[40:43], 0 offset:1344 ; 4-byte Folded Spill
	buffer_store_dword v17, off, s[40:43], 0 offset:1348 ; 4-byte Folded Spill
	buffer_store_dword v18, off, s[40:43], 0 offset:1352 ; 4-byte Folded Spill
	buffer_store_dword v19, off, s[40:43], 0 offset:1356 ; 4-byte Folded Spill
	buffer_store_dword v20, off, s[40:43], 0 offset:1360 ; 4-byte Folded Spill
	buffer_store_dword v21, off, s[40:43], 0 offset:1364 ; 4-byte Folded Spill
	buffer_store_dword v22, off, s[40:43], 0 offset:1368 ; 4-byte Folded Spill
	buffer_store_dword v23, off, s[40:43], 0 offset:1372 ; 4-byte Folded Spill
	buffer_store_dword v24, off, s[40:43], 0 offset:1376 ; 4-byte Folded Spill
	buffer_store_dword v25, off, s[40:43], 0 offset:1380 ; 4-byte Folded Spill
	buffer_store_dword v26, off, s[40:43], 0 offset:1384 ; 4-byte Folded Spill
	buffer_store_dword v27, off, s[40:43], 0 offset:1388 ; 4-byte Folded Spill
	buffer_store_dword v28, off, s[40:43], 0 offset:1392 ; 4-byte Folded Spill
	buffer_store_dword v29, off, s[40:43], 0 offset:1396 ; 4-byte Folded Spill
	buffer_store_dword v30, off, s[40:43], 0 offset:1400 ; 4-byte Folded Spill
	buffer_store_dword v31, off, s[40:43], 0 offset:1404 ; 4-byte Folded Spill
	v_mov_b32_e32 v11, 0
	v_mov_b32_e32 v10, 0
	buffer_store_dword v0, off, s[40:43], 0 offset:1408 ; 4-byte Folded Spill
	s_nop 0
	buffer_store_dword v1, off, s[40:43], 0 offset:1412 ; 4-byte Folded Spill
	buffer_store_dword v2, off, s[40:43], 0 offset:1416 ; 4-byte Folded Spill
	buffer_store_dword v3, off, s[40:43], 0 offset:1420 ; 4-byte Folded Spill
	buffer_store_dword v4, off, s[40:43], 0 offset:1424 ; 4-byte Folded Spill
	buffer_store_dword v5, off, s[40:43], 0 offset:1428 ; 4-byte Folded Spill
	buffer_store_dword v6, off, s[40:43], 0 offset:1432 ; 4-byte Folded Spill
	buffer_store_dword v7, off, s[40:43], 0 offset:1436 ; 4-byte Folded Spill
	buffer_store_dword v8, off, s[40:43], 0 offset:1440 ; 4-byte Folded Spill
	buffer_store_dword v9, off, s[40:43], 0 offset:1444 ; 4-byte Folded Spill
	buffer_store_dword v10, off, s[40:43], 0 offset:1448 ; 4-byte Folded Spill
	buffer_store_dword v11, off, s[40:43], 0 offset:1452 ; 4-byte Folded Spill
	buffer_store_dword v12, off, s[40:43], 0 offset:1456 ; 4-byte Folded Spill
	buffer_store_dword v13, off, s[40:43], 0 offset:1460 ; 4-byte Folded Spill
	buffer_store_dword v14, off, s[40:43], 0 offset:1464 ; 4-byte Folded Spill
	buffer_store_dword v15, off, s[40:43], 0 offset:1468 ; 4-byte Folded Spill
	buffer_store_dword v16, off, s[40:43], 0 offset:1472 ; 4-byte Folded Spill
	buffer_store_dword v17, off, s[40:43], 0 offset:1476 ; 4-byte Folded Spill
	buffer_store_dword v18, off, s[40:43], 0 offset:1480 ; 4-byte Folded Spill
	buffer_store_dword v19, off, s[40:43], 0 offset:1484 ; 4-byte Folded Spill
	buffer_store_dword v20, off, s[40:43], 0 offset:1488 ; 4-byte Folded Spill
	buffer_store_dword v21, off, s[40:43], 0 offset:1492 ; 4-byte Folded Spill
	buffer_store_dword v22, off, s[40:43], 0 offset:1496 ; 4-byte Folded Spill
	buffer_store_dword v23, off, s[40:43], 0 offset:1500 ; 4-byte Folded Spill
	buffer_store_dword v24, off, s[40:43], 0 offset:1504 ; 4-byte Folded Spill
	buffer_store_dword v25, off, s[40:43], 0 offset:1508 ; 4-byte Folded Spill
	buffer_store_dword v26, off, s[40:43], 0 offset:1512 ; 4-byte Folded Spill
	buffer_store_dword v27, off, s[40:43], 0 offset:1516 ; 4-byte Folded Spill
	buffer_store_dword v28, off, s[40:43], 0 offset:1520 ; 4-byte Folded Spill
	buffer_store_dword v29, off, s[40:43], 0 offset:1524 ; 4-byte Folded Spill
	buffer_store_dword v30, off, s[40:43], 0 offset:1528 ; 4-byte Folded Spill
	buffer_store_dword v31, off, s[40:43], 0 offset:1532 ; 4-byte Folded Spill
	v_mov_b32_e32 v9, 0
	v_mov_b32_e32 v8, 0
	buffer_store_dword v0, off, s[40:43], 0 offset:1536 ; 4-byte Folded Spill
	s_nop 0
	buffer_store_dword v1, off, s[40:43], 0 offset:1540 ; 4-byte Folded Spill
	buffer_store_dword v2, off, s[40:43], 0 offset:1544 ; 4-byte Folded Spill
	buffer_store_dword v3, off, s[40:43], 0 offset:1548 ; 4-byte Folded Spill
	buffer_store_dword v4, off, s[40:43], 0 offset:1552 ; 4-byte Folded Spill
	buffer_store_dword v5, off, s[40:43], 0 offset:1556 ; 4-byte Folded Spill
	buffer_store_dword v6, off, s[40:43], 0 offset:1560 ; 4-byte Folded Spill
	buffer_store_dword v7, off, s[40:43], 0 offset:1564 ; 4-byte Folded Spill
	buffer_store_dword v8, off, s[40:43], 0 offset:1568 ; 4-byte Folded Spill
	buffer_store_dword v9, off, s[40:43], 0 offset:1572 ; 4-byte Folded Spill
	buffer_store_dword v10, off, s[40:43], 0 offset:1576 ; 4-byte Folded Spill
	buffer_store_dword v11, off, s[40:43], 0 offset:1580 ; 4-byte Folded Spill
	buffer_store_dword v12, off, s[40:43], 0 offset:1584 ; 4-byte Folded Spill
	buffer_store_dword v13, off, s[40:43], 0 offset:1588 ; 4-byte Folded Spill
	buffer_store_dword v14, off, s[40:43], 0 offset:1592 ; 4-byte Folded Spill
	buffer_store_dword v15, off, s[40:43], 0 offset:1596 ; 4-byte Folded Spill
	buffer_store_dword v16, off, s[40:43], 0 offset:1600 ; 4-byte Folded Spill
	buffer_store_dword v17, off, s[40:43], 0 offset:1604 ; 4-byte Folded Spill
	buffer_store_dword v18, off, s[40:43], 0 offset:1608 ; 4-byte Folded Spill
	buffer_store_dword v19, off, s[40:43], 0 offset:1612 ; 4-byte Folded Spill
	buffer_store_dword v20, off, s[40:43], 0 offset:1616 ; 4-byte Folded Spill
	buffer_store_dword v21, off, s[40:43], 0 offset:1620 ; 4-byte Folded Spill
	buffer_store_dword v22, off, s[40:43], 0 offset:1624 ; 4-byte Folded Spill
	buffer_store_dword v23, off, s[40:43], 0 offset:1628 ; 4-byte Folded Spill
	buffer_store_dword v24, off, s[40:43], 0 offset:1632 ; 4-byte Folded Spill
	buffer_store_dword v25, off, s[40:43], 0 offset:1636 ; 4-byte Folded Spill
	buffer_store_dword v26, off, s[40:43], 0 offset:1640 ; 4-byte Folded Spill
	buffer_store_dword v27, off, s[40:43], 0 offset:1644 ; 4-byte Folded Spill
	buffer_store_dword v28, off, s[40:43], 0 offset:1648 ; 4-byte Folded Spill
	buffer_store_dword v29, off, s[40:43], 0 offset:1652 ; 4-byte Folded Spill
	buffer_store_dword v30, off, s[40:43], 0 offset:1656 ; 4-byte Folded Spill
	buffer_store_dword v31, off, s[40:43], 0 offset:1660 ; 4-byte Folded Spill
	v_mov_b32_e32 v7, 0
	v_mov_b32_e32 v6, 0
	buffer_store_dword v0, off, s[40:43], 0 offset:1664 ; 4-byte Folded Spill
	s_nop 0
	buffer_store_dword v1, off, s[40:43], 0 offset:1668 ; 4-byte Folded Spill
	buffer_store_dword v2, off, s[40:43], 0 offset:1672 ; 4-byte Folded Spill
	buffer_store_dword v3, off, s[40:43], 0 offset:1676 ; 4-byte Folded Spill
	buffer_store_dword v4, off, s[40:43], 0 offset:1680 ; 4-byte Folded Spill
	buffer_store_dword v5, off, s[40:43], 0 offset:1684 ; 4-byte Folded Spill
	buffer_store_dword v6, off, s[40:43], 0 offset:1688 ; 4-byte Folded Spill
	buffer_store_dword v7, off, s[40:43], 0 offset:1692 ; 4-byte Folded Spill
	buffer_store_dword v8, off, s[40:43], 0 offset:1696 ; 4-byte Folded Spill
	buffer_store_dword v9, off, s[40:43], 0 offset:1700 ; 4-byte Folded Spill
	buffer_store_dword v10, off, s[40:43], 0 offset:1704 ; 4-byte Folded Spill
	buffer_store_dword v11, off, s[40:43], 0 offset:1708 ; 4-byte Folded Spill
	buffer_store_dword v12, off, s[40:43], 0 offset:1712 ; 4-byte Folded Spill
	buffer_store_dword v13, off, s[40:43], 0 offset:1716 ; 4-byte Folded Spill
	buffer_store_dword v14, off, s[40:43], 0 offset:1720 ; 4-byte Folded Spill
	buffer_store_dword v15, off, s[40:43], 0 offset:1724 ; 4-byte Folded Spill
	buffer_store_dword v16, off, s[40:43], 0 offset:1728 ; 4-byte Folded Spill
	buffer_store_dword v17, off, s[40:43], 0 offset:1732 ; 4-byte Folded Spill
	buffer_store_dword v18, off, s[40:43], 0 offset:1736 ; 4-byte Folded Spill
	buffer_store_dword v19, off, s[40:43], 0 offset:1740 ; 4-byte Folded Spill
	buffer_store_dword v20, off, s[40:43], 0 offset:1744 ; 4-byte Folded Spill
	buffer_store_dword v21, off, s[40:43], 0 offset:1748 ; 4-byte Folded Spill
	buffer_store_dword v22, off, s[40:43], 0 offset:1752 ; 4-byte Folded Spill
	buffer_store_dword v23, off, s[40:43], 0 offset:1756 ; 4-byte Folded Spill
	buffer_store_dword v24, off, s[40:43], 0 offset:1760 ; 4-byte Folded Spill
	buffer_store_dword v25, off, s[40:43], 0 offset:1764 ; 4-byte Folded Spill
	buffer_store_dword v26, off, s[40:43], 0 offset:1768 ; 4-byte Folded Spill
	buffer_store_dword v27, off, s[40:43], 0 offset:1772 ; 4-byte Folded Spill
	buffer_store_dword v28, off, s[40:43], 0 offset:1776 ; 4-byte Folded Spill
	buffer_store_dword v29, off, s[40:43], 0 offset:1780 ; 4-byte Folded Spill
	buffer_store_dword v30, off, s[40:43], 0 offset:1784 ; 4-byte Folded Spill
	buffer_store_dword v31, off, s[40:43], 0 offset:1788 ; 4-byte Folded Spill
	v_mov_b32_e32 v5, 0
	v_mov_b32_e32 v4, 0
	buffer_store_dword v0, off, s[40:43], 0 ; 4-byte Folded Spill
	s_nop 0
	buffer_store_dword v1, off, s[40:43], 0 offset:4 ; 4-byte Folded Spill
	buffer_store_dword v2, off, s[40:43], 0 offset:8 ; 4-byte Folded Spill
	;; [unrolled: 1-line block ×31, first 2 shown]
	v_mov_b32_e32 v3, 0
	v_mov_b32_e32 v2, 0
	buffer_store_dword v0, off, s[40:43], 0 offset:128 ; 4-byte Folded Spill
	s_nop 0
	buffer_store_dword v1, off, s[40:43], 0 offset:132 ; 4-byte Folded Spill
	buffer_store_dword v2, off, s[40:43], 0 offset:136 ; 4-byte Folded Spill
	;; [unrolled: 1-line block ×31, first 2 shown]
	s_and_saveexec_b64 s[2:3], s[0:1]
	s_cbranch_execz .LBB84_6
; %bb.5:
	s_waitcnt vmcnt(62)
	v_cvt_f32_u32_sdwa v2, v121 dst_sel:DWORD dst_unused:UNUSED_PAD src0_sel:WORD_0
	v_cvt_f32_u32_sdwa v3, v121 dst_sel:DWORD dst_unused:UNUSED_PAD src0_sel:WORD_1
	v_cvt_f32_u32_sdwa v34, v120 dst_sel:DWORD dst_unused:UNUSED_PAD src0_sel:WORD_0
	v_cvt_f32_u32_sdwa v35, v120 dst_sel:DWORD dst_unused:UNUSED_PAD src0_sel:WORD_1
	buffer_store_dword v0, off, s[40:43], 0 offset:128 ; 4-byte Folded Spill
	s_nop 0
	buffer_store_dword v1, off, s[40:43], 0 offset:132 ; 4-byte Folded Spill
	buffer_store_dword v2, off, s[40:43], 0 offset:136 ; 4-byte Folded Spill
	;; [unrolled: 1-line block ×31, first 2 shown]
	v_cvt_f32_u32_sdwa v4, v122 dst_sel:DWORD dst_unused:UNUSED_PAD src0_sel:WORD_0
	v_cvt_f32_u32_sdwa v5, v122 dst_sel:DWORD dst_unused:UNUSED_PAD src0_sel:WORD_1
	v_cvt_f32_u32_sdwa v70, v127 dst_sel:DWORD dst_unused:UNUSED_PAD src0_sel:WORD_0
	v_cvt_f32_u32_sdwa v71, v127 dst_sel:DWORD dst_unused:UNUSED_PAD src0_sel:WORD_1
	buffer_store_dword v0, off, s[40:43], 0 ; 4-byte Folded Spill
	s_nop 0
	buffer_store_dword v1, off, s[40:43], 0 offset:4 ; 4-byte Folded Spill
	buffer_store_dword v2, off, s[40:43], 0 offset:8 ; 4-byte Folded Spill
	buffer_store_dword v3, off, s[40:43], 0 offset:12 ; 4-byte Folded Spill
	buffer_store_dword v4, off, s[40:43], 0 offset:16 ; 4-byte Folded Spill
	buffer_store_dword v5, off, s[40:43], 0 offset:20 ; 4-byte Folded Spill
	buffer_store_dword v6, off, s[40:43], 0 offset:24 ; 4-byte Folded Spill
	buffer_store_dword v7, off, s[40:43], 0 offset:28 ; 4-byte Folded Spill
	buffer_store_dword v8, off, s[40:43], 0 offset:32 ; 4-byte Folded Spill
	buffer_store_dword v9, off, s[40:43], 0 offset:36 ; 4-byte Folded Spill
	buffer_store_dword v10, off, s[40:43], 0 offset:40 ; 4-byte Folded Spill
	buffer_store_dword v11, off, s[40:43], 0 offset:44 ; 4-byte Folded Spill
	buffer_store_dword v12, off, s[40:43], 0 offset:48 ; 4-byte Folded Spill
	buffer_store_dword v13, off, s[40:43], 0 offset:52 ; 4-byte Folded Spill
	buffer_store_dword v14, off, s[40:43], 0 offset:56 ; 4-byte Folded Spill
	buffer_store_dword v15, off, s[40:43], 0 offset:60 ; 4-byte Folded Spill
	buffer_store_dword v16, off, s[40:43], 0 offset:64 ; 4-byte Folded Spill
	buffer_store_dword v17, off, s[40:43], 0 offset:68 ; 4-byte Folded Spill
	buffer_store_dword v18, off, s[40:43], 0 offset:72 ; 4-byte Folded Spill
	buffer_store_dword v19, off, s[40:43], 0 offset:76 ; 4-byte Folded Spill
	buffer_store_dword v20, off, s[40:43], 0 offset:80 ; 4-byte Folded Spill
	buffer_store_dword v21, off, s[40:43], 0 offset:84 ; 4-byte Folded Spill
	buffer_store_dword v22, off, s[40:43], 0 offset:88 ; 4-byte Folded Spill
	buffer_store_dword v23, off, s[40:43], 0 offset:92 ; 4-byte Folded Spill
	buffer_store_dword v24, off, s[40:43], 0 offset:96 ; 4-byte Folded Spill
	buffer_store_dword v25, off, s[40:43], 0 offset:100 ; 4-byte Folded Spill
	buffer_store_dword v26, off, s[40:43], 0 offset:104 ; 4-byte Folded Spill
	buffer_store_dword v27, off, s[40:43], 0 offset:108 ; 4-byte Folded Spill
	buffer_store_dword v28, off, s[40:43], 0 offset:112 ; 4-byte Folded Spill
	buffer_store_dword v29, off, s[40:43], 0 offset:116 ; 4-byte Folded Spill
	buffer_store_dword v30, off, s[40:43], 0 offset:120 ; 4-byte Folded Spill
	buffer_store_dword v31, off, s[40:43], 0 offset:124 ; 4-byte Folded Spill
	v_cvt_f32_u32_sdwa v6, v123 dst_sel:DWORD dst_unused:UNUSED_PAD src0_sel:WORD_0
	v_cvt_f32_u32_sdwa v7, v123 dst_sel:DWORD dst_unused:UNUSED_PAD src0_sel:WORD_1
	buffer_store_dword v0, off, s[40:43], 0 offset:1664 ; 4-byte Folded Spill
	s_nop 0
	buffer_store_dword v1, off, s[40:43], 0 offset:1668 ; 4-byte Folded Spill
	buffer_store_dword v2, off, s[40:43], 0 offset:1672 ; 4-byte Folded Spill
	buffer_store_dword v3, off, s[40:43], 0 offset:1676 ; 4-byte Folded Spill
	buffer_store_dword v4, off, s[40:43], 0 offset:1680 ; 4-byte Folded Spill
	buffer_store_dword v5, off, s[40:43], 0 offset:1684 ; 4-byte Folded Spill
	buffer_store_dword v6, off, s[40:43], 0 offset:1688 ; 4-byte Folded Spill
	buffer_store_dword v7, off, s[40:43], 0 offset:1692 ; 4-byte Folded Spill
	buffer_store_dword v8, off, s[40:43], 0 offset:1696 ; 4-byte Folded Spill
	buffer_store_dword v9, off, s[40:43], 0 offset:1700 ; 4-byte Folded Spill
	buffer_store_dword v10, off, s[40:43], 0 offset:1704 ; 4-byte Folded Spill
	buffer_store_dword v11, off, s[40:43], 0 offset:1708 ; 4-byte Folded Spill
	buffer_store_dword v12, off, s[40:43], 0 offset:1712 ; 4-byte Folded Spill
	buffer_store_dword v13, off, s[40:43], 0 offset:1716 ; 4-byte Folded Spill
	buffer_store_dword v14, off, s[40:43], 0 offset:1720 ; 4-byte Folded Spill
	buffer_store_dword v15, off, s[40:43], 0 offset:1724 ; 4-byte Folded Spill
	buffer_store_dword v16, off, s[40:43], 0 offset:1728 ; 4-byte Folded Spill
	buffer_store_dword v17, off, s[40:43], 0 offset:1732 ; 4-byte Folded Spill
	buffer_store_dword v18, off, s[40:43], 0 offset:1736 ; 4-byte Folded Spill
	buffer_store_dword v19, off, s[40:43], 0 offset:1740 ; 4-byte Folded Spill
	buffer_store_dword v20, off, s[40:43], 0 offset:1744 ; 4-byte Folded Spill
	buffer_store_dword v21, off, s[40:43], 0 offset:1748 ; 4-byte Folded Spill
	buffer_store_dword v22, off, s[40:43], 0 offset:1752 ; 4-byte Folded Spill
	buffer_store_dword v23, off, s[40:43], 0 offset:1756 ; 4-byte Folded Spill
	buffer_store_dword v24, off, s[40:43], 0 offset:1760 ; 4-byte Folded Spill
	buffer_store_dword v25, off, s[40:43], 0 offset:1764 ; 4-byte Folded Spill
	buffer_store_dword v26, off, s[40:43], 0 offset:1768 ; 4-byte Folded Spill
	buffer_store_dword v27, off, s[40:43], 0 offset:1772 ; 4-byte Folded Spill
	buffer_store_dword v28, off, s[40:43], 0 offset:1776 ; 4-byte Folded Spill
	buffer_store_dword v29, off, s[40:43], 0 offset:1780 ; 4-byte Folded Spill
	buffer_store_dword v30, off, s[40:43], 0 offset:1784 ; 4-byte Folded Spill
	buffer_store_dword v31, off, s[40:43], 0 offset:1788 ; 4-byte Folded Spill
	v_cvt_f32_u32_sdwa v8, v66 dst_sel:DWORD dst_unused:UNUSED_PAD src0_sel:WORD_0
	v_cvt_f32_u32_sdwa v9, v66 dst_sel:DWORD dst_unused:UNUSED_PAD src0_sel:WORD_1
	buffer_store_dword v0, off, s[40:43], 0 offset:1536 ; 4-byte Folded Spill
	;; [unrolled: 35-line block ×12, first 2 shown]
	s_nop 0
	buffer_store_dword v1, off, s[40:43], 0 offset:260 ; 4-byte Folded Spill
	buffer_store_dword v2, off, s[40:43], 0 offset:264 ; 4-byte Folded Spill
	buffer_store_dword v3, off, s[40:43], 0 offset:268 ; 4-byte Folded Spill
	buffer_store_dword v4, off, s[40:43], 0 offset:272 ; 4-byte Folded Spill
	buffer_store_dword v5, off, s[40:43], 0 offset:276 ; 4-byte Folded Spill
	buffer_store_dword v6, off, s[40:43], 0 offset:280 ; 4-byte Folded Spill
	buffer_store_dword v7, off, s[40:43], 0 offset:284 ; 4-byte Folded Spill
	buffer_store_dword v8, off, s[40:43], 0 offset:288 ; 4-byte Folded Spill
	buffer_store_dword v9, off, s[40:43], 0 offset:292 ; 4-byte Folded Spill
	buffer_store_dword v10, off, s[40:43], 0 offset:296 ; 4-byte Folded Spill
	buffer_store_dword v11, off, s[40:43], 0 offset:300 ; 4-byte Folded Spill
	buffer_store_dword v12, off, s[40:43], 0 offset:304 ; 4-byte Folded Spill
	buffer_store_dword v13, off, s[40:43], 0 offset:308 ; 4-byte Folded Spill
	buffer_store_dword v14, off, s[40:43], 0 offset:312 ; 4-byte Folded Spill
	buffer_store_dword v15, off, s[40:43], 0 offset:316 ; 4-byte Folded Spill
	buffer_store_dword v16, off, s[40:43], 0 offset:320 ; 4-byte Folded Spill
	buffer_store_dword v17, off, s[40:43], 0 offset:324 ; 4-byte Folded Spill
	buffer_store_dword v18, off, s[40:43], 0 offset:328 ; 4-byte Folded Spill
	buffer_store_dword v19, off, s[40:43], 0 offset:332 ; 4-byte Folded Spill
	buffer_store_dword v20, off, s[40:43], 0 offset:336 ; 4-byte Folded Spill
	buffer_store_dword v21, off, s[40:43], 0 offset:340 ; 4-byte Folded Spill
	buffer_store_dword v22, off, s[40:43], 0 offset:344 ; 4-byte Folded Spill
	buffer_store_dword v23, off, s[40:43], 0 offset:348 ; 4-byte Folded Spill
	buffer_store_dword v24, off, s[40:43], 0 offset:352 ; 4-byte Folded Spill
	buffer_store_dword v25, off, s[40:43], 0 offset:356 ; 4-byte Folded Spill
	buffer_store_dword v26, off, s[40:43], 0 offset:360 ; 4-byte Folded Spill
	buffer_store_dword v27, off, s[40:43], 0 offset:364 ; 4-byte Folded Spill
	buffer_store_dword v28, off, s[40:43], 0 offset:368 ; 4-byte Folded Spill
	buffer_store_dword v29, off, s[40:43], 0 offset:372 ; 4-byte Folded Spill
	buffer_store_dword v30, off, s[40:43], 0 offset:376 ; 4-byte Folded Spill
	buffer_store_dword v31, off, s[40:43], 0 offset:380 ; 4-byte Folded Spill
.LBB84_6:
	s_or_b64 exec, exec, s[2:3]
	s_cbranch_execz .LBB84_8
	s_branch .LBB84_11
.LBB84_7:
                                        ; implicit-def: $vgpr2_vgpr3_vgpr4_vgpr5_vgpr6_vgpr7_vgpr8_vgpr9_vgpr10_vgpr11_vgpr12_vgpr13_vgpr14_vgpr15_vgpr16_vgpr17_vgpr18_vgpr19_vgpr20_vgpr21_vgpr22_vgpr23_vgpr24_vgpr25_vgpr26_vgpr27_vgpr28_vgpr29_vgpr30_vgpr31_vgpr32_vgpr33
                                        ; kill: killed $vgpr2_vgpr3_vgpr4_vgpr5_vgpr6_vgpr7_vgpr8_vgpr9_vgpr10_vgpr11_vgpr12_vgpr13_vgpr14_vgpr15_vgpr16_vgpr17_vgpr18_vgpr19_vgpr20_vgpr21_vgpr22_vgpr23_vgpr24_vgpr25_vgpr26_vgpr27_vgpr28_vgpr29_vgpr30_vgpr31_vgpr32_vgpr33
                                        ; implicit-def: $vgpr2_vgpr3_vgpr4_vgpr5_vgpr6_vgpr7_vgpr8_vgpr9_vgpr10_vgpr11_vgpr12_vgpr13_vgpr14_vgpr15_vgpr16_vgpr17_vgpr18_vgpr19_vgpr20_vgpr21_vgpr22_vgpr23_vgpr24_vgpr25_vgpr26_vgpr27_vgpr28_vgpr29_vgpr30_vgpr31_vgpr32_vgpr33
                                        ; kill: killed $vgpr2_vgpr3_vgpr4_vgpr5_vgpr6_vgpr7_vgpr8_vgpr9_vgpr10_vgpr11_vgpr12_vgpr13_vgpr14_vgpr15_vgpr16_vgpr17_vgpr18_vgpr19_vgpr20_vgpr21_vgpr22_vgpr23_vgpr24_vgpr25_vgpr26_vgpr27_vgpr28_vgpr29_vgpr30_vgpr31_vgpr32_vgpr33
                                        ; implicit-def: $vgpr71
                                        ; implicit-def: $vgpr34_vgpr35_vgpr36_vgpr37_vgpr38_vgpr39_vgpr40_vgpr41_vgpr42_vgpr43_vgpr44_vgpr45_vgpr46_vgpr47_vgpr48_vgpr49_vgpr50_vgpr51_vgpr52_vgpr53_vgpr54_vgpr55_vgpr56_vgpr57_vgpr58_vgpr59_vgpr60_vgpr61_vgpr62_vgpr63_vgpr64_vgpr65
                                        ; implicit-def: $vgpr2_vgpr3_vgpr4_vgpr5_vgpr6_vgpr7_vgpr8_vgpr9_vgpr10_vgpr11_vgpr12_vgpr13_vgpr14_vgpr15_vgpr16_vgpr17_vgpr18_vgpr19_vgpr20_vgpr21_vgpr22_vgpr23_vgpr24_vgpr25_vgpr26_vgpr27_vgpr28_vgpr29_vgpr30_vgpr31_vgpr32_vgpr33
                                        ; kill: killed $vgpr2_vgpr3_vgpr4_vgpr5_vgpr6_vgpr7_vgpr8_vgpr9_vgpr10_vgpr11_vgpr12_vgpr13_vgpr14_vgpr15_vgpr16_vgpr17_vgpr18_vgpr19_vgpr20_vgpr21_vgpr22_vgpr23_vgpr24_vgpr25_vgpr26_vgpr27_vgpr28_vgpr29_vgpr30_vgpr31_vgpr32_vgpr33
                                        ; implicit-def: $vgpr2_vgpr3_vgpr4_vgpr5_vgpr6_vgpr7_vgpr8_vgpr9_vgpr10_vgpr11_vgpr12_vgpr13_vgpr14_vgpr15_vgpr16_vgpr17_vgpr18_vgpr19_vgpr20_vgpr21_vgpr22_vgpr23_vgpr24_vgpr25_vgpr26_vgpr27_vgpr28_vgpr29_vgpr30_vgpr31_vgpr32_vgpr33
                                        ; kill: killed $vgpr2_vgpr3_vgpr4_vgpr5_vgpr6_vgpr7_vgpr8_vgpr9_vgpr10_vgpr11_vgpr12_vgpr13_vgpr14_vgpr15_vgpr16_vgpr17_vgpr18_vgpr19_vgpr20_vgpr21_vgpr22_vgpr23_vgpr24_vgpr25_vgpr26_vgpr27_vgpr28_vgpr29_vgpr30_vgpr31_vgpr32_vgpr33
	;; [unrolled: 2-line block ×12, first 2 shown]
.LBB84_8:
	v_mov_b32_e32 v29, 0
	v_mov_b32_e32 v28, 0
	buffer_store_dword v0, off, s[40:43], 0 offset:256 ; 4-byte Folded Spill
	s_nop 0
	buffer_store_dword v1, off, s[40:43], 0 offset:260 ; 4-byte Folded Spill
	buffer_store_dword v2, off, s[40:43], 0 offset:264 ; 4-byte Folded Spill
	;; [unrolled: 1-line block ×31, first 2 shown]
	v_mov_b32_e32 v27, 0
	v_mov_b32_e32 v26, 0
	;; [unrolled: 1-line block ×6, first 2 shown]
	buffer_store_dword v0, off, s[40:43], 0 offset:384 ; 4-byte Folded Spill
	s_nop 0
	buffer_store_dword v1, off, s[40:43], 0 offset:388 ; 4-byte Folded Spill
	buffer_store_dword v2, off, s[40:43], 0 offset:392 ; 4-byte Folded Spill
	buffer_store_dword v3, off, s[40:43], 0 offset:396 ; 4-byte Folded Spill
	buffer_store_dword v4, off, s[40:43], 0 offset:400 ; 4-byte Folded Spill
	buffer_store_dword v5, off, s[40:43], 0 offset:404 ; 4-byte Folded Spill
	buffer_store_dword v6, off, s[40:43], 0 offset:408 ; 4-byte Folded Spill
	buffer_store_dword v7, off, s[40:43], 0 offset:412 ; 4-byte Folded Spill
	buffer_store_dword v8, off, s[40:43], 0 offset:416 ; 4-byte Folded Spill
	buffer_store_dword v9, off, s[40:43], 0 offset:420 ; 4-byte Folded Spill
	buffer_store_dword v10, off, s[40:43], 0 offset:424 ; 4-byte Folded Spill
	buffer_store_dword v11, off, s[40:43], 0 offset:428 ; 4-byte Folded Spill
	buffer_store_dword v12, off, s[40:43], 0 offset:432 ; 4-byte Folded Spill
	buffer_store_dword v13, off, s[40:43], 0 offset:436 ; 4-byte Folded Spill
	buffer_store_dword v14, off, s[40:43], 0 offset:440 ; 4-byte Folded Spill
	buffer_store_dword v15, off, s[40:43], 0 offset:444 ; 4-byte Folded Spill
	buffer_store_dword v16, off, s[40:43], 0 offset:448 ; 4-byte Folded Spill
	buffer_store_dword v17, off, s[40:43], 0 offset:452 ; 4-byte Folded Spill
	buffer_store_dword v18, off, s[40:43], 0 offset:456 ; 4-byte Folded Spill
	buffer_store_dword v19, off, s[40:43], 0 offset:460 ; 4-byte Folded Spill
	buffer_store_dword v20, off, s[40:43], 0 offset:464 ; 4-byte Folded Spill
	buffer_store_dword v21, off, s[40:43], 0 offset:468 ; 4-byte Folded Spill
	buffer_store_dword v22, off, s[40:43], 0 offset:472 ; 4-byte Folded Spill
	buffer_store_dword v23, off, s[40:43], 0 offset:476 ; 4-byte Folded Spill
	buffer_store_dword v24, off, s[40:43], 0 offset:480 ; 4-byte Folded Spill
	buffer_store_dword v25, off, s[40:43], 0 offset:484 ; 4-byte Folded Spill
	buffer_store_dword v26, off, s[40:43], 0 offset:488 ; 4-byte Folded Spill
	buffer_store_dword v27, off, s[40:43], 0 offset:492 ; 4-byte Folded Spill
	buffer_store_dword v28, off, s[40:43], 0 offset:496 ; 4-byte Folded Spill
	buffer_store_dword v29, off, s[40:43], 0 offset:500 ; 4-byte Folded Spill
	buffer_store_dword v30, off, s[40:43], 0 offset:504 ; 4-byte Folded Spill
	buffer_store_dword v31, off, s[40:43], 0 offset:508 ; 4-byte Folded Spill
	v_mov_b32_e32 v25, 0
	v_mov_b32_e32 v24, 0
	buffer_store_dword v0, off, s[40:43], 0 offset:640 ; 4-byte Folded Spill
	s_nop 0
	buffer_store_dword v1, off, s[40:43], 0 offset:644 ; 4-byte Folded Spill
	buffer_store_dword v2, off, s[40:43], 0 offset:648 ; 4-byte Folded Spill
	buffer_store_dword v3, off, s[40:43], 0 offset:652 ; 4-byte Folded Spill
	buffer_store_dword v4, off, s[40:43], 0 offset:656 ; 4-byte Folded Spill
	buffer_store_dword v5, off, s[40:43], 0 offset:660 ; 4-byte Folded Spill
	buffer_store_dword v6, off, s[40:43], 0 offset:664 ; 4-byte Folded Spill
	buffer_store_dword v7, off, s[40:43], 0 offset:668 ; 4-byte Folded Spill
	buffer_store_dword v8, off, s[40:43], 0 offset:672 ; 4-byte Folded Spill
	buffer_store_dword v9, off, s[40:43], 0 offset:676 ; 4-byte Folded Spill
	buffer_store_dword v10, off, s[40:43], 0 offset:680 ; 4-byte Folded Spill
	buffer_store_dword v11, off, s[40:43], 0 offset:684 ; 4-byte Folded Spill
	buffer_store_dword v12, off, s[40:43], 0 offset:688 ; 4-byte Folded Spill
	buffer_store_dword v13, off, s[40:43], 0 offset:692 ; 4-byte Folded Spill
	buffer_store_dword v14, off, s[40:43], 0 offset:696 ; 4-byte Folded Spill
	buffer_store_dword v15, off, s[40:43], 0 offset:700 ; 4-byte Folded Spill
	buffer_store_dword v16, off, s[40:43], 0 offset:704 ; 4-byte Folded Spill
	buffer_store_dword v17, off, s[40:43], 0 offset:708 ; 4-byte Folded Spill
	buffer_store_dword v18, off, s[40:43], 0 offset:712 ; 4-byte Folded Spill
	buffer_store_dword v19, off, s[40:43], 0 offset:716 ; 4-byte Folded Spill
	buffer_store_dword v20, off, s[40:43], 0 offset:720 ; 4-byte Folded Spill
	buffer_store_dword v21, off, s[40:43], 0 offset:724 ; 4-byte Folded Spill
	buffer_store_dword v22, off, s[40:43], 0 offset:728 ; 4-byte Folded Spill
	buffer_store_dword v23, off, s[40:43], 0 offset:732 ; 4-byte Folded Spill
	buffer_store_dword v24, off, s[40:43], 0 offset:736 ; 4-byte Folded Spill
	buffer_store_dword v25, off, s[40:43], 0 offset:740 ; 4-byte Folded Spill
	buffer_store_dword v26, off, s[40:43], 0 offset:744 ; 4-byte Folded Spill
	buffer_store_dword v27, off, s[40:43], 0 offset:748 ; 4-byte Folded Spill
	buffer_store_dword v28, off, s[40:43], 0 offset:752 ; 4-byte Folded Spill
	buffer_store_dword v29, off, s[40:43], 0 offset:756 ; 4-byte Folded Spill
	buffer_store_dword v30, off, s[40:43], 0 offset:760 ; 4-byte Folded Spill
	buffer_store_dword v31, off, s[40:43], 0 offset:764 ; 4-byte Folded Spill
	v_mov_b32_e32 v23, 0
	v_mov_b32_e32 v22, 0
	;; [unrolled: 35-line block ×11, first 2 shown]
	buffer_store_dword v0, off, s[40:43], 0 ; 4-byte Folded Spill
	s_nop 0
	buffer_store_dword v1, off, s[40:43], 0 offset:4 ; 4-byte Folded Spill
	buffer_store_dword v2, off, s[40:43], 0 offset:8 ; 4-byte Folded Spill
	;; [unrolled: 1-line block ×31, first 2 shown]
	v_mov_b32_e32 v3, 0
	v_mov_b32_e32 v2, 0
	buffer_store_dword v0, off, s[40:43], 0 offset:128 ; 4-byte Folded Spill
	s_nop 0
	buffer_store_dword v1, off, s[40:43], 0 offset:132 ; 4-byte Folded Spill
	buffer_store_dword v2, off, s[40:43], 0 offset:136 ; 4-byte Folded Spill
	;; [unrolled: 1-line block ×31, first 2 shown]
	s_and_saveexec_b64 s[2:3], s[0:1]
	s_cbranch_execz .LBB84_10
; %bb.9:
	s_load_dwordx2 s[38:39], s[4:5], 0x38
	s_load_dwordx2 s[36:37], s[4:5], 0x20
	s_mul_hi_i32 s29, s19, s6
	s_mul_i32 s28, s19, s6
	s_lshl_b64 s[28:29], s[28:29], 1
	s_waitcnt lgkmcnt(0)
	s_add_u32 s28, s38, s28
	s_addc_u32 s14, s39, s29
	s_mov_b32 s31, 0x20000
	s_and_b32 s29, s14, 0xffff
	v_lshlrev_b32_e32 v44, 1, v1
	s_movk_i32 s19, 0x400
	s_movk_i32 s17, 0x800
	;; [unrolled: 1-line block ×3, first 2 shown]
	buffer_load_dwordx4 v[14:17], v44, s[28:31], s19 offen glc slc
	buffer_load_dwordx4 v[10:13], v44, s[28:31], s17 offen glc slc
	;; [unrolled: 1-line block ×4, first 2 shown]
	s_waitcnt vmcnt(62)
	v_cvt_f32_u32_sdwa v19, v66 dst_sel:DWORD dst_unused:UNUSED_PAD src0_sel:WORD_1
	v_cvt_f32_u32_sdwa v18, v66 dst_sel:DWORD dst_unused:UNUSED_PAD src0_sel:WORD_0
	v_cvt_f32_u32_sdwa v21, v67 dst_sel:DWORD dst_unused:UNUSED_PAD src0_sel:WORD_1
	v_cvt_f32_u32_sdwa v20, v67 dst_sel:DWORD dst_unused:UNUSED_PAD src0_sel:WORD_0
	;; [unrolled: 2-line block ×11, first 2 shown]
	s_mov_b32 s33, 0x7060302
	v_cvt_f32_u32_sdwa v35, v120 dst_sel:DWORD dst_unused:UNUSED_PAD src0_sel:WORD_1
	v_cvt_f32_u32_sdwa v34, v120 dst_sel:DWORD dst_unused:UNUSED_PAD src0_sel:WORD_0
	s_mul_hi_i32 s27, s26, s6
	s_mul_i32 s26, s26, s6
	v_cvt_f32_u32_sdwa v39, v101 dst_sel:DWORD dst_unused:UNUSED_PAD src0_sel:WORD_1
	v_cvt_f32_u32_sdwa v38, v101 dst_sel:DWORD dst_unused:UNUSED_PAD src0_sel:WORD_0
	v_cvt_f32_u32_sdwa v37, v125 dst_sel:DWORD dst_unused:UNUSED_PAD src0_sel:WORD_1
	v_cvt_f32_u32_sdwa v36, v125 dst_sel:DWORD dst_unused:UNUSED_PAD src0_sel:WORD_0
	;; [unrolled: 2-line block ×3, first 2 shown]
	v_cvt_f32_u32_sdwa v42, v127 dst_sel:DWORD dst_unused:UNUSED_PAD src0_sel:WORD_0
	v_cvt_f32_u32_sdwa v43, v127 dst_sel:DWORD dst_unused:UNUSED_PAD src0_sel:WORD_1
	s_lshl_b64 s[26:27], s[26:27], 1
	s_add_u32 s28, s36, s26
	s_addc_u32 s26, s37, s27
	s_and_b32 s29, s26, 0xffff
	s_waitcnt vmcnt(3)
	v_cvt_f32_u32_sdwa v53, v14 dst_sel:DWORD dst_unused:UNUSED_PAD src0_sel:WORD_1
	s_waitcnt vmcnt(1)
	v_cvt_f32_u32_sdwa v65, v8 dst_sel:DWORD dst_unused:UNUSED_PAD src0_sel:WORD_1
	v_cvt_f32_u32_sdwa v64, v8 dst_sel:DWORD dst_unused:UNUSED_PAD src0_sel:WORD_0
	v_cvt_f32_u32_sdwa v66, v9 dst_sel:DWORD dst_unused:UNUSED_PAD src0_sel:WORD_0
	v_cvt_f32_u32_sdwa v67, v9 dst_sel:DWORD dst_unused:UNUSED_PAD src0_sel:WORD_1
	s_waitcnt vmcnt(0)
	v_cvt_f32_u32_sdwa v9, v5 dst_sel:DWORD dst_unused:UNUSED_PAD src0_sel:WORD_1
	v_cvt_f32_u32_sdwa v8, v5 dst_sel:DWORD dst_unused:UNUSED_PAD src0_sel:WORD_0
	v_cvt_f32_u32_sdwa v52, v14 dst_sel:DWORD dst_unused:UNUSED_PAD src0_sel:WORD_0
	v_cvt_f32_u32_sdwa v55, v15 dst_sel:DWORD dst_unused:UNUSED_PAD src0_sel:WORD_1
	v_cvt_f32_u32_sdwa v54, v15 dst_sel:DWORD dst_unused:UNUSED_PAD src0_sel:WORD_0
	v_cvt_f32_u32_sdwa v57, v17 dst_sel:DWORD dst_unused:UNUSED_PAD src0_sel:WORD_1
	;; [unrolled: 2-line block ×6, first 2 shown]
	v_cvt_f32_u32_sdwa v68, v2 dst_sel:DWORD dst_unused:UNUSED_PAD src0_sel:WORD_0
	v_pk_add_f32 v[8:9], v[50:51], v[8:9]
	v_pk_mov_b32 v[50:51], v[8:9], v[8:9] op_sel:[0,1]
	buffer_store_dword v44, off, s[40:43], 0 offset:1664 ; 4-byte Folded Spill
	s_nop 0
	buffer_store_dword v45, off, s[40:43], 0 offset:1668 ; 4-byte Folded Spill
	buffer_store_dword v46, off, s[40:43], 0 offset:1672 ; 4-byte Folded Spill
	;; [unrolled: 1-line block ×31, first 2 shown]
	v_cvt_f32_u32_sdwa v5, v4 dst_sel:DWORD dst_unused:UNUSED_PAD src0_sel:WORD_1
	v_cvt_f32_u32_sdwa v4, v4 dst_sel:DWORD dst_unused:UNUSED_PAD src0_sel:WORD_0
	v_cvt_f32_u32_sdwa v15, v16 dst_sel:DWORD dst_unused:UNUSED_PAD src0_sel:WORD_1
	v_cvt_f32_u32_sdwa v14, v16 dst_sel:DWORD dst_unused:UNUSED_PAD src0_sel:WORD_0
	;; [unrolled: 2-line block ×6, first 2 shown]
	v_perm_b32 v9, v9, v8, s33
	v_pk_add_f32 v[4:5], v[48:49], v[4:5]
	v_pk_mov_b32 v[48:49], v[4:5], v[4:5] op_sel:[0,1]
	buffer_store_dword v44, off, s[40:43], 0 ; 4-byte Folded Spill
	s_nop 0
	buffer_store_dword v45, off, s[40:43], 0 offset:4 ; 4-byte Folded Spill
	buffer_store_dword v46, off, s[40:43], 0 offset:8 ; 4-byte Folded Spill
	;; [unrolled: 1-line block ×31, first 2 shown]
	v_perm_b32 v8, v5, v4, s33
	v_pk_add_f32 v[2:3], v[46:47], v[6:7]
	v_pk_mov_b32 v[4:5], v[2:3], v[2:3] op_sel:[0,1]
	buffer_store_dword v2, off, s[40:43], 0 offset:128 ; 4-byte Folded Spill
	s_nop 0
	buffer_store_dword v3, off, s[40:43], 0 offset:132 ; 4-byte Folded Spill
	buffer_store_dword v4, off, s[40:43], 0 offset:136 ; 4-byte Folded Spill
	;; [unrolled: 1-line block ×31, first 2 shown]
	v_pk_add_f32 v[34:35], v[34:35], v[68:69]
	v_perm_b32 v6, v35, v34, s33
	v_pk_add_f32 v[30:31], v[30:31], v[56:57]
	v_perm_b32 v7, v3, v2, s33
	v_pk_mov_b32 v[46:47], v[30:31], v[30:31] op_sel:[0,1]
	buffer_store_dwordx4 v[6:9], v44, s[28:31], 0 offen glc slc
	;;#ASMSTART
	s_nop 0
	;;#ASMEND
	buffer_store_dword v32, off, s[40:43], 0 offset:1024 ; 4-byte Folded Spill
	s_nop 0
	buffer_store_dword v33, off, s[40:43], 0 offset:1028 ; 4-byte Folded Spill
	buffer_store_dword v34, off, s[40:43], 0 offset:1032 ; 4-byte Folded Spill
	;; [unrolled: 1-line block ×31, first 2 shown]
	v_pk_add_f32 v[14:15], v[24:25], v[14:15]
	v_pk_mov_b32 v[24:25], v[14:15], v[14:15] op_sel:[0,1]
	v_perm_b32 v9, v31, v30, s33
	buffer_store_dword v12, off, s[40:43], 0 offset:1280 ; 4-byte Folded Spill
	s_nop 0
	buffer_store_dword v13, off, s[40:43], 0 offset:1284 ; 4-byte Folded Spill
	buffer_store_dword v14, off, s[40:43], 0 offset:1288 ; 4-byte Folded Spill
	;; [unrolled: 1-line block ×31, first 2 shown]
	v_perm_b32 v8, v15, v14, s33
	v_pk_add_f32 v[14:15], v[20:21], v[54:55]
	v_pk_mov_b32 v[20:21], v[14:15], v[14:15] op_sel:[0,1]
	buffer_store_dword v10, off, s[40:43], 0 offset:1408 ; 4-byte Folded Spill
	s_nop 0
	buffer_store_dword v11, off, s[40:43], 0 offset:1412 ; 4-byte Folded Spill
	buffer_store_dword v12, off, s[40:43], 0 offset:1416 ; 4-byte Folded Spill
	;; [unrolled: 1-line block ×31, first 2 shown]
	v_pk_add_f32 v[70:71], v[42:43], v[66:67]
	v_perm_b32 v7, v15, v14, s33
	v_pk_add_f32 v[14:15], v[18:19], v[52:53]
	v_pk_mov_b32 v[18:19], v[14:15], v[14:15] op_sel:[0,1]
	buffer_store_dword v10, off, s[40:43], 0 offset:1536 ; 4-byte Folded Spill
	s_nop 0
	buffer_store_dword v11, off, s[40:43], 0 offset:1540 ; 4-byte Folded Spill
	buffer_store_dword v12, off, s[40:43], 0 offset:1544 ; 4-byte Folded Spill
	;; [unrolled: 1-line block ×31, first 2 shown]
	v_pk_add_f32 v[24:25], v[38:39], v[60:61]
	v_perm_b32 v6, v15, v14, s33
	v_pk_mov_b32 v[30:31], v[24:25], v[24:25] op_sel:[0,1]
	buffer_store_dwordx4 v[6:9], v44, s[28:31], s19 offen glc slc
	;;#ASMSTART
	s_nop 0
	;;#ASMEND
	buffer_store_dword v8, off, s[40:43], 0 offset:512 ; 4-byte Folded Spill
	s_nop 0
	buffer_store_dword v9, off, s[40:43], 0 offset:516 ; 4-byte Folded Spill
	buffer_store_dword v10, off, s[40:43], 0 offset:520 ; 4-byte Folded Spill
	buffer_store_dword v11, off, s[40:43], 0 offset:524 ; 4-byte Folded Spill
	buffer_store_dword v12, off, s[40:43], 0 offset:528 ; 4-byte Folded Spill
	buffer_store_dword v13, off, s[40:43], 0 offset:532 ; 4-byte Folded Spill
	buffer_store_dword v14, off, s[40:43], 0 offset:536 ; 4-byte Folded Spill
	buffer_store_dword v15, off, s[40:43], 0 offset:540 ; 4-byte Folded Spill
	buffer_store_dword v16, off, s[40:43], 0 offset:544 ; 4-byte Folded Spill
	buffer_store_dword v17, off, s[40:43], 0 offset:548 ; 4-byte Folded Spill
	buffer_store_dword v18, off, s[40:43], 0 offset:552 ; 4-byte Folded Spill
	buffer_store_dword v19, off, s[40:43], 0 offset:556 ; 4-byte Folded Spill
	buffer_store_dword v20, off, s[40:43], 0 offset:560 ; 4-byte Folded Spill
	buffer_store_dword v21, off, s[40:43], 0 offset:564 ; 4-byte Folded Spill
	buffer_store_dword v22, off, s[40:43], 0 offset:568 ; 4-byte Folded Spill
	buffer_store_dword v23, off, s[40:43], 0 offset:572 ; 4-byte Folded Spill
	buffer_store_dword v24, off, s[40:43], 0 offset:576 ; 4-byte Folded Spill
	buffer_store_dword v25, off, s[40:43], 0 offset:580 ; 4-byte Folded Spill
	buffer_store_dword v26, off, s[40:43], 0 offset:584 ; 4-byte Folded Spill
	buffer_store_dword v27, off, s[40:43], 0 offset:588 ; 4-byte Folded Spill
	buffer_store_dword v28, off, s[40:43], 0 offset:592 ; 4-byte Folded Spill
	buffer_store_dword v29, off, s[40:43], 0 offset:596 ; 4-byte Folded Spill
	buffer_store_dword v30, off, s[40:43], 0 offset:600 ; 4-byte Folded Spill
	buffer_store_dword v31, off, s[40:43], 0 offset:604 ; 4-byte Folded Spill
	buffer_store_dword v32, off, s[40:43], 0 offset:608 ; 4-byte Folded Spill
	buffer_store_dword v33, off, s[40:43], 0 offset:612 ; 4-byte Folded Spill
	buffer_store_dword v34, off, s[40:43], 0 offset:616 ; 4-byte Folded Spill
	buffer_store_dword v35, off, s[40:43], 0 offset:620 ; 4-byte Folded Spill
	buffer_store_dword v36, off, s[40:43], 0 offset:624 ; 4-byte Folded Spill
	buffer_store_dword v37, off, s[40:43], 0 offset:628 ; 4-byte Folded Spill
	buffer_store_dword v38, off, s[40:43], 0 offset:632 ; 4-byte Folded Spill
	buffer_store_dword v39, off, s[40:43], 0 offset:636 ; 4-byte Folded Spill
	v_pk_add_f32 v[20:21], v[32:33], v[10:11]
	v_perm_b32 v9, v25, v24, s33
	v_pk_mov_b32 v[24:25], v[20:21], v[20:21] op_sel:[0,1]
	buffer_store_dword v4, off, s[40:43], 0 offset:768 ; 4-byte Folded Spill
	s_nop 0
	buffer_store_dword v5, off, s[40:43], 0 offset:772 ; 4-byte Folded Spill
	buffer_store_dword v6, off, s[40:43], 0 offset:776 ; 4-byte Folded Spill
	buffer_store_dword v7, off, s[40:43], 0 offset:780 ; 4-byte Folded Spill
	buffer_store_dword v8, off, s[40:43], 0 offset:784 ; 4-byte Folded Spill
	buffer_store_dword v9, off, s[40:43], 0 offset:788 ; 4-byte Folded Spill
	buffer_store_dword v10, off, s[40:43], 0 offset:792 ; 4-byte Folded Spill
	buffer_store_dword v11, off, s[40:43], 0 offset:796 ; 4-byte Folded Spill
	buffer_store_dword v12, off, s[40:43], 0 offset:800 ; 4-byte Folded Spill
	buffer_store_dword v13, off, s[40:43], 0 offset:804 ; 4-byte Folded Spill
	buffer_store_dword v14, off, s[40:43], 0 offset:808 ; 4-byte Folded Spill
	buffer_store_dword v15, off, s[40:43], 0 offset:812 ; 4-byte Folded Spill
	buffer_store_dword v16, off, s[40:43], 0 offset:816 ; 4-byte Folded Spill
	buffer_store_dword v17, off, s[40:43], 0 offset:820 ; 4-byte Folded Spill
	buffer_store_dword v18, off, s[40:43], 0 offset:824 ; 4-byte Folded Spill
	buffer_store_dword v19, off, s[40:43], 0 offset:828 ; 4-byte Folded Spill
	buffer_store_dword v20, off, s[40:43], 0 offset:832 ; 4-byte Folded Spill
	buffer_store_dword v21, off, s[40:43], 0 offset:836 ; 4-byte Folded Spill
	buffer_store_dword v22, off, s[40:43], 0 offset:840 ; 4-byte Folded Spill
	buffer_store_dword v23, off, s[40:43], 0 offset:844 ; 4-byte Folded Spill
	buffer_store_dword v24, off, s[40:43], 0 offset:848 ; 4-byte Folded Spill
	buffer_store_dword v25, off, s[40:43], 0 offset:852 ; 4-byte Folded Spill
	buffer_store_dword v26, off, s[40:43], 0 offset:856 ; 4-byte Folded Spill
	buffer_store_dword v27, off, s[40:43], 0 offset:860 ; 4-byte Folded Spill
	buffer_store_dword v28, off, s[40:43], 0 offset:864 ; 4-byte Folded Spill
	buffer_store_dword v29, off, s[40:43], 0 offset:868 ; 4-byte Folded Spill
	buffer_store_dword v30, off, s[40:43], 0 offset:872 ; 4-byte Folded Spill
	buffer_store_dword v31, off, s[40:43], 0 offset:876 ; 4-byte Folded Spill
	buffer_store_dword v32, off, s[40:43], 0 offset:880 ; 4-byte Folded Spill
	buffer_store_dword v33, off, s[40:43], 0 offset:884 ; 4-byte Folded Spill
	buffer_store_dword v34, off, s[40:43], 0 offset:888 ; 4-byte Folded Spill
	buffer_store_dword v35, off, s[40:43], 0 offset:892 ; 4-byte Folded Spill
	v_pk_add_f32 v[18:19], v[26:27], v[58:59]
	v_perm_b32 v8, v21, v20, s33
	v_pk_mov_b32 v[20:21], v[18:19], v[18:19] op_sel:[0,1]
	;; [unrolled: 36-line block ×3, first 2 shown]
	buffer_store_dword v2, off, s[40:43], 0 offset:1152 ; 4-byte Folded Spill
	s_nop 0
	buffer_store_dword v3, off, s[40:43], 0 offset:1156 ; 4-byte Folded Spill
	buffer_store_dword v4, off, s[40:43], 0 offset:1160 ; 4-byte Folded Spill
	;; [unrolled: 1-line block ×31, first 2 shown]
	v_pk_add_f32 v[30:31], v[40:41], v[64:65]
	v_pk_mov_b32 v[32:33], v[30:31], v[30:31] op_sel:[0,1]
	v_perm_b32 v6, v17, v16, s33
	buffer_store_dwordx4 v[6:9], v44, s[28:31], s17 offen glc slc
	v_perm_b32 v9, v71, v70, s33
	;;#ASMSTART
	s_nop 0
	;;#ASMEND
	buffer_store_dword v4, off, s[40:43], 0 offset:256 ; 4-byte Folded Spill
	s_nop 0
	buffer_store_dword v5, off, s[40:43], 0 offset:260 ; 4-byte Folded Spill
	buffer_store_dword v6, off, s[40:43], 0 offset:264 ; 4-byte Folded Spill
	;; [unrolled: 1-line block ×31, first 2 shown]
	v_pk_add_f32 v[26:27], v[36:37], v[62:63]
	v_perm_b32 v8, v31, v30, s33
	v_pk_mov_b32 v[30:31], v[26:27], v[26:27] op_sel:[0,1]
	buffer_store_dword v4, off, s[40:43], 0 offset:384 ; 4-byte Folded Spill
	s_nop 0
	buffer_store_dword v5, off, s[40:43], 0 offset:388 ; 4-byte Folded Spill
	buffer_store_dword v6, off, s[40:43], 0 offset:392 ; 4-byte Folded Spill
	;; [unrolled: 1-line block ×31, first 2 shown]
	v_pk_add_f32 v[24:25], v[28:29], v[12:13]
	v_perm_b32 v7, v27, v26, s33
	v_pk_mov_b32 v[26:27], v[24:25], v[24:25] op_sel:[0,1]
	buffer_store_dword v2, off, s[40:43], 0 offset:640 ; 4-byte Folded Spill
	s_nop 0
	buffer_store_dword v3, off, s[40:43], 0 offset:644 ; 4-byte Folded Spill
	buffer_store_dword v4, off, s[40:43], 0 offset:648 ; 4-byte Folded Spill
	;; [unrolled: 1-line block ×31, first 2 shown]
	v_perm_b32 v6, v25, v24, s33
	buffer_store_dwordx4 v[6:9], v44, s[28:31], s14 offen glc slc
	;;#ASMSTART
	s_nop 0
	;;#ASMEND
.LBB84_10:
	s_or_b64 exec, exec, s[2:3]
.LBB84_11:
	buffer_load_dword v36, off, s[40:43], 0 offset:128 ; 4-byte Folded Reload
	buffer_load_dword v37, off, s[40:43], 0 offset:132 ; 4-byte Folded Reload
	;; [unrolled: 1-line block ×32, first 2 shown]
	v_mul_f32_e32 v2, v35, v35
	v_fmac_f32_e32 v2, v34, v34
	s_waitcnt vmcnt(28)
	v_pk_mov_b32 v[4:5], v[38:39], v[38:39] op_sel:[0,1]
	buffer_load_dword v36, off, s[40:43], 0 ; 4-byte Folded Reload
	buffer_load_dword v37, off, s[40:43], 0 offset:4 ; 4-byte Folded Reload
	buffer_load_dword v38, off, s[40:43], 0 offset:8 ; 4-byte Folded Reload
	buffer_load_dword v39, off, s[40:43], 0 offset:12 ; 4-byte Folded Reload
	buffer_load_dword v40, off, s[40:43], 0 offset:16 ; 4-byte Folded Reload
	buffer_load_dword v41, off, s[40:43], 0 offset:20 ; 4-byte Folded Reload
	buffer_load_dword v42, off, s[40:43], 0 offset:24 ; 4-byte Folded Reload
	buffer_load_dword v43, off, s[40:43], 0 offset:28 ; 4-byte Folded Reload
	buffer_load_dword v44, off, s[40:43], 0 offset:32 ; 4-byte Folded Reload
	buffer_load_dword v45, off, s[40:43], 0 offset:36 ; 4-byte Folded Reload
	buffer_load_dword v46, off, s[40:43], 0 offset:40 ; 4-byte Folded Reload
	buffer_load_dword v47, off, s[40:43], 0 offset:44 ; 4-byte Folded Reload
	buffer_load_dword v48, off, s[40:43], 0 offset:48 ; 4-byte Folded Reload
	buffer_load_dword v49, off, s[40:43], 0 offset:52 ; 4-byte Folded Reload
	buffer_load_dword v50, off, s[40:43], 0 offset:56 ; 4-byte Folded Reload
	buffer_load_dword v51, off, s[40:43], 0 offset:60 ; 4-byte Folded Reload
	buffer_load_dword v52, off, s[40:43], 0 offset:64 ; 4-byte Folded Reload
	buffer_load_dword v53, off, s[40:43], 0 offset:68 ; 4-byte Folded Reload
	buffer_load_dword v54, off, s[40:43], 0 offset:72 ; 4-byte Folded Reload
	buffer_load_dword v55, off, s[40:43], 0 offset:76 ; 4-byte Folded Reload
	buffer_load_dword v56, off, s[40:43], 0 offset:80 ; 4-byte Folded Reload
	buffer_load_dword v57, off, s[40:43], 0 offset:84 ; 4-byte Folded Reload
	buffer_load_dword v58, off, s[40:43], 0 offset:88 ; 4-byte Folded Reload
	buffer_load_dword v59, off, s[40:43], 0 offset:92 ; 4-byte Folded Reload
	buffer_load_dword v60, off, s[40:43], 0 offset:96 ; 4-byte Folded Reload
	buffer_load_dword v61, off, s[40:43], 0 offset:100 ; 4-byte Folded Reload
	buffer_load_dword v62, off, s[40:43], 0 offset:104 ; 4-byte Folded Reload
	buffer_load_dword v63, off, s[40:43], 0 offset:108 ; 4-byte Folded Reload
	buffer_load_dword v64, off, s[40:43], 0 offset:112 ; 4-byte Folded Reload
	buffer_load_dword v65, off, s[40:43], 0 offset:116 ; 4-byte Folded Reload
	buffer_load_dword v66, off, s[40:43], 0 offset:120 ; 4-byte Folded Reload
	buffer_load_dword v67, off, s[40:43], 0 offset:124 ; 4-byte Folded Reload
	v_fmac_f32_e32 v2, v4, v4
	v_fmac_f32_e32 v2, v5, v5
	s_waitcnt vmcnt(26)
	v_pk_mov_b32 v[4:5], v[40:41], v[40:41] op_sel:[0,1]
	buffer_load_dword v36, off, s[40:43], 0 offset:1664 ; 4-byte Folded Reload
	buffer_load_dword v37, off, s[40:43], 0 offset:1668 ; 4-byte Folded Reload
	buffer_load_dword v38, off, s[40:43], 0 offset:1672 ; 4-byte Folded Reload
	buffer_load_dword v39, off, s[40:43], 0 offset:1676 ; 4-byte Folded Reload
	buffer_load_dword v40, off, s[40:43], 0 offset:1680 ; 4-byte Folded Reload
	buffer_load_dword v41, off, s[40:43], 0 offset:1684 ; 4-byte Folded Reload
	buffer_load_dword v42, off, s[40:43], 0 offset:1688 ; 4-byte Folded Reload
	buffer_load_dword v43, off, s[40:43], 0 offset:1692 ; 4-byte Folded Reload
	buffer_load_dword v44, off, s[40:43], 0 offset:1696 ; 4-byte Folded Reload
	buffer_load_dword v45, off, s[40:43], 0 offset:1700 ; 4-byte Folded Reload
	buffer_load_dword v46, off, s[40:43], 0 offset:1704 ; 4-byte Folded Reload
	buffer_load_dword v47, off, s[40:43], 0 offset:1708 ; 4-byte Folded Reload
	buffer_load_dword v48, off, s[40:43], 0 offset:1712 ; 4-byte Folded Reload
	buffer_load_dword v49, off, s[40:43], 0 offset:1716 ; 4-byte Folded Reload
	buffer_load_dword v50, off, s[40:43], 0 offset:1720 ; 4-byte Folded Reload
	buffer_load_dword v51, off, s[40:43], 0 offset:1724 ; 4-byte Folded Reload
	buffer_load_dword v52, off, s[40:43], 0 offset:1728 ; 4-byte Folded Reload
	buffer_load_dword v53, off, s[40:43], 0 offset:1732 ; 4-byte Folded Reload
	buffer_load_dword v54, off, s[40:43], 0 offset:1736 ; 4-byte Folded Reload
	buffer_load_dword v55, off, s[40:43], 0 offset:1740 ; 4-byte Folded Reload
	buffer_load_dword v56, off, s[40:43], 0 offset:1744 ; 4-byte Folded Reload
	buffer_load_dword v57, off, s[40:43], 0 offset:1748 ; 4-byte Folded Reload
	buffer_load_dword v58, off, s[40:43], 0 offset:1752 ; 4-byte Folded Reload
	buffer_load_dword v59, off, s[40:43], 0 offset:1756 ; 4-byte Folded Reload
	buffer_load_dword v60, off, s[40:43], 0 offset:1760 ; 4-byte Folded Reload
	buffer_load_dword v61, off, s[40:43], 0 offset:1764 ; 4-byte Folded Reload
	buffer_load_dword v62, off, s[40:43], 0 offset:1768 ; 4-byte Folded Reload
	buffer_load_dword v63, off, s[40:43], 0 offset:1772 ; 4-byte Folded Reload
	buffer_load_dword v64, off, s[40:43], 0 offset:1776 ; 4-byte Folded Reload
	buffer_load_dword v65, off, s[40:43], 0 offset:1780 ; 4-byte Folded Reload
	buffer_load_dword v66, off, s[40:43], 0 offset:1784 ; 4-byte Folded Reload
	buffer_load_dword v67, off, s[40:43], 0 offset:1788 ; 4-byte Folded Reload
	v_fmac_f32_e32 v2, v4, v4
	v_fmac_f32_e32 v2, v5, v5
	s_waitcnt vmcnt(24)
	v_pk_mov_b32 v[72:73], v[42:43], v[42:43] op_sel:[0,1]
	buffer_load_dword v36, off, s[40:43], 0 offset:1536 ; 4-byte Folded Reload
	buffer_load_dword v37, off, s[40:43], 0 offset:1540 ; 4-byte Folded Reload
	buffer_load_dword v38, off, s[40:43], 0 offset:1544 ; 4-byte Folded Reload
	buffer_load_dword v39, off, s[40:43], 0 offset:1548 ; 4-byte Folded Reload
	buffer_load_dword v40, off, s[40:43], 0 offset:1552 ; 4-byte Folded Reload
	buffer_load_dword v41, off, s[40:43], 0 offset:1556 ; 4-byte Folded Reload
	buffer_load_dword v42, off, s[40:43], 0 offset:1560 ; 4-byte Folded Reload
	buffer_load_dword v43, off, s[40:43], 0 offset:1564 ; 4-byte Folded Reload
	buffer_load_dword v44, off, s[40:43], 0 offset:1568 ; 4-byte Folded Reload
	buffer_load_dword v45, off, s[40:43], 0 offset:1572 ; 4-byte Folded Reload
	buffer_load_dword v46, off, s[40:43], 0 offset:1576 ; 4-byte Folded Reload
	buffer_load_dword v47, off, s[40:43], 0 offset:1580 ; 4-byte Folded Reload
	buffer_load_dword v48, off, s[40:43], 0 offset:1584 ; 4-byte Folded Reload
	buffer_load_dword v49, off, s[40:43], 0 offset:1588 ; 4-byte Folded Reload
	buffer_load_dword v50, off, s[40:43], 0 offset:1592 ; 4-byte Folded Reload
	buffer_load_dword v51, off, s[40:43], 0 offset:1596 ; 4-byte Folded Reload
	buffer_load_dword v52, off, s[40:43], 0 offset:1600 ; 4-byte Folded Reload
	buffer_load_dword v53, off, s[40:43], 0 offset:1604 ; 4-byte Folded Reload
	buffer_load_dword v54, off, s[40:43], 0 offset:1608 ; 4-byte Folded Reload
	buffer_load_dword v55, off, s[40:43], 0 offset:1612 ; 4-byte Folded Reload
	buffer_load_dword v56, off, s[40:43], 0 offset:1616 ; 4-byte Folded Reload
	buffer_load_dword v57, off, s[40:43], 0 offset:1620 ; 4-byte Folded Reload
	buffer_load_dword v58, off, s[40:43], 0 offset:1624 ; 4-byte Folded Reload
	buffer_load_dword v59, off, s[40:43], 0 offset:1628 ; 4-byte Folded Reload
	buffer_load_dword v60, off, s[40:43], 0 offset:1632 ; 4-byte Folded Reload
	buffer_load_dword v61, off, s[40:43], 0 offset:1636 ; 4-byte Folded Reload
	buffer_load_dword v62, off, s[40:43], 0 offset:1640 ; 4-byte Folded Reload
	buffer_load_dword v63, off, s[40:43], 0 offset:1644 ; 4-byte Folded Reload
	buffer_load_dword v64, off, s[40:43], 0 offset:1648 ; 4-byte Folded Reload
	buffer_load_dword v65, off, s[40:43], 0 offset:1652 ; 4-byte Folded Reload
	buffer_load_dword v66, off, s[40:43], 0 offset:1656 ; 4-byte Folded Reload
	buffer_load_dword v67, off, s[40:43], 0 offset:1660 ; 4-byte Folded Reload
	v_fmac_f32_e32 v2, v72, v72
	v_fmac_f32_e32 v2, v73, v73
	s_waitcnt vmcnt(22)
	v_pk_mov_b32 v[68:69], v[44:45], v[44:45] op_sel:[0,1]
	buffer_load_dword v36, off, s[40:43], 0 offset:1408 ; 4-byte Folded Reload
	buffer_load_dword v37, off, s[40:43], 0 offset:1412 ; 4-byte Folded Reload
	buffer_load_dword v38, off, s[40:43], 0 offset:1416 ; 4-byte Folded Reload
	buffer_load_dword v39, off, s[40:43], 0 offset:1420 ; 4-byte Folded Reload
	buffer_load_dword v40, off, s[40:43], 0 offset:1424 ; 4-byte Folded Reload
	buffer_load_dword v41, off, s[40:43], 0 offset:1428 ; 4-byte Folded Reload
	buffer_load_dword v42, off, s[40:43], 0 offset:1432 ; 4-byte Folded Reload
	buffer_load_dword v43, off, s[40:43], 0 offset:1436 ; 4-byte Folded Reload
	buffer_load_dword v44, off, s[40:43], 0 offset:1440 ; 4-byte Folded Reload
	buffer_load_dword v45, off, s[40:43], 0 offset:1444 ; 4-byte Folded Reload
	buffer_load_dword v46, off, s[40:43], 0 offset:1448 ; 4-byte Folded Reload
	buffer_load_dword v47, off, s[40:43], 0 offset:1452 ; 4-byte Folded Reload
	buffer_load_dword v48, off, s[40:43], 0 offset:1456 ; 4-byte Folded Reload
	buffer_load_dword v49, off, s[40:43], 0 offset:1460 ; 4-byte Folded Reload
	buffer_load_dword v50, off, s[40:43], 0 offset:1464 ; 4-byte Folded Reload
	buffer_load_dword v51, off, s[40:43], 0 offset:1468 ; 4-byte Folded Reload
	buffer_load_dword v52, off, s[40:43], 0 offset:1472 ; 4-byte Folded Reload
	buffer_load_dword v53, off, s[40:43], 0 offset:1476 ; 4-byte Folded Reload
	buffer_load_dword v54, off, s[40:43], 0 offset:1480 ; 4-byte Folded Reload
	buffer_load_dword v55, off, s[40:43], 0 offset:1484 ; 4-byte Folded Reload
	buffer_load_dword v56, off, s[40:43], 0 offset:1488 ; 4-byte Folded Reload
	buffer_load_dword v57, off, s[40:43], 0 offset:1492 ; 4-byte Folded Reload
	buffer_load_dword v58, off, s[40:43], 0 offset:1496 ; 4-byte Folded Reload
	buffer_load_dword v59, off, s[40:43], 0 offset:1500 ; 4-byte Folded Reload
	buffer_load_dword v60, off, s[40:43], 0 offset:1504 ; 4-byte Folded Reload
	buffer_load_dword v61, off, s[40:43], 0 offset:1508 ; 4-byte Folded Reload
	buffer_load_dword v62, off, s[40:43], 0 offset:1512 ; 4-byte Folded Reload
	buffer_load_dword v63, off, s[40:43], 0 offset:1516 ; 4-byte Folded Reload
	buffer_load_dword v64, off, s[40:43], 0 offset:1520 ; 4-byte Folded Reload
	buffer_load_dword v65, off, s[40:43], 0 offset:1524 ; 4-byte Folded Reload
	buffer_load_dword v66, off, s[40:43], 0 offset:1528 ; 4-byte Folded Reload
	buffer_load_dword v67, off, s[40:43], 0 offset:1532 ; 4-byte Folded Reload
	v_fmac_f32_e32 v2, v68, v68
	v_fmac_f32_e32 v2, v69, v69
	s_waitcnt vmcnt(20)
	v_pk_mov_b32 v[12:13], v[46:47], v[46:47] op_sel:[0,1]
	buffer_load_dword v36, off, s[40:43], 0 offset:1280 ; 4-byte Folded Reload
	buffer_load_dword v37, off, s[40:43], 0 offset:1284 ; 4-byte Folded Reload
	buffer_load_dword v38, off, s[40:43], 0 offset:1288 ; 4-byte Folded Reload
	buffer_load_dword v39, off, s[40:43], 0 offset:1292 ; 4-byte Folded Reload
	buffer_load_dword v40, off, s[40:43], 0 offset:1296 ; 4-byte Folded Reload
	buffer_load_dword v41, off, s[40:43], 0 offset:1300 ; 4-byte Folded Reload
	buffer_load_dword v42, off, s[40:43], 0 offset:1304 ; 4-byte Folded Reload
	buffer_load_dword v43, off, s[40:43], 0 offset:1308 ; 4-byte Folded Reload
	buffer_load_dword v44, off, s[40:43], 0 offset:1312 ; 4-byte Folded Reload
	buffer_load_dword v45, off, s[40:43], 0 offset:1316 ; 4-byte Folded Reload
	buffer_load_dword v46, off, s[40:43], 0 offset:1320 ; 4-byte Folded Reload
	buffer_load_dword v47, off, s[40:43], 0 offset:1324 ; 4-byte Folded Reload
	buffer_load_dword v48, off, s[40:43], 0 offset:1328 ; 4-byte Folded Reload
	buffer_load_dword v49, off, s[40:43], 0 offset:1332 ; 4-byte Folded Reload
	buffer_load_dword v50, off, s[40:43], 0 offset:1336 ; 4-byte Folded Reload
	buffer_load_dword v51, off, s[40:43], 0 offset:1340 ; 4-byte Folded Reload
	buffer_load_dword v52, off, s[40:43], 0 offset:1344 ; 4-byte Folded Reload
	buffer_load_dword v53, off, s[40:43], 0 offset:1348 ; 4-byte Folded Reload
	buffer_load_dword v54, off, s[40:43], 0 offset:1352 ; 4-byte Folded Reload
	buffer_load_dword v55, off, s[40:43], 0 offset:1356 ; 4-byte Folded Reload
	buffer_load_dword v56, off, s[40:43], 0 offset:1360 ; 4-byte Folded Reload
	buffer_load_dword v57, off, s[40:43], 0 offset:1364 ; 4-byte Folded Reload
	buffer_load_dword v58, off, s[40:43], 0 offset:1368 ; 4-byte Folded Reload
	buffer_load_dword v59, off, s[40:43], 0 offset:1372 ; 4-byte Folded Reload
	buffer_load_dword v60, off, s[40:43], 0 offset:1376 ; 4-byte Folded Reload
	buffer_load_dword v61, off, s[40:43], 0 offset:1380 ; 4-byte Folded Reload
	buffer_load_dword v62, off, s[40:43], 0 offset:1384 ; 4-byte Folded Reload
	buffer_load_dword v63, off, s[40:43], 0 offset:1388 ; 4-byte Folded Reload
	buffer_load_dword v64, off, s[40:43], 0 offset:1392 ; 4-byte Folded Reload
	buffer_load_dword v65, off, s[40:43], 0 offset:1396 ; 4-byte Folded Reload
	buffer_load_dword v66, off, s[40:43], 0 offset:1400 ; 4-byte Folded Reload
	buffer_load_dword v67, off, s[40:43], 0 offset:1404 ; 4-byte Folded Reload
	v_fmac_f32_e32 v2, v12, v12
	v_fmac_f32_e32 v2, v13, v13
	s_waitcnt vmcnt(18)
	v_pk_mov_b32 v[14:15], v[48:49], v[48:49] op_sel:[0,1]
	buffer_load_dword v36, off, s[40:43], 0 offset:1024 ; 4-byte Folded Reload
	buffer_load_dword v37, off, s[40:43], 0 offset:1028 ; 4-byte Folded Reload
	buffer_load_dword v38, off, s[40:43], 0 offset:1032 ; 4-byte Folded Reload
	buffer_load_dword v39, off, s[40:43], 0 offset:1036 ; 4-byte Folded Reload
	buffer_load_dword v40, off, s[40:43], 0 offset:1040 ; 4-byte Folded Reload
	buffer_load_dword v41, off, s[40:43], 0 offset:1044 ; 4-byte Folded Reload
	buffer_load_dword v42, off, s[40:43], 0 offset:1048 ; 4-byte Folded Reload
	buffer_load_dword v43, off, s[40:43], 0 offset:1052 ; 4-byte Folded Reload
	buffer_load_dword v44, off, s[40:43], 0 offset:1056 ; 4-byte Folded Reload
	buffer_load_dword v45, off, s[40:43], 0 offset:1060 ; 4-byte Folded Reload
	buffer_load_dword v46, off, s[40:43], 0 offset:1064 ; 4-byte Folded Reload
	buffer_load_dword v47, off, s[40:43], 0 offset:1068 ; 4-byte Folded Reload
	buffer_load_dword v48, off, s[40:43], 0 offset:1072 ; 4-byte Folded Reload
	buffer_load_dword v49, off, s[40:43], 0 offset:1076 ; 4-byte Folded Reload
	buffer_load_dword v50, off, s[40:43], 0 offset:1080 ; 4-byte Folded Reload
	buffer_load_dword v51, off, s[40:43], 0 offset:1084 ; 4-byte Folded Reload
	buffer_load_dword v52, off, s[40:43], 0 offset:1088 ; 4-byte Folded Reload
	buffer_load_dword v53, off, s[40:43], 0 offset:1092 ; 4-byte Folded Reload
	buffer_load_dword v54, off, s[40:43], 0 offset:1096 ; 4-byte Folded Reload
	buffer_load_dword v55, off, s[40:43], 0 offset:1100 ; 4-byte Folded Reload
	buffer_load_dword v56, off, s[40:43], 0 offset:1104 ; 4-byte Folded Reload
	buffer_load_dword v57, off, s[40:43], 0 offset:1108 ; 4-byte Folded Reload
	buffer_load_dword v58, off, s[40:43], 0 offset:1112 ; 4-byte Folded Reload
	buffer_load_dword v59, off, s[40:43], 0 offset:1116 ; 4-byte Folded Reload
	buffer_load_dword v60, off, s[40:43], 0 offset:1120 ; 4-byte Folded Reload
	buffer_load_dword v61, off, s[40:43], 0 offset:1124 ; 4-byte Folded Reload
	buffer_load_dword v62, off, s[40:43], 0 offset:1128 ; 4-byte Folded Reload
	buffer_load_dword v63, off, s[40:43], 0 offset:1132 ; 4-byte Folded Reload
	buffer_load_dword v64, off, s[40:43], 0 offset:1136 ; 4-byte Folded Reload
	buffer_load_dword v65, off, s[40:43], 0 offset:1140 ; 4-byte Folded Reload
	buffer_load_dword v66, off, s[40:43], 0 offset:1144 ; 4-byte Folded Reload
	buffer_load_dword v67, off, s[40:43], 0 offset:1148 ; 4-byte Folded Reload
	v_fmac_f32_e32 v2, v14, v14
	v_fmac_f32_e32 v2, v15, v15
	s_waitcnt vmcnt(16)
	v_pk_mov_b32 v[16:17], v[50:51], v[50:51] op_sel:[0,1]
	buffer_load_dword v36, off, s[40:43], 0 offset:1152 ; 4-byte Folded Reload
	buffer_load_dword v37, off, s[40:43], 0 offset:1156 ; 4-byte Folded Reload
	buffer_load_dword v38, off, s[40:43], 0 offset:1160 ; 4-byte Folded Reload
	buffer_load_dword v39, off, s[40:43], 0 offset:1164 ; 4-byte Folded Reload
	buffer_load_dword v40, off, s[40:43], 0 offset:1168 ; 4-byte Folded Reload
	buffer_load_dword v41, off, s[40:43], 0 offset:1172 ; 4-byte Folded Reload
	buffer_load_dword v42, off, s[40:43], 0 offset:1176 ; 4-byte Folded Reload
	buffer_load_dword v43, off, s[40:43], 0 offset:1180 ; 4-byte Folded Reload
	buffer_load_dword v44, off, s[40:43], 0 offset:1184 ; 4-byte Folded Reload
	buffer_load_dword v45, off, s[40:43], 0 offset:1188 ; 4-byte Folded Reload
	buffer_load_dword v46, off, s[40:43], 0 offset:1192 ; 4-byte Folded Reload
	buffer_load_dword v47, off, s[40:43], 0 offset:1196 ; 4-byte Folded Reload
	buffer_load_dword v48, off, s[40:43], 0 offset:1200 ; 4-byte Folded Reload
	buffer_load_dword v49, off, s[40:43], 0 offset:1204 ; 4-byte Folded Reload
	buffer_load_dword v50, off, s[40:43], 0 offset:1208 ; 4-byte Folded Reload
	buffer_load_dword v51, off, s[40:43], 0 offset:1212 ; 4-byte Folded Reload
	buffer_load_dword v52, off, s[40:43], 0 offset:1216 ; 4-byte Folded Reload
	buffer_load_dword v53, off, s[40:43], 0 offset:1220 ; 4-byte Folded Reload
	buffer_load_dword v54, off, s[40:43], 0 offset:1224 ; 4-byte Folded Reload
	buffer_load_dword v55, off, s[40:43], 0 offset:1228 ; 4-byte Folded Reload
	buffer_load_dword v56, off, s[40:43], 0 offset:1232 ; 4-byte Folded Reload
	buffer_load_dword v57, off, s[40:43], 0 offset:1236 ; 4-byte Folded Reload
	buffer_load_dword v58, off, s[40:43], 0 offset:1240 ; 4-byte Folded Reload
	buffer_load_dword v59, off, s[40:43], 0 offset:1244 ; 4-byte Folded Reload
	buffer_load_dword v60, off, s[40:43], 0 offset:1248 ; 4-byte Folded Reload
	buffer_load_dword v61, off, s[40:43], 0 offset:1252 ; 4-byte Folded Reload
	buffer_load_dword v62, off, s[40:43], 0 offset:1256 ; 4-byte Folded Reload
	buffer_load_dword v63, off, s[40:43], 0 offset:1260 ; 4-byte Folded Reload
	buffer_load_dword v64, off, s[40:43], 0 offset:1264 ; 4-byte Folded Reload
	buffer_load_dword v65, off, s[40:43], 0 offset:1268 ; 4-byte Folded Reload
	buffer_load_dword v66, off, s[40:43], 0 offset:1272 ; 4-byte Folded Reload
	buffer_load_dword v67, off, s[40:43], 0 offset:1276 ; 4-byte Folded Reload
	v_fmac_f32_e32 v2, v16, v16
	v_fmac_f32_e32 v2, v17, v17
	s_waitcnt vmcnt(14)
	v_pk_mov_b32 v[18:19], v[52:53], v[52:53] op_sel:[0,1]
	buffer_load_dword v36, off, s[40:43], 0 offset:896 ; 4-byte Folded Reload
	buffer_load_dword v37, off, s[40:43], 0 offset:900 ; 4-byte Folded Reload
	buffer_load_dword v38, off, s[40:43], 0 offset:904 ; 4-byte Folded Reload
	buffer_load_dword v39, off, s[40:43], 0 offset:908 ; 4-byte Folded Reload
	buffer_load_dword v40, off, s[40:43], 0 offset:912 ; 4-byte Folded Reload
	buffer_load_dword v41, off, s[40:43], 0 offset:916 ; 4-byte Folded Reload
	buffer_load_dword v42, off, s[40:43], 0 offset:920 ; 4-byte Folded Reload
	buffer_load_dword v43, off, s[40:43], 0 offset:924 ; 4-byte Folded Reload
	buffer_load_dword v44, off, s[40:43], 0 offset:928 ; 4-byte Folded Reload
	buffer_load_dword v45, off, s[40:43], 0 offset:932 ; 4-byte Folded Reload
	buffer_load_dword v46, off, s[40:43], 0 offset:936 ; 4-byte Folded Reload
	buffer_load_dword v47, off, s[40:43], 0 offset:940 ; 4-byte Folded Reload
	buffer_load_dword v48, off, s[40:43], 0 offset:944 ; 4-byte Folded Reload
	buffer_load_dword v49, off, s[40:43], 0 offset:948 ; 4-byte Folded Reload
	buffer_load_dword v50, off, s[40:43], 0 offset:952 ; 4-byte Folded Reload
	buffer_load_dword v51, off, s[40:43], 0 offset:956 ; 4-byte Folded Reload
	buffer_load_dword v52, off, s[40:43], 0 offset:960 ; 4-byte Folded Reload
	buffer_load_dword v53, off, s[40:43], 0 offset:964 ; 4-byte Folded Reload
	buffer_load_dword v54, off, s[40:43], 0 offset:968 ; 4-byte Folded Reload
	buffer_load_dword v55, off, s[40:43], 0 offset:972 ; 4-byte Folded Reload
	buffer_load_dword v56, off, s[40:43], 0 offset:976 ; 4-byte Folded Reload
	buffer_load_dword v57, off, s[40:43], 0 offset:980 ; 4-byte Folded Reload
	buffer_load_dword v58, off, s[40:43], 0 offset:984 ; 4-byte Folded Reload
	buffer_load_dword v59, off, s[40:43], 0 offset:988 ; 4-byte Folded Reload
	buffer_load_dword v60, off, s[40:43], 0 offset:992 ; 4-byte Folded Reload
	buffer_load_dword v61, off, s[40:43], 0 offset:996 ; 4-byte Folded Reload
	buffer_load_dword v62, off, s[40:43], 0 offset:1000 ; 4-byte Folded Reload
	buffer_load_dword v63, off, s[40:43], 0 offset:1004 ; 4-byte Folded Reload
	buffer_load_dword v64, off, s[40:43], 0 offset:1008 ; 4-byte Folded Reload
	buffer_load_dword v65, off, s[40:43], 0 offset:1012 ; 4-byte Folded Reload
	buffer_load_dword v66, off, s[40:43], 0 offset:1016 ; 4-byte Folded Reload
	buffer_load_dword v67, off, s[40:43], 0 offset:1020 ; 4-byte Folded Reload
	v_fmac_f32_e32 v2, v18, v18
	v_fmac_f32_e32 v2, v19, v19
	s_waitcnt vmcnt(12)
	v_pk_mov_b32 v[20:21], v[54:55], v[54:55] op_sel:[0,1]
	buffer_load_dword v36, off, s[40:43], 0 offset:768 ; 4-byte Folded Reload
	buffer_load_dword v37, off, s[40:43], 0 offset:772 ; 4-byte Folded Reload
	buffer_load_dword v38, off, s[40:43], 0 offset:776 ; 4-byte Folded Reload
	buffer_load_dword v39, off, s[40:43], 0 offset:780 ; 4-byte Folded Reload
	buffer_load_dword v40, off, s[40:43], 0 offset:784 ; 4-byte Folded Reload
	buffer_load_dword v41, off, s[40:43], 0 offset:788 ; 4-byte Folded Reload
	buffer_load_dword v42, off, s[40:43], 0 offset:792 ; 4-byte Folded Reload
	buffer_load_dword v43, off, s[40:43], 0 offset:796 ; 4-byte Folded Reload
	buffer_load_dword v44, off, s[40:43], 0 offset:800 ; 4-byte Folded Reload
	buffer_load_dword v45, off, s[40:43], 0 offset:804 ; 4-byte Folded Reload
	buffer_load_dword v46, off, s[40:43], 0 offset:808 ; 4-byte Folded Reload
	buffer_load_dword v47, off, s[40:43], 0 offset:812 ; 4-byte Folded Reload
	buffer_load_dword v48, off, s[40:43], 0 offset:816 ; 4-byte Folded Reload
	buffer_load_dword v49, off, s[40:43], 0 offset:820 ; 4-byte Folded Reload
	buffer_load_dword v50, off, s[40:43], 0 offset:824 ; 4-byte Folded Reload
	buffer_load_dword v51, off, s[40:43], 0 offset:828 ; 4-byte Folded Reload
	buffer_load_dword v52, off, s[40:43], 0 offset:832 ; 4-byte Folded Reload
	buffer_load_dword v53, off, s[40:43], 0 offset:836 ; 4-byte Folded Reload
	buffer_load_dword v54, off, s[40:43], 0 offset:840 ; 4-byte Folded Reload
	buffer_load_dword v55, off, s[40:43], 0 offset:844 ; 4-byte Folded Reload
	buffer_load_dword v56, off, s[40:43], 0 offset:848 ; 4-byte Folded Reload
	buffer_load_dword v57, off, s[40:43], 0 offset:852 ; 4-byte Folded Reload
	buffer_load_dword v58, off, s[40:43], 0 offset:856 ; 4-byte Folded Reload
	buffer_load_dword v59, off, s[40:43], 0 offset:860 ; 4-byte Folded Reload
	buffer_load_dword v60, off, s[40:43], 0 offset:864 ; 4-byte Folded Reload
	buffer_load_dword v61, off, s[40:43], 0 offset:868 ; 4-byte Folded Reload
	buffer_load_dword v62, off, s[40:43], 0 offset:872 ; 4-byte Folded Reload
	buffer_load_dword v63, off, s[40:43], 0 offset:876 ; 4-byte Folded Reload
	buffer_load_dword v64, off, s[40:43], 0 offset:880 ; 4-byte Folded Reload
	buffer_load_dword v65, off, s[40:43], 0 offset:884 ; 4-byte Folded Reload
	buffer_load_dword v66, off, s[40:43], 0 offset:888 ; 4-byte Folded Reload
	buffer_load_dword v67, off, s[40:43], 0 offset:892 ; 4-byte Folded Reload
	v_fmac_f32_e32 v2, v20, v20
	v_fmac_f32_e32 v2, v21, v21
	s_waitcnt vmcnt(10)
	v_pk_mov_b32 v[22:23], v[56:57], v[56:57] op_sel:[0,1]
	buffer_load_dword v36, off, s[40:43], 0 offset:512 ; 4-byte Folded Reload
	buffer_load_dword v37, off, s[40:43], 0 offset:516 ; 4-byte Folded Reload
	buffer_load_dword v38, off, s[40:43], 0 offset:520 ; 4-byte Folded Reload
	buffer_load_dword v39, off, s[40:43], 0 offset:524 ; 4-byte Folded Reload
	buffer_load_dword v40, off, s[40:43], 0 offset:528 ; 4-byte Folded Reload
	buffer_load_dword v41, off, s[40:43], 0 offset:532 ; 4-byte Folded Reload
	buffer_load_dword v42, off, s[40:43], 0 offset:536 ; 4-byte Folded Reload
	buffer_load_dword v43, off, s[40:43], 0 offset:540 ; 4-byte Folded Reload
	buffer_load_dword v44, off, s[40:43], 0 offset:544 ; 4-byte Folded Reload
	buffer_load_dword v45, off, s[40:43], 0 offset:548 ; 4-byte Folded Reload
	buffer_load_dword v46, off, s[40:43], 0 offset:552 ; 4-byte Folded Reload
	buffer_load_dword v47, off, s[40:43], 0 offset:556 ; 4-byte Folded Reload
	buffer_load_dword v48, off, s[40:43], 0 offset:560 ; 4-byte Folded Reload
	buffer_load_dword v49, off, s[40:43], 0 offset:564 ; 4-byte Folded Reload
	buffer_load_dword v50, off, s[40:43], 0 offset:568 ; 4-byte Folded Reload
	buffer_load_dword v51, off, s[40:43], 0 offset:572 ; 4-byte Folded Reload
	buffer_load_dword v52, off, s[40:43], 0 offset:576 ; 4-byte Folded Reload
	buffer_load_dword v53, off, s[40:43], 0 offset:580 ; 4-byte Folded Reload
	buffer_load_dword v54, off, s[40:43], 0 offset:584 ; 4-byte Folded Reload
	buffer_load_dword v55, off, s[40:43], 0 offset:588 ; 4-byte Folded Reload
	buffer_load_dword v56, off, s[40:43], 0 offset:592 ; 4-byte Folded Reload
	buffer_load_dword v57, off, s[40:43], 0 offset:596 ; 4-byte Folded Reload
	buffer_load_dword v58, off, s[40:43], 0 offset:600 ; 4-byte Folded Reload
	buffer_load_dword v59, off, s[40:43], 0 offset:604 ; 4-byte Folded Reload
	buffer_load_dword v60, off, s[40:43], 0 offset:608 ; 4-byte Folded Reload
	buffer_load_dword v61, off, s[40:43], 0 offset:612 ; 4-byte Folded Reload
	buffer_load_dword v62, off, s[40:43], 0 offset:616 ; 4-byte Folded Reload
	buffer_load_dword v63, off, s[40:43], 0 offset:620 ; 4-byte Folded Reload
	buffer_load_dword v64, off, s[40:43], 0 offset:624 ; 4-byte Folded Reload
	buffer_load_dword v65, off, s[40:43], 0 offset:628 ; 4-byte Folded Reload
	buffer_load_dword v66, off, s[40:43], 0 offset:632 ; 4-byte Folded Reload
	buffer_load_dword v67, off, s[40:43], 0 offset:636 ; 4-byte Folded Reload
	v_fmac_f32_e32 v2, v22, v22
	v_fmac_f32_e32 v2, v23, v23
	s_waitcnt vmcnt(8)
	v_pk_mov_b32 v[24:25], v[58:59], v[58:59] op_sel:[0,1]
	buffer_load_dword v36, off, s[40:43], 0 offset:640 ; 4-byte Folded Reload
	buffer_load_dword v37, off, s[40:43], 0 offset:644 ; 4-byte Folded Reload
	buffer_load_dword v38, off, s[40:43], 0 offset:648 ; 4-byte Folded Reload
	buffer_load_dword v39, off, s[40:43], 0 offset:652 ; 4-byte Folded Reload
	buffer_load_dword v40, off, s[40:43], 0 offset:656 ; 4-byte Folded Reload
	buffer_load_dword v41, off, s[40:43], 0 offset:660 ; 4-byte Folded Reload
	buffer_load_dword v42, off, s[40:43], 0 offset:664 ; 4-byte Folded Reload
	buffer_load_dword v43, off, s[40:43], 0 offset:668 ; 4-byte Folded Reload
	buffer_load_dword v44, off, s[40:43], 0 offset:672 ; 4-byte Folded Reload
	buffer_load_dword v45, off, s[40:43], 0 offset:676 ; 4-byte Folded Reload
	buffer_load_dword v46, off, s[40:43], 0 offset:680 ; 4-byte Folded Reload
	buffer_load_dword v47, off, s[40:43], 0 offset:684 ; 4-byte Folded Reload
	buffer_load_dword v48, off, s[40:43], 0 offset:688 ; 4-byte Folded Reload
	buffer_load_dword v49, off, s[40:43], 0 offset:692 ; 4-byte Folded Reload
	buffer_load_dword v50, off, s[40:43], 0 offset:696 ; 4-byte Folded Reload
	buffer_load_dword v51, off, s[40:43], 0 offset:700 ; 4-byte Folded Reload
	buffer_load_dword v52, off, s[40:43], 0 offset:704 ; 4-byte Folded Reload
	buffer_load_dword v53, off, s[40:43], 0 offset:708 ; 4-byte Folded Reload
	buffer_load_dword v54, off, s[40:43], 0 offset:712 ; 4-byte Folded Reload
	buffer_load_dword v55, off, s[40:43], 0 offset:716 ; 4-byte Folded Reload
	buffer_load_dword v56, off, s[40:43], 0 offset:720 ; 4-byte Folded Reload
	buffer_load_dword v57, off, s[40:43], 0 offset:724 ; 4-byte Folded Reload
	buffer_load_dword v58, off, s[40:43], 0 offset:728 ; 4-byte Folded Reload
	buffer_load_dword v59, off, s[40:43], 0 offset:732 ; 4-byte Folded Reload
	buffer_load_dword v60, off, s[40:43], 0 offset:736 ; 4-byte Folded Reload
	buffer_load_dword v61, off, s[40:43], 0 offset:740 ; 4-byte Folded Reload
	buffer_load_dword v62, off, s[40:43], 0 offset:744 ; 4-byte Folded Reload
	buffer_load_dword v63, off, s[40:43], 0 offset:748 ; 4-byte Folded Reload
	buffer_load_dword v64, off, s[40:43], 0 offset:752 ; 4-byte Folded Reload
	buffer_load_dword v65, off, s[40:43], 0 offset:756 ; 4-byte Folded Reload
	buffer_load_dword v66, off, s[40:43], 0 offset:760 ; 4-byte Folded Reload
	buffer_load_dword v67, off, s[40:43], 0 offset:764 ; 4-byte Folded Reload
	v_fmac_f32_e32 v2, v24, v24
	v_fmac_f32_e32 v2, v25, v25
	s_waitcnt vmcnt(6)
	v_pk_mov_b32 v[26:27], v[60:61], v[60:61] op_sel:[0,1]
	buffer_load_dword v36, off, s[40:43], 0 offset:384 ; 4-byte Folded Reload
	buffer_load_dword v37, off, s[40:43], 0 offset:388 ; 4-byte Folded Reload
	buffer_load_dword v38, off, s[40:43], 0 offset:392 ; 4-byte Folded Reload
	buffer_load_dword v39, off, s[40:43], 0 offset:396 ; 4-byte Folded Reload
	buffer_load_dword v40, off, s[40:43], 0 offset:400 ; 4-byte Folded Reload
	buffer_load_dword v41, off, s[40:43], 0 offset:404 ; 4-byte Folded Reload
	buffer_load_dword v42, off, s[40:43], 0 offset:408 ; 4-byte Folded Reload
	buffer_load_dword v43, off, s[40:43], 0 offset:412 ; 4-byte Folded Reload
	buffer_load_dword v44, off, s[40:43], 0 offset:416 ; 4-byte Folded Reload
	buffer_load_dword v45, off, s[40:43], 0 offset:420 ; 4-byte Folded Reload
	buffer_load_dword v46, off, s[40:43], 0 offset:424 ; 4-byte Folded Reload
	buffer_load_dword v47, off, s[40:43], 0 offset:428 ; 4-byte Folded Reload
	buffer_load_dword v48, off, s[40:43], 0 offset:432 ; 4-byte Folded Reload
	buffer_load_dword v49, off, s[40:43], 0 offset:436 ; 4-byte Folded Reload
	buffer_load_dword v50, off, s[40:43], 0 offset:440 ; 4-byte Folded Reload
	buffer_load_dword v51, off, s[40:43], 0 offset:444 ; 4-byte Folded Reload
	buffer_load_dword v52, off, s[40:43], 0 offset:448 ; 4-byte Folded Reload
	buffer_load_dword v53, off, s[40:43], 0 offset:452 ; 4-byte Folded Reload
	buffer_load_dword v54, off, s[40:43], 0 offset:456 ; 4-byte Folded Reload
	buffer_load_dword v55, off, s[40:43], 0 offset:460 ; 4-byte Folded Reload
	buffer_load_dword v56, off, s[40:43], 0 offset:464 ; 4-byte Folded Reload
	buffer_load_dword v57, off, s[40:43], 0 offset:468 ; 4-byte Folded Reload
	buffer_load_dword v58, off, s[40:43], 0 offset:472 ; 4-byte Folded Reload
	buffer_load_dword v59, off, s[40:43], 0 offset:476 ; 4-byte Folded Reload
	buffer_load_dword v60, off, s[40:43], 0 offset:480 ; 4-byte Folded Reload
	buffer_load_dword v61, off, s[40:43], 0 offset:484 ; 4-byte Folded Reload
	buffer_load_dword v62, off, s[40:43], 0 offset:488 ; 4-byte Folded Reload
	buffer_load_dword v63, off, s[40:43], 0 offset:492 ; 4-byte Folded Reload
	buffer_load_dword v64, off, s[40:43], 0 offset:496 ; 4-byte Folded Reload
	buffer_load_dword v65, off, s[40:43], 0 offset:500 ; 4-byte Folded Reload
	buffer_load_dword v66, off, s[40:43], 0 offset:504 ; 4-byte Folded Reload
	buffer_load_dword v67, off, s[40:43], 0 offset:508 ; 4-byte Folded Reload
	v_fmac_f32_e32 v2, v26, v26
	v_fmac_f32_e32 v2, v27, v27
	s_waitcnt vmcnt(4)
	v_pk_mov_b32 v[28:29], v[62:63], v[62:63] op_sel:[0,1]
	buffer_load_dword v36, off, s[40:43], 0 offset:256 ; 4-byte Folded Reload
	buffer_load_dword v37, off, s[40:43], 0 offset:260 ; 4-byte Folded Reload
	buffer_load_dword v38, off, s[40:43], 0 offset:264 ; 4-byte Folded Reload
	;; [unrolled: 1-line block ×31, first 2 shown]
	v_fmac_f32_e32 v2, v28, v28
	v_fmac_f32_e32 v2, v29, v29
	s_waitcnt vmcnt(2)
	v_pk_mov_b32 v[32:33], v[64:65], v[64:65] op_sel:[0,1]
	v_fmac_f32_e32 v2, v32, v32
	v_fmac_f32_e32 v2, v33, v33
	;; [unrolled: 1-line block ×4, first 2 shown]
	s_nop 1
	v_mov_b32_dpp v3, v2 quad_perm:[1,0,3,2] row_mask:0xf bank_mask:0xf
	v_add_f32_e32 v2, v2, v3
	s_nop 1
	v_mov_b32_dpp v3, v2 quad_perm:[2,3,0,1] row_mask:0xf bank_mask:0xf
	v_add_f32_e32 v2, v2, v3
	s_nop 1
	v_mov_b32_dpp v3, v2 row_half_mirror row_mask:0xf bank_mask:0xf
	v_add_f32_e32 v2, v2, v3
	s_nop 1
	v_mov_b32_dpp v3, v2 row_mirror row_mask:0xf bank_mask:0xf
	v_add_f32_e32 v2, v2, v3
	s_nop 1
	v_mov_b32_dpp v3, v2 row_bcast:15 row_mask:0xf bank_mask:0xf
	v_add_f32_e32 v2, v2, v3
	v_and_b32_e32 v3, 63, v0
	v_cmp_eq_u32_e64 s[2:3], 63, v3
	s_nop 0
	v_mov_b32_dpp v3, v2 row_bcast:31 row_mask:0xf bank_mask:0xf
	s_waitcnt lgkmcnt(0)
	s_and_saveexec_b64 s[26:27], s[2:3]
	s_cbranch_execz .LBB84_13
; %bb.12:
	v_add_f32_e32 v2, v2, v3
	v_lshrrev_b32_e32 v3, 4, v0
	v_and_b32_e32 v3, 60, v3
	ds_write_b32 v3, v2 offset:32
.LBB84_13:
	s_or_b64 exec, exec, s[26:27]
	v_and_b32_e32 v2, 3, v0
	s_waitcnt vmcnt(1)
	v_lshlrev_b32_e32 v66, 2, v2
	s_waitcnt lgkmcnt(0)
	s_barrier
	ds_read_b32 v2, v66 offset:32
	s_load_dwordx2 s[26:27], s[4:5], 0x18
	s_waitcnt lgkmcnt(0)
	v_mov_b32_dpp v3, v2 quad_perm:[1,0,3,2] row_mask:0xf bank_mask:0xf
	v_add_f32_e32 v2, v2, v3
	s_nop 1
	v_mov_b32_dpp v3, v2 quad_perm:[2,3,0,1] row_mask:0xf bank_mask:0xf
	s_and_saveexec_b64 s[28:29], s[0:1]
	s_cbranch_execnz .LBB84_18
; %bb.14:
	s_or_b64 exec, exec, s[28:29]
	s_mov_b64 s[8:9], -1
	s_and_b64 vcc, exec, s[22:23]
	s_cbranch_vccnz .LBB84_19
.LBB84_15:
	s_andn2_b64 vcc, exec, s[8:9]
	s_cbranch_vccz .LBB84_22
.LBB84_16:
	s_cmp_lt_i32 s16, 1
	s_cbranch_scc0 .LBB84_33
.LBB84_17:
	s_endpgm
.LBB84_18:
	v_add_f32_e32 v2, v2, v3
	v_cvt_f32_u32_e32 v3, s7
	s_mov_b32 s7, 0x800000
	v_div_scale_f32 v6, s[36:37], v3, v3, v2
	v_rcp_f32_e32 v7, v6
	v_fma_f32 v8, -v6, v7, 1.0
	v_fmac_f32_e32 v7, v8, v7
	v_div_scale_f32 v8, vcc, v2, v3, v2
	v_mul_f32_e32 v9, v8, v7
	v_fma_f32 v10, -v6, v9, v8
	v_fmac_f32_e32 v9, v10, v7
	v_fma_f32 v6, -v6, v9, v8
	v_div_fmas_f32 v6, v6, v7, v9
	v_div_fixup_f32 v2, v6, v3, v2
	v_mov_b32_e32 v3, s13
	v_mov_b32_e32 v6, s12
	v_cndmask_b32_e64 v3, v3, v6, s[8:9]
	v_add_f32_e32 v2, v3, v2
	v_mul_f32_e32 v3, 0x4b800000, v2
	v_cmp_gt_f32_e32 vcc, s7, v2
	v_cndmask_b32_e32 v2, v2, v3, vcc
	v_rsq_f32_e32 v2, v2
	v_mul_f32_e32 v3, 0x45800000, v2
	v_cndmask_b32_e32 v30, v2, v3, vcc
	v_mov_b32_e32 v31, v30
	;;#ASMSTART
	v_pk_mul_f32 v[2:3], v[34:35], v[30:31]
	;;#ASMEND
	buffer_load_dword v34, off, s[40:43], 0 offset:128 ; 4-byte Folded Reload
	buffer_load_dword v35, off, s[40:43], 0 offset:132 ; 4-byte Folded Reload
	;; [unrolled: 1-line block ×32, first 2 shown]
	s_waitcnt vmcnt(28)
	;;#ASMSTART
	v_pk_mul_f32 v[4:5], v[36:37], v[30:31]
	;;#ASMEND
	buffer_load_dword v34, off, s[40:43], 0 ; 4-byte Folded Reload
	buffer_load_dword v35, off, s[40:43], 0 offset:4 ; 4-byte Folded Reload
	buffer_load_dword v36, off, s[40:43], 0 offset:8 ; 4-byte Folded Reload
	;; [unrolled: 1-line block ×31, first 2 shown]
	s_waitcnt vmcnt(30)
	v_cvt_f32_u32_sdwa v35, v116 dst_sel:DWORD dst_unused:UNUSED_PAD src0_sel:WORD_1
	v_cvt_f32_u32_sdwa v34, v116 dst_sel:DWORD dst_unused:UNUSED_PAD src0_sel:WORD_0
	s_waitcnt vmcnt(28)
	v_cvt_f32_u32_sdwa v37, v117 dst_sel:DWORD dst_unused:UNUSED_PAD src0_sel:WORD_1
	v_cvt_f32_u32_sdwa v36, v117 dst_sel:DWORD dst_unused:UNUSED_PAD src0_sel:WORD_0
	;; [unrolled: 3-line block ×15, first 2 shown]
	;;#ASMSTART
	v_pk_mul_f32 v[6:7], v[38:39], v[30:31]
	;;#ASMEND
	;;#ASMSTART
	v_pk_mul_f32 v[8:9], v[72:73], v[30:31]
	;;#ASMEND
	;;#ASMSTART
	v_pk_mul_f32 v[10:11], v[68:69], v[30:31]
	;;#ASMEND
	;;#ASMSTART
	v_pk_mul_f32 v[12:13], v[12:13], v[30:31]
	;;#ASMEND
	;;#ASMSTART
	v_pk_mul_f32 v[14:15], v[14:15], v[30:31]
	;;#ASMEND
	;;#ASMSTART
	v_pk_mul_f32 v[16:17], v[16:17], v[30:31]
	;;#ASMEND
	;;#ASMSTART
	v_pk_mul_f32 v[18:19], v[18:19], v[30:31]
	;;#ASMEND
	;;#ASMSTART
	v_pk_mul_f32 v[20:21], v[20:21], v[30:31]
	;;#ASMEND
	;;#ASMSTART
	v_pk_mul_f32 v[22:23], v[22:23], v[30:31]
	;;#ASMEND
	;;#ASMSTART
	v_pk_mul_f32 v[24:25], v[24:25], v[30:31]
	;;#ASMEND
	;;#ASMSTART
	v_pk_mul_f32 v[26:27], v[26:27], v[30:31]
	;;#ASMEND
	;;#ASMSTART
	v_pk_mul_f32 v[28:29], v[28:29], v[30:31]
	;;#ASMEND
	;;#ASMSTART
	v_pk_mul_f32 v[32:33], v[32:33], v[30:31]
	;;#ASMEND
	;;#ASMSTART
	v_pk_mul_f32 v[30:31], v[70:71], v[30:31]
	;;#ASMEND
	;;#ASMSTART
	v_pk_mul_f32 v[34:35], v[2:3], v[34:35]
	;;#ASMEND
	;;#ASMSTART
	v_pk_mul_f32 v[2:3], v[4:5], v[36:37]
	;;#ASMEND
	buffer_store_dword v0, off, s[40:43], 0 offset:128 ; 4-byte Folded Spill
	s_nop 0
	buffer_store_dword v1, off, s[40:43], 0 offset:132 ; 4-byte Folded Spill
	buffer_store_dword v2, off, s[40:43], 0 offset:136 ; 4-byte Folded Spill
	;; [unrolled: 1-line block ×31, first 2 shown]
	v_cvt_f32_u32_sdwa v39, v118 dst_sel:DWORD dst_unused:UNUSED_PAD src0_sel:WORD_1
	v_cvt_f32_u32_sdwa v38, v118 dst_sel:DWORD dst_unused:UNUSED_PAD src0_sel:WORD_0
	;;#ASMSTART
	v_pk_mul_f32 v[4:5], v[6:7], v[38:39]
	;;#ASMEND
	buffer_store_dword v0, off, s[40:43], 0 ; 4-byte Folded Spill
	s_nop 0
	buffer_store_dword v1, off, s[40:43], 0 offset:4 ; 4-byte Folded Spill
	buffer_store_dword v2, off, s[40:43], 0 offset:8 ; 4-byte Folded Spill
	;; [unrolled: 1-line block ×31, first 2 shown]
	;;#ASMSTART
	v_pk_mul_f32 v[72:73], v[8:9], v[40:41]
	;;#ASMEND
	;;#ASMSTART
	v_pk_mul_f32 v[68:69], v[10:11], v[42:43]
	;;#ASMEND
	;; [unrolled: 3-line block ×13, first 2 shown]
	s_or_b64 exec, exec, s[28:29]
	s_mov_b64 s[8:9], -1
	s_and_b64 vcc, exec, s[22:23]
	s_cbranch_vccz .LBB84_15
.LBB84_19:
	s_and_saveexec_b64 s[8:9], s[0:1]
	s_cbranch_execz .LBB84_21
; %bb.20:
	buffer_load_dword v74, off, s[40:43], 0 ; 4-byte Folded Reload
	buffer_load_dword v75, off, s[40:43], 0 offset:4 ; 4-byte Folded Reload
	buffer_load_dword v76, off, s[40:43], 0 offset:8 ; 4-byte Folded Reload
	;; [unrolled: 1-line block ×31, first 2 shown]
	s_mul_hi_i32 s23, s25, s6
	s_mul_i32 s22, s25, s6
	s_lshl_b64 s[22:23], s[22:23], 1
	s_add_u32 s28, s26, s22
	s_addc_u32 s7, s27, s23
	s_and_b32 s29, s7, 0xffff
	s_mov_b32 s7, 0x7060302
	s_mov_b32 s31, 0x20000
	v_perm_b32 v9, v73, v72, s7
	v_perm_b32 v6, v35, v34, s7
	v_lshlrev_b32_e32 v2, 1, v1
	s_movk_i32 s12, 0x400
	s_waitcnt vmcnt(26)
	v_perm_b32 v8, v79, v78, s7
	buffer_load_dword v74, off, s[40:43], 0 offset:128 ; 4-byte Folded Reload
	buffer_load_dword v75, off, s[40:43], 0 offset:132 ; 4-byte Folded Reload
	;; [unrolled: 1-line block ×32, first 2 shown]
	s_waitcnt vmcnt(28)
	v_perm_b32 v7, v77, v76, s7
	buffer_store_dwordx4 v[6:9], v2, s[28:31], 0 offen
	;;#ASMSTART
	s_nop 0
	;;#ASMEND
	s_nop 0
	v_perm_b32 v9, v17, v16, s7
	v_perm_b32 v8, v15, v14, s7
	;; [unrolled: 1-line block ×4, first 2 shown]
	buffer_store_dwordx4 v[6:9], v2, s[28:31], s12 offen
	v_perm_b32 v9, v25, v24, s7
	v_perm_b32 v8, v23, v22, s7
	;; [unrolled: 1-line block ×4, first 2 shown]
	s_movk_i32 s12, 0x800
	;;#ASMSTART
	s_nop 0
	;;#ASMEND
	buffer_store_dwordx4 v[6:9], v2, s[28:31], s12 offen
	v_perm_b32 v9, v71, v70, s7
	v_perm_b32 v8, v33, v32, s7
	;; [unrolled: 1-line block ×4, first 2 shown]
	s_movk_i32 s7, 0xc00
	;;#ASMSTART
	s_nop 0
	;;#ASMEND
	buffer_store_dwordx4 v[6:9], v2, s[28:31], s7 offen
	;;#ASMSTART
	s_nop 0
	;;#ASMEND
.LBB84_21:
	s_or_b64 exec, exec, s[8:9]
	s_cbranch_execnz .LBB84_16
.LBB84_22:
	v_mov_b32_e32 v2, 0
	s_and_saveexec_b64 s[8:9], s[0:1]
	s_cbranch_execz .LBB84_24
; %bb.23:
	buffer_load_dword v74, off, s[40:43], 0 ; 4-byte Folded Reload
	buffer_load_dword v75, off, s[40:43], 0 offset:4 ; 4-byte Folded Reload
	buffer_load_dword v76, off, s[40:43], 0 offset:8 ; 4-byte Folded Reload
	;; [unrolled: 1-line block ×31, first 2 shown]
	s_load_dwordx2 s[22:23], s[4:5], 0x10
	s_mul_hi_i32 s29, s24, s6
	s_mul_i32 s28, s24, s6
	s_lshl_b64 s[28:29], s[28:29], 1
	s_mov_b32 s31, 0x20000
	s_waitcnt lgkmcnt(0)
	s_add_u32 s28, s22, s28
	s_addc_u32 s7, s23, s29
	s_and_b32 s29, s7, 0xffff
	s_mov_b32 s7, 0x7060302
	v_perm_b32 v9, v73, v72, s7
	v_perm_b32 v6, v35, v34, s7
	v_lshlrev_b32_e32 v2, 1, v1
	s_movk_i32 s12, 0x400
	s_waitcnt vmcnt(26)
	v_perm_b32 v8, v79, v78, s7
	buffer_load_dword v74, off, s[40:43], 0 offset:128 ; 4-byte Folded Reload
	buffer_load_dword v75, off, s[40:43], 0 offset:132 ; 4-byte Folded Reload
	;; [unrolled: 1-line block ×32, first 2 shown]
	s_waitcnt vmcnt(28)
	v_perm_b32 v7, v77, v76, s7
	buffer_store_dwordx4 v[6:9], v2, s[28:31], 0 offen
	;;#ASMSTART
	s_nop 0
	;;#ASMEND
	s_nop 0
	v_perm_b32 v9, v17, v16, s7
	v_perm_b32 v8, v15, v14, s7
	;; [unrolled: 1-line block ×4, first 2 shown]
	buffer_store_dwordx4 v[6:9], v2, s[28:31], s12 offen
	v_perm_b32 v9, v25, v24, s7
	v_perm_b32 v8, v23, v22, s7
	;; [unrolled: 1-line block ×4, first 2 shown]
	s_movk_i32 s12, 0x800
	;;#ASMSTART
	s_nop 0
	;;#ASMEND
	buffer_store_dwordx4 v[6:9], v2, s[28:31], s12 offen
	v_perm_b32 v9, v71, v70, s7
	v_perm_b32 v8, v33, v32, s7
	;; [unrolled: 1-line block ×4, first 2 shown]
	s_movk_i32 s7, 0xc00
	;;#ASMSTART
	s_nop 0
	;;#ASMEND
	buffer_store_dwordx4 v[6:9], v2, s[28:31], s7 offen
	v_mov_b32_e32 v2, 0x2edbe6ff
	;;#ASMSTART
	s_nop 0
	;;#ASMEND
.LBB84_24:
	s_or_b64 exec, exec, s[8:9]
	s_and_saveexec_b64 s[8:9], s[0:1]
	s_cbranch_execz .LBB84_26
; %bb.25:
	v_and_b32_e32 v3, 0x7fffffff, v34
	v_and_b32_e32 v6, 0x7fffffff, v35
	;;#ASMSTART
	v_max3_f32 v2, v2, v3, v6

	;;#ASMEND
	buffer_load_dword v74, off, s[40:43], 0 offset:128 ; 4-byte Folded Reload
	buffer_load_dword v75, off, s[40:43], 0 offset:132 ; 4-byte Folded Reload
	;; [unrolled: 1-line block ×32, first 2 shown]
	s_waitcnt vmcnt(28)
	v_pk_mov_b32 v[4:5], v[76:77], v[76:77] op_sel:[0,1]
	v_and_b32_e32 v3, 0x7fffffff, v4
	v_and_b32_e32 v6, 0x7fffffff, v5
	;;#ASMSTART
	v_max3_f32 v2, v2, v3, v6

	;;#ASMEND
	buffer_load_dword v74, off, s[40:43], 0 ; 4-byte Folded Reload
	buffer_load_dword v75, off, s[40:43], 0 offset:4 ; 4-byte Folded Reload
	buffer_load_dword v76, off, s[40:43], 0 offset:8 ; 4-byte Folded Reload
	;; [unrolled: 1-line block ×31, first 2 shown]
	s_waitcnt vmcnt(26)
	v_pk_mov_b32 v[4:5], v[78:79], v[78:79] op_sel:[0,1]
	v_and_b32_e32 v3, 0x7fffffff, v4
	v_and_b32_e32 v6, 0x7fffffff, v5
	;;#ASMSTART
	v_max3_f32 v2, v2, v3, v6

	;;#ASMEND
	v_and_b32_e32 v3, 0x7fffffff, v72
	v_and_b32_e32 v6, 0x7fffffff, v73
	;;#ASMSTART
	v_max3_f32 v2, v2, v3, v6

	;;#ASMEND
	;; [unrolled: 6-line block ×14, first 2 shown]
.LBB84_26:
	s_or_b64 exec, exec, s[8:9]
	s_nop 0
	v_mov_b32_dpp v3, v2 quad_perm:[1,0,3,2] row_mask:0xf bank_mask:0xf
	v_cmp_gt_f32_e32 vcc, v2, v3
	v_cndmask_b32_e32 v2, v3, v2, vcc
	s_nop 1
	v_mov_b32_dpp v3, v2 quad_perm:[2,3,0,1] row_mask:0xf bank_mask:0xf
	v_cmp_gt_f32_e32 vcc, v2, v3
	v_cndmask_b32_e32 v2, v3, v2, vcc
	s_nop 1
	v_mov_b32_dpp v3, v2 row_half_mirror row_mask:0xf bank_mask:0xf
	v_cmp_gt_f32_e32 vcc, v2, v3
	v_cndmask_b32_e32 v2, v3, v2, vcc
	s_nop 1
	v_mov_b32_dpp v3, v2 row_mirror row_mask:0xf bank_mask:0xf
	v_cmp_gt_f32_e32 vcc, v2, v3
	v_cndmask_b32_e32 v2, v3, v2, vcc
	s_nop 1
	v_mov_b32_dpp v3, v2 row_bcast:15 row_mask:0xf bank_mask:0xf
	v_cmp_gt_f32_e32 vcc, v2, v3
	v_cndmask_b32_e32 v2, v3, v2, vcc
	s_nop 1
	v_mov_b32_dpp v3, v2 row_bcast:31 row_mask:0xf bank_mask:0xf
	s_and_saveexec_b64 s[8:9], s[2:3]
	s_cbranch_execz .LBB84_28
; %bb.27:
	v_cmp_gt_f32_e32 vcc, v2, v3
	v_cndmask_b32_e32 v2, v3, v2, vcc
	v_lshrrev_b32_e32 v3, 4, v0
	v_and_b32_e32 v3, 60, v3
	ds_write_b32 v3, v2
.LBB84_28:
	s_or_b64 exec, exec, s[8:9]
	s_waitcnt lgkmcnt(0)
	s_barrier
	ds_read_b32 v2, v66
	s_waitcnt lgkmcnt(0)
	s_nop 0
	v_mov_b32_dpp v3, v2 quad_perm:[1,0,3,2] row_mask:0xf bank_mask:0xf
	v_cmp_gt_f32_e32 vcc, v2, v3
	v_cndmask_b32_e32 v2, v3, v2, vcc
	s_nop 1
	v_mov_b32_dpp v3, v2 quad_perm:[2,3,0,1] row_mask:0xf bank_mask:0xf
	v_cmp_gt_f32_e32 vcc, v2, v3
	v_cndmask_b32_e32 v2, v3, v2, vcc
	v_mul_f32_e32 v2, 0x3b124925, v2
	v_cmp_eq_u32_e32 vcc, 0, v0
	s_and_saveexec_b64 s[8:9], vcc
	s_cbranch_execz .LBB84_30
; %bb.29:
	s_load_dwordx2 s[22:23], s[4:5], 0x8
	s_mul_hi_i32 s29, s11, s6
	s_mul_i32 s28, s11, s6
	s_lshl_b64 s[28:29], s[28:29], 2
	v_mov_b32_e32 v3, 0
	s_waitcnt lgkmcnt(0)
	s_add_u32 s22, s22, s28
	s_addc_u32 s23, s23, s29
	global_store_dword v3, v2, s[22:23]
.LBB84_30:
	s_or_b64 exec, exec, s[8:9]
	;;#ASMSTART
	v_rcp_f32 v2, v2
	;;#ASMEND
	s_and_saveexec_b64 s[22:23], s[0:1]
	s_cbranch_execz .LBB84_32
; %bb.31:
	v_mov_b32_e32 v3, v2
	;;#ASMSTART
	v_pk_mul_f32 v[6:7], v[34:35], v[2:3]
	;;#ASMEND
	v_mov_b32_e32 v8, 0xc3e00000
	v_mov_b32_e32 v9, 0x43e00000
	;;#ASMSTART
	v_med3_f32 v6, v6, v8, v9
v_med3_f32 v7, v7, v8, v9
v_cvt_pk_fp8_f32 v10, v6, v7
	;;#ASMEND
	buffer_load_dword v34, off, s[40:43], 0 offset:128 ; 4-byte Folded Reload
	buffer_load_dword v35, off, s[40:43], 0 offset:132 ; 4-byte Folded Reload
	;; [unrolled: 1-line block ×32, first 2 shown]
	s_load_dwordx2 s[0:1], s[4:5], 0x0
	s_mul_i32 s8, s10, s6
	s_mov_b32 s7, 0x5040100
	s_mul_hi_i32 s9, s10, s6
	s_movk_i32 s12, 0xff
	s_waitcnt lgkmcnt(0)
	s_add_u32 s8, s0, s8
	s_addc_u32 s0, s1, s9
	s_add_i32 s1, s15, 3
	s_ashr_i32 s9, s1, 31
	s_mov_b32 s14, 0xffff
	s_lshr_b32 s9, s9, 30
	s_add_i32 s1, s1, s9
	s_and_b32 s10, s1, -4
	s_and_b32 s9, s0, 0xffff
	s_mov_b32 s11, 0x20000
	s_movk_i32 s0, 0x200
	s_waitcnt vmcnt(28)
	;;#ASMSTART
	v_pk_mul_f32 v[4:5], v[36:37], v[2:3]
	;;#ASMEND
	;;#ASMSTART
	v_med3_f32 v4, v4, v8, v9
v_med3_f32 v5, v5, v8, v9
v_cvt_pk_fp8_f32 v6, v4, v5
	;;#ASMEND
	buffer_load_dword v34, off, s[40:43], 0 ; 4-byte Folded Reload
	buffer_load_dword v35, off, s[40:43], 0 offset:4 ; 4-byte Folded Reload
	buffer_load_dword v36, off, s[40:43], 0 offset:8 ; 4-byte Folded Reload
	;; [unrolled: 1-line block ×31, first 2 shown]
	s_waitcnt vmcnt(26)
	;;#ASMSTART
	v_pk_mul_f32 v[4:5], v[38:39], v[2:3]
	;;#ASMEND
	;;#ASMSTART
	v_med3_f32 v4, v4, v8, v9
v_med3_f32 v5, v5, v8, v9
v_cvt_pk_fp8_f32 v7, v4, v5
	;;#ASMEND
	;;#ASMSTART
	v_pk_mul_f32 v[4:5], v[72:73], v[2:3]
	;;#ASMEND
	;;#ASMSTART
	v_med3_f32 v4, v4, v8, v9
v_med3_f32 v5, v5, v8, v9
v_cvt_pk_fp8_f32 v11, v4, v5
	;;#ASMEND
	v_perm_b32 v4, v6, v10, s7
	v_and_b32_e32 v5, 0xffffff00, v6
	v_and_b32_sdwa v6, v4, s12 dst_sel:DWORD dst_unused:UNUSED_PAD src0_sel:WORD_1 src1_sel:DWORD
	v_or_b32_sdwa v5, v6, v5 dst_sel:WORD_1 dst_unused:UNUSED_PAD src0_sel:DWORD src1_sel:DWORD
	v_and_or_b32 v4, v4, s14, v5
	v_lshlrev_b32_e32 v5, 16, v11
	v_and_or_b32 v5, v7, s14, v5
	buffer_store_dwordx2 v[4:5], v1, s[8:11], 0 offen
	;;#ASMSTART
	s_nop 0
	;;#ASMEND
	;;#ASMSTART
	v_pk_mul_f32 v[4:5], v[68:69], v[2:3]
	;;#ASMEND
	;;#ASMSTART
	v_med3_f32 v4, v4, v8, v9
v_med3_f32 v5, v5, v8, v9
v_cvt_pk_fp8_f32 v6, v4, v5
	;;#ASMEND
	;;#ASMSTART
	v_pk_mul_f32 v[4:5], v[12:13], v[2:3]
	;;#ASMEND
	;;#ASMSTART
	v_med3_f32 v4, v4, v8, v9
v_med3_f32 v5, v5, v8, v9
v_cvt_pk_fp8_f32 v7, v4, v5
	;;#ASMEND
	;;#ASMSTART
	v_pk_mul_f32 v[4:5], v[14:15], v[2:3]
	;;#ASMEND
	;;#ASMSTART
	v_med3_f32 v4, v4, v8, v9
v_med3_f32 v5, v5, v8, v9
v_cvt_pk_fp8_f32 v10, v4, v5
	;;#ASMEND
	;;#ASMSTART
	v_pk_mul_f32 v[4:5], v[16:17], v[2:3]
	;;#ASMEND
	;;#ASMSTART
	v_med3_f32 v4, v4, v8, v9
v_med3_f32 v5, v5, v8, v9
v_cvt_pk_fp8_f32 v11, v4, v5
	;;#ASMEND
	v_perm_b32 v4, v7, v6, s7
	v_and_b32_e32 v5, 0xffffff00, v7
	v_and_b32_sdwa v6, v4, s12 dst_sel:DWORD dst_unused:UNUSED_PAD src0_sel:WORD_1 src1_sel:DWORD
	v_or_b32_sdwa v5, v6, v5 dst_sel:WORD_1 dst_unused:UNUSED_PAD src0_sel:DWORD src1_sel:DWORD
	v_and_or_b32 v4, v4, s14, v5
	v_lshlrev_b32_e32 v5, 16, v11
	v_and_or_b32 v5, v10, s14, v5
	buffer_store_dwordx2 v[4:5], v1, s[8:11], s0 offen
	;;#ASMSTART
	s_nop 0
	;;#ASMEND
	;;#ASMSTART
	v_pk_mul_f32 v[4:5], v[18:19], v[2:3]
	;;#ASMEND
	;;#ASMSTART
	v_med3_f32 v4, v4, v8, v9
v_med3_f32 v5, v5, v8, v9
v_cvt_pk_fp8_f32 v6, v4, v5
	;;#ASMEND
	;;#ASMSTART
	v_pk_mul_f32 v[4:5], v[20:21], v[2:3]
	;;#ASMEND
	;;#ASMSTART
	v_med3_f32 v4, v4, v8, v9
v_med3_f32 v5, v5, v8, v9
v_cvt_pk_fp8_f32 v7, v4, v5
	;; [unrolled: 8-line block ×4, first 2 shown]
	;;#ASMEND
	v_perm_b32 v4, v7, v6, s7
	v_and_b32_e32 v5, 0xffffff00, v7
	v_and_b32_sdwa v6, v4, s12 dst_sel:DWORD dst_unused:UNUSED_PAD src0_sel:WORD_1 src1_sel:DWORD
	v_or_b32_sdwa v5, v6, v5 dst_sel:WORD_1 dst_unused:UNUSED_PAD src0_sel:DWORD src1_sel:DWORD
	v_and_or_b32 v4, v4, s14, v5
	v_lshlrev_b32_e32 v5, 16, v11
	v_and_or_b32 v5, v10, s14, v5
	s_movk_i32 s0, 0x400
	buffer_store_dwordx2 v[4:5], v1, s[8:11], s0 offen
	;;#ASMSTART
	s_nop 0
	;;#ASMEND
	;;#ASMSTART
	v_pk_mul_f32 v[4:5], v[26:27], v[2:3]
	;;#ASMEND
	;;#ASMSTART
	v_med3_f32 v4, v4, v8, v9
v_med3_f32 v5, v5, v8, v9
v_cvt_pk_fp8_f32 v6, v4, v5
	;;#ASMEND
	;;#ASMSTART
	v_pk_mul_f32 v[4:5], v[28:29], v[2:3]
	;;#ASMEND
	;;#ASMSTART
	v_med3_f32 v4, v4, v8, v9
v_med3_f32 v5, v5, v8, v9
v_cvt_pk_fp8_f32 v7, v4, v5
	;;#ASMEND
	v_perm_b32 v5, v7, v6, s7
	v_and_b32_e32 v4, 0xffffff00, v7
	v_and_b32_sdwa v6, v5, s12 dst_sel:DWORD dst_unused:UNUSED_PAD src0_sel:WORD_1 src1_sel:DWORD
	v_or_b32_sdwa v4, v6, v4 dst_sel:WORD_1 dst_unused:UNUSED_PAD src0_sel:DWORD src1_sel:DWORD
	v_and_or_b32 v4, v5, s14, v4
	;;#ASMSTART
	v_pk_mul_f32 v[6:7], v[32:33], v[2:3]
	;;#ASMEND
	v_mov_b32_e32 v5, v7
	;;#ASMSTART
	v_med3_f32 v6, v6, v8, v9
v_med3_f32 v5, v5, v8, v9
v_cvt_pk_fp8_f32 v7, v6, v5
	;;#ASMEND
	;;#ASMSTART
	v_pk_mul_f32 v[2:3], v[70:71], v[2:3]
	;;#ASMEND
	;;#ASMSTART
	v_med3_f32 v2, v2, v8, v9
v_med3_f32 v3, v3, v8, v9
v_cvt_pk_fp8_f32 v5, v2, v3
	;;#ASMEND
	v_lshlrev_b32_e32 v2, 16, v5
	v_and_or_b32 v5, v7, s14, v2
	s_movk_i32 s0, 0x600
	buffer_store_dwordx2 v[4:5], v1, s[8:11], s0 offen
	;;#ASMSTART
	s_nop 0
	;;#ASMEND
.LBB84_32:
	s_or_b64 exec, exec, s[22:23]
	s_cmp_lt_i32 s16, 1
	s_cbranch_scc1 .LBB84_17
.LBB84_33:
	s_load_dword s0, s[4:5], 0x94
	s_waitcnt lgkmcnt(0)
	s_cmp_lg_u32 s0, 1
	s_cbranch_scc1 .LBB84_17
; %bb.34:
	s_lshl_b32 s0, s16, 1
	s_add_i32 s0, s0, 2
	v_cmp_gt_u32_e32 vcc, s16, v1
	s_and_b32 s22, s0, -4
	v_mov_b32_e32 v34, 0
	s_waitcnt vmcnt(0)
	v_lshlrev_b32_e32 v67, 1, v1
	v_mov_b32_e32 v30, 0
	v_mov_b32_e32 v31, 0
	v_mov_b32_e32 v32, 0
	v_mov_b32_e32 v33, 0
	v_mov_b32_e32 v22, 0
	v_mov_b32_e32 v23, 0
	v_mov_b32_e32 v24, 0
	v_mov_b32_e32 v25, 0
	v_mov_b32_e32 v26, 0
	v_mov_b32_e32 v27, 0
	v_mov_b32_e32 v28, 0
	v_mov_b32_e32 v29, 0
	v_mov_b32_e32 v18, 0
	v_mov_b32_e32 v19, 0
	v_mov_b32_e32 v20, 0
	v_mov_b32_e32 v21, 0
	v_mov_b32_e32 v14, 0
	v_mov_b32_e32 v15, 0
	v_mov_b32_e32 v16, 0
	v_mov_b32_e32 v17, 0
	v_mov_b32_e32 v10, 0
	v_mov_b32_e32 v11, 0
	v_mov_b32_e32 v12, 0
	v_mov_b32_e32 v13, 0
	v_mov_b32_e32 v6, 0
	v_mov_b32_e32 v7, 0
	v_mov_b32_e32 v8, 0
	v_mov_b32_e32 v9, 0
	v_mov_b32_e32 v2, 0
	v_mov_b32_e32 v3, 0
	v_mov_b32_e32 v4, 0
	v_mov_b32_e32 v5, 0
	s_barrier
	s_and_saveexec_b64 s[0:1], vcc
	s_cbranch_execz .LBB84_36
; %bb.35:
	s_mul_hi_i32 s5, s18, s6
	s_mul_i32 s4, s18, s6
	s_and_b32 s21, s21, 0xffff
	s_lshl_b64 s[4:5], s[4:5], 1
	s_add_u32 s8, s34, s4
	s_mov_b32 s23, 0x20000
	s_addc_u32 s4, s35, s5
	s_and_b32 s9, s4, 0xffff
	s_mov_b32 s10, s22
	s_mov_b32 s11, s23
	s_movk_i32 s5, 0x800
	s_movk_i32 s4, 0x400
	buffer_load_dwordx4 v[30:33], v67, s[8:11], 0 offen glc slc
	buffer_load_dwordx4 v[22:25], v67, s[8:11], s4 offen glc slc
	s_movk_i32 s7, 0xc00
	buffer_load_dwordx4 v[26:29], v67, s[8:11], s5 offen glc slc
	buffer_load_dwordx4 v[18:21], v67, s[8:11], s7 offen glc slc
	buffer_load_dwordx4 v[14:17], v67, s[20:23], 0 offen
	buffer_load_dwordx4 v[10:13], v67, s[20:23], s4 offen
	;; [unrolled: 1-line block ×4, first 2 shown]
.LBB84_36:
	s_or_b64 exec, exec, s[0:1]
	v_mov_b32_e32 v35, 0
	v_mov_b32_e32 v64, 0
	;; [unrolled: 1-line block ×31, first 2 shown]
	s_and_saveexec_b64 s[0:1], vcc
	s_cbranch_execz .LBB84_38
; %bb.37:
	s_waitcnt vmcnt(7)
	v_cvt_f32_u32_sdwa v34, v30 dst_sel:DWORD dst_unused:UNUSED_PAD src0_sel:WORD_0
	v_cvt_f32_u32_sdwa v35, v30 dst_sel:DWORD dst_unused:UNUSED_PAD src0_sel:WORD_1
	v_cvt_f32_u32_sdwa v64, v31 dst_sel:DWORD dst_unused:UNUSED_PAD src0_sel:WORD_0
	v_cvt_f32_u32_sdwa v65, v31 dst_sel:DWORD dst_unused:UNUSED_PAD src0_sel:WORD_1
	v_cvt_f32_u32_sdwa v62, v32 dst_sel:DWORD dst_unused:UNUSED_PAD src0_sel:WORD_0
	v_cvt_f32_u32_sdwa v63, v32 dst_sel:DWORD dst_unused:UNUSED_PAD src0_sel:WORD_1
	v_cvt_f32_u32_sdwa v60, v33 dst_sel:DWORD dst_unused:UNUSED_PAD src0_sel:WORD_0
	v_cvt_f32_u32_sdwa v61, v33 dst_sel:DWORD dst_unused:UNUSED_PAD src0_sel:WORD_1
	s_waitcnt vmcnt(6)
	v_cvt_f32_u32_sdwa v58, v22 dst_sel:DWORD dst_unused:UNUSED_PAD src0_sel:WORD_0
	v_cvt_f32_u32_sdwa v59, v22 dst_sel:DWORD dst_unused:UNUSED_PAD src0_sel:WORD_1
	v_cvt_f32_u32_sdwa v56, v23 dst_sel:DWORD dst_unused:UNUSED_PAD src0_sel:WORD_0
	v_cvt_f32_u32_sdwa v57, v23 dst_sel:DWORD dst_unused:UNUSED_PAD src0_sel:WORD_1
	v_cvt_f32_u32_sdwa v54, v24 dst_sel:DWORD dst_unused:UNUSED_PAD src0_sel:WORD_0
	v_cvt_f32_u32_sdwa v55, v24 dst_sel:DWORD dst_unused:UNUSED_PAD src0_sel:WORD_1
	v_cvt_f32_u32_sdwa v52, v25 dst_sel:DWORD dst_unused:UNUSED_PAD src0_sel:WORD_0
	v_cvt_f32_u32_sdwa v53, v25 dst_sel:DWORD dst_unused:UNUSED_PAD src0_sel:WORD_1
	;; [unrolled: 9-line block ×4, first 2 shown]
.LBB84_38:
	s_or_b64 exec, exec, s[0:1]
	v_mul_f32_e32 v1, v35, v35
	v_fmac_f32_e32 v1, v34, v34
	v_fmac_f32_e32 v1, v64, v64
	;; [unrolled: 1-line block ×31, first 2 shown]
	s_waitcnt vmcnt(4)
	s_nop 0
	v_mov_b32_dpp v18, v1 quad_perm:[1,0,3,2] row_mask:0xf bank_mask:0xf
	v_add_f32_e32 v1, v1, v18
	s_nop 1
	v_mov_b32_dpp v18, v1 quad_perm:[2,3,0,1] row_mask:0xf bank_mask:0xf
	v_add_f32_e32 v1, v1, v18
	s_nop 1
	v_mov_b32_dpp v18, v1 row_half_mirror row_mask:0xf bank_mask:0xf
	v_add_f32_e32 v1, v1, v18
	s_nop 1
	v_mov_b32_dpp v18, v1 row_mirror row_mask:0xf bank_mask:0xf
	v_add_f32_e32 v1, v1, v18
	s_nop 1
	v_mov_b32_dpp v18, v1 row_bcast:15 row_mask:0xf bank_mask:0xf
	v_add_f32_e32 v1, v1, v18
	s_nop 1
	v_mov_b32_dpp v18, v1 row_bcast:31 row_mask:0xf bank_mask:0xf
	s_and_saveexec_b64 s[0:1], s[2:3]
	s_cbranch_execz .LBB84_40
; %bb.39:
	v_lshrrev_b32_e32 v0, 4, v0
	v_add_f32_e32 v1, v1, v18
	v_and_b32_e32 v0, 60, v0
	ds_write_b32 v0, v1 offset:16
.LBB84_40:
	s_or_b64 exec, exec, s[0:1]
	s_waitcnt lgkmcnt(0)
	s_barrier
	ds_read_b32 v0, v66 offset:16
	s_waitcnt lgkmcnt(0)
	s_nop 0
	v_mov_b32_dpp v1, v0 quad_perm:[1,0,3,2] row_mask:0xf bank_mask:0xf
	v_add_f32_e32 v0, v0, v1
	s_nop 1
	v_mov_b32_dpp v1, v0 quad_perm:[2,3,0,1] row_mask:0xf bank_mask:0xf
	s_and_saveexec_b64 s[0:1], vcc
	s_cbranch_execz .LBB84_17
; %bb.41:
	v_cvt_f32_u32_e32 v18, s16
	v_add_f32_e32 v0, v0, v1
	s_mov_b32 s23, 0x20000
	v_div_scale_f32 v1, s[0:1], v18, v18, v0
	v_rcp_f32_e32 v19, v1
	v_div_scale_f32 v20, vcc, v0, v18, v0
	s_mov_b32 s0, 0x800000
	v_fma_f32 v21, -v1, v19, 1.0
	v_fmac_f32_e32 v19, v21, v19
	v_mul_f32_e32 v21, v20, v19
	v_fma_f32 v22, -v1, v21, v20
	v_fmac_f32_e32 v21, v22, v19
	v_fma_f32 v1, -v1, v21, v20
	v_div_fmas_f32 v1, v1, v19, v21
	v_div_fixup_f32 v0, v1, v18, v0
	v_add_f32_e32 v0, s13, v0
	v_mul_f32_e32 v1, 0x4b800000, v0
	v_cmp_gt_f32_e32 vcc, s0, v0
	v_cndmask_b32_e32 v0, v0, v1, vcc
	v_rsq_f32_e32 v0, v0
	s_mul_hi_i32 s1, s25, s6
	s_mul_i32 s0, s25, s6
	s_lshl_b64 s[0:1], s[0:1], 1
	v_mul_f32_e32 v1, 0x45800000, v0
	v_cndmask_b32_e32 v18, v0, v1, vcc
	v_mov_b32_e32 v19, v18
	;;#ASMSTART
	v_pk_mul_f32 v[20:21], v[34:35], v[18:19]
	;;#ASMEND
	;;#ASMSTART
	v_pk_mul_f32 v[22:23], v[64:65], v[18:19]
	;;#ASMEND
	;; [unrolled: 3-line block ×16, first 2 shown]
	s_waitcnt vmcnt(3)
	v_cvt_f32_u32_sdwa v37, v14 dst_sel:DWORD dst_unused:UNUSED_PAD src0_sel:WORD_1
	v_cvt_f32_u32_sdwa v36, v14 dst_sel:DWORD dst_unused:UNUSED_PAD src0_sel:WORD_0
	v_cvt_f32_u32_sdwa v43, v15 dst_sel:DWORD dst_unused:UNUSED_PAD src0_sel:WORD_1
	v_cvt_f32_u32_sdwa v42, v15 dst_sel:DWORD dst_unused:UNUSED_PAD src0_sel:WORD_0
	;; [unrolled: 2-line block ×4, first 2 shown]
	;;#ASMSTART
	v_pk_mul_f32 v[16:17], v[20:21], v[36:37]
	;;#ASMEND
	;;#ASMSTART
	v_pk_mul_f32 v[20:21], v[22:23], v[42:43]
	;;#ASMEND
	;; [unrolled: 3-line block ×4, first 2 shown]
	s_waitcnt vmcnt(2)
	v_cvt_f32_u32_sdwa v25, v10 dst_sel:DWORD dst_unused:UNUSED_PAD src0_sel:WORD_1
	v_cvt_f32_u32_sdwa v24, v10 dst_sel:DWORD dst_unused:UNUSED_PAD src0_sel:WORD_0
	v_cvt_f32_u32_sdwa v27, v11 dst_sel:DWORD dst_unused:UNUSED_PAD src0_sel:WORD_1
	v_cvt_f32_u32_sdwa v26, v11 dst_sel:DWORD dst_unused:UNUSED_PAD src0_sel:WORD_0
	v_cvt_f32_u32_sdwa v11, v12 dst_sel:DWORD dst_unused:UNUSED_PAD src0_sel:WORD_1
	v_cvt_f32_u32_sdwa v10, v12 dst_sel:DWORD dst_unused:UNUSED_PAD src0_sel:WORD_0
	s_add_u32 s20, s26, s0
	v_cvt_f32_u32_sdwa v37, v13 dst_sel:DWORD dst_unused:UNUSED_PAD src0_sel:WORD_1
	v_cvt_f32_u32_sdwa v36, v13 dst_sel:DWORD dst_unused:UNUSED_PAD src0_sel:WORD_0
	;;#ASMSTART
	v_pk_mul_f32 v[12:13], v[28:29], v[24:25]
	;;#ASMEND
	;;#ASMSTART
	v_pk_mul_f32 v[24:25], v[30:31], v[26:27]
	;;#ASMEND
	;;#ASMSTART
	v_pk_mul_f32 v[10:11], v[32:33], v[10:11]
	;;#ASMEND
	s_waitcnt vmcnt(1)
	v_cvt_f32_u32_sdwa v29, v6 dst_sel:DWORD dst_unused:UNUSED_PAD src0_sel:WORD_1
	v_cvt_f32_u32_sdwa v28, v6 dst_sel:DWORD dst_unused:UNUSED_PAD src0_sel:WORD_0
	v_cvt_f32_u32_sdwa v31, v7 dst_sel:DWORD dst_unused:UNUSED_PAD src0_sel:WORD_1
	v_cvt_f32_u32_sdwa v30, v7 dst_sel:DWORD dst_unused:UNUSED_PAD src0_sel:WORD_0
	v_cvt_f32_u32_sdwa v7, v8 dst_sel:DWORD dst_unused:UNUSED_PAD src0_sel:WORD_1
	v_cvt_f32_u32_sdwa v6, v8 dst_sel:DWORD dst_unused:UNUSED_PAD src0_sel:WORD_0
	v_cvt_f32_u32_sdwa v33, v9 dst_sel:DWORD dst_unused:UNUSED_PAD src0_sel:WORD_1
	v_cvt_f32_u32_sdwa v32, v9 dst_sel:DWORD dst_unused:UNUSED_PAD src0_sel:WORD_0
	s_addc_u32 s0, s27, s1
	;;#ASMSTART
	v_pk_mul_f32 v[26:27], v[34:35], v[36:37]
	;;#ASMEND
	;;#ASMSTART
	v_pk_mul_f32 v[8:9], v[50:51], v[28:29]
	;;#ASMEND
	;;#ASMSTART
	v_pk_mul_f32 v[28:29], v[48:49], v[30:31]
	;;#ASMEND
	;;#ASMSTART
	v_pk_mul_f32 v[6:7], v[46:47], v[6:7]
	;;#ASMEND
	;;#ASMSTART
	v_pk_mul_f32 v[30:31], v[44:45], v[32:33]
	;;#ASMEND
	s_waitcnt vmcnt(0)
	v_cvt_f32_u32_sdwa v33, v2 dst_sel:DWORD dst_unused:UNUSED_PAD src0_sel:WORD_1
	v_cvt_f32_u32_sdwa v32, v2 dst_sel:DWORD dst_unused:UNUSED_PAD src0_sel:WORD_0
	v_cvt_f32_u32_sdwa v35, v3 dst_sel:DWORD dst_unused:UNUSED_PAD src0_sel:WORD_1
	v_cvt_f32_u32_sdwa v34, v3 dst_sel:DWORD dst_unused:UNUSED_PAD src0_sel:WORD_0
	;; [unrolled: 2-line block ×3, first 2 shown]
	s_and_b32 s21, s0, 0xffff
	s_mov_b32 s0, 0x7060302
	v_cvt_f32_u32_sdwa v37, v5 dst_sel:DWORD dst_unused:UNUSED_PAD src0_sel:WORD_1
	v_cvt_f32_u32_sdwa v36, v5 dst_sel:DWORD dst_unused:UNUSED_PAD src0_sel:WORD_0
	;;#ASMSTART
	v_pk_mul_f32 v[4:5], v[0:1], v[32:33]
	;;#ASMEND
	;;#ASMSTART
	v_pk_mul_f32 v[32:33], v[40:41], v[34:35]
	;;#ASMEND
	;; [unrolled: 3-line block ×3, first 2 shown]
	v_perm_b32 v0, v17, v16, s0
	v_perm_b32 v1, v21, v20, s0
	;; [unrolled: 1-line block ×4, first 2 shown]
	;;#ASMSTART
	v_pk_mul_f32 v[18:19], v[18:19], v[36:37]
	;;#ASMEND
	buffer_store_dwordx4 v[0:3], v67, s[20:23], 0 offen
	s_movk_i32 s1, 0x400
	v_perm_b32 v0, v13, v12, s0
	v_perm_b32 v1, v25, v24, s0
	;; [unrolled: 1-line block ×4, first 2 shown]
	;;#ASMSTART
	s_nop 0
	;;#ASMEND
	buffer_store_dwordx4 v[0:3], v67, s[20:23], s1 offen
	v_perm_b32 v0, v9, v8, s0
	v_perm_b32 v1, v29, v28, s0
	;; [unrolled: 1-line block ×4, first 2 shown]
	s_movk_i32 s1, 0x800
	;;#ASMSTART
	s_nop 0
	;;#ASMEND
	buffer_store_dwordx4 v[0:3], v67, s[20:23], s1 offen
	v_perm_b32 v0, v5, v4, s0
	v_perm_b32 v1, v33, v32, s0
	;; [unrolled: 1-line block ×4, first 2 shown]
	s_movk_i32 s0, 0xc00
	;;#ASMSTART
	s_nop 0
	;;#ASMEND
	buffer_store_dwordx4 v[0:3], v67, s[20:23], s0 offen
	;;#ASMSTART
	s_nop 0
	;;#ASMEND
	s_endpgm
	.section	.rodata,"a",@progbits
	.p2align	6, 0x0
	.amdhsa_kernel _ZN5aiter35fused_qk_rmsnorm_group_quant_kernelItDB8_Li256ELi32ELi1ELb1ELb1ELb0ELb0ELb1ELb1EEEvPT0_PvPT_S6_S6_PKS5_S8_S8_S8_S8_ffiiiiiiiiiiiii
		.amdhsa_group_segment_fixed_size 48
		.amdhsa_private_segment_fixed_size 1796
		.amdhsa_kernarg_size 400
		.amdhsa_user_sgpr_count 6
		.amdhsa_user_sgpr_private_segment_buffer 1
		.amdhsa_user_sgpr_dispatch_ptr 0
		.amdhsa_user_sgpr_queue_ptr 0
		.amdhsa_user_sgpr_kernarg_segment_ptr 1
		.amdhsa_user_sgpr_dispatch_id 0
		.amdhsa_user_sgpr_flat_scratch_init 0
		.amdhsa_user_sgpr_kernarg_preload_length 0
		.amdhsa_user_sgpr_kernarg_preload_offset 0
		.amdhsa_user_sgpr_private_segment_size 0
		.amdhsa_uses_dynamic_stack 0
		.amdhsa_system_sgpr_private_segment_wavefront_offset 1
		.amdhsa_system_sgpr_workgroup_id_x 1
		.amdhsa_system_sgpr_workgroup_id_y 1
		.amdhsa_system_sgpr_workgroup_id_z 0
		.amdhsa_system_sgpr_workgroup_info 0
		.amdhsa_system_vgpr_workitem_id 0
		.amdhsa_next_free_vgpr 128
		.amdhsa_next_free_sgpr 44
		.amdhsa_accum_offset 128
		.amdhsa_reserve_vcc 1
		.amdhsa_reserve_flat_scratch 0
		.amdhsa_float_round_mode_32 0
		.amdhsa_float_round_mode_16_64 0
		.amdhsa_float_denorm_mode_32 3
		.amdhsa_float_denorm_mode_16_64 3
		.amdhsa_dx10_clamp 1
		.amdhsa_ieee_mode 1
		.amdhsa_fp16_overflow 0
		.amdhsa_tg_split 0
		.amdhsa_exception_fp_ieee_invalid_op 0
		.amdhsa_exception_fp_denorm_src 0
		.amdhsa_exception_fp_ieee_div_zero 0
		.amdhsa_exception_fp_ieee_overflow 0
		.amdhsa_exception_fp_ieee_underflow 0
		.amdhsa_exception_fp_ieee_inexact 0
		.amdhsa_exception_int_div_zero 0
	.end_amdhsa_kernel
	.section	.text._ZN5aiter35fused_qk_rmsnorm_group_quant_kernelItDB8_Li256ELi32ELi1ELb1ELb1ELb0ELb0ELb1ELb1EEEvPT0_PvPT_S6_S6_PKS5_S8_S8_S8_S8_ffiiiiiiiiiiiii,"axG",@progbits,_ZN5aiter35fused_qk_rmsnorm_group_quant_kernelItDB8_Li256ELi32ELi1ELb1ELb1ELb0ELb0ELb1ELb1EEEvPT0_PvPT_S6_S6_PKS5_S8_S8_S8_S8_ffiiiiiiiiiiiii,comdat
.Lfunc_end84:
	.size	_ZN5aiter35fused_qk_rmsnorm_group_quant_kernelItDB8_Li256ELi32ELi1ELb1ELb1ELb0ELb0ELb1ELb1EEEvPT0_PvPT_S6_S6_PKS5_S8_S8_S8_S8_ffiiiiiiiiiiiii, .Lfunc_end84-_ZN5aiter35fused_qk_rmsnorm_group_quant_kernelItDB8_Li256ELi32ELi1ELb1ELb1ELb0ELb0ELb1ELb1EEEvPT0_PvPT_S6_S6_PKS5_S8_S8_S8_S8_ffiiiiiiiiiiiii
                                        ; -- End function
	.section	.AMDGPU.csdata,"",@progbits
; Kernel info:
; codeLenInByte = 28792
; NumSgprs: 48
; NumVgprs: 128
; NumAgprs: 0
; TotalNumVgprs: 128
; ScratchSize: 1796
; MemoryBound: 0
; FloatMode: 240
; IeeeMode: 1
; LDSByteSize: 48 bytes/workgroup (compile time only)
; SGPRBlocks: 5
; VGPRBlocks: 15
; NumSGPRsForWavesPerEU: 48
; NumVGPRsForWavesPerEU: 128
; AccumOffset: 128
; Occupancy: 4
; WaveLimiterHint : 0
; COMPUTE_PGM_RSRC2:SCRATCH_EN: 1
; COMPUTE_PGM_RSRC2:USER_SGPR: 6
; COMPUTE_PGM_RSRC2:TRAP_HANDLER: 0
; COMPUTE_PGM_RSRC2:TGID_X_EN: 1
; COMPUTE_PGM_RSRC2:TGID_Y_EN: 1
; COMPUTE_PGM_RSRC2:TGID_Z_EN: 0
; COMPUTE_PGM_RSRC2:TIDIG_COMP_CNT: 0
; COMPUTE_PGM_RSRC3_GFX90A:ACCUM_OFFSET: 31
; COMPUTE_PGM_RSRC3_GFX90A:TG_SPLIT: 0
	.section	.text._ZN5aiter35fused_qk_rmsnorm_group_quant_kernelIDF16_DB8_Li256ELi32ELi1ELb1ELb0ELb1ELb0ELb1ELb1EEEvPT0_PvPT_S6_S6_PKS5_S8_S8_S8_S8_ffiiiiiiiiiiiii,"axG",@progbits,_ZN5aiter35fused_qk_rmsnorm_group_quant_kernelIDF16_DB8_Li256ELi32ELi1ELb1ELb0ELb1ELb0ELb1ELb1EEEvPT0_PvPT_S6_S6_PKS5_S8_S8_S8_S8_ffiiiiiiiiiiiii,comdat
	.protected	_ZN5aiter35fused_qk_rmsnorm_group_quant_kernelIDF16_DB8_Li256ELi32ELi1ELb1ELb0ELb1ELb0ELb1ELb1EEEvPT0_PvPT_S6_S6_PKS5_S8_S8_S8_S8_ffiiiiiiiiiiiii ; -- Begin function _ZN5aiter35fused_qk_rmsnorm_group_quant_kernelIDF16_DB8_Li256ELi32ELi1ELb1ELb0ELb1ELb0ELb1ELb1EEEvPT0_PvPT_S6_S6_PKS5_S8_S8_S8_S8_ffiiiiiiiiiiiii
	.globl	_ZN5aiter35fused_qk_rmsnorm_group_quant_kernelIDF16_DB8_Li256ELi32ELi1ELb1ELb0ELb1ELb0ELb1ELb1EEEvPT0_PvPT_S6_S6_PKS5_S8_S8_S8_S8_ffiiiiiiiiiiiii
	.p2align	8
	.type	_ZN5aiter35fused_qk_rmsnorm_group_quant_kernelIDF16_DB8_Li256ELi32ELi1ELb1ELb0ELb1ELb0ELb1ELb1EEEvPT0_PvPT_S6_S6_PKS5_S8_S8_S8_S8_ffiiiiiiiiiiiii,@function
_ZN5aiter35fused_qk_rmsnorm_group_quant_kernelIDF16_DB8_Li256ELi32ELi1ELb1ELb0ELb1ELb0ELb1ELb1EEEvPT0_PvPT_S6_S6_PKS5_S8_S8_S8_S8_ffiiiiiiiiiiiii: ; @_ZN5aiter35fused_qk_rmsnorm_group_quant_kernelIDF16_DB8_Li256ELi32ELi1ELb1ELb0ELb1ELb0ELb1ELb1EEEvPT0_PvPT_S6_S6_PKS5_S8_S8_S8_S8_ffiiiiiiiiiiiii
; %bb.0:
	s_load_dwordx8 s[12:19], s[4:5], 0x50
	s_mov_b64 s[42:43], s[2:3]
	s_mov_b64 s[40:41], s[0:1]
	s_add_u32 s40, s40, s8
	s_addc_u32 s41, s41, 0
	s_waitcnt lgkmcnt(0)
	s_cmp_ge_i32 s6, s14
	s_cbranch_scc1 .LBB85_17
; %bb.1:
	s_cmp_lg_u32 s7, 0
	s_cselect_b64 s[22:23], -1, 0
	s_cmp_eq_u32 s7, 0
	s_cselect_b64 s[8:9], -1, 0
	s_and_b64 s[0:1], s[8:9], exec
	s_cselect_b32 s7, s15, s16
	s_add_i32 s0, s7, 1
	s_load_dwordx2 s[10:11], s[4:5], 0x70
	s_load_dwordx2 s[20:21], s[4:5], 0x48
	;; [unrolled: 1-line block ×3, first 2 shown]
	s_lshr_b32 s1, s0, 31
	s_add_i32 s0, s0, s1
	s_lshl_b32 s0, s0, 1
	v_lshlrev_b32_e32 v1, 5, v0
	s_and_b32 s26, s0, -4
	v_lshlrev_b32_e32 v2, 3, v0
	v_and_b32_e32 v1, 0x7800, v1
	s_movk_i32 s0, 0x1f8
	v_and_or_b32 v1, v2, s0, v1
	v_cmp_gt_i32_e64 s[0:1], s7, v1
	v_mov_b32_e32 v112, 0
	v_mov_b32_e32 v113, 0
	;; [unrolled: 1-line block ×32, first 2 shown]
	buffer_store_dword v1, off, s[40:43], 0 offset:1536 ; 4-byte Folded Spill
	s_and_saveexec_b64 s[2:3], s[0:1]
	s_cbranch_execz .LBB85_3
; %bb.2:
	s_load_dwordx2 s[24:25], s[4:5], 0x28
	s_load_dwordx2 s[28:29], s[4:5], 0x40
	buffer_load_dword v1, off, s[40:43], 0 offset:1536 ; 4-byte Folded Reload
	s_and_b64 s[34:35], s[8:9], exec
	s_cselect_b32 s14, s17, s18
	s_waitcnt lgkmcnt(0)
	s_cselect_b32 s17, s25, s31
	s_cselect_b32 s27, s24, s30
	s_mul_hi_i32 s25, s14, s6
	s_mul_i32 s24, s14, s6
	s_lshl_b64 s[24:25], s[24:25], 1
	s_add_u32 s36, s27, s24
	s_addc_u32 s14, s17, s25
	s_and_b64 s[24:25], s[8:9], exec
	s_cselect_b32 s17, s29, s21
	s_mov_b32 s27, 0x20000
	s_cselect_b32 s24, s28, s20
	s_and_b32 s25, s17, 0xffff
	s_and_b32 s37, s14, 0xffff
	s_mov_b32 s38, s26
	s_mov_b32 s39, s27
	s_movk_i32 s17, 0x800
	s_movk_i32 s14, 0x400
	;; [unrolled: 1-line block ×3, first 2 shown]
	s_waitcnt vmcnt(0)
	v_lshlrev_b32_e32 v1, 1, v1
	buffer_load_dwordx4 v[116:119], v1, s[36:39], 0 offen glc slc
	buffer_load_dwordx4 v[34:37], v1, s[36:39], s14 offen glc slc
	;; [unrolled: 1-line block ×4, first 2 shown]
	buffer_load_dwordx4 v[112:115], v1, s[24:27], 0 offen
	buffer_load_dwordx4 v[108:111], v1, s[24:27], s14 offen
	;; [unrolled: 1-line block ×4, first 2 shown]
.LBB85_3:
	s_or_b64 exec, exec, s[2:3]
	s_load_dwordx2 s[28:29], s[4:5], 0x80
	s_and_b64 vcc, exec, s[22:23]
	s_cbranch_vccz .LBB85_7
; %bb.4:
	v_mov_b32_e32 v29, 0
	v_mov_b32_e32 v28, 0
	buffer_store_dword v0, off, s[40:43], 0 offset:1540 ; 4-byte Folded Spill
	s_nop 0
	buffer_store_dword v1, off, s[40:43], 0 offset:1544 ; 4-byte Folded Spill
	buffer_store_dword v2, off, s[40:43], 0 offset:1548 ; 4-byte Folded Spill
	;; [unrolled: 1-line block ×31, first 2 shown]
	v_mov_b32_e32 v27, 0
	v_mov_b32_e32 v26, 0
	;; [unrolled: 1-line block ×6, first 2 shown]
	buffer_store_dword v0, off, s[40:43], 0 offset:256 ; 4-byte Folded Spill
	s_nop 0
	buffer_store_dword v1, off, s[40:43], 0 offset:260 ; 4-byte Folded Spill
	buffer_store_dword v2, off, s[40:43], 0 offset:264 ; 4-byte Folded Spill
	;; [unrolled: 1-line block ×31, first 2 shown]
	v_mov_b32_e32 v25, 0
	v_mov_b32_e32 v24, 0
	buffer_store_dword v0, off, s[40:43], 0 offset:384 ; 4-byte Folded Spill
	s_nop 0
	buffer_store_dword v1, off, s[40:43], 0 offset:388 ; 4-byte Folded Spill
	buffer_store_dword v2, off, s[40:43], 0 offset:392 ; 4-byte Folded Spill
	;; [unrolled: 1-line block ×31, first 2 shown]
	v_mov_b32_e32 v23, 0
	v_mov_b32_e32 v22, 0
	buffer_store_dword v0, off, s[40:43], 0 ; 4-byte Folded Spill
	s_nop 0
	buffer_store_dword v1, off, s[40:43], 0 offset:4 ; 4-byte Folded Spill
	buffer_store_dword v2, off, s[40:43], 0 offset:8 ; 4-byte Folded Spill
	buffer_store_dword v3, off, s[40:43], 0 offset:12 ; 4-byte Folded Spill
	buffer_store_dword v4, off, s[40:43], 0 offset:16 ; 4-byte Folded Spill
	buffer_store_dword v5, off, s[40:43], 0 offset:20 ; 4-byte Folded Spill
	buffer_store_dword v6, off, s[40:43], 0 offset:24 ; 4-byte Folded Spill
	buffer_store_dword v7, off, s[40:43], 0 offset:28 ; 4-byte Folded Spill
	buffer_store_dword v8, off, s[40:43], 0 offset:32 ; 4-byte Folded Spill
	buffer_store_dword v9, off, s[40:43], 0 offset:36 ; 4-byte Folded Spill
	buffer_store_dword v10, off, s[40:43], 0 offset:40 ; 4-byte Folded Spill
	buffer_store_dword v11, off, s[40:43], 0 offset:44 ; 4-byte Folded Spill
	buffer_store_dword v12, off, s[40:43], 0 offset:48 ; 4-byte Folded Spill
	buffer_store_dword v13, off, s[40:43], 0 offset:52 ; 4-byte Folded Spill
	buffer_store_dword v14, off, s[40:43], 0 offset:56 ; 4-byte Folded Spill
	buffer_store_dword v15, off, s[40:43], 0 offset:60 ; 4-byte Folded Spill
	buffer_store_dword v16, off, s[40:43], 0 offset:64 ; 4-byte Folded Spill
	buffer_store_dword v17, off, s[40:43], 0 offset:68 ; 4-byte Folded Spill
	buffer_store_dword v18, off, s[40:43], 0 offset:72 ; 4-byte Folded Spill
	buffer_store_dword v19, off, s[40:43], 0 offset:76 ; 4-byte Folded Spill
	buffer_store_dword v20, off, s[40:43], 0 offset:80 ; 4-byte Folded Spill
	buffer_store_dword v21, off, s[40:43], 0 offset:84 ; 4-byte Folded Spill
	buffer_store_dword v22, off, s[40:43], 0 offset:88 ; 4-byte Folded Spill
	buffer_store_dword v23, off, s[40:43], 0 offset:92 ; 4-byte Folded Spill
	buffer_store_dword v24, off, s[40:43], 0 offset:96 ; 4-byte Folded Spill
	buffer_store_dword v25, off, s[40:43], 0 offset:100 ; 4-byte Folded Spill
	buffer_store_dword v26, off, s[40:43], 0 offset:104 ; 4-byte Folded Spill
	buffer_store_dword v27, off, s[40:43], 0 offset:108 ; 4-byte Folded Spill
	buffer_store_dword v28, off, s[40:43], 0 offset:112 ; 4-byte Folded Spill
	buffer_store_dword v29, off, s[40:43], 0 offset:116 ; 4-byte Folded Spill
	buffer_store_dword v30, off, s[40:43], 0 offset:120 ; 4-byte Folded Spill
	buffer_store_dword v31, off, s[40:43], 0 offset:124 ; 4-byte Folded Spill
	v_mov_b32_e32 v21, 0
	v_mov_b32_e32 v20, 0
	buffer_store_dword v0, off, s[40:43], 0 offset:128 ; 4-byte Folded Spill
	s_nop 0
	buffer_store_dword v1, off, s[40:43], 0 offset:132 ; 4-byte Folded Spill
	buffer_store_dword v2, off, s[40:43], 0 offset:136 ; 4-byte Folded Spill
	buffer_store_dword v3, off, s[40:43], 0 offset:140 ; 4-byte Folded Spill
	buffer_store_dword v4, off, s[40:43], 0 offset:144 ; 4-byte Folded Spill
	buffer_store_dword v5, off, s[40:43], 0 offset:148 ; 4-byte Folded Spill
	buffer_store_dword v6, off, s[40:43], 0 offset:152 ; 4-byte Folded Spill
	buffer_store_dword v7, off, s[40:43], 0 offset:156 ; 4-byte Folded Spill
	buffer_store_dword v8, off, s[40:43], 0 offset:160 ; 4-byte Folded Spill
	buffer_store_dword v9, off, s[40:43], 0 offset:164 ; 4-byte Folded Spill
	buffer_store_dword v10, off, s[40:43], 0 offset:168 ; 4-byte Folded Spill
	buffer_store_dword v11, off, s[40:43], 0 offset:172 ; 4-byte Folded Spill
	buffer_store_dword v12, off, s[40:43], 0 offset:176 ; 4-byte Folded Spill
	buffer_store_dword v13, off, s[40:43], 0 offset:180 ; 4-byte Folded Spill
	buffer_store_dword v14, off, s[40:43], 0 offset:184 ; 4-byte Folded Spill
	buffer_store_dword v15, off, s[40:43], 0 offset:188 ; 4-byte Folded Spill
	buffer_store_dword v16, off, s[40:43], 0 offset:192 ; 4-byte Folded Spill
	buffer_store_dword v17, off, s[40:43], 0 offset:196 ; 4-byte Folded Spill
	buffer_store_dword v18, off, s[40:43], 0 offset:200 ; 4-byte Folded Spill
	buffer_store_dword v19, off, s[40:43], 0 offset:204 ; 4-byte Folded Spill
	buffer_store_dword v20, off, s[40:43], 0 offset:208 ; 4-byte Folded Spill
	buffer_store_dword v21, off, s[40:43], 0 offset:212 ; 4-byte Folded Spill
	buffer_store_dword v22, off, s[40:43], 0 offset:216 ; 4-byte Folded Spill
	buffer_store_dword v23, off, s[40:43], 0 offset:220 ; 4-byte Folded Spill
	buffer_store_dword v24, off, s[40:43], 0 offset:224 ; 4-byte Folded Spill
	buffer_store_dword v25, off, s[40:43], 0 offset:228 ; 4-byte Folded Spill
	buffer_store_dword v26, off, s[40:43], 0 offset:232 ; 4-byte Folded Spill
	buffer_store_dword v27, off, s[40:43], 0 offset:236 ; 4-byte Folded Spill
	buffer_store_dword v28, off, s[40:43], 0 offset:240 ; 4-byte Folded Spill
	buffer_store_dword v29, off, s[40:43], 0 offset:244 ; 4-byte Folded Spill
	buffer_store_dword v30, off, s[40:43], 0 offset:248 ; 4-byte Folded Spill
	buffer_store_dword v31, off, s[40:43], 0 offset:252 ; 4-byte Folded Spill
	v_mov_b32_e32 v19, 0
	v_mov_b32_e32 v18, 0
	buffer_store_dword v0, off, s[40:43], 0 offset:768 ; 4-byte Folded Spill
	;; [unrolled: 35-line block ×9, first 2 shown]
	s_nop 0
	buffer_store_dword v1, off, s[40:43], 0 offset:1284 ; 4-byte Folded Spill
	buffer_store_dword v2, off, s[40:43], 0 offset:1288 ; 4-byte Folded Spill
	;; [unrolled: 1-line block ×31, first 2 shown]
	v_mov_b32_e32 v3, 0
	v_mov_b32_e32 v2, 0
	s_and_saveexec_b64 s[2:3], s[0:1]
	s_cbranch_execz .LBB85_6
; %bb.5:
	s_waitcnt vmcnt(62)
	v_cvt_f32_f16_sdwa v3, v116 dst_sel:DWORD dst_unused:UNUSED_PAD src0_sel:WORD_1
	v_cvt_f32_f16_e32 v2, v116
	v_cvt_f32_f16_sdwa v5, v118 dst_sel:DWORD dst_unused:UNUSED_PAD src0_sel:WORD_1
	v_cvt_f32_f16_e32 v4, v118
	buffer_store_dword v0, off, s[40:43], 0 offset:1280 ; 4-byte Folded Spill
	s_nop 0
	buffer_store_dword v1, off, s[40:43], 0 offset:1284 ; 4-byte Folded Spill
	buffer_store_dword v2, off, s[40:43], 0 offset:1288 ; 4-byte Folded Spill
	;; [unrolled: 1-line block ×31, first 2 shown]
	v_cvt_f32_f16_sdwa v7, v119 dst_sel:DWORD dst_unused:UNUSED_PAD src0_sel:WORD_1
	v_cvt_f32_f16_e32 v6, v119
	v_cvt_f32_f16_sdwa v75, v117 dst_sel:DWORD dst_unused:UNUSED_PAD src0_sel:WORD_1
	v_cvt_f32_f16_e32 v74, v117
	v_cvt_f32_f16_sdwa v77, v123 dst_sel:DWORD dst_unused:UNUSED_PAD src0_sel:WORD_1
	v_cvt_f32_f16_e32 v76, v123
	buffer_store_dword v0, off, s[40:43], 0 offset:1152 ; 4-byte Folded Spill
	s_nop 0
	buffer_store_dword v1, off, s[40:43], 0 offset:1156 ; 4-byte Folded Spill
	buffer_store_dword v2, off, s[40:43], 0 offset:1160 ; 4-byte Folded Spill
	buffer_store_dword v3, off, s[40:43], 0 offset:1164 ; 4-byte Folded Spill
	buffer_store_dword v4, off, s[40:43], 0 offset:1168 ; 4-byte Folded Spill
	buffer_store_dword v5, off, s[40:43], 0 offset:1172 ; 4-byte Folded Spill
	buffer_store_dword v6, off, s[40:43], 0 offset:1176 ; 4-byte Folded Spill
	buffer_store_dword v7, off, s[40:43], 0 offset:1180 ; 4-byte Folded Spill
	buffer_store_dword v8, off, s[40:43], 0 offset:1184 ; 4-byte Folded Spill
	buffer_store_dword v9, off, s[40:43], 0 offset:1188 ; 4-byte Folded Spill
	buffer_store_dword v10, off, s[40:43], 0 offset:1192 ; 4-byte Folded Spill
	buffer_store_dword v11, off, s[40:43], 0 offset:1196 ; 4-byte Folded Spill
	buffer_store_dword v12, off, s[40:43], 0 offset:1200 ; 4-byte Folded Spill
	buffer_store_dword v13, off, s[40:43], 0 offset:1204 ; 4-byte Folded Spill
	buffer_store_dword v14, off, s[40:43], 0 offset:1208 ; 4-byte Folded Spill
	buffer_store_dword v15, off, s[40:43], 0 offset:1212 ; 4-byte Folded Spill
	buffer_store_dword v16, off, s[40:43], 0 offset:1216 ; 4-byte Folded Spill
	buffer_store_dword v17, off, s[40:43], 0 offset:1220 ; 4-byte Folded Spill
	buffer_store_dword v18, off, s[40:43], 0 offset:1224 ; 4-byte Folded Spill
	buffer_store_dword v19, off, s[40:43], 0 offset:1228 ; 4-byte Folded Spill
	buffer_store_dword v20, off, s[40:43], 0 offset:1232 ; 4-byte Folded Spill
	buffer_store_dword v21, off, s[40:43], 0 offset:1236 ; 4-byte Folded Spill
	buffer_store_dword v22, off, s[40:43], 0 offset:1240 ; 4-byte Folded Spill
	buffer_store_dword v23, off, s[40:43], 0 offset:1244 ; 4-byte Folded Spill
	buffer_store_dword v24, off, s[40:43], 0 offset:1248 ; 4-byte Folded Spill
	buffer_store_dword v25, off, s[40:43], 0 offset:1252 ; 4-byte Folded Spill
	buffer_store_dword v26, off, s[40:43], 0 offset:1256 ; 4-byte Folded Spill
	buffer_store_dword v27, off, s[40:43], 0 offset:1260 ; 4-byte Folded Spill
	buffer_store_dword v28, off, s[40:43], 0 offset:1264 ; 4-byte Folded Spill
	buffer_store_dword v29, off, s[40:43], 0 offset:1268 ; 4-byte Folded Spill
	buffer_store_dword v30, off, s[40:43], 0 offset:1272 ; 4-byte Folded Spill
	buffer_store_dword v31, off, s[40:43], 0 offset:1276 ; 4-byte Folded Spill
	v_cvt_f32_f16_sdwa v9, v34 dst_sel:DWORD dst_unused:UNUSED_PAD src0_sel:WORD_1
	v_cvt_f32_f16_e32 v8, v34
	buffer_store_dword v0, off, s[40:43], 0 offset:1408 ; 4-byte Folded Spill
	s_nop 0
	buffer_store_dword v1, off, s[40:43], 0 offset:1412 ; 4-byte Folded Spill
	buffer_store_dword v2, off, s[40:43], 0 offset:1416 ; 4-byte Folded Spill
	buffer_store_dword v3, off, s[40:43], 0 offset:1420 ; 4-byte Folded Spill
	buffer_store_dword v4, off, s[40:43], 0 offset:1424 ; 4-byte Folded Spill
	buffer_store_dword v5, off, s[40:43], 0 offset:1428 ; 4-byte Folded Spill
	buffer_store_dword v6, off, s[40:43], 0 offset:1432 ; 4-byte Folded Spill
	buffer_store_dword v7, off, s[40:43], 0 offset:1436 ; 4-byte Folded Spill
	buffer_store_dword v8, off, s[40:43], 0 offset:1440 ; 4-byte Folded Spill
	buffer_store_dword v9, off, s[40:43], 0 offset:1444 ; 4-byte Folded Spill
	buffer_store_dword v10, off, s[40:43], 0 offset:1448 ; 4-byte Folded Spill
	buffer_store_dword v11, off, s[40:43], 0 offset:1452 ; 4-byte Folded Spill
	buffer_store_dword v12, off, s[40:43], 0 offset:1456 ; 4-byte Folded Spill
	buffer_store_dword v13, off, s[40:43], 0 offset:1460 ; 4-byte Folded Spill
	buffer_store_dword v14, off, s[40:43], 0 offset:1464 ; 4-byte Folded Spill
	buffer_store_dword v15, off, s[40:43], 0 offset:1468 ; 4-byte Folded Spill
	buffer_store_dword v16, off, s[40:43], 0 offset:1472 ; 4-byte Folded Spill
	buffer_store_dword v17, off, s[40:43], 0 offset:1476 ; 4-byte Folded Spill
	buffer_store_dword v18, off, s[40:43], 0 offset:1480 ; 4-byte Folded Spill
	buffer_store_dword v19, off, s[40:43], 0 offset:1484 ; 4-byte Folded Spill
	buffer_store_dword v20, off, s[40:43], 0 offset:1488 ; 4-byte Folded Spill
	buffer_store_dword v21, off, s[40:43], 0 offset:1492 ; 4-byte Folded Spill
	buffer_store_dword v22, off, s[40:43], 0 offset:1496 ; 4-byte Folded Spill
	buffer_store_dword v23, off, s[40:43], 0 offset:1500 ; 4-byte Folded Spill
	buffer_store_dword v24, off, s[40:43], 0 offset:1504 ; 4-byte Folded Spill
	buffer_store_dword v25, off, s[40:43], 0 offset:1508 ; 4-byte Folded Spill
	buffer_store_dword v26, off, s[40:43], 0 offset:1512 ; 4-byte Folded Spill
	buffer_store_dword v27, off, s[40:43], 0 offset:1516 ; 4-byte Folded Spill
	buffer_store_dword v28, off, s[40:43], 0 offset:1520 ; 4-byte Folded Spill
	buffer_store_dword v29, off, s[40:43], 0 offset:1524 ; 4-byte Folded Spill
	buffer_store_dword v30, off, s[40:43], 0 offset:1528 ; 4-byte Folded Spill
	buffer_store_dword v31, off, s[40:43], 0 offset:1532 ; 4-byte Folded Spill
	v_cvt_f32_f16_sdwa v11, v35 dst_sel:DWORD dst_unused:UNUSED_PAD src0_sel:WORD_1
	v_cvt_f32_f16_e32 v10, v35
	;; [unrolled: 35-line block ×8, first 2 shown]
	buffer_store_dword v0, off, s[40:43], 0 ; 4-byte Folded Spill
	s_nop 0
	buffer_store_dword v1, off, s[40:43], 0 offset:4 ; 4-byte Folded Spill
	buffer_store_dword v2, off, s[40:43], 0 offset:8 ; 4-byte Folded Spill
	buffer_store_dword v3, off, s[40:43], 0 offset:12 ; 4-byte Folded Spill
	buffer_store_dword v4, off, s[40:43], 0 offset:16 ; 4-byte Folded Spill
	buffer_store_dword v5, off, s[40:43], 0 offset:20 ; 4-byte Folded Spill
	buffer_store_dword v6, off, s[40:43], 0 offset:24 ; 4-byte Folded Spill
	buffer_store_dword v7, off, s[40:43], 0 offset:28 ; 4-byte Folded Spill
	buffer_store_dword v8, off, s[40:43], 0 offset:32 ; 4-byte Folded Spill
	buffer_store_dword v9, off, s[40:43], 0 offset:36 ; 4-byte Folded Spill
	buffer_store_dword v10, off, s[40:43], 0 offset:40 ; 4-byte Folded Spill
	buffer_store_dword v11, off, s[40:43], 0 offset:44 ; 4-byte Folded Spill
	buffer_store_dword v12, off, s[40:43], 0 offset:48 ; 4-byte Folded Spill
	buffer_store_dword v13, off, s[40:43], 0 offset:52 ; 4-byte Folded Spill
	buffer_store_dword v14, off, s[40:43], 0 offset:56 ; 4-byte Folded Spill
	buffer_store_dword v15, off, s[40:43], 0 offset:60 ; 4-byte Folded Spill
	buffer_store_dword v16, off, s[40:43], 0 offset:64 ; 4-byte Folded Spill
	buffer_store_dword v17, off, s[40:43], 0 offset:68 ; 4-byte Folded Spill
	buffer_store_dword v18, off, s[40:43], 0 offset:72 ; 4-byte Folded Spill
	buffer_store_dword v19, off, s[40:43], 0 offset:76 ; 4-byte Folded Spill
	buffer_store_dword v20, off, s[40:43], 0 offset:80 ; 4-byte Folded Spill
	buffer_store_dword v21, off, s[40:43], 0 offset:84 ; 4-byte Folded Spill
	buffer_store_dword v22, off, s[40:43], 0 offset:88 ; 4-byte Folded Spill
	buffer_store_dword v23, off, s[40:43], 0 offset:92 ; 4-byte Folded Spill
	buffer_store_dword v24, off, s[40:43], 0 offset:96 ; 4-byte Folded Spill
	buffer_store_dword v25, off, s[40:43], 0 offset:100 ; 4-byte Folded Spill
	buffer_store_dword v26, off, s[40:43], 0 offset:104 ; 4-byte Folded Spill
	buffer_store_dword v27, off, s[40:43], 0 offset:108 ; 4-byte Folded Spill
	buffer_store_dword v28, off, s[40:43], 0 offset:112 ; 4-byte Folded Spill
	buffer_store_dword v29, off, s[40:43], 0 offset:116 ; 4-byte Folded Spill
	buffer_store_dword v30, off, s[40:43], 0 offset:120 ; 4-byte Folded Spill
	buffer_store_dword v31, off, s[40:43], 0 offset:124 ; 4-byte Folded Spill
	v_cvt_f32_f16_sdwa v25, v120 dst_sel:DWORD dst_unused:UNUSED_PAD src0_sel:WORD_1
	v_cvt_f32_f16_e32 v24, v120
	buffer_store_dword v0, off, s[40:43], 0 offset:384 ; 4-byte Folded Spill
	s_nop 0
	buffer_store_dword v1, off, s[40:43], 0 offset:388 ; 4-byte Folded Spill
	buffer_store_dword v2, off, s[40:43], 0 offset:392 ; 4-byte Folded Spill
	buffer_store_dword v3, off, s[40:43], 0 offset:396 ; 4-byte Folded Spill
	buffer_store_dword v4, off, s[40:43], 0 offset:400 ; 4-byte Folded Spill
	buffer_store_dword v5, off, s[40:43], 0 offset:404 ; 4-byte Folded Spill
	buffer_store_dword v6, off, s[40:43], 0 offset:408 ; 4-byte Folded Spill
	buffer_store_dword v7, off, s[40:43], 0 offset:412 ; 4-byte Folded Spill
	buffer_store_dword v8, off, s[40:43], 0 offset:416 ; 4-byte Folded Spill
	buffer_store_dword v9, off, s[40:43], 0 offset:420 ; 4-byte Folded Spill
	buffer_store_dword v10, off, s[40:43], 0 offset:424 ; 4-byte Folded Spill
	buffer_store_dword v11, off, s[40:43], 0 offset:428 ; 4-byte Folded Spill
	buffer_store_dword v12, off, s[40:43], 0 offset:432 ; 4-byte Folded Spill
	buffer_store_dword v13, off, s[40:43], 0 offset:436 ; 4-byte Folded Spill
	buffer_store_dword v14, off, s[40:43], 0 offset:440 ; 4-byte Folded Spill
	buffer_store_dword v15, off, s[40:43], 0 offset:444 ; 4-byte Folded Spill
	buffer_store_dword v16, off, s[40:43], 0 offset:448 ; 4-byte Folded Spill
	buffer_store_dword v17, off, s[40:43], 0 offset:452 ; 4-byte Folded Spill
	buffer_store_dword v18, off, s[40:43], 0 offset:456 ; 4-byte Folded Spill
	buffer_store_dword v19, off, s[40:43], 0 offset:460 ; 4-byte Folded Spill
	buffer_store_dword v20, off, s[40:43], 0 offset:464 ; 4-byte Folded Spill
	buffer_store_dword v21, off, s[40:43], 0 offset:468 ; 4-byte Folded Spill
	buffer_store_dword v22, off, s[40:43], 0 offset:472 ; 4-byte Folded Spill
	buffer_store_dword v23, off, s[40:43], 0 offset:476 ; 4-byte Folded Spill
	buffer_store_dword v24, off, s[40:43], 0 offset:480 ; 4-byte Folded Spill
	buffer_store_dword v25, off, s[40:43], 0 offset:484 ; 4-byte Folded Spill
	buffer_store_dword v26, off, s[40:43], 0 offset:488 ; 4-byte Folded Spill
	buffer_store_dword v27, off, s[40:43], 0 offset:492 ; 4-byte Folded Spill
	buffer_store_dword v28, off, s[40:43], 0 offset:496 ; 4-byte Folded Spill
	buffer_store_dword v29, off, s[40:43], 0 offset:500 ; 4-byte Folded Spill
	buffer_store_dword v30, off, s[40:43], 0 offset:504 ; 4-byte Folded Spill
	buffer_store_dword v31, off, s[40:43], 0 offset:508 ; 4-byte Folded Spill
	v_cvt_f32_f16_sdwa v27, v121 dst_sel:DWORD dst_unused:UNUSED_PAD src0_sel:WORD_1
	v_cvt_f32_f16_e32 v26, v121
	buffer_store_dword v0, off, s[40:43], 0 offset:256 ; 4-byte Folded Spill
	;; [unrolled: 35-line block ×3, first 2 shown]
	s_nop 0
	buffer_store_dword v1, off, s[40:43], 0 offset:1544 ; 4-byte Folded Spill
	buffer_store_dword v2, off, s[40:43], 0 offset:1548 ; 4-byte Folded Spill
	;; [unrolled: 1-line block ×31, first 2 shown]
.LBB85_6:
	s_or_b64 exec, exec, s[2:3]
	s_cbranch_execz .LBB85_8
	s_branch .LBB85_11
.LBB85_7:
                                        ; implicit-def: $vgpr72_vgpr73_vgpr74_vgpr75_vgpr76_vgpr77_vgpr78_vgpr79_vgpr80_vgpr81_vgpr82_vgpr83_vgpr84_vgpr85_vgpr86_vgpr87_vgpr88_vgpr89_vgpr90_vgpr91_vgpr92_vgpr93_vgpr94_vgpr95_vgpr96_vgpr97_vgpr98_vgpr99_vgpr100_vgpr101_vgpr102_vgpr103
                                        ; implicit-def: $vgpr42_vgpr43_vgpr44_vgpr45_vgpr46_vgpr47_vgpr48_vgpr49_vgpr50_vgpr51_vgpr52_vgpr53_vgpr54_vgpr55_vgpr56_vgpr57_vgpr58_vgpr59_vgpr60_vgpr61_vgpr62_vgpr63_vgpr64_vgpr65_vgpr66_vgpr67_vgpr68_vgpr69_vgpr70_vgpr71_vgpr72_vgpr73
                                        ; kill: killed $vgpr42_vgpr43_vgpr44_vgpr45_vgpr46_vgpr47_vgpr48_vgpr49_vgpr50_vgpr51_vgpr52_vgpr53_vgpr54_vgpr55_vgpr56_vgpr57_vgpr58_vgpr59_vgpr60_vgpr61_vgpr62_vgpr63_vgpr64_vgpr65_vgpr66_vgpr67_vgpr68_vgpr69_vgpr70_vgpr71_vgpr72_vgpr73
                                        ; implicit-def: $vgpr2_vgpr3_vgpr4_vgpr5_vgpr6_vgpr7_vgpr8_vgpr9_vgpr10_vgpr11_vgpr12_vgpr13_vgpr14_vgpr15_vgpr16_vgpr17_vgpr18_vgpr19_vgpr20_vgpr21_vgpr22_vgpr23_vgpr24_vgpr25_vgpr26_vgpr27_vgpr28_vgpr29_vgpr30_vgpr31_vgpr32_vgpr33
                                        ; implicit-def: $vgpr77
                                        ; implicit-def: $vgpr42_vgpr43_vgpr44_vgpr45_vgpr46_vgpr47_vgpr48_vgpr49_vgpr50_vgpr51_vgpr52_vgpr53_vgpr54_vgpr55_vgpr56_vgpr57_vgpr58_vgpr59_vgpr60_vgpr61_vgpr62_vgpr63_vgpr64_vgpr65_vgpr66_vgpr67_vgpr68_vgpr69_vgpr70_vgpr71_vgpr72_vgpr73
                                        ; kill: killed $vgpr42_vgpr43_vgpr44_vgpr45_vgpr46_vgpr47_vgpr48_vgpr49_vgpr50_vgpr51_vgpr52_vgpr53_vgpr54_vgpr55_vgpr56_vgpr57_vgpr58_vgpr59_vgpr60_vgpr61_vgpr62_vgpr63_vgpr64_vgpr65_vgpr66_vgpr67_vgpr68_vgpr69_vgpr70_vgpr71_vgpr72_vgpr73
                                        ; implicit-def: $vgpr42_vgpr43_vgpr44_vgpr45_vgpr46_vgpr47_vgpr48_vgpr49_vgpr50_vgpr51_vgpr52_vgpr53_vgpr54_vgpr55_vgpr56_vgpr57_vgpr58_vgpr59_vgpr60_vgpr61_vgpr62_vgpr63_vgpr64_vgpr65_vgpr66_vgpr67_vgpr68_vgpr69_vgpr70_vgpr71_vgpr72_vgpr73
                                        ; kill: killed $vgpr42_vgpr43_vgpr44_vgpr45_vgpr46_vgpr47_vgpr48_vgpr49_vgpr50_vgpr51_vgpr52_vgpr53_vgpr54_vgpr55_vgpr56_vgpr57_vgpr58_vgpr59_vgpr60_vgpr61_vgpr62_vgpr63_vgpr64_vgpr65_vgpr66_vgpr67_vgpr68_vgpr69_vgpr70_vgpr71_vgpr72_vgpr73
	;; [unrolled: 2-line block ×12, first 2 shown]
.LBB85_8:
	v_mov_b32_e32 v29, 0
	v_mov_b32_e32 v28, 0
	buffer_store_dword v0, off, s[40:43], 0 offset:1540 ; 4-byte Folded Spill
	s_nop 0
	buffer_store_dword v1, off, s[40:43], 0 offset:1544 ; 4-byte Folded Spill
	buffer_store_dword v2, off, s[40:43], 0 offset:1548 ; 4-byte Folded Spill
	;; [unrolled: 1-line block ×31, first 2 shown]
	v_mov_b32_e32 v27, 0
	v_mov_b32_e32 v26, 0
	;; [unrolled: 1-line block ×6, first 2 shown]
	buffer_store_dword v0, off, s[40:43], 0 offset:256 ; 4-byte Folded Spill
	s_nop 0
	buffer_store_dword v1, off, s[40:43], 0 offset:260 ; 4-byte Folded Spill
	buffer_store_dword v2, off, s[40:43], 0 offset:264 ; 4-byte Folded Spill
	;; [unrolled: 1-line block ×31, first 2 shown]
	v_mov_b32_e32 v25, 0
	v_mov_b32_e32 v24, 0
	buffer_store_dword v0, off, s[40:43], 0 offset:384 ; 4-byte Folded Spill
	s_nop 0
	buffer_store_dword v1, off, s[40:43], 0 offset:388 ; 4-byte Folded Spill
	buffer_store_dword v2, off, s[40:43], 0 offset:392 ; 4-byte Folded Spill
	;; [unrolled: 1-line block ×31, first 2 shown]
	v_mov_b32_e32 v23, 0
	v_mov_b32_e32 v22, 0
	buffer_store_dword v0, off, s[40:43], 0 ; 4-byte Folded Spill
	s_nop 0
	buffer_store_dword v1, off, s[40:43], 0 offset:4 ; 4-byte Folded Spill
	buffer_store_dword v2, off, s[40:43], 0 offset:8 ; 4-byte Folded Spill
	buffer_store_dword v3, off, s[40:43], 0 offset:12 ; 4-byte Folded Spill
	buffer_store_dword v4, off, s[40:43], 0 offset:16 ; 4-byte Folded Spill
	buffer_store_dword v5, off, s[40:43], 0 offset:20 ; 4-byte Folded Spill
	buffer_store_dword v6, off, s[40:43], 0 offset:24 ; 4-byte Folded Spill
	buffer_store_dword v7, off, s[40:43], 0 offset:28 ; 4-byte Folded Spill
	buffer_store_dword v8, off, s[40:43], 0 offset:32 ; 4-byte Folded Spill
	buffer_store_dword v9, off, s[40:43], 0 offset:36 ; 4-byte Folded Spill
	buffer_store_dword v10, off, s[40:43], 0 offset:40 ; 4-byte Folded Spill
	buffer_store_dword v11, off, s[40:43], 0 offset:44 ; 4-byte Folded Spill
	buffer_store_dword v12, off, s[40:43], 0 offset:48 ; 4-byte Folded Spill
	buffer_store_dword v13, off, s[40:43], 0 offset:52 ; 4-byte Folded Spill
	buffer_store_dword v14, off, s[40:43], 0 offset:56 ; 4-byte Folded Spill
	buffer_store_dword v15, off, s[40:43], 0 offset:60 ; 4-byte Folded Spill
	buffer_store_dword v16, off, s[40:43], 0 offset:64 ; 4-byte Folded Spill
	buffer_store_dword v17, off, s[40:43], 0 offset:68 ; 4-byte Folded Spill
	buffer_store_dword v18, off, s[40:43], 0 offset:72 ; 4-byte Folded Spill
	buffer_store_dword v19, off, s[40:43], 0 offset:76 ; 4-byte Folded Spill
	buffer_store_dword v20, off, s[40:43], 0 offset:80 ; 4-byte Folded Spill
	buffer_store_dword v21, off, s[40:43], 0 offset:84 ; 4-byte Folded Spill
	buffer_store_dword v22, off, s[40:43], 0 offset:88 ; 4-byte Folded Spill
	buffer_store_dword v23, off, s[40:43], 0 offset:92 ; 4-byte Folded Spill
	buffer_store_dword v24, off, s[40:43], 0 offset:96 ; 4-byte Folded Spill
	buffer_store_dword v25, off, s[40:43], 0 offset:100 ; 4-byte Folded Spill
	buffer_store_dword v26, off, s[40:43], 0 offset:104 ; 4-byte Folded Spill
	buffer_store_dword v27, off, s[40:43], 0 offset:108 ; 4-byte Folded Spill
	buffer_store_dword v28, off, s[40:43], 0 offset:112 ; 4-byte Folded Spill
	buffer_store_dword v29, off, s[40:43], 0 offset:116 ; 4-byte Folded Spill
	buffer_store_dword v30, off, s[40:43], 0 offset:120 ; 4-byte Folded Spill
	buffer_store_dword v31, off, s[40:43], 0 offset:124 ; 4-byte Folded Spill
	v_mov_b32_e32 v21, 0
	v_mov_b32_e32 v20, 0
	buffer_store_dword v0, off, s[40:43], 0 offset:128 ; 4-byte Folded Spill
	s_nop 0
	buffer_store_dword v1, off, s[40:43], 0 offset:132 ; 4-byte Folded Spill
	buffer_store_dword v2, off, s[40:43], 0 offset:136 ; 4-byte Folded Spill
	buffer_store_dword v3, off, s[40:43], 0 offset:140 ; 4-byte Folded Spill
	buffer_store_dword v4, off, s[40:43], 0 offset:144 ; 4-byte Folded Spill
	buffer_store_dword v5, off, s[40:43], 0 offset:148 ; 4-byte Folded Spill
	buffer_store_dword v6, off, s[40:43], 0 offset:152 ; 4-byte Folded Spill
	buffer_store_dword v7, off, s[40:43], 0 offset:156 ; 4-byte Folded Spill
	buffer_store_dword v8, off, s[40:43], 0 offset:160 ; 4-byte Folded Spill
	buffer_store_dword v9, off, s[40:43], 0 offset:164 ; 4-byte Folded Spill
	buffer_store_dword v10, off, s[40:43], 0 offset:168 ; 4-byte Folded Spill
	buffer_store_dword v11, off, s[40:43], 0 offset:172 ; 4-byte Folded Spill
	buffer_store_dword v12, off, s[40:43], 0 offset:176 ; 4-byte Folded Spill
	buffer_store_dword v13, off, s[40:43], 0 offset:180 ; 4-byte Folded Spill
	buffer_store_dword v14, off, s[40:43], 0 offset:184 ; 4-byte Folded Spill
	buffer_store_dword v15, off, s[40:43], 0 offset:188 ; 4-byte Folded Spill
	buffer_store_dword v16, off, s[40:43], 0 offset:192 ; 4-byte Folded Spill
	buffer_store_dword v17, off, s[40:43], 0 offset:196 ; 4-byte Folded Spill
	buffer_store_dword v18, off, s[40:43], 0 offset:200 ; 4-byte Folded Spill
	buffer_store_dword v19, off, s[40:43], 0 offset:204 ; 4-byte Folded Spill
	buffer_store_dword v20, off, s[40:43], 0 offset:208 ; 4-byte Folded Spill
	buffer_store_dword v21, off, s[40:43], 0 offset:212 ; 4-byte Folded Spill
	buffer_store_dword v22, off, s[40:43], 0 offset:216 ; 4-byte Folded Spill
	buffer_store_dword v23, off, s[40:43], 0 offset:220 ; 4-byte Folded Spill
	buffer_store_dword v24, off, s[40:43], 0 offset:224 ; 4-byte Folded Spill
	buffer_store_dword v25, off, s[40:43], 0 offset:228 ; 4-byte Folded Spill
	buffer_store_dword v26, off, s[40:43], 0 offset:232 ; 4-byte Folded Spill
	buffer_store_dword v27, off, s[40:43], 0 offset:236 ; 4-byte Folded Spill
	buffer_store_dword v28, off, s[40:43], 0 offset:240 ; 4-byte Folded Spill
	buffer_store_dword v29, off, s[40:43], 0 offset:244 ; 4-byte Folded Spill
	buffer_store_dword v30, off, s[40:43], 0 offset:248 ; 4-byte Folded Spill
	buffer_store_dword v31, off, s[40:43], 0 offset:252 ; 4-byte Folded Spill
	v_mov_b32_e32 v19, 0
	v_mov_b32_e32 v18, 0
	buffer_store_dword v0, off, s[40:43], 0 offset:768 ; 4-byte Folded Spill
	;; [unrolled: 35-line block ×9, first 2 shown]
	s_nop 0
	buffer_store_dword v1, off, s[40:43], 0 offset:1284 ; 4-byte Folded Spill
	buffer_store_dword v2, off, s[40:43], 0 offset:1288 ; 4-byte Folded Spill
	;; [unrolled: 1-line block ×31, first 2 shown]
	v_mov_b32_e32 v3, 0
	v_mov_b32_e32 v2, 0
	s_and_saveexec_b64 s[2:3], s[0:1]
	s_cbranch_execz .LBB85_10
; %bb.9:
	buffer_load_dword v1, off, s[40:43], 0 offset:1536 ; 4-byte Folded Reload
	s_load_dwordx2 s[24:25], s[4:5], 0x38
	s_load_dwordx2 s[36:37], s[4:5], 0x20
	s_mul_hi_i32 s35, s19, s6
	s_mul_i32 s34, s19, s6
	s_lshl_b64 s[34:35], s[34:35], 1
	s_waitcnt lgkmcnt(0)
	s_add_u32 s24, s24, s34
	s_addc_u32 s14, s25, s35
	s_mov_b32 s27, 0x20000
	s_and_b32 s25, s14, 0xffff
	s_movk_i32 s17, 0x400
	s_movk_i32 s19, 0x800
	;; [unrolled: 1-line block ×3, first 2 shown]
	s_waitcnt vmcnt(62)
	v_cvt_f32_f16_sdwa v49, v119 dst_sel:DWORD dst_unused:UNUSED_PAD src0_sel:WORD_1
	v_cvt_f32_f16_e32 v48, v119
	v_cvt_f32_f16_sdwa v47, v118 dst_sel:DWORD dst_unused:UNUSED_PAD src0_sel:WORD_1
	v_cvt_f32_f16_e32 v46, v118
	;; [unrolled: 2-line block ×16, first 2 shown]
	s_waitcnt vmcnt(0)
	v_lshlrev_b32_e32 v66, 1, v1
	buffer_load_dwordx4 v[16:19], v66, s[24:27], s17 offen glc slc
	buffer_load_dwordx4 v[20:23], v66, s[24:27], s19 offen glc slc
	;; [unrolled: 1-line block ×4, first 2 shown]
	s_mul_hi_i32 s25, s29, s6
	s_mul_i32 s24, s29, s6
	s_lshl_b64 s[24:25], s[24:25], 1
	s_add_u32 s24, s36, s24
	s_addc_u32 s25, s37, s25
	s_and_b32 s25, s25, 0xffff
	s_waitcnt vmcnt(3)
	v_cvt_f32_f16_e32 v50, v16
	s_waitcnt vmcnt(2)
	v_cvt_f32_f16_e32 v58, v20
	v_cvt_f32_f16_sdwa v59, v20 dst_sel:DWORD dst_unused:UNUSED_PAD src0_sel:WORD_1
	v_cvt_f32_f16_e32 v60, v21
	v_cvt_f32_f16_sdwa v61, v21 dst_sel:DWORD dst_unused:UNUSED_PAD src0_sel:WORD_1
	s_waitcnt vmcnt(0)
	v_cvt_f32_f16_e32 v20, v30
	v_cvt_f32_f16_sdwa v21, v30 dst_sel:DWORD dst_unused:UNUSED_PAD src0_sel:WORD_1
	v_cvt_f32_f16_e32 v30, v31
	v_cvt_f32_f16_sdwa v31, v31 dst_sel:DWORD dst_unused:UNUSED_PAD src0_sel:WORD_1
	v_cvt_f32_f16_sdwa v51, v16 dst_sel:DWORD dst_unused:UNUSED_PAD src0_sel:WORD_1
	v_cvt_f32_f16_e32 v52, v17
	v_cvt_f32_f16_sdwa v53, v17 dst_sel:DWORD dst_unused:UNUSED_PAD src0_sel:WORD_1
	v_cvt_f32_f16_e32 v54, v18
	;; [unrolled: 2-line block ×9, first 2 shown]
	v_cvt_f32_f16_sdwa v19, v29 dst_sel:DWORD dst_unused:UNUSED_PAD src0_sel:WORD_1
	v_pk_add_f32 v[28:29], v[48:49], v[30:31]
	v_pk_add_f32 v[46:47], v[46:47], v[20:21]
	v_pk_mov_b32 v[30:31], v[28:29], v[28:29] op_sel:[0,1]
	v_cvt_f16_f32_e32 v20, v47
	v_cvt_f16_f32_e32 v21, v29
	buffer_store_dword v24, off, s[40:43], 0 offset:1152 ; 4-byte Folded Spill
	s_nop 0
	buffer_store_dword v25, off, s[40:43], 0 offset:1156 ; 4-byte Folded Spill
	buffer_store_dword v26, off, s[40:43], 0 offset:1160 ; 4-byte Folded Spill
	;; [unrolled: 1-line block ×31, first 2 shown]
	v_pk_add_f32 v[2:3], v[2:3], v[64:65]
	v_cvt_f32_f16_e32 v62, v22
	v_cvt_f32_f16_sdwa v63, v22 dst_sel:DWORD dst_unused:UNUSED_PAD src0_sel:WORD_1
	v_cvt_f32_f16_e32 v22, v23
	v_cvt_f32_f16_sdwa v23, v23 dst_sel:DWORD dst_unused:UNUSED_PAD src0_sel:WORD_1
	v_cvt_f16_f32_e32 v28, v28
	v_pk_mov_b32 v[30:31], v[46:47], v[46:47] op_sel:[0,1]
	buffer_store_dword v26, off, s[40:43], 0 offset:1280 ; 4-byte Folded Spill
	s_nop 0
	buffer_store_dword v27, off, s[40:43], 0 offset:1284 ; 4-byte Folded Spill
	buffer_store_dword v28, off, s[40:43], 0 offset:1288 ; 4-byte Folded Spill
	buffer_store_dword v29, off, s[40:43], 0 offset:1292 ; 4-byte Folded Spill
	buffer_store_dword v30, off, s[40:43], 0 offset:1296 ; 4-byte Folded Spill
	buffer_store_dword v31, off, s[40:43], 0 offset:1300 ; 4-byte Folded Spill
	buffer_store_dword v32, off, s[40:43], 0 offset:1304 ; 4-byte Folded Spill
	buffer_store_dword v33, off, s[40:43], 0 offset:1308 ; 4-byte Folded Spill
	buffer_store_dword v34, off, s[40:43], 0 offset:1312 ; 4-byte Folded Spill
	buffer_store_dword v35, off, s[40:43], 0 offset:1316 ; 4-byte Folded Spill
	buffer_store_dword v36, off, s[40:43], 0 offset:1320 ; 4-byte Folded Spill
	buffer_store_dword v37, off, s[40:43], 0 offset:1324 ; 4-byte Folded Spill
	buffer_store_dword v38, off, s[40:43], 0 offset:1328 ; 4-byte Folded Spill
	buffer_store_dword v39, off, s[40:43], 0 offset:1332 ; 4-byte Folded Spill
	buffer_store_dword v40, off, s[40:43], 0 offset:1336 ; 4-byte Folded Spill
	buffer_store_dword v41, off, s[40:43], 0 offset:1340 ; 4-byte Folded Spill
	buffer_store_dword v42, off, s[40:43], 0 offset:1344 ; 4-byte Folded Spill
	buffer_store_dword v43, off, s[40:43], 0 offset:1348 ; 4-byte Folded Spill
	buffer_store_dword v44, off, s[40:43], 0 offset:1352 ; 4-byte Folded Spill
	buffer_store_dword v45, off, s[40:43], 0 offset:1356 ; 4-byte Folded Spill
	buffer_store_dword v46, off, s[40:43], 0 offset:1360 ; 4-byte Folded Spill
	buffer_store_dword v47, off, s[40:43], 0 offset:1364 ; 4-byte Folded Spill
	buffer_store_dword v48, off, s[40:43], 0 offset:1368 ; 4-byte Folded Spill
	buffer_store_dword v49, off, s[40:43], 0 offset:1372 ; 4-byte Folded Spill
	buffer_store_dword v50, off, s[40:43], 0 offset:1376 ; 4-byte Folded Spill
	buffer_store_dword v51, off, s[40:43], 0 offset:1380 ; 4-byte Folded Spill
	buffer_store_dword v52, off, s[40:43], 0 offset:1384 ; 4-byte Folded Spill
	buffer_store_dword v53, off, s[40:43], 0 offset:1388 ; 4-byte Folded Spill
	buffer_store_dword v54, off, s[40:43], 0 offset:1392 ; 4-byte Folded Spill
	buffer_store_dword v55, off, s[40:43], 0 offset:1396 ; 4-byte Folded Spill
	buffer_store_dword v56, off, s[40:43], 0 offset:1400 ; 4-byte Folded Spill
	buffer_store_dword v57, off, s[40:43], 0 offset:1404 ; 4-byte Folded Spill
	v_pk_add_f32 v[74:75], v[40:41], v[18:19]
	v_cvt_f16_f32_e32 v18, v75
	v_cvt_f16_f32_e32 v19, v74
	;; [unrolled: 1-line block ×3, first 2 shown]
	v_pack_b32_f16 v21, v28, v21
	v_cvt_f16_f32_e32 v28, v2
	v_pack_b32_f16 v19, v19, v18
	v_cvt_f16_f32_e32 v18, v3
	v_pack_b32_f16 v20, v29, v20
	v_pk_add_f32 v[30:31], v[34:35], v[54:55]
	v_pack_b32_f16 v18, v28, v18
	buffer_store_dwordx4 v[18:21], v66, s[24:27], 0 offen glc slc
	s_nop 0
	v_pk_add_f32 v[20:21], v[44:45], v[56:57]
	v_cvt_f16_f32_e32 v18, v30
	v_cvt_f16_f32_e32 v19, v20
	v_pk_mov_b32 v[28:29], v[20:21], v[20:21] op_sel:[0,1]
	buffer_store_dword v14, off, s[40:43], 0 offset:512 ; 4-byte Folded Spill
	s_nop 0
	buffer_store_dword v15, off, s[40:43], 0 offset:516 ; 4-byte Folded Spill
	buffer_store_dword v16, off, s[40:43], 0 offset:520 ; 4-byte Folded Spill
	;; [unrolled: 1-line block ×31, first 2 shown]
	v_cvt_f16_f32_e32 v20, v21
	v_pk_mov_b32 v[28:29], v[30:31], v[30:31] op_sel:[0,1]
	buffer_store_dword v16, off, s[40:43], 0 offset:640 ; 4-byte Folded Spill
	s_nop 0
	buffer_store_dword v17, off, s[40:43], 0 offset:644 ; 4-byte Folded Spill
	buffer_store_dword v18, off, s[40:43], 0 offset:648 ; 4-byte Folded Spill
	;; [unrolled: 1-line block ×31, first 2 shown]
	v_cvt_f16_f32_e32 v28, v31
	v_pack_b32_f16 v21, v19, v20
	v_pack_b32_f16 v20, v18, v28
	v_pk_add_f32 v[28:29], v[42:43], v[52:53]
	v_pk_mov_b32 v[30:31], v[28:29], v[28:29] op_sel:[0,1]
	v_cvt_f16_f32_e32 v18, v28
	buffer_store_dword v20, off, s[40:43], 0 offset:1024 ; 4-byte Folded Spill
	s_nop 0
	buffer_store_dword v21, off, s[40:43], 0 offset:1028 ; 4-byte Folded Spill
	buffer_store_dword v22, off, s[40:43], 0 offset:1032 ; 4-byte Folded Spill
	;; [unrolled: 1-line block ×31, first 2 shown]
	v_cvt_f16_f32_e32 v19, v29
	v_pk_add_f32 v[28:29], v[32:33], v[50:51]
	v_pk_mov_b32 v[30:31], v[28:29], v[28:29] op_sel:[0,1]
	v_pack_b32_f16 v19, v18, v19
	v_cvt_f16_f32_e32 v18, v28
	buffer_store_dword v22, off, s[40:43], 0 offset:1408 ; 4-byte Folded Spill
	s_nop 0
	buffer_store_dword v23, off, s[40:43], 0 offset:1412 ; 4-byte Folded Spill
	buffer_store_dword v24, off, s[40:43], 0 offset:1416 ; 4-byte Folded Spill
	;; [unrolled: 1-line block ×31, first 2 shown]
	;;#ASMSTART
	s_nop 0
	;;#ASMEND
	v_cvt_f16_f32_e32 v28, v29
	v_pk_add_f32 v[30:31], v[36:37], v[62:63]
	v_pk_add_f32 v[22:23], v[38:39], v[22:23]
	v_pack_b32_f16 v18, v18, v28
	buffer_store_dwordx4 v[18:21], v66, s[24:27], s17 offen glc slc
	v_cvt_f16_f32_e32 v18, v30
	v_cvt_f16_f32_e32 v19, v22
	v_pk_mov_b32 v[28:29], v[22:23], v[22:23] op_sel:[0,1]
	buffer_store_dword v6, off, s[40:43], 0 ; 4-byte Folded Spill
	s_nop 0
	buffer_store_dword v7, off, s[40:43], 0 offset:4 ; 4-byte Folded Spill
	buffer_store_dword v8, off, s[40:43], 0 offset:8 ; 4-byte Folded Spill
	buffer_store_dword v9, off, s[40:43], 0 offset:12 ; 4-byte Folded Spill
	buffer_store_dword v10, off, s[40:43], 0 offset:16 ; 4-byte Folded Spill
	buffer_store_dword v11, off, s[40:43], 0 offset:20 ; 4-byte Folded Spill
	buffer_store_dword v12, off, s[40:43], 0 offset:24 ; 4-byte Folded Spill
	buffer_store_dword v13, off, s[40:43], 0 offset:28 ; 4-byte Folded Spill
	buffer_store_dword v14, off, s[40:43], 0 offset:32 ; 4-byte Folded Spill
	buffer_store_dword v15, off, s[40:43], 0 offset:36 ; 4-byte Folded Spill
	buffer_store_dword v16, off, s[40:43], 0 offset:40 ; 4-byte Folded Spill
	buffer_store_dword v17, off, s[40:43], 0 offset:44 ; 4-byte Folded Spill
	buffer_store_dword v18, off, s[40:43], 0 offset:48 ; 4-byte Folded Spill
	buffer_store_dword v19, off, s[40:43], 0 offset:52 ; 4-byte Folded Spill
	buffer_store_dword v20, off, s[40:43], 0 offset:56 ; 4-byte Folded Spill
	buffer_store_dword v21, off, s[40:43], 0 offset:60 ; 4-byte Folded Spill
	buffer_store_dword v22, off, s[40:43], 0 offset:64 ; 4-byte Folded Spill
	buffer_store_dword v23, off, s[40:43], 0 offset:68 ; 4-byte Folded Spill
	buffer_store_dword v24, off, s[40:43], 0 offset:72 ; 4-byte Folded Spill
	buffer_store_dword v25, off, s[40:43], 0 offset:76 ; 4-byte Folded Spill
	buffer_store_dword v26, off, s[40:43], 0 offset:80 ; 4-byte Folded Spill
	buffer_store_dword v27, off, s[40:43], 0 offset:84 ; 4-byte Folded Spill
	buffer_store_dword v28, off, s[40:43], 0 offset:88 ; 4-byte Folded Spill
	buffer_store_dword v29, off, s[40:43], 0 offset:92 ; 4-byte Folded Spill
	buffer_store_dword v30, off, s[40:43], 0 offset:96 ; 4-byte Folded Spill
	buffer_store_dword v31, off, s[40:43], 0 offset:100 ; 4-byte Folded Spill
	buffer_store_dword v32, off, s[40:43], 0 offset:104 ; 4-byte Folded Spill
	buffer_store_dword v33, off, s[40:43], 0 offset:108 ; 4-byte Folded Spill
	buffer_store_dword v34, off, s[40:43], 0 offset:112 ; 4-byte Folded Spill
	buffer_store_dword v35, off, s[40:43], 0 offset:116 ; 4-byte Folded Spill
	buffer_store_dword v36, off, s[40:43], 0 offset:120 ; 4-byte Folded Spill
	buffer_store_dword v37, off, s[40:43], 0 offset:124 ; 4-byte Folded Spill
	v_cvt_f16_f32_e32 v20, v23
	v_pk_mov_b32 v[22:23], v[30:31], v[30:31] op_sel:[0,1]
	buffer_store_dword v2, off, s[40:43], 0 offset:128 ; 4-byte Folded Spill
	s_nop 0
	buffer_store_dword v3, off, s[40:43], 0 offset:132 ; 4-byte Folded Spill
	buffer_store_dword v4, off, s[40:43], 0 offset:136 ; 4-byte Folded Spill
	;; [unrolled: 1-line block ×31, first 2 shown]
	v_cvt_f16_f32_e32 v22, v31
	v_pack_b32_f16 v21, v19, v20
	v_pack_b32_f16 v20, v18, v22
	v_pk_add_f32 v[18:19], v[14:15], v[60:61]
	v_cvt_f16_f32_e32 v14, v18
	v_pk_mov_b32 v[22:23], v[18:19], v[18:19] op_sel:[0,1]
	buffer_store_dword v4, off, s[40:43], 0 offset:768 ; 4-byte Folded Spill
	s_nop 0
	buffer_store_dword v5, off, s[40:43], 0 offset:772 ; 4-byte Folded Spill
	buffer_store_dword v6, off, s[40:43], 0 offset:776 ; 4-byte Folded Spill
	;; [unrolled: 1-line block ×31, first 2 shown]
	v_pk_add_f32 v[22:23], v[68:69], v[58:59]
	v_pk_mov_b32 v[28:29], v[22:23], v[22:23] op_sel:[0,1]
	v_cvt_f16_f32_e32 v15, v19
	v_pack_b32_f16 v19, v14, v15
	v_cvt_f16_f32_e32 v14, v22
	buffer_store_dword v12, off, s[40:43], 0 offset:896 ; 4-byte Folded Spill
	s_nop 0
	buffer_store_dword v13, off, s[40:43], 0 offset:900 ; 4-byte Folded Spill
	buffer_store_dword v14, off, s[40:43], 0 offset:904 ; 4-byte Folded Spill
	;; [unrolled: 1-line block ×31, first 2 shown]
	;;#ASMSTART
	s_nop 0
	;;#ASMEND
	v_cvt_f16_f32_e32 v1, v23
	v_pk_add_f32 v[76:77], v[10:11], v[26:27]
	v_pk_add_f32 v[28:29], v[8:9], v[24:25]
	v_cvt_f16_f32_e32 v8, v28
	v_cvt_f16_f32_e32 v9, v76
	;; [unrolled: 1-line block ×3, first 2 shown]
	v_pack_b32_f16 v18, v14, v1
	v_pk_mov_b32 v[30:31], v[28:29], v[28:29] op_sel:[0,1]
	buffer_store_dwordx4 v[18:21], v66, s[24:27], s19 offen glc slc
	buffer_store_dword v2, off, s[40:43], 0 offset:1540 ; 4-byte Folded Spill
	s_nop 0
	buffer_store_dword v3, off, s[40:43], 0 offset:1544 ; 4-byte Folded Spill
	buffer_store_dword v4, off, s[40:43], 0 offset:1548 ; 4-byte Folded Spill
	;; [unrolled: 1-line block ×31, first 2 shown]
	v_cvt_f16_f32_e32 v11, v29
	v_pk_add_f32 v[26:27], v[6:7], v[16:17]
	v_cvt_f16_f32_e32 v6, v26
	v_pack_b32_f16 v9, v9, v10
	v_pack_b32_f16 v8, v8, v11
	v_pk_mov_b32 v[28:29], v[26:27], v[26:27] op_sel:[0,1]
	buffer_store_dword v2, off, s[40:43], 0 offset:256 ; 4-byte Folded Spill
	s_nop 0
	buffer_store_dword v3, off, s[40:43], 0 offset:260 ; 4-byte Folded Spill
	buffer_store_dword v4, off, s[40:43], 0 offset:264 ; 4-byte Folded Spill
	;; [unrolled: 1-line block ×31, first 2 shown]
	v_cvt_f16_f32_e32 v7, v27
	v_pk_add_f32 v[24:25], v[4:5], v[12:13]
	v_cvt_f16_f32_e32 v4, v24
	v_pk_mov_b32 v[26:27], v[24:25], v[24:25] op_sel:[0,1]
	v_pack_b32_f16 v7, v6, v7
	buffer_store_dword v2, off, s[40:43], 0 offset:384 ; 4-byte Folded Spill
	s_nop 0
	buffer_store_dword v3, off, s[40:43], 0 offset:388 ; 4-byte Folded Spill
	buffer_store_dword v4, off, s[40:43], 0 offset:392 ; 4-byte Folded Spill
	;; [unrolled: 1-line block ×31, first 2 shown]
	;;#ASMSTART
	s_nop 0
	;;#ASMEND
	v_cvt_f16_f32_e32 v5, v25
	v_pack_b32_f16 v6, v4, v5
	buffer_store_dwordx4 v[6:9], v66, s[24:27], s14 offen glc slc
	;;#ASMSTART
	s_nop 0
	;;#ASMEND
.LBB85_10:
	s_or_b64 exec, exec, s[2:3]
.LBB85_11:
	buffer_load_dword v6, off, s[40:43], 0 offset:1280 ; 4-byte Folded Reload
	buffer_load_dword v7, off, s[40:43], 0 offset:1284 ; 4-byte Folded Reload
	buffer_load_dword v8, off, s[40:43], 0 offset:1288 ; 4-byte Folded Reload
	buffer_load_dword v9, off, s[40:43], 0 offset:1292 ; 4-byte Folded Reload
	buffer_load_dword v10, off, s[40:43], 0 offset:1296 ; 4-byte Folded Reload
	buffer_load_dword v11, off, s[40:43], 0 offset:1300 ; 4-byte Folded Reload
	buffer_load_dword v12, off, s[40:43], 0 offset:1304 ; 4-byte Folded Reload
	buffer_load_dword v13, off, s[40:43], 0 offset:1308 ; 4-byte Folded Reload
	buffer_load_dword v14, off, s[40:43], 0 offset:1312 ; 4-byte Folded Reload
	buffer_load_dword v15, off, s[40:43], 0 offset:1316 ; 4-byte Folded Reload
	buffer_load_dword v16, off, s[40:43], 0 offset:1320 ; 4-byte Folded Reload
	buffer_load_dword v17, off, s[40:43], 0 offset:1324 ; 4-byte Folded Reload
	buffer_load_dword v18, off, s[40:43], 0 offset:1328 ; 4-byte Folded Reload
	buffer_load_dword v19, off, s[40:43], 0 offset:1332 ; 4-byte Folded Reload
	buffer_load_dword v20, off, s[40:43], 0 offset:1336 ; 4-byte Folded Reload
	buffer_load_dword v21, off, s[40:43], 0 offset:1340 ; 4-byte Folded Reload
	buffer_load_dword v22, off, s[40:43], 0 offset:1344 ; 4-byte Folded Reload
	buffer_load_dword v23, off, s[40:43], 0 offset:1348 ; 4-byte Folded Reload
	buffer_load_dword v24, off, s[40:43], 0 offset:1352 ; 4-byte Folded Reload
	buffer_load_dword v25, off, s[40:43], 0 offset:1356 ; 4-byte Folded Reload
	buffer_load_dword v26, off, s[40:43], 0 offset:1360 ; 4-byte Folded Reload
	buffer_load_dword v27, off, s[40:43], 0 offset:1364 ; 4-byte Folded Reload
	buffer_load_dword v28, off, s[40:43], 0 offset:1368 ; 4-byte Folded Reload
	buffer_load_dword v29, off, s[40:43], 0 offset:1372 ; 4-byte Folded Reload
	buffer_load_dword v30, off, s[40:43], 0 offset:1376 ; 4-byte Folded Reload
	buffer_load_dword v31, off, s[40:43], 0 offset:1380 ; 4-byte Folded Reload
	buffer_load_dword v32, off, s[40:43], 0 offset:1384 ; 4-byte Folded Reload
	buffer_load_dword v33, off, s[40:43], 0 offset:1388 ; 4-byte Folded Reload
	buffer_load_dword v34, off, s[40:43], 0 offset:1392 ; 4-byte Folded Reload
	buffer_load_dword v35, off, s[40:43], 0 offset:1396 ; 4-byte Folded Reload
	buffer_load_dword v36, off, s[40:43], 0 offset:1400 ; 4-byte Folded Reload
	buffer_load_dword v37, off, s[40:43], 0 offset:1404 ; 4-byte Folded Reload
	v_mul_f32_e32 v4, v3, v3
	v_fmac_f32_e32 v4, v2, v2
	v_fmac_f32_e32 v4, v74, v74
	;; [unrolled: 1-line block ×3, first 2 shown]
	s_waitcnt vmcnt(26)
	v_pk_mov_b32 v[6:7], v[10:11], v[10:11] op_sel:[0,1]
	v_fmac_f32_e32 v4, v6, v6
	v_fmac_f32_e32 v4, v7, v7
	buffer_load_dword v6, off, s[40:43], 0 offset:1152 ; 4-byte Folded Reload
	buffer_load_dword v7, off, s[40:43], 0 offset:1156 ; 4-byte Folded Reload
	buffer_load_dword v8, off, s[40:43], 0 offset:1160 ; 4-byte Folded Reload
	buffer_load_dword v9, off, s[40:43], 0 offset:1164 ; 4-byte Folded Reload
	buffer_load_dword v10, off, s[40:43], 0 offset:1168 ; 4-byte Folded Reload
	buffer_load_dword v11, off, s[40:43], 0 offset:1172 ; 4-byte Folded Reload
	buffer_load_dword v12, off, s[40:43], 0 offset:1176 ; 4-byte Folded Reload
	buffer_load_dword v13, off, s[40:43], 0 offset:1180 ; 4-byte Folded Reload
	buffer_load_dword v14, off, s[40:43], 0 offset:1184 ; 4-byte Folded Reload
	buffer_load_dword v15, off, s[40:43], 0 offset:1188 ; 4-byte Folded Reload
	buffer_load_dword v16, off, s[40:43], 0 offset:1192 ; 4-byte Folded Reload
	buffer_load_dword v17, off, s[40:43], 0 offset:1196 ; 4-byte Folded Reload
	buffer_load_dword v18, off, s[40:43], 0 offset:1200 ; 4-byte Folded Reload
	buffer_load_dword v19, off, s[40:43], 0 offset:1204 ; 4-byte Folded Reload
	buffer_load_dword v20, off, s[40:43], 0 offset:1208 ; 4-byte Folded Reload
	buffer_load_dword v21, off, s[40:43], 0 offset:1212 ; 4-byte Folded Reload
	buffer_load_dword v22, off, s[40:43], 0 offset:1216 ; 4-byte Folded Reload
	buffer_load_dword v23, off, s[40:43], 0 offset:1220 ; 4-byte Folded Reload
	buffer_load_dword v24, off, s[40:43], 0 offset:1224 ; 4-byte Folded Reload
	buffer_load_dword v25, off, s[40:43], 0 offset:1228 ; 4-byte Folded Reload
	buffer_load_dword v26, off, s[40:43], 0 offset:1232 ; 4-byte Folded Reload
	buffer_load_dword v27, off, s[40:43], 0 offset:1236 ; 4-byte Folded Reload
	buffer_load_dword v28, off, s[40:43], 0 offset:1240 ; 4-byte Folded Reload
	buffer_load_dword v29, off, s[40:43], 0 offset:1244 ; 4-byte Folded Reload
	buffer_load_dword v30, off, s[40:43], 0 offset:1248 ; 4-byte Folded Reload
	buffer_load_dword v31, off, s[40:43], 0 offset:1252 ; 4-byte Folded Reload
	buffer_load_dword v32, off, s[40:43], 0 offset:1256 ; 4-byte Folded Reload
	buffer_load_dword v33, off, s[40:43], 0 offset:1260 ; 4-byte Folded Reload
	buffer_load_dword v34, off, s[40:43], 0 offset:1264 ; 4-byte Folded Reload
	buffer_load_dword v35, off, s[40:43], 0 offset:1268 ; 4-byte Folded Reload
	buffer_load_dword v36, off, s[40:43], 0 offset:1272 ; 4-byte Folded Reload
	buffer_load_dword v37, off, s[40:43], 0 offset:1276 ; 4-byte Folded Reload
	s_waitcnt vmcnt(24)
	v_pk_mov_b32 v[6:7], v[12:13], v[12:13] op_sel:[0,1]
	v_fmac_f32_e32 v4, v6, v6
	v_fmac_f32_e32 v4, v7, v7
	buffer_load_dword v6, off, s[40:43], 0 offset:1408 ; 4-byte Folded Reload
	buffer_load_dword v7, off, s[40:43], 0 offset:1412 ; 4-byte Folded Reload
	buffer_load_dword v8, off, s[40:43], 0 offset:1416 ; 4-byte Folded Reload
	buffer_load_dword v9, off, s[40:43], 0 offset:1420 ; 4-byte Folded Reload
	buffer_load_dword v10, off, s[40:43], 0 offset:1424 ; 4-byte Folded Reload
	buffer_load_dword v11, off, s[40:43], 0 offset:1428 ; 4-byte Folded Reload
	buffer_load_dword v12, off, s[40:43], 0 offset:1432 ; 4-byte Folded Reload
	buffer_load_dword v13, off, s[40:43], 0 offset:1436 ; 4-byte Folded Reload
	buffer_load_dword v14, off, s[40:43], 0 offset:1440 ; 4-byte Folded Reload
	buffer_load_dword v15, off, s[40:43], 0 offset:1444 ; 4-byte Folded Reload
	buffer_load_dword v16, off, s[40:43], 0 offset:1448 ; 4-byte Folded Reload
	buffer_load_dword v17, off, s[40:43], 0 offset:1452 ; 4-byte Folded Reload
	buffer_load_dword v18, off, s[40:43], 0 offset:1456 ; 4-byte Folded Reload
	buffer_load_dword v19, off, s[40:43], 0 offset:1460 ; 4-byte Folded Reload
	buffer_load_dword v20, off, s[40:43], 0 offset:1464 ; 4-byte Folded Reload
	buffer_load_dword v21, off, s[40:43], 0 offset:1468 ; 4-byte Folded Reload
	buffer_load_dword v22, off, s[40:43], 0 offset:1472 ; 4-byte Folded Reload
	buffer_load_dword v23, off, s[40:43], 0 offset:1476 ; 4-byte Folded Reload
	buffer_load_dword v24, off, s[40:43], 0 offset:1480 ; 4-byte Folded Reload
	buffer_load_dword v25, off, s[40:43], 0 offset:1484 ; 4-byte Folded Reload
	buffer_load_dword v26, off, s[40:43], 0 offset:1488 ; 4-byte Folded Reload
	buffer_load_dword v27, off, s[40:43], 0 offset:1492 ; 4-byte Folded Reload
	buffer_load_dword v28, off, s[40:43], 0 offset:1496 ; 4-byte Folded Reload
	buffer_load_dword v29, off, s[40:43], 0 offset:1500 ; 4-byte Folded Reload
	buffer_load_dword v30, off, s[40:43], 0 offset:1504 ; 4-byte Folded Reload
	buffer_load_dword v31, off, s[40:43], 0 offset:1508 ; 4-byte Folded Reload
	buffer_load_dword v32, off, s[40:43], 0 offset:1512 ; 4-byte Folded Reload
	buffer_load_dword v33, off, s[40:43], 0 offset:1516 ; 4-byte Folded Reload
	buffer_load_dword v34, off, s[40:43], 0 offset:1520 ; 4-byte Folded Reload
	buffer_load_dword v35, off, s[40:43], 0 offset:1524 ; 4-byte Folded Reload
	buffer_load_dword v36, off, s[40:43], 0 offset:1528 ; 4-byte Folded Reload
	buffer_load_dword v37, off, s[40:43], 0 offset:1532 ; 4-byte Folded Reload
	;; [unrolled: 36-line block ×8, first 2 shown]
	s_waitcnt vmcnt(10)
	v_pk_mov_b32 v[20:21], v[26:27], v[26:27] op_sel:[0,1]
	v_fmac_f32_e32 v4, v20, v20
	v_fmac_f32_e32 v4, v21, v21
	buffer_load_dword v6, off, s[40:43], 0  ; 4-byte Folded Reload
	buffer_load_dword v7, off, s[40:43], 0 offset:4 ; 4-byte Folded Reload
	buffer_load_dword v8, off, s[40:43], 0 offset:8 ; 4-byte Folded Reload
	buffer_load_dword v9, off, s[40:43], 0 offset:12 ; 4-byte Folded Reload
	buffer_load_dword v10, off, s[40:43], 0 offset:16 ; 4-byte Folded Reload
	buffer_load_dword v11, off, s[40:43], 0 offset:20 ; 4-byte Folded Reload
	buffer_load_dword v12, off, s[40:43], 0 offset:24 ; 4-byte Folded Reload
	buffer_load_dword v13, off, s[40:43], 0 offset:28 ; 4-byte Folded Reload
	buffer_load_dword v14, off, s[40:43], 0 offset:32 ; 4-byte Folded Reload
	buffer_load_dword v15, off, s[40:43], 0 offset:36 ; 4-byte Folded Reload
	buffer_load_dword v16, off, s[40:43], 0 offset:40 ; 4-byte Folded Reload
	buffer_load_dword v17, off, s[40:43], 0 offset:44 ; 4-byte Folded Reload
	buffer_load_dword v18, off, s[40:43], 0 offset:48 ; 4-byte Folded Reload
	buffer_load_dword v19, off, s[40:43], 0 offset:52 ; 4-byte Folded Reload
	buffer_load_dword v20, off, s[40:43], 0 offset:56 ; 4-byte Folded Reload
	buffer_load_dword v21, off, s[40:43], 0 offset:60 ; 4-byte Folded Reload
	buffer_load_dword v22, off, s[40:43], 0 offset:64 ; 4-byte Folded Reload
	buffer_load_dword v23, off, s[40:43], 0 offset:68 ; 4-byte Folded Reload
	buffer_load_dword v24, off, s[40:43], 0 offset:72 ; 4-byte Folded Reload
	buffer_load_dword v25, off, s[40:43], 0 offset:76 ; 4-byte Folded Reload
	buffer_load_dword v26, off, s[40:43], 0 offset:80 ; 4-byte Folded Reload
	buffer_load_dword v27, off, s[40:43], 0 offset:84 ; 4-byte Folded Reload
	buffer_load_dword v28, off, s[40:43], 0 offset:88 ; 4-byte Folded Reload
	buffer_load_dword v29, off, s[40:43], 0 offset:92 ; 4-byte Folded Reload
	buffer_load_dword v30, off, s[40:43], 0 offset:96 ; 4-byte Folded Reload
	buffer_load_dword v31, off, s[40:43], 0 offset:100 ; 4-byte Folded Reload
	buffer_load_dword v32, off, s[40:43], 0 offset:104 ; 4-byte Folded Reload
	buffer_load_dword v33, off, s[40:43], 0 offset:108 ; 4-byte Folded Reload
	buffer_load_dword v34, off, s[40:43], 0 offset:112 ; 4-byte Folded Reload
	buffer_load_dword v35, off, s[40:43], 0 offset:116 ; 4-byte Folded Reload
	buffer_load_dword v36, off, s[40:43], 0 offset:120 ; 4-byte Folded Reload
	buffer_load_dword v37, off, s[40:43], 0 offset:124 ; 4-byte Folded Reload
	s_waitcnt vmcnt(8)
	v_pk_mov_b32 v[22:23], v[28:29], v[28:29] op_sel:[0,1]
	v_fmac_f32_e32 v4, v22, v22
	v_fmac_f32_e32 v4, v23, v23
	buffer_load_dword v6, off, s[40:43], 0 offset:384 ; 4-byte Folded Reload
	buffer_load_dword v7, off, s[40:43], 0 offset:388 ; 4-byte Folded Reload
	buffer_load_dword v8, off, s[40:43], 0 offset:392 ; 4-byte Folded Reload
	buffer_load_dword v9, off, s[40:43], 0 offset:396 ; 4-byte Folded Reload
	buffer_load_dword v10, off, s[40:43], 0 offset:400 ; 4-byte Folded Reload
	buffer_load_dword v11, off, s[40:43], 0 offset:404 ; 4-byte Folded Reload
	buffer_load_dword v12, off, s[40:43], 0 offset:408 ; 4-byte Folded Reload
	buffer_load_dword v13, off, s[40:43], 0 offset:412 ; 4-byte Folded Reload
	buffer_load_dword v14, off, s[40:43], 0 offset:416 ; 4-byte Folded Reload
	buffer_load_dword v15, off, s[40:43], 0 offset:420 ; 4-byte Folded Reload
	buffer_load_dword v16, off, s[40:43], 0 offset:424 ; 4-byte Folded Reload
	buffer_load_dword v17, off, s[40:43], 0 offset:428 ; 4-byte Folded Reload
	buffer_load_dword v18, off, s[40:43], 0 offset:432 ; 4-byte Folded Reload
	buffer_load_dword v19, off, s[40:43], 0 offset:436 ; 4-byte Folded Reload
	buffer_load_dword v20, off, s[40:43], 0 offset:440 ; 4-byte Folded Reload
	buffer_load_dword v21, off, s[40:43], 0 offset:444 ; 4-byte Folded Reload
	buffer_load_dword v22, off, s[40:43], 0 offset:448 ; 4-byte Folded Reload
	buffer_load_dword v23, off, s[40:43], 0 offset:452 ; 4-byte Folded Reload
	buffer_load_dword v24, off, s[40:43], 0 offset:456 ; 4-byte Folded Reload
	buffer_load_dword v25, off, s[40:43], 0 offset:460 ; 4-byte Folded Reload
	buffer_load_dword v26, off, s[40:43], 0 offset:464 ; 4-byte Folded Reload
	buffer_load_dword v27, off, s[40:43], 0 offset:468 ; 4-byte Folded Reload
	buffer_load_dword v28, off, s[40:43], 0 offset:472 ; 4-byte Folded Reload
	buffer_load_dword v29, off, s[40:43], 0 offset:476 ; 4-byte Folded Reload
	buffer_load_dword v30, off, s[40:43], 0 offset:480 ; 4-byte Folded Reload
	buffer_load_dword v31, off, s[40:43], 0 offset:484 ; 4-byte Folded Reload
	buffer_load_dword v32, off, s[40:43], 0 offset:488 ; 4-byte Folded Reload
	buffer_load_dword v33, off, s[40:43], 0 offset:492 ; 4-byte Folded Reload
	buffer_load_dword v34, off, s[40:43], 0 offset:496 ; 4-byte Folded Reload
	buffer_load_dword v35, off, s[40:43], 0 offset:500 ; 4-byte Folded Reload
	buffer_load_dword v36, off, s[40:43], 0 offset:504 ; 4-byte Folded Reload
	buffer_load_dword v37, off, s[40:43], 0 offset:508 ; 4-byte Folded Reload
	s_waitcnt vmcnt(6)
	v_pk_mov_b32 v[24:25], v[30:31], v[30:31] op_sel:[0,1]
	v_fmac_f32_e32 v4, v24, v24
	v_fmac_f32_e32 v4, v25, v25
	buffer_load_dword v6, off, s[40:43], 0 offset:256 ; 4-byte Folded Reload
	;; [unrolled: 36-line block ×3, first 2 shown]
	buffer_load_dword v7, off, s[40:43], 0 offset:1544 ; 4-byte Folded Reload
	buffer_load_dword v8, off, s[40:43], 0 offset:1548 ; 4-byte Folded Reload
	;; [unrolled: 1-line block ×31, first 2 shown]
	s_waitcnt vmcnt(2)
	v_pk_mov_b32 v[28:29], v[34:35], v[34:35] op_sel:[0,1]
	v_fmac_f32_e32 v4, v28, v28
	v_fmac_f32_e32 v4, v29, v29
	;; [unrolled: 1-line block ×4, first 2 shown]
	s_nop 1
	v_mov_b32_dpp v5, v4 quad_perm:[1,0,3,2] row_mask:0xf bank_mask:0xf
	v_add_f32_e32 v4, v4, v5
	s_nop 1
	v_mov_b32_dpp v5, v4 quad_perm:[2,3,0,1] row_mask:0xf bank_mask:0xf
	v_add_f32_e32 v4, v4, v5
	s_nop 1
	v_mov_b32_dpp v5, v4 row_half_mirror row_mask:0xf bank_mask:0xf
	v_add_f32_e32 v4, v4, v5
	s_nop 1
	v_mov_b32_dpp v5, v4 row_mirror row_mask:0xf bank_mask:0xf
	v_add_f32_e32 v4, v4, v5
	s_nop 1
	v_mov_b32_dpp v5, v4 row_bcast:15 row_mask:0xf bank_mask:0xf
	v_add_f32_e32 v4, v4, v5
	v_and_b32_e32 v5, 63, v0
	v_cmp_eq_u32_e64 s[2:3], 63, v5
	s_nop 0
	v_mov_b32_dpp v5, v4 row_bcast:31 row_mask:0xf bank_mask:0xf
	s_and_saveexec_b64 s[24:25], s[2:3]
	s_cbranch_execz .LBB85_13
; %bb.12:
	v_add_f32_e32 v4, v4, v5
	v_lshrrev_b32_e32 v5, 4, v0
	v_and_b32_e32 v5, 60, v5
	ds_write_b32 v5, v4 offset:32
.LBB85_13:
	s_or_b64 exec, exec, s[24:25]
	v_and_b32_e32 v4, 3, v0
	v_lshlrev_b32_e32 v68, 2, v4
	s_waitcnt lgkmcnt(0)
	s_barrier
	ds_read_b32 v4, v68 offset:32
	s_load_dwordx2 s[34:35], s[4:5], 0x18
	s_waitcnt lgkmcnt(0)
	v_mov_b32_dpp v5, v4 quad_perm:[1,0,3,2] row_mask:0xf bank_mask:0xf
	v_add_f32_e32 v4, v4, v5
	s_nop 1
	v_mov_b32_dpp v5, v4 quad_perm:[2,3,0,1] row_mask:0xf bank_mask:0xf
	s_and_saveexec_b64 s[24:25], s[0:1]
	s_cbranch_execnz .LBB85_18
; %bb.14:
	s_or_b64 exec, exec, s[24:25]
	s_mov_b64 s[8:9], -1
	s_and_b64 vcc, exec, s[22:23]
	s_cbranch_vccnz .LBB85_19
.LBB85_15:
	s_andn2_b64 vcc, exec, s[8:9]
	s_cbranch_vccz .LBB85_22
.LBB85_16:
	s_cmp_lt_i32 s16, 1
	s_cbranch_scc0 .LBB85_31
.LBB85_17:
	s_endpgm
.LBB85_18:
	v_add_f32_e32 v4, v4, v5
	v_cvt_f32_u32_e32 v5, s7
	s_mov_b32 s7, 0x800000
	v_pk_mov_b32 v[30:31], v[28:29], v[28:29] op_sel:[0,1]
	v_div_scale_f32 v6, s[36:37], v5, v5, v4
	v_rcp_f32_e32 v7, v6
	v_fma_f32 v8, -v6, v7, 1.0
	v_fmac_f32_e32 v7, v8, v7
	v_div_scale_f32 v8, vcc, v4, v5, v4
	v_mul_f32_e32 v9, v8, v7
	v_fma_f32 v10, -v6, v9, v8
	v_fmac_f32_e32 v9, v10, v7
	v_fma_f32 v6, -v6, v9, v8
	v_div_fmas_f32 v6, v6, v7, v9
	v_div_fixup_f32 v4, v6, v5, v4
	v_mov_b32_e32 v5, s13
	v_mov_b32_e32 v6, s12
	v_cndmask_b32_e64 v5, v5, v6, s[8:9]
	v_add_f32_e32 v4, v5, v4
	v_mul_f32_e32 v5, 0x4b800000, v4
	v_cmp_gt_f32_e32 vcc, s7, v4
	v_cndmask_b32_e32 v4, v4, v5, vcc
	v_rsq_f32_e32 v4, v4
	v_mul_f32_e32 v5, 0x45800000, v4
	v_cndmask_b32_e32 v32, v4, v5, vcc
	v_mov_b32_e32 v33, v32
	;;#ASMSTART
	v_pk_mul_f32 v[2:3], v[2:3], v[32:33]
	;;#ASMEND
	;;#ASMSTART
	v_pk_mul_f32 v[4:5], v[74:75], v[32:33]
	;;#ASMEND
	buffer_load_dword v34, off, s[40:43], 0 offset:1280 ; 4-byte Folded Reload
	buffer_load_dword v35, off, s[40:43], 0 offset:1284 ; 4-byte Folded Reload
	buffer_load_dword v36, off, s[40:43], 0 offset:1288 ; 4-byte Folded Reload
	buffer_load_dword v37, off, s[40:43], 0 offset:1292 ; 4-byte Folded Reload
	buffer_load_dword v38, off, s[40:43], 0 offset:1296 ; 4-byte Folded Reload
	buffer_load_dword v39, off, s[40:43], 0 offset:1300 ; 4-byte Folded Reload
	buffer_load_dword v40, off, s[40:43], 0 offset:1304 ; 4-byte Folded Reload
	buffer_load_dword v41, off, s[40:43], 0 offset:1308 ; 4-byte Folded Reload
	buffer_load_dword v42, off, s[40:43], 0 offset:1312 ; 4-byte Folded Reload
	buffer_load_dword v43, off, s[40:43], 0 offset:1316 ; 4-byte Folded Reload
	buffer_load_dword v44, off, s[40:43], 0 offset:1320 ; 4-byte Folded Reload
	buffer_load_dword v45, off, s[40:43], 0 offset:1324 ; 4-byte Folded Reload
	buffer_load_dword v46, off, s[40:43], 0 offset:1328 ; 4-byte Folded Reload
	buffer_load_dword v47, off, s[40:43], 0 offset:1332 ; 4-byte Folded Reload
	buffer_load_dword v48, off, s[40:43], 0 offset:1336 ; 4-byte Folded Reload
	buffer_load_dword v49, off, s[40:43], 0 offset:1340 ; 4-byte Folded Reload
	buffer_load_dword v50, off, s[40:43], 0 offset:1344 ; 4-byte Folded Reload
	buffer_load_dword v51, off, s[40:43], 0 offset:1348 ; 4-byte Folded Reload
	buffer_load_dword v52, off, s[40:43], 0 offset:1352 ; 4-byte Folded Reload
	buffer_load_dword v53, off, s[40:43], 0 offset:1356 ; 4-byte Folded Reload
	buffer_load_dword v54, off, s[40:43], 0 offset:1360 ; 4-byte Folded Reload
	buffer_load_dword v55, off, s[40:43], 0 offset:1364 ; 4-byte Folded Reload
	buffer_load_dword v56, off, s[40:43], 0 offset:1368 ; 4-byte Folded Reload
	buffer_load_dword v57, off, s[40:43], 0 offset:1372 ; 4-byte Folded Reload
	buffer_load_dword v58, off, s[40:43], 0 offset:1376 ; 4-byte Folded Reload
	buffer_load_dword v59, off, s[40:43], 0 offset:1380 ; 4-byte Folded Reload
	buffer_load_dword v60, off, s[40:43], 0 offset:1384 ; 4-byte Folded Reload
	buffer_load_dword v61, off, s[40:43], 0 offset:1388 ; 4-byte Folded Reload
	buffer_load_dword v62, off, s[40:43], 0 offset:1392 ; 4-byte Folded Reload
	buffer_load_dword v63, off, s[40:43], 0 offset:1396 ; 4-byte Folded Reload
	buffer_load_dword v64, off, s[40:43], 0 offset:1400 ; 4-byte Folded Reload
	buffer_load_dword v65, off, s[40:43], 0 offset:1404 ; 4-byte Folded Reload
	s_waitcnt vmcnt(26)
	;;#ASMSTART
	v_pk_mul_f32 v[6:7], v[38:39], v[32:33]
	;;#ASMEND
	buffer_load_dword v34, off, s[40:43], 0 offset:1152 ; 4-byte Folded Reload
	buffer_load_dword v35, off, s[40:43], 0 offset:1156 ; 4-byte Folded Reload
	buffer_load_dword v36, off, s[40:43], 0 offset:1160 ; 4-byte Folded Reload
	buffer_load_dword v37, off, s[40:43], 0 offset:1164 ; 4-byte Folded Reload
	buffer_load_dword v38, off, s[40:43], 0 offset:1168 ; 4-byte Folded Reload
	buffer_load_dword v39, off, s[40:43], 0 offset:1172 ; 4-byte Folded Reload
	buffer_load_dword v40, off, s[40:43], 0 offset:1176 ; 4-byte Folded Reload
	buffer_load_dword v41, off, s[40:43], 0 offset:1180 ; 4-byte Folded Reload
	buffer_load_dword v42, off, s[40:43], 0 offset:1184 ; 4-byte Folded Reload
	buffer_load_dword v43, off, s[40:43], 0 offset:1188 ; 4-byte Folded Reload
	buffer_load_dword v44, off, s[40:43], 0 offset:1192 ; 4-byte Folded Reload
	buffer_load_dword v45, off, s[40:43], 0 offset:1196 ; 4-byte Folded Reload
	buffer_load_dword v46, off, s[40:43], 0 offset:1200 ; 4-byte Folded Reload
	buffer_load_dword v47, off, s[40:43], 0 offset:1204 ; 4-byte Folded Reload
	buffer_load_dword v48, off, s[40:43], 0 offset:1208 ; 4-byte Folded Reload
	buffer_load_dword v49, off, s[40:43], 0 offset:1212 ; 4-byte Folded Reload
	buffer_load_dword v50, off, s[40:43], 0 offset:1216 ; 4-byte Folded Reload
	buffer_load_dword v51, off, s[40:43], 0 offset:1220 ; 4-byte Folded Reload
	buffer_load_dword v52, off, s[40:43], 0 offset:1224 ; 4-byte Folded Reload
	buffer_load_dword v53, off, s[40:43], 0 offset:1228 ; 4-byte Folded Reload
	buffer_load_dword v54, off, s[40:43], 0 offset:1232 ; 4-byte Folded Reload
	buffer_load_dword v55, off, s[40:43], 0 offset:1236 ; 4-byte Folded Reload
	buffer_load_dword v56, off, s[40:43], 0 offset:1240 ; 4-byte Folded Reload
	buffer_load_dword v57, off, s[40:43], 0 offset:1244 ; 4-byte Folded Reload
	buffer_load_dword v58, off, s[40:43], 0 offset:1248 ; 4-byte Folded Reload
	buffer_load_dword v59, off, s[40:43], 0 offset:1252 ; 4-byte Folded Reload
	buffer_load_dword v60, off, s[40:43], 0 offset:1256 ; 4-byte Folded Reload
	buffer_load_dword v61, off, s[40:43], 0 offset:1260 ; 4-byte Folded Reload
	buffer_load_dword v62, off, s[40:43], 0 offset:1264 ; 4-byte Folded Reload
	buffer_load_dword v63, off, s[40:43], 0 offset:1268 ; 4-byte Folded Reload
	buffer_load_dword v64, off, s[40:43], 0 offset:1272 ; 4-byte Folded Reload
	buffer_load_dword v65, off, s[40:43], 0 offset:1276 ; 4-byte Folded Reload
	s_waitcnt vmcnt(24)
	;; [unrolled: 36-line block ×9, first 2 shown]
	;;#ASMSTART
	v_pk_mul_f32 v[22:23], v[54:55], v[32:33]
	;;#ASMEND
	buffer_load_dword v34, off, s[40:43], 0 ; 4-byte Folded Reload
	buffer_load_dword v35, off, s[40:43], 0 offset:4 ; 4-byte Folded Reload
	buffer_load_dword v36, off, s[40:43], 0 offset:8 ; 4-byte Folded Reload
	;; [unrolled: 1-line block ×31, first 2 shown]
	s_waitcnt vmcnt(8)
	;;#ASMSTART
	v_pk_mul_f32 v[24:25], v[56:57], v[32:33]
	;;#ASMEND
	buffer_load_dword v34, off, s[40:43], 0 offset:384 ; 4-byte Folded Reload
	buffer_load_dword v35, off, s[40:43], 0 offset:388 ; 4-byte Folded Reload
	buffer_load_dword v36, off, s[40:43], 0 offset:392 ; 4-byte Folded Reload
	buffer_load_dword v37, off, s[40:43], 0 offset:396 ; 4-byte Folded Reload
	buffer_load_dword v38, off, s[40:43], 0 offset:400 ; 4-byte Folded Reload
	buffer_load_dword v39, off, s[40:43], 0 offset:404 ; 4-byte Folded Reload
	buffer_load_dword v40, off, s[40:43], 0 offset:408 ; 4-byte Folded Reload
	buffer_load_dword v41, off, s[40:43], 0 offset:412 ; 4-byte Folded Reload
	buffer_load_dword v42, off, s[40:43], 0 offset:416 ; 4-byte Folded Reload
	buffer_load_dword v43, off, s[40:43], 0 offset:420 ; 4-byte Folded Reload
	buffer_load_dword v44, off, s[40:43], 0 offset:424 ; 4-byte Folded Reload
	buffer_load_dword v45, off, s[40:43], 0 offset:428 ; 4-byte Folded Reload
	buffer_load_dword v46, off, s[40:43], 0 offset:432 ; 4-byte Folded Reload
	buffer_load_dword v47, off, s[40:43], 0 offset:436 ; 4-byte Folded Reload
	buffer_load_dword v48, off, s[40:43], 0 offset:440 ; 4-byte Folded Reload
	buffer_load_dword v49, off, s[40:43], 0 offset:444 ; 4-byte Folded Reload
	buffer_load_dword v50, off, s[40:43], 0 offset:448 ; 4-byte Folded Reload
	buffer_load_dword v51, off, s[40:43], 0 offset:452 ; 4-byte Folded Reload
	buffer_load_dword v52, off, s[40:43], 0 offset:456 ; 4-byte Folded Reload
	buffer_load_dword v53, off, s[40:43], 0 offset:460 ; 4-byte Folded Reload
	buffer_load_dword v54, off, s[40:43], 0 offset:464 ; 4-byte Folded Reload
	buffer_load_dword v55, off, s[40:43], 0 offset:468 ; 4-byte Folded Reload
	buffer_load_dword v56, off, s[40:43], 0 offset:472 ; 4-byte Folded Reload
	buffer_load_dword v57, off, s[40:43], 0 offset:476 ; 4-byte Folded Reload
	buffer_load_dword v58, off, s[40:43], 0 offset:480 ; 4-byte Folded Reload
	buffer_load_dword v59, off, s[40:43], 0 offset:484 ; 4-byte Folded Reload
	buffer_load_dword v60, off, s[40:43], 0 offset:488 ; 4-byte Folded Reload
	buffer_load_dword v61, off, s[40:43], 0 offset:492 ; 4-byte Folded Reload
	buffer_load_dword v62, off, s[40:43], 0 offset:496 ; 4-byte Folded Reload
	buffer_load_dword v63, off, s[40:43], 0 offset:500 ; 4-byte Folded Reload
	buffer_load_dword v64, off, s[40:43], 0 offset:504 ; 4-byte Folded Reload
	buffer_load_dword v65, off, s[40:43], 0 offset:508 ; 4-byte Folded Reload
	s_waitcnt vmcnt(6)
	;;#ASMSTART
	v_pk_mul_f32 v[26:27], v[58:59], v[32:33]
	;;#ASMEND
	buffer_load_dword v34, off, s[40:43], 0 offset:256 ; 4-byte Folded Reload
	buffer_load_dword v35, off, s[40:43], 0 offset:260 ; 4-byte Folded Reload
	;; [unrolled: 1-line block ×32, first 2 shown]
	s_waitcnt vmcnt(30)
	v_cvt_f32_f16_sdwa v35, v112 dst_sel:DWORD dst_unused:UNUSED_PAD src0_sel:WORD_1
	v_cvt_f32_f16_e32 v34, v112
	s_waitcnt vmcnt(28)
	v_cvt_f32_f16_sdwa v37, v114 dst_sel:DWORD dst_unused:UNUSED_PAD src0_sel:WORD_1
	v_cvt_f32_f16_e32 v36, v114
	;; [unrolled: 3-line block ×11, first 2 shown]
	s_waitcnt vmcnt(8)
	v_cvt_f32_f16_sdwa v57, v124 dst_sel:DWORD dst_unused:UNUSED_PAD src0_sel:WORD_1
	v_pk_add_f32 v[52:53], v[52:53], 1.0 op_sel_hi:[1,0]
	v_cvt_f32_f16_e32 v56, v124
	v_pk_add_f32 v[54:55], v[54:55], 1.0 op_sel_hi:[1,0]
	s_waitcnt vmcnt(6)
	v_cvt_f32_f16_sdwa v59, v125 dst_sel:DWORD dst_unused:UNUSED_PAD src0_sel:WORD_1
	v_cvt_f32_f16_e32 v58, v125
	v_pk_add_f32 v[56:57], v[56:57], 1.0 op_sel_hi:[1,0]
	s_waitcnt vmcnt(2)
	v_cvt_f32_f16_sdwa v63, v127 dst_sel:DWORD dst_unused:UNUSED_PAD src0_sel:WORD_1
	v_cvt_f32_f16_e32 v62, v127
	v_pk_add_f32 v[58:59], v[58:59], 1.0 op_sel_hi:[1,0]
	;;#ASMSTART
	v_pk_mul_f32 v[28:29], v[60:61], v[32:33]
	;;#ASMEND
	;;#ASMSTART
	v_pk_mul_f32 v[30:31], v[30:31], v[32:33]
	;;#ASMEND
	;; [unrolled: 3-line block ×3, first 2 shown]
	v_pk_add_f32 v[32:33], v[34:35], 1.0 op_sel_hi:[1,0]
	v_cvt_f32_f16_sdwa v35, v113 dst_sel:DWORD dst_unused:UNUSED_PAD src0_sel:WORD_1
	v_cvt_f32_f16_e32 v34, v113
	;;#ASMSTART
	v_pk_mul_f32 v[2:3], v[2:3], v[32:33]
	;;#ASMEND
	v_cvt_f32_f16_sdwa v61, v126 dst_sel:DWORD dst_unused:UNUSED_PAD src0_sel:WORD_1
	v_cvt_f32_f16_e32 v60, v126
	v_pk_add_f32 v[32:33], v[34:35], 1.0 op_sel_hi:[1,0]
	v_pk_add_f32 v[34:35], v[36:37], 1.0 op_sel_hi:[1,0]
	;;#ASMSTART
	v_pk_mul_f32 v[74:75], v[4:5], v[32:33]
	;;#ASMEND
	;;#ASMSTART
	v_pk_mul_f32 v[4:5], v[6:7], v[34:35]
	;;#ASMEND
	buffer_store_dword v0, off, s[40:43], 0 offset:1280 ; 4-byte Folded Spill
	s_nop 0
	buffer_store_dword v1, off, s[40:43], 0 offset:1284 ; 4-byte Folded Spill
	buffer_store_dword v2, off, s[40:43], 0 offset:1288 ; 4-byte Folded Spill
	;; [unrolled: 1-line block ×31, first 2 shown]
	v_pk_add_f32 v[36:37], v[38:39], 1.0 op_sel_hi:[1,0]
	v_pk_add_f32 v[38:39], v[40:41], 1.0 op_sel_hi:[1,0]
	;; [unrolled: 1-line block ×9, first 2 shown]
	;;#ASMSTART
	v_pk_mul_f32 v[6:7], v[8:9], v[36:37]
	;;#ASMEND
	buffer_store_dword v0, off, s[40:43], 0 offset:1152 ; 4-byte Folded Spill
	s_nop 0
	buffer_store_dword v1, off, s[40:43], 0 offset:1156 ; 4-byte Folded Spill
	buffer_store_dword v2, off, s[40:43], 0 offset:1160 ; 4-byte Folded Spill
	buffer_store_dword v3, off, s[40:43], 0 offset:1164 ; 4-byte Folded Spill
	buffer_store_dword v4, off, s[40:43], 0 offset:1168 ; 4-byte Folded Spill
	buffer_store_dword v5, off, s[40:43], 0 offset:1172 ; 4-byte Folded Spill
	buffer_store_dword v6, off, s[40:43], 0 offset:1176 ; 4-byte Folded Spill
	buffer_store_dword v7, off, s[40:43], 0 offset:1180 ; 4-byte Folded Spill
	buffer_store_dword v8, off, s[40:43], 0 offset:1184 ; 4-byte Folded Spill
	buffer_store_dword v9, off, s[40:43], 0 offset:1188 ; 4-byte Folded Spill
	buffer_store_dword v10, off, s[40:43], 0 offset:1192 ; 4-byte Folded Spill
	buffer_store_dword v11, off, s[40:43], 0 offset:1196 ; 4-byte Folded Spill
	buffer_store_dword v12, off, s[40:43], 0 offset:1200 ; 4-byte Folded Spill
	buffer_store_dword v13, off, s[40:43], 0 offset:1204 ; 4-byte Folded Spill
	buffer_store_dword v14, off, s[40:43], 0 offset:1208 ; 4-byte Folded Spill
	buffer_store_dword v15, off, s[40:43], 0 offset:1212 ; 4-byte Folded Spill
	buffer_store_dword v16, off, s[40:43], 0 offset:1216 ; 4-byte Folded Spill
	buffer_store_dword v17, off, s[40:43], 0 offset:1220 ; 4-byte Folded Spill
	buffer_store_dword v18, off, s[40:43], 0 offset:1224 ; 4-byte Folded Spill
	buffer_store_dword v19, off, s[40:43], 0 offset:1228 ; 4-byte Folded Spill
	buffer_store_dword v20, off, s[40:43], 0 offset:1232 ; 4-byte Folded Spill
	buffer_store_dword v21, off, s[40:43], 0 offset:1236 ; 4-byte Folded Spill
	buffer_store_dword v22, off, s[40:43], 0 offset:1240 ; 4-byte Folded Spill
	buffer_store_dword v23, off, s[40:43], 0 offset:1244 ; 4-byte Folded Spill
	buffer_store_dword v24, off, s[40:43], 0 offset:1248 ; 4-byte Folded Spill
	buffer_store_dword v25, off, s[40:43], 0 offset:1252 ; 4-byte Folded Spill
	buffer_store_dword v26, off, s[40:43], 0 offset:1256 ; 4-byte Folded Spill
	buffer_store_dword v27, off, s[40:43], 0 offset:1260 ; 4-byte Folded Spill
	buffer_store_dword v28, off, s[40:43], 0 offset:1264 ; 4-byte Folded Spill
	buffer_store_dword v29, off, s[40:43], 0 offset:1268 ; 4-byte Folded Spill
	buffer_store_dword v30, off, s[40:43], 0 offset:1272 ; 4-byte Folded Spill
	buffer_store_dword v31, off, s[40:43], 0 offset:1276 ; 4-byte Folded Spill
	;;#ASMSTART
	v_pk_mul_f32 v[8:9], v[10:11], v[38:39]
	;;#ASMEND
	buffer_store_dword v0, off, s[40:43], 0 offset:1408 ; 4-byte Folded Spill
	s_nop 0
	buffer_store_dword v1, off, s[40:43], 0 offset:1412 ; 4-byte Folded Spill
	buffer_store_dword v2, off, s[40:43], 0 offset:1416 ; 4-byte Folded Spill
	buffer_store_dword v3, off, s[40:43], 0 offset:1420 ; 4-byte Folded Spill
	buffer_store_dword v4, off, s[40:43], 0 offset:1424 ; 4-byte Folded Spill
	buffer_store_dword v5, off, s[40:43], 0 offset:1428 ; 4-byte Folded Spill
	buffer_store_dword v6, off, s[40:43], 0 offset:1432 ; 4-byte Folded Spill
	buffer_store_dword v7, off, s[40:43], 0 offset:1436 ; 4-byte Folded Spill
	buffer_store_dword v8, off, s[40:43], 0 offset:1440 ; 4-byte Folded Spill
	buffer_store_dword v9, off, s[40:43], 0 offset:1444 ; 4-byte Folded Spill
	buffer_store_dword v10, off, s[40:43], 0 offset:1448 ; 4-byte Folded Spill
	buffer_store_dword v11, off, s[40:43], 0 offset:1452 ; 4-byte Folded Spill
	buffer_store_dword v12, off, s[40:43], 0 offset:1456 ; 4-byte Folded Spill
	buffer_store_dword v13, off, s[40:43], 0 offset:1460 ; 4-byte Folded Spill
	buffer_store_dword v14, off, s[40:43], 0 offset:1464 ; 4-byte Folded Spill
	buffer_store_dword v15, off, s[40:43], 0 offset:1468 ; 4-byte Folded Spill
	buffer_store_dword v16, off, s[40:43], 0 offset:1472 ; 4-byte Folded Spill
	buffer_store_dword v17, off, s[40:43], 0 offset:1476 ; 4-byte Folded Spill
	buffer_store_dword v18, off, s[40:43], 0 offset:1480 ; 4-byte Folded Spill
	buffer_store_dword v19, off, s[40:43], 0 offset:1484 ; 4-byte Folded Spill
	buffer_store_dword v20, off, s[40:43], 0 offset:1488 ; 4-byte Folded Spill
	buffer_store_dword v21, off, s[40:43], 0 offset:1492 ; 4-byte Folded Spill
	buffer_store_dword v22, off, s[40:43], 0 offset:1496 ; 4-byte Folded Spill
	buffer_store_dword v23, off, s[40:43], 0 offset:1500 ; 4-byte Folded Spill
	buffer_store_dword v24, off, s[40:43], 0 offset:1504 ; 4-byte Folded Spill
	buffer_store_dword v25, off, s[40:43], 0 offset:1508 ; 4-byte Folded Spill
	buffer_store_dword v26, off, s[40:43], 0 offset:1512 ; 4-byte Folded Spill
	buffer_store_dword v27, off, s[40:43], 0 offset:1516 ; 4-byte Folded Spill
	buffer_store_dword v28, off, s[40:43], 0 offset:1520 ; 4-byte Folded Spill
	buffer_store_dword v29, off, s[40:43], 0 offset:1524 ; 4-byte Folded Spill
	buffer_store_dword v30, off, s[40:43], 0 offset:1528 ; 4-byte Folded Spill
	buffer_store_dword v31, off, s[40:43], 0 offset:1532 ; 4-byte Folded Spill
	;; [unrolled: 36-line block ×8, first 2 shown]
	;;#ASMSTART
	v_pk_mul_f32 v[22:23], v[24:25], v[54:55]
	;;#ASMEND
	buffer_store_dword v0, off, s[40:43], 0 ; 4-byte Folded Spill
	s_nop 0
	buffer_store_dword v1, off, s[40:43], 0 offset:4 ; 4-byte Folded Spill
	buffer_store_dword v2, off, s[40:43], 0 offset:8 ; 4-byte Folded Spill
	;; [unrolled: 1-line block ×31, first 2 shown]
	;;#ASMSTART
	v_pk_mul_f32 v[24:25], v[26:27], v[56:57]
	;;#ASMEND
	buffer_store_dword v0, off, s[40:43], 0 offset:384 ; 4-byte Folded Spill
	s_nop 0
	buffer_store_dword v1, off, s[40:43], 0 offset:388 ; 4-byte Folded Spill
	buffer_store_dword v2, off, s[40:43], 0 offset:392 ; 4-byte Folded Spill
	;; [unrolled: 1-line block ×31, first 2 shown]
	;;#ASMSTART
	v_pk_mul_f32 v[26:27], v[28:29], v[58:59]
	;;#ASMEND
	buffer_store_dword v0, off, s[40:43], 0 offset:256 ; 4-byte Folded Spill
	s_nop 0
	buffer_store_dword v1, off, s[40:43], 0 offset:260 ; 4-byte Folded Spill
	buffer_store_dword v2, off, s[40:43], 0 offset:264 ; 4-byte Folded Spill
	;; [unrolled: 1-line block ×31, first 2 shown]
	;;#ASMSTART
	v_pk_mul_f32 v[28:29], v[30:31], v[60:61]
	;;#ASMEND
	;;#ASMSTART
	v_pk_mul_f32 v[76:77], v[66:67], v[62:63]
	;;#ASMEND
	s_or_b64 exec, exec, s[24:25]
	s_mov_b64 s[8:9], -1
	s_and_b64 vcc, exec, s[22:23]
	s_cbranch_vccz .LBB85_15
.LBB85_19:
	s_and_saveexec_b64 s[8:9], s[0:1]
	s_cbranch_execz .LBB85_21
; %bb.20:
	buffer_load_dword v30, off, s[40:43], 0 offset:1280 ; 4-byte Folded Reload
	buffer_load_dword v31, off, s[40:43], 0 offset:1284 ; 4-byte Folded Reload
	;; [unrolled: 1-line block ×32, first 2 shown]
	s_mul_hi_i32 s23, s28, s6
	s_mul_i32 s22, s28, s6
	s_lshl_b64 s[22:23], s[22:23], 1
	s_add_u32 s24, s34, s22
	s_addc_u32 s7, s35, s23
	s_and_b32 s25, s7, 0xffff
	s_mov_b32 s27, 0x20000
	s_movk_i32 s7, 0x400
	s_waitcnt vmcnt(26)
	v_pk_mov_b32 v[8:9], v[34:35], v[34:35] op_sel:[0,1]
	buffer_load_dword v30, off, s[40:43], 0 offset:1152 ; 4-byte Folded Reload
	buffer_load_dword v31, off, s[40:43], 0 offset:1156 ; 4-byte Folded Reload
	;; [unrolled: 1-line block ×33, first 2 shown]
	v_cvt_f16_f32_e32 v4, v8
	v_cvt_f16_f32_e32 v8, v9
	s_waitcnt vmcnt(25)
	v_pk_mov_b32 v[6:7], v[36:37], v[36:37] op_sel:[0,1]
	v_cvt_f16_f32_e32 v5, v6
	v_cvt_f16_f32_e32 v6, v7
	v_pack_b32_f16 v7, v5, v6
	v_pack_b32_f16 v6, v4, v8
	v_cvt_f16_f32_e32 v4, v74
	v_cvt_f16_f32_e32 v5, v75
	v_cvt_f16_f32_e32 v8, v3
	v_pack_b32_f16 v5, v4, v5
	v_cvt_f16_f32_e32 v4, v2
	v_pack_b32_f16 v4, v4, v8
	s_waitcnt vmcnt(0)
	v_lshlrev_b32_e32 v8, 1, v1
	buffer_store_dwordx4 v[4:7], v8, s[24:27], 0 offen
	buffer_load_dword v30, off, s[40:43], 0 offset:640 ; 4-byte Folded Reload
	buffer_load_dword v31, off, s[40:43], 0 offset:644 ; 4-byte Folded Reload
	;; [unrolled: 1-line block ×32, first 2 shown]
	s_waitcnt vmcnt(18)
	v_pk_mov_b32 v[12:13], v[42:43], v[42:43] op_sel:[0,1]
	buffer_load_dword v30, off, s[40:43], 0 offset:512 ; 4-byte Folded Reload
	buffer_load_dword v31, off, s[40:43], 0 offset:516 ; 4-byte Folded Reload
	buffer_load_dword v32, off, s[40:43], 0 offset:520 ; 4-byte Folded Reload
	buffer_load_dword v33, off, s[40:43], 0 offset:524 ; 4-byte Folded Reload
	buffer_load_dword v34, off, s[40:43], 0 offset:528 ; 4-byte Folded Reload
	buffer_load_dword v35, off, s[40:43], 0 offset:532 ; 4-byte Folded Reload
	buffer_load_dword v36, off, s[40:43], 0 offset:536 ; 4-byte Folded Reload
	buffer_load_dword v37, off, s[40:43], 0 offset:540 ; 4-byte Folded Reload
	buffer_load_dword v38, off, s[40:43], 0 offset:544 ; 4-byte Folded Reload
	buffer_load_dword v39, off, s[40:43], 0 offset:548 ; 4-byte Folded Reload
	buffer_load_dword v40, off, s[40:43], 0 offset:552 ; 4-byte Folded Reload
	buffer_load_dword v41, off, s[40:43], 0 offset:556 ; 4-byte Folded Reload
	buffer_load_dword v42, off, s[40:43], 0 offset:560 ; 4-byte Folded Reload
	buffer_load_dword v43, off, s[40:43], 0 offset:564 ; 4-byte Folded Reload
	buffer_load_dword v44, off, s[40:43], 0 offset:568 ; 4-byte Folded Reload
	buffer_load_dword v45, off, s[40:43], 0 offset:572 ; 4-byte Folded Reload
	buffer_load_dword v46, off, s[40:43], 0 offset:576 ; 4-byte Folded Reload
	buffer_load_dword v47, off, s[40:43], 0 offset:580 ; 4-byte Folded Reload
	buffer_load_dword v48, off, s[40:43], 0 offset:584 ; 4-byte Folded Reload
	buffer_load_dword v49, off, s[40:43], 0 offset:588 ; 4-byte Folded Reload
	buffer_load_dword v50, off, s[40:43], 0 offset:592 ; 4-byte Folded Reload
	buffer_load_dword v51, off, s[40:43], 0 offset:596 ; 4-byte Folded Reload
	buffer_load_dword v52, off, s[40:43], 0 offset:600 ; 4-byte Folded Reload
	buffer_load_dword v53, off, s[40:43], 0 offset:604 ; 4-byte Folded Reload
	buffer_load_dword v54, off, s[40:43], 0 offset:608 ; 4-byte Folded Reload
	buffer_load_dword v55, off, s[40:43], 0 offset:612 ; 4-byte Folded Reload
	buffer_load_dword v56, off, s[40:43], 0 offset:616 ; 4-byte Folded Reload
	buffer_load_dword v57, off, s[40:43], 0 offset:620 ; 4-byte Folded Reload
	buffer_load_dword v58, off, s[40:43], 0 offset:624 ; 4-byte Folded Reload
	buffer_load_dword v59, off, s[40:43], 0 offset:628 ; 4-byte Folded Reload
	buffer_load_dword v60, off, s[40:43], 0 offset:632 ; 4-byte Folded Reload
	buffer_load_dword v61, off, s[40:43], 0 offset:636 ; 4-byte Folded Reload
	v_cvt_f16_f32_e32 v4, v12
	v_cvt_f16_f32_e32 v9, v13
	s_waitcnt vmcnt(16)
	v_pk_mov_b32 v[14:15], v[44:45], v[44:45] op_sel:[0,1]
	buffer_load_dword v30, off, s[40:43], 0 offset:1024 ; 4-byte Folded Reload
	buffer_load_dword v31, off, s[40:43], 0 offset:1028 ; 4-byte Folded Reload
	;; [unrolled: 1-line block ×32, first 2 shown]
	v_cvt_f16_f32_e32 v5, v14
	v_cvt_f16_f32_e32 v6, v15
	v_pack_b32_f16 v7, v5, v6
	v_pack_b32_f16 v6, v4, v9
	s_waitcnt vmcnt(20)
	v_pk_mov_b32 v[10:11], v[40:41], v[40:41] op_sel:[0,1]
	buffer_load_dword v30, off, s[40:43], 0 offset:1408 ; 4-byte Folded Reload
	buffer_load_dword v31, off, s[40:43], 0 offset:1412 ; 4-byte Folded Reload
	;; [unrolled: 1-line block ×32, first 2 shown]
	v_cvt_f16_f32_e32 v4, v10
	v_cvt_f16_f32_e32 v5, v11
	;;#ASMSTART
	s_nop 0
	;;#ASMEND
	v_pack_b32_f16 v5, v4, v5
	s_waitcnt vmcnt(22)
	v_pk_mov_b32 v[10:11], v[38:39], v[38:39] op_sel:[0,1]
	v_cvt_f16_f32_e32 v4, v10
	v_cvt_f16_f32_e32 v9, v11
	v_pack_b32_f16 v4, v4, v9
	buffer_store_dwordx4 v[4:7], v8, s[24:27], s7 offen
	buffer_load_dword v30, off, s[40:43], 0 offset:128 ; 4-byte Folded Reload
	buffer_load_dword v31, off, s[40:43], 0 offset:132 ; 4-byte Folded Reload
	;; [unrolled: 1-line block ×32, first 2 shown]
	s_movk_i32 s7, 0x800
	s_waitcnt vmcnt(10)
	v_pk_mov_b32 v[20:21], v[50:51], v[50:51] op_sel:[0,1]
	buffer_load_dword v30, off, s[40:43], 0 ; 4-byte Folded Reload
	buffer_load_dword v31, off, s[40:43], 0 offset:4 ; 4-byte Folded Reload
	buffer_load_dword v32, off, s[40:43], 0 offset:8 ; 4-byte Folded Reload
	;; [unrolled: 1-line block ×31, first 2 shown]
	v_cvt_f16_f32_e32 v4, v20
	v_cvt_f16_f32_e32 v9, v21
	s_waitcnt vmcnt(8)
	v_pk_mov_b32 v[22:23], v[52:53], v[52:53] op_sel:[0,1]
	buffer_load_dword v30, off, s[40:43], 0 offset:768 ; 4-byte Folded Reload
	buffer_load_dword v31, off, s[40:43], 0 offset:772 ; 4-byte Folded Reload
	;; [unrolled: 1-line block ×32, first 2 shown]
	v_cvt_f16_f32_e32 v5, v22
	v_cvt_f16_f32_e32 v6, v23
	v_pack_b32_f16 v7, v5, v6
	v_pack_b32_f16 v6, v4, v9
	s_waitcnt vmcnt(12)
	v_pk_mov_b32 v[18:19], v[48:49], v[48:49] op_sel:[0,1]
	buffer_load_dword v30, off, s[40:43], 0 offset:896 ; 4-byte Folded Reload
	buffer_load_dword v31, off, s[40:43], 0 offset:900 ; 4-byte Folded Reload
	;; [unrolled: 1-line block ×32, first 2 shown]
	v_cvt_f16_f32_e32 v4, v18
	v_cvt_f16_f32_e32 v5, v19
	;;#ASMSTART
	s_nop 0
	;;#ASMEND
	v_pack_b32_f16 v5, v4, v5
	s_waitcnt vmcnt(14)
	v_pk_mov_b32 v[16:17], v[46:47], v[46:47] op_sel:[0,1]
	v_cvt_f16_f32_e32 v4, v16
	v_cvt_f16_f32_e32 v9, v17
	v_pack_b32_f16 v4, v4, v9
	buffer_store_dwordx4 v[4:7], v8, s[24:27], s7 offen
	buffer_load_dword v30, off, s[40:43], 0 offset:256 ; 4-byte Folded Reload
	buffer_load_dword v31, off, s[40:43], 0 offset:260 ; 4-byte Folded Reload
	;; [unrolled: 1-line block ×32, first 2 shown]
	v_cvt_f16_f32_e32 v4, v28
	v_cvt_f16_f32_e32 v5, v76
	;; [unrolled: 1-line block ×4, first 2 shown]
	s_movk_i32 s7, 0xc00
	v_pack_b32_f16 v7, v5, v6
	v_pack_b32_f16 v6, v4, v9
	s_waitcnt vmcnt(4)
	v_pk_mov_b32 v[26:27], v[56:57], v[56:57] op_sel:[0,1]
	buffer_load_dword v30, off, s[40:43], 0 offset:384 ; 4-byte Folded Reload
	buffer_load_dword v31, off, s[40:43], 0 offset:388 ; 4-byte Folded Reload
	;; [unrolled: 1-line block ×32, first 2 shown]
	v_cvt_f16_f32_e32 v4, v26
	v_cvt_f16_f32_e32 v5, v27
	;;#ASMSTART
	s_nop 0
	;;#ASMEND
	v_pack_b32_f16 v5, v4, v5
	s_waitcnt vmcnt(6)
	v_pk_mov_b32 v[24:25], v[54:55], v[54:55] op_sel:[0,1]
	v_cvt_f16_f32_e32 v4, v24
	v_cvt_f16_f32_e32 v9, v25
	v_pack_b32_f16 v4, v4, v9
	buffer_store_dwordx4 v[4:7], v8, s[24:27], s7 offen
	;;#ASMSTART
	s_nop 0
	;;#ASMEND
.LBB85_21:
	s_or_b64 exec, exec, s[8:9]
	s_cbranch_execnz .LBB85_16
.LBB85_22:
	v_mov_b32_e32 v4, 0
	s_and_saveexec_b64 s[8:9], s[0:1]
	s_cbranch_execz .LBB85_24
; %bb.23:
	v_and_b32_e32 v4, 0x7fffffff, v2
	v_and_b32_e32 v5, 0x7fffffff, v3
	v_mov_b32_e32 v6, 0x2edbe6ff
	;;#ASMSTART
	v_max3_f32 v4, v6, v4, v5

	;;#ASMEND
	v_and_b32_e32 v5, 0x7fffffff, v74
	v_and_b32_e32 v6, 0x7fffffff, v75
	;;#ASMSTART
	v_max3_f32 v4, v4, v5, v6

	;;#ASMEND
	buffer_load_dword v30, off, s[40:43], 0 offset:1280 ; 4-byte Folded Reload
	buffer_load_dword v31, off, s[40:43], 0 offset:1284 ; 4-byte Folded Reload
	buffer_load_dword v32, off, s[40:43], 0 offset:1288 ; 4-byte Folded Reload
	buffer_load_dword v33, off, s[40:43], 0 offset:1292 ; 4-byte Folded Reload
	buffer_load_dword v34, off, s[40:43], 0 offset:1296 ; 4-byte Folded Reload
	buffer_load_dword v35, off, s[40:43], 0 offset:1300 ; 4-byte Folded Reload
	buffer_load_dword v36, off, s[40:43], 0 offset:1304 ; 4-byte Folded Reload
	buffer_load_dword v37, off, s[40:43], 0 offset:1308 ; 4-byte Folded Reload
	buffer_load_dword v38, off, s[40:43], 0 offset:1312 ; 4-byte Folded Reload
	buffer_load_dword v39, off, s[40:43], 0 offset:1316 ; 4-byte Folded Reload
	buffer_load_dword v40, off, s[40:43], 0 offset:1320 ; 4-byte Folded Reload
	buffer_load_dword v41, off, s[40:43], 0 offset:1324 ; 4-byte Folded Reload
	buffer_load_dword v42, off, s[40:43], 0 offset:1328 ; 4-byte Folded Reload
	buffer_load_dword v43, off, s[40:43], 0 offset:1332 ; 4-byte Folded Reload
	buffer_load_dword v44, off, s[40:43], 0 offset:1336 ; 4-byte Folded Reload
	buffer_load_dword v45, off, s[40:43], 0 offset:1340 ; 4-byte Folded Reload
	buffer_load_dword v46, off, s[40:43], 0 offset:1344 ; 4-byte Folded Reload
	buffer_load_dword v47, off, s[40:43], 0 offset:1348 ; 4-byte Folded Reload
	buffer_load_dword v48, off, s[40:43], 0 offset:1352 ; 4-byte Folded Reload
	buffer_load_dword v49, off, s[40:43], 0 offset:1356 ; 4-byte Folded Reload
	buffer_load_dword v50, off, s[40:43], 0 offset:1360 ; 4-byte Folded Reload
	buffer_load_dword v51, off, s[40:43], 0 offset:1364 ; 4-byte Folded Reload
	buffer_load_dword v52, off, s[40:43], 0 offset:1368 ; 4-byte Folded Reload
	buffer_load_dword v53, off, s[40:43], 0 offset:1372 ; 4-byte Folded Reload
	buffer_load_dword v54, off, s[40:43], 0 offset:1376 ; 4-byte Folded Reload
	buffer_load_dword v55, off, s[40:43], 0 offset:1380 ; 4-byte Folded Reload
	buffer_load_dword v56, off, s[40:43], 0 offset:1384 ; 4-byte Folded Reload
	buffer_load_dword v57, off, s[40:43], 0 offset:1388 ; 4-byte Folded Reload
	buffer_load_dword v58, off, s[40:43], 0 offset:1392 ; 4-byte Folded Reload
	buffer_load_dword v59, off, s[40:43], 0 offset:1396 ; 4-byte Folded Reload
	buffer_load_dword v60, off, s[40:43], 0 offset:1400 ; 4-byte Folded Reload
	buffer_load_dword v61, off, s[40:43], 0 offset:1404 ; 4-byte Folded Reload
	s_waitcnt vmcnt(26)
	v_pk_mov_b32 v[6:7], v[34:35], v[34:35] op_sel:[0,1]
	v_and_b32_e32 v5, 0x7fffffff, v6
	v_and_b32_e32 v6, 0x7fffffff, v7
	;;#ASMSTART
	v_max3_f32 v4, v4, v5, v6

	;;#ASMEND
	buffer_load_dword v30, off, s[40:43], 0 offset:1152 ; 4-byte Folded Reload
	buffer_load_dword v31, off, s[40:43], 0 offset:1156 ; 4-byte Folded Reload
	buffer_load_dword v32, off, s[40:43], 0 offset:1160 ; 4-byte Folded Reload
	buffer_load_dword v33, off, s[40:43], 0 offset:1164 ; 4-byte Folded Reload
	buffer_load_dword v34, off, s[40:43], 0 offset:1168 ; 4-byte Folded Reload
	buffer_load_dword v35, off, s[40:43], 0 offset:1172 ; 4-byte Folded Reload
	buffer_load_dword v36, off, s[40:43], 0 offset:1176 ; 4-byte Folded Reload
	buffer_load_dword v37, off, s[40:43], 0 offset:1180 ; 4-byte Folded Reload
	buffer_load_dword v38, off, s[40:43], 0 offset:1184 ; 4-byte Folded Reload
	buffer_load_dword v39, off, s[40:43], 0 offset:1188 ; 4-byte Folded Reload
	buffer_load_dword v40, off, s[40:43], 0 offset:1192 ; 4-byte Folded Reload
	buffer_load_dword v41, off, s[40:43], 0 offset:1196 ; 4-byte Folded Reload
	buffer_load_dword v42, off, s[40:43], 0 offset:1200 ; 4-byte Folded Reload
	buffer_load_dword v43, off, s[40:43], 0 offset:1204 ; 4-byte Folded Reload
	buffer_load_dword v44, off, s[40:43], 0 offset:1208 ; 4-byte Folded Reload
	buffer_load_dword v45, off, s[40:43], 0 offset:1212 ; 4-byte Folded Reload
	buffer_load_dword v46, off, s[40:43], 0 offset:1216 ; 4-byte Folded Reload
	buffer_load_dword v47, off, s[40:43], 0 offset:1220 ; 4-byte Folded Reload
	buffer_load_dword v48, off, s[40:43], 0 offset:1224 ; 4-byte Folded Reload
	buffer_load_dword v49, off, s[40:43], 0 offset:1228 ; 4-byte Folded Reload
	buffer_load_dword v50, off, s[40:43], 0 offset:1232 ; 4-byte Folded Reload
	buffer_load_dword v51, off, s[40:43], 0 offset:1236 ; 4-byte Folded Reload
	buffer_load_dword v52, off, s[40:43], 0 offset:1240 ; 4-byte Folded Reload
	buffer_load_dword v53, off, s[40:43], 0 offset:1244 ; 4-byte Folded Reload
	buffer_load_dword v54, off, s[40:43], 0 offset:1248 ; 4-byte Folded Reload
	buffer_load_dword v55, off, s[40:43], 0 offset:1252 ; 4-byte Folded Reload
	buffer_load_dword v56, off, s[40:43], 0 offset:1256 ; 4-byte Folded Reload
	buffer_load_dword v57, off, s[40:43], 0 offset:1260 ; 4-byte Folded Reload
	buffer_load_dword v58, off, s[40:43], 0 offset:1264 ; 4-byte Folded Reload
	buffer_load_dword v59, off, s[40:43], 0 offset:1268 ; 4-byte Folded Reload
	buffer_load_dword v60, off, s[40:43], 0 offset:1272 ; 4-byte Folded Reload
	buffer_load_dword v61, off, s[40:43], 0 offset:1276 ; 4-byte Folded Reload
	s_waitcnt vmcnt(24)
	v_pk_mov_b32 v[6:7], v[36:37], v[36:37] op_sel:[0,1]
	;; [unrolled: 40-line block ×9, first 2 shown]
	v_and_b32_e32 v5, 0x7fffffff, v20
	v_and_b32_e32 v6, 0x7fffffff, v21
	;;#ASMSTART
	v_max3_f32 v4, v4, v5, v6

	;;#ASMEND
	buffer_load_dword v30, off, s[40:43], 0 ; 4-byte Folded Reload
	buffer_load_dword v31, off, s[40:43], 0 offset:4 ; 4-byte Folded Reload
	buffer_load_dword v32, off, s[40:43], 0 offset:8 ; 4-byte Folded Reload
	;; [unrolled: 1-line block ×31, first 2 shown]
	s_waitcnt vmcnt(8)
	v_pk_mov_b32 v[22:23], v[52:53], v[52:53] op_sel:[0,1]
	v_and_b32_e32 v5, 0x7fffffff, v22
	v_and_b32_e32 v6, 0x7fffffff, v23
	;;#ASMSTART
	v_max3_f32 v4, v4, v5, v6

	;;#ASMEND
	buffer_load_dword v30, off, s[40:43], 0 offset:384 ; 4-byte Folded Reload
	buffer_load_dword v31, off, s[40:43], 0 offset:388 ; 4-byte Folded Reload
	;; [unrolled: 1-line block ×32, first 2 shown]
	s_waitcnt vmcnt(6)
	v_pk_mov_b32 v[24:25], v[54:55], v[54:55] op_sel:[0,1]
	v_and_b32_e32 v5, 0x7fffffff, v24
	v_and_b32_e32 v6, 0x7fffffff, v25
	;;#ASMSTART
	v_max3_f32 v4, v4, v5, v6

	;;#ASMEND
	buffer_load_dword v30, off, s[40:43], 0 offset:256 ; 4-byte Folded Reload
	buffer_load_dword v31, off, s[40:43], 0 offset:260 ; 4-byte Folded Reload
	;; [unrolled: 1-line block ×32, first 2 shown]
	s_waitcnt vmcnt(4)
	v_pk_mov_b32 v[26:27], v[56:57], v[56:57] op_sel:[0,1]
	v_and_b32_e32 v5, 0x7fffffff, v26
	v_and_b32_e32 v6, 0x7fffffff, v27
	;;#ASMSTART
	v_max3_f32 v4, v4, v5, v6

	;;#ASMEND
	v_and_b32_e32 v5, 0x7fffffff, v28
	v_and_b32_e32 v6, 0x7fffffff, v29
	;;#ASMSTART
	v_max3_f32 v4, v4, v5, v6

	;;#ASMEND
	;; [unrolled: 6-line block ×3, first 2 shown]
.LBB85_24:
	s_or_b64 exec, exec, s[8:9]
	s_nop 0
	v_mov_b32_dpp v5, v4 quad_perm:[1,0,3,2] row_mask:0xf bank_mask:0xf
	v_cmp_gt_f32_e32 vcc, v4, v5
	v_cndmask_b32_e32 v4, v5, v4, vcc
	s_nop 1
	v_mov_b32_dpp v5, v4 quad_perm:[2,3,0,1] row_mask:0xf bank_mask:0xf
	v_cmp_gt_f32_e32 vcc, v4, v5
	v_cndmask_b32_e32 v4, v5, v4, vcc
	s_nop 1
	v_mov_b32_dpp v5, v4 row_half_mirror row_mask:0xf bank_mask:0xf
	v_cmp_gt_f32_e32 vcc, v4, v5
	v_cndmask_b32_e32 v4, v5, v4, vcc
	s_nop 1
	v_mov_b32_dpp v5, v4 row_mirror row_mask:0xf bank_mask:0xf
	v_cmp_gt_f32_e32 vcc, v4, v5
	v_cndmask_b32_e32 v4, v5, v4, vcc
	s_nop 1
	v_mov_b32_dpp v5, v4 row_bcast:15 row_mask:0xf bank_mask:0xf
	v_cmp_gt_f32_e32 vcc, v4, v5
	v_cndmask_b32_e32 v4, v5, v4, vcc
	s_nop 1
	v_mov_b32_dpp v5, v4 row_bcast:31 row_mask:0xf bank_mask:0xf
	s_and_saveexec_b64 s[8:9], s[2:3]
	s_cbranch_execz .LBB85_26
; %bb.25:
	v_cmp_gt_f32_e32 vcc, v4, v5
	v_cndmask_b32_e32 v4, v5, v4, vcc
	v_lshrrev_b32_e32 v5, 4, v0
	v_and_b32_e32 v5, 60, v5
	ds_write_b32 v5, v4
.LBB85_26:
	s_or_b64 exec, exec, s[8:9]
	s_waitcnt lgkmcnt(0)
	s_barrier
	ds_read_b32 v4, v68
	s_waitcnt lgkmcnt(0)
	s_nop 0
	v_mov_b32_dpp v5, v4 quad_perm:[1,0,3,2] row_mask:0xf bank_mask:0xf
	v_cmp_gt_f32_e32 vcc, v4, v5
	v_cndmask_b32_e32 v4, v5, v4, vcc
	s_nop 1
	v_mov_b32_dpp v5, v4 quad_perm:[2,3,0,1] row_mask:0xf bank_mask:0xf
	v_cmp_gt_f32_e32 vcc, v4, v5
	v_cndmask_b32_e32 v4, v5, v4, vcc
	v_mul_f32_e32 v4, 0x3b124925, v4
	v_cmp_eq_u32_e32 vcc, 0, v0
	s_and_saveexec_b64 s[8:9], vcc
	s_cbranch_execz .LBB85_28
; %bb.27:
	s_load_dwordx2 s[22:23], s[4:5], 0x8
	s_mul_hi_i32 s25, s11, s6
	s_mul_i32 s24, s11, s6
	s_lshl_b64 s[24:25], s[24:25], 2
	v_mov_b32_e32 v5, 0
	s_waitcnt lgkmcnt(0)
	s_add_u32 s22, s22, s24
	s_addc_u32 s23, s23, s25
	global_store_dword v5, v4, s[22:23]
.LBB85_28:
	s_or_b64 exec, exec, s[8:9]
	;;#ASMSTART
	v_rcp_f32 v4, v4
	;;#ASMEND
	s_and_saveexec_b64 s[22:23], s[0:1]
	s_cbranch_execz .LBB85_30
; %bb.29:
	v_mov_b32_e32 v5, v4
	;;#ASMSTART
	v_pk_mul_f32 v[2:3], v[2:3], v[4:5]
	;;#ASMEND
	v_mov_b32_e32 v8, 0xc3e00000
	v_mov_b32_e32 v9, 0x43e00000
	;;#ASMSTART
	v_med3_f32 v2, v2, v8, v9
v_med3_f32 v3, v3, v8, v9
v_cvt_pk_fp8_f32 v6, v2, v3
	;;#ASMEND
	;;#ASMSTART
	v_pk_mul_f32 v[2:3], v[74:75], v[4:5]
	;;#ASMEND
	;;#ASMSTART
	v_med3_f32 v2, v2, v8, v9
v_med3_f32 v3, v3, v8, v9
v_cvt_pk_fp8_f32 v7, v2, v3
	;;#ASMEND
	buffer_load_dword v30, off, s[40:43], 0 offset:1280 ; 4-byte Folded Reload
	buffer_load_dword v31, off, s[40:43], 0 offset:1284 ; 4-byte Folded Reload
	buffer_load_dword v32, off, s[40:43], 0 offset:1288 ; 4-byte Folded Reload
	buffer_load_dword v33, off, s[40:43], 0 offset:1292 ; 4-byte Folded Reload
	buffer_load_dword v34, off, s[40:43], 0 offset:1296 ; 4-byte Folded Reload
	buffer_load_dword v35, off, s[40:43], 0 offset:1300 ; 4-byte Folded Reload
	buffer_load_dword v36, off, s[40:43], 0 offset:1304 ; 4-byte Folded Reload
	buffer_load_dword v37, off, s[40:43], 0 offset:1308 ; 4-byte Folded Reload
	buffer_load_dword v38, off, s[40:43], 0 offset:1312 ; 4-byte Folded Reload
	buffer_load_dword v39, off, s[40:43], 0 offset:1316 ; 4-byte Folded Reload
	buffer_load_dword v40, off, s[40:43], 0 offset:1320 ; 4-byte Folded Reload
	buffer_load_dword v41, off, s[40:43], 0 offset:1324 ; 4-byte Folded Reload
	buffer_load_dword v42, off, s[40:43], 0 offset:1328 ; 4-byte Folded Reload
	buffer_load_dword v43, off, s[40:43], 0 offset:1332 ; 4-byte Folded Reload
	buffer_load_dword v44, off, s[40:43], 0 offset:1336 ; 4-byte Folded Reload
	buffer_load_dword v45, off, s[40:43], 0 offset:1340 ; 4-byte Folded Reload
	buffer_load_dword v46, off, s[40:43], 0 offset:1344 ; 4-byte Folded Reload
	buffer_load_dword v47, off, s[40:43], 0 offset:1348 ; 4-byte Folded Reload
	buffer_load_dword v48, off, s[40:43], 0 offset:1352 ; 4-byte Folded Reload
	buffer_load_dword v49, off, s[40:43], 0 offset:1356 ; 4-byte Folded Reload
	buffer_load_dword v50, off, s[40:43], 0 offset:1360 ; 4-byte Folded Reload
	buffer_load_dword v51, off, s[40:43], 0 offset:1364 ; 4-byte Folded Reload
	buffer_load_dword v52, off, s[40:43], 0 offset:1368 ; 4-byte Folded Reload
	buffer_load_dword v53, off, s[40:43], 0 offset:1372 ; 4-byte Folded Reload
	buffer_load_dword v54, off, s[40:43], 0 offset:1376 ; 4-byte Folded Reload
	buffer_load_dword v55, off, s[40:43], 0 offset:1380 ; 4-byte Folded Reload
	buffer_load_dword v56, off, s[40:43], 0 offset:1384 ; 4-byte Folded Reload
	buffer_load_dword v57, off, s[40:43], 0 offset:1388 ; 4-byte Folded Reload
	buffer_load_dword v58, off, s[40:43], 0 offset:1392 ; 4-byte Folded Reload
	buffer_load_dword v59, off, s[40:43], 0 offset:1396 ; 4-byte Folded Reload
	buffer_load_dword v60, off, s[40:43], 0 offset:1400 ; 4-byte Folded Reload
	buffer_load_dword v61, off, s[40:43], 0 offset:1404 ; 4-byte Folded Reload
	s_load_dwordx2 s[0:1], s[4:5], 0x0
	s_mul_i32 s8, s10, s6
	s_mov_b32 s7, 0x5040100
	s_mul_hi_i32 s9, s10, s6
	s_movk_i32 s12, 0xff
	s_waitcnt lgkmcnt(0)
	s_add_u32 s8, s0, s8
	s_addc_u32 s0, s1, s9
	s_add_i32 s1, s15, 3
	s_ashr_i32 s9, s1, 31
	s_mov_b32 s14, 0xffff
	s_lshr_b32 s9, s9, 30
	s_add_i32 s1, s1, s9
	s_and_b32 s10, s1, -4
	s_and_b32 s9, s0, 0xffff
	s_mov_b32 s11, 0x20000
	s_movk_i32 s0, 0x200
	s_waitcnt vmcnt(26)
	;;#ASMSTART
	v_pk_mul_f32 v[2:3], v[34:35], v[4:5]
	;;#ASMEND
	;;#ASMSTART
	v_med3_f32 v2, v2, v8, v9
v_med3_f32 v3, v3, v8, v9
v_cvt_pk_fp8_f32 v10, v2, v3
	;;#ASMEND
	buffer_load_dword v30, off, s[40:43], 0 offset:1152 ; 4-byte Folded Reload
	buffer_load_dword v31, off, s[40:43], 0 offset:1156 ; 4-byte Folded Reload
	;; [unrolled: 1-line block ×32, first 2 shown]
	s_waitcnt vmcnt(24)
	;;#ASMSTART
	v_pk_mul_f32 v[2:3], v[36:37], v[4:5]
	;;#ASMEND
	;;#ASMSTART
	v_med3_f32 v2, v2, v8, v9
v_med3_f32 v3, v3, v8, v9
v_cvt_pk_fp8_f32 v11, v2, v3
	;;#ASMEND
	buffer_load_dword v12, off, s[40:43], 0 offset:1536 ; 4-byte Folded Reload
	v_perm_b32 v2, v7, v6, s7
	v_and_b32_e32 v3, 0xffffff00, v7
	v_and_b32_sdwa v6, v2, s12 dst_sel:DWORD dst_unused:UNUSED_PAD src0_sel:WORD_1 src1_sel:DWORD
	v_or_b32_sdwa v3, v6, v3 dst_sel:WORD_1 dst_unused:UNUSED_PAD src0_sel:DWORD src1_sel:DWORD
	v_and_or_b32 v2, v2, s14, v3
	v_lshlrev_b32_e32 v3, 16, v11
	v_and_or_b32 v3, v10, s14, v3
	s_waitcnt vmcnt(0)
	buffer_store_dwordx2 v[2:3], v12, s[8:11], 0 offen
	;;#ASMSTART
	s_nop 0
	;;#ASMEND
	buffer_load_dword v30, off, s[40:43], 0 offset:1408 ; 4-byte Folded Reload
	buffer_load_dword v31, off, s[40:43], 0 offset:1412 ; 4-byte Folded Reload
	buffer_load_dword v32, off, s[40:43], 0 offset:1416 ; 4-byte Folded Reload
	buffer_load_dword v33, off, s[40:43], 0 offset:1420 ; 4-byte Folded Reload
	buffer_load_dword v34, off, s[40:43], 0 offset:1424 ; 4-byte Folded Reload
	buffer_load_dword v35, off, s[40:43], 0 offset:1428 ; 4-byte Folded Reload
	buffer_load_dword v36, off, s[40:43], 0 offset:1432 ; 4-byte Folded Reload
	buffer_load_dword v37, off, s[40:43], 0 offset:1436 ; 4-byte Folded Reload
	buffer_load_dword v38, off, s[40:43], 0 offset:1440 ; 4-byte Folded Reload
	buffer_load_dword v39, off, s[40:43], 0 offset:1444 ; 4-byte Folded Reload
	buffer_load_dword v40, off, s[40:43], 0 offset:1448 ; 4-byte Folded Reload
	buffer_load_dword v41, off, s[40:43], 0 offset:1452 ; 4-byte Folded Reload
	buffer_load_dword v42, off, s[40:43], 0 offset:1456 ; 4-byte Folded Reload
	buffer_load_dword v43, off, s[40:43], 0 offset:1460 ; 4-byte Folded Reload
	buffer_load_dword v44, off, s[40:43], 0 offset:1464 ; 4-byte Folded Reload
	buffer_load_dword v45, off, s[40:43], 0 offset:1468 ; 4-byte Folded Reload
	buffer_load_dword v46, off, s[40:43], 0 offset:1472 ; 4-byte Folded Reload
	buffer_load_dword v47, off, s[40:43], 0 offset:1476 ; 4-byte Folded Reload
	buffer_load_dword v48, off, s[40:43], 0 offset:1480 ; 4-byte Folded Reload
	buffer_load_dword v49, off, s[40:43], 0 offset:1484 ; 4-byte Folded Reload
	buffer_load_dword v50, off, s[40:43], 0 offset:1488 ; 4-byte Folded Reload
	buffer_load_dword v51, off, s[40:43], 0 offset:1492 ; 4-byte Folded Reload
	buffer_load_dword v52, off, s[40:43], 0 offset:1496 ; 4-byte Folded Reload
	buffer_load_dword v53, off, s[40:43], 0 offset:1500 ; 4-byte Folded Reload
	buffer_load_dword v54, off, s[40:43], 0 offset:1504 ; 4-byte Folded Reload
	buffer_load_dword v55, off, s[40:43], 0 offset:1508 ; 4-byte Folded Reload
	buffer_load_dword v56, off, s[40:43], 0 offset:1512 ; 4-byte Folded Reload
	buffer_load_dword v57, off, s[40:43], 0 offset:1516 ; 4-byte Folded Reload
	buffer_load_dword v58, off, s[40:43], 0 offset:1520 ; 4-byte Folded Reload
	buffer_load_dword v59, off, s[40:43], 0 offset:1524 ; 4-byte Folded Reload
	buffer_load_dword v60, off, s[40:43], 0 offset:1528 ; 4-byte Folded Reload
	buffer_load_dword v61, off, s[40:43], 0 offset:1532 ; 4-byte Folded Reload
	s_waitcnt vmcnt(22)
	;;#ASMSTART
	v_pk_mul_f32 v[2:3], v[38:39], v[4:5]
	;;#ASMEND
	;;#ASMSTART
	v_med3_f32 v2, v2, v8, v9
v_med3_f32 v3, v3, v8, v9
v_cvt_pk_fp8_f32 v6, v2, v3
	;;#ASMEND
	buffer_load_dword v30, off, s[40:43], 0 offset:1024 ; 4-byte Folded Reload
	buffer_load_dword v31, off, s[40:43], 0 offset:1028 ; 4-byte Folded Reload
	buffer_load_dword v32, off, s[40:43], 0 offset:1032 ; 4-byte Folded Reload
	buffer_load_dword v33, off, s[40:43], 0 offset:1036 ; 4-byte Folded Reload
	buffer_load_dword v34, off, s[40:43], 0 offset:1040 ; 4-byte Folded Reload
	buffer_load_dword v35, off, s[40:43], 0 offset:1044 ; 4-byte Folded Reload
	buffer_load_dword v36, off, s[40:43], 0 offset:1048 ; 4-byte Folded Reload
	buffer_load_dword v37, off, s[40:43], 0 offset:1052 ; 4-byte Folded Reload
	buffer_load_dword v38, off, s[40:43], 0 offset:1056 ; 4-byte Folded Reload
	buffer_load_dword v39, off, s[40:43], 0 offset:1060 ; 4-byte Folded Reload
	buffer_load_dword v40, off, s[40:43], 0 offset:1064 ; 4-byte Folded Reload
	buffer_load_dword v41, off, s[40:43], 0 offset:1068 ; 4-byte Folded Reload
	buffer_load_dword v42, off, s[40:43], 0 offset:1072 ; 4-byte Folded Reload
	buffer_load_dword v43, off, s[40:43], 0 offset:1076 ; 4-byte Folded Reload
	buffer_load_dword v44, off, s[40:43], 0 offset:1080 ; 4-byte Folded Reload
	buffer_load_dword v45, off, s[40:43], 0 offset:1084 ; 4-byte Folded Reload
	buffer_load_dword v46, off, s[40:43], 0 offset:1088 ; 4-byte Folded Reload
	buffer_load_dword v47, off, s[40:43], 0 offset:1092 ; 4-byte Folded Reload
	buffer_load_dword v48, off, s[40:43], 0 offset:1096 ; 4-byte Folded Reload
	buffer_load_dword v49, off, s[40:43], 0 offset:1100 ; 4-byte Folded Reload
	buffer_load_dword v50, off, s[40:43], 0 offset:1104 ; 4-byte Folded Reload
	buffer_load_dword v51, off, s[40:43], 0 offset:1108 ; 4-byte Folded Reload
	buffer_load_dword v52, off, s[40:43], 0 offset:1112 ; 4-byte Folded Reload
	buffer_load_dword v53, off, s[40:43], 0 offset:1116 ; 4-byte Folded Reload
	buffer_load_dword v54, off, s[40:43], 0 offset:1120 ; 4-byte Folded Reload
	buffer_load_dword v55, off, s[40:43], 0 offset:1124 ; 4-byte Folded Reload
	buffer_load_dword v56, off, s[40:43], 0 offset:1128 ; 4-byte Folded Reload
	buffer_load_dword v57, off, s[40:43], 0 offset:1132 ; 4-byte Folded Reload
	buffer_load_dword v58, off, s[40:43], 0 offset:1136 ; 4-byte Folded Reload
	buffer_load_dword v59, off, s[40:43], 0 offset:1140 ; 4-byte Folded Reload
	buffer_load_dword v60, off, s[40:43], 0 offset:1144 ; 4-byte Folded Reload
	buffer_load_dword v61, off, s[40:43], 0 offset:1148 ; 4-byte Folded Reload
	s_waitcnt vmcnt(20)
	;;#ASMSTART
	v_pk_mul_f32 v[2:3], v[40:41], v[4:5]
	;;#ASMEND
	;;#ASMSTART
	v_med3_f32 v2, v2, v8, v9
v_med3_f32 v3, v3, v8, v9
v_cvt_pk_fp8_f32 v7, v2, v3
	;; [unrolled: 41-line block ×4, first 2 shown]
	;;#ASMEND
	v_perm_b32 v2, v7, v6, s7
	v_and_b32_e32 v3, 0xffffff00, v7
	v_and_b32_sdwa v6, v2, s12 dst_sel:DWORD dst_unused:UNUSED_PAD src0_sel:WORD_1 src1_sel:DWORD
	v_or_b32_sdwa v3, v6, v3 dst_sel:WORD_1 dst_unused:UNUSED_PAD src0_sel:DWORD src1_sel:DWORD
	v_and_or_b32 v2, v2, s14, v3
	v_lshlrev_b32_e32 v3, 16, v11
	v_and_or_b32 v3, v10, s14, v3
	buffer_store_dwordx2 v[2:3], v12, s[8:11], s0 offen
	;;#ASMSTART
	s_nop 0
	;;#ASMEND
	buffer_load_dword v30, off, s[40:43], 0 offset:896 ; 4-byte Folded Reload
	buffer_load_dword v31, off, s[40:43], 0 offset:900 ; 4-byte Folded Reload
	;; [unrolled: 1-line block ×32, first 2 shown]
	s_movk_i32 s0, 0x400
	s_waitcnt vmcnt(14)
	;;#ASMSTART
	v_pk_mul_f32 v[2:3], v[46:47], v[4:5]
	;;#ASMEND
	;;#ASMSTART
	v_med3_f32 v2, v2, v8, v9
v_med3_f32 v3, v3, v8, v9
v_cvt_pk_fp8_f32 v6, v2, v3
	;;#ASMEND
	buffer_load_dword v30, off, s[40:43], 0 offset:768 ; 4-byte Folded Reload
	buffer_load_dword v31, off, s[40:43], 0 offset:772 ; 4-byte Folded Reload
	;; [unrolled: 1-line block ×32, first 2 shown]
	s_waitcnt vmcnt(12)
	;;#ASMSTART
	v_pk_mul_f32 v[2:3], v[48:49], v[4:5]
	;;#ASMEND
	;;#ASMSTART
	v_med3_f32 v2, v2, v8, v9
v_med3_f32 v3, v3, v8, v9
v_cvt_pk_fp8_f32 v7, v2, v3
	;;#ASMEND
	buffer_load_dword v30, off, s[40:43], 0 offset:128 ; 4-byte Folded Reload
	buffer_load_dword v31, off, s[40:43], 0 offset:132 ; 4-byte Folded Reload
	;; [unrolled: 1-line block ×32, first 2 shown]
	s_waitcnt vmcnt(10)
	;;#ASMSTART
	v_pk_mul_f32 v[2:3], v[50:51], v[4:5]
	;;#ASMEND
	;;#ASMSTART
	v_med3_f32 v2, v2, v8, v9
v_med3_f32 v3, v3, v8, v9
v_cvt_pk_fp8_f32 v10, v2, v3
	;;#ASMEND
	buffer_load_dword v30, off, s[40:43], 0 ; 4-byte Folded Reload
	buffer_load_dword v31, off, s[40:43], 0 offset:4 ; 4-byte Folded Reload
	buffer_load_dword v32, off, s[40:43], 0 offset:8 ; 4-byte Folded Reload
	;; [unrolled: 1-line block ×31, first 2 shown]
	s_waitcnt vmcnt(8)
	;;#ASMSTART
	v_pk_mul_f32 v[2:3], v[52:53], v[4:5]
	;;#ASMEND
	;;#ASMSTART
	v_med3_f32 v2, v2, v8, v9
v_med3_f32 v3, v3, v8, v9
v_cvt_pk_fp8_f32 v11, v2, v3
	;;#ASMEND
	v_perm_b32 v2, v7, v6, s7
	v_and_b32_e32 v3, 0xffffff00, v7
	v_and_b32_sdwa v6, v2, s12 dst_sel:DWORD dst_unused:UNUSED_PAD src0_sel:WORD_1 src1_sel:DWORD
	v_or_b32_sdwa v3, v6, v3 dst_sel:WORD_1 dst_unused:UNUSED_PAD src0_sel:DWORD src1_sel:DWORD
	v_and_or_b32 v2, v2, s14, v3
	v_lshlrev_b32_e32 v3, 16, v11
	v_and_or_b32 v3, v10, s14, v3
	buffer_store_dwordx2 v[2:3], v12, s[8:11], s0 offen
	;;#ASMSTART
	s_nop 0
	;;#ASMEND
	buffer_load_dword v30, off, s[40:43], 0 offset:384 ; 4-byte Folded Reload
	buffer_load_dword v31, off, s[40:43], 0 offset:388 ; 4-byte Folded Reload
	;; [unrolled: 1-line block ×32, first 2 shown]
	s_movk_i32 s0, 0x600
	s_waitcnt vmcnt(6)
	;;#ASMSTART
	v_pk_mul_f32 v[2:3], v[54:55], v[4:5]
	;;#ASMEND
	;;#ASMSTART
	v_med3_f32 v2, v2, v8, v9
v_med3_f32 v3, v3, v8, v9
v_cvt_pk_fp8_f32 v6, v2, v3
	;;#ASMEND
	buffer_load_dword v30, off, s[40:43], 0 offset:256 ; 4-byte Folded Reload
	buffer_load_dword v31, off, s[40:43], 0 offset:260 ; 4-byte Folded Reload
	;; [unrolled: 1-line block ×32, first 2 shown]
	s_waitcnt vmcnt(4)
	;;#ASMSTART
	v_pk_mul_f32 v[2:3], v[56:57], v[4:5]
	;;#ASMEND
	;;#ASMSTART
	v_med3_f32 v2, v2, v8, v9
v_med3_f32 v3, v3, v8, v9
v_cvt_pk_fp8_f32 v7, v2, v3
	;;#ASMEND
	v_perm_b32 v3, v7, v6, s7
	v_and_b32_e32 v2, 0xffffff00, v7
	v_and_b32_sdwa v6, v3, s12 dst_sel:DWORD dst_unused:UNUSED_PAD src0_sel:WORD_1 src1_sel:DWORD
	v_or_b32_sdwa v2, v6, v2 dst_sel:WORD_1 dst_unused:UNUSED_PAD src0_sel:DWORD src1_sel:DWORD
	v_and_or_b32 v2, v3, s14, v2
	;;#ASMSTART
	v_pk_mul_f32 v[6:7], v[28:29], v[4:5]
	;;#ASMEND
	v_mov_b32_e32 v3, v7
	;;#ASMSTART
	v_med3_f32 v6, v6, v8, v9
v_med3_f32 v3, v3, v8, v9
v_cvt_pk_fp8_f32 v7, v6, v3
	;;#ASMEND
	;;#ASMSTART
	v_pk_mul_f32 v[4:5], v[76:77], v[4:5]
	;;#ASMEND
	v_mov_b32_e32 v1, v5
	;;#ASMSTART
	v_med3_f32 v4, v4, v8, v9
v_med3_f32 v1, v1, v8, v9
v_cvt_pk_fp8_f32 v3, v4, v1
	;;#ASMEND
	v_lshlrev_b32_e32 v1, 16, v3
	v_and_or_b32 v3, v7, s14, v1
	buffer_store_dwordx2 v[2:3], v12, s[8:11], s0 offen
	;;#ASMSTART
	s_nop 0
	;;#ASMEND
.LBB85_30:
	s_or_b64 exec, exec, s[22:23]
	s_cmp_lt_i32 s16, 1
	s_cbranch_scc1 .LBB85_17
.LBB85_31:
	s_load_dword s0, s[4:5], 0x94
	s_waitcnt lgkmcnt(0)
	s_cmp_lg_u32 s0, 1
	s_cbranch_scc1 .LBB85_17
; %bb.32:
	s_waitcnt vmcnt(63) expcnt(7) lgkmcnt(15)
	s_barrier
	buffer_load_dword v1, off, s[40:43], 0 offset:1536 ; 4-byte Folded Reload
	s_lshl_b32 s0, s16, 1
	s_add_i32 s0, s0, 2
	s_and_b32 s22, s0, -4
	v_mov_b32_e32 v66, 0
	v_mov_b32_e32 v30, 0
	;; [unrolled: 1-line block ×33, first 2 shown]
	s_waitcnt vmcnt(0)
	v_cmp_gt_u32_e32 vcc, s16, v1
	v_lshlrev_b32_e32 v65, 1, v1
	s_and_saveexec_b64 s[0:1], vcc
	s_cbranch_execz .LBB85_34
; %bb.33:
	s_mul_hi_i32 s5, s18, s6
	s_mul_i32 s4, s18, s6
	s_and_b32 s21, s21, 0xffff
	s_lshl_b64 s[4:5], s[4:5], 1
	s_add_u32 s8, s30, s4
	s_mov_b32 s23, 0x20000
	s_addc_u32 s4, s31, s5
	s_and_b32 s9, s4, 0xffff
	s_mov_b32 s10, s22
	s_mov_b32 s11, s23
	s_movk_i32 s5, 0x800
	s_movk_i32 s4, 0x400
	buffer_load_dwordx4 v[30:33], v65, s[8:11], 0 offen glc slc
	buffer_load_dwordx4 v[22:25], v65, s[8:11], s4 offen glc slc
	s_movk_i32 s7, 0xc00
	buffer_load_dwordx4 v[26:29], v65, s[8:11], s5 offen glc slc
	buffer_load_dwordx4 v[18:21], v65, s[8:11], s7 offen glc slc
	buffer_load_dwordx4 v[14:17], v65, s[20:23], 0 offen
	buffer_load_dwordx4 v[10:13], v65, s[20:23], s4 offen
	;; [unrolled: 1-line block ×4, first 2 shown]
.LBB85_34:
	s_or_b64 exec, exec, s[0:1]
	v_mov_b32_e32 v67, 0
	v_mov_b32_e32 v62, 0
	;; [unrolled: 1-line block ×31, first 2 shown]
	s_and_saveexec_b64 s[0:1], vcc
	s_cbranch_execz .LBB85_36
; %bb.35:
	s_waitcnt vmcnt(7)
	v_cvt_f32_f16_sdwa v67, v30 dst_sel:DWORD dst_unused:UNUSED_PAD src0_sel:WORD_1
	v_cvt_f32_f16_e32 v66, v30
	v_cvt_f32_f16_sdwa v63, v31 dst_sel:DWORD dst_unused:UNUSED_PAD src0_sel:WORD_1
	v_cvt_f32_f16_e32 v62, v31
	v_cvt_f32_f16_sdwa v61, v32 dst_sel:DWORD dst_unused:UNUSED_PAD src0_sel:WORD_1
	v_cvt_f32_f16_e32 v60, v32
	v_cvt_f32_f16_sdwa v59, v33 dst_sel:DWORD dst_unused:UNUSED_PAD src0_sel:WORD_1
	v_cvt_f32_f16_e32 v58, v33
	s_waitcnt vmcnt(6)
	v_cvt_f32_f16_sdwa v57, v22 dst_sel:DWORD dst_unused:UNUSED_PAD src0_sel:WORD_1
	v_cvt_f32_f16_e32 v56, v22
	v_cvt_f32_f16_sdwa v55, v23 dst_sel:DWORD dst_unused:UNUSED_PAD src0_sel:WORD_1
	v_cvt_f32_f16_e32 v54, v23
	v_cvt_f32_f16_sdwa v53, v24 dst_sel:DWORD dst_unused:UNUSED_PAD src0_sel:WORD_1
	v_cvt_f32_f16_e32 v52, v24
	v_cvt_f32_f16_sdwa v51, v25 dst_sel:DWORD dst_unused:UNUSED_PAD src0_sel:WORD_1
	v_cvt_f32_f16_e32 v50, v25
	;; [unrolled: 9-line block ×4, first 2 shown]
.LBB85_36:
	s_or_b64 exec, exec, s[0:1]
	s_waitcnt vmcnt(4)
	v_mul_f32_e32 v18, v67, v67
	v_fmac_f32_e32 v18, v66, v66
	v_fmac_f32_e32 v18, v62, v62
	;; [unrolled: 1-line block ×31, first 2 shown]
	s_nop 1
	v_mov_b32_dpp v19, v18 quad_perm:[1,0,3,2] row_mask:0xf bank_mask:0xf
	v_add_f32_e32 v18, v18, v19
	s_nop 1
	v_mov_b32_dpp v19, v18 quad_perm:[2,3,0,1] row_mask:0xf bank_mask:0xf
	v_add_f32_e32 v18, v18, v19
	s_nop 1
	v_mov_b32_dpp v19, v18 row_half_mirror row_mask:0xf bank_mask:0xf
	v_add_f32_e32 v18, v18, v19
	s_nop 1
	v_mov_b32_dpp v19, v18 row_mirror row_mask:0xf bank_mask:0xf
	v_add_f32_e32 v18, v18, v19
	s_nop 1
	v_mov_b32_dpp v19, v18 row_bcast:15 row_mask:0xf bank_mask:0xf
	v_add_f32_e32 v18, v18, v19
	s_nop 1
	v_mov_b32_dpp v19, v18 row_bcast:31 row_mask:0xf bank_mask:0xf
	s_and_saveexec_b64 s[0:1], s[2:3]
	s_cbranch_execz .LBB85_38
; %bb.37:
	v_add_f32_e32 v18, v18, v19
	v_lshrrev_b32_e32 v19, 4, v0
	v_and_b32_e32 v19, 60, v19
	ds_write_b32 v19, v18 offset:16
.LBB85_38:
	s_or_b64 exec, exec, s[0:1]
	s_waitcnt lgkmcnt(0)
	s_barrier
	ds_read_b32 v18, v68 offset:16
	s_waitcnt lgkmcnt(0)
	s_nop 0
	v_mov_b32_dpp v19, v18 quad_perm:[1,0,3,2] row_mask:0xf bank_mask:0xf
	v_add_f32_e32 v18, v18, v19
	s_nop 1
	v_mov_b32_dpp v19, v18 quad_perm:[2,3,0,1] row_mask:0xf bank_mask:0xf
	s_and_saveexec_b64 s[0:1], vcc
	s_cbranch_execz .LBB85_17
; %bb.39:
	v_cvt_f32_u32_e32 v20, s16
	v_add_f32_e32 v18, v18, v19
	s_mov_b32 s23, 0x20000
	v_div_scale_f32 v19, s[0:1], v20, v20, v18
	v_rcp_f32_e32 v21, v19
	v_div_scale_f32 v22, vcc, v18, v20, v18
	s_mov_b32 s0, 0x800000
	v_fma_f32 v23, -v19, v21, 1.0
	v_fmac_f32_e32 v21, v23, v21
	v_mul_f32_e32 v23, v22, v21
	v_fma_f32 v24, -v19, v23, v22
	v_fmac_f32_e32 v23, v24, v21
	v_fma_f32 v19, -v19, v23, v22
	v_div_fmas_f32 v19, v19, v21, v23
	v_div_fixup_f32 v18, v19, v20, v18
	v_add_f32_e32 v18, s13, v18
	v_mul_f32_e32 v19, 0x4b800000, v18
	v_cmp_gt_f32_e32 vcc, s0, v18
	v_cndmask_b32_e32 v18, v18, v19, vcc
	v_rsq_f32_e32 v18, v18
	s_mul_hi_i32 s1, s28, s6
	s_mul_i32 s0, s28, s6
	s_lshl_b64 s[0:1], s[0:1], 1
	v_mul_f32_e32 v19, 0x45800000, v18
	v_cndmask_b32_e32 v22, v18, v19, vcc
	v_mov_b32_e32 v23, v22
	;;#ASMSTART
	v_pk_mul_f32 v[0:1], v[66:67], v[22:23]
	;;#ASMEND
	;;#ASMSTART
	v_pk_mul_f32 v[24:25], v[62:63], v[22:23]
	;;#ASMEND
	;; [unrolled: 3-line block ×15, first 2 shown]
	s_waitcnt vmcnt(3)
	v_cvt_f32_f16_sdwa v37, v14 dst_sel:DWORD dst_unused:UNUSED_PAD src0_sel:WORD_1
	v_cvt_f32_f16_e32 v36, v14
	v_cvt_f32_f16_sdwa v39, v15 dst_sel:DWORD dst_unused:UNUSED_PAD src0_sel:WORD_1
	v_cvt_f32_f16_e32 v38, v15
	;;#ASMSTART
	v_pk_mul_f32 v[14:15], v[34:35], v[22:23]
	;;#ASMEND
	v_cvt_f32_f16_sdwa v35, v16 dst_sel:DWORD dst_unused:UNUSED_PAD src0_sel:WORD_1
	v_cvt_f32_f16_e32 v34, v16
	v_pk_add_f32 v[22:23], v[36:37], 1.0 op_sel_hi:[1,0]
	;;#ASMSTART
	v_pk_mul_f32 v[0:1], v[0:1], v[22:23]
	;;#ASMEND
	v_pk_add_f32 v[22:23], v[38:39], 1.0 op_sel_hi:[1,0]
	v_cvt_f32_f16_sdwa v37, v17 dst_sel:DWORD dst_unused:UNUSED_PAD src0_sel:WORD_1
	v_cvt_f32_f16_e32 v36, v17
	;;#ASMSTART
	v_pk_mul_f32 v[16:17], v[24:25], v[22:23]
	;;#ASMEND
	v_pk_add_f32 v[22:23], v[34:35], 1.0 op_sel_hi:[1,0]
	;;#ASMSTART
	v_pk_mul_f32 v[22:23], v[26:27], v[22:23]
	;;#ASMEND
	s_waitcnt vmcnt(2)
	v_cvt_f32_f16_sdwa v27, v10 dst_sel:DWORD dst_unused:UNUSED_PAD src0_sel:WORD_1
	v_cvt_f32_f16_e32 v26, v10
	v_pk_add_f32 v[24:25], v[36:37], 1.0 op_sel_hi:[1,0]
	v_cvt_f32_f16_sdwa v35, v11 dst_sel:DWORD dst_unused:UNUSED_PAD src0_sel:WORD_1
	v_cvt_f32_f16_e32 v34, v11
	;;#ASMSTART
	v_pk_mul_f32 v[10:11], v[28:29], v[24:25]
	;;#ASMEND
	v_pk_add_f32 v[24:25], v[26:27], 1.0 op_sel_hi:[1,0]
	;;#ASMSTART
	v_pk_mul_f32 v[24:25], v[30:31], v[24:25]
	;;#ASMEND
	v_cvt_f32_f16_sdwa v29, v12 dst_sel:DWORD dst_unused:UNUSED_PAD src0_sel:WORD_1
	v_cvt_f32_f16_e32 v28, v12
	v_cvt_f32_f16_sdwa v31, v13 dst_sel:DWORD dst_unused:UNUSED_PAD src0_sel:WORD_1
	v_cvt_f32_f16_e32 v30, v13
	v_pk_add_f32 v[26:27], v[34:35], 1.0 op_sel_hi:[1,0]
	;;#ASMSTART
	v_pk_mul_f32 v[12:13], v[32:33], v[26:27]
	;;#ASMEND
	v_pk_add_f32 v[26:27], v[28:29], 1.0 op_sel_hi:[1,0]
	v_pk_add_f32 v[28:29], v[30:31], 1.0 op_sel_hi:[1,0]
	s_waitcnt vmcnt(1)
	v_cvt_f32_f16_sdwa v31, v6 dst_sel:DWORD dst_unused:UNUSED_PAD src0_sel:WORD_1
	v_cvt_f32_f16_e32 v30, v6
	v_cvt_f32_f16_sdwa v33, v7 dst_sel:DWORD dst_unused:UNUSED_PAD src0_sel:WORD_1
	v_cvt_f32_f16_e32 v32, v7
	;;#ASMSTART
	v_pk_mul_f32 v[26:27], v[52:53], v[26:27]
	;;#ASMEND
	;;#ASMSTART
	v_pk_mul_f32 v[6:7], v[50:51], v[28:29]
	;;#ASMEND
	v_pk_add_f32 v[28:29], v[30:31], 1.0 op_sel_hi:[1,0]
	v_pk_add_f32 v[30:31], v[32:33], 1.0 op_sel_hi:[1,0]
	v_cvt_f32_f16_sdwa v33, v8 dst_sel:DWORD dst_unused:UNUSED_PAD src0_sel:WORD_1
	v_cvt_f32_f16_e32 v32, v8
	v_cvt_f32_f16_sdwa v35, v9 dst_sel:DWORD dst_unused:UNUSED_PAD src0_sel:WORD_1
	v_cvt_f32_f16_e32 v34, v9
	;;#ASMSTART
	v_pk_mul_f32 v[28:29], v[48:49], v[28:29]
	;;#ASMEND
	;;#ASMSTART
	v_pk_mul_f32 v[8:9], v[46:47], v[30:31]
	;;#ASMEND
	v_pk_add_f32 v[30:31], v[32:33], 1.0 op_sel_hi:[1,0]
	v_pk_add_f32 v[32:33], v[34:35], 1.0 op_sel_hi:[1,0]
	s_waitcnt vmcnt(0)
	v_cvt_f32_f16_sdwa v35, v2 dst_sel:DWORD dst_unused:UNUSED_PAD src0_sel:WORD_1
	v_cvt_f32_f16_e32 v34, v2
	v_cvt_f32_f16_sdwa v37, v3 dst_sel:DWORD dst_unused:UNUSED_PAD src0_sel:WORD_1
	v_cvt_f32_f16_e32 v36, v3
	;;#ASMSTART
	v_pk_mul_f32 v[30:31], v[44:45], v[30:31]
	;;#ASMEND
	v_pk_add_f32 v[2:3], v[34:35], 1.0 op_sel_hi:[1,0]
	;;#ASMSTART
	v_pk_mul_f32 v[32:33], v[42:43], v[32:33]
	;;#ASMEND
	;;#ASMSTART
	v_pk_mul_f32 v[34:35], v[40:41], v[2:3]
	;;#ASMEND
	v_pk_add_f32 v[2:3], v[36:37], 1.0 op_sel_hi:[1,0]
	v_cvt_f32_f16_sdwa v37, v4 dst_sel:DWORD dst_unused:UNUSED_PAD src0_sel:WORD_1
	v_cvt_f32_f16_e32 v36, v4
	v_cvt_f32_f16_sdwa v39, v5 dst_sel:DWORD dst_unused:UNUSED_PAD src0_sel:WORD_1
	v_cvt_f32_f16_e32 v38, v5
	;;#ASMSTART
	v_pk_mul_f32 v[4:5], v[18:19], v[2:3]
	;;#ASMEND
	v_pk_add_f32 v[2:3], v[36:37], 1.0 op_sel_hi:[1,0]
	;;#ASMSTART
	v_pk_mul_f32 v[18:19], v[20:21], v[2:3]
	;;#ASMEND
	v_pk_add_f32 v[2:3], v[38:39], 1.0 op_sel_hi:[1,0]
	;;#ASMSTART
	v_pk_mul_f32 v[14:15], v[14:15], v[2:3]
	;;#ASMEND
	v_cvt_f16_f32_e32 v0, v0
	v_cvt_f16_f32_e32 v1, v1
	;; [unrolled: 1-line block ×8, first 2 shown]
	s_add_u32 s20, s34, s0
	s_addc_u32 s0, s35, s1
	s_and_b32 s21, s0, 0xffff
	v_pack_b32_f16 v0, v0, v1
	v_pack_b32_f16 v1, v2, v3
	;; [unrolled: 1-line block ×4, first 2 shown]
	buffer_store_dwordx4 v[0:3], v65, s[20:23], 0 offen
	v_cvt_f16_f32_e32 v10, v26
	v_cvt_f16_f32_e32 v0, v24
	v_cvt_f16_f32_e32 v1, v25
	v_cvt_f16_f32_e32 v2, v12
	v_cvt_f16_f32_e32 v3, v13
	v_cvt_f16_f32_e32 v11, v27
	v_cvt_f16_f32_e32 v6, v6
	v_cvt_f16_f32_e32 v7, v7
	v_pack_b32_f16 v0, v0, v1
	v_pack_b32_f16 v1, v2, v3
	v_pack_b32_f16 v2, v10, v11
	v_pack_b32_f16 v3, v6, v7
	s_movk_i32 s0, 0x400
	;;#ASMSTART
	s_nop 0
	;;#ASMEND
	buffer_store_dwordx4 v[0:3], v65, s[20:23], s0 offen
	v_cvt_f16_f32_e32 v0, v28
	v_cvt_f16_f32_e32 v1, v29
	v_cvt_f16_f32_e32 v2, v8
	v_cvt_f16_f32_e32 v3, v9
	v_cvt_f16_f32_e32 v6, v30
	v_cvt_f16_f32_e32 v7, v31
	v_cvt_f16_f32_e32 v8, v32
	v_cvt_f16_f32_e32 v9, v33
	v_pack_b32_f16 v0, v0, v1
	v_pack_b32_f16 v1, v2, v3
	v_pack_b32_f16 v2, v6, v7
	v_pack_b32_f16 v3, v8, v9
	s_movk_i32 s0, 0x800
	;;#ASMSTART
	s_nop 0
	;;#ASMEND
	;; [unrolled: 17-line block ×3, first 2 shown]
	buffer_store_dwordx4 v[0:3], v65, s[20:23], s0 offen
	;;#ASMSTART
	s_nop 0
	;;#ASMEND
	s_endpgm
	.section	.rodata,"a",@progbits
	.p2align	6, 0x0
	.amdhsa_kernel _ZN5aiter35fused_qk_rmsnorm_group_quant_kernelIDF16_DB8_Li256ELi32ELi1ELb1ELb0ELb1ELb0ELb1ELb1EEEvPT0_PvPT_S6_S6_PKS5_S8_S8_S8_S8_ffiiiiiiiiiiiii
		.amdhsa_group_segment_fixed_size 48
		.amdhsa_private_segment_fixed_size 1672
		.amdhsa_kernarg_size 400
		.amdhsa_user_sgpr_count 6
		.amdhsa_user_sgpr_private_segment_buffer 1
		.amdhsa_user_sgpr_dispatch_ptr 0
		.amdhsa_user_sgpr_queue_ptr 0
		.amdhsa_user_sgpr_kernarg_segment_ptr 1
		.amdhsa_user_sgpr_dispatch_id 0
		.amdhsa_user_sgpr_flat_scratch_init 0
		.amdhsa_user_sgpr_kernarg_preload_length 0
		.amdhsa_user_sgpr_kernarg_preload_offset 0
		.amdhsa_user_sgpr_private_segment_size 0
		.amdhsa_uses_dynamic_stack 0
		.amdhsa_system_sgpr_private_segment_wavefront_offset 1
		.amdhsa_system_sgpr_workgroup_id_x 1
		.amdhsa_system_sgpr_workgroup_id_y 1
		.amdhsa_system_sgpr_workgroup_id_z 0
		.amdhsa_system_sgpr_workgroup_info 0
		.amdhsa_system_vgpr_workitem_id 0
		.amdhsa_next_free_vgpr 128
		.amdhsa_next_free_sgpr 44
		.amdhsa_accum_offset 128
		.amdhsa_reserve_vcc 1
		.amdhsa_reserve_flat_scratch 0
		.amdhsa_float_round_mode_32 0
		.amdhsa_float_round_mode_16_64 0
		.amdhsa_float_denorm_mode_32 3
		.amdhsa_float_denorm_mode_16_64 3
		.amdhsa_dx10_clamp 1
		.amdhsa_ieee_mode 1
		.amdhsa_fp16_overflow 0
		.amdhsa_tg_split 0
		.amdhsa_exception_fp_ieee_invalid_op 0
		.amdhsa_exception_fp_denorm_src 0
		.amdhsa_exception_fp_ieee_div_zero 0
		.amdhsa_exception_fp_ieee_overflow 0
		.amdhsa_exception_fp_ieee_underflow 0
		.amdhsa_exception_fp_ieee_inexact 0
		.amdhsa_exception_int_div_zero 0
	.end_amdhsa_kernel
	.section	.text._ZN5aiter35fused_qk_rmsnorm_group_quant_kernelIDF16_DB8_Li256ELi32ELi1ELb1ELb0ELb1ELb0ELb1ELb1EEEvPT0_PvPT_S6_S6_PKS5_S8_S8_S8_S8_ffiiiiiiiiiiiii,"axG",@progbits,_ZN5aiter35fused_qk_rmsnorm_group_quant_kernelIDF16_DB8_Li256ELi32ELi1ELb1ELb0ELb1ELb0ELb1ELb1EEEvPT0_PvPT_S6_S6_PKS5_S8_S8_S8_S8_ffiiiiiiiiiiiii,comdat
.Lfunc_end85:
	.size	_ZN5aiter35fused_qk_rmsnorm_group_quant_kernelIDF16_DB8_Li256ELi32ELi1ELb1ELb0ELb1ELb0ELb1ELb1EEEvPT0_PvPT_S6_S6_PKS5_S8_S8_S8_S8_ffiiiiiiiiiiiii, .Lfunc_end85-_ZN5aiter35fused_qk_rmsnorm_group_quant_kernelIDF16_DB8_Li256ELi32ELi1ELb1ELb0ELb1ELb0ELb1ELb1EEEvPT0_PvPT_S6_S6_PKS5_S8_S8_S8_S8_ffiiiiiiiiiiiii
                                        ; -- End function
	.section	.AMDGPU.csdata,"",@progbits
; Kernel info:
; codeLenInByte = 40152
; NumSgprs: 48
; NumVgprs: 128
; NumAgprs: 0
; TotalNumVgprs: 128
; ScratchSize: 1672
; MemoryBound: 0
; FloatMode: 240
; IeeeMode: 1
; LDSByteSize: 48 bytes/workgroup (compile time only)
; SGPRBlocks: 5
; VGPRBlocks: 15
; NumSGPRsForWavesPerEU: 48
; NumVGPRsForWavesPerEU: 128
; AccumOffset: 128
; Occupancy: 4
; WaveLimiterHint : 0
; COMPUTE_PGM_RSRC2:SCRATCH_EN: 1
; COMPUTE_PGM_RSRC2:USER_SGPR: 6
; COMPUTE_PGM_RSRC2:TRAP_HANDLER: 0
; COMPUTE_PGM_RSRC2:TGID_X_EN: 1
; COMPUTE_PGM_RSRC2:TGID_Y_EN: 1
; COMPUTE_PGM_RSRC2:TGID_Z_EN: 0
; COMPUTE_PGM_RSRC2:TIDIG_COMP_CNT: 0
; COMPUTE_PGM_RSRC3_GFX90A:ACCUM_OFFSET: 31
; COMPUTE_PGM_RSRC3_GFX90A:TG_SPLIT: 0
	.section	.text._ZN5aiter35fused_qk_rmsnorm_group_quant_kernelItDB8_Li256ELi32ELi1ELb1ELb0ELb1ELb0ELb1ELb1EEEvPT0_PvPT_S6_S6_PKS5_S8_S8_S8_S8_ffiiiiiiiiiiiii,"axG",@progbits,_ZN5aiter35fused_qk_rmsnorm_group_quant_kernelItDB8_Li256ELi32ELi1ELb1ELb0ELb1ELb0ELb1ELb1EEEvPT0_PvPT_S6_S6_PKS5_S8_S8_S8_S8_ffiiiiiiiiiiiii,comdat
	.protected	_ZN5aiter35fused_qk_rmsnorm_group_quant_kernelItDB8_Li256ELi32ELi1ELb1ELb0ELb1ELb0ELb1ELb1EEEvPT0_PvPT_S6_S6_PKS5_S8_S8_S8_S8_ffiiiiiiiiiiiii ; -- Begin function _ZN5aiter35fused_qk_rmsnorm_group_quant_kernelItDB8_Li256ELi32ELi1ELb1ELb0ELb1ELb0ELb1ELb1EEEvPT0_PvPT_S6_S6_PKS5_S8_S8_S8_S8_ffiiiiiiiiiiiii
	.globl	_ZN5aiter35fused_qk_rmsnorm_group_quant_kernelItDB8_Li256ELi32ELi1ELb1ELb0ELb1ELb0ELb1ELb1EEEvPT0_PvPT_S6_S6_PKS5_S8_S8_S8_S8_ffiiiiiiiiiiiii
	.p2align	8
	.type	_ZN5aiter35fused_qk_rmsnorm_group_quant_kernelItDB8_Li256ELi32ELi1ELb1ELb0ELb1ELb0ELb1ELb1EEEvPT0_PvPT_S6_S6_PKS5_S8_S8_S8_S8_ffiiiiiiiiiiiii,@function
_ZN5aiter35fused_qk_rmsnorm_group_quant_kernelItDB8_Li256ELi32ELi1ELb1ELb0ELb1ELb0ELb1ELb1EEEvPT0_PvPT_S6_S6_PKS5_S8_S8_S8_S8_ffiiiiiiiiiiiii: ; @_ZN5aiter35fused_qk_rmsnorm_group_quant_kernelItDB8_Li256ELi32ELi1ELb1ELb0ELb1ELb0ELb1ELb1EEEvPT0_PvPT_S6_S6_PKS5_S8_S8_S8_S8_ffiiiiiiiiiiiii
; %bb.0:
	s_load_dwordx8 s[12:19], s[4:5], 0x50
	s_mov_b64 s[42:43], s[2:3]
	s_mov_b64 s[40:41], s[0:1]
	s_add_u32 s40, s40, s8
	s_addc_u32 s41, s41, 0
	s_waitcnt lgkmcnt(0)
	s_cmp_ge_i32 s6, s14
	s_cbranch_scc1 .LBB86_17
; %bb.1:
	s_cmp_lg_u32 s7, 0
	s_cselect_b64 s[22:23], -1, 0
	s_cmp_eq_u32 s7, 0
	s_cselect_b64 s[8:9], -1, 0
	s_and_b64 s[0:1], s[8:9], exec
	s_cselect_b32 s7, s15, s16
	s_add_i32 s0, s7, 1
	s_load_dwordx2 s[10:11], s[4:5], 0x70
	s_load_dwordx2 s[20:21], s[4:5], 0x48
	;; [unrolled: 1-line block ×3, first 2 shown]
	s_lshr_b32 s1, s0, 31
	s_add_i32 s0, s0, s1
	s_lshl_b32 s0, s0, 1
	v_lshlrev_b32_e32 v2, 5, v0
	s_and_b32 s26, s0, -4
	v_lshlrev_b32_e32 v1, 3, v0
	v_and_b32_e32 v2, 0x7800, v2
	s_movk_i32 s0, 0x1f8
	v_and_or_b32 v1, v1, s0, v2
	v_cmp_gt_i32_e64 s[0:1], s7, v1
	v_mov_b32_e32 v116, 0
	v_mov_b32_e32 v117, 0
	;; [unrolled: 1-line block ×32, first 2 shown]
	s_and_saveexec_b64 s[2:3], s[0:1]
	s_cbranch_execz .LBB86_3
; %bb.2:
	s_load_dwordx2 s[24:25], s[4:5], 0x28
	s_load_dwordx2 s[28:29], s[4:5], 0x40
	s_and_b64 s[34:35], s[8:9], exec
	s_cselect_b32 s14, s17, s18
	s_mov_b32 s38, s26
	s_waitcnt lgkmcnt(0)
	s_cselect_b32 s17, s25, s31
	s_cselect_b32 s27, s24, s30
	s_mul_hi_i32 s25, s14, s6
	s_mul_i32 s24, s14, s6
	s_lshl_b64 s[24:25], s[24:25], 1
	s_add_u32 s36, s27, s24
	s_addc_u32 s14, s17, s25
	s_and_b64 s[24:25], s[8:9], exec
	s_cselect_b32 s17, s29, s21
	s_mov_b32 s27, 0x20000
	s_cselect_b32 s24, s28, s20
	s_and_b32 s25, s17, 0xffff
	s_and_b32 s37, s14, 0xffff
	s_mov_b32 s39, s27
	v_lshlrev_b32_e32 v2, 1, v1
	s_movk_i32 s17, 0x800
	s_movk_i32 s14, 0x400
	buffer_load_dwordx4 v[120:123], v2, s[36:39], 0 offen glc slc
	buffer_load_dwordx4 v[66:69], v2, s[36:39], s14 offen glc slc
	s_movk_i32 s28, 0xc00
	buffer_load_dwordx4 v[98:101], v2, s[36:39], s17 offen glc slc
	buffer_load_dwordx4 v[124:127], v2, s[36:39], s28 offen glc slc
	buffer_load_dwordx4 v[116:119], v2, s[24:27], 0 offen
	buffer_load_dwordx4 v[112:115], v2, s[24:27], s14 offen
	;; [unrolled: 1-line block ×4, first 2 shown]
.LBB86_3:
	s_or_b64 exec, exec, s[2:3]
	s_load_dwordx2 s[28:29], s[4:5], 0x80
	s_and_b64 vcc, exec, s[22:23]
	s_cbranch_vccz .LBB86_7
; %bb.4:
	v_mov_b32_e32 v29, 0
	v_mov_b32_e32 v28, 0
	buffer_store_dword v0, off, s[40:43], 0 offset:256 ; 4-byte Folded Spill
	s_nop 0
	buffer_store_dword v1, off, s[40:43], 0 offset:260 ; 4-byte Folded Spill
	buffer_store_dword v2, off, s[40:43], 0 offset:264 ; 4-byte Folded Spill
	;; [unrolled: 1-line block ×31, first 2 shown]
	v_mov_b32_e32 v27, 0
	v_mov_b32_e32 v26, 0
	;; [unrolled: 1-line block ×6, first 2 shown]
	buffer_store_dword v0, off, s[40:43], 0 offset:384 ; 4-byte Folded Spill
	s_nop 0
	buffer_store_dword v1, off, s[40:43], 0 offset:388 ; 4-byte Folded Spill
	buffer_store_dword v2, off, s[40:43], 0 offset:392 ; 4-byte Folded Spill
	buffer_store_dword v3, off, s[40:43], 0 offset:396 ; 4-byte Folded Spill
	buffer_store_dword v4, off, s[40:43], 0 offset:400 ; 4-byte Folded Spill
	buffer_store_dword v5, off, s[40:43], 0 offset:404 ; 4-byte Folded Spill
	buffer_store_dword v6, off, s[40:43], 0 offset:408 ; 4-byte Folded Spill
	buffer_store_dword v7, off, s[40:43], 0 offset:412 ; 4-byte Folded Spill
	buffer_store_dword v8, off, s[40:43], 0 offset:416 ; 4-byte Folded Spill
	buffer_store_dword v9, off, s[40:43], 0 offset:420 ; 4-byte Folded Spill
	buffer_store_dword v10, off, s[40:43], 0 offset:424 ; 4-byte Folded Spill
	buffer_store_dword v11, off, s[40:43], 0 offset:428 ; 4-byte Folded Spill
	buffer_store_dword v12, off, s[40:43], 0 offset:432 ; 4-byte Folded Spill
	buffer_store_dword v13, off, s[40:43], 0 offset:436 ; 4-byte Folded Spill
	buffer_store_dword v14, off, s[40:43], 0 offset:440 ; 4-byte Folded Spill
	buffer_store_dword v15, off, s[40:43], 0 offset:444 ; 4-byte Folded Spill
	buffer_store_dword v16, off, s[40:43], 0 offset:448 ; 4-byte Folded Spill
	buffer_store_dword v17, off, s[40:43], 0 offset:452 ; 4-byte Folded Spill
	buffer_store_dword v18, off, s[40:43], 0 offset:456 ; 4-byte Folded Spill
	buffer_store_dword v19, off, s[40:43], 0 offset:460 ; 4-byte Folded Spill
	buffer_store_dword v20, off, s[40:43], 0 offset:464 ; 4-byte Folded Spill
	buffer_store_dword v21, off, s[40:43], 0 offset:468 ; 4-byte Folded Spill
	buffer_store_dword v22, off, s[40:43], 0 offset:472 ; 4-byte Folded Spill
	buffer_store_dword v23, off, s[40:43], 0 offset:476 ; 4-byte Folded Spill
	buffer_store_dword v24, off, s[40:43], 0 offset:480 ; 4-byte Folded Spill
	buffer_store_dword v25, off, s[40:43], 0 offset:484 ; 4-byte Folded Spill
	buffer_store_dword v26, off, s[40:43], 0 offset:488 ; 4-byte Folded Spill
	buffer_store_dword v27, off, s[40:43], 0 offset:492 ; 4-byte Folded Spill
	buffer_store_dword v28, off, s[40:43], 0 offset:496 ; 4-byte Folded Spill
	buffer_store_dword v29, off, s[40:43], 0 offset:500 ; 4-byte Folded Spill
	buffer_store_dword v30, off, s[40:43], 0 offset:504 ; 4-byte Folded Spill
	buffer_store_dword v31, off, s[40:43], 0 offset:508 ; 4-byte Folded Spill
	v_mov_b32_e32 v25, 0
	v_mov_b32_e32 v24, 0
	buffer_store_dword v0, off, s[40:43], 0 offset:640 ; 4-byte Folded Spill
	s_nop 0
	buffer_store_dword v1, off, s[40:43], 0 offset:644 ; 4-byte Folded Spill
	buffer_store_dword v2, off, s[40:43], 0 offset:648 ; 4-byte Folded Spill
	buffer_store_dword v3, off, s[40:43], 0 offset:652 ; 4-byte Folded Spill
	buffer_store_dword v4, off, s[40:43], 0 offset:656 ; 4-byte Folded Spill
	buffer_store_dword v5, off, s[40:43], 0 offset:660 ; 4-byte Folded Spill
	buffer_store_dword v6, off, s[40:43], 0 offset:664 ; 4-byte Folded Spill
	buffer_store_dword v7, off, s[40:43], 0 offset:668 ; 4-byte Folded Spill
	buffer_store_dword v8, off, s[40:43], 0 offset:672 ; 4-byte Folded Spill
	buffer_store_dword v9, off, s[40:43], 0 offset:676 ; 4-byte Folded Spill
	buffer_store_dword v10, off, s[40:43], 0 offset:680 ; 4-byte Folded Spill
	buffer_store_dword v11, off, s[40:43], 0 offset:684 ; 4-byte Folded Spill
	buffer_store_dword v12, off, s[40:43], 0 offset:688 ; 4-byte Folded Spill
	buffer_store_dword v13, off, s[40:43], 0 offset:692 ; 4-byte Folded Spill
	buffer_store_dword v14, off, s[40:43], 0 offset:696 ; 4-byte Folded Spill
	buffer_store_dword v15, off, s[40:43], 0 offset:700 ; 4-byte Folded Spill
	buffer_store_dword v16, off, s[40:43], 0 offset:704 ; 4-byte Folded Spill
	buffer_store_dword v17, off, s[40:43], 0 offset:708 ; 4-byte Folded Spill
	buffer_store_dword v18, off, s[40:43], 0 offset:712 ; 4-byte Folded Spill
	buffer_store_dword v19, off, s[40:43], 0 offset:716 ; 4-byte Folded Spill
	buffer_store_dword v20, off, s[40:43], 0 offset:720 ; 4-byte Folded Spill
	buffer_store_dword v21, off, s[40:43], 0 offset:724 ; 4-byte Folded Spill
	buffer_store_dword v22, off, s[40:43], 0 offset:728 ; 4-byte Folded Spill
	buffer_store_dword v23, off, s[40:43], 0 offset:732 ; 4-byte Folded Spill
	buffer_store_dword v24, off, s[40:43], 0 offset:736 ; 4-byte Folded Spill
	buffer_store_dword v25, off, s[40:43], 0 offset:740 ; 4-byte Folded Spill
	buffer_store_dword v26, off, s[40:43], 0 offset:744 ; 4-byte Folded Spill
	buffer_store_dword v27, off, s[40:43], 0 offset:748 ; 4-byte Folded Spill
	buffer_store_dword v28, off, s[40:43], 0 offset:752 ; 4-byte Folded Spill
	buffer_store_dword v29, off, s[40:43], 0 offset:756 ; 4-byte Folded Spill
	buffer_store_dword v30, off, s[40:43], 0 offset:760 ; 4-byte Folded Spill
	buffer_store_dword v31, off, s[40:43], 0 offset:764 ; 4-byte Folded Spill
	v_mov_b32_e32 v23, 0
	v_mov_b32_e32 v22, 0
	;; [unrolled: 35-line block ×11, first 2 shown]
	buffer_store_dword v0, off, s[40:43], 0 ; 4-byte Folded Spill
	s_nop 0
	buffer_store_dword v1, off, s[40:43], 0 offset:4 ; 4-byte Folded Spill
	buffer_store_dword v2, off, s[40:43], 0 offset:8 ; 4-byte Folded Spill
	;; [unrolled: 1-line block ×31, first 2 shown]
	v_mov_b32_e32 v3, 0
	v_mov_b32_e32 v2, 0
	buffer_store_dword v0, off, s[40:43], 0 offset:128 ; 4-byte Folded Spill
	s_nop 0
	buffer_store_dword v1, off, s[40:43], 0 offset:132 ; 4-byte Folded Spill
	buffer_store_dword v2, off, s[40:43], 0 offset:136 ; 4-byte Folded Spill
	;; [unrolled: 1-line block ×31, first 2 shown]
	s_and_saveexec_b64 s[2:3], s[0:1]
	s_cbranch_execz .LBB86_6
; %bb.5:
	s_waitcnt vmcnt(62)
	v_cvt_f32_u32_sdwa v2, v121 dst_sel:DWORD dst_unused:UNUSED_PAD src0_sel:WORD_0
	v_cvt_f32_u32_sdwa v3, v121 dst_sel:DWORD dst_unused:UNUSED_PAD src0_sel:WORD_1
	v_cvt_f32_u32_sdwa v34, v120 dst_sel:DWORD dst_unused:UNUSED_PAD src0_sel:WORD_0
	v_cvt_f32_u32_sdwa v35, v120 dst_sel:DWORD dst_unused:UNUSED_PAD src0_sel:WORD_1
	buffer_store_dword v0, off, s[40:43], 0 offset:128 ; 4-byte Folded Spill
	s_nop 0
	buffer_store_dword v1, off, s[40:43], 0 offset:132 ; 4-byte Folded Spill
	buffer_store_dword v2, off, s[40:43], 0 offset:136 ; 4-byte Folded Spill
	;; [unrolled: 1-line block ×31, first 2 shown]
	v_cvt_f32_u32_sdwa v4, v122 dst_sel:DWORD dst_unused:UNUSED_PAD src0_sel:WORD_0
	v_cvt_f32_u32_sdwa v5, v122 dst_sel:DWORD dst_unused:UNUSED_PAD src0_sel:WORD_1
	v_cvt_f32_u32_sdwa v70, v127 dst_sel:DWORD dst_unused:UNUSED_PAD src0_sel:WORD_0
	v_cvt_f32_u32_sdwa v71, v127 dst_sel:DWORD dst_unused:UNUSED_PAD src0_sel:WORD_1
	buffer_store_dword v0, off, s[40:43], 0 ; 4-byte Folded Spill
	s_nop 0
	buffer_store_dword v1, off, s[40:43], 0 offset:4 ; 4-byte Folded Spill
	buffer_store_dword v2, off, s[40:43], 0 offset:8 ; 4-byte Folded Spill
	buffer_store_dword v3, off, s[40:43], 0 offset:12 ; 4-byte Folded Spill
	buffer_store_dword v4, off, s[40:43], 0 offset:16 ; 4-byte Folded Spill
	buffer_store_dword v5, off, s[40:43], 0 offset:20 ; 4-byte Folded Spill
	buffer_store_dword v6, off, s[40:43], 0 offset:24 ; 4-byte Folded Spill
	buffer_store_dword v7, off, s[40:43], 0 offset:28 ; 4-byte Folded Spill
	buffer_store_dword v8, off, s[40:43], 0 offset:32 ; 4-byte Folded Spill
	buffer_store_dword v9, off, s[40:43], 0 offset:36 ; 4-byte Folded Spill
	buffer_store_dword v10, off, s[40:43], 0 offset:40 ; 4-byte Folded Spill
	buffer_store_dword v11, off, s[40:43], 0 offset:44 ; 4-byte Folded Spill
	buffer_store_dword v12, off, s[40:43], 0 offset:48 ; 4-byte Folded Spill
	buffer_store_dword v13, off, s[40:43], 0 offset:52 ; 4-byte Folded Spill
	buffer_store_dword v14, off, s[40:43], 0 offset:56 ; 4-byte Folded Spill
	buffer_store_dword v15, off, s[40:43], 0 offset:60 ; 4-byte Folded Spill
	buffer_store_dword v16, off, s[40:43], 0 offset:64 ; 4-byte Folded Spill
	buffer_store_dword v17, off, s[40:43], 0 offset:68 ; 4-byte Folded Spill
	buffer_store_dword v18, off, s[40:43], 0 offset:72 ; 4-byte Folded Spill
	buffer_store_dword v19, off, s[40:43], 0 offset:76 ; 4-byte Folded Spill
	buffer_store_dword v20, off, s[40:43], 0 offset:80 ; 4-byte Folded Spill
	buffer_store_dword v21, off, s[40:43], 0 offset:84 ; 4-byte Folded Spill
	buffer_store_dword v22, off, s[40:43], 0 offset:88 ; 4-byte Folded Spill
	buffer_store_dword v23, off, s[40:43], 0 offset:92 ; 4-byte Folded Spill
	buffer_store_dword v24, off, s[40:43], 0 offset:96 ; 4-byte Folded Spill
	buffer_store_dword v25, off, s[40:43], 0 offset:100 ; 4-byte Folded Spill
	buffer_store_dword v26, off, s[40:43], 0 offset:104 ; 4-byte Folded Spill
	buffer_store_dword v27, off, s[40:43], 0 offset:108 ; 4-byte Folded Spill
	buffer_store_dword v28, off, s[40:43], 0 offset:112 ; 4-byte Folded Spill
	buffer_store_dword v29, off, s[40:43], 0 offset:116 ; 4-byte Folded Spill
	buffer_store_dword v30, off, s[40:43], 0 offset:120 ; 4-byte Folded Spill
	buffer_store_dword v31, off, s[40:43], 0 offset:124 ; 4-byte Folded Spill
	v_cvt_f32_u32_sdwa v6, v123 dst_sel:DWORD dst_unused:UNUSED_PAD src0_sel:WORD_0
	v_cvt_f32_u32_sdwa v7, v123 dst_sel:DWORD dst_unused:UNUSED_PAD src0_sel:WORD_1
	buffer_store_dword v0, off, s[40:43], 0 offset:1664 ; 4-byte Folded Spill
	s_nop 0
	buffer_store_dword v1, off, s[40:43], 0 offset:1668 ; 4-byte Folded Spill
	buffer_store_dword v2, off, s[40:43], 0 offset:1672 ; 4-byte Folded Spill
	buffer_store_dword v3, off, s[40:43], 0 offset:1676 ; 4-byte Folded Spill
	buffer_store_dword v4, off, s[40:43], 0 offset:1680 ; 4-byte Folded Spill
	buffer_store_dword v5, off, s[40:43], 0 offset:1684 ; 4-byte Folded Spill
	buffer_store_dword v6, off, s[40:43], 0 offset:1688 ; 4-byte Folded Spill
	buffer_store_dword v7, off, s[40:43], 0 offset:1692 ; 4-byte Folded Spill
	buffer_store_dword v8, off, s[40:43], 0 offset:1696 ; 4-byte Folded Spill
	buffer_store_dword v9, off, s[40:43], 0 offset:1700 ; 4-byte Folded Spill
	buffer_store_dword v10, off, s[40:43], 0 offset:1704 ; 4-byte Folded Spill
	buffer_store_dword v11, off, s[40:43], 0 offset:1708 ; 4-byte Folded Spill
	buffer_store_dword v12, off, s[40:43], 0 offset:1712 ; 4-byte Folded Spill
	buffer_store_dword v13, off, s[40:43], 0 offset:1716 ; 4-byte Folded Spill
	buffer_store_dword v14, off, s[40:43], 0 offset:1720 ; 4-byte Folded Spill
	buffer_store_dword v15, off, s[40:43], 0 offset:1724 ; 4-byte Folded Spill
	buffer_store_dword v16, off, s[40:43], 0 offset:1728 ; 4-byte Folded Spill
	buffer_store_dword v17, off, s[40:43], 0 offset:1732 ; 4-byte Folded Spill
	buffer_store_dword v18, off, s[40:43], 0 offset:1736 ; 4-byte Folded Spill
	buffer_store_dword v19, off, s[40:43], 0 offset:1740 ; 4-byte Folded Spill
	buffer_store_dword v20, off, s[40:43], 0 offset:1744 ; 4-byte Folded Spill
	buffer_store_dword v21, off, s[40:43], 0 offset:1748 ; 4-byte Folded Spill
	buffer_store_dword v22, off, s[40:43], 0 offset:1752 ; 4-byte Folded Spill
	buffer_store_dword v23, off, s[40:43], 0 offset:1756 ; 4-byte Folded Spill
	buffer_store_dword v24, off, s[40:43], 0 offset:1760 ; 4-byte Folded Spill
	buffer_store_dword v25, off, s[40:43], 0 offset:1764 ; 4-byte Folded Spill
	buffer_store_dword v26, off, s[40:43], 0 offset:1768 ; 4-byte Folded Spill
	buffer_store_dword v27, off, s[40:43], 0 offset:1772 ; 4-byte Folded Spill
	buffer_store_dword v28, off, s[40:43], 0 offset:1776 ; 4-byte Folded Spill
	buffer_store_dword v29, off, s[40:43], 0 offset:1780 ; 4-byte Folded Spill
	buffer_store_dword v30, off, s[40:43], 0 offset:1784 ; 4-byte Folded Spill
	buffer_store_dword v31, off, s[40:43], 0 offset:1788 ; 4-byte Folded Spill
	v_cvt_f32_u32_sdwa v8, v66 dst_sel:DWORD dst_unused:UNUSED_PAD src0_sel:WORD_0
	v_cvt_f32_u32_sdwa v9, v66 dst_sel:DWORD dst_unused:UNUSED_PAD src0_sel:WORD_1
	buffer_store_dword v0, off, s[40:43], 0 offset:1536 ; 4-byte Folded Spill
	;; [unrolled: 35-line block ×12, first 2 shown]
	s_nop 0
	buffer_store_dword v1, off, s[40:43], 0 offset:260 ; 4-byte Folded Spill
	buffer_store_dword v2, off, s[40:43], 0 offset:264 ; 4-byte Folded Spill
	;; [unrolled: 1-line block ×31, first 2 shown]
.LBB86_6:
	s_or_b64 exec, exec, s[2:3]
	s_cbranch_execz .LBB86_8
	s_branch .LBB86_11
.LBB86_7:
                                        ; implicit-def: $vgpr2_vgpr3_vgpr4_vgpr5_vgpr6_vgpr7_vgpr8_vgpr9_vgpr10_vgpr11_vgpr12_vgpr13_vgpr14_vgpr15_vgpr16_vgpr17_vgpr18_vgpr19_vgpr20_vgpr21_vgpr22_vgpr23_vgpr24_vgpr25_vgpr26_vgpr27_vgpr28_vgpr29_vgpr30_vgpr31_vgpr32_vgpr33
                                        ; kill: killed $vgpr2_vgpr3_vgpr4_vgpr5_vgpr6_vgpr7_vgpr8_vgpr9_vgpr10_vgpr11_vgpr12_vgpr13_vgpr14_vgpr15_vgpr16_vgpr17_vgpr18_vgpr19_vgpr20_vgpr21_vgpr22_vgpr23_vgpr24_vgpr25_vgpr26_vgpr27_vgpr28_vgpr29_vgpr30_vgpr31_vgpr32_vgpr33
                                        ; implicit-def: $vgpr2_vgpr3_vgpr4_vgpr5_vgpr6_vgpr7_vgpr8_vgpr9_vgpr10_vgpr11_vgpr12_vgpr13_vgpr14_vgpr15_vgpr16_vgpr17_vgpr18_vgpr19_vgpr20_vgpr21_vgpr22_vgpr23_vgpr24_vgpr25_vgpr26_vgpr27_vgpr28_vgpr29_vgpr30_vgpr31_vgpr32_vgpr33
                                        ; kill: killed $vgpr2_vgpr3_vgpr4_vgpr5_vgpr6_vgpr7_vgpr8_vgpr9_vgpr10_vgpr11_vgpr12_vgpr13_vgpr14_vgpr15_vgpr16_vgpr17_vgpr18_vgpr19_vgpr20_vgpr21_vgpr22_vgpr23_vgpr24_vgpr25_vgpr26_vgpr27_vgpr28_vgpr29_vgpr30_vgpr31_vgpr32_vgpr33
                                        ; implicit-def: $vgpr71
                                        ; implicit-def: $vgpr34_vgpr35_vgpr36_vgpr37_vgpr38_vgpr39_vgpr40_vgpr41_vgpr42_vgpr43_vgpr44_vgpr45_vgpr46_vgpr47_vgpr48_vgpr49_vgpr50_vgpr51_vgpr52_vgpr53_vgpr54_vgpr55_vgpr56_vgpr57_vgpr58_vgpr59_vgpr60_vgpr61_vgpr62_vgpr63_vgpr64_vgpr65
                                        ; implicit-def: $vgpr2_vgpr3_vgpr4_vgpr5_vgpr6_vgpr7_vgpr8_vgpr9_vgpr10_vgpr11_vgpr12_vgpr13_vgpr14_vgpr15_vgpr16_vgpr17_vgpr18_vgpr19_vgpr20_vgpr21_vgpr22_vgpr23_vgpr24_vgpr25_vgpr26_vgpr27_vgpr28_vgpr29_vgpr30_vgpr31_vgpr32_vgpr33
                                        ; kill: killed $vgpr2_vgpr3_vgpr4_vgpr5_vgpr6_vgpr7_vgpr8_vgpr9_vgpr10_vgpr11_vgpr12_vgpr13_vgpr14_vgpr15_vgpr16_vgpr17_vgpr18_vgpr19_vgpr20_vgpr21_vgpr22_vgpr23_vgpr24_vgpr25_vgpr26_vgpr27_vgpr28_vgpr29_vgpr30_vgpr31_vgpr32_vgpr33
                                        ; implicit-def: $vgpr2_vgpr3_vgpr4_vgpr5_vgpr6_vgpr7_vgpr8_vgpr9_vgpr10_vgpr11_vgpr12_vgpr13_vgpr14_vgpr15_vgpr16_vgpr17_vgpr18_vgpr19_vgpr20_vgpr21_vgpr22_vgpr23_vgpr24_vgpr25_vgpr26_vgpr27_vgpr28_vgpr29_vgpr30_vgpr31_vgpr32_vgpr33
                                        ; kill: killed $vgpr2_vgpr3_vgpr4_vgpr5_vgpr6_vgpr7_vgpr8_vgpr9_vgpr10_vgpr11_vgpr12_vgpr13_vgpr14_vgpr15_vgpr16_vgpr17_vgpr18_vgpr19_vgpr20_vgpr21_vgpr22_vgpr23_vgpr24_vgpr25_vgpr26_vgpr27_vgpr28_vgpr29_vgpr30_vgpr31_vgpr32_vgpr33
                                        ; implicit-def: $vgpr2_vgpr3_vgpr4_vgpr5_vgpr6_vgpr7_vgpr8_vgpr9_vgpr10_vgpr11_vgpr12_vgpr13_vgpr14_vgpr15_vgpr16_vgpr17_vgpr18_vgpr19_vgpr20_vgpr21_vgpr22_vgpr23_vgpr24_vgpr25_vgpr26_vgpr27_vgpr28_vgpr29_vgpr30_vgpr31_vgpr32_vgpr33
                                        ; kill: killed $vgpr2_vgpr3_vgpr4_vgpr5_vgpr6_vgpr7_vgpr8_vgpr9_vgpr10_vgpr11_vgpr12_vgpr13_vgpr14_vgpr15_vgpr16_vgpr17_vgpr18_vgpr19_vgpr20_vgpr21_vgpr22_vgpr23_vgpr24_vgpr25_vgpr26_vgpr27_vgpr28_vgpr29_vgpr30_vgpr31_vgpr32_vgpr33
                                        ; implicit-def: $vgpr2_vgpr3_vgpr4_vgpr5_vgpr6_vgpr7_vgpr8_vgpr9_vgpr10_vgpr11_vgpr12_vgpr13_vgpr14_vgpr15_vgpr16_vgpr17_vgpr18_vgpr19_vgpr20_vgpr21_vgpr22_vgpr23_vgpr24_vgpr25_vgpr26_vgpr27_vgpr28_vgpr29_vgpr30_vgpr31_vgpr32_vgpr33
                                        ; kill: killed $vgpr2_vgpr3_vgpr4_vgpr5_vgpr6_vgpr7_vgpr8_vgpr9_vgpr10_vgpr11_vgpr12_vgpr13_vgpr14_vgpr15_vgpr16_vgpr17_vgpr18_vgpr19_vgpr20_vgpr21_vgpr22_vgpr23_vgpr24_vgpr25_vgpr26_vgpr27_vgpr28_vgpr29_vgpr30_vgpr31_vgpr32_vgpr33
                                        ; implicit-def: $vgpr2_vgpr3_vgpr4_vgpr5_vgpr6_vgpr7_vgpr8_vgpr9_vgpr10_vgpr11_vgpr12_vgpr13_vgpr14_vgpr15_vgpr16_vgpr17_vgpr18_vgpr19_vgpr20_vgpr21_vgpr22_vgpr23_vgpr24_vgpr25_vgpr26_vgpr27_vgpr28_vgpr29_vgpr30_vgpr31_vgpr32_vgpr33
                                        ; kill: killed $vgpr2_vgpr3_vgpr4_vgpr5_vgpr6_vgpr7_vgpr8_vgpr9_vgpr10_vgpr11_vgpr12_vgpr13_vgpr14_vgpr15_vgpr16_vgpr17_vgpr18_vgpr19_vgpr20_vgpr21_vgpr22_vgpr23_vgpr24_vgpr25_vgpr26_vgpr27_vgpr28_vgpr29_vgpr30_vgpr31_vgpr32_vgpr33
                                        ; implicit-def: $vgpr2_vgpr3_vgpr4_vgpr5_vgpr6_vgpr7_vgpr8_vgpr9_vgpr10_vgpr11_vgpr12_vgpr13_vgpr14_vgpr15_vgpr16_vgpr17_vgpr18_vgpr19_vgpr20_vgpr21_vgpr22_vgpr23_vgpr24_vgpr25_vgpr26_vgpr27_vgpr28_vgpr29_vgpr30_vgpr31_vgpr32_vgpr33
                                        ; kill: killed $vgpr2_vgpr3_vgpr4_vgpr5_vgpr6_vgpr7_vgpr8_vgpr9_vgpr10_vgpr11_vgpr12_vgpr13_vgpr14_vgpr15_vgpr16_vgpr17_vgpr18_vgpr19_vgpr20_vgpr21_vgpr22_vgpr23_vgpr24_vgpr25_vgpr26_vgpr27_vgpr28_vgpr29_vgpr30_vgpr31_vgpr32_vgpr33
                                        ; implicit-def: $vgpr2_vgpr3_vgpr4_vgpr5_vgpr6_vgpr7_vgpr8_vgpr9_vgpr10_vgpr11_vgpr12_vgpr13_vgpr14_vgpr15_vgpr16_vgpr17_vgpr18_vgpr19_vgpr20_vgpr21_vgpr22_vgpr23_vgpr24_vgpr25_vgpr26_vgpr27_vgpr28_vgpr29_vgpr30_vgpr31_vgpr32_vgpr33
                                        ; kill: killed $vgpr2_vgpr3_vgpr4_vgpr5_vgpr6_vgpr7_vgpr8_vgpr9_vgpr10_vgpr11_vgpr12_vgpr13_vgpr14_vgpr15_vgpr16_vgpr17_vgpr18_vgpr19_vgpr20_vgpr21_vgpr22_vgpr23_vgpr24_vgpr25_vgpr26_vgpr27_vgpr28_vgpr29_vgpr30_vgpr31_vgpr32_vgpr33
                                        ; implicit-def: $vgpr2_vgpr3_vgpr4_vgpr5_vgpr6_vgpr7_vgpr8_vgpr9_vgpr10_vgpr11_vgpr12_vgpr13_vgpr14_vgpr15_vgpr16_vgpr17_vgpr18_vgpr19_vgpr20_vgpr21_vgpr22_vgpr23_vgpr24_vgpr25_vgpr26_vgpr27_vgpr28_vgpr29_vgpr30_vgpr31_vgpr32_vgpr33
                                        ; kill: killed $vgpr2_vgpr3_vgpr4_vgpr5_vgpr6_vgpr7_vgpr8_vgpr9_vgpr10_vgpr11_vgpr12_vgpr13_vgpr14_vgpr15_vgpr16_vgpr17_vgpr18_vgpr19_vgpr20_vgpr21_vgpr22_vgpr23_vgpr24_vgpr25_vgpr26_vgpr27_vgpr28_vgpr29_vgpr30_vgpr31_vgpr32_vgpr33
                                        ; implicit-def: $vgpr2_vgpr3_vgpr4_vgpr5_vgpr6_vgpr7_vgpr8_vgpr9_vgpr10_vgpr11_vgpr12_vgpr13_vgpr14_vgpr15_vgpr16_vgpr17_vgpr18_vgpr19_vgpr20_vgpr21_vgpr22_vgpr23_vgpr24_vgpr25_vgpr26_vgpr27_vgpr28_vgpr29_vgpr30_vgpr31_vgpr32_vgpr33
                                        ; kill: killed $vgpr2_vgpr3_vgpr4_vgpr5_vgpr6_vgpr7_vgpr8_vgpr9_vgpr10_vgpr11_vgpr12_vgpr13_vgpr14_vgpr15_vgpr16_vgpr17_vgpr18_vgpr19_vgpr20_vgpr21_vgpr22_vgpr23_vgpr24_vgpr25_vgpr26_vgpr27_vgpr28_vgpr29_vgpr30_vgpr31_vgpr32_vgpr33
                                        ; implicit-def: $vgpr2_vgpr3_vgpr4_vgpr5_vgpr6_vgpr7_vgpr8_vgpr9_vgpr10_vgpr11_vgpr12_vgpr13_vgpr14_vgpr15_vgpr16_vgpr17_vgpr18_vgpr19_vgpr20_vgpr21_vgpr22_vgpr23_vgpr24_vgpr25_vgpr26_vgpr27_vgpr28_vgpr29_vgpr30_vgpr31_vgpr32_vgpr33
                                        ; kill: killed $vgpr2_vgpr3_vgpr4_vgpr5_vgpr6_vgpr7_vgpr8_vgpr9_vgpr10_vgpr11_vgpr12_vgpr13_vgpr14_vgpr15_vgpr16_vgpr17_vgpr18_vgpr19_vgpr20_vgpr21_vgpr22_vgpr23_vgpr24_vgpr25_vgpr26_vgpr27_vgpr28_vgpr29_vgpr30_vgpr31_vgpr32_vgpr33
                                        ; implicit-def: $vgpr2_vgpr3_vgpr4_vgpr5_vgpr6_vgpr7_vgpr8_vgpr9_vgpr10_vgpr11_vgpr12_vgpr13_vgpr14_vgpr15_vgpr16_vgpr17_vgpr18_vgpr19_vgpr20_vgpr21_vgpr22_vgpr23_vgpr24_vgpr25_vgpr26_vgpr27_vgpr28_vgpr29_vgpr30_vgpr31_vgpr32_vgpr33
                                        ; kill: killed $vgpr2_vgpr3_vgpr4_vgpr5_vgpr6_vgpr7_vgpr8_vgpr9_vgpr10_vgpr11_vgpr12_vgpr13_vgpr14_vgpr15_vgpr16_vgpr17_vgpr18_vgpr19_vgpr20_vgpr21_vgpr22_vgpr23_vgpr24_vgpr25_vgpr26_vgpr27_vgpr28_vgpr29_vgpr30_vgpr31_vgpr32_vgpr33
                                        ; implicit-def: $vgpr2_vgpr3_vgpr4_vgpr5_vgpr6_vgpr7_vgpr8_vgpr9_vgpr10_vgpr11_vgpr12_vgpr13_vgpr14_vgpr15_vgpr16_vgpr17_vgpr18_vgpr19_vgpr20_vgpr21_vgpr22_vgpr23_vgpr24_vgpr25_vgpr26_vgpr27_vgpr28_vgpr29_vgpr30_vgpr31_vgpr32_vgpr33
                                        ; kill: killed $vgpr2_vgpr3_vgpr4_vgpr5_vgpr6_vgpr7_vgpr8_vgpr9_vgpr10_vgpr11_vgpr12_vgpr13_vgpr14_vgpr15_vgpr16_vgpr17_vgpr18_vgpr19_vgpr20_vgpr21_vgpr22_vgpr23_vgpr24_vgpr25_vgpr26_vgpr27_vgpr28_vgpr29_vgpr30_vgpr31_vgpr32_vgpr33
.LBB86_8:
	v_mov_b32_e32 v29, 0
	v_mov_b32_e32 v28, 0
	buffer_store_dword v0, off, s[40:43], 0 offset:256 ; 4-byte Folded Spill
	s_nop 0
	buffer_store_dword v1, off, s[40:43], 0 offset:260 ; 4-byte Folded Spill
	buffer_store_dword v2, off, s[40:43], 0 offset:264 ; 4-byte Folded Spill
	;; [unrolled: 1-line block ×31, first 2 shown]
	v_mov_b32_e32 v27, 0
	v_mov_b32_e32 v26, 0
	;; [unrolled: 1-line block ×6, first 2 shown]
	buffer_store_dword v0, off, s[40:43], 0 offset:384 ; 4-byte Folded Spill
	s_nop 0
	buffer_store_dword v1, off, s[40:43], 0 offset:388 ; 4-byte Folded Spill
	buffer_store_dword v2, off, s[40:43], 0 offset:392 ; 4-byte Folded Spill
	buffer_store_dword v3, off, s[40:43], 0 offset:396 ; 4-byte Folded Spill
	buffer_store_dword v4, off, s[40:43], 0 offset:400 ; 4-byte Folded Spill
	buffer_store_dword v5, off, s[40:43], 0 offset:404 ; 4-byte Folded Spill
	buffer_store_dword v6, off, s[40:43], 0 offset:408 ; 4-byte Folded Spill
	buffer_store_dword v7, off, s[40:43], 0 offset:412 ; 4-byte Folded Spill
	buffer_store_dword v8, off, s[40:43], 0 offset:416 ; 4-byte Folded Spill
	buffer_store_dword v9, off, s[40:43], 0 offset:420 ; 4-byte Folded Spill
	buffer_store_dword v10, off, s[40:43], 0 offset:424 ; 4-byte Folded Spill
	buffer_store_dword v11, off, s[40:43], 0 offset:428 ; 4-byte Folded Spill
	buffer_store_dword v12, off, s[40:43], 0 offset:432 ; 4-byte Folded Spill
	buffer_store_dword v13, off, s[40:43], 0 offset:436 ; 4-byte Folded Spill
	buffer_store_dword v14, off, s[40:43], 0 offset:440 ; 4-byte Folded Spill
	buffer_store_dword v15, off, s[40:43], 0 offset:444 ; 4-byte Folded Spill
	buffer_store_dword v16, off, s[40:43], 0 offset:448 ; 4-byte Folded Spill
	buffer_store_dword v17, off, s[40:43], 0 offset:452 ; 4-byte Folded Spill
	buffer_store_dword v18, off, s[40:43], 0 offset:456 ; 4-byte Folded Spill
	buffer_store_dword v19, off, s[40:43], 0 offset:460 ; 4-byte Folded Spill
	buffer_store_dword v20, off, s[40:43], 0 offset:464 ; 4-byte Folded Spill
	buffer_store_dword v21, off, s[40:43], 0 offset:468 ; 4-byte Folded Spill
	buffer_store_dword v22, off, s[40:43], 0 offset:472 ; 4-byte Folded Spill
	buffer_store_dword v23, off, s[40:43], 0 offset:476 ; 4-byte Folded Spill
	buffer_store_dword v24, off, s[40:43], 0 offset:480 ; 4-byte Folded Spill
	buffer_store_dword v25, off, s[40:43], 0 offset:484 ; 4-byte Folded Spill
	buffer_store_dword v26, off, s[40:43], 0 offset:488 ; 4-byte Folded Spill
	buffer_store_dword v27, off, s[40:43], 0 offset:492 ; 4-byte Folded Spill
	buffer_store_dword v28, off, s[40:43], 0 offset:496 ; 4-byte Folded Spill
	buffer_store_dword v29, off, s[40:43], 0 offset:500 ; 4-byte Folded Spill
	buffer_store_dword v30, off, s[40:43], 0 offset:504 ; 4-byte Folded Spill
	buffer_store_dword v31, off, s[40:43], 0 offset:508 ; 4-byte Folded Spill
	v_mov_b32_e32 v25, 0
	v_mov_b32_e32 v24, 0
	buffer_store_dword v0, off, s[40:43], 0 offset:640 ; 4-byte Folded Spill
	s_nop 0
	buffer_store_dword v1, off, s[40:43], 0 offset:644 ; 4-byte Folded Spill
	buffer_store_dword v2, off, s[40:43], 0 offset:648 ; 4-byte Folded Spill
	buffer_store_dword v3, off, s[40:43], 0 offset:652 ; 4-byte Folded Spill
	buffer_store_dword v4, off, s[40:43], 0 offset:656 ; 4-byte Folded Spill
	buffer_store_dword v5, off, s[40:43], 0 offset:660 ; 4-byte Folded Spill
	buffer_store_dword v6, off, s[40:43], 0 offset:664 ; 4-byte Folded Spill
	buffer_store_dword v7, off, s[40:43], 0 offset:668 ; 4-byte Folded Spill
	buffer_store_dword v8, off, s[40:43], 0 offset:672 ; 4-byte Folded Spill
	buffer_store_dword v9, off, s[40:43], 0 offset:676 ; 4-byte Folded Spill
	buffer_store_dword v10, off, s[40:43], 0 offset:680 ; 4-byte Folded Spill
	buffer_store_dword v11, off, s[40:43], 0 offset:684 ; 4-byte Folded Spill
	buffer_store_dword v12, off, s[40:43], 0 offset:688 ; 4-byte Folded Spill
	buffer_store_dword v13, off, s[40:43], 0 offset:692 ; 4-byte Folded Spill
	buffer_store_dword v14, off, s[40:43], 0 offset:696 ; 4-byte Folded Spill
	buffer_store_dword v15, off, s[40:43], 0 offset:700 ; 4-byte Folded Spill
	buffer_store_dword v16, off, s[40:43], 0 offset:704 ; 4-byte Folded Spill
	buffer_store_dword v17, off, s[40:43], 0 offset:708 ; 4-byte Folded Spill
	buffer_store_dword v18, off, s[40:43], 0 offset:712 ; 4-byte Folded Spill
	buffer_store_dword v19, off, s[40:43], 0 offset:716 ; 4-byte Folded Spill
	buffer_store_dword v20, off, s[40:43], 0 offset:720 ; 4-byte Folded Spill
	buffer_store_dword v21, off, s[40:43], 0 offset:724 ; 4-byte Folded Spill
	buffer_store_dword v22, off, s[40:43], 0 offset:728 ; 4-byte Folded Spill
	buffer_store_dword v23, off, s[40:43], 0 offset:732 ; 4-byte Folded Spill
	buffer_store_dword v24, off, s[40:43], 0 offset:736 ; 4-byte Folded Spill
	buffer_store_dword v25, off, s[40:43], 0 offset:740 ; 4-byte Folded Spill
	buffer_store_dword v26, off, s[40:43], 0 offset:744 ; 4-byte Folded Spill
	buffer_store_dword v27, off, s[40:43], 0 offset:748 ; 4-byte Folded Spill
	buffer_store_dword v28, off, s[40:43], 0 offset:752 ; 4-byte Folded Spill
	buffer_store_dword v29, off, s[40:43], 0 offset:756 ; 4-byte Folded Spill
	buffer_store_dword v30, off, s[40:43], 0 offset:760 ; 4-byte Folded Spill
	buffer_store_dword v31, off, s[40:43], 0 offset:764 ; 4-byte Folded Spill
	v_mov_b32_e32 v23, 0
	v_mov_b32_e32 v22, 0
	;; [unrolled: 35-line block ×11, first 2 shown]
	buffer_store_dword v0, off, s[40:43], 0 ; 4-byte Folded Spill
	s_nop 0
	buffer_store_dword v1, off, s[40:43], 0 offset:4 ; 4-byte Folded Spill
	buffer_store_dword v2, off, s[40:43], 0 offset:8 ; 4-byte Folded Spill
	;; [unrolled: 1-line block ×31, first 2 shown]
	v_mov_b32_e32 v3, 0
	v_mov_b32_e32 v2, 0
	buffer_store_dword v0, off, s[40:43], 0 offset:128 ; 4-byte Folded Spill
	s_nop 0
	buffer_store_dword v1, off, s[40:43], 0 offset:132 ; 4-byte Folded Spill
	buffer_store_dword v2, off, s[40:43], 0 offset:136 ; 4-byte Folded Spill
	buffer_store_dword v3, off, s[40:43], 0 offset:140 ; 4-byte Folded Spill
	buffer_store_dword v4, off, s[40:43], 0 offset:144 ; 4-byte Folded Spill
	buffer_store_dword v5, off, s[40:43], 0 offset:148 ; 4-byte Folded Spill
	buffer_store_dword v6, off, s[40:43], 0 offset:152 ; 4-byte Folded Spill
	buffer_store_dword v7, off, s[40:43], 0 offset:156 ; 4-byte Folded Spill
	buffer_store_dword v8, off, s[40:43], 0 offset:160 ; 4-byte Folded Spill
	buffer_store_dword v9, off, s[40:43], 0 offset:164 ; 4-byte Folded Spill
	buffer_store_dword v10, off, s[40:43], 0 offset:168 ; 4-byte Folded Spill
	buffer_store_dword v11, off, s[40:43], 0 offset:172 ; 4-byte Folded Spill
	buffer_store_dword v12, off, s[40:43], 0 offset:176 ; 4-byte Folded Spill
	buffer_store_dword v13, off, s[40:43], 0 offset:180 ; 4-byte Folded Spill
	buffer_store_dword v14, off, s[40:43], 0 offset:184 ; 4-byte Folded Spill
	buffer_store_dword v15, off, s[40:43], 0 offset:188 ; 4-byte Folded Spill
	buffer_store_dword v16, off, s[40:43], 0 offset:192 ; 4-byte Folded Spill
	buffer_store_dword v17, off, s[40:43], 0 offset:196 ; 4-byte Folded Spill
	buffer_store_dword v18, off, s[40:43], 0 offset:200 ; 4-byte Folded Spill
	buffer_store_dword v19, off, s[40:43], 0 offset:204 ; 4-byte Folded Spill
	buffer_store_dword v20, off, s[40:43], 0 offset:208 ; 4-byte Folded Spill
	buffer_store_dword v21, off, s[40:43], 0 offset:212 ; 4-byte Folded Spill
	buffer_store_dword v22, off, s[40:43], 0 offset:216 ; 4-byte Folded Spill
	buffer_store_dword v23, off, s[40:43], 0 offset:220 ; 4-byte Folded Spill
	buffer_store_dword v24, off, s[40:43], 0 offset:224 ; 4-byte Folded Spill
	buffer_store_dword v25, off, s[40:43], 0 offset:228 ; 4-byte Folded Spill
	buffer_store_dword v26, off, s[40:43], 0 offset:232 ; 4-byte Folded Spill
	buffer_store_dword v27, off, s[40:43], 0 offset:236 ; 4-byte Folded Spill
	buffer_store_dword v28, off, s[40:43], 0 offset:240 ; 4-byte Folded Spill
	buffer_store_dword v29, off, s[40:43], 0 offset:244 ; 4-byte Folded Spill
	buffer_store_dword v30, off, s[40:43], 0 offset:248 ; 4-byte Folded Spill
	buffer_store_dword v31, off, s[40:43], 0 offset:252 ; 4-byte Folded Spill
	s_and_saveexec_b64 s[2:3], s[0:1]
	s_cbranch_execz .LBB86_10
; %bb.9:
	s_load_dwordx2 s[36:37], s[4:5], 0x38
	s_load_dwordx2 s[34:35], s[4:5], 0x20
	s_mul_hi_i32 s25, s19, s6
	s_mul_i32 s24, s19, s6
	s_lshl_b64 s[24:25], s[24:25], 1
	s_waitcnt lgkmcnt(0)
	s_add_u32 s24, s36, s24
	s_addc_u32 s14, s37, s25
	s_mov_b32 s27, 0x20000
	s_and_b32 s25, s14, 0xffff
	v_lshlrev_b32_e32 v44, 1, v1
	s_movk_i32 s19, 0x400
	s_movk_i32 s17, 0x800
	;; [unrolled: 1-line block ×3, first 2 shown]
	buffer_load_dwordx4 v[14:17], v44, s[24:27], s19 offen glc slc
	buffer_load_dwordx4 v[10:13], v44, s[24:27], s17 offen glc slc
	;; [unrolled: 1-line block ×4, first 2 shown]
	s_waitcnt vmcnt(62)
	v_cvt_f32_u32_sdwa v19, v66 dst_sel:DWORD dst_unused:UNUSED_PAD src0_sel:WORD_1
	v_cvt_f32_u32_sdwa v18, v66 dst_sel:DWORD dst_unused:UNUSED_PAD src0_sel:WORD_0
	v_cvt_f32_u32_sdwa v21, v67 dst_sel:DWORD dst_unused:UNUSED_PAD src0_sel:WORD_1
	v_cvt_f32_u32_sdwa v20, v67 dst_sel:DWORD dst_unused:UNUSED_PAD src0_sel:WORD_0
	;; [unrolled: 2-line block ×11, first 2 shown]
	s_mul_hi_i32 s25, s29, s6
	s_mul_i32 s24, s29, s6
	s_mov_b32 s29, 0x7060302
	v_cvt_f32_u32_sdwa v35, v120 dst_sel:DWORD dst_unused:UNUSED_PAD src0_sel:WORD_1
	v_cvt_f32_u32_sdwa v34, v120 dst_sel:DWORD dst_unused:UNUSED_PAD src0_sel:WORD_0
	v_cvt_f32_u32_sdwa v39, v101 dst_sel:DWORD dst_unused:UNUSED_PAD src0_sel:WORD_1
	v_cvt_f32_u32_sdwa v38, v101 dst_sel:DWORD dst_unused:UNUSED_PAD src0_sel:WORD_0
	;; [unrolled: 2-line block ×4, first 2 shown]
	v_cvt_f32_u32_sdwa v42, v127 dst_sel:DWORD dst_unused:UNUSED_PAD src0_sel:WORD_0
	v_cvt_f32_u32_sdwa v43, v127 dst_sel:DWORD dst_unused:UNUSED_PAD src0_sel:WORD_1
	s_lshl_b64 s[24:25], s[24:25], 1
	s_add_u32 s24, s34, s24
	s_addc_u32 s25, s35, s25
	s_and_b32 s25, s25, 0xffff
	s_waitcnt vmcnt(3)
	v_cvt_f32_u32_sdwa v53, v14 dst_sel:DWORD dst_unused:UNUSED_PAD src0_sel:WORD_1
	s_waitcnt vmcnt(1)
	v_cvt_f32_u32_sdwa v65, v8 dst_sel:DWORD dst_unused:UNUSED_PAD src0_sel:WORD_1
	v_cvt_f32_u32_sdwa v64, v8 dst_sel:DWORD dst_unused:UNUSED_PAD src0_sel:WORD_0
	v_cvt_f32_u32_sdwa v66, v9 dst_sel:DWORD dst_unused:UNUSED_PAD src0_sel:WORD_0
	v_cvt_f32_u32_sdwa v67, v9 dst_sel:DWORD dst_unused:UNUSED_PAD src0_sel:WORD_1
	s_waitcnt vmcnt(0)
	v_cvt_f32_u32_sdwa v9, v5 dst_sel:DWORD dst_unused:UNUSED_PAD src0_sel:WORD_1
	v_cvt_f32_u32_sdwa v8, v5 dst_sel:DWORD dst_unused:UNUSED_PAD src0_sel:WORD_0
	v_cvt_f32_u32_sdwa v52, v14 dst_sel:DWORD dst_unused:UNUSED_PAD src0_sel:WORD_0
	v_cvt_f32_u32_sdwa v55, v15 dst_sel:DWORD dst_unused:UNUSED_PAD src0_sel:WORD_1
	v_cvt_f32_u32_sdwa v54, v15 dst_sel:DWORD dst_unused:UNUSED_PAD src0_sel:WORD_0
	v_cvt_f32_u32_sdwa v57, v17 dst_sel:DWORD dst_unused:UNUSED_PAD src0_sel:WORD_1
	;; [unrolled: 2-line block ×6, first 2 shown]
	v_cvt_f32_u32_sdwa v68, v2 dst_sel:DWORD dst_unused:UNUSED_PAD src0_sel:WORD_0
	v_pk_add_f32 v[8:9], v[50:51], v[8:9]
	v_pk_mov_b32 v[50:51], v[8:9], v[8:9] op_sel:[0,1]
	buffer_store_dword v44, off, s[40:43], 0 offset:1664 ; 4-byte Folded Spill
	s_nop 0
	buffer_store_dword v45, off, s[40:43], 0 offset:1668 ; 4-byte Folded Spill
	buffer_store_dword v46, off, s[40:43], 0 offset:1672 ; 4-byte Folded Spill
	;; [unrolled: 1-line block ×31, first 2 shown]
	v_cvt_f32_u32_sdwa v5, v4 dst_sel:DWORD dst_unused:UNUSED_PAD src0_sel:WORD_1
	v_cvt_f32_u32_sdwa v4, v4 dst_sel:DWORD dst_unused:UNUSED_PAD src0_sel:WORD_0
	v_cvt_f32_u32_sdwa v15, v16 dst_sel:DWORD dst_unused:UNUSED_PAD src0_sel:WORD_1
	v_cvt_f32_u32_sdwa v14, v16 dst_sel:DWORD dst_unused:UNUSED_PAD src0_sel:WORD_0
	;; [unrolled: 2-line block ×6, first 2 shown]
	v_perm_b32 v9, v9, v8, s29
	v_pk_add_f32 v[4:5], v[48:49], v[4:5]
	v_pk_mov_b32 v[48:49], v[4:5], v[4:5] op_sel:[0,1]
	buffer_store_dword v44, off, s[40:43], 0 ; 4-byte Folded Spill
	s_nop 0
	buffer_store_dword v45, off, s[40:43], 0 offset:4 ; 4-byte Folded Spill
	buffer_store_dword v46, off, s[40:43], 0 offset:8 ; 4-byte Folded Spill
	;; [unrolled: 1-line block ×31, first 2 shown]
	v_perm_b32 v8, v5, v4, s29
	v_pk_add_f32 v[2:3], v[46:47], v[6:7]
	v_pk_mov_b32 v[4:5], v[2:3], v[2:3] op_sel:[0,1]
	buffer_store_dword v2, off, s[40:43], 0 offset:128 ; 4-byte Folded Spill
	s_nop 0
	buffer_store_dword v3, off, s[40:43], 0 offset:132 ; 4-byte Folded Spill
	buffer_store_dword v4, off, s[40:43], 0 offset:136 ; 4-byte Folded Spill
	;; [unrolled: 1-line block ×31, first 2 shown]
	v_pk_add_f32 v[34:35], v[34:35], v[68:69]
	v_perm_b32 v6, v35, v34, s29
	v_pk_add_f32 v[30:31], v[30:31], v[56:57]
	v_perm_b32 v7, v3, v2, s29
	v_pk_mov_b32 v[46:47], v[30:31], v[30:31] op_sel:[0,1]
	buffer_store_dwordx4 v[6:9], v44, s[24:27], 0 offen glc slc
	;;#ASMSTART
	s_nop 0
	;;#ASMEND
	buffer_store_dword v32, off, s[40:43], 0 offset:1024 ; 4-byte Folded Spill
	s_nop 0
	buffer_store_dword v33, off, s[40:43], 0 offset:1028 ; 4-byte Folded Spill
	buffer_store_dword v34, off, s[40:43], 0 offset:1032 ; 4-byte Folded Spill
	;; [unrolled: 1-line block ×31, first 2 shown]
	v_pk_add_f32 v[14:15], v[24:25], v[14:15]
	v_pk_mov_b32 v[24:25], v[14:15], v[14:15] op_sel:[0,1]
	v_perm_b32 v9, v31, v30, s29
	buffer_store_dword v12, off, s[40:43], 0 offset:1280 ; 4-byte Folded Spill
	s_nop 0
	buffer_store_dword v13, off, s[40:43], 0 offset:1284 ; 4-byte Folded Spill
	buffer_store_dword v14, off, s[40:43], 0 offset:1288 ; 4-byte Folded Spill
	;; [unrolled: 1-line block ×31, first 2 shown]
	v_perm_b32 v8, v15, v14, s29
	v_pk_add_f32 v[14:15], v[20:21], v[54:55]
	v_pk_mov_b32 v[20:21], v[14:15], v[14:15] op_sel:[0,1]
	buffer_store_dword v10, off, s[40:43], 0 offset:1408 ; 4-byte Folded Spill
	s_nop 0
	buffer_store_dword v11, off, s[40:43], 0 offset:1412 ; 4-byte Folded Spill
	buffer_store_dword v12, off, s[40:43], 0 offset:1416 ; 4-byte Folded Spill
	;; [unrolled: 1-line block ×31, first 2 shown]
	v_pk_add_f32 v[70:71], v[42:43], v[66:67]
	v_perm_b32 v7, v15, v14, s29
	v_pk_add_f32 v[14:15], v[18:19], v[52:53]
	v_pk_mov_b32 v[18:19], v[14:15], v[14:15] op_sel:[0,1]
	buffer_store_dword v10, off, s[40:43], 0 offset:1536 ; 4-byte Folded Spill
	s_nop 0
	buffer_store_dword v11, off, s[40:43], 0 offset:1540 ; 4-byte Folded Spill
	buffer_store_dword v12, off, s[40:43], 0 offset:1544 ; 4-byte Folded Spill
	buffer_store_dword v13, off, s[40:43], 0 offset:1548 ; 4-byte Folded Spill
	buffer_store_dword v14, off, s[40:43], 0 offset:1552 ; 4-byte Folded Spill
	buffer_store_dword v15, off, s[40:43], 0 offset:1556 ; 4-byte Folded Spill
	buffer_store_dword v16, off, s[40:43], 0 offset:1560 ; 4-byte Folded Spill
	buffer_store_dword v17, off, s[40:43], 0 offset:1564 ; 4-byte Folded Spill
	buffer_store_dword v18, off, s[40:43], 0 offset:1568 ; 4-byte Folded Spill
	buffer_store_dword v19, off, s[40:43], 0 offset:1572 ; 4-byte Folded Spill
	buffer_store_dword v20, off, s[40:43], 0 offset:1576 ; 4-byte Folded Spill
	buffer_store_dword v21, off, s[40:43], 0 offset:1580 ; 4-byte Folded Spill
	buffer_store_dword v22, off, s[40:43], 0 offset:1584 ; 4-byte Folded Spill
	buffer_store_dword v23, off, s[40:43], 0 offset:1588 ; 4-byte Folded Spill
	buffer_store_dword v24, off, s[40:43], 0 offset:1592 ; 4-byte Folded Spill
	buffer_store_dword v25, off, s[40:43], 0 offset:1596 ; 4-byte Folded Spill
	buffer_store_dword v26, off, s[40:43], 0 offset:1600 ; 4-byte Folded Spill
	buffer_store_dword v27, off, s[40:43], 0 offset:1604 ; 4-byte Folded Spill
	buffer_store_dword v28, off, s[40:43], 0 offset:1608 ; 4-byte Folded Spill
	buffer_store_dword v29, off, s[40:43], 0 offset:1612 ; 4-byte Folded Spill
	buffer_store_dword v30, off, s[40:43], 0 offset:1616 ; 4-byte Folded Spill
	buffer_store_dword v31, off, s[40:43], 0 offset:1620 ; 4-byte Folded Spill
	buffer_store_dword v32, off, s[40:43], 0 offset:1624 ; 4-byte Folded Spill
	buffer_store_dword v33, off, s[40:43], 0 offset:1628 ; 4-byte Folded Spill
	buffer_store_dword v34, off, s[40:43], 0 offset:1632 ; 4-byte Folded Spill
	buffer_store_dword v35, off, s[40:43], 0 offset:1636 ; 4-byte Folded Spill
	buffer_store_dword v36, off, s[40:43], 0 offset:1640 ; 4-byte Folded Spill
	buffer_store_dword v37, off, s[40:43], 0 offset:1644 ; 4-byte Folded Spill
	buffer_store_dword v38, off, s[40:43], 0 offset:1648 ; 4-byte Folded Spill
	buffer_store_dword v39, off, s[40:43], 0 offset:1652 ; 4-byte Folded Spill
	buffer_store_dword v40, off, s[40:43], 0 offset:1656 ; 4-byte Folded Spill
	buffer_store_dword v41, off, s[40:43], 0 offset:1660 ; 4-byte Folded Spill
	v_pk_add_f32 v[24:25], v[38:39], v[60:61]
	v_perm_b32 v6, v15, v14, s29
	v_pk_mov_b32 v[30:31], v[24:25], v[24:25] op_sel:[0,1]
	buffer_store_dwordx4 v[6:9], v44, s[24:27], s19 offen glc slc
	;;#ASMSTART
	s_nop 0
	;;#ASMEND
	buffer_store_dword v8, off, s[40:43], 0 offset:512 ; 4-byte Folded Spill
	s_nop 0
	buffer_store_dword v9, off, s[40:43], 0 offset:516 ; 4-byte Folded Spill
	buffer_store_dword v10, off, s[40:43], 0 offset:520 ; 4-byte Folded Spill
	buffer_store_dword v11, off, s[40:43], 0 offset:524 ; 4-byte Folded Spill
	buffer_store_dword v12, off, s[40:43], 0 offset:528 ; 4-byte Folded Spill
	buffer_store_dword v13, off, s[40:43], 0 offset:532 ; 4-byte Folded Spill
	buffer_store_dword v14, off, s[40:43], 0 offset:536 ; 4-byte Folded Spill
	buffer_store_dword v15, off, s[40:43], 0 offset:540 ; 4-byte Folded Spill
	buffer_store_dword v16, off, s[40:43], 0 offset:544 ; 4-byte Folded Spill
	buffer_store_dword v17, off, s[40:43], 0 offset:548 ; 4-byte Folded Spill
	buffer_store_dword v18, off, s[40:43], 0 offset:552 ; 4-byte Folded Spill
	buffer_store_dword v19, off, s[40:43], 0 offset:556 ; 4-byte Folded Spill
	buffer_store_dword v20, off, s[40:43], 0 offset:560 ; 4-byte Folded Spill
	buffer_store_dword v21, off, s[40:43], 0 offset:564 ; 4-byte Folded Spill
	buffer_store_dword v22, off, s[40:43], 0 offset:568 ; 4-byte Folded Spill
	buffer_store_dword v23, off, s[40:43], 0 offset:572 ; 4-byte Folded Spill
	buffer_store_dword v24, off, s[40:43], 0 offset:576 ; 4-byte Folded Spill
	buffer_store_dword v25, off, s[40:43], 0 offset:580 ; 4-byte Folded Spill
	buffer_store_dword v26, off, s[40:43], 0 offset:584 ; 4-byte Folded Spill
	buffer_store_dword v27, off, s[40:43], 0 offset:588 ; 4-byte Folded Spill
	buffer_store_dword v28, off, s[40:43], 0 offset:592 ; 4-byte Folded Spill
	buffer_store_dword v29, off, s[40:43], 0 offset:596 ; 4-byte Folded Spill
	buffer_store_dword v30, off, s[40:43], 0 offset:600 ; 4-byte Folded Spill
	buffer_store_dword v31, off, s[40:43], 0 offset:604 ; 4-byte Folded Spill
	buffer_store_dword v32, off, s[40:43], 0 offset:608 ; 4-byte Folded Spill
	buffer_store_dword v33, off, s[40:43], 0 offset:612 ; 4-byte Folded Spill
	buffer_store_dword v34, off, s[40:43], 0 offset:616 ; 4-byte Folded Spill
	buffer_store_dword v35, off, s[40:43], 0 offset:620 ; 4-byte Folded Spill
	buffer_store_dword v36, off, s[40:43], 0 offset:624 ; 4-byte Folded Spill
	buffer_store_dword v37, off, s[40:43], 0 offset:628 ; 4-byte Folded Spill
	buffer_store_dword v38, off, s[40:43], 0 offset:632 ; 4-byte Folded Spill
	buffer_store_dword v39, off, s[40:43], 0 offset:636 ; 4-byte Folded Spill
	v_pk_add_f32 v[20:21], v[32:33], v[10:11]
	v_perm_b32 v9, v25, v24, s29
	v_pk_mov_b32 v[24:25], v[20:21], v[20:21] op_sel:[0,1]
	buffer_store_dword v4, off, s[40:43], 0 offset:768 ; 4-byte Folded Spill
	s_nop 0
	buffer_store_dword v5, off, s[40:43], 0 offset:772 ; 4-byte Folded Spill
	buffer_store_dword v6, off, s[40:43], 0 offset:776 ; 4-byte Folded Spill
	buffer_store_dword v7, off, s[40:43], 0 offset:780 ; 4-byte Folded Spill
	buffer_store_dword v8, off, s[40:43], 0 offset:784 ; 4-byte Folded Spill
	buffer_store_dword v9, off, s[40:43], 0 offset:788 ; 4-byte Folded Spill
	buffer_store_dword v10, off, s[40:43], 0 offset:792 ; 4-byte Folded Spill
	buffer_store_dword v11, off, s[40:43], 0 offset:796 ; 4-byte Folded Spill
	buffer_store_dword v12, off, s[40:43], 0 offset:800 ; 4-byte Folded Spill
	buffer_store_dword v13, off, s[40:43], 0 offset:804 ; 4-byte Folded Spill
	buffer_store_dword v14, off, s[40:43], 0 offset:808 ; 4-byte Folded Spill
	buffer_store_dword v15, off, s[40:43], 0 offset:812 ; 4-byte Folded Spill
	buffer_store_dword v16, off, s[40:43], 0 offset:816 ; 4-byte Folded Spill
	buffer_store_dword v17, off, s[40:43], 0 offset:820 ; 4-byte Folded Spill
	buffer_store_dword v18, off, s[40:43], 0 offset:824 ; 4-byte Folded Spill
	buffer_store_dword v19, off, s[40:43], 0 offset:828 ; 4-byte Folded Spill
	buffer_store_dword v20, off, s[40:43], 0 offset:832 ; 4-byte Folded Spill
	buffer_store_dword v21, off, s[40:43], 0 offset:836 ; 4-byte Folded Spill
	buffer_store_dword v22, off, s[40:43], 0 offset:840 ; 4-byte Folded Spill
	buffer_store_dword v23, off, s[40:43], 0 offset:844 ; 4-byte Folded Spill
	buffer_store_dword v24, off, s[40:43], 0 offset:848 ; 4-byte Folded Spill
	buffer_store_dword v25, off, s[40:43], 0 offset:852 ; 4-byte Folded Spill
	buffer_store_dword v26, off, s[40:43], 0 offset:856 ; 4-byte Folded Spill
	buffer_store_dword v27, off, s[40:43], 0 offset:860 ; 4-byte Folded Spill
	buffer_store_dword v28, off, s[40:43], 0 offset:864 ; 4-byte Folded Spill
	buffer_store_dword v29, off, s[40:43], 0 offset:868 ; 4-byte Folded Spill
	buffer_store_dword v30, off, s[40:43], 0 offset:872 ; 4-byte Folded Spill
	buffer_store_dword v31, off, s[40:43], 0 offset:876 ; 4-byte Folded Spill
	buffer_store_dword v32, off, s[40:43], 0 offset:880 ; 4-byte Folded Spill
	buffer_store_dword v33, off, s[40:43], 0 offset:884 ; 4-byte Folded Spill
	buffer_store_dword v34, off, s[40:43], 0 offset:888 ; 4-byte Folded Spill
	buffer_store_dword v35, off, s[40:43], 0 offset:892 ; 4-byte Folded Spill
	v_pk_add_f32 v[18:19], v[26:27], v[58:59]
	v_perm_b32 v8, v21, v20, s29
	v_pk_mov_b32 v[20:21], v[18:19], v[18:19] op_sel:[0,1]
	;; [unrolled: 36-line block ×3, first 2 shown]
	buffer_store_dword v2, off, s[40:43], 0 offset:1152 ; 4-byte Folded Spill
	s_nop 0
	buffer_store_dword v3, off, s[40:43], 0 offset:1156 ; 4-byte Folded Spill
	buffer_store_dword v4, off, s[40:43], 0 offset:1160 ; 4-byte Folded Spill
	;; [unrolled: 1-line block ×31, first 2 shown]
	v_pk_add_f32 v[30:31], v[40:41], v[64:65]
	v_pk_mov_b32 v[32:33], v[30:31], v[30:31] op_sel:[0,1]
	v_perm_b32 v6, v17, v16, s29
	buffer_store_dwordx4 v[6:9], v44, s[24:27], s17 offen glc slc
	v_perm_b32 v9, v71, v70, s29
	;;#ASMSTART
	s_nop 0
	;;#ASMEND
	buffer_store_dword v4, off, s[40:43], 0 offset:256 ; 4-byte Folded Spill
	s_nop 0
	buffer_store_dword v5, off, s[40:43], 0 offset:260 ; 4-byte Folded Spill
	buffer_store_dword v6, off, s[40:43], 0 offset:264 ; 4-byte Folded Spill
	;; [unrolled: 1-line block ×31, first 2 shown]
	v_pk_add_f32 v[26:27], v[36:37], v[62:63]
	v_perm_b32 v8, v31, v30, s29
	v_pk_mov_b32 v[30:31], v[26:27], v[26:27] op_sel:[0,1]
	buffer_store_dword v4, off, s[40:43], 0 offset:384 ; 4-byte Folded Spill
	s_nop 0
	buffer_store_dword v5, off, s[40:43], 0 offset:388 ; 4-byte Folded Spill
	buffer_store_dword v6, off, s[40:43], 0 offset:392 ; 4-byte Folded Spill
	;; [unrolled: 1-line block ×31, first 2 shown]
	v_pk_add_f32 v[24:25], v[28:29], v[12:13]
	v_perm_b32 v7, v27, v26, s29
	v_pk_mov_b32 v[26:27], v[24:25], v[24:25] op_sel:[0,1]
	buffer_store_dword v2, off, s[40:43], 0 offset:640 ; 4-byte Folded Spill
	s_nop 0
	buffer_store_dword v3, off, s[40:43], 0 offset:644 ; 4-byte Folded Spill
	buffer_store_dword v4, off, s[40:43], 0 offset:648 ; 4-byte Folded Spill
	;; [unrolled: 1-line block ×31, first 2 shown]
	v_perm_b32 v6, v25, v24, s29
	buffer_store_dwordx4 v[6:9], v44, s[24:27], s14 offen glc slc
	;;#ASMSTART
	s_nop 0
	;;#ASMEND
.LBB86_10:
	s_or_b64 exec, exec, s[2:3]
.LBB86_11:
	buffer_load_dword v36, off, s[40:43], 0 offset:128 ; 4-byte Folded Reload
	buffer_load_dword v37, off, s[40:43], 0 offset:132 ; 4-byte Folded Reload
	;; [unrolled: 1-line block ×32, first 2 shown]
	v_mul_f32_e32 v2, v35, v35
	v_fmac_f32_e32 v2, v34, v34
	s_waitcnt vmcnt(28)
	v_pk_mov_b32 v[4:5], v[38:39], v[38:39] op_sel:[0,1]
	buffer_load_dword v36, off, s[40:43], 0 ; 4-byte Folded Reload
	buffer_load_dword v37, off, s[40:43], 0 offset:4 ; 4-byte Folded Reload
	buffer_load_dword v38, off, s[40:43], 0 offset:8 ; 4-byte Folded Reload
	buffer_load_dword v39, off, s[40:43], 0 offset:12 ; 4-byte Folded Reload
	buffer_load_dword v40, off, s[40:43], 0 offset:16 ; 4-byte Folded Reload
	buffer_load_dword v41, off, s[40:43], 0 offset:20 ; 4-byte Folded Reload
	buffer_load_dword v42, off, s[40:43], 0 offset:24 ; 4-byte Folded Reload
	buffer_load_dword v43, off, s[40:43], 0 offset:28 ; 4-byte Folded Reload
	buffer_load_dword v44, off, s[40:43], 0 offset:32 ; 4-byte Folded Reload
	buffer_load_dword v45, off, s[40:43], 0 offset:36 ; 4-byte Folded Reload
	buffer_load_dword v46, off, s[40:43], 0 offset:40 ; 4-byte Folded Reload
	buffer_load_dword v47, off, s[40:43], 0 offset:44 ; 4-byte Folded Reload
	buffer_load_dword v48, off, s[40:43], 0 offset:48 ; 4-byte Folded Reload
	buffer_load_dword v49, off, s[40:43], 0 offset:52 ; 4-byte Folded Reload
	buffer_load_dword v50, off, s[40:43], 0 offset:56 ; 4-byte Folded Reload
	buffer_load_dword v51, off, s[40:43], 0 offset:60 ; 4-byte Folded Reload
	buffer_load_dword v52, off, s[40:43], 0 offset:64 ; 4-byte Folded Reload
	buffer_load_dword v53, off, s[40:43], 0 offset:68 ; 4-byte Folded Reload
	buffer_load_dword v54, off, s[40:43], 0 offset:72 ; 4-byte Folded Reload
	buffer_load_dword v55, off, s[40:43], 0 offset:76 ; 4-byte Folded Reload
	buffer_load_dword v56, off, s[40:43], 0 offset:80 ; 4-byte Folded Reload
	buffer_load_dword v57, off, s[40:43], 0 offset:84 ; 4-byte Folded Reload
	buffer_load_dword v58, off, s[40:43], 0 offset:88 ; 4-byte Folded Reload
	buffer_load_dword v59, off, s[40:43], 0 offset:92 ; 4-byte Folded Reload
	buffer_load_dword v60, off, s[40:43], 0 offset:96 ; 4-byte Folded Reload
	buffer_load_dword v61, off, s[40:43], 0 offset:100 ; 4-byte Folded Reload
	buffer_load_dword v62, off, s[40:43], 0 offset:104 ; 4-byte Folded Reload
	buffer_load_dword v63, off, s[40:43], 0 offset:108 ; 4-byte Folded Reload
	buffer_load_dword v64, off, s[40:43], 0 offset:112 ; 4-byte Folded Reload
	buffer_load_dword v65, off, s[40:43], 0 offset:116 ; 4-byte Folded Reload
	buffer_load_dword v66, off, s[40:43], 0 offset:120 ; 4-byte Folded Reload
	buffer_load_dword v67, off, s[40:43], 0 offset:124 ; 4-byte Folded Reload
	v_fmac_f32_e32 v2, v4, v4
	v_fmac_f32_e32 v2, v5, v5
	s_waitcnt vmcnt(26)
	v_pk_mov_b32 v[4:5], v[40:41], v[40:41] op_sel:[0,1]
	buffer_load_dword v36, off, s[40:43], 0 offset:1664 ; 4-byte Folded Reload
	buffer_load_dword v37, off, s[40:43], 0 offset:1668 ; 4-byte Folded Reload
	buffer_load_dword v38, off, s[40:43], 0 offset:1672 ; 4-byte Folded Reload
	buffer_load_dword v39, off, s[40:43], 0 offset:1676 ; 4-byte Folded Reload
	buffer_load_dword v40, off, s[40:43], 0 offset:1680 ; 4-byte Folded Reload
	buffer_load_dword v41, off, s[40:43], 0 offset:1684 ; 4-byte Folded Reload
	buffer_load_dword v42, off, s[40:43], 0 offset:1688 ; 4-byte Folded Reload
	buffer_load_dword v43, off, s[40:43], 0 offset:1692 ; 4-byte Folded Reload
	buffer_load_dword v44, off, s[40:43], 0 offset:1696 ; 4-byte Folded Reload
	buffer_load_dword v45, off, s[40:43], 0 offset:1700 ; 4-byte Folded Reload
	buffer_load_dword v46, off, s[40:43], 0 offset:1704 ; 4-byte Folded Reload
	buffer_load_dword v47, off, s[40:43], 0 offset:1708 ; 4-byte Folded Reload
	buffer_load_dword v48, off, s[40:43], 0 offset:1712 ; 4-byte Folded Reload
	buffer_load_dword v49, off, s[40:43], 0 offset:1716 ; 4-byte Folded Reload
	buffer_load_dword v50, off, s[40:43], 0 offset:1720 ; 4-byte Folded Reload
	buffer_load_dword v51, off, s[40:43], 0 offset:1724 ; 4-byte Folded Reload
	buffer_load_dword v52, off, s[40:43], 0 offset:1728 ; 4-byte Folded Reload
	buffer_load_dword v53, off, s[40:43], 0 offset:1732 ; 4-byte Folded Reload
	buffer_load_dword v54, off, s[40:43], 0 offset:1736 ; 4-byte Folded Reload
	buffer_load_dword v55, off, s[40:43], 0 offset:1740 ; 4-byte Folded Reload
	buffer_load_dword v56, off, s[40:43], 0 offset:1744 ; 4-byte Folded Reload
	buffer_load_dword v57, off, s[40:43], 0 offset:1748 ; 4-byte Folded Reload
	buffer_load_dword v58, off, s[40:43], 0 offset:1752 ; 4-byte Folded Reload
	buffer_load_dword v59, off, s[40:43], 0 offset:1756 ; 4-byte Folded Reload
	buffer_load_dword v60, off, s[40:43], 0 offset:1760 ; 4-byte Folded Reload
	buffer_load_dword v61, off, s[40:43], 0 offset:1764 ; 4-byte Folded Reload
	buffer_load_dword v62, off, s[40:43], 0 offset:1768 ; 4-byte Folded Reload
	buffer_load_dword v63, off, s[40:43], 0 offset:1772 ; 4-byte Folded Reload
	buffer_load_dword v64, off, s[40:43], 0 offset:1776 ; 4-byte Folded Reload
	buffer_load_dword v65, off, s[40:43], 0 offset:1780 ; 4-byte Folded Reload
	buffer_load_dword v66, off, s[40:43], 0 offset:1784 ; 4-byte Folded Reload
	buffer_load_dword v67, off, s[40:43], 0 offset:1788 ; 4-byte Folded Reload
	v_fmac_f32_e32 v2, v4, v4
	v_fmac_f32_e32 v2, v5, v5
	s_waitcnt vmcnt(24)
	v_pk_mov_b32 v[72:73], v[42:43], v[42:43] op_sel:[0,1]
	buffer_load_dword v36, off, s[40:43], 0 offset:1536 ; 4-byte Folded Reload
	;; [unrolled: 36-line block ×12, first 2 shown]
	buffer_load_dword v37, off, s[40:43], 0 offset:260 ; 4-byte Folded Reload
	buffer_load_dword v38, off, s[40:43], 0 offset:264 ; 4-byte Folded Reload
	;; [unrolled: 1-line block ×31, first 2 shown]
	v_fmac_f32_e32 v2, v30, v30
	v_fmac_f32_e32 v2, v31, v31
	s_waitcnt vmcnt(2)
	v_pk_mov_b32 v[120:121], v[64:65], v[64:65] op_sel:[0,1]
	v_fmac_f32_e32 v2, v120, v120
	v_fmac_f32_e32 v2, v121, v121
	;; [unrolled: 1-line block ×4, first 2 shown]
	s_nop 1
	v_mov_b32_dpp v3, v2 quad_perm:[1,0,3,2] row_mask:0xf bank_mask:0xf
	v_add_f32_e32 v2, v2, v3
	s_nop 1
	v_mov_b32_dpp v3, v2 quad_perm:[2,3,0,1] row_mask:0xf bank_mask:0xf
	v_add_f32_e32 v2, v2, v3
	s_nop 1
	v_mov_b32_dpp v3, v2 row_half_mirror row_mask:0xf bank_mask:0xf
	v_add_f32_e32 v2, v2, v3
	s_nop 1
	v_mov_b32_dpp v3, v2 row_mirror row_mask:0xf bank_mask:0xf
	v_add_f32_e32 v2, v2, v3
	s_nop 1
	v_mov_b32_dpp v3, v2 row_bcast:15 row_mask:0xf bank_mask:0xf
	v_add_f32_e32 v2, v2, v3
	v_and_b32_e32 v3, 63, v0
	v_cmp_eq_u32_e64 s[2:3], 63, v3
	s_nop 0
	v_mov_b32_dpp v3, v2 row_bcast:31 row_mask:0xf bank_mask:0xf
	s_and_saveexec_b64 s[24:25], s[2:3]
	s_cbranch_execz .LBB86_13
; %bb.12:
	v_add_f32_e32 v2, v2, v3
	v_lshrrev_b32_e32 v3, 4, v0
	v_and_b32_e32 v3, 60, v3
	ds_write_b32 v3, v2 offset:32
.LBB86_13:
	s_or_b64 exec, exec, s[24:25]
	v_and_b32_e32 v2, 3, v0
	s_waitcnt vmcnt(1)
	v_lshlrev_b32_e32 v66, 2, v2
	s_waitcnt lgkmcnt(0)
	s_barrier
	ds_read_b32 v2, v66 offset:32
	s_load_dwordx2 s[34:35], s[4:5], 0x18
	s_waitcnt lgkmcnt(0)
	v_mov_b32_dpp v3, v2 quad_perm:[1,0,3,2] row_mask:0xf bank_mask:0xf
	v_add_f32_e32 v2, v2, v3
	s_nop 1
	v_mov_b32_dpp v3, v2 quad_perm:[2,3,0,1] row_mask:0xf bank_mask:0xf
	s_and_saveexec_b64 s[24:25], s[0:1]
	s_cbranch_execnz .LBB86_18
; %bb.14:
	s_or_b64 exec, exec, s[24:25]
	s_mov_b64 s[8:9], -1
	s_and_b64 vcc, exec, s[22:23]
	s_cbranch_vccnz .LBB86_19
.LBB86_15:
	s_andn2_b64 vcc, exec, s[8:9]
	s_cbranch_vccz .LBB86_22
.LBB86_16:
	s_cmp_lt_i32 s16, 1
	s_cbranch_scc0 .LBB86_31
.LBB86_17:
	s_endpgm
.LBB86_18:
	v_add_f32_e32 v2, v2, v3
	v_cvt_f32_u32_e32 v3, s7
	s_mov_b32 s7, 0x800000
	v_cvt_f32_u32_sdwa v5, v116 dst_sel:DWORD dst_unused:UNUSED_PAD src0_sel:WORD_1
	v_cvt_f32_u32_sdwa v4, v116 dst_sel:DWORD dst_unused:UNUSED_PAD src0_sel:WORD_0
	v_div_scale_f32 v6, s[36:37], v3, v3, v2
	v_rcp_f32_e32 v7, v6
	v_pk_add_f32 v[4:5], v[4:5], 1.0 op_sel_hi:[1,0]
	v_fma_f32 v8, -v6, v7, 1.0
	v_fmac_f32_e32 v7, v8, v7
	v_div_scale_f32 v8, vcc, v2, v3, v2
	v_mul_f32_e32 v9, v8, v7
	v_fma_f32 v10, -v6, v9, v8
	v_fmac_f32_e32 v9, v10, v7
	v_fma_f32 v6, -v6, v9, v8
	v_div_fmas_f32 v6, v6, v7, v9
	v_div_fixup_f32 v2, v6, v3, v2
	v_mov_b32_e32 v3, s13
	v_mov_b32_e32 v6, s12
	v_cndmask_b32_e64 v3, v3, v6, s[8:9]
	v_add_f32_e32 v2, v3, v2
	v_mul_f32_e32 v3, 0x4b800000, v2
	v_cmp_gt_f32_e32 vcc, s7, v2
	v_cndmask_b32_e32 v2, v2, v3, vcc
	v_rsq_f32_e32 v2, v2
	v_mul_f32_e32 v3, 0x45800000, v2
	v_cndmask_b32_e32 v32, v2, v3, vcc
	v_mov_b32_e32 v33, v32
	;;#ASMSTART
	v_pk_mul_f32 v[14:15], v[34:35], v[32:33]
	;;#ASMEND
	buffer_load_dword v34, off, s[40:43], 0 offset:128 ; 4-byte Folded Reload
	buffer_load_dword v35, off, s[40:43], 0 offset:132 ; 4-byte Folded Reload
	;; [unrolled: 1-line block ×32, first 2 shown]
	s_waitcnt vmcnt(28)
	;;#ASMSTART
	v_pk_mul_f32 v[2:3], v[36:37], v[32:33]
	;;#ASMEND
	buffer_load_dword v34, off, s[40:43], 0 ; 4-byte Folded Reload
	buffer_load_dword v35, off, s[40:43], 0 offset:4 ; 4-byte Folded Reload
	buffer_load_dword v36, off, s[40:43], 0 offset:8 ; 4-byte Folded Reload
	;; [unrolled: 1-line block ×31, first 2 shown]
	s_waitcnt vmcnt(24)
	v_cvt_f32_u32_sdwa v41, v118 dst_sel:DWORD dst_unused:UNUSED_PAD src0_sel:WORD_1
	v_cvt_f32_u32_sdwa v40, v118 dst_sel:DWORD dst_unused:UNUSED_PAD src0_sel:WORD_0
	s_waitcnt vmcnt(22)
	v_cvt_f32_u32_sdwa v43, v119 dst_sel:DWORD dst_unused:UNUSED_PAD src0_sel:WORD_1
	v_cvt_f32_u32_sdwa v42, v119 dst_sel:DWORD dst_unused:UNUSED_PAD src0_sel:WORD_0
	;; [unrolled: 3-line block ×13, first 2 shown]
	;;#ASMSTART
	v_pk_mul_f32 v[6:7], v[38:39], v[32:33]
	;;#ASMEND
	v_cvt_f32_u32_sdwa v39, v117 dst_sel:DWORD dst_unused:UNUSED_PAD src0_sel:WORD_1
	v_cvt_f32_u32_sdwa v38, v117 dst_sel:DWORD dst_unused:UNUSED_PAD src0_sel:WORD_0
	;;#ASMSTART
	v_pk_mul_f32 v[8:9], v[72:73], v[32:33]
	;;#ASMEND
	;;#ASMSTART
	v_pk_mul_f32 v[10:11], v[68:69], v[32:33]
	;;#ASMEND
	;; [unrolled: 3-line block ×14, first 2 shown]
	v_pk_add_f32 v[4:5], v[38:39], 1.0 op_sel_hi:[1,0]
	v_pk_add_f32 v[14:15], v[40:41], 1.0 op_sel_hi:[1,0]
	;;#ASMSTART
	v_pk_mul_f32 v[2:3], v[2:3], v[4:5]
	;;#ASMEND
	buffer_store_dword v0, off, s[40:43], 0 offset:128 ; 4-byte Folded Spill
	s_nop 0
	buffer_store_dword v1, off, s[40:43], 0 offset:132 ; 4-byte Folded Spill
	buffer_store_dword v2, off, s[40:43], 0 offset:136 ; 4-byte Folded Spill
	;; [unrolled: 1-line block ×31, first 2 shown]
	v_cvt_f32_u32_sdwa v69, v107 dst_sel:DWORD dst_unused:UNUSED_PAD src0_sel:WORD_1
	v_cvt_f32_u32_sdwa v68, v107 dst_sel:DWORD dst_unused:UNUSED_PAD src0_sel:WORD_0
	v_pk_add_f32 v[38:39], v[42:43], 1.0 op_sel_hi:[1,0]
	v_pk_add_f32 v[40:41], v[44:45], 1.0 op_sel_hi:[1,0]
	;; [unrolled: 1-line block ×13, first 2 shown]
	;;#ASMSTART
	v_pk_mul_f32 v[4:5], v[6:7], v[14:15]
	;;#ASMEND
	buffer_store_dword v0, off, s[40:43], 0 ; 4-byte Folded Spill
	s_nop 0
	buffer_store_dword v1, off, s[40:43], 0 offset:4 ; 4-byte Folded Spill
	buffer_store_dword v2, off, s[40:43], 0 offset:8 ; 4-byte Folded Spill
	;; [unrolled: 1-line block ×31, first 2 shown]
	;;#ASMSTART
	v_pk_mul_f32 v[72:73], v[8:9], v[38:39]
	;;#ASMEND
	;;#ASMSTART
	v_pk_mul_f32 v[68:69], v[10:11], v[40:41]
	;;#ASMEND
	;; [unrolled: 3-line block ×13, first 2 shown]
	s_or_b64 exec, exec, s[24:25]
	s_mov_b64 s[8:9], -1
	s_and_b64 vcc, exec, s[22:23]
	s_cbranch_vccz .LBB86_15
.LBB86_19:
	s_and_saveexec_b64 s[8:9], s[0:1]
	s_cbranch_execz .LBB86_21
; %bb.20:
	buffer_load_dword v74, off, s[40:43], 0 ; 4-byte Folded Reload
	buffer_load_dword v75, off, s[40:43], 0 offset:4 ; 4-byte Folded Reload
	buffer_load_dword v76, off, s[40:43], 0 offset:8 ; 4-byte Folded Reload
	buffer_load_dword v77, off, s[40:43], 0 offset:12 ; 4-byte Folded Reload
	buffer_load_dword v78, off, s[40:43], 0 offset:16 ; 4-byte Folded Reload
	buffer_load_dword v79, off, s[40:43], 0 offset:20 ; 4-byte Folded Reload
	buffer_load_dword v80, off, s[40:43], 0 offset:24 ; 4-byte Folded Reload
	buffer_load_dword v81, off, s[40:43], 0 offset:28 ; 4-byte Folded Reload
	buffer_load_dword v82, off, s[40:43], 0 offset:32 ; 4-byte Folded Reload
	buffer_load_dword v83, off, s[40:43], 0 offset:36 ; 4-byte Folded Reload
	buffer_load_dword v84, off, s[40:43], 0 offset:40 ; 4-byte Folded Reload
	buffer_load_dword v85, off, s[40:43], 0 offset:44 ; 4-byte Folded Reload
	buffer_load_dword v86, off, s[40:43], 0 offset:48 ; 4-byte Folded Reload
	buffer_load_dword v87, off, s[40:43], 0 offset:52 ; 4-byte Folded Reload
	buffer_load_dword v88, off, s[40:43], 0 offset:56 ; 4-byte Folded Reload
	buffer_load_dword v89, off, s[40:43], 0 offset:60 ; 4-byte Folded Reload
	buffer_load_dword v90, off, s[40:43], 0 offset:64 ; 4-byte Folded Reload
	buffer_load_dword v91, off, s[40:43], 0 offset:68 ; 4-byte Folded Reload
	buffer_load_dword v92, off, s[40:43], 0 offset:72 ; 4-byte Folded Reload
	buffer_load_dword v93, off, s[40:43], 0 offset:76 ; 4-byte Folded Reload
	buffer_load_dword v94, off, s[40:43], 0 offset:80 ; 4-byte Folded Reload
	buffer_load_dword v95, off, s[40:43], 0 offset:84 ; 4-byte Folded Reload
	buffer_load_dword v96, off, s[40:43], 0 offset:88 ; 4-byte Folded Reload
	buffer_load_dword v97, off, s[40:43], 0 offset:92 ; 4-byte Folded Reload
	buffer_load_dword v98, off, s[40:43], 0 offset:96 ; 4-byte Folded Reload
	buffer_load_dword v99, off, s[40:43], 0 offset:100 ; 4-byte Folded Reload
	buffer_load_dword v100, off, s[40:43], 0 offset:104 ; 4-byte Folded Reload
	buffer_load_dword v101, off, s[40:43], 0 offset:108 ; 4-byte Folded Reload
	buffer_load_dword v102, off, s[40:43], 0 offset:112 ; 4-byte Folded Reload
	buffer_load_dword v103, off, s[40:43], 0 offset:116 ; 4-byte Folded Reload
	buffer_load_dword v104, off, s[40:43], 0 offset:120 ; 4-byte Folded Reload
	buffer_load_dword v105, off, s[40:43], 0 offset:124 ; 4-byte Folded Reload
	s_mul_hi_i32 s23, s28, s6
	s_mul_i32 s22, s28, s6
	s_lshl_b64 s[22:23], s[22:23], 1
	s_add_u32 s24, s34, s22
	s_addc_u32 s7, s35, s23
	s_and_b32 s25, s7, 0xffff
	s_mov_b32 s7, 0x7060302
	s_mov_b32 s27, 0x20000
	v_perm_b32 v9, v73, v72, s7
	v_perm_b32 v6, v35, v34, s7
	v_lshlrev_b32_e32 v2, 1, v1
	s_movk_i32 s12, 0x400
	s_waitcnt vmcnt(26)
	v_perm_b32 v8, v79, v78, s7
	buffer_load_dword v74, off, s[40:43], 0 offset:128 ; 4-byte Folded Reload
	buffer_load_dword v75, off, s[40:43], 0 offset:132 ; 4-byte Folded Reload
	;; [unrolled: 1-line block ×32, first 2 shown]
	s_waitcnt vmcnt(28)
	v_perm_b32 v7, v77, v76, s7
	buffer_store_dwordx4 v[6:9], v2, s[24:27], 0 offen
	;;#ASMSTART
	s_nop 0
	;;#ASMEND
	s_nop 0
	v_perm_b32 v9, v19, v18, s7
	v_perm_b32 v8, v17, v16, s7
	v_perm_b32 v7, v13, v12, s7
	v_perm_b32 v6, v69, v68, s7
	buffer_store_dwordx4 v[6:9], v2, s[24:27], s12 offen
	v_perm_b32 v9, v27, v26, s7
	v_perm_b32 v8, v25, v24, s7
	;; [unrolled: 1-line block ×4, first 2 shown]
	s_movk_i32 s12, 0x800
	;;#ASMSTART
	s_nop 0
	;;#ASMEND
	buffer_store_dwordx4 v[6:9], v2, s[24:27], s12 offen
	v_perm_b32 v9, v71, v70, s7
	v_perm_b32 v8, v121, v120, s7
	;; [unrolled: 1-line block ×4, first 2 shown]
	s_movk_i32 s7, 0xc00
	;;#ASMSTART
	s_nop 0
	;;#ASMEND
	buffer_store_dwordx4 v[6:9], v2, s[24:27], s7 offen
	;;#ASMSTART
	s_nop 0
	;;#ASMEND
.LBB86_21:
	s_or_b64 exec, exec, s[8:9]
	s_cbranch_execnz .LBB86_16
.LBB86_22:
	v_mov_b32_e32 v2, 0
	s_and_saveexec_b64 s[8:9], s[0:1]
	s_cbranch_execz .LBB86_24
; %bb.23:
	v_and_b32_e32 v2, 0x7fffffff, v34
	v_and_b32_e32 v3, 0x7fffffff, v35
	v_mov_b32_e32 v6, 0x2edbe6ff
	;;#ASMSTART
	v_max3_f32 v2, v6, v2, v3

	;;#ASMEND
	buffer_load_dword v74, off, s[40:43], 0 offset:128 ; 4-byte Folded Reload
	buffer_load_dword v75, off, s[40:43], 0 offset:132 ; 4-byte Folded Reload
	;; [unrolled: 1-line block ×32, first 2 shown]
	s_waitcnt vmcnt(28)
	v_pk_mov_b32 v[4:5], v[76:77], v[76:77] op_sel:[0,1]
	v_and_b32_e32 v3, 0x7fffffff, v4
	v_and_b32_e32 v6, 0x7fffffff, v5
	;;#ASMSTART
	v_max3_f32 v2, v2, v3, v6

	;;#ASMEND
	buffer_load_dword v74, off, s[40:43], 0 ; 4-byte Folded Reload
	buffer_load_dword v75, off, s[40:43], 0 offset:4 ; 4-byte Folded Reload
	buffer_load_dword v76, off, s[40:43], 0 offset:8 ; 4-byte Folded Reload
	;; [unrolled: 1-line block ×31, first 2 shown]
	s_waitcnt vmcnt(26)
	v_pk_mov_b32 v[4:5], v[78:79], v[78:79] op_sel:[0,1]
	v_and_b32_e32 v3, 0x7fffffff, v4
	v_and_b32_e32 v6, 0x7fffffff, v5
	;;#ASMSTART
	v_max3_f32 v2, v2, v3, v6

	;;#ASMEND
	v_and_b32_e32 v3, 0x7fffffff, v72
	v_and_b32_e32 v6, 0x7fffffff, v73
	;;#ASMSTART
	v_max3_f32 v2, v2, v3, v6

	;;#ASMEND
	;; [unrolled: 6-line block ×14, first 2 shown]
.LBB86_24:
	s_or_b64 exec, exec, s[8:9]
	s_nop 0
	v_mov_b32_dpp v3, v2 quad_perm:[1,0,3,2] row_mask:0xf bank_mask:0xf
	v_cmp_gt_f32_e32 vcc, v2, v3
	v_cndmask_b32_e32 v2, v3, v2, vcc
	s_nop 1
	v_mov_b32_dpp v3, v2 quad_perm:[2,3,0,1] row_mask:0xf bank_mask:0xf
	v_cmp_gt_f32_e32 vcc, v2, v3
	v_cndmask_b32_e32 v2, v3, v2, vcc
	s_nop 1
	v_mov_b32_dpp v3, v2 row_half_mirror row_mask:0xf bank_mask:0xf
	v_cmp_gt_f32_e32 vcc, v2, v3
	v_cndmask_b32_e32 v2, v3, v2, vcc
	s_nop 1
	v_mov_b32_dpp v3, v2 row_mirror row_mask:0xf bank_mask:0xf
	v_cmp_gt_f32_e32 vcc, v2, v3
	v_cndmask_b32_e32 v2, v3, v2, vcc
	s_nop 1
	v_mov_b32_dpp v3, v2 row_bcast:15 row_mask:0xf bank_mask:0xf
	v_cmp_gt_f32_e32 vcc, v2, v3
	v_cndmask_b32_e32 v2, v3, v2, vcc
	s_nop 1
	v_mov_b32_dpp v3, v2 row_bcast:31 row_mask:0xf bank_mask:0xf
	s_and_saveexec_b64 s[8:9], s[2:3]
	s_cbranch_execz .LBB86_26
; %bb.25:
	v_cmp_gt_f32_e32 vcc, v2, v3
	v_cndmask_b32_e32 v2, v3, v2, vcc
	v_lshrrev_b32_e32 v3, 4, v0
	v_and_b32_e32 v3, 60, v3
	ds_write_b32 v3, v2
.LBB86_26:
	s_or_b64 exec, exec, s[8:9]
	s_waitcnt lgkmcnt(0)
	s_barrier
	ds_read_b32 v2, v66
	s_waitcnt lgkmcnt(0)
	s_nop 0
	v_mov_b32_dpp v3, v2 quad_perm:[1,0,3,2] row_mask:0xf bank_mask:0xf
	v_cmp_gt_f32_e32 vcc, v2, v3
	v_cndmask_b32_e32 v2, v3, v2, vcc
	s_nop 1
	v_mov_b32_dpp v3, v2 quad_perm:[2,3,0,1] row_mask:0xf bank_mask:0xf
	v_cmp_gt_f32_e32 vcc, v2, v3
	v_cndmask_b32_e32 v2, v3, v2, vcc
	v_mul_f32_e32 v2, 0x3b124925, v2
	v_cmp_eq_u32_e32 vcc, 0, v0
	s_and_saveexec_b64 s[8:9], vcc
	s_cbranch_execz .LBB86_28
; %bb.27:
	s_load_dwordx2 s[22:23], s[4:5], 0x8
	s_mul_hi_i32 s25, s11, s6
	s_mul_i32 s24, s11, s6
	s_lshl_b64 s[24:25], s[24:25], 2
	v_mov_b32_e32 v3, 0
	s_waitcnt lgkmcnt(0)
	s_add_u32 s22, s22, s24
	s_addc_u32 s23, s23, s25
	global_store_dword v3, v2, s[22:23]
.LBB86_28:
	s_or_b64 exec, exec, s[8:9]
	;;#ASMSTART
	v_rcp_f32 v2, v2
	;;#ASMEND
	s_and_saveexec_b64 s[22:23], s[0:1]
	s_cbranch_execz .LBB86_30
; %bb.29:
	v_mov_b32_e32 v3, v2
	;;#ASMSTART
	v_pk_mul_f32 v[6:7], v[34:35], v[2:3]
	;;#ASMEND
	v_mov_b32_e32 v8, 0xc3e00000
	v_mov_b32_e32 v9, 0x43e00000
	;;#ASMSTART
	v_med3_f32 v6, v6, v8, v9
v_med3_f32 v7, v7, v8, v9
v_cvt_pk_fp8_f32 v10, v6, v7
	;;#ASMEND
	buffer_load_dword v32, off, s[40:43], 0 offset:128 ; 4-byte Folded Reload
	buffer_load_dword v33, off, s[40:43], 0 offset:132 ; 4-byte Folded Reload
	;; [unrolled: 1-line block ×32, first 2 shown]
	s_load_dwordx2 s[0:1], s[4:5], 0x0
	s_mul_i32 s8, s10, s6
	s_mov_b32 s7, 0x5040100
	s_mul_hi_i32 s9, s10, s6
	s_movk_i32 s12, 0xff
	s_waitcnt lgkmcnt(0)
	s_add_u32 s8, s0, s8
	s_addc_u32 s0, s1, s9
	s_add_i32 s1, s15, 3
	s_ashr_i32 s9, s1, 31
	s_mov_b32 s14, 0xffff
	s_lshr_b32 s9, s9, 30
	s_add_i32 s1, s1, s9
	s_and_b32 s10, s1, -4
	s_and_b32 s9, s0, 0xffff
	s_mov_b32 s11, 0x20000
	s_movk_i32 s0, 0x200
	s_waitcnt vmcnt(28)
	;;#ASMSTART
	v_pk_mul_f32 v[4:5], v[34:35], v[2:3]
	;;#ASMEND
	;;#ASMSTART
	v_med3_f32 v4, v4, v8, v9
v_med3_f32 v5, v5, v8, v9
v_cvt_pk_fp8_f32 v6, v4, v5
	;;#ASMEND
	buffer_load_dword v74, off, s[40:43], 0 ; 4-byte Folded Reload
	buffer_load_dword v75, off, s[40:43], 0 offset:4 ; 4-byte Folded Reload
	buffer_load_dword v76, off, s[40:43], 0 offset:8 ; 4-byte Folded Reload
	;; [unrolled: 1-line block ×31, first 2 shown]
	s_waitcnt vmcnt(26)
	;;#ASMSTART
	v_pk_mul_f32 v[4:5], v[78:79], v[2:3]
	;;#ASMEND
	;;#ASMSTART
	v_med3_f32 v4, v4, v8, v9
v_med3_f32 v5, v5, v8, v9
v_cvt_pk_fp8_f32 v7, v4, v5
	;;#ASMEND
	;;#ASMSTART
	v_pk_mul_f32 v[4:5], v[72:73], v[2:3]
	;;#ASMEND
	;;#ASMSTART
	v_med3_f32 v4, v4, v8, v9
v_med3_f32 v5, v5, v8, v9
v_cvt_pk_fp8_f32 v11, v4, v5
	;;#ASMEND
	v_perm_b32 v4, v6, v10, s7
	v_and_b32_e32 v5, 0xffffff00, v6
	v_and_b32_sdwa v6, v4, s12 dst_sel:DWORD dst_unused:UNUSED_PAD src0_sel:WORD_1 src1_sel:DWORD
	v_or_b32_sdwa v5, v6, v5 dst_sel:WORD_1 dst_unused:UNUSED_PAD src0_sel:DWORD src1_sel:DWORD
	v_and_or_b32 v4, v4, s14, v5
	v_lshlrev_b32_e32 v5, 16, v11
	v_and_or_b32 v5, v7, s14, v5
	buffer_store_dwordx2 v[4:5], v1, s[8:11], 0 offen
	;;#ASMSTART
	s_nop 0
	;;#ASMEND
	;;#ASMSTART
	v_pk_mul_f32 v[4:5], v[68:69], v[2:3]
	;;#ASMEND
	;;#ASMSTART
	v_med3_f32 v4, v4, v8, v9
v_med3_f32 v5, v5, v8, v9
v_cvt_pk_fp8_f32 v6, v4, v5
	;;#ASMEND
	;;#ASMSTART
	v_pk_mul_f32 v[4:5], v[12:13], v[2:3]
	;;#ASMEND
	;;#ASMSTART
	v_med3_f32 v4, v4, v8, v9
v_med3_f32 v5, v5, v8, v9
v_cvt_pk_fp8_f32 v7, v4, v5
	;; [unrolled: 8-line block ×4, first 2 shown]
	;;#ASMEND
	v_perm_b32 v4, v7, v6, s7
	v_and_b32_e32 v5, 0xffffff00, v7
	v_and_b32_sdwa v6, v4, s12 dst_sel:DWORD dst_unused:UNUSED_PAD src0_sel:WORD_1 src1_sel:DWORD
	v_or_b32_sdwa v5, v6, v5 dst_sel:WORD_1 dst_unused:UNUSED_PAD src0_sel:DWORD src1_sel:DWORD
	v_and_or_b32 v4, v4, s14, v5
	v_lshlrev_b32_e32 v5, 16, v11
	v_and_or_b32 v5, v10, s14, v5
	buffer_store_dwordx2 v[4:5], v1, s[8:11], s0 offen
	;;#ASMSTART
	s_nop 0
	;;#ASMEND
	;;#ASMSTART
	v_pk_mul_f32 v[4:5], v[20:21], v[2:3]
	;;#ASMEND
	;;#ASMSTART
	v_med3_f32 v4, v4, v8, v9
v_med3_f32 v5, v5, v8, v9
v_cvt_pk_fp8_f32 v6, v4, v5
	;;#ASMEND
	;;#ASMSTART
	v_pk_mul_f32 v[4:5], v[22:23], v[2:3]
	;;#ASMEND
	;;#ASMSTART
	v_med3_f32 v4, v4, v8, v9
v_med3_f32 v5, v5, v8, v9
v_cvt_pk_fp8_f32 v7, v4, v5
	;; [unrolled: 8-line block ×4, first 2 shown]
	;;#ASMEND
	v_perm_b32 v4, v7, v6, s7
	v_and_b32_e32 v5, 0xffffff00, v7
	v_and_b32_sdwa v6, v4, s12 dst_sel:DWORD dst_unused:UNUSED_PAD src0_sel:WORD_1 src1_sel:DWORD
	v_or_b32_sdwa v5, v6, v5 dst_sel:WORD_1 dst_unused:UNUSED_PAD src0_sel:DWORD src1_sel:DWORD
	v_and_or_b32 v4, v4, s14, v5
	v_lshlrev_b32_e32 v5, 16, v11
	v_and_or_b32 v5, v10, s14, v5
	s_movk_i32 s0, 0x400
	buffer_store_dwordx2 v[4:5], v1, s[8:11], s0 offen
	;;#ASMSTART
	s_nop 0
	;;#ASMEND
	;;#ASMSTART
	v_pk_mul_f32 v[4:5], v[28:29], v[2:3]
	;;#ASMEND
	;;#ASMSTART
	v_med3_f32 v4, v4, v8, v9
v_med3_f32 v5, v5, v8, v9
v_cvt_pk_fp8_f32 v6, v4, v5
	;;#ASMEND
	;;#ASMSTART
	v_pk_mul_f32 v[4:5], v[30:31], v[2:3]
	;;#ASMEND
	;;#ASMSTART
	v_med3_f32 v4, v4, v8, v9
v_med3_f32 v5, v5, v8, v9
v_cvt_pk_fp8_f32 v7, v4, v5
	;;#ASMEND
	v_perm_b32 v5, v7, v6, s7
	v_and_b32_e32 v4, 0xffffff00, v7
	v_and_b32_sdwa v6, v5, s12 dst_sel:DWORD dst_unused:UNUSED_PAD src0_sel:WORD_1 src1_sel:DWORD
	v_or_b32_sdwa v4, v6, v4 dst_sel:WORD_1 dst_unused:UNUSED_PAD src0_sel:DWORD src1_sel:DWORD
	v_and_or_b32 v4, v5, s14, v4
	;;#ASMSTART
	v_pk_mul_f32 v[6:7], v[120:121], v[2:3]
	;;#ASMEND
	v_mov_b32_e32 v5, v7
	;;#ASMSTART
	v_med3_f32 v6, v6, v8, v9
v_med3_f32 v5, v5, v8, v9
v_cvt_pk_fp8_f32 v7, v6, v5
	;;#ASMEND
	;;#ASMSTART
	v_pk_mul_f32 v[2:3], v[70:71], v[2:3]
	;;#ASMEND
	;;#ASMSTART
	v_med3_f32 v2, v2, v8, v9
v_med3_f32 v3, v3, v8, v9
v_cvt_pk_fp8_f32 v5, v2, v3
	;;#ASMEND
	v_lshlrev_b32_e32 v2, 16, v5
	v_and_or_b32 v5, v7, s14, v2
	s_movk_i32 s0, 0x600
	buffer_store_dwordx2 v[4:5], v1, s[8:11], s0 offen
	;;#ASMSTART
	s_nop 0
	;;#ASMEND
.LBB86_30:
	s_or_b64 exec, exec, s[22:23]
	s_cmp_lt_i32 s16, 1
	s_cbranch_scc1 .LBB86_17
.LBB86_31:
	s_load_dword s0, s[4:5], 0x94
	s_waitcnt lgkmcnt(0)
	s_cmp_lg_u32 s0, 1
	s_cbranch_scc1 .LBB86_17
; %bb.32:
	s_lshl_b32 s0, s16, 1
	s_add_i32 s0, s0, 2
	v_cmp_gt_u32_e32 vcc, s16, v1
	s_and_b32 s22, s0, -4
	v_mov_b32_e32 v34, 0
	s_waitcnt vmcnt(0)
	v_lshlrev_b32_e32 v67, 1, v1
	v_mov_b32_e32 v30, 0
	v_mov_b32_e32 v31, 0
	;; [unrolled: 1-line block ×32, first 2 shown]
	s_barrier
	s_and_saveexec_b64 s[0:1], vcc
	s_cbranch_execz .LBB86_34
; %bb.33:
	s_mul_hi_i32 s5, s18, s6
	s_mul_i32 s4, s18, s6
	s_and_b32 s21, s21, 0xffff
	s_lshl_b64 s[4:5], s[4:5], 1
	s_add_u32 s8, s30, s4
	s_mov_b32 s23, 0x20000
	s_addc_u32 s4, s31, s5
	s_and_b32 s9, s4, 0xffff
	s_mov_b32 s10, s22
	s_mov_b32 s11, s23
	s_movk_i32 s5, 0x800
	s_movk_i32 s4, 0x400
	buffer_load_dwordx4 v[30:33], v67, s[8:11], 0 offen glc slc
	buffer_load_dwordx4 v[22:25], v67, s[8:11], s4 offen glc slc
	s_movk_i32 s7, 0xc00
	buffer_load_dwordx4 v[26:29], v67, s[8:11], s5 offen glc slc
	buffer_load_dwordx4 v[18:21], v67, s[8:11], s7 offen glc slc
	buffer_load_dwordx4 v[14:17], v67, s[20:23], 0 offen
	buffer_load_dwordx4 v[10:13], v67, s[20:23], s4 offen
	;; [unrolled: 1-line block ×4, first 2 shown]
.LBB86_34:
	s_or_b64 exec, exec, s[0:1]
	v_mov_b32_e32 v35, 0
	v_mov_b32_e32 v64, 0
	;; [unrolled: 1-line block ×31, first 2 shown]
	s_and_saveexec_b64 s[0:1], vcc
	s_cbranch_execz .LBB86_36
; %bb.35:
	s_waitcnt vmcnt(7)
	v_cvt_f32_u32_sdwa v34, v30 dst_sel:DWORD dst_unused:UNUSED_PAD src0_sel:WORD_0
	v_cvt_f32_u32_sdwa v35, v30 dst_sel:DWORD dst_unused:UNUSED_PAD src0_sel:WORD_1
	v_cvt_f32_u32_sdwa v64, v31 dst_sel:DWORD dst_unused:UNUSED_PAD src0_sel:WORD_0
	v_cvt_f32_u32_sdwa v65, v31 dst_sel:DWORD dst_unused:UNUSED_PAD src0_sel:WORD_1
	v_cvt_f32_u32_sdwa v62, v32 dst_sel:DWORD dst_unused:UNUSED_PAD src0_sel:WORD_0
	v_cvt_f32_u32_sdwa v63, v32 dst_sel:DWORD dst_unused:UNUSED_PAD src0_sel:WORD_1
	v_cvt_f32_u32_sdwa v60, v33 dst_sel:DWORD dst_unused:UNUSED_PAD src0_sel:WORD_0
	v_cvt_f32_u32_sdwa v61, v33 dst_sel:DWORD dst_unused:UNUSED_PAD src0_sel:WORD_1
	s_waitcnt vmcnt(6)
	v_cvt_f32_u32_sdwa v58, v22 dst_sel:DWORD dst_unused:UNUSED_PAD src0_sel:WORD_0
	v_cvt_f32_u32_sdwa v59, v22 dst_sel:DWORD dst_unused:UNUSED_PAD src0_sel:WORD_1
	v_cvt_f32_u32_sdwa v56, v23 dst_sel:DWORD dst_unused:UNUSED_PAD src0_sel:WORD_0
	v_cvt_f32_u32_sdwa v57, v23 dst_sel:DWORD dst_unused:UNUSED_PAD src0_sel:WORD_1
	v_cvt_f32_u32_sdwa v54, v24 dst_sel:DWORD dst_unused:UNUSED_PAD src0_sel:WORD_0
	v_cvt_f32_u32_sdwa v55, v24 dst_sel:DWORD dst_unused:UNUSED_PAD src0_sel:WORD_1
	v_cvt_f32_u32_sdwa v52, v25 dst_sel:DWORD dst_unused:UNUSED_PAD src0_sel:WORD_0
	v_cvt_f32_u32_sdwa v53, v25 dst_sel:DWORD dst_unused:UNUSED_PAD src0_sel:WORD_1
	;; [unrolled: 9-line block ×4, first 2 shown]
.LBB86_36:
	s_or_b64 exec, exec, s[0:1]
	v_mul_f32_e32 v1, v35, v35
	v_fmac_f32_e32 v1, v34, v34
	v_fmac_f32_e32 v1, v64, v64
	;; [unrolled: 1-line block ×31, first 2 shown]
	s_waitcnt vmcnt(4)
	s_nop 0
	v_mov_b32_dpp v18, v1 quad_perm:[1,0,3,2] row_mask:0xf bank_mask:0xf
	v_add_f32_e32 v1, v1, v18
	s_nop 1
	v_mov_b32_dpp v18, v1 quad_perm:[2,3,0,1] row_mask:0xf bank_mask:0xf
	v_add_f32_e32 v1, v1, v18
	s_nop 1
	v_mov_b32_dpp v18, v1 row_half_mirror row_mask:0xf bank_mask:0xf
	v_add_f32_e32 v1, v1, v18
	s_nop 1
	v_mov_b32_dpp v18, v1 row_mirror row_mask:0xf bank_mask:0xf
	v_add_f32_e32 v1, v1, v18
	s_nop 1
	v_mov_b32_dpp v18, v1 row_bcast:15 row_mask:0xf bank_mask:0xf
	v_add_f32_e32 v1, v1, v18
	s_nop 1
	v_mov_b32_dpp v18, v1 row_bcast:31 row_mask:0xf bank_mask:0xf
	s_and_saveexec_b64 s[0:1], s[2:3]
	s_cbranch_execz .LBB86_38
; %bb.37:
	v_lshrrev_b32_e32 v0, 4, v0
	v_add_f32_e32 v1, v1, v18
	v_and_b32_e32 v0, 60, v0
	ds_write_b32 v0, v1 offset:16
.LBB86_38:
	s_or_b64 exec, exec, s[0:1]
	s_waitcnt lgkmcnt(0)
	s_barrier
	ds_read_b32 v0, v66 offset:16
	s_waitcnt lgkmcnt(0)
	s_nop 0
	v_mov_b32_dpp v1, v0 quad_perm:[1,0,3,2] row_mask:0xf bank_mask:0xf
	v_add_f32_e32 v0, v0, v1
	s_nop 1
	v_mov_b32_dpp v1, v0 quad_perm:[2,3,0,1] row_mask:0xf bank_mask:0xf
	s_and_saveexec_b64 s[0:1], vcc
	s_cbranch_execz .LBB86_17
; %bb.39:
	v_cvt_f32_u32_e32 v18, s16
	v_add_f32_e32 v0, v0, v1
	s_mov_b32 s23, 0x20000
	v_div_scale_f32 v1, s[0:1], v18, v18, v0
	v_rcp_f32_e32 v19, v1
	v_div_scale_f32 v20, vcc, v0, v18, v0
	s_mov_b32 s0, 0x800000
	v_fma_f32 v21, -v1, v19, 1.0
	v_fmac_f32_e32 v19, v21, v19
	v_mul_f32_e32 v21, v20, v19
	v_fma_f32 v22, -v1, v21, v20
	v_fmac_f32_e32 v21, v22, v19
	v_fma_f32 v1, -v1, v21, v20
	v_div_fmas_f32 v1, v1, v19, v21
	v_div_fixup_f32 v0, v1, v18, v0
	v_add_f32_e32 v0, s13, v0
	v_mul_f32_e32 v1, 0x4b800000, v0
	v_cmp_gt_f32_e32 vcc, s0, v0
	v_cndmask_b32_e32 v0, v0, v1, vcc
	v_rsq_f32_e32 v0, v0
	s_mul_hi_i32 s1, s28, s6
	s_mul_i32 s0, s28, s6
	s_lshl_b64 s[0:1], s[0:1], 1
	v_mul_f32_e32 v1, 0x45800000, v0
	v_cndmask_b32_e32 v0, v0, v1, vcc
	v_mov_b32_e32 v1, v0
	;;#ASMSTART
	v_pk_mul_f32 v[22:23], v[34:35], v[0:1]
	;;#ASMEND
	;;#ASMSTART
	v_pk_mul_f32 v[24:25], v[64:65], v[0:1]
	;;#ASMEND
	;; [unrolled: 3-line block ×15, first 2 shown]
	s_waitcnt vmcnt(3)
	v_cvt_f32_u32_sdwa v39, v14 dst_sel:DWORD dst_unused:UNUSED_PAD src0_sel:WORD_1
	v_cvt_f32_u32_sdwa v38, v14 dst_sel:DWORD dst_unused:UNUSED_PAD src0_sel:WORD_0
	v_cvt_f32_u32_sdwa v41, v15 dst_sel:DWORD dst_unused:UNUSED_PAD src0_sel:WORD_1
	v_cvt_f32_u32_sdwa v40, v15 dst_sel:DWORD dst_unused:UNUSED_PAD src0_sel:WORD_0
	;;#ASMSTART
	v_pk_mul_f32 v[14:15], v[36:37], v[0:1]
	;;#ASMEND
	v_cvt_f32_u32_sdwa v37, v16 dst_sel:DWORD dst_unused:UNUSED_PAD src0_sel:WORD_1
	v_cvt_f32_u32_sdwa v36, v16 dst_sel:DWORD dst_unused:UNUSED_PAD src0_sel:WORD_0
	v_pk_add_f32 v[0:1], v[38:39], 1.0 op_sel_hi:[1,0]
	;;#ASMSTART
	v_pk_mul_f32 v[0:1], v[22:23], v[0:1]
	;;#ASMEND
	v_pk_add_f32 v[22:23], v[40:41], 1.0 op_sel_hi:[1,0]
	v_cvt_f32_u32_sdwa v39, v17 dst_sel:DWORD dst_unused:UNUSED_PAD src0_sel:WORD_1
	v_cvt_f32_u32_sdwa v38, v17 dst_sel:DWORD dst_unused:UNUSED_PAD src0_sel:WORD_0
	;;#ASMSTART
	v_pk_mul_f32 v[16:17], v[24:25], v[22:23]
	;;#ASMEND
	v_pk_add_f32 v[22:23], v[36:37], 1.0 op_sel_hi:[1,0]
	;;#ASMSTART
	v_pk_mul_f32 v[22:23], v[26:27], v[22:23]
	;;#ASMEND
	s_waitcnt vmcnt(2)
	v_cvt_f32_u32_sdwa v27, v10 dst_sel:DWORD dst_unused:UNUSED_PAD src0_sel:WORD_1
	v_cvt_f32_u32_sdwa v26, v10 dst_sel:DWORD dst_unused:UNUSED_PAD src0_sel:WORD_0
	v_pk_add_f32 v[24:25], v[38:39], 1.0 op_sel_hi:[1,0]
	v_cvt_f32_u32_sdwa v37, v11 dst_sel:DWORD dst_unused:UNUSED_PAD src0_sel:WORD_1
	v_cvt_f32_u32_sdwa v36, v11 dst_sel:DWORD dst_unused:UNUSED_PAD src0_sel:WORD_0
	;;#ASMSTART
	v_pk_mul_f32 v[10:11], v[28:29], v[24:25]
	;;#ASMEND
	v_pk_add_f32 v[24:25], v[26:27], 1.0 op_sel_hi:[1,0]
	;;#ASMSTART
	v_pk_mul_f32 v[24:25], v[30:31], v[24:25]
	;;#ASMEND
	v_cvt_f32_u32_sdwa v29, v12 dst_sel:DWORD dst_unused:UNUSED_PAD src0_sel:WORD_1
	v_cvt_f32_u32_sdwa v28, v12 dst_sel:DWORD dst_unused:UNUSED_PAD src0_sel:WORD_0
	v_cvt_f32_u32_sdwa v31, v13 dst_sel:DWORD dst_unused:UNUSED_PAD src0_sel:WORD_1
	v_cvt_f32_u32_sdwa v30, v13 dst_sel:DWORD dst_unused:UNUSED_PAD src0_sel:WORD_0
	v_pk_add_f32 v[26:27], v[36:37], 1.0 op_sel_hi:[1,0]
	;;#ASMSTART
	v_pk_mul_f32 v[12:13], v[32:33], v[26:27]
	;;#ASMEND
	v_pk_add_f32 v[26:27], v[28:29], 1.0 op_sel_hi:[1,0]
	v_pk_add_f32 v[28:29], v[30:31], 1.0 op_sel_hi:[1,0]
	s_waitcnt vmcnt(1)
	v_cvt_f32_u32_sdwa v31, v6 dst_sel:DWORD dst_unused:UNUSED_PAD src0_sel:WORD_1
	v_cvt_f32_u32_sdwa v30, v6 dst_sel:DWORD dst_unused:UNUSED_PAD src0_sel:WORD_0
	v_cvt_f32_u32_sdwa v33, v7 dst_sel:DWORD dst_unused:UNUSED_PAD src0_sel:WORD_1
	v_cvt_f32_u32_sdwa v32, v7 dst_sel:DWORD dst_unused:UNUSED_PAD src0_sel:WORD_0
	;;#ASMSTART
	v_pk_mul_f32 v[26:27], v[34:35], v[26:27]
	;;#ASMEND
	;;#ASMSTART
	v_pk_mul_f32 v[6:7], v[52:53], v[28:29]
	;;#ASMEND
	v_pk_add_f32 v[28:29], v[30:31], 1.0 op_sel_hi:[1,0]
	v_pk_add_f32 v[30:31], v[32:33], 1.0 op_sel_hi:[1,0]
	v_cvt_f32_u32_sdwa v33, v8 dst_sel:DWORD dst_unused:UNUSED_PAD src0_sel:WORD_1
	v_cvt_f32_u32_sdwa v32, v8 dst_sel:DWORD dst_unused:UNUSED_PAD src0_sel:WORD_0
	v_cvt_f32_u32_sdwa v35, v9 dst_sel:DWORD dst_unused:UNUSED_PAD src0_sel:WORD_1
	v_cvt_f32_u32_sdwa v34, v9 dst_sel:DWORD dst_unused:UNUSED_PAD src0_sel:WORD_0
	;;#ASMSTART
	v_pk_mul_f32 v[28:29], v[50:51], v[28:29]
	;;#ASMEND
	;;#ASMSTART
	v_pk_mul_f32 v[8:9], v[48:49], v[30:31]
	;;#ASMEND
	v_pk_add_f32 v[30:31], v[32:33], 1.0 op_sel_hi:[1,0]
	v_pk_add_f32 v[32:33], v[34:35], 1.0 op_sel_hi:[1,0]
	s_waitcnt vmcnt(0)
	v_cvt_f32_u32_sdwa v35, v2 dst_sel:DWORD dst_unused:UNUSED_PAD src0_sel:WORD_1
	v_cvt_f32_u32_sdwa v34, v2 dst_sel:DWORD dst_unused:UNUSED_PAD src0_sel:WORD_0
	v_cvt_f32_u32_sdwa v37, v3 dst_sel:DWORD dst_unused:UNUSED_PAD src0_sel:WORD_1
	v_cvt_f32_u32_sdwa v36, v3 dst_sel:DWORD dst_unused:UNUSED_PAD src0_sel:WORD_0
	;;#ASMSTART
	v_pk_mul_f32 v[30:31], v[46:47], v[30:31]
	;;#ASMEND
	v_pk_add_f32 v[2:3], v[34:35], 1.0 op_sel_hi:[1,0]
	;;#ASMSTART
	v_pk_mul_f32 v[32:33], v[44:45], v[32:33]
	;;#ASMEND
	;;#ASMSTART
	v_pk_mul_f32 v[34:35], v[42:43], v[2:3]
	;;#ASMEND
	v_pk_add_f32 v[2:3], v[36:37], 1.0 op_sel_hi:[1,0]
	v_cvt_f32_u32_sdwa v37, v4 dst_sel:DWORD dst_unused:UNUSED_PAD src0_sel:WORD_1
	v_cvt_f32_u32_sdwa v36, v4 dst_sel:DWORD dst_unused:UNUSED_PAD src0_sel:WORD_0
	v_cvt_f32_u32_sdwa v39, v5 dst_sel:DWORD dst_unused:UNUSED_PAD src0_sel:WORD_1
	v_cvt_f32_u32_sdwa v38, v5 dst_sel:DWORD dst_unused:UNUSED_PAD src0_sel:WORD_0
	s_add_u32 s20, s34, s0
	;;#ASMSTART
	v_pk_mul_f32 v[4:5], v[18:19], v[2:3]
	;;#ASMEND
	v_pk_add_f32 v[2:3], v[36:37], 1.0 op_sel_hi:[1,0]
	s_addc_u32 s0, s35, s1
	;;#ASMSTART
	v_pk_mul_f32 v[18:19], v[20:21], v[2:3]
	;;#ASMEND
	v_pk_add_f32 v[2:3], v[38:39], 1.0 op_sel_hi:[1,0]
	s_and_b32 s21, s0, 0xffff
	s_mov_b32 s0, 0x7060302
	;;#ASMSTART
	v_pk_mul_f32 v[14:15], v[14:15], v[2:3]
	;;#ASMEND
	v_perm_b32 v0, v1, v0, s0
	v_perm_b32 v1, v17, v16, s0
	;; [unrolled: 1-line block ×4, first 2 shown]
	buffer_store_dwordx4 v[0:3], v67, s[20:23], 0 offen
	s_movk_i32 s1, 0x400
	v_perm_b32 v0, v25, v24, s0
	v_perm_b32 v1, v13, v12, s0
	;; [unrolled: 1-line block ×4, first 2 shown]
	;;#ASMSTART
	s_nop 0
	;;#ASMEND
	buffer_store_dwordx4 v[0:3], v67, s[20:23], s1 offen
	v_perm_b32 v0, v29, v28, s0
	v_perm_b32 v1, v9, v8, s0
	;; [unrolled: 1-line block ×4, first 2 shown]
	s_movk_i32 s1, 0x800
	;;#ASMSTART
	s_nop 0
	;;#ASMEND
	buffer_store_dwordx4 v[0:3], v67, s[20:23], s1 offen
	v_perm_b32 v0, v35, v34, s0
	v_perm_b32 v1, v5, v4, s0
	;; [unrolled: 1-line block ×4, first 2 shown]
	s_movk_i32 s0, 0xc00
	;;#ASMSTART
	s_nop 0
	;;#ASMEND
	buffer_store_dwordx4 v[0:3], v67, s[20:23], s0 offen
	;;#ASMSTART
	s_nop 0
	;;#ASMEND
	s_endpgm
	.section	.rodata,"a",@progbits
	.p2align	6, 0x0
	.amdhsa_kernel _ZN5aiter35fused_qk_rmsnorm_group_quant_kernelItDB8_Li256ELi32ELi1ELb1ELb0ELb1ELb0ELb1ELb1EEEvPT0_PvPT_S6_S6_PKS5_S8_S8_S8_S8_ffiiiiiiiiiiiii
		.amdhsa_group_segment_fixed_size 48
		.amdhsa_private_segment_fixed_size 1796
		.amdhsa_kernarg_size 400
		.amdhsa_user_sgpr_count 6
		.amdhsa_user_sgpr_private_segment_buffer 1
		.amdhsa_user_sgpr_dispatch_ptr 0
		.amdhsa_user_sgpr_queue_ptr 0
		.amdhsa_user_sgpr_kernarg_segment_ptr 1
		.amdhsa_user_sgpr_dispatch_id 0
		.amdhsa_user_sgpr_flat_scratch_init 0
		.amdhsa_user_sgpr_kernarg_preload_length 0
		.amdhsa_user_sgpr_kernarg_preload_offset 0
		.amdhsa_user_sgpr_private_segment_size 0
		.amdhsa_uses_dynamic_stack 0
		.amdhsa_system_sgpr_private_segment_wavefront_offset 1
		.amdhsa_system_sgpr_workgroup_id_x 1
		.amdhsa_system_sgpr_workgroup_id_y 1
		.amdhsa_system_sgpr_workgroup_id_z 0
		.amdhsa_system_sgpr_workgroup_info 0
		.amdhsa_system_vgpr_workitem_id 0
		.amdhsa_next_free_vgpr 128
		.amdhsa_next_free_sgpr 44
		.amdhsa_accum_offset 128
		.amdhsa_reserve_vcc 1
		.amdhsa_reserve_flat_scratch 0
		.amdhsa_float_round_mode_32 0
		.amdhsa_float_round_mode_16_64 0
		.amdhsa_float_denorm_mode_32 3
		.amdhsa_float_denorm_mode_16_64 3
		.amdhsa_dx10_clamp 1
		.amdhsa_ieee_mode 1
		.amdhsa_fp16_overflow 0
		.amdhsa_tg_split 0
		.amdhsa_exception_fp_ieee_invalid_op 0
		.amdhsa_exception_fp_denorm_src 0
		.amdhsa_exception_fp_ieee_div_zero 0
		.amdhsa_exception_fp_ieee_overflow 0
		.amdhsa_exception_fp_ieee_underflow 0
		.amdhsa_exception_fp_ieee_inexact 0
		.amdhsa_exception_int_div_zero 0
	.end_amdhsa_kernel
	.section	.text._ZN5aiter35fused_qk_rmsnorm_group_quant_kernelItDB8_Li256ELi32ELi1ELb1ELb0ELb1ELb0ELb1ELb1EEEvPT0_PvPT_S6_S6_PKS5_S8_S8_S8_S8_ffiiiiiiiiiiiii,"axG",@progbits,_ZN5aiter35fused_qk_rmsnorm_group_quant_kernelItDB8_Li256ELi32ELi1ELb1ELb0ELb1ELb0ELb1ELb1EEEvPT0_PvPT_S6_S6_PKS5_S8_S8_S8_S8_ffiiiiiiiiiiiii,comdat
.Lfunc_end86:
	.size	_ZN5aiter35fused_qk_rmsnorm_group_quant_kernelItDB8_Li256ELi32ELi1ELb1ELb0ELb1ELb0ELb1ELb1EEEvPT0_PvPT_S6_S6_PKS5_S8_S8_S8_S8_ffiiiiiiiiiiiii, .Lfunc_end86-_ZN5aiter35fused_qk_rmsnorm_group_quant_kernelItDB8_Li256ELi32ELi1ELb1ELb0ELb1ELb0ELb1ELb1EEEvPT0_PvPT_S6_S6_PKS5_S8_S8_S8_S8_ffiiiiiiiiiiiii
                                        ; -- End function
	.section	.AMDGPU.csdata,"",@progbits
; Kernel info:
; codeLenInByte = 28236
; NumSgprs: 48
; NumVgprs: 128
; NumAgprs: 0
; TotalNumVgprs: 128
; ScratchSize: 1796
; MemoryBound: 0
; FloatMode: 240
; IeeeMode: 1
; LDSByteSize: 48 bytes/workgroup (compile time only)
; SGPRBlocks: 5
; VGPRBlocks: 15
; NumSGPRsForWavesPerEU: 48
; NumVGPRsForWavesPerEU: 128
; AccumOffset: 128
; Occupancy: 4
; WaveLimiterHint : 0
; COMPUTE_PGM_RSRC2:SCRATCH_EN: 1
; COMPUTE_PGM_RSRC2:USER_SGPR: 6
; COMPUTE_PGM_RSRC2:TRAP_HANDLER: 0
; COMPUTE_PGM_RSRC2:TGID_X_EN: 1
; COMPUTE_PGM_RSRC2:TGID_Y_EN: 1
; COMPUTE_PGM_RSRC2:TGID_Z_EN: 0
; COMPUTE_PGM_RSRC2:TIDIG_COMP_CNT: 0
; COMPUTE_PGM_RSRC3_GFX90A:ACCUM_OFFSET: 31
; COMPUTE_PGM_RSRC3_GFX90A:TG_SPLIT: 0
	.section	.text._ZN5aiter35fused_qk_rmsnorm_group_quant_kernelIDF16_DB8_Li256ELi32ELi1ELb1ELb0ELb0ELb0ELb1ELb1EEEvPT0_PvPT_S6_S6_PKS5_S8_S8_S8_S8_ffiiiiiiiiiiiii,"axG",@progbits,_ZN5aiter35fused_qk_rmsnorm_group_quant_kernelIDF16_DB8_Li256ELi32ELi1ELb1ELb0ELb0ELb0ELb1ELb1EEEvPT0_PvPT_S6_S6_PKS5_S8_S8_S8_S8_ffiiiiiiiiiiiii,comdat
	.protected	_ZN5aiter35fused_qk_rmsnorm_group_quant_kernelIDF16_DB8_Li256ELi32ELi1ELb1ELb0ELb0ELb0ELb1ELb1EEEvPT0_PvPT_S6_S6_PKS5_S8_S8_S8_S8_ffiiiiiiiiiiiii ; -- Begin function _ZN5aiter35fused_qk_rmsnorm_group_quant_kernelIDF16_DB8_Li256ELi32ELi1ELb1ELb0ELb0ELb0ELb1ELb1EEEvPT0_PvPT_S6_S6_PKS5_S8_S8_S8_S8_ffiiiiiiiiiiiii
	.globl	_ZN5aiter35fused_qk_rmsnorm_group_quant_kernelIDF16_DB8_Li256ELi32ELi1ELb1ELb0ELb0ELb0ELb1ELb1EEEvPT0_PvPT_S6_S6_PKS5_S8_S8_S8_S8_ffiiiiiiiiiiiii
	.p2align	8
	.type	_ZN5aiter35fused_qk_rmsnorm_group_quant_kernelIDF16_DB8_Li256ELi32ELi1ELb1ELb0ELb0ELb0ELb1ELb1EEEvPT0_PvPT_S6_S6_PKS5_S8_S8_S8_S8_ffiiiiiiiiiiiii,@function
_ZN5aiter35fused_qk_rmsnorm_group_quant_kernelIDF16_DB8_Li256ELi32ELi1ELb1ELb0ELb0ELb0ELb1ELb1EEEvPT0_PvPT_S6_S6_PKS5_S8_S8_S8_S8_ffiiiiiiiiiiiii: ; @_ZN5aiter35fused_qk_rmsnorm_group_quant_kernelIDF16_DB8_Li256ELi32ELi1ELb1ELb0ELb0ELb0ELb1ELb1EEEvPT0_PvPT_S6_S6_PKS5_S8_S8_S8_S8_ffiiiiiiiiiiiii
; %bb.0:
	s_load_dwordx8 s[12:19], s[4:5], 0x50
	s_mov_b64 s[42:43], s[2:3]
	s_mov_b64 s[40:41], s[0:1]
	s_add_u32 s40, s40, s8
	s_addc_u32 s41, s41, 0
	s_waitcnt lgkmcnt(0)
	s_cmp_ge_i32 s6, s14
	s_cbranch_scc1 .LBB87_17
; %bb.1:
	s_cmp_lg_u32 s7, 0
	s_cselect_b64 s[22:23], -1, 0
	s_cmp_eq_u32 s7, 0
	s_cselect_b64 s[8:9], -1, 0
	s_and_b64 s[0:1], s[8:9], exec
	s_cselect_b32 s7, s15, s16
	s_add_i32 s0, s7, 1
	s_load_dwordx2 s[10:11], s[4:5], 0x70
	s_load_dwordx2 s[20:21], s[4:5], 0x48
	;; [unrolled: 1-line block ×3, first 2 shown]
	s_lshr_b32 s1, s0, 31
	s_add_i32 s0, s0, s1
	s_lshl_b32 s0, s0, 1
	v_lshlrev_b32_e32 v1, 5, v0
	s_and_b32 s26, s0, -4
	v_lshlrev_b32_e32 v2, 3, v0
	v_and_b32_e32 v1, 0x7800, v1
	s_movk_i32 s0, 0x1f8
	v_and_or_b32 v1, v2, s0, v1
	v_cmp_gt_i32_e64 s[0:1], s7, v1
	v_mov_b32_e32 v112, 0
	v_mov_b32_e32 v113, 0
	;; [unrolled: 1-line block ×32, first 2 shown]
	buffer_store_dword v1, off, s[40:43], 0 offset:1536 ; 4-byte Folded Spill
	s_and_saveexec_b64 s[2:3], s[0:1]
	s_cbranch_execz .LBB87_3
; %bb.2:
	s_load_dwordx2 s[24:25], s[4:5], 0x28
	s_load_dwordx2 s[28:29], s[4:5], 0x40
	buffer_load_dword v1, off, s[40:43], 0 offset:1536 ; 4-byte Folded Reload
	s_and_b64 s[34:35], s[8:9], exec
	s_cselect_b32 s14, s17, s18
	s_waitcnt lgkmcnt(0)
	s_cselect_b32 s17, s25, s31
	s_cselect_b32 s27, s24, s30
	s_mul_hi_i32 s25, s14, s6
	s_mul_i32 s24, s14, s6
	s_lshl_b64 s[24:25], s[24:25], 1
	s_add_u32 s36, s27, s24
	s_addc_u32 s14, s17, s25
	s_and_b64 s[24:25], s[8:9], exec
	s_cselect_b32 s17, s29, s21
	s_mov_b32 s27, 0x20000
	s_cselect_b32 s24, s28, s20
	s_and_b32 s25, s17, 0xffff
	s_and_b32 s37, s14, 0xffff
	s_mov_b32 s38, s26
	s_mov_b32 s39, s27
	s_movk_i32 s17, 0x800
	s_movk_i32 s14, 0x400
	;; [unrolled: 1-line block ×3, first 2 shown]
	s_waitcnt vmcnt(0)
	v_lshlrev_b32_e32 v1, 1, v1
	buffer_load_dwordx4 v[116:119], v1, s[36:39], 0 offen glc slc
	buffer_load_dwordx4 v[34:37], v1, s[36:39], s14 offen glc slc
	;; [unrolled: 1-line block ×4, first 2 shown]
	buffer_load_dwordx4 v[112:115], v1, s[24:27], 0 offen
	buffer_load_dwordx4 v[108:111], v1, s[24:27], s14 offen
	;; [unrolled: 1-line block ×4, first 2 shown]
.LBB87_3:
	s_or_b64 exec, exec, s[2:3]
	s_load_dwordx2 s[28:29], s[4:5], 0x80
	s_and_b64 vcc, exec, s[22:23]
	s_cbranch_vccz .LBB87_7
; %bb.4:
	v_mov_b32_e32 v29, 0
	v_mov_b32_e32 v28, 0
	buffer_store_dword v0, off, s[40:43], 0 offset:1540 ; 4-byte Folded Spill
	s_nop 0
	buffer_store_dword v1, off, s[40:43], 0 offset:1544 ; 4-byte Folded Spill
	buffer_store_dword v2, off, s[40:43], 0 offset:1548 ; 4-byte Folded Spill
	;; [unrolled: 1-line block ×31, first 2 shown]
	v_mov_b32_e32 v27, 0
	v_mov_b32_e32 v26, 0
	;; [unrolled: 1-line block ×6, first 2 shown]
	buffer_store_dword v0, off, s[40:43], 0 offset:256 ; 4-byte Folded Spill
	s_nop 0
	buffer_store_dword v1, off, s[40:43], 0 offset:260 ; 4-byte Folded Spill
	buffer_store_dword v2, off, s[40:43], 0 offset:264 ; 4-byte Folded Spill
	buffer_store_dword v3, off, s[40:43], 0 offset:268 ; 4-byte Folded Spill
	buffer_store_dword v4, off, s[40:43], 0 offset:272 ; 4-byte Folded Spill
	buffer_store_dword v5, off, s[40:43], 0 offset:276 ; 4-byte Folded Spill
	buffer_store_dword v6, off, s[40:43], 0 offset:280 ; 4-byte Folded Spill
	buffer_store_dword v7, off, s[40:43], 0 offset:284 ; 4-byte Folded Spill
	buffer_store_dword v8, off, s[40:43], 0 offset:288 ; 4-byte Folded Spill
	buffer_store_dword v9, off, s[40:43], 0 offset:292 ; 4-byte Folded Spill
	buffer_store_dword v10, off, s[40:43], 0 offset:296 ; 4-byte Folded Spill
	buffer_store_dword v11, off, s[40:43], 0 offset:300 ; 4-byte Folded Spill
	buffer_store_dword v12, off, s[40:43], 0 offset:304 ; 4-byte Folded Spill
	buffer_store_dword v13, off, s[40:43], 0 offset:308 ; 4-byte Folded Spill
	buffer_store_dword v14, off, s[40:43], 0 offset:312 ; 4-byte Folded Spill
	buffer_store_dword v15, off, s[40:43], 0 offset:316 ; 4-byte Folded Spill
	buffer_store_dword v16, off, s[40:43], 0 offset:320 ; 4-byte Folded Spill
	buffer_store_dword v17, off, s[40:43], 0 offset:324 ; 4-byte Folded Spill
	buffer_store_dword v18, off, s[40:43], 0 offset:328 ; 4-byte Folded Spill
	buffer_store_dword v19, off, s[40:43], 0 offset:332 ; 4-byte Folded Spill
	buffer_store_dword v20, off, s[40:43], 0 offset:336 ; 4-byte Folded Spill
	buffer_store_dword v21, off, s[40:43], 0 offset:340 ; 4-byte Folded Spill
	buffer_store_dword v22, off, s[40:43], 0 offset:344 ; 4-byte Folded Spill
	buffer_store_dword v23, off, s[40:43], 0 offset:348 ; 4-byte Folded Spill
	buffer_store_dword v24, off, s[40:43], 0 offset:352 ; 4-byte Folded Spill
	buffer_store_dword v25, off, s[40:43], 0 offset:356 ; 4-byte Folded Spill
	buffer_store_dword v26, off, s[40:43], 0 offset:360 ; 4-byte Folded Spill
	buffer_store_dword v27, off, s[40:43], 0 offset:364 ; 4-byte Folded Spill
	buffer_store_dword v28, off, s[40:43], 0 offset:368 ; 4-byte Folded Spill
	buffer_store_dword v29, off, s[40:43], 0 offset:372 ; 4-byte Folded Spill
	buffer_store_dword v30, off, s[40:43], 0 offset:376 ; 4-byte Folded Spill
	buffer_store_dword v31, off, s[40:43], 0 offset:380 ; 4-byte Folded Spill
	v_mov_b32_e32 v25, 0
	v_mov_b32_e32 v24, 0
	buffer_store_dword v0, off, s[40:43], 0 offset:384 ; 4-byte Folded Spill
	s_nop 0
	buffer_store_dword v1, off, s[40:43], 0 offset:388 ; 4-byte Folded Spill
	buffer_store_dword v2, off, s[40:43], 0 offset:392 ; 4-byte Folded Spill
	buffer_store_dword v3, off, s[40:43], 0 offset:396 ; 4-byte Folded Spill
	buffer_store_dword v4, off, s[40:43], 0 offset:400 ; 4-byte Folded Spill
	buffer_store_dword v5, off, s[40:43], 0 offset:404 ; 4-byte Folded Spill
	buffer_store_dword v6, off, s[40:43], 0 offset:408 ; 4-byte Folded Spill
	buffer_store_dword v7, off, s[40:43], 0 offset:412 ; 4-byte Folded Spill
	buffer_store_dword v8, off, s[40:43], 0 offset:416 ; 4-byte Folded Spill
	buffer_store_dword v9, off, s[40:43], 0 offset:420 ; 4-byte Folded Spill
	buffer_store_dword v10, off, s[40:43], 0 offset:424 ; 4-byte Folded Spill
	buffer_store_dword v11, off, s[40:43], 0 offset:428 ; 4-byte Folded Spill
	buffer_store_dword v12, off, s[40:43], 0 offset:432 ; 4-byte Folded Spill
	buffer_store_dword v13, off, s[40:43], 0 offset:436 ; 4-byte Folded Spill
	buffer_store_dword v14, off, s[40:43], 0 offset:440 ; 4-byte Folded Spill
	buffer_store_dword v15, off, s[40:43], 0 offset:444 ; 4-byte Folded Spill
	buffer_store_dword v16, off, s[40:43], 0 offset:448 ; 4-byte Folded Spill
	buffer_store_dword v17, off, s[40:43], 0 offset:452 ; 4-byte Folded Spill
	buffer_store_dword v18, off, s[40:43], 0 offset:456 ; 4-byte Folded Spill
	buffer_store_dword v19, off, s[40:43], 0 offset:460 ; 4-byte Folded Spill
	buffer_store_dword v20, off, s[40:43], 0 offset:464 ; 4-byte Folded Spill
	buffer_store_dword v21, off, s[40:43], 0 offset:468 ; 4-byte Folded Spill
	buffer_store_dword v22, off, s[40:43], 0 offset:472 ; 4-byte Folded Spill
	buffer_store_dword v23, off, s[40:43], 0 offset:476 ; 4-byte Folded Spill
	buffer_store_dword v24, off, s[40:43], 0 offset:480 ; 4-byte Folded Spill
	buffer_store_dword v25, off, s[40:43], 0 offset:484 ; 4-byte Folded Spill
	buffer_store_dword v26, off, s[40:43], 0 offset:488 ; 4-byte Folded Spill
	buffer_store_dword v27, off, s[40:43], 0 offset:492 ; 4-byte Folded Spill
	buffer_store_dword v28, off, s[40:43], 0 offset:496 ; 4-byte Folded Spill
	buffer_store_dword v29, off, s[40:43], 0 offset:500 ; 4-byte Folded Spill
	buffer_store_dword v30, off, s[40:43], 0 offset:504 ; 4-byte Folded Spill
	buffer_store_dword v31, off, s[40:43], 0 offset:508 ; 4-byte Folded Spill
	v_mov_b32_e32 v23, 0
	v_mov_b32_e32 v22, 0
	buffer_store_dword v0, off, s[40:43], 0 ; 4-byte Folded Spill
	s_nop 0
	buffer_store_dword v1, off, s[40:43], 0 offset:4 ; 4-byte Folded Spill
	buffer_store_dword v2, off, s[40:43], 0 offset:8 ; 4-byte Folded Spill
	buffer_store_dword v3, off, s[40:43], 0 offset:12 ; 4-byte Folded Spill
	buffer_store_dword v4, off, s[40:43], 0 offset:16 ; 4-byte Folded Spill
	buffer_store_dword v5, off, s[40:43], 0 offset:20 ; 4-byte Folded Spill
	buffer_store_dword v6, off, s[40:43], 0 offset:24 ; 4-byte Folded Spill
	buffer_store_dword v7, off, s[40:43], 0 offset:28 ; 4-byte Folded Spill
	buffer_store_dword v8, off, s[40:43], 0 offset:32 ; 4-byte Folded Spill
	buffer_store_dword v9, off, s[40:43], 0 offset:36 ; 4-byte Folded Spill
	buffer_store_dword v10, off, s[40:43], 0 offset:40 ; 4-byte Folded Spill
	buffer_store_dword v11, off, s[40:43], 0 offset:44 ; 4-byte Folded Spill
	buffer_store_dword v12, off, s[40:43], 0 offset:48 ; 4-byte Folded Spill
	buffer_store_dword v13, off, s[40:43], 0 offset:52 ; 4-byte Folded Spill
	buffer_store_dword v14, off, s[40:43], 0 offset:56 ; 4-byte Folded Spill
	buffer_store_dword v15, off, s[40:43], 0 offset:60 ; 4-byte Folded Spill
	buffer_store_dword v16, off, s[40:43], 0 offset:64 ; 4-byte Folded Spill
	buffer_store_dword v17, off, s[40:43], 0 offset:68 ; 4-byte Folded Spill
	buffer_store_dword v18, off, s[40:43], 0 offset:72 ; 4-byte Folded Spill
	buffer_store_dword v19, off, s[40:43], 0 offset:76 ; 4-byte Folded Spill
	buffer_store_dword v20, off, s[40:43], 0 offset:80 ; 4-byte Folded Spill
	buffer_store_dword v21, off, s[40:43], 0 offset:84 ; 4-byte Folded Spill
	buffer_store_dword v22, off, s[40:43], 0 offset:88 ; 4-byte Folded Spill
	buffer_store_dword v23, off, s[40:43], 0 offset:92 ; 4-byte Folded Spill
	buffer_store_dword v24, off, s[40:43], 0 offset:96 ; 4-byte Folded Spill
	buffer_store_dword v25, off, s[40:43], 0 offset:100 ; 4-byte Folded Spill
	buffer_store_dword v26, off, s[40:43], 0 offset:104 ; 4-byte Folded Spill
	buffer_store_dword v27, off, s[40:43], 0 offset:108 ; 4-byte Folded Spill
	buffer_store_dword v28, off, s[40:43], 0 offset:112 ; 4-byte Folded Spill
	buffer_store_dword v29, off, s[40:43], 0 offset:116 ; 4-byte Folded Spill
	buffer_store_dword v30, off, s[40:43], 0 offset:120 ; 4-byte Folded Spill
	buffer_store_dword v31, off, s[40:43], 0 offset:124 ; 4-byte Folded Spill
	v_mov_b32_e32 v21, 0
	v_mov_b32_e32 v20, 0
	buffer_store_dword v0, off, s[40:43], 0 offset:128 ; 4-byte Folded Spill
	s_nop 0
	buffer_store_dword v1, off, s[40:43], 0 offset:132 ; 4-byte Folded Spill
	buffer_store_dword v2, off, s[40:43], 0 offset:136 ; 4-byte Folded Spill
	buffer_store_dword v3, off, s[40:43], 0 offset:140 ; 4-byte Folded Spill
	buffer_store_dword v4, off, s[40:43], 0 offset:144 ; 4-byte Folded Spill
	buffer_store_dword v5, off, s[40:43], 0 offset:148 ; 4-byte Folded Spill
	buffer_store_dword v6, off, s[40:43], 0 offset:152 ; 4-byte Folded Spill
	buffer_store_dword v7, off, s[40:43], 0 offset:156 ; 4-byte Folded Spill
	buffer_store_dword v8, off, s[40:43], 0 offset:160 ; 4-byte Folded Spill
	buffer_store_dword v9, off, s[40:43], 0 offset:164 ; 4-byte Folded Spill
	buffer_store_dword v10, off, s[40:43], 0 offset:168 ; 4-byte Folded Spill
	buffer_store_dword v11, off, s[40:43], 0 offset:172 ; 4-byte Folded Spill
	buffer_store_dword v12, off, s[40:43], 0 offset:176 ; 4-byte Folded Spill
	buffer_store_dword v13, off, s[40:43], 0 offset:180 ; 4-byte Folded Spill
	buffer_store_dword v14, off, s[40:43], 0 offset:184 ; 4-byte Folded Spill
	buffer_store_dword v15, off, s[40:43], 0 offset:188 ; 4-byte Folded Spill
	buffer_store_dword v16, off, s[40:43], 0 offset:192 ; 4-byte Folded Spill
	buffer_store_dword v17, off, s[40:43], 0 offset:196 ; 4-byte Folded Spill
	buffer_store_dword v18, off, s[40:43], 0 offset:200 ; 4-byte Folded Spill
	buffer_store_dword v19, off, s[40:43], 0 offset:204 ; 4-byte Folded Spill
	buffer_store_dword v20, off, s[40:43], 0 offset:208 ; 4-byte Folded Spill
	buffer_store_dword v21, off, s[40:43], 0 offset:212 ; 4-byte Folded Spill
	buffer_store_dword v22, off, s[40:43], 0 offset:216 ; 4-byte Folded Spill
	buffer_store_dword v23, off, s[40:43], 0 offset:220 ; 4-byte Folded Spill
	buffer_store_dword v24, off, s[40:43], 0 offset:224 ; 4-byte Folded Spill
	buffer_store_dword v25, off, s[40:43], 0 offset:228 ; 4-byte Folded Spill
	buffer_store_dword v26, off, s[40:43], 0 offset:232 ; 4-byte Folded Spill
	buffer_store_dword v27, off, s[40:43], 0 offset:236 ; 4-byte Folded Spill
	buffer_store_dword v28, off, s[40:43], 0 offset:240 ; 4-byte Folded Spill
	buffer_store_dword v29, off, s[40:43], 0 offset:244 ; 4-byte Folded Spill
	buffer_store_dword v30, off, s[40:43], 0 offset:248 ; 4-byte Folded Spill
	buffer_store_dword v31, off, s[40:43], 0 offset:252 ; 4-byte Folded Spill
	v_mov_b32_e32 v19, 0
	v_mov_b32_e32 v18, 0
	buffer_store_dword v0, off, s[40:43], 0 offset:768 ; 4-byte Folded Spill
	;; [unrolled: 35-line block ×9, first 2 shown]
	s_nop 0
	buffer_store_dword v1, off, s[40:43], 0 offset:1284 ; 4-byte Folded Spill
	buffer_store_dword v2, off, s[40:43], 0 offset:1288 ; 4-byte Folded Spill
	;; [unrolled: 1-line block ×31, first 2 shown]
	v_mov_b32_e32 v3, 0
	v_mov_b32_e32 v2, 0
	s_and_saveexec_b64 s[2:3], s[0:1]
	s_cbranch_execz .LBB87_6
; %bb.5:
	s_waitcnt vmcnt(62)
	v_cvt_f32_f16_sdwa v3, v116 dst_sel:DWORD dst_unused:UNUSED_PAD src0_sel:WORD_1
	v_cvt_f32_f16_e32 v2, v116
	v_cvt_f32_f16_sdwa v5, v118 dst_sel:DWORD dst_unused:UNUSED_PAD src0_sel:WORD_1
	v_cvt_f32_f16_e32 v4, v118
	buffer_store_dword v0, off, s[40:43], 0 offset:1280 ; 4-byte Folded Spill
	s_nop 0
	buffer_store_dword v1, off, s[40:43], 0 offset:1284 ; 4-byte Folded Spill
	buffer_store_dword v2, off, s[40:43], 0 offset:1288 ; 4-byte Folded Spill
	;; [unrolled: 1-line block ×31, first 2 shown]
	v_cvt_f32_f16_sdwa v7, v119 dst_sel:DWORD dst_unused:UNUSED_PAD src0_sel:WORD_1
	v_cvt_f32_f16_e32 v6, v119
	v_cvt_f32_f16_sdwa v75, v117 dst_sel:DWORD dst_unused:UNUSED_PAD src0_sel:WORD_1
	v_cvt_f32_f16_e32 v74, v117
	;; [unrolled: 2-line block ×3, first 2 shown]
	buffer_store_dword v0, off, s[40:43], 0 offset:1152 ; 4-byte Folded Spill
	s_nop 0
	buffer_store_dword v1, off, s[40:43], 0 offset:1156 ; 4-byte Folded Spill
	buffer_store_dword v2, off, s[40:43], 0 offset:1160 ; 4-byte Folded Spill
	buffer_store_dword v3, off, s[40:43], 0 offset:1164 ; 4-byte Folded Spill
	buffer_store_dword v4, off, s[40:43], 0 offset:1168 ; 4-byte Folded Spill
	buffer_store_dword v5, off, s[40:43], 0 offset:1172 ; 4-byte Folded Spill
	buffer_store_dword v6, off, s[40:43], 0 offset:1176 ; 4-byte Folded Spill
	buffer_store_dword v7, off, s[40:43], 0 offset:1180 ; 4-byte Folded Spill
	buffer_store_dword v8, off, s[40:43], 0 offset:1184 ; 4-byte Folded Spill
	buffer_store_dword v9, off, s[40:43], 0 offset:1188 ; 4-byte Folded Spill
	buffer_store_dword v10, off, s[40:43], 0 offset:1192 ; 4-byte Folded Spill
	buffer_store_dword v11, off, s[40:43], 0 offset:1196 ; 4-byte Folded Spill
	buffer_store_dword v12, off, s[40:43], 0 offset:1200 ; 4-byte Folded Spill
	buffer_store_dword v13, off, s[40:43], 0 offset:1204 ; 4-byte Folded Spill
	buffer_store_dword v14, off, s[40:43], 0 offset:1208 ; 4-byte Folded Spill
	buffer_store_dword v15, off, s[40:43], 0 offset:1212 ; 4-byte Folded Spill
	buffer_store_dword v16, off, s[40:43], 0 offset:1216 ; 4-byte Folded Spill
	buffer_store_dword v17, off, s[40:43], 0 offset:1220 ; 4-byte Folded Spill
	buffer_store_dword v18, off, s[40:43], 0 offset:1224 ; 4-byte Folded Spill
	buffer_store_dword v19, off, s[40:43], 0 offset:1228 ; 4-byte Folded Spill
	buffer_store_dword v20, off, s[40:43], 0 offset:1232 ; 4-byte Folded Spill
	buffer_store_dword v21, off, s[40:43], 0 offset:1236 ; 4-byte Folded Spill
	buffer_store_dword v22, off, s[40:43], 0 offset:1240 ; 4-byte Folded Spill
	buffer_store_dword v23, off, s[40:43], 0 offset:1244 ; 4-byte Folded Spill
	buffer_store_dword v24, off, s[40:43], 0 offset:1248 ; 4-byte Folded Spill
	buffer_store_dword v25, off, s[40:43], 0 offset:1252 ; 4-byte Folded Spill
	buffer_store_dword v26, off, s[40:43], 0 offset:1256 ; 4-byte Folded Spill
	buffer_store_dword v27, off, s[40:43], 0 offset:1260 ; 4-byte Folded Spill
	buffer_store_dword v28, off, s[40:43], 0 offset:1264 ; 4-byte Folded Spill
	buffer_store_dword v29, off, s[40:43], 0 offset:1268 ; 4-byte Folded Spill
	buffer_store_dword v30, off, s[40:43], 0 offset:1272 ; 4-byte Folded Spill
	buffer_store_dword v31, off, s[40:43], 0 offset:1276 ; 4-byte Folded Spill
	v_cvt_f32_f16_sdwa v9, v34 dst_sel:DWORD dst_unused:UNUSED_PAD src0_sel:WORD_1
	v_cvt_f32_f16_e32 v8, v34
	buffer_store_dword v0, off, s[40:43], 0 offset:1408 ; 4-byte Folded Spill
	s_nop 0
	buffer_store_dword v1, off, s[40:43], 0 offset:1412 ; 4-byte Folded Spill
	buffer_store_dword v2, off, s[40:43], 0 offset:1416 ; 4-byte Folded Spill
	buffer_store_dword v3, off, s[40:43], 0 offset:1420 ; 4-byte Folded Spill
	buffer_store_dword v4, off, s[40:43], 0 offset:1424 ; 4-byte Folded Spill
	buffer_store_dword v5, off, s[40:43], 0 offset:1428 ; 4-byte Folded Spill
	buffer_store_dword v6, off, s[40:43], 0 offset:1432 ; 4-byte Folded Spill
	buffer_store_dword v7, off, s[40:43], 0 offset:1436 ; 4-byte Folded Spill
	buffer_store_dword v8, off, s[40:43], 0 offset:1440 ; 4-byte Folded Spill
	buffer_store_dword v9, off, s[40:43], 0 offset:1444 ; 4-byte Folded Spill
	buffer_store_dword v10, off, s[40:43], 0 offset:1448 ; 4-byte Folded Spill
	buffer_store_dword v11, off, s[40:43], 0 offset:1452 ; 4-byte Folded Spill
	buffer_store_dword v12, off, s[40:43], 0 offset:1456 ; 4-byte Folded Spill
	buffer_store_dword v13, off, s[40:43], 0 offset:1460 ; 4-byte Folded Spill
	buffer_store_dword v14, off, s[40:43], 0 offset:1464 ; 4-byte Folded Spill
	buffer_store_dword v15, off, s[40:43], 0 offset:1468 ; 4-byte Folded Spill
	buffer_store_dword v16, off, s[40:43], 0 offset:1472 ; 4-byte Folded Spill
	buffer_store_dword v17, off, s[40:43], 0 offset:1476 ; 4-byte Folded Spill
	buffer_store_dword v18, off, s[40:43], 0 offset:1480 ; 4-byte Folded Spill
	buffer_store_dword v19, off, s[40:43], 0 offset:1484 ; 4-byte Folded Spill
	buffer_store_dword v20, off, s[40:43], 0 offset:1488 ; 4-byte Folded Spill
	buffer_store_dword v21, off, s[40:43], 0 offset:1492 ; 4-byte Folded Spill
	buffer_store_dword v22, off, s[40:43], 0 offset:1496 ; 4-byte Folded Spill
	buffer_store_dword v23, off, s[40:43], 0 offset:1500 ; 4-byte Folded Spill
	buffer_store_dword v24, off, s[40:43], 0 offset:1504 ; 4-byte Folded Spill
	buffer_store_dword v25, off, s[40:43], 0 offset:1508 ; 4-byte Folded Spill
	buffer_store_dword v26, off, s[40:43], 0 offset:1512 ; 4-byte Folded Spill
	buffer_store_dword v27, off, s[40:43], 0 offset:1516 ; 4-byte Folded Spill
	buffer_store_dword v28, off, s[40:43], 0 offset:1520 ; 4-byte Folded Spill
	buffer_store_dword v29, off, s[40:43], 0 offset:1524 ; 4-byte Folded Spill
	buffer_store_dword v30, off, s[40:43], 0 offset:1528 ; 4-byte Folded Spill
	buffer_store_dword v31, off, s[40:43], 0 offset:1532 ; 4-byte Folded Spill
	v_cvt_f32_f16_sdwa v11, v35 dst_sel:DWORD dst_unused:UNUSED_PAD src0_sel:WORD_1
	v_cvt_f32_f16_e32 v10, v35
	;; [unrolled: 35-line block ×8, first 2 shown]
	buffer_store_dword v0, off, s[40:43], 0 ; 4-byte Folded Spill
	s_nop 0
	buffer_store_dword v1, off, s[40:43], 0 offset:4 ; 4-byte Folded Spill
	buffer_store_dword v2, off, s[40:43], 0 offset:8 ; 4-byte Folded Spill
	buffer_store_dword v3, off, s[40:43], 0 offset:12 ; 4-byte Folded Spill
	buffer_store_dword v4, off, s[40:43], 0 offset:16 ; 4-byte Folded Spill
	buffer_store_dword v5, off, s[40:43], 0 offset:20 ; 4-byte Folded Spill
	buffer_store_dword v6, off, s[40:43], 0 offset:24 ; 4-byte Folded Spill
	buffer_store_dword v7, off, s[40:43], 0 offset:28 ; 4-byte Folded Spill
	buffer_store_dword v8, off, s[40:43], 0 offset:32 ; 4-byte Folded Spill
	buffer_store_dword v9, off, s[40:43], 0 offset:36 ; 4-byte Folded Spill
	buffer_store_dword v10, off, s[40:43], 0 offset:40 ; 4-byte Folded Spill
	buffer_store_dword v11, off, s[40:43], 0 offset:44 ; 4-byte Folded Spill
	buffer_store_dword v12, off, s[40:43], 0 offset:48 ; 4-byte Folded Spill
	buffer_store_dword v13, off, s[40:43], 0 offset:52 ; 4-byte Folded Spill
	buffer_store_dword v14, off, s[40:43], 0 offset:56 ; 4-byte Folded Spill
	buffer_store_dword v15, off, s[40:43], 0 offset:60 ; 4-byte Folded Spill
	buffer_store_dword v16, off, s[40:43], 0 offset:64 ; 4-byte Folded Spill
	buffer_store_dword v17, off, s[40:43], 0 offset:68 ; 4-byte Folded Spill
	buffer_store_dword v18, off, s[40:43], 0 offset:72 ; 4-byte Folded Spill
	buffer_store_dword v19, off, s[40:43], 0 offset:76 ; 4-byte Folded Spill
	buffer_store_dword v20, off, s[40:43], 0 offset:80 ; 4-byte Folded Spill
	buffer_store_dword v21, off, s[40:43], 0 offset:84 ; 4-byte Folded Spill
	buffer_store_dword v22, off, s[40:43], 0 offset:88 ; 4-byte Folded Spill
	buffer_store_dword v23, off, s[40:43], 0 offset:92 ; 4-byte Folded Spill
	buffer_store_dword v24, off, s[40:43], 0 offset:96 ; 4-byte Folded Spill
	buffer_store_dword v25, off, s[40:43], 0 offset:100 ; 4-byte Folded Spill
	buffer_store_dword v26, off, s[40:43], 0 offset:104 ; 4-byte Folded Spill
	buffer_store_dword v27, off, s[40:43], 0 offset:108 ; 4-byte Folded Spill
	buffer_store_dword v28, off, s[40:43], 0 offset:112 ; 4-byte Folded Spill
	buffer_store_dword v29, off, s[40:43], 0 offset:116 ; 4-byte Folded Spill
	buffer_store_dword v30, off, s[40:43], 0 offset:120 ; 4-byte Folded Spill
	buffer_store_dword v31, off, s[40:43], 0 offset:124 ; 4-byte Folded Spill
	v_cvt_f32_f16_sdwa v25, v120 dst_sel:DWORD dst_unused:UNUSED_PAD src0_sel:WORD_1
	v_cvt_f32_f16_e32 v24, v120
	buffer_store_dword v0, off, s[40:43], 0 offset:384 ; 4-byte Folded Spill
	s_nop 0
	buffer_store_dword v1, off, s[40:43], 0 offset:388 ; 4-byte Folded Spill
	buffer_store_dword v2, off, s[40:43], 0 offset:392 ; 4-byte Folded Spill
	buffer_store_dword v3, off, s[40:43], 0 offset:396 ; 4-byte Folded Spill
	buffer_store_dword v4, off, s[40:43], 0 offset:400 ; 4-byte Folded Spill
	buffer_store_dword v5, off, s[40:43], 0 offset:404 ; 4-byte Folded Spill
	buffer_store_dword v6, off, s[40:43], 0 offset:408 ; 4-byte Folded Spill
	buffer_store_dword v7, off, s[40:43], 0 offset:412 ; 4-byte Folded Spill
	buffer_store_dword v8, off, s[40:43], 0 offset:416 ; 4-byte Folded Spill
	buffer_store_dword v9, off, s[40:43], 0 offset:420 ; 4-byte Folded Spill
	buffer_store_dword v10, off, s[40:43], 0 offset:424 ; 4-byte Folded Spill
	buffer_store_dword v11, off, s[40:43], 0 offset:428 ; 4-byte Folded Spill
	buffer_store_dword v12, off, s[40:43], 0 offset:432 ; 4-byte Folded Spill
	buffer_store_dword v13, off, s[40:43], 0 offset:436 ; 4-byte Folded Spill
	buffer_store_dword v14, off, s[40:43], 0 offset:440 ; 4-byte Folded Spill
	buffer_store_dword v15, off, s[40:43], 0 offset:444 ; 4-byte Folded Spill
	buffer_store_dword v16, off, s[40:43], 0 offset:448 ; 4-byte Folded Spill
	buffer_store_dword v17, off, s[40:43], 0 offset:452 ; 4-byte Folded Spill
	buffer_store_dword v18, off, s[40:43], 0 offset:456 ; 4-byte Folded Spill
	buffer_store_dword v19, off, s[40:43], 0 offset:460 ; 4-byte Folded Spill
	buffer_store_dword v20, off, s[40:43], 0 offset:464 ; 4-byte Folded Spill
	buffer_store_dword v21, off, s[40:43], 0 offset:468 ; 4-byte Folded Spill
	buffer_store_dword v22, off, s[40:43], 0 offset:472 ; 4-byte Folded Spill
	buffer_store_dword v23, off, s[40:43], 0 offset:476 ; 4-byte Folded Spill
	buffer_store_dword v24, off, s[40:43], 0 offset:480 ; 4-byte Folded Spill
	buffer_store_dword v25, off, s[40:43], 0 offset:484 ; 4-byte Folded Spill
	buffer_store_dword v26, off, s[40:43], 0 offset:488 ; 4-byte Folded Spill
	buffer_store_dword v27, off, s[40:43], 0 offset:492 ; 4-byte Folded Spill
	buffer_store_dword v28, off, s[40:43], 0 offset:496 ; 4-byte Folded Spill
	buffer_store_dword v29, off, s[40:43], 0 offset:500 ; 4-byte Folded Spill
	buffer_store_dword v30, off, s[40:43], 0 offset:504 ; 4-byte Folded Spill
	buffer_store_dword v31, off, s[40:43], 0 offset:508 ; 4-byte Folded Spill
	v_cvt_f32_f16_sdwa v27, v121 dst_sel:DWORD dst_unused:UNUSED_PAD src0_sel:WORD_1
	v_cvt_f32_f16_e32 v26, v121
	buffer_store_dword v0, off, s[40:43], 0 offset:256 ; 4-byte Folded Spill
	;; [unrolled: 35-line block ×3, first 2 shown]
	s_nop 0
	buffer_store_dword v1, off, s[40:43], 0 offset:1544 ; 4-byte Folded Spill
	buffer_store_dword v2, off, s[40:43], 0 offset:1548 ; 4-byte Folded Spill
	;; [unrolled: 1-line block ×31, first 2 shown]
.LBB87_6:
	s_or_b64 exec, exec, s[2:3]
	s_cbranch_execz .LBB87_8
	s_branch .LBB87_11
.LBB87_7:
                                        ; implicit-def: $vgpr72_vgpr73_vgpr74_vgpr75_vgpr76_vgpr77_vgpr78_vgpr79_vgpr80_vgpr81_vgpr82_vgpr83_vgpr84_vgpr85_vgpr86_vgpr87_vgpr88_vgpr89_vgpr90_vgpr91_vgpr92_vgpr93_vgpr94_vgpr95_vgpr96_vgpr97_vgpr98_vgpr99_vgpr100_vgpr101_vgpr102_vgpr103
                                        ; implicit-def: $vgpr42_vgpr43_vgpr44_vgpr45_vgpr46_vgpr47_vgpr48_vgpr49_vgpr50_vgpr51_vgpr52_vgpr53_vgpr54_vgpr55_vgpr56_vgpr57_vgpr58_vgpr59_vgpr60_vgpr61_vgpr62_vgpr63_vgpr64_vgpr65_vgpr66_vgpr67_vgpr68_vgpr69_vgpr70_vgpr71_vgpr72_vgpr73
                                        ; kill: killed $vgpr42_vgpr43_vgpr44_vgpr45_vgpr46_vgpr47_vgpr48_vgpr49_vgpr50_vgpr51_vgpr52_vgpr53_vgpr54_vgpr55_vgpr56_vgpr57_vgpr58_vgpr59_vgpr60_vgpr61_vgpr62_vgpr63_vgpr64_vgpr65_vgpr66_vgpr67_vgpr68_vgpr69_vgpr70_vgpr71_vgpr72_vgpr73
                                        ; implicit-def: $vgpr2_vgpr3_vgpr4_vgpr5_vgpr6_vgpr7_vgpr8_vgpr9_vgpr10_vgpr11_vgpr12_vgpr13_vgpr14_vgpr15_vgpr16_vgpr17_vgpr18_vgpr19_vgpr20_vgpr21_vgpr22_vgpr23_vgpr24_vgpr25_vgpr26_vgpr27_vgpr28_vgpr29_vgpr30_vgpr31_vgpr32_vgpr33
                                        ; implicit-def: $vgpr77
                                        ; implicit-def: $vgpr42_vgpr43_vgpr44_vgpr45_vgpr46_vgpr47_vgpr48_vgpr49_vgpr50_vgpr51_vgpr52_vgpr53_vgpr54_vgpr55_vgpr56_vgpr57_vgpr58_vgpr59_vgpr60_vgpr61_vgpr62_vgpr63_vgpr64_vgpr65_vgpr66_vgpr67_vgpr68_vgpr69_vgpr70_vgpr71_vgpr72_vgpr73
                                        ; kill: killed $vgpr42_vgpr43_vgpr44_vgpr45_vgpr46_vgpr47_vgpr48_vgpr49_vgpr50_vgpr51_vgpr52_vgpr53_vgpr54_vgpr55_vgpr56_vgpr57_vgpr58_vgpr59_vgpr60_vgpr61_vgpr62_vgpr63_vgpr64_vgpr65_vgpr66_vgpr67_vgpr68_vgpr69_vgpr70_vgpr71_vgpr72_vgpr73
                                        ; implicit-def: $vgpr42_vgpr43_vgpr44_vgpr45_vgpr46_vgpr47_vgpr48_vgpr49_vgpr50_vgpr51_vgpr52_vgpr53_vgpr54_vgpr55_vgpr56_vgpr57_vgpr58_vgpr59_vgpr60_vgpr61_vgpr62_vgpr63_vgpr64_vgpr65_vgpr66_vgpr67_vgpr68_vgpr69_vgpr70_vgpr71_vgpr72_vgpr73
                                        ; kill: killed $vgpr42_vgpr43_vgpr44_vgpr45_vgpr46_vgpr47_vgpr48_vgpr49_vgpr50_vgpr51_vgpr52_vgpr53_vgpr54_vgpr55_vgpr56_vgpr57_vgpr58_vgpr59_vgpr60_vgpr61_vgpr62_vgpr63_vgpr64_vgpr65_vgpr66_vgpr67_vgpr68_vgpr69_vgpr70_vgpr71_vgpr72_vgpr73
	;; [unrolled: 2-line block ×12, first 2 shown]
.LBB87_8:
	v_mov_b32_e32 v29, 0
	v_mov_b32_e32 v28, 0
	buffer_store_dword v0, off, s[40:43], 0 offset:1540 ; 4-byte Folded Spill
	s_nop 0
	buffer_store_dword v1, off, s[40:43], 0 offset:1544 ; 4-byte Folded Spill
	buffer_store_dword v2, off, s[40:43], 0 offset:1548 ; 4-byte Folded Spill
	;; [unrolled: 1-line block ×31, first 2 shown]
	v_mov_b32_e32 v27, 0
	v_mov_b32_e32 v26, 0
	;; [unrolled: 1-line block ×6, first 2 shown]
	buffer_store_dword v0, off, s[40:43], 0 offset:256 ; 4-byte Folded Spill
	s_nop 0
	buffer_store_dword v1, off, s[40:43], 0 offset:260 ; 4-byte Folded Spill
	buffer_store_dword v2, off, s[40:43], 0 offset:264 ; 4-byte Folded Spill
	;; [unrolled: 1-line block ×31, first 2 shown]
	v_mov_b32_e32 v25, 0
	v_mov_b32_e32 v24, 0
	buffer_store_dword v0, off, s[40:43], 0 offset:384 ; 4-byte Folded Spill
	s_nop 0
	buffer_store_dword v1, off, s[40:43], 0 offset:388 ; 4-byte Folded Spill
	buffer_store_dword v2, off, s[40:43], 0 offset:392 ; 4-byte Folded Spill
	;; [unrolled: 1-line block ×31, first 2 shown]
	v_mov_b32_e32 v23, 0
	v_mov_b32_e32 v22, 0
	buffer_store_dword v0, off, s[40:43], 0 ; 4-byte Folded Spill
	s_nop 0
	buffer_store_dword v1, off, s[40:43], 0 offset:4 ; 4-byte Folded Spill
	buffer_store_dword v2, off, s[40:43], 0 offset:8 ; 4-byte Folded Spill
	buffer_store_dword v3, off, s[40:43], 0 offset:12 ; 4-byte Folded Spill
	buffer_store_dword v4, off, s[40:43], 0 offset:16 ; 4-byte Folded Spill
	buffer_store_dword v5, off, s[40:43], 0 offset:20 ; 4-byte Folded Spill
	buffer_store_dword v6, off, s[40:43], 0 offset:24 ; 4-byte Folded Spill
	buffer_store_dword v7, off, s[40:43], 0 offset:28 ; 4-byte Folded Spill
	buffer_store_dword v8, off, s[40:43], 0 offset:32 ; 4-byte Folded Spill
	buffer_store_dword v9, off, s[40:43], 0 offset:36 ; 4-byte Folded Spill
	buffer_store_dword v10, off, s[40:43], 0 offset:40 ; 4-byte Folded Spill
	buffer_store_dword v11, off, s[40:43], 0 offset:44 ; 4-byte Folded Spill
	buffer_store_dword v12, off, s[40:43], 0 offset:48 ; 4-byte Folded Spill
	buffer_store_dword v13, off, s[40:43], 0 offset:52 ; 4-byte Folded Spill
	buffer_store_dword v14, off, s[40:43], 0 offset:56 ; 4-byte Folded Spill
	buffer_store_dword v15, off, s[40:43], 0 offset:60 ; 4-byte Folded Spill
	buffer_store_dword v16, off, s[40:43], 0 offset:64 ; 4-byte Folded Spill
	buffer_store_dword v17, off, s[40:43], 0 offset:68 ; 4-byte Folded Spill
	buffer_store_dword v18, off, s[40:43], 0 offset:72 ; 4-byte Folded Spill
	buffer_store_dword v19, off, s[40:43], 0 offset:76 ; 4-byte Folded Spill
	buffer_store_dword v20, off, s[40:43], 0 offset:80 ; 4-byte Folded Spill
	buffer_store_dword v21, off, s[40:43], 0 offset:84 ; 4-byte Folded Spill
	buffer_store_dword v22, off, s[40:43], 0 offset:88 ; 4-byte Folded Spill
	buffer_store_dword v23, off, s[40:43], 0 offset:92 ; 4-byte Folded Spill
	buffer_store_dword v24, off, s[40:43], 0 offset:96 ; 4-byte Folded Spill
	buffer_store_dword v25, off, s[40:43], 0 offset:100 ; 4-byte Folded Spill
	buffer_store_dword v26, off, s[40:43], 0 offset:104 ; 4-byte Folded Spill
	buffer_store_dword v27, off, s[40:43], 0 offset:108 ; 4-byte Folded Spill
	buffer_store_dword v28, off, s[40:43], 0 offset:112 ; 4-byte Folded Spill
	buffer_store_dword v29, off, s[40:43], 0 offset:116 ; 4-byte Folded Spill
	buffer_store_dword v30, off, s[40:43], 0 offset:120 ; 4-byte Folded Spill
	buffer_store_dword v31, off, s[40:43], 0 offset:124 ; 4-byte Folded Spill
	v_mov_b32_e32 v21, 0
	v_mov_b32_e32 v20, 0
	buffer_store_dword v0, off, s[40:43], 0 offset:128 ; 4-byte Folded Spill
	s_nop 0
	buffer_store_dword v1, off, s[40:43], 0 offset:132 ; 4-byte Folded Spill
	buffer_store_dword v2, off, s[40:43], 0 offset:136 ; 4-byte Folded Spill
	buffer_store_dword v3, off, s[40:43], 0 offset:140 ; 4-byte Folded Spill
	buffer_store_dword v4, off, s[40:43], 0 offset:144 ; 4-byte Folded Spill
	buffer_store_dword v5, off, s[40:43], 0 offset:148 ; 4-byte Folded Spill
	buffer_store_dword v6, off, s[40:43], 0 offset:152 ; 4-byte Folded Spill
	buffer_store_dword v7, off, s[40:43], 0 offset:156 ; 4-byte Folded Spill
	buffer_store_dword v8, off, s[40:43], 0 offset:160 ; 4-byte Folded Spill
	buffer_store_dword v9, off, s[40:43], 0 offset:164 ; 4-byte Folded Spill
	buffer_store_dword v10, off, s[40:43], 0 offset:168 ; 4-byte Folded Spill
	buffer_store_dword v11, off, s[40:43], 0 offset:172 ; 4-byte Folded Spill
	buffer_store_dword v12, off, s[40:43], 0 offset:176 ; 4-byte Folded Spill
	buffer_store_dword v13, off, s[40:43], 0 offset:180 ; 4-byte Folded Spill
	buffer_store_dword v14, off, s[40:43], 0 offset:184 ; 4-byte Folded Spill
	buffer_store_dword v15, off, s[40:43], 0 offset:188 ; 4-byte Folded Spill
	buffer_store_dword v16, off, s[40:43], 0 offset:192 ; 4-byte Folded Spill
	buffer_store_dword v17, off, s[40:43], 0 offset:196 ; 4-byte Folded Spill
	buffer_store_dword v18, off, s[40:43], 0 offset:200 ; 4-byte Folded Spill
	buffer_store_dword v19, off, s[40:43], 0 offset:204 ; 4-byte Folded Spill
	buffer_store_dword v20, off, s[40:43], 0 offset:208 ; 4-byte Folded Spill
	buffer_store_dword v21, off, s[40:43], 0 offset:212 ; 4-byte Folded Spill
	buffer_store_dword v22, off, s[40:43], 0 offset:216 ; 4-byte Folded Spill
	buffer_store_dword v23, off, s[40:43], 0 offset:220 ; 4-byte Folded Spill
	buffer_store_dword v24, off, s[40:43], 0 offset:224 ; 4-byte Folded Spill
	buffer_store_dword v25, off, s[40:43], 0 offset:228 ; 4-byte Folded Spill
	buffer_store_dword v26, off, s[40:43], 0 offset:232 ; 4-byte Folded Spill
	buffer_store_dword v27, off, s[40:43], 0 offset:236 ; 4-byte Folded Spill
	buffer_store_dword v28, off, s[40:43], 0 offset:240 ; 4-byte Folded Spill
	buffer_store_dword v29, off, s[40:43], 0 offset:244 ; 4-byte Folded Spill
	buffer_store_dword v30, off, s[40:43], 0 offset:248 ; 4-byte Folded Spill
	buffer_store_dword v31, off, s[40:43], 0 offset:252 ; 4-byte Folded Spill
	v_mov_b32_e32 v19, 0
	v_mov_b32_e32 v18, 0
	buffer_store_dword v0, off, s[40:43], 0 offset:768 ; 4-byte Folded Spill
	;; [unrolled: 35-line block ×9, first 2 shown]
	s_nop 0
	buffer_store_dword v1, off, s[40:43], 0 offset:1284 ; 4-byte Folded Spill
	buffer_store_dword v2, off, s[40:43], 0 offset:1288 ; 4-byte Folded Spill
	;; [unrolled: 1-line block ×31, first 2 shown]
	v_mov_b32_e32 v3, 0
	v_mov_b32_e32 v2, 0
	s_and_saveexec_b64 s[2:3], s[0:1]
	s_cbranch_execz .LBB87_10
; %bb.9:
	buffer_load_dword v1, off, s[40:43], 0 offset:1536 ; 4-byte Folded Reload
	s_load_dwordx2 s[24:25], s[4:5], 0x38
	s_load_dwordx2 s[36:37], s[4:5], 0x20
	s_mul_hi_i32 s35, s19, s6
	s_mul_i32 s34, s19, s6
	s_lshl_b64 s[34:35], s[34:35], 1
	s_waitcnt lgkmcnt(0)
	s_add_u32 s24, s24, s34
	s_addc_u32 s14, s25, s35
	s_mov_b32 s27, 0x20000
	s_and_b32 s25, s14, 0xffff
	s_movk_i32 s17, 0x400
	s_movk_i32 s19, 0x800
	;; [unrolled: 1-line block ×3, first 2 shown]
	s_waitcnt vmcnt(62)
	v_cvt_f32_f16_sdwa v49, v119 dst_sel:DWORD dst_unused:UNUSED_PAD src0_sel:WORD_1
	v_cvt_f32_f16_e32 v48, v119
	v_cvt_f32_f16_sdwa v47, v118 dst_sel:DWORD dst_unused:UNUSED_PAD src0_sel:WORD_1
	v_cvt_f32_f16_e32 v46, v118
	;; [unrolled: 2-line block ×16, first 2 shown]
	s_waitcnt vmcnt(0)
	v_lshlrev_b32_e32 v66, 1, v1
	buffer_load_dwordx4 v[16:19], v66, s[24:27], s17 offen glc slc
	buffer_load_dwordx4 v[20:23], v66, s[24:27], s19 offen glc slc
	;; [unrolled: 1-line block ×4, first 2 shown]
	s_mul_hi_i32 s25, s29, s6
	s_mul_i32 s24, s29, s6
	s_lshl_b64 s[24:25], s[24:25], 1
	s_add_u32 s24, s36, s24
	s_addc_u32 s25, s37, s25
	s_and_b32 s25, s25, 0xffff
	s_waitcnt vmcnt(3)
	v_cvt_f32_f16_e32 v50, v16
	s_waitcnt vmcnt(2)
	v_cvt_f32_f16_e32 v58, v20
	v_cvt_f32_f16_sdwa v59, v20 dst_sel:DWORD dst_unused:UNUSED_PAD src0_sel:WORD_1
	v_cvt_f32_f16_e32 v60, v21
	v_cvt_f32_f16_sdwa v61, v21 dst_sel:DWORD dst_unused:UNUSED_PAD src0_sel:WORD_1
	s_waitcnt vmcnt(0)
	v_cvt_f32_f16_e32 v20, v30
	v_cvt_f32_f16_sdwa v21, v30 dst_sel:DWORD dst_unused:UNUSED_PAD src0_sel:WORD_1
	v_cvt_f32_f16_e32 v30, v31
	v_cvt_f32_f16_sdwa v31, v31 dst_sel:DWORD dst_unused:UNUSED_PAD src0_sel:WORD_1
	v_cvt_f32_f16_sdwa v51, v16 dst_sel:DWORD dst_unused:UNUSED_PAD src0_sel:WORD_1
	v_cvt_f32_f16_e32 v52, v17
	v_cvt_f32_f16_sdwa v53, v17 dst_sel:DWORD dst_unused:UNUSED_PAD src0_sel:WORD_1
	v_cvt_f32_f16_e32 v54, v18
	;; [unrolled: 2-line block ×9, first 2 shown]
	v_cvt_f32_f16_sdwa v19, v29 dst_sel:DWORD dst_unused:UNUSED_PAD src0_sel:WORD_1
	v_pk_add_f32 v[28:29], v[48:49], v[30:31]
	v_pk_add_f32 v[46:47], v[46:47], v[20:21]
	v_pk_mov_b32 v[30:31], v[28:29], v[28:29] op_sel:[0,1]
	v_cvt_f16_f32_e32 v20, v47
	v_cvt_f16_f32_e32 v21, v29
	buffer_store_dword v24, off, s[40:43], 0 offset:1152 ; 4-byte Folded Spill
	s_nop 0
	buffer_store_dword v25, off, s[40:43], 0 offset:1156 ; 4-byte Folded Spill
	buffer_store_dword v26, off, s[40:43], 0 offset:1160 ; 4-byte Folded Spill
	;; [unrolled: 1-line block ×31, first 2 shown]
	v_pk_add_f32 v[2:3], v[2:3], v[64:65]
	v_cvt_f32_f16_e32 v62, v22
	v_cvt_f32_f16_sdwa v63, v22 dst_sel:DWORD dst_unused:UNUSED_PAD src0_sel:WORD_1
	v_cvt_f32_f16_e32 v22, v23
	v_cvt_f32_f16_sdwa v23, v23 dst_sel:DWORD dst_unused:UNUSED_PAD src0_sel:WORD_1
	v_cvt_f16_f32_e32 v28, v28
	v_pk_mov_b32 v[30:31], v[46:47], v[46:47] op_sel:[0,1]
	buffer_store_dword v26, off, s[40:43], 0 offset:1280 ; 4-byte Folded Spill
	s_nop 0
	buffer_store_dword v27, off, s[40:43], 0 offset:1284 ; 4-byte Folded Spill
	buffer_store_dword v28, off, s[40:43], 0 offset:1288 ; 4-byte Folded Spill
	;; [unrolled: 1-line block ×31, first 2 shown]
	v_pk_add_f32 v[74:75], v[40:41], v[18:19]
	v_cvt_f16_f32_e32 v18, v75
	v_cvt_f16_f32_e32 v19, v74
	;; [unrolled: 1-line block ×3, first 2 shown]
	v_pack_b32_f16 v21, v28, v21
	v_cvt_f16_f32_e32 v28, v2
	v_pack_b32_f16 v19, v19, v18
	v_cvt_f16_f32_e32 v18, v3
	v_pack_b32_f16 v20, v29, v20
	v_pk_add_f32 v[30:31], v[34:35], v[54:55]
	v_pack_b32_f16 v18, v28, v18
	buffer_store_dwordx4 v[18:21], v66, s[24:27], 0 offen glc slc
	s_nop 0
	v_pk_add_f32 v[20:21], v[44:45], v[56:57]
	v_cvt_f16_f32_e32 v18, v30
	v_cvt_f16_f32_e32 v19, v20
	v_pk_mov_b32 v[28:29], v[20:21], v[20:21] op_sel:[0,1]
	buffer_store_dword v14, off, s[40:43], 0 offset:512 ; 4-byte Folded Spill
	s_nop 0
	buffer_store_dword v15, off, s[40:43], 0 offset:516 ; 4-byte Folded Spill
	buffer_store_dword v16, off, s[40:43], 0 offset:520 ; 4-byte Folded Spill
	;; [unrolled: 1-line block ×31, first 2 shown]
	v_cvt_f16_f32_e32 v20, v21
	v_pk_mov_b32 v[28:29], v[30:31], v[30:31] op_sel:[0,1]
	buffer_store_dword v16, off, s[40:43], 0 offset:640 ; 4-byte Folded Spill
	s_nop 0
	buffer_store_dword v17, off, s[40:43], 0 offset:644 ; 4-byte Folded Spill
	buffer_store_dword v18, off, s[40:43], 0 offset:648 ; 4-byte Folded Spill
	;; [unrolled: 1-line block ×31, first 2 shown]
	v_cvt_f16_f32_e32 v28, v31
	v_pack_b32_f16 v21, v19, v20
	v_pack_b32_f16 v20, v18, v28
	v_pk_add_f32 v[28:29], v[42:43], v[52:53]
	v_pk_mov_b32 v[30:31], v[28:29], v[28:29] op_sel:[0,1]
	v_cvt_f16_f32_e32 v18, v28
	buffer_store_dword v20, off, s[40:43], 0 offset:1024 ; 4-byte Folded Spill
	s_nop 0
	buffer_store_dword v21, off, s[40:43], 0 offset:1028 ; 4-byte Folded Spill
	buffer_store_dword v22, off, s[40:43], 0 offset:1032 ; 4-byte Folded Spill
	;; [unrolled: 1-line block ×31, first 2 shown]
	v_cvt_f16_f32_e32 v19, v29
	v_pk_add_f32 v[28:29], v[32:33], v[50:51]
	v_pk_mov_b32 v[30:31], v[28:29], v[28:29] op_sel:[0,1]
	v_pack_b32_f16 v19, v18, v19
	v_cvt_f16_f32_e32 v18, v28
	buffer_store_dword v22, off, s[40:43], 0 offset:1408 ; 4-byte Folded Spill
	s_nop 0
	buffer_store_dword v23, off, s[40:43], 0 offset:1412 ; 4-byte Folded Spill
	buffer_store_dword v24, off, s[40:43], 0 offset:1416 ; 4-byte Folded Spill
	;; [unrolled: 1-line block ×31, first 2 shown]
	;;#ASMSTART
	s_nop 0
	;;#ASMEND
	v_cvt_f16_f32_e32 v28, v29
	v_pk_add_f32 v[30:31], v[36:37], v[62:63]
	v_pk_add_f32 v[22:23], v[38:39], v[22:23]
	v_pack_b32_f16 v18, v18, v28
	buffer_store_dwordx4 v[18:21], v66, s[24:27], s17 offen glc slc
	v_cvt_f16_f32_e32 v18, v30
	v_cvt_f16_f32_e32 v19, v22
	v_pk_mov_b32 v[28:29], v[22:23], v[22:23] op_sel:[0,1]
	buffer_store_dword v6, off, s[40:43], 0 ; 4-byte Folded Spill
	s_nop 0
	buffer_store_dword v7, off, s[40:43], 0 offset:4 ; 4-byte Folded Spill
	buffer_store_dword v8, off, s[40:43], 0 offset:8 ; 4-byte Folded Spill
	;; [unrolled: 1-line block ×31, first 2 shown]
	v_cvt_f16_f32_e32 v20, v23
	v_pk_mov_b32 v[22:23], v[30:31], v[30:31] op_sel:[0,1]
	buffer_store_dword v2, off, s[40:43], 0 offset:128 ; 4-byte Folded Spill
	s_nop 0
	buffer_store_dword v3, off, s[40:43], 0 offset:132 ; 4-byte Folded Spill
	buffer_store_dword v4, off, s[40:43], 0 offset:136 ; 4-byte Folded Spill
	;; [unrolled: 1-line block ×31, first 2 shown]
	v_cvt_f16_f32_e32 v22, v31
	v_pack_b32_f16 v21, v19, v20
	v_pack_b32_f16 v20, v18, v22
	v_pk_add_f32 v[18:19], v[14:15], v[60:61]
	v_cvt_f16_f32_e32 v14, v18
	v_pk_mov_b32 v[22:23], v[18:19], v[18:19] op_sel:[0,1]
	buffer_store_dword v4, off, s[40:43], 0 offset:768 ; 4-byte Folded Spill
	s_nop 0
	buffer_store_dword v5, off, s[40:43], 0 offset:772 ; 4-byte Folded Spill
	buffer_store_dword v6, off, s[40:43], 0 offset:776 ; 4-byte Folded Spill
	buffer_store_dword v7, off, s[40:43], 0 offset:780 ; 4-byte Folded Spill
	buffer_store_dword v8, off, s[40:43], 0 offset:784 ; 4-byte Folded Spill
	buffer_store_dword v9, off, s[40:43], 0 offset:788 ; 4-byte Folded Spill
	buffer_store_dword v10, off, s[40:43], 0 offset:792 ; 4-byte Folded Spill
	buffer_store_dword v11, off, s[40:43], 0 offset:796 ; 4-byte Folded Spill
	buffer_store_dword v12, off, s[40:43], 0 offset:800 ; 4-byte Folded Spill
	buffer_store_dword v13, off, s[40:43], 0 offset:804 ; 4-byte Folded Spill
	buffer_store_dword v14, off, s[40:43], 0 offset:808 ; 4-byte Folded Spill
	buffer_store_dword v15, off, s[40:43], 0 offset:812 ; 4-byte Folded Spill
	buffer_store_dword v16, off, s[40:43], 0 offset:816 ; 4-byte Folded Spill
	buffer_store_dword v17, off, s[40:43], 0 offset:820 ; 4-byte Folded Spill
	buffer_store_dword v18, off, s[40:43], 0 offset:824 ; 4-byte Folded Spill
	buffer_store_dword v19, off, s[40:43], 0 offset:828 ; 4-byte Folded Spill
	buffer_store_dword v20, off, s[40:43], 0 offset:832 ; 4-byte Folded Spill
	buffer_store_dword v21, off, s[40:43], 0 offset:836 ; 4-byte Folded Spill
	buffer_store_dword v22, off, s[40:43], 0 offset:840 ; 4-byte Folded Spill
	buffer_store_dword v23, off, s[40:43], 0 offset:844 ; 4-byte Folded Spill
	buffer_store_dword v24, off, s[40:43], 0 offset:848 ; 4-byte Folded Spill
	buffer_store_dword v25, off, s[40:43], 0 offset:852 ; 4-byte Folded Spill
	buffer_store_dword v26, off, s[40:43], 0 offset:856 ; 4-byte Folded Spill
	buffer_store_dword v27, off, s[40:43], 0 offset:860 ; 4-byte Folded Spill
	buffer_store_dword v28, off, s[40:43], 0 offset:864 ; 4-byte Folded Spill
	buffer_store_dword v29, off, s[40:43], 0 offset:868 ; 4-byte Folded Spill
	buffer_store_dword v30, off, s[40:43], 0 offset:872 ; 4-byte Folded Spill
	buffer_store_dword v31, off, s[40:43], 0 offset:876 ; 4-byte Folded Spill
	buffer_store_dword v32, off, s[40:43], 0 offset:880 ; 4-byte Folded Spill
	buffer_store_dword v33, off, s[40:43], 0 offset:884 ; 4-byte Folded Spill
	buffer_store_dword v34, off, s[40:43], 0 offset:888 ; 4-byte Folded Spill
	buffer_store_dword v35, off, s[40:43], 0 offset:892 ; 4-byte Folded Spill
	v_pk_add_f32 v[22:23], v[68:69], v[58:59]
	v_pk_mov_b32 v[28:29], v[22:23], v[22:23] op_sel:[0,1]
	v_cvt_f16_f32_e32 v15, v19
	v_pack_b32_f16 v19, v14, v15
	v_cvt_f16_f32_e32 v14, v22
	buffer_store_dword v12, off, s[40:43], 0 offset:896 ; 4-byte Folded Spill
	s_nop 0
	buffer_store_dword v13, off, s[40:43], 0 offset:900 ; 4-byte Folded Spill
	buffer_store_dword v14, off, s[40:43], 0 offset:904 ; 4-byte Folded Spill
	;; [unrolled: 1-line block ×31, first 2 shown]
	;;#ASMSTART
	s_nop 0
	;;#ASMEND
	v_cvt_f16_f32_e32 v1, v23
	v_pk_add_f32 v[76:77], v[10:11], v[26:27]
	v_pk_add_f32 v[28:29], v[8:9], v[24:25]
	v_cvt_f16_f32_e32 v8, v28
	v_cvt_f16_f32_e32 v9, v76
	;; [unrolled: 1-line block ×3, first 2 shown]
	v_pack_b32_f16 v18, v14, v1
	v_pk_mov_b32 v[30:31], v[28:29], v[28:29] op_sel:[0,1]
	buffer_store_dwordx4 v[18:21], v66, s[24:27], s19 offen glc slc
	buffer_store_dword v2, off, s[40:43], 0 offset:1540 ; 4-byte Folded Spill
	s_nop 0
	buffer_store_dword v3, off, s[40:43], 0 offset:1544 ; 4-byte Folded Spill
	buffer_store_dword v4, off, s[40:43], 0 offset:1548 ; 4-byte Folded Spill
	buffer_store_dword v5, off, s[40:43], 0 offset:1552 ; 4-byte Folded Spill
	buffer_store_dword v6, off, s[40:43], 0 offset:1556 ; 4-byte Folded Spill
	buffer_store_dword v7, off, s[40:43], 0 offset:1560 ; 4-byte Folded Spill
	buffer_store_dword v8, off, s[40:43], 0 offset:1564 ; 4-byte Folded Spill
	buffer_store_dword v9, off, s[40:43], 0 offset:1568 ; 4-byte Folded Spill
	buffer_store_dword v10, off, s[40:43], 0 offset:1572 ; 4-byte Folded Spill
	buffer_store_dword v11, off, s[40:43], 0 offset:1576 ; 4-byte Folded Spill
	buffer_store_dword v12, off, s[40:43], 0 offset:1580 ; 4-byte Folded Spill
	buffer_store_dword v13, off, s[40:43], 0 offset:1584 ; 4-byte Folded Spill
	buffer_store_dword v14, off, s[40:43], 0 offset:1588 ; 4-byte Folded Spill
	buffer_store_dword v15, off, s[40:43], 0 offset:1592 ; 4-byte Folded Spill
	buffer_store_dword v16, off, s[40:43], 0 offset:1596 ; 4-byte Folded Spill
	buffer_store_dword v17, off, s[40:43], 0 offset:1600 ; 4-byte Folded Spill
	buffer_store_dword v18, off, s[40:43], 0 offset:1604 ; 4-byte Folded Spill
	buffer_store_dword v19, off, s[40:43], 0 offset:1608 ; 4-byte Folded Spill
	buffer_store_dword v20, off, s[40:43], 0 offset:1612 ; 4-byte Folded Spill
	buffer_store_dword v21, off, s[40:43], 0 offset:1616 ; 4-byte Folded Spill
	buffer_store_dword v22, off, s[40:43], 0 offset:1620 ; 4-byte Folded Spill
	buffer_store_dword v23, off, s[40:43], 0 offset:1624 ; 4-byte Folded Spill
	buffer_store_dword v24, off, s[40:43], 0 offset:1628 ; 4-byte Folded Spill
	buffer_store_dword v25, off, s[40:43], 0 offset:1632 ; 4-byte Folded Spill
	buffer_store_dword v26, off, s[40:43], 0 offset:1636 ; 4-byte Folded Spill
	buffer_store_dword v27, off, s[40:43], 0 offset:1640 ; 4-byte Folded Spill
	buffer_store_dword v28, off, s[40:43], 0 offset:1644 ; 4-byte Folded Spill
	buffer_store_dword v29, off, s[40:43], 0 offset:1648 ; 4-byte Folded Spill
	buffer_store_dword v30, off, s[40:43], 0 offset:1652 ; 4-byte Folded Spill
	buffer_store_dword v31, off, s[40:43], 0 offset:1656 ; 4-byte Folded Spill
	buffer_store_dword v32, off, s[40:43], 0 offset:1660 ; 4-byte Folded Spill
	buffer_store_dword v33, off, s[40:43], 0 offset:1664 ; 4-byte Folded Spill
	v_cvt_f16_f32_e32 v11, v29
	v_pk_add_f32 v[26:27], v[6:7], v[16:17]
	v_cvt_f16_f32_e32 v6, v26
	v_pack_b32_f16 v9, v9, v10
	v_pack_b32_f16 v8, v8, v11
	v_pk_mov_b32 v[28:29], v[26:27], v[26:27] op_sel:[0,1]
	buffer_store_dword v2, off, s[40:43], 0 offset:256 ; 4-byte Folded Spill
	s_nop 0
	buffer_store_dword v3, off, s[40:43], 0 offset:260 ; 4-byte Folded Spill
	buffer_store_dword v4, off, s[40:43], 0 offset:264 ; 4-byte Folded Spill
	;; [unrolled: 1-line block ×31, first 2 shown]
	v_cvt_f16_f32_e32 v7, v27
	v_pk_add_f32 v[24:25], v[4:5], v[12:13]
	v_cvt_f16_f32_e32 v4, v24
	v_pk_mov_b32 v[26:27], v[24:25], v[24:25] op_sel:[0,1]
	v_pack_b32_f16 v7, v6, v7
	buffer_store_dword v2, off, s[40:43], 0 offset:384 ; 4-byte Folded Spill
	s_nop 0
	buffer_store_dword v3, off, s[40:43], 0 offset:388 ; 4-byte Folded Spill
	buffer_store_dword v4, off, s[40:43], 0 offset:392 ; 4-byte Folded Spill
	;; [unrolled: 1-line block ×31, first 2 shown]
	;;#ASMSTART
	s_nop 0
	;;#ASMEND
	v_cvt_f16_f32_e32 v5, v25
	v_pack_b32_f16 v6, v4, v5
	buffer_store_dwordx4 v[6:9], v66, s[24:27], s14 offen glc slc
	;;#ASMSTART
	s_nop 0
	;;#ASMEND
.LBB87_10:
	s_or_b64 exec, exec, s[2:3]
.LBB87_11:
	buffer_load_dword v6, off, s[40:43], 0 offset:1280 ; 4-byte Folded Reload
	buffer_load_dword v7, off, s[40:43], 0 offset:1284 ; 4-byte Folded Reload
	;; [unrolled: 1-line block ×32, first 2 shown]
	v_mul_f32_e32 v4, v3, v3
	v_fmac_f32_e32 v4, v2, v2
	v_fmac_f32_e32 v4, v74, v74
	;; [unrolled: 1-line block ×3, first 2 shown]
	s_waitcnt vmcnt(26)
	v_pk_mov_b32 v[6:7], v[10:11], v[10:11] op_sel:[0,1]
	v_fmac_f32_e32 v4, v6, v6
	v_fmac_f32_e32 v4, v7, v7
	buffer_load_dword v6, off, s[40:43], 0 offset:1152 ; 4-byte Folded Reload
	buffer_load_dword v7, off, s[40:43], 0 offset:1156 ; 4-byte Folded Reload
	buffer_load_dword v8, off, s[40:43], 0 offset:1160 ; 4-byte Folded Reload
	buffer_load_dword v9, off, s[40:43], 0 offset:1164 ; 4-byte Folded Reload
	buffer_load_dword v10, off, s[40:43], 0 offset:1168 ; 4-byte Folded Reload
	buffer_load_dword v11, off, s[40:43], 0 offset:1172 ; 4-byte Folded Reload
	buffer_load_dword v12, off, s[40:43], 0 offset:1176 ; 4-byte Folded Reload
	buffer_load_dword v13, off, s[40:43], 0 offset:1180 ; 4-byte Folded Reload
	buffer_load_dword v14, off, s[40:43], 0 offset:1184 ; 4-byte Folded Reload
	buffer_load_dword v15, off, s[40:43], 0 offset:1188 ; 4-byte Folded Reload
	buffer_load_dword v16, off, s[40:43], 0 offset:1192 ; 4-byte Folded Reload
	buffer_load_dword v17, off, s[40:43], 0 offset:1196 ; 4-byte Folded Reload
	buffer_load_dword v18, off, s[40:43], 0 offset:1200 ; 4-byte Folded Reload
	buffer_load_dword v19, off, s[40:43], 0 offset:1204 ; 4-byte Folded Reload
	buffer_load_dword v20, off, s[40:43], 0 offset:1208 ; 4-byte Folded Reload
	buffer_load_dword v21, off, s[40:43], 0 offset:1212 ; 4-byte Folded Reload
	buffer_load_dword v22, off, s[40:43], 0 offset:1216 ; 4-byte Folded Reload
	buffer_load_dword v23, off, s[40:43], 0 offset:1220 ; 4-byte Folded Reload
	buffer_load_dword v24, off, s[40:43], 0 offset:1224 ; 4-byte Folded Reload
	buffer_load_dword v25, off, s[40:43], 0 offset:1228 ; 4-byte Folded Reload
	buffer_load_dword v26, off, s[40:43], 0 offset:1232 ; 4-byte Folded Reload
	buffer_load_dword v27, off, s[40:43], 0 offset:1236 ; 4-byte Folded Reload
	buffer_load_dword v28, off, s[40:43], 0 offset:1240 ; 4-byte Folded Reload
	buffer_load_dword v29, off, s[40:43], 0 offset:1244 ; 4-byte Folded Reload
	buffer_load_dword v30, off, s[40:43], 0 offset:1248 ; 4-byte Folded Reload
	buffer_load_dword v31, off, s[40:43], 0 offset:1252 ; 4-byte Folded Reload
	buffer_load_dword v32, off, s[40:43], 0 offset:1256 ; 4-byte Folded Reload
	buffer_load_dword v33, off, s[40:43], 0 offset:1260 ; 4-byte Folded Reload
	buffer_load_dword v34, off, s[40:43], 0 offset:1264 ; 4-byte Folded Reload
	buffer_load_dword v35, off, s[40:43], 0 offset:1268 ; 4-byte Folded Reload
	buffer_load_dword v36, off, s[40:43], 0 offset:1272 ; 4-byte Folded Reload
	buffer_load_dword v37, off, s[40:43], 0 offset:1276 ; 4-byte Folded Reload
	s_waitcnt vmcnt(24)
	v_pk_mov_b32 v[6:7], v[12:13], v[12:13] op_sel:[0,1]
	v_fmac_f32_e32 v4, v6, v6
	v_fmac_f32_e32 v4, v7, v7
	buffer_load_dword v6, off, s[40:43], 0 offset:1408 ; 4-byte Folded Reload
	buffer_load_dword v7, off, s[40:43], 0 offset:1412 ; 4-byte Folded Reload
	buffer_load_dword v8, off, s[40:43], 0 offset:1416 ; 4-byte Folded Reload
	buffer_load_dword v9, off, s[40:43], 0 offset:1420 ; 4-byte Folded Reload
	buffer_load_dword v10, off, s[40:43], 0 offset:1424 ; 4-byte Folded Reload
	buffer_load_dword v11, off, s[40:43], 0 offset:1428 ; 4-byte Folded Reload
	buffer_load_dword v12, off, s[40:43], 0 offset:1432 ; 4-byte Folded Reload
	buffer_load_dword v13, off, s[40:43], 0 offset:1436 ; 4-byte Folded Reload
	buffer_load_dword v14, off, s[40:43], 0 offset:1440 ; 4-byte Folded Reload
	buffer_load_dword v15, off, s[40:43], 0 offset:1444 ; 4-byte Folded Reload
	buffer_load_dword v16, off, s[40:43], 0 offset:1448 ; 4-byte Folded Reload
	buffer_load_dword v17, off, s[40:43], 0 offset:1452 ; 4-byte Folded Reload
	buffer_load_dword v18, off, s[40:43], 0 offset:1456 ; 4-byte Folded Reload
	buffer_load_dword v19, off, s[40:43], 0 offset:1460 ; 4-byte Folded Reload
	buffer_load_dword v20, off, s[40:43], 0 offset:1464 ; 4-byte Folded Reload
	buffer_load_dword v21, off, s[40:43], 0 offset:1468 ; 4-byte Folded Reload
	buffer_load_dword v22, off, s[40:43], 0 offset:1472 ; 4-byte Folded Reload
	buffer_load_dword v23, off, s[40:43], 0 offset:1476 ; 4-byte Folded Reload
	buffer_load_dword v24, off, s[40:43], 0 offset:1480 ; 4-byte Folded Reload
	buffer_load_dword v25, off, s[40:43], 0 offset:1484 ; 4-byte Folded Reload
	buffer_load_dword v26, off, s[40:43], 0 offset:1488 ; 4-byte Folded Reload
	buffer_load_dword v27, off, s[40:43], 0 offset:1492 ; 4-byte Folded Reload
	buffer_load_dword v28, off, s[40:43], 0 offset:1496 ; 4-byte Folded Reload
	buffer_load_dword v29, off, s[40:43], 0 offset:1500 ; 4-byte Folded Reload
	buffer_load_dword v30, off, s[40:43], 0 offset:1504 ; 4-byte Folded Reload
	buffer_load_dword v31, off, s[40:43], 0 offset:1508 ; 4-byte Folded Reload
	buffer_load_dword v32, off, s[40:43], 0 offset:1512 ; 4-byte Folded Reload
	buffer_load_dword v33, off, s[40:43], 0 offset:1516 ; 4-byte Folded Reload
	buffer_load_dword v34, off, s[40:43], 0 offset:1520 ; 4-byte Folded Reload
	buffer_load_dword v35, off, s[40:43], 0 offset:1524 ; 4-byte Folded Reload
	buffer_load_dword v36, off, s[40:43], 0 offset:1528 ; 4-byte Folded Reload
	buffer_load_dword v37, off, s[40:43], 0 offset:1532 ; 4-byte Folded Reload
	;; [unrolled: 36-line block ×8, first 2 shown]
	s_waitcnt vmcnt(10)
	v_pk_mov_b32 v[20:21], v[26:27], v[26:27] op_sel:[0,1]
	v_fmac_f32_e32 v4, v20, v20
	v_fmac_f32_e32 v4, v21, v21
	buffer_load_dword v6, off, s[40:43], 0  ; 4-byte Folded Reload
	buffer_load_dword v7, off, s[40:43], 0 offset:4 ; 4-byte Folded Reload
	buffer_load_dword v8, off, s[40:43], 0 offset:8 ; 4-byte Folded Reload
	buffer_load_dword v9, off, s[40:43], 0 offset:12 ; 4-byte Folded Reload
	buffer_load_dword v10, off, s[40:43], 0 offset:16 ; 4-byte Folded Reload
	buffer_load_dword v11, off, s[40:43], 0 offset:20 ; 4-byte Folded Reload
	buffer_load_dword v12, off, s[40:43], 0 offset:24 ; 4-byte Folded Reload
	buffer_load_dword v13, off, s[40:43], 0 offset:28 ; 4-byte Folded Reload
	buffer_load_dword v14, off, s[40:43], 0 offset:32 ; 4-byte Folded Reload
	buffer_load_dword v15, off, s[40:43], 0 offset:36 ; 4-byte Folded Reload
	buffer_load_dword v16, off, s[40:43], 0 offset:40 ; 4-byte Folded Reload
	buffer_load_dword v17, off, s[40:43], 0 offset:44 ; 4-byte Folded Reload
	buffer_load_dword v18, off, s[40:43], 0 offset:48 ; 4-byte Folded Reload
	buffer_load_dword v19, off, s[40:43], 0 offset:52 ; 4-byte Folded Reload
	buffer_load_dword v20, off, s[40:43], 0 offset:56 ; 4-byte Folded Reload
	buffer_load_dword v21, off, s[40:43], 0 offset:60 ; 4-byte Folded Reload
	buffer_load_dword v22, off, s[40:43], 0 offset:64 ; 4-byte Folded Reload
	buffer_load_dword v23, off, s[40:43], 0 offset:68 ; 4-byte Folded Reload
	buffer_load_dword v24, off, s[40:43], 0 offset:72 ; 4-byte Folded Reload
	buffer_load_dword v25, off, s[40:43], 0 offset:76 ; 4-byte Folded Reload
	buffer_load_dword v26, off, s[40:43], 0 offset:80 ; 4-byte Folded Reload
	buffer_load_dword v27, off, s[40:43], 0 offset:84 ; 4-byte Folded Reload
	buffer_load_dword v28, off, s[40:43], 0 offset:88 ; 4-byte Folded Reload
	buffer_load_dword v29, off, s[40:43], 0 offset:92 ; 4-byte Folded Reload
	buffer_load_dword v30, off, s[40:43], 0 offset:96 ; 4-byte Folded Reload
	buffer_load_dword v31, off, s[40:43], 0 offset:100 ; 4-byte Folded Reload
	buffer_load_dword v32, off, s[40:43], 0 offset:104 ; 4-byte Folded Reload
	buffer_load_dword v33, off, s[40:43], 0 offset:108 ; 4-byte Folded Reload
	buffer_load_dword v34, off, s[40:43], 0 offset:112 ; 4-byte Folded Reload
	buffer_load_dword v35, off, s[40:43], 0 offset:116 ; 4-byte Folded Reload
	buffer_load_dword v36, off, s[40:43], 0 offset:120 ; 4-byte Folded Reload
	buffer_load_dword v37, off, s[40:43], 0 offset:124 ; 4-byte Folded Reload
	s_waitcnt vmcnt(8)
	v_pk_mov_b32 v[22:23], v[28:29], v[28:29] op_sel:[0,1]
	v_fmac_f32_e32 v4, v22, v22
	v_fmac_f32_e32 v4, v23, v23
	buffer_load_dword v6, off, s[40:43], 0 offset:384 ; 4-byte Folded Reload
	buffer_load_dword v7, off, s[40:43], 0 offset:388 ; 4-byte Folded Reload
	buffer_load_dword v8, off, s[40:43], 0 offset:392 ; 4-byte Folded Reload
	buffer_load_dword v9, off, s[40:43], 0 offset:396 ; 4-byte Folded Reload
	buffer_load_dword v10, off, s[40:43], 0 offset:400 ; 4-byte Folded Reload
	buffer_load_dword v11, off, s[40:43], 0 offset:404 ; 4-byte Folded Reload
	buffer_load_dword v12, off, s[40:43], 0 offset:408 ; 4-byte Folded Reload
	buffer_load_dword v13, off, s[40:43], 0 offset:412 ; 4-byte Folded Reload
	buffer_load_dword v14, off, s[40:43], 0 offset:416 ; 4-byte Folded Reload
	buffer_load_dword v15, off, s[40:43], 0 offset:420 ; 4-byte Folded Reload
	buffer_load_dword v16, off, s[40:43], 0 offset:424 ; 4-byte Folded Reload
	buffer_load_dword v17, off, s[40:43], 0 offset:428 ; 4-byte Folded Reload
	buffer_load_dword v18, off, s[40:43], 0 offset:432 ; 4-byte Folded Reload
	buffer_load_dword v19, off, s[40:43], 0 offset:436 ; 4-byte Folded Reload
	buffer_load_dword v20, off, s[40:43], 0 offset:440 ; 4-byte Folded Reload
	buffer_load_dword v21, off, s[40:43], 0 offset:444 ; 4-byte Folded Reload
	buffer_load_dword v22, off, s[40:43], 0 offset:448 ; 4-byte Folded Reload
	buffer_load_dword v23, off, s[40:43], 0 offset:452 ; 4-byte Folded Reload
	buffer_load_dword v24, off, s[40:43], 0 offset:456 ; 4-byte Folded Reload
	buffer_load_dword v25, off, s[40:43], 0 offset:460 ; 4-byte Folded Reload
	buffer_load_dword v26, off, s[40:43], 0 offset:464 ; 4-byte Folded Reload
	buffer_load_dword v27, off, s[40:43], 0 offset:468 ; 4-byte Folded Reload
	buffer_load_dword v28, off, s[40:43], 0 offset:472 ; 4-byte Folded Reload
	buffer_load_dword v29, off, s[40:43], 0 offset:476 ; 4-byte Folded Reload
	buffer_load_dword v30, off, s[40:43], 0 offset:480 ; 4-byte Folded Reload
	buffer_load_dword v31, off, s[40:43], 0 offset:484 ; 4-byte Folded Reload
	buffer_load_dword v32, off, s[40:43], 0 offset:488 ; 4-byte Folded Reload
	buffer_load_dword v33, off, s[40:43], 0 offset:492 ; 4-byte Folded Reload
	buffer_load_dword v34, off, s[40:43], 0 offset:496 ; 4-byte Folded Reload
	buffer_load_dword v35, off, s[40:43], 0 offset:500 ; 4-byte Folded Reload
	buffer_load_dword v36, off, s[40:43], 0 offset:504 ; 4-byte Folded Reload
	buffer_load_dword v37, off, s[40:43], 0 offset:508 ; 4-byte Folded Reload
	s_waitcnt vmcnt(6)
	v_pk_mov_b32 v[24:25], v[30:31], v[30:31] op_sel:[0,1]
	v_fmac_f32_e32 v4, v24, v24
	v_fmac_f32_e32 v4, v25, v25
	buffer_load_dword v6, off, s[40:43], 0 offset:256 ; 4-byte Folded Reload
	;; [unrolled: 36-line block ×3, first 2 shown]
	buffer_load_dword v7, off, s[40:43], 0 offset:1544 ; 4-byte Folded Reload
	buffer_load_dword v8, off, s[40:43], 0 offset:1548 ; 4-byte Folded Reload
	;; [unrolled: 1-line block ×31, first 2 shown]
	s_waitcnt vmcnt(2)
	v_pk_mov_b32 v[28:29], v[34:35], v[34:35] op_sel:[0,1]
	v_fmac_f32_e32 v4, v28, v28
	v_fmac_f32_e32 v4, v29, v29
	;; [unrolled: 1-line block ×4, first 2 shown]
	s_nop 1
	v_mov_b32_dpp v5, v4 quad_perm:[1,0,3,2] row_mask:0xf bank_mask:0xf
	v_add_f32_e32 v4, v4, v5
	s_nop 1
	v_mov_b32_dpp v5, v4 quad_perm:[2,3,0,1] row_mask:0xf bank_mask:0xf
	v_add_f32_e32 v4, v4, v5
	s_nop 1
	v_mov_b32_dpp v5, v4 row_half_mirror row_mask:0xf bank_mask:0xf
	v_add_f32_e32 v4, v4, v5
	s_nop 1
	v_mov_b32_dpp v5, v4 row_mirror row_mask:0xf bank_mask:0xf
	v_add_f32_e32 v4, v4, v5
	s_nop 1
	v_mov_b32_dpp v5, v4 row_bcast:15 row_mask:0xf bank_mask:0xf
	v_add_f32_e32 v4, v4, v5
	v_and_b32_e32 v5, 63, v0
	v_cmp_eq_u32_e64 s[2:3], 63, v5
	s_nop 0
	v_mov_b32_dpp v5, v4 row_bcast:31 row_mask:0xf bank_mask:0xf
	s_and_saveexec_b64 s[24:25], s[2:3]
	s_cbranch_execz .LBB87_13
; %bb.12:
	v_add_f32_e32 v4, v4, v5
	v_lshrrev_b32_e32 v5, 4, v0
	v_and_b32_e32 v5, 60, v5
	ds_write_b32 v5, v4 offset:32
.LBB87_13:
	s_or_b64 exec, exec, s[24:25]
	v_and_b32_e32 v4, 3, v0
	v_lshlrev_b32_e32 v70, 2, v4
	s_waitcnt lgkmcnt(0)
	s_barrier
	ds_read_b32 v4, v70 offset:32
	s_load_dwordx2 s[34:35], s[4:5], 0x18
	s_waitcnt lgkmcnt(0)
	v_mov_b32_dpp v5, v4 quad_perm:[1,0,3,2] row_mask:0xf bank_mask:0xf
	v_add_f32_e32 v4, v4, v5
	s_nop 1
	v_mov_b32_dpp v5, v4 quad_perm:[2,3,0,1] row_mask:0xf bank_mask:0xf
	s_and_saveexec_b64 s[24:25], s[0:1]
	s_cbranch_execnz .LBB87_18
; %bb.14:
	s_or_b64 exec, exec, s[24:25]
	s_mov_b64 s[8:9], -1
	s_and_b64 vcc, exec, s[22:23]
	s_cbranch_vccnz .LBB87_19
.LBB87_15:
	s_andn2_b64 vcc, exec, s[8:9]
	s_cbranch_vccz .LBB87_22
.LBB87_16:
	s_cmp_lt_i32 s16, 1
	s_cbranch_scc0 .LBB87_31
.LBB87_17:
	s_endpgm
.LBB87_18:
	v_add_f32_e32 v4, v4, v5
	v_cvt_f32_u32_e32 v5, s7
	s_mov_b32 s7, 0x800000
	v_pk_mov_b32 v[32:33], v[28:29], v[28:29] op_sel:[0,1]
	v_cvt_f32_f16_sdwa v67, v127 dst_sel:DWORD dst_unused:UNUSED_PAD src0_sel:WORD_1
	v_div_scale_f32 v6, s[36:37], v5, v5, v4
	v_rcp_f32_e32 v7, v6
	v_cvt_f32_f16_e32 v66, v127
	v_fma_f32 v8, -v6, v7, 1.0
	v_fmac_f32_e32 v7, v8, v7
	v_div_scale_f32 v8, vcc, v4, v5, v4
	v_mul_f32_e32 v9, v8, v7
	v_fma_f32 v10, -v6, v9, v8
	v_fmac_f32_e32 v9, v10, v7
	v_fma_f32 v6, -v6, v9, v8
	v_div_fmas_f32 v6, v6, v7, v9
	v_div_fixup_f32 v4, v6, v5, v4
	v_mov_b32_e32 v5, s13
	v_mov_b32_e32 v6, s12
	v_cndmask_b32_e64 v5, v5, v6, s[8:9]
	v_add_f32_e32 v4, v5, v4
	v_mul_f32_e32 v5, 0x4b800000, v4
	v_cmp_gt_f32_e32 vcc, s7, v4
	v_cndmask_b32_e32 v4, v4, v5, vcc
	v_rsq_f32_e32 v4, v4
	v_mul_f32_e32 v5, 0x45800000, v4
	v_cndmask_b32_e32 v30, v4, v5, vcc
	v_mov_b32_e32 v31, v30
	;;#ASMSTART
	v_pk_mul_f32 v[2:3], v[2:3], v[30:31]
	;;#ASMEND
	;;#ASMSTART
	v_pk_mul_f32 v[4:5], v[74:75], v[30:31]
	;;#ASMEND
	buffer_load_dword v34, off, s[40:43], 0 offset:1280 ; 4-byte Folded Reload
	buffer_load_dword v35, off, s[40:43], 0 offset:1284 ; 4-byte Folded Reload
	buffer_load_dword v36, off, s[40:43], 0 offset:1288 ; 4-byte Folded Reload
	buffer_load_dword v37, off, s[40:43], 0 offset:1292 ; 4-byte Folded Reload
	buffer_load_dword v38, off, s[40:43], 0 offset:1296 ; 4-byte Folded Reload
	buffer_load_dword v39, off, s[40:43], 0 offset:1300 ; 4-byte Folded Reload
	buffer_load_dword v40, off, s[40:43], 0 offset:1304 ; 4-byte Folded Reload
	buffer_load_dword v41, off, s[40:43], 0 offset:1308 ; 4-byte Folded Reload
	buffer_load_dword v42, off, s[40:43], 0 offset:1312 ; 4-byte Folded Reload
	buffer_load_dword v43, off, s[40:43], 0 offset:1316 ; 4-byte Folded Reload
	buffer_load_dword v44, off, s[40:43], 0 offset:1320 ; 4-byte Folded Reload
	buffer_load_dword v45, off, s[40:43], 0 offset:1324 ; 4-byte Folded Reload
	buffer_load_dword v46, off, s[40:43], 0 offset:1328 ; 4-byte Folded Reload
	buffer_load_dword v47, off, s[40:43], 0 offset:1332 ; 4-byte Folded Reload
	buffer_load_dword v48, off, s[40:43], 0 offset:1336 ; 4-byte Folded Reload
	buffer_load_dword v49, off, s[40:43], 0 offset:1340 ; 4-byte Folded Reload
	buffer_load_dword v50, off, s[40:43], 0 offset:1344 ; 4-byte Folded Reload
	buffer_load_dword v51, off, s[40:43], 0 offset:1348 ; 4-byte Folded Reload
	buffer_load_dword v52, off, s[40:43], 0 offset:1352 ; 4-byte Folded Reload
	buffer_load_dword v53, off, s[40:43], 0 offset:1356 ; 4-byte Folded Reload
	buffer_load_dword v54, off, s[40:43], 0 offset:1360 ; 4-byte Folded Reload
	buffer_load_dword v55, off, s[40:43], 0 offset:1364 ; 4-byte Folded Reload
	buffer_load_dword v56, off, s[40:43], 0 offset:1368 ; 4-byte Folded Reload
	buffer_load_dword v57, off, s[40:43], 0 offset:1372 ; 4-byte Folded Reload
	buffer_load_dword v58, off, s[40:43], 0 offset:1376 ; 4-byte Folded Reload
	buffer_load_dword v59, off, s[40:43], 0 offset:1380 ; 4-byte Folded Reload
	buffer_load_dword v60, off, s[40:43], 0 offset:1384 ; 4-byte Folded Reload
	buffer_load_dword v61, off, s[40:43], 0 offset:1388 ; 4-byte Folded Reload
	buffer_load_dword v62, off, s[40:43], 0 offset:1392 ; 4-byte Folded Reload
	buffer_load_dword v63, off, s[40:43], 0 offset:1396 ; 4-byte Folded Reload
	buffer_load_dword v64, off, s[40:43], 0 offset:1400 ; 4-byte Folded Reload
	buffer_load_dword v65, off, s[40:43], 0 offset:1404 ; 4-byte Folded Reload
	s_waitcnt vmcnt(26)
	;;#ASMSTART
	v_pk_mul_f32 v[6:7], v[38:39], v[30:31]
	;;#ASMEND
	buffer_load_dword v34, off, s[40:43], 0 offset:1152 ; 4-byte Folded Reload
	buffer_load_dword v35, off, s[40:43], 0 offset:1156 ; 4-byte Folded Reload
	buffer_load_dword v36, off, s[40:43], 0 offset:1160 ; 4-byte Folded Reload
	buffer_load_dword v37, off, s[40:43], 0 offset:1164 ; 4-byte Folded Reload
	buffer_load_dword v38, off, s[40:43], 0 offset:1168 ; 4-byte Folded Reload
	buffer_load_dword v39, off, s[40:43], 0 offset:1172 ; 4-byte Folded Reload
	buffer_load_dword v40, off, s[40:43], 0 offset:1176 ; 4-byte Folded Reload
	buffer_load_dword v41, off, s[40:43], 0 offset:1180 ; 4-byte Folded Reload
	buffer_load_dword v42, off, s[40:43], 0 offset:1184 ; 4-byte Folded Reload
	buffer_load_dword v43, off, s[40:43], 0 offset:1188 ; 4-byte Folded Reload
	buffer_load_dword v44, off, s[40:43], 0 offset:1192 ; 4-byte Folded Reload
	buffer_load_dword v45, off, s[40:43], 0 offset:1196 ; 4-byte Folded Reload
	buffer_load_dword v46, off, s[40:43], 0 offset:1200 ; 4-byte Folded Reload
	buffer_load_dword v47, off, s[40:43], 0 offset:1204 ; 4-byte Folded Reload
	buffer_load_dword v48, off, s[40:43], 0 offset:1208 ; 4-byte Folded Reload
	buffer_load_dword v49, off, s[40:43], 0 offset:1212 ; 4-byte Folded Reload
	buffer_load_dword v50, off, s[40:43], 0 offset:1216 ; 4-byte Folded Reload
	buffer_load_dword v51, off, s[40:43], 0 offset:1220 ; 4-byte Folded Reload
	buffer_load_dword v52, off, s[40:43], 0 offset:1224 ; 4-byte Folded Reload
	buffer_load_dword v53, off, s[40:43], 0 offset:1228 ; 4-byte Folded Reload
	buffer_load_dword v54, off, s[40:43], 0 offset:1232 ; 4-byte Folded Reload
	buffer_load_dword v55, off, s[40:43], 0 offset:1236 ; 4-byte Folded Reload
	buffer_load_dword v56, off, s[40:43], 0 offset:1240 ; 4-byte Folded Reload
	buffer_load_dword v57, off, s[40:43], 0 offset:1244 ; 4-byte Folded Reload
	buffer_load_dword v58, off, s[40:43], 0 offset:1248 ; 4-byte Folded Reload
	buffer_load_dword v59, off, s[40:43], 0 offset:1252 ; 4-byte Folded Reload
	buffer_load_dword v60, off, s[40:43], 0 offset:1256 ; 4-byte Folded Reload
	buffer_load_dword v61, off, s[40:43], 0 offset:1260 ; 4-byte Folded Reload
	buffer_load_dword v62, off, s[40:43], 0 offset:1264 ; 4-byte Folded Reload
	buffer_load_dword v63, off, s[40:43], 0 offset:1268 ; 4-byte Folded Reload
	buffer_load_dword v64, off, s[40:43], 0 offset:1272 ; 4-byte Folded Reload
	buffer_load_dword v65, off, s[40:43], 0 offset:1276 ; 4-byte Folded Reload
	s_waitcnt vmcnt(24)
	;; [unrolled: 36-line block ×9, first 2 shown]
	;;#ASMSTART
	v_pk_mul_f32 v[22:23], v[54:55], v[30:31]
	;;#ASMEND
	buffer_load_dword v34, off, s[40:43], 0 ; 4-byte Folded Reload
	buffer_load_dword v35, off, s[40:43], 0 offset:4 ; 4-byte Folded Reload
	buffer_load_dword v36, off, s[40:43], 0 offset:8 ; 4-byte Folded Reload
	;; [unrolled: 1-line block ×31, first 2 shown]
	s_waitcnt vmcnt(8)
	;;#ASMSTART
	v_pk_mul_f32 v[24:25], v[56:57], v[30:31]
	;;#ASMEND
	buffer_load_dword v34, off, s[40:43], 0 offset:384 ; 4-byte Folded Reload
	buffer_load_dword v35, off, s[40:43], 0 offset:388 ; 4-byte Folded Reload
	;; [unrolled: 1-line block ×32, first 2 shown]
	s_waitcnt vmcnt(6)
	;;#ASMSTART
	v_pk_mul_f32 v[26:27], v[58:59], v[30:31]
	;;#ASMEND
	buffer_load_dword v34, off, s[40:43], 0 offset:256 ; 4-byte Folded Reload
	buffer_load_dword v35, off, s[40:43], 0 offset:260 ; 4-byte Folded Reload
	;; [unrolled: 1-line block ×32, first 2 shown]
	s_waitcnt vmcnt(30)
	v_cvt_f32_f16_sdwa v35, v113 dst_sel:DWORD dst_unused:UNUSED_PAD src0_sel:WORD_1
	v_cvt_f32_f16_e32 v34, v113
	s_waitcnt vmcnt(28)
	v_cvt_f32_f16_sdwa v37, v114 dst_sel:DWORD dst_unused:UNUSED_PAD src0_sel:WORD_1
	v_cvt_f32_f16_e32 v36, v114
	s_waitcnt vmcnt(26)
	v_cvt_f32_f16_sdwa v39, v115 dst_sel:DWORD dst_unused:UNUSED_PAD src0_sel:WORD_1
	v_cvt_f32_f16_e32 v38, v115
	s_waitcnt vmcnt(24)
	v_cvt_f32_f16_sdwa v41, v108 dst_sel:DWORD dst_unused:UNUSED_PAD src0_sel:WORD_1
	v_cvt_f32_f16_e32 v40, v108
	s_waitcnt vmcnt(22)
	v_cvt_f32_f16_sdwa v43, v109 dst_sel:DWORD dst_unused:UNUSED_PAD src0_sel:WORD_1
	v_cvt_f32_f16_e32 v42, v109
	s_waitcnt vmcnt(20)
	v_cvt_f32_f16_sdwa v45, v110 dst_sel:DWORD dst_unused:UNUSED_PAD src0_sel:WORD_1
	v_cvt_f32_f16_e32 v44, v110
	s_waitcnt vmcnt(18)
	v_cvt_f32_f16_sdwa v47, v111 dst_sel:DWORD dst_unused:UNUSED_PAD src0_sel:WORD_1
	v_cvt_f32_f16_e32 v46, v111
	s_waitcnt vmcnt(16)
	v_cvt_f32_f16_sdwa v49, v104 dst_sel:DWORD dst_unused:UNUSED_PAD src0_sel:WORD_1
	v_cvt_f32_f16_e32 v48, v104
	s_waitcnt vmcnt(12)
	v_cvt_f32_f16_sdwa v53, v105 dst_sel:DWORD dst_unused:UNUSED_PAD src0_sel:WORD_1
	v_cvt_f32_f16_e32 v52, v105
	s_waitcnt vmcnt(10)
	v_cvt_f32_f16_sdwa v55, v106 dst_sel:DWORD dst_unused:UNUSED_PAD src0_sel:WORD_1
	v_cvt_f32_f16_e32 v54, v106
	s_waitcnt vmcnt(8)
	v_cvt_f32_f16_sdwa v57, v107 dst_sel:DWORD dst_unused:UNUSED_PAD src0_sel:WORD_1
	v_cvt_f32_f16_e32 v56, v107
	s_waitcnt vmcnt(6)
	v_cvt_f32_f16_sdwa v59, v124 dst_sel:DWORD dst_unused:UNUSED_PAD src0_sel:WORD_1
	v_cvt_f32_f16_e32 v58, v124
	s_waitcnt vmcnt(2)
	v_cvt_f32_f16_sdwa v63, v126 dst_sel:DWORD dst_unused:UNUSED_PAD src0_sel:WORD_1
	v_cvt_f32_f16_e32 v62, v126
	;;#ASMSTART
	v_pk_mul_f32 v[28:29], v[60:61], v[30:31]
	;;#ASMEND
	;;#ASMSTART
	v_pk_mul_f32 v[32:33], v[32:33], v[30:31]
	;;#ASMEND
	;; [unrolled: 3-line block ×3, first 2 shown]
	v_cvt_f32_f16_sdwa v31, v112 dst_sel:DWORD dst_unused:UNUSED_PAD src0_sel:WORD_1
	v_cvt_f32_f16_e32 v30, v112
	;;#ASMSTART
	v_pk_mul_f32 v[2:3], v[2:3], v[30:31]
	;;#ASMEND
	;;#ASMSTART
	v_pk_mul_f32 v[74:75], v[4:5], v[34:35]
	;;#ASMEND
	;; [unrolled: 3-line block ×3, first 2 shown]
	buffer_store_dword v0, off, s[40:43], 0 offset:1280 ; 4-byte Folded Spill
	s_nop 0
	buffer_store_dword v1, off, s[40:43], 0 offset:1284 ; 4-byte Folded Spill
	buffer_store_dword v2, off, s[40:43], 0 offset:1288 ; 4-byte Folded Spill
	;; [unrolled: 1-line block ×31, first 2 shown]
	v_cvt_f32_f16_sdwa v61, v125 dst_sel:DWORD dst_unused:UNUSED_PAD src0_sel:WORD_1
	v_cvt_f32_f16_e32 v60, v125
	;;#ASMSTART
	v_pk_mul_f32 v[6:7], v[8:9], v[38:39]
	;;#ASMEND
	buffer_store_dword v0, off, s[40:43], 0 offset:1152 ; 4-byte Folded Spill
	s_nop 0
	buffer_store_dword v1, off, s[40:43], 0 offset:1156 ; 4-byte Folded Spill
	buffer_store_dword v2, off, s[40:43], 0 offset:1160 ; 4-byte Folded Spill
	buffer_store_dword v3, off, s[40:43], 0 offset:1164 ; 4-byte Folded Spill
	buffer_store_dword v4, off, s[40:43], 0 offset:1168 ; 4-byte Folded Spill
	buffer_store_dword v5, off, s[40:43], 0 offset:1172 ; 4-byte Folded Spill
	buffer_store_dword v6, off, s[40:43], 0 offset:1176 ; 4-byte Folded Spill
	buffer_store_dword v7, off, s[40:43], 0 offset:1180 ; 4-byte Folded Spill
	buffer_store_dword v8, off, s[40:43], 0 offset:1184 ; 4-byte Folded Spill
	buffer_store_dword v9, off, s[40:43], 0 offset:1188 ; 4-byte Folded Spill
	buffer_store_dword v10, off, s[40:43], 0 offset:1192 ; 4-byte Folded Spill
	buffer_store_dword v11, off, s[40:43], 0 offset:1196 ; 4-byte Folded Spill
	buffer_store_dword v12, off, s[40:43], 0 offset:1200 ; 4-byte Folded Spill
	buffer_store_dword v13, off, s[40:43], 0 offset:1204 ; 4-byte Folded Spill
	buffer_store_dword v14, off, s[40:43], 0 offset:1208 ; 4-byte Folded Spill
	buffer_store_dword v15, off, s[40:43], 0 offset:1212 ; 4-byte Folded Spill
	buffer_store_dword v16, off, s[40:43], 0 offset:1216 ; 4-byte Folded Spill
	buffer_store_dword v17, off, s[40:43], 0 offset:1220 ; 4-byte Folded Spill
	buffer_store_dword v18, off, s[40:43], 0 offset:1224 ; 4-byte Folded Spill
	buffer_store_dword v19, off, s[40:43], 0 offset:1228 ; 4-byte Folded Spill
	buffer_store_dword v20, off, s[40:43], 0 offset:1232 ; 4-byte Folded Spill
	buffer_store_dword v21, off, s[40:43], 0 offset:1236 ; 4-byte Folded Spill
	buffer_store_dword v22, off, s[40:43], 0 offset:1240 ; 4-byte Folded Spill
	buffer_store_dword v23, off, s[40:43], 0 offset:1244 ; 4-byte Folded Spill
	buffer_store_dword v24, off, s[40:43], 0 offset:1248 ; 4-byte Folded Spill
	buffer_store_dword v25, off, s[40:43], 0 offset:1252 ; 4-byte Folded Spill
	buffer_store_dword v26, off, s[40:43], 0 offset:1256 ; 4-byte Folded Spill
	buffer_store_dword v27, off, s[40:43], 0 offset:1260 ; 4-byte Folded Spill
	buffer_store_dword v28, off, s[40:43], 0 offset:1264 ; 4-byte Folded Spill
	buffer_store_dword v29, off, s[40:43], 0 offset:1268 ; 4-byte Folded Spill
	buffer_store_dword v30, off, s[40:43], 0 offset:1272 ; 4-byte Folded Spill
	buffer_store_dword v31, off, s[40:43], 0 offset:1276 ; 4-byte Folded Spill
	;;#ASMSTART
	v_pk_mul_f32 v[8:9], v[10:11], v[40:41]
	;;#ASMEND
	buffer_store_dword v0, off, s[40:43], 0 offset:1408 ; 4-byte Folded Spill
	s_nop 0
	buffer_store_dword v1, off, s[40:43], 0 offset:1412 ; 4-byte Folded Spill
	buffer_store_dword v2, off, s[40:43], 0 offset:1416 ; 4-byte Folded Spill
	buffer_store_dword v3, off, s[40:43], 0 offset:1420 ; 4-byte Folded Spill
	buffer_store_dword v4, off, s[40:43], 0 offset:1424 ; 4-byte Folded Spill
	buffer_store_dword v5, off, s[40:43], 0 offset:1428 ; 4-byte Folded Spill
	buffer_store_dword v6, off, s[40:43], 0 offset:1432 ; 4-byte Folded Spill
	buffer_store_dword v7, off, s[40:43], 0 offset:1436 ; 4-byte Folded Spill
	buffer_store_dword v8, off, s[40:43], 0 offset:1440 ; 4-byte Folded Spill
	buffer_store_dword v9, off, s[40:43], 0 offset:1444 ; 4-byte Folded Spill
	buffer_store_dword v10, off, s[40:43], 0 offset:1448 ; 4-byte Folded Spill
	buffer_store_dword v11, off, s[40:43], 0 offset:1452 ; 4-byte Folded Spill
	buffer_store_dword v12, off, s[40:43], 0 offset:1456 ; 4-byte Folded Spill
	buffer_store_dword v13, off, s[40:43], 0 offset:1460 ; 4-byte Folded Spill
	buffer_store_dword v14, off, s[40:43], 0 offset:1464 ; 4-byte Folded Spill
	buffer_store_dword v15, off, s[40:43], 0 offset:1468 ; 4-byte Folded Spill
	buffer_store_dword v16, off, s[40:43], 0 offset:1472 ; 4-byte Folded Spill
	buffer_store_dword v17, off, s[40:43], 0 offset:1476 ; 4-byte Folded Spill
	buffer_store_dword v18, off, s[40:43], 0 offset:1480 ; 4-byte Folded Spill
	buffer_store_dword v19, off, s[40:43], 0 offset:1484 ; 4-byte Folded Spill
	buffer_store_dword v20, off, s[40:43], 0 offset:1488 ; 4-byte Folded Spill
	buffer_store_dword v21, off, s[40:43], 0 offset:1492 ; 4-byte Folded Spill
	buffer_store_dword v22, off, s[40:43], 0 offset:1496 ; 4-byte Folded Spill
	buffer_store_dword v23, off, s[40:43], 0 offset:1500 ; 4-byte Folded Spill
	buffer_store_dword v24, off, s[40:43], 0 offset:1504 ; 4-byte Folded Spill
	buffer_store_dword v25, off, s[40:43], 0 offset:1508 ; 4-byte Folded Spill
	buffer_store_dword v26, off, s[40:43], 0 offset:1512 ; 4-byte Folded Spill
	buffer_store_dword v27, off, s[40:43], 0 offset:1516 ; 4-byte Folded Spill
	buffer_store_dword v28, off, s[40:43], 0 offset:1520 ; 4-byte Folded Spill
	buffer_store_dword v29, off, s[40:43], 0 offset:1524 ; 4-byte Folded Spill
	buffer_store_dword v30, off, s[40:43], 0 offset:1528 ; 4-byte Folded Spill
	buffer_store_dword v31, off, s[40:43], 0 offset:1532 ; 4-byte Folded Spill
	;; [unrolled: 36-line block ×8, first 2 shown]
	;;#ASMSTART
	v_pk_mul_f32 v[22:23], v[24:25], v[56:57]
	;;#ASMEND
	buffer_store_dword v0, off, s[40:43], 0 ; 4-byte Folded Spill
	s_nop 0
	buffer_store_dword v1, off, s[40:43], 0 offset:4 ; 4-byte Folded Spill
	buffer_store_dword v2, off, s[40:43], 0 offset:8 ; 4-byte Folded Spill
	;; [unrolled: 1-line block ×31, first 2 shown]
	;;#ASMSTART
	v_pk_mul_f32 v[24:25], v[26:27], v[58:59]
	;;#ASMEND
	buffer_store_dword v0, off, s[40:43], 0 offset:384 ; 4-byte Folded Spill
	s_nop 0
	buffer_store_dword v1, off, s[40:43], 0 offset:388 ; 4-byte Folded Spill
	buffer_store_dword v2, off, s[40:43], 0 offset:392 ; 4-byte Folded Spill
	;; [unrolled: 1-line block ×31, first 2 shown]
	;;#ASMSTART
	v_pk_mul_f32 v[26:27], v[28:29], v[60:61]
	;;#ASMEND
	buffer_store_dword v0, off, s[40:43], 0 offset:256 ; 4-byte Folded Spill
	s_nop 0
	buffer_store_dword v1, off, s[40:43], 0 offset:260 ; 4-byte Folded Spill
	buffer_store_dword v2, off, s[40:43], 0 offset:264 ; 4-byte Folded Spill
	;; [unrolled: 1-line block ×31, first 2 shown]
	;;#ASMSTART
	v_pk_mul_f32 v[28:29], v[32:33], v[62:63]
	;;#ASMEND
	;;#ASMSTART
	v_pk_mul_f32 v[76:77], v[68:69], v[66:67]
	;;#ASMEND
	s_or_b64 exec, exec, s[24:25]
	s_mov_b64 s[8:9], -1
	s_and_b64 vcc, exec, s[22:23]
	s_cbranch_vccz .LBB87_15
.LBB87_19:
	s_and_saveexec_b64 s[8:9], s[0:1]
	s_cbranch_execz .LBB87_21
; %bb.20:
	buffer_load_dword v30, off, s[40:43], 0 offset:1280 ; 4-byte Folded Reload
	buffer_load_dword v31, off, s[40:43], 0 offset:1284 ; 4-byte Folded Reload
	;; [unrolled: 1-line block ×32, first 2 shown]
	s_mul_hi_i32 s23, s28, s6
	s_mul_i32 s22, s28, s6
	s_lshl_b64 s[22:23], s[22:23], 1
	s_add_u32 s24, s34, s22
	s_addc_u32 s7, s35, s23
	s_and_b32 s25, s7, 0xffff
	s_mov_b32 s27, 0x20000
	s_movk_i32 s7, 0x400
	s_waitcnt vmcnt(26)
	v_pk_mov_b32 v[8:9], v[34:35], v[34:35] op_sel:[0,1]
	buffer_load_dword v30, off, s[40:43], 0 offset:1152 ; 4-byte Folded Reload
	buffer_load_dword v31, off, s[40:43], 0 offset:1156 ; 4-byte Folded Reload
	;; [unrolled: 1-line block ×33, first 2 shown]
	v_cvt_f16_f32_e32 v4, v8
	v_cvt_f16_f32_e32 v8, v9
	s_waitcnt vmcnt(25)
	v_pk_mov_b32 v[6:7], v[36:37], v[36:37] op_sel:[0,1]
	v_cvt_f16_f32_e32 v5, v6
	v_cvt_f16_f32_e32 v6, v7
	v_pack_b32_f16 v7, v5, v6
	v_pack_b32_f16 v6, v4, v8
	v_cvt_f16_f32_e32 v4, v74
	v_cvt_f16_f32_e32 v5, v75
	;; [unrolled: 1-line block ×3, first 2 shown]
	v_pack_b32_f16 v5, v4, v5
	v_cvt_f16_f32_e32 v4, v2
	v_pack_b32_f16 v4, v4, v8
	s_waitcnt vmcnt(0)
	v_lshlrev_b32_e32 v8, 1, v1
	buffer_store_dwordx4 v[4:7], v8, s[24:27], 0 offen
	buffer_load_dword v30, off, s[40:43], 0 offset:640 ; 4-byte Folded Reload
	buffer_load_dword v31, off, s[40:43], 0 offset:644 ; 4-byte Folded Reload
	;; [unrolled: 1-line block ×32, first 2 shown]
	s_waitcnt vmcnt(18)
	v_pk_mov_b32 v[12:13], v[42:43], v[42:43] op_sel:[0,1]
	buffer_load_dword v30, off, s[40:43], 0 offset:512 ; 4-byte Folded Reload
	buffer_load_dword v31, off, s[40:43], 0 offset:516 ; 4-byte Folded Reload
	;; [unrolled: 1-line block ×32, first 2 shown]
	v_cvt_f16_f32_e32 v4, v12
	v_cvt_f16_f32_e32 v9, v13
	s_waitcnt vmcnt(16)
	v_pk_mov_b32 v[14:15], v[44:45], v[44:45] op_sel:[0,1]
	buffer_load_dword v30, off, s[40:43], 0 offset:1024 ; 4-byte Folded Reload
	buffer_load_dword v31, off, s[40:43], 0 offset:1028 ; 4-byte Folded Reload
	;; [unrolled: 1-line block ×32, first 2 shown]
	v_cvt_f16_f32_e32 v5, v14
	v_cvt_f16_f32_e32 v6, v15
	v_pack_b32_f16 v7, v5, v6
	v_pack_b32_f16 v6, v4, v9
	s_waitcnt vmcnt(20)
	v_pk_mov_b32 v[10:11], v[40:41], v[40:41] op_sel:[0,1]
	buffer_load_dword v30, off, s[40:43], 0 offset:1408 ; 4-byte Folded Reload
	buffer_load_dword v31, off, s[40:43], 0 offset:1412 ; 4-byte Folded Reload
	;; [unrolled: 1-line block ×32, first 2 shown]
	v_cvt_f16_f32_e32 v4, v10
	v_cvt_f16_f32_e32 v5, v11
	;;#ASMSTART
	s_nop 0
	;;#ASMEND
	v_pack_b32_f16 v5, v4, v5
	s_waitcnt vmcnt(22)
	v_pk_mov_b32 v[10:11], v[38:39], v[38:39] op_sel:[0,1]
	v_cvt_f16_f32_e32 v4, v10
	v_cvt_f16_f32_e32 v9, v11
	v_pack_b32_f16 v4, v4, v9
	buffer_store_dwordx4 v[4:7], v8, s[24:27], s7 offen
	buffer_load_dword v30, off, s[40:43], 0 offset:128 ; 4-byte Folded Reload
	buffer_load_dword v31, off, s[40:43], 0 offset:132 ; 4-byte Folded Reload
	buffer_load_dword v32, off, s[40:43], 0 offset:136 ; 4-byte Folded Reload
	buffer_load_dword v33, off, s[40:43], 0 offset:140 ; 4-byte Folded Reload
	buffer_load_dword v34, off, s[40:43], 0 offset:144 ; 4-byte Folded Reload
	buffer_load_dword v35, off, s[40:43], 0 offset:148 ; 4-byte Folded Reload
	buffer_load_dword v36, off, s[40:43], 0 offset:152 ; 4-byte Folded Reload
	buffer_load_dword v37, off, s[40:43], 0 offset:156 ; 4-byte Folded Reload
	buffer_load_dword v38, off, s[40:43], 0 offset:160 ; 4-byte Folded Reload
	buffer_load_dword v39, off, s[40:43], 0 offset:164 ; 4-byte Folded Reload
	buffer_load_dword v40, off, s[40:43], 0 offset:168 ; 4-byte Folded Reload
	buffer_load_dword v41, off, s[40:43], 0 offset:172 ; 4-byte Folded Reload
	buffer_load_dword v42, off, s[40:43], 0 offset:176 ; 4-byte Folded Reload
	buffer_load_dword v43, off, s[40:43], 0 offset:180 ; 4-byte Folded Reload
	buffer_load_dword v44, off, s[40:43], 0 offset:184 ; 4-byte Folded Reload
	buffer_load_dword v45, off, s[40:43], 0 offset:188 ; 4-byte Folded Reload
	buffer_load_dword v46, off, s[40:43], 0 offset:192 ; 4-byte Folded Reload
	buffer_load_dword v47, off, s[40:43], 0 offset:196 ; 4-byte Folded Reload
	buffer_load_dword v48, off, s[40:43], 0 offset:200 ; 4-byte Folded Reload
	buffer_load_dword v49, off, s[40:43], 0 offset:204 ; 4-byte Folded Reload
	buffer_load_dword v50, off, s[40:43], 0 offset:208 ; 4-byte Folded Reload
	buffer_load_dword v51, off, s[40:43], 0 offset:212 ; 4-byte Folded Reload
	buffer_load_dword v52, off, s[40:43], 0 offset:216 ; 4-byte Folded Reload
	buffer_load_dword v53, off, s[40:43], 0 offset:220 ; 4-byte Folded Reload
	buffer_load_dword v54, off, s[40:43], 0 offset:224 ; 4-byte Folded Reload
	buffer_load_dword v55, off, s[40:43], 0 offset:228 ; 4-byte Folded Reload
	buffer_load_dword v56, off, s[40:43], 0 offset:232 ; 4-byte Folded Reload
	buffer_load_dword v57, off, s[40:43], 0 offset:236 ; 4-byte Folded Reload
	buffer_load_dword v58, off, s[40:43], 0 offset:240 ; 4-byte Folded Reload
	buffer_load_dword v59, off, s[40:43], 0 offset:244 ; 4-byte Folded Reload
	buffer_load_dword v60, off, s[40:43], 0 offset:248 ; 4-byte Folded Reload
	buffer_load_dword v61, off, s[40:43], 0 offset:252 ; 4-byte Folded Reload
	s_movk_i32 s7, 0x800
	s_waitcnt vmcnt(10)
	v_pk_mov_b32 v[20:21], v[50:51], v[50:51] op_sel:[0,1]
	buffer_load_dword v30, off, s[40:43], 0 ; 4-byte Folded Reload
	buffer_load_dword v31, off, s[40:43], 0 offset:4 ; 4-byte Folded Reload
	buffer_load_dword v32, off, s[40:43], 0 offset:8 ; 4-byte Folded Reload
	;; [unrolled: 1-line block ×31, first 2 shown]
	v_cvt_f16_f32_e32 v4, v20
	v_cvt_f16_f32_e32 v9, v21
	s_waitcnt vmcnt(8)
	v_pk_mov_b32 v[22:23], v[52:53], v[52:53] op_sel:[0,1]
	buffer_load_dword v30, off, s[40:43], 0 offset:768 ; 4-byte Folded Reload
	buffer_load_dword v31, off, s[40:43], 0 offset:772 ; 4-byte Folded Reload
	;; [unrolled: 1-line block ×32, first 2 shown]
	v_cvt_f16_f32_e32 v5, v22
	v_cvt_f16_f32_e32 v6, v23
	v_pack_b32_f16 v7, v5, v6
	v_pack_b32_f16 v6, v4, v9
	s_waitcnt vmcnt(12)
	v_pk_mov_b32 v[18:19], v[48:49], v[48:49] op_sel:[0,1]
	buffer_load_dword v30, off, s[40:43], 0 offset:896 ; 4-byte Folded Reload
	buffer_load_dword v31, off, s[40:43], 0 offset:900 ; 4-byte Folded Reload
	;; [unrolled: 1-line block ×32, first 2 shown]
	v_cvt_f16_f32_e32 v4, v18
	v_cvt_f16_f32_e32 v5, v19
	;;#ASMSTART
	s_nop 0
	;;#ASMEND
	v_pack_b32_f16 v5, v4, v5
	s_waitcnt vmcnt(14)
	v_pk_mov_b32 v[16:17], v[46:47], v[46:47] op_sel:[0,1]
	v_cvt_f16_f32_e32 v4, v16
	v_cvt_f16_f32_e32 v9, v17
	v_pack_b32_f16 v4, v4, v9
	buffer_store_dwordx4 v[4:7], v8, s[24:27], s7 offen
	buffer_load_dword v30, off, s[40:43], 0 offset:256 ; 4-byte Folded Reload
	buffer_load_dword v31, off, s[40:43], 0 offset:260 ; 4-byte Folded Reload
	;; [unrolled: 1-line block ×32, first 2 shown]
	v_cvt_f16_f32_e32 v4, v28
	v_cvt_f16_f32_e32 v5, v76
	;; [unrolled: 1-line block ×4, first 2 shown]
	s_movk_i32 s7, 0xc00
	v_pack_b32_f16 v7, v5, v6
	v_pack_b32_f16 v6, v4, v9
	s_waitcnt vmcnt(4)
	v_pk_mov_b32 v[26:27], v[56:57], v[56:57] op_sel:[0,1]
	buffer_load_dword v30, off, s[40:43], 0 offset:384 ; 4-byte Folded Reload
	buffer_load_dword v31, off, s[40:43], 0 offset:388 ; 4-byte Folded Reload
	;; [unrolled: 1-line block ×32, first 2 shown]
	v_cvt_f16_f32_e32 v4, v26
	v_cvt_f16_f32_e32 v5, v27
	;;#ASMSTART
	s_nop 0
	;;#ASMEND
	v_pack_b32_f16 v5, v4, v5
	s_waitcnt vmcnt(6)
	v_pk_mov_b32 v[24:25], v[54:55], v[54:55] op_sel:[0,1]
	v_cvt_f16_f32_e32 v4, v24
	v_cvt_f16_f32_e32 v9, v25
	v_pack_b32_f16 v4, v4, v9
	buffer_store_dwordx4 v[4:7], v8, s[24:27], s7 offen
	;;#ASMSTART
	s_nop 0
	;;#ASMEND
.LBB87_21:
	s_or_b64 exec, exec, s[8:9]
	s_cbranch_execnz .LBB87_16
.LBB87_22:
	v_mov_b32_e32 v4, 0
	s_and_saveexec_b64 s[8:9], s[0:1]
	s_cbranch_execz .LBB87_24
; %bb.23:
	v_and_b32_e32 v4, 0x7fffffff, v2
	v_and_b32_e32 v5, 0x7fffffff, v3
	v_mov_b32_e32 v6, 0x2edbe6ff
	;;#ASMSTART
	v_max3_f32 v4, v6, v4, v5

	;;#ASMEND
	v_and_b32_e32 v5, 0x7fffffff, v74
	v_and_b32_e32 v6, 0x7fffffff, v75
	;;#ASMSTART
	v_max3_f32 v4, v4, v5, v6

	;;#ASMEND
	buffer_load_dword v30, off, s[40:43], 0 offset:1280 ; 4-byte Folded Reload
	buffer_load_dword v31, off, s[40:43], 0 offset:1284 ; 4-byte Folded Reload
	buffer_load_dword v32, off, s[40:43], 0 offset:1288 ; 4-byte Folded Reload
	buffer_load_dword v33, off, s[40:43], 0 offset:1292 ; 4-byte Folded Reload
	buffer_load_dword v34, off, s[40:43], 0 offset:1296 ; 4-byte Folded Reload
	buffer_load_dword v35, off, s[40:43], 0 offset:1300 ; 4-byte Folded Reload
	buffer_load_dword v36, off, s[40:43], 0 offset:1304 ; 4-byte Folded Reload
	buffer_load_dword v37, off, s[40:43], 0 offset:1308 ; 4-byte Folded Reload
	buffer_load_dword v38, off, s[40:43], 0 offset:1312 ; 4-byte Folded Reload
	buffer_load_dword v39, off, s[40:43], 0 offset:1316 ; 4-byte Folded Reload
	buffer_load_dword v40, off, s[40:43], 0 offset:1320 ; 4-byte Folded Reload
	buffer_load_dword v41, off, s[40:43], 0 offset:1324 ; 4-byte Folded Reload
	buffer_load_dword v42, off, s[40:43], 0 offset:1328 ; 4-byte Folded Reload
	buffer_load_dword v43, off, s[40:43], 0 offset:1332 ; 4-byte Folded Reload
	buffer_load_dword v44, off, s[40:43], 0 offset:1336 ; 4-byte Folded Reload
	buffer_load_dword v45, off, s[40:43], 0 offset:1340 ; 4-byte Folded Reload
	buffer_load_dword v46, off, s[40:43], 0 offset:1344 ; 4-byte Folded Reload
	buffer_load_dword v47, off, s[40:43], 0 offset:1348 ; 4-byte Folded Reload
	buffer_load_dword v48, off, s[40:43], 0 offset:1352 ; 4-byte Folded Reload
	buffer_load_dword v49, off, s[40:43], 0 offset:1356 ; 4-byte Folded Reload
	buffer_load_dword v50, off, s[40:43], 0 offset:1360 ; 4-byte Folded Reload
	buffer_load_dword v51, off, s[40:43], 0 offset:1364 ; 4-byte Folded Reload
	buffer_load_dword v52, off, s[40:43], 0 offset:1368 ; 4-byte Folded Reload
	buffer_load_dword v53, off, s[40:43], 0 offset:1372 ; 4-byte Folded Reload
	buffer_load_dword v54, off, s[40:43], 0 offset:1376 ; 4-byte Folded Reload
	buffer_load_dword v55, off, s[40:43], 0 offset:1380 ; 4-byte Folded Reload
	buffer_load_dword v56, off, s[40:43], 0 offset:1384 ; 4-byte Folded Reload
	buffer_load_dword v57, off, s[40:43], 0 offset:1388 ; 4-byte Folded Reload
	buffer_load_dword v58, off, s[40:43], 0 offset:1392 ; 4-byte Folded Reload
	buffer_load_dword v59, off, s[40:43], 0 offset:1396 ; 4-byte Folded Reload
	buffer_load_dword v60, off, s[40:43], 0 offset:1400 ; 4-byte Folded Reload
	buffer_load_dword v61, off, s[40:43], 0 offset:1404 ; 4-byte Folded Reload
	s_waitcnt vmcnt(26)
	v_pk_mov_b32 v[6:7], v[34:35], v[34:35] op_sel:[0,1]
	v_and_b32_e32 v5, 0x7fffffff, v6
	v_and_b32_e32 v6, 0x7fffffff, v7
	;;#ASMSTART
	v_max3_f32 v4, v4, v5, v6

	;;#ASMEND
	buffer_load_dword v30, off, s[40:43], 0 offset:1152 ; 4-byte Folded Reload
	buffer_load_dword v31, off, s[40:43], 0 offset:1156 ; 4-byte Folded Reload
	buffer_load_dword v32, off, s[40:43], 0 offset:1160 ; 4-byte Folded Reload
	buffer_load_dword v33, off, s[40:43], 0 offset:1164 ; 4-byte Folded Reload
	buffer_load_dword v34, off, s[40:43], 0 offset:1168 ; 4-byte Folded Reload
	buffer_load_dword v35, off, s[40:43], 0 offset:1172 ; 4-byte Folded Reload
	buffer_load_dword v36, off, s[40:43], 0 offset:1176 ; 4-byte Folded Reload
	buffer_load_dword v37, off, s[40:43], 0 offset:1180 ; 4-byte Folded Reload
	buffer_load_dword v38, off, s[40:43], 0 offset:1184 ; 4-byte Folded Reload
	buffer_load_dword v39, off, s[40:43], 0 offset:1188 ; 4-byte Folded Reload
	buffer_load_dword v40, off, s[40:43], 0 offset:1192 ; 4-byte Folded Reload
	buffer_load_dword v41, off, s[40:43], 0 offset:1196 ; 4-byte Folded Reload
	buffer_load_dword v42, off, s[40:43], 0 offset:1200 ; 4-byte Folded Reload
	buffer_load_dword v43, off, s[40:43], 0 offset:1204 ; 4-byte Folded Reload
	buffer_load_dword v44, off, s[40:43], 0 offset:1208 ; 4-byte Folded Reload
	buffer_load_dword v45, off, s[40:43], 0 offset:1212 ; 4-byte Folded Reload
	buffer_load_dword v46, off, s[40:43], 0 offset:1216 ; 4-byte Folded Reload
	buffer_load_dword v47, off, s[40:43], 0 offset:1220 ; 4-byte Folded Reload
	buffer_load_dword v48, off, s[40:43], 0 offset:1224 ; 4-byte Folded Reload
	buffer_load_dword v49, off, s[40:43], 0 offset:1228 ; 4-byte Folded Reload
	buffer_load_dword v50, off, s[40:43], 0 offset:1232 ; 4-byte Folded Reload
	buffer_load_dword v51, off, s[40:43], 0 offset:1236 ; 4-byte Folded Reload
	buffer_load_dword v52, off, s[40:43], 0 offset:1240 ; 4-byte Folded Reload
	buffer_load_dword v53, off, s[40:43], 0 offset:1244 ; 4-byte Folded Reload
	buffer_load_dword v54, off, s[40:43], 0 offset:1248 ; 4-byte Folded Reload
	buffer_load_dword v55, off, s[40:43], 0 offset:1252 ; 4-byte Folded Reload
	buffer_load_dword v56, off, s[40:43], 0 offset:1256 ; 4-byte Folded Reload
	buffer_load_dword v57, off, s[40:43], 0 offset:1260 ; 4-byte Folded Reload
	buffer_load_dword v58, off, s[40:43], 0 offset:1264 ; 4-byte Folded Reload
	buffer_load_dword v59, off, s[40:43], 0 offset:1268 ; 4-byte Folded Reload
	buffer_load_dword v60, off, s[40:43], 0 offset:1272 ; 4-byte Folded Reload
	buffer_load_dword v61, off, s[40:43], 0 offset:1276 ; 4-byte Folded Reload
	s_waitcnt vmcnt(24)
	v_pk_mov_b32 v[6:7], v[36:37], v[36:37] op_sel:[0,1]
	v_and_b32_e32 v5, 0x7fffffff, v6
	v_and_b32_e32 v6, 0x7fffffff, v7
	;;#ASMSTART
	v_max3_f32 v4, v4, v5, v6

	;;#ASMEND
	buffer_load_dword v30, off, s[40:43], 0 offset:1408 ; 4-byte Folded Reload
	buffer_load_dword v31, off, s[40:43], 0 offset:1412 ; 4-byte Folded Reload
	buffer_load_dword v32, off, s[40:43], 0 offset:1416 ; 4-byte Folded Reload
	buffer_load_dword v33, off, s[40:43], 0 offset:1420 ; 4-byte Folded Reload
	buffer_load_dword v34, off, s[40:43], 0 offset:1424 ; 4-byte Folded Reload
	buffer_load_dword v35, off, s[40:43], 0 offset:1428 ; 4-byte Folded Reload
	buffer_load_dword v36, off, s[40:43], 0 offset:1432 ; 4-byte Folded Reload
	buffer_load_dword v37, off, s[40:43], 0 offset:1436 ; 4-byte Folded Reload
	buffer_load_dword v38, off, s[40:43], 0 offset:1440 ; 4-byte Folded Reload
	buffer_load_dword v39, off, s[40:43], 0 offset:1444 ; 4-byte Folded Reload
	buffer_load_dword v40, off, s[40:43], 0 offset:1448 ; 4-byte Folded Reload
	buffer_load_dword v41, off, s[40:43], 0 offset:1452 ; 4-byte Folded Reload
	buffer_load_dword v42, off, s[40:43], 0 offset:1456 ; 4-byte Folded Reload
	buffer_load_dword v43, off, s[40:43], 0 offset:1460 ; 4-byte Folded Reload
	buffer_load_dword v44, off, s[40:43], 0 offset:1464 ; 4-byte Folded Reload
	buffer_load_dword v45, off, s[40:43], 0 offset:1468 ; 4-byte Folded Reload
	buffer_load_dword v46, off, s[40:43], 0 offset:1472 ; 4-byte Folded Reload
	buffer_load_dword v47, off, s[40:43], 0 offset:1476 ; 4-byte Folded Reload
	buffer_load_dword v48, off, s[40:43], 0 offset:1480 ; 4-byte Folded Reload
	buffer_load_dword v49, off, s[40:43], 0 offset:1484 ; 4-byte Folded Reload
	buffer_load_dword v50, off, s[40:43], 0 offset:1488 ; 4-byte Folded Reload
	buffer_load_dword v51, off, s[40:43], 0 offset:1492 ; 4-byte Folded Reload
	buffer_load_dword v52, off, s[40:43], 0 offset:1496 ; 4-byte Folded Reload
	buffer_load_dword v53, off, s[40:43], 0 offset:1500 ; 4-byte Folded Reload
	buffer_load_dword v54, off, s[40:43], 0 offset:1504 ; 4-byte Folded Reload
	buffer_load_dword v55, off, s[40:43], 0 offset:1508 ; 4-byte Folded Reload
	buffer_load_dword v56, off, s[40:43], 0 offset:1512 ; 4-byte Folded Reload
	buffer_load_dword v57, off, s[40:43], 0 offset:1516 ; 4-byte Folded Reload
	buffer_load_dword v58, off, s[40:43], 0 offset:1520 ; 4-byte Folded Reload
	buffer_load_dword v59, off, s[40:43], 0 offset:1524 ; 4-byte Folded Reload
	buffer_load_dword v60, off, s[40:43], 0 offset:1528 ; 4-byte Folded Reload
	buffer_load_dword v61, off, s[40:43], 0 offset:1532 ; 4-byte Folded Reload
	s_waitcnt vmcnt(22)
	v_pk_mov_b32 v[8:9], v[38:39], v[38:39] op_sel:[0,1]
	v_and_b32_e32 v5, 0x7fffffff, v8
	v_and_b32_e32 v6, 0x7fffffff, v9
	;;#ASMSTART
	v_max3_f32 v4, v4, v5, v6

	;;#ASMEND
	buffer_load_dword v30, off, s[40:43], 0 offset:1024 ; 4-byte Folded Reload
	buffer_load_dword v31, off, s[40:43], 0 offset:1028 ; 4-byte Folded Reload
	buffer_load_dword v32, off, s[40:43], 0 offset:1032 ; 4-byte Folded Reload
	buffer_load_dword v33, off, s[40:43], 0 offset:1036 ; 4-byte Folded Reload
	buffer_load_dword v34, off, s[40:43], 0 offset:1040 ; 4-byte Folded Reload
	buffer_load_dword v35, off, s[40:43], 0 offset:1044 ; 4-byte Folded Reload
	buffer_load_dword v36, off, s[40:43], 0 offset:1048 ; 4-byte Folded Reload
	buffer_load_dword v37, off, s[40:43], 0 offset:1052 ; 4-byte Folded Reload
	buffer_load_dword v38, off, s[40:43], 0 offset:1056 ; 4-byte Folded Reload
	buffer_load_dword v39, off, s[40:43], 0 offset:1060 ; 4-byte Folded Reload
	buffer_load_dword v40, off, s[40:43], 0 offset:1064 ; 4-byte Folded Reload
	buffer_load_dword v41, off, s[40:43], 0 offset:1068 ; 4-byte Folded Reload
	buffer_load_dword v42, off, s[40:43], 0 offset:1072 ; 4-byte Folded Reload
	buffer_load_dword v43, off, s[40:43], 0 offset:1076 ; 4-byte Folded Reload
	buffer_load_dword v44, off, s[40:43], 0 offset:1080 ; 4-byte Folded Reload
	buffer_load_dword v45, off, s[40:43], 0 offset:1084 ; 4-byte Folded Reload
	buffer_load_dword v46, off, s[40:43], 0 offset:1088 ; 4-byte Folded Reload
	buffer_load_dword v47, off, s[40:43], 0 offset:1092 ; 4-byte Folded Reload
	buffer_load_dword v48, off, s[40:43], 0 offset:1096 ; 4-byte Folded Reload
	buffer_load_dword v49, off, s[40:43], 0 offset:1100 ; 4-byte Folded Reload
	buffer_load_dword v50, off, s[40:43], 0 offset:1104 ; 4-byte Folded Reload
	buffer_load_dword v51, off, s[40:43], 0 offset:1108 ; 4-byte Folded Reload
	buffer_load_dword v52, off, s[40:43], 0 offset:1112 ; 4-byte Folded Reload
	buffer_load_dword v53, off, s[40:43], 0 offset:1116 ; 4-byte Folded Reload
	buffer_load_dword v54, off, s[40:43], 0 offset:1120 ; 4-byte Folded Reload
	buffer_load_dword v55, off, s[40:43], 0 offset:1124 ; 4-byte Folded Reload
	buffer_load_dword v56, off, s[40:43], 0 offset:1128 ; 4-byte Folded Reload
	buffer_load_dword v57, off, s[40:43], 0 offset:1132 ; 4-byte Folded Reload
	buffer_load_dword v58, off, s[40:43], 0 offset:1136 ; 4-byte Folded Reload
	buffer_load_dword v59, off, s[40:43], 0 offset:1140 ; 4-byte Folded Reload
	buffer_load_dword v60, off, s[40:43], 0 offset:1144 ; 4-byte Folded Reload
	buffer_load_dword v61, off, s[40:43], 0 offset:1148 ; 4-byte Folded Reload
	s_waitcnt vmcnt(20)
	v_pk_mov_b32 v[10:11], v[40:41], v[40:41] op_sel:[0,1]
	v_and_b32_e32 v5, 0x7fffffff, v10
	v_and_b32_e32 v6, 0x7fffffff, v11
	;;#ASMSTART
	v_max3_f32 v4, v4, v5, v6

	;;#ASMEND
	buffer_load_dword v30, off, s[40:43], 0 offset:640 ; 4-byte Folded Reload
	buffer_load_dword v31, off, s[40:43], 0 offset:644 ; 4-byte Folded Reload
	buffer_load_dword v32, off, s[40:43], 0 offset:648 ; 4-byte Folded Reload
	buffer_load_dword v33, off, s[40:43], 0 offset:652 ; 4-byte Folded Reload
	buffer_load_dword v34, off, s[40:43], 0 offset:656 ; 4-byte Folded Reload
	buffer_load_dword v35, off, s[40:43], 0 offset:660 ; 4-byte Folded Reload
	buffer_load_dword v36, off, s[40:43], 0 offset:664 ; 4-byte Folded Reload
	buffer_load_dword v37, off, s[40:43], 0 offset:668 ; 4-byte Folded Reload
	buffer_load_dword v38, off, s[40:43], 0 offset:672 ; 4-byte Folded Reload
	buffer_load_dword v39, off, s[40:43], 0 offset:676 ; 4-byte Folded Reload
	buffer_load_dword v40, off, s[40:43], 0 offset:680 ; 4-byte Folded Reload
	buffer_load_dword v41, off, s[40:43], 0 offset:684 ; 4-byte Folded Reload
	buffer_load_dword v42, off, s[40:43], 0 offset:688 ; 4-byte Folded Reload
	buffer_load_dword v43, off, s[40:43], 0 offset:692 ; 4-byte Folded Reload
	buffer_load_dword v44, off, s[40:43], 0 offset:696 ; 4-byte Folded Reload
	buffer_load_dword v45, off, s[40:43], 0 offset:700 ; 4-byte Folded Reload
	buffer_load_dword v46, off, s[40:43], 0 offset:704 ; 4-byte Folded Reload
	buffer_load_dword v47, off, s[40:43], 0 offset:708 ; 4-byte Folded Reload
	buffer_load_dword v48, off, s[40:43], 0 offset:712 ; 4-byte Folded Reload
	buffer_load_dword v49, off, s[40:43], 0 offset:716 ; 4-byte Folded Reload
	buffer_load_dword v50, off, s[40:43], 0 offset:720 ; 4-byte Folded Reload
	buffer_load_dword v51, off, s[40:43], 0 offset:724 ; 4-byte Folded Reload
	buffer_load_dword v52, off, s[40:43], 0 offset:728 ; 4-byte Folded Reload
	buffer_load_dword v53, off, s[40:43], 0 offset:732 ; 4-byte Folded Reload
	buffer_load_dword v54, off, s[40:43], 0 offset:736 ; 4-byte Folded Reload
	buffer_load_dword v55, off, s[40:43], 0 offset:740 ; 4-byte Folded Reload
	buffer_load_dword v56, off, s[40:43], 0 offset:744 ; 4-byte Folded Reload
	buffer_load_dword v57, off, s[40:43], 0 offset:748 ; 4-byte Folded Reload
	buffer_load_dword v58, off, s[40:43], 0 offset:752 ; 4-byte Folded Reload
	buffer_load_dword v59, off, s[40:43], 0 offset:756 ; 4-byte Folded Reload
	buffer_load_dword v60, off, s[40:43], 0 offset:760 ; 4-byte Folded Reload
	buffer_load_dword v61, off, s[40:43], 0 offset:764 ; 4-byte Folded Reload
	s_waitcnt vmcnt(18)
	v_pk_mov_b32 v[12:13], v[42:43], v[42:43] op_sel:[0,1]
	v_and_b32_e32 v5, 0x7fffffff, v12
	v_and_b32_e32 v6, 0x7fffffff, v13
	;;#ASMSTART
	v_max3_f32 v4, v4, v5, v6

	;;#ASMEND
	buffer_load_dword v30, off, s[40:43], 0 offset:512 ; 4-byte Folded Reload
	buffer_load_dword v31, off, s[40:43], 0 offset:516 ; 4-byte Folded Reload
	buffer_load_dword v32, off, s[40:43], 0 offset:520 ; 4-byte Folded Reload
	buffer_load_dword v33, off, s[40:43], 0 offset:524 ; 4-byte Folded Reload
	buffer_load_dword v34, off, s[40:43], 0 offset:528 ; 4-byte Folded Reload
	buffer_load_dword v35, off, s[40:43], 0 offset:532 ; 4-byte Folded Reload
	buffer_load_dword v36, off, s[40:43], 0 offset:536 ; 4-byte Folded Reload
	buffer_load_dword v37, off, s[40:43], 0 offset:540 ; 4-byte Folded Reload
	buffer_load_dword v38, off, s[40:43], 0 offset:544 ; 4-byte Folded Reload
	buffer_load_dword v39, off, s[40:43], 0 offset:548 ; 4-byte Folded Reload
	buffer_load_dword v40, off, s[40:43], 0 offset:552 ; 4-byte Folded Reload
	buffer_load_dword v41, off, s[40:43], 0 offset:556 ; 4-byte Folded Reload
	buffer_load_dword v42, off, s[40:43], 0 offset:560 ; 4-byte Folded Reload
	buffer_load_dword v43, off, s[40:43], 0 offset:564 ; 4-byte Folded Reload
	buffer_load_dword v44, off, s[40:43], 0 offset:568 ; 4-byte Folded Reload
	buffer_load_dword v45, off, s[40:43], 0 offset:572 ; 4-byte Folded Reload
	buffer_load_dword v46, off, s[40:43], 0 offset:576 ; 4-byte Folded Reload
	buffer_load_dword v47, off, s[40:43], 0 offset:580 ; 4-byte Folded Reload
	buffer_load_dword v48, off, s[40:43], 0 offset:584 ; 4-byte Folded Reload
	buffer_load_dword v49, off, s[40:43], 0 offset:588 ; 4-byte Folded Reload
	buffer_load_dword v50, off, s[40:43], 0 offset:592 ; 4-byte Folded Reload
	buffer_load_dword v51, off, s[40:43], 0 offset:596 ; 4-byte Folded Reload
	buffer_load_dword v52, off, s[40:43], 0 offset:600 ; 4-byte Folded Reload
	buffer_load_dword v53, off, s[40:43], 0 offset:604 ; 4-byte Folded Reload
	buffer_load_dword v54, off, s[40:43], 0 offset:608 ; 4-byte Folded Reload
	buffer_load_dword v55, off, s[40:43], 0 offset:612 ; 4-byte Folded Reload
	buffer_load_dword v56, off, s[40:43], 0 offset:616 ; 4-byte Folded Reload
	buffer_load_dword v57, off, s[40:43], 0 offset:620 ; 4-byte Folded Reload
	buffer_load_dword v58, off, s[40:43], 0 offset:624 ; 4-byte Folded Reload
	buffer_load_dword v59, off, s[40:43], 0 offset:628 ; 4-byte Folded Reload
	buffer_load_dword v60, off, s[40:43], 0 offset:632 ; 4-byte Folded Reload
	buffer_load_dword v61, off, s[40:43], 0 offset:636 ; 4-byte Folded Reload
	s_waitcnt vmcnt(16)
	v_pk_mov_b32 v[14:15], v[44:45], v[44:45] op_sel:[0,1]
	v_and_b32_e32 v5, 0x7fffffff, v14
	v_and_b32_e32 v6, 0x7fffffff, v15
	;;#ASMSTART
	v_max3_f32 v4, v4, v5, v6

	;;#ASMEND
	buffer_load_dword v30, off, s[40:43], 0 offset:896 ; 4-byte Folded Reload
	buffer_load_dword v31, off, s[40:43], 0 offset:900 ; 4-byte Folded Reload
	buffer_load_dword v32, off, s[40:43], 0 offset:904 ; 4-byte Folded Reload
	buffer_load_dword v33, off, s[40:43], 0 offset:908 ; 4-byte Folded Reload
	buffer_load_dword v34, off, s[40:43], 0 offset:912 ; 4-byte Folded Reload
	buffer_load_dword v35, off, s[40:43], 0 offset:916 ; 4-byte Folded Reload
	buffer_load_dword v36, off, s[40:43], 0 offset:920 ; 4-byte Folded Reload
	buffer_load_dword v37, off, s[40:43], 0 offset:924 ; 4-byte Folded Reload
	buffer_load_dword v38, off, s[40:43], 0 offset:928 ; 4-byte Folded Reload
	buffer_load_dword v39, off, s[40:43], 0 offset:932 ; 4-byte Folded Reload
	buffer_load_dword v40, off, s[40:43], 0 offset:936 ; 4-byte Folded Reload
	buffer_load_dword v41, off, s[40:43], 0 offset:940 ; 4-byte Folded Reload
	buffer_load_dword v42, off, s[40:43], 0 offset:944 ; 4-byte Folded Reload
	buffer_load_dword v43, off, s[40:43], 0 offset:948 ; 4-byte Folded Reload
	buffer_load_dword v44, off, s[40:43], 0 offset:952 ; 4-byte Folded Reload
	buffer_load_dword v45, off, s[40:43], 0 offset:956 ; 4-byte Folded Reload
	buffer_load_dword v46, off, s[40:43], 0 offset:960 ; 4-byte Folded Reload
	buffer_load_dword v47, off, s[40:43], 0 offset:964 ; 4-byte Folded Reload
	buffer_load_dword v48, off, s[40:43], 0 offset:968 ; 4-byte Folded Reload
	buffer_load_dword v49, off, s[40:43], 0 offset:972 ; 4-byte Folded Reload
	buffer_load_dword v50, off, s[40:43], 0 offset:976 ; 4-byte Folded Reload
	buffer_load_dword v51, off, s[40:43], 0 offset:980 ; 4-byte Folded Reload
	buffer_load_dword v52, off, s[40:43], 0 offset:984 ; 4-byte Folded Reload
	buffer_load_dword v53, off, s[40:43], 0 offset:988 ; 4-byte Folded Reload
	buffer_load_dword v54, off, s[40:43], 0 offset:992 ; 4-byte Folded Reload
	buffer_load_dword v55, off, s[40:43], 0 offset:996 ; 4-byte Folded Reload
	buffer_load_dword v56, off, s[40:43], 0 offset:1000 ; 4-byte Folded Reload
	buffer_load_dword v57, off, s[40:43], 0 offset:1004 ; 4-byte Folded Reload
	buffer_load_dword v58, off, s[40:43], 0 offset:1008 ; 4-byte Folded Reload
	buffer_load_dword v59, off, s[40:43], 0 offset:1012 ; 4-byte Folded Reload
	buffer_load_dword v60, off, s[40:43], 0 offset:1016 ; 4-byte Folded Reload
	buffer_load_dword v61, off, s[40:43], 0 offset:1020 ; 4-byte Folded Reload
	s_waitcnt vmcnt(14)
	v_pk_mov_b32 v[16:17], v[46:47], v[46:47] op_sel:[0,1]
	v_and_b32_e32 v5, 0x7fffffff, v16
	v_and_b32_e32 v6, 0x7fffffff, v17
	;;#ASMSTART
	v_max3_f32 v4, v4, v5, v6

	;;#ASMEND
	buffer_load_dword v30, off, s[40:43], 0 offset:768 ; 4-byte Folded Reload
	buffer_load_dword v31, off, s[40:43], 0 offset:772 ; 4-byte Folded Reload
	buffer_load_dword v32, off, s[40:43], 0 offset:776 ; 4-byte Folded Reload
	buffer_load_dword v33, off, s[40:43], 0 offset:780 ; 4-byte Folded Reload
	buffer_load_dword v34, off, s[40:43], 0 offset:784 ; 4-byte Folded Reload
	buffer_load_dword v35, off, s[40:43], 0 offset:788 ; 4-byte Folded Reload
	buffer_load_dword v36, off, s[40:43], 0 offset:792 ; 4-byte Folded Reload
	buffer_load_dword v37, off, s[40:43], 0 offset:796 ; 4-byte Folded Reload
	buffer_load_dword v38, off, s[40:43], 0 offset:800 ; 4-byte Folded Reload
	buffer_load_dword v39, off, s[40:43], 0 offset:804 ; 4-byte Folded Reload
	buffer_load_dword v40, off, s[40:43], 0 offset:808 ; 4-byte Folded Reload
	buffer_load_dword v41, off, s[40:43], 0 offset:812 ; 4-byte Folded Reload
	buffer_load_dword v42, off, s[40:43], 0 offset:816 ; 4-byte Folded Reload
	buffer_load_dword v43, off, s[40:43], 0 offset:820 ; 4-byte Folded Reload
	buffer_load_dword v44, off, s[40:43], 0 offset:824 ; 4-byte Folded Reload
	buffer_load_dword v45, off, s[40:43], 0 offset:828 ; 4-byte Folded Reload
	buffer_load_dword v46, off, s[40:43], 0 offset:832 ; 4-byte Folded Reload
	buffer_load_dword v47, off, s[40:43], 0 offset:836 ; 4-byte Folded Reload
	buffer_load_dword v48, off, s[40:43], 0 offset:840 ; 4-byte Folded Reload
	buffer_load_dword v49, off, s[40:43], 0 offset:844 ; 4-byte Folded Reload
	buffer_load_dword v50, off, s[40:43], 0 offset:848 ; 4-byte Folded Reload
	buffer_load_dword v51, off, s[40:43], 0 offset:852 ; 4-byte Folded Reload
	buffer_load_dword v52, off, s[40:43], 0 offset:856 ; 4-byte Folded Reload
	buffer_load_dword v53, off, s[40:43], 0 offset:860 ; 4-byte Folded Reload
	buffer_load_dword v54, off, s[40:43], 0 offset:864 ; 4-byte Folded Reload
	buffer_load_dword v55, off, s[40:43], 0 offset:868 ; 4-byte Folded Reload
	buffer_load_dword v56, off, s[40:43], 0 offset:872 ; 4-byte Folded Reload
	buffer_load_dword v57, off, s[40:43], 0 offset:876 ; 4-byte Folded Reload
	buffer_load_dword v58, off, s[40:43], 0 offset:880 ; 4-byte Folded Reload
	buffer_load_dword v59, off, s[40:43], 0 offset:884 ; 4-byte Folded Reload
	buffer_load_dword v60, off, s[40:43], 0 offset:888 ; 4-byte Folded Reload
	buffer_load_dword v61, off, s[40:43], 0 offset:892 ; 4-byte Folded Reload
	s_waitcnt vmcnt(12)
	v_pk_mov_b32 v[18:19], v[48:49], v[48:49] op_sel:[0,1]
	v_and_b32_e32 v5, 0x7fffffff, v18
	v_and_b32_e32 v6, 0x7fffffff, v19
	;;#ASMSTART
	v_max3_f32 v4, v4, v5, v6

	;;#ASMEND
	buffer_load_dword v30, off, s[40:43], 0 offset:128 ; 4-byte Folded Reload
	buffer_load_dword v31, off, s[40:43], 0 offset:132 ; 4-byte Folded Reload
	buffer_load_dword v32, off, s[40:43], 0 offset:136 ; 4-byte Folded Reload
	buffer_load_dword v33, off, s[40:43], 0 offset:140 ; 4-byte Folded Reload
	buffer_load_dword v34, off, s[40:43], 0 offset:144 ; 4-byte Folded Reload
	buffer_load_dword v35, off, s[40:43], 0 offset:148 ; 4-byte Folded Reload
	buffer_load_dword v36, off, s[40:43], 0 offset:152 ; 4-byte Folded Reload
	buffer_load_dword v37, off, s[40:43], 0 offset:156 ; 4-byte Folded Reload
	buffer_load_dword v38, off, s[40:43], 0 offset:160 ; 4-byte Folded Reload
	buffer_load_dword v39, off, s[40:43], 0 offset:164 ; 4-byte Folded Reload
	buffer_load_dword v40, off, s[40:43], 0 offset:168 ; 4-byte Folded Reload
	buffer_load_dword v41, off, s[40:43], 0 offset:172 ; 4-byte Folded Reload
	buffer_load_dword v42, off, s[40:43], 0 offset:176 ; 4-byte Folded Reload
	buffer_load_dword v43, off, s[40:43], 0 offset:180 ; 4-byte Folded Reload
	buffer_load_dword v44, off, s[40:43], 0 offset:184 ; 4-byte Folded Reload
	buffer_load_dword v45, off, s[40:43], 0 offset:188 ; 4-byte Folded Reload
	buffer_load_dword v46, off, s[40:43], 0 offset:192 ; 4-byte Folded Reload
	buffer_load_dword v47, off, s[40:43], 0 offset:196 ; 4-byte Folded Reload
	buffer_load_dword v48, off, s[40:43], 0 offset:200 ; 4-byte Folded Reload
	buffer_load_dword v49, off, s[40:43], 0 offset:204 ; 4-byte Folded Reload
	buffer_load_dword v50, off, s[40:43], 0 offset:208 ; 4-byte Folded Reload
	buffer_load_dword v51, off, s[40:43], 0 offset:212 ; 4-byte Folded Reload
	buffer_load_dword v52, off, s[40:43], 0 offset:216 ; 4-byte Folded Reload
	buffer_load_dword v53, off, s[40:43], 0 offset:220 ; 4-byte Folded Reload
	buffer_load_dword v54, off, s[40:43], 0 offset:224 ; 4-byte Folded Reload
	buffer_load_dword v55, off, s[40:43], 0 offset:228 ; 4-byte Folded Reload
	buffer_load_dword v56, off, s[40:43], 0 offset:232 ; 4-byte Folded Reload
	buffer_load_dword v57, off, s[40:43], 0 offset:236 ; 4-byte Folded Reload
	buffer_load_dword v58, off, s[40:43], 0 offset:240 ; 4-byte Folded Reload
	buffer_load_dword v59, off, s[40:43], 0 offset:244 ; 4-byte Folded Reload
	buffer_load_dword v60, off, s[40:43], 0 offset:248 ; 4-byte Folded Reload
	buffer_load_dword v61, off, s[40:43], 0 offset:252 ; 4-byte Folded Reload
	s_waitcnt vmcnt(10)
	v_pk_mov_b32 v[20:21], v[50:51], v[50:51] op_sel:[0,1]
	v_and_b32_e32 v5, 0x7fffffff, v20
	v_and_b32_e32 v6, 0x7fffffff, v21
	;;#ASMSTART
	v_max3_f32 v4, v4, v5, v6

	;;#ASMEND
	buffer_load_dword v30, off, s[40:43], 0 ; 4-byte Folded Reload
	buffer_load_dword v31, off, s[40:43], 0 offset:4 ; 4-byte Folded Reload
	buffer_load_dword v32, off, s[40:43], 0 offset:8 ; 4-byte Folded Reload
	;; [unrolled: 1-line block ×31, first 2 shown]
	s_waitcnt vmcnt(8)
	v_pk_mov_b32 v[22:23], v[52:53], v[52:53] op_sel:[0,1]
	v_and_b32_e32 v5, 0x7fffffff, v22
	v_and_b32_e32 v6, 0x7fffffff, v23
	;;#ASMSTART
	v_max3_f32 v4, v4, v5, v6

	;;#ASMEND
	buffer_load_dword v30, off, s[40:43], 0 offset:384 ; 4-byte Folded Reload
	buffer_load_dword v31, off, s[40:43], 0 offset:388 ; 4-byte Folded Reload
	;; [unrolled: 1-line block ×32, first 2 shown]
	s_waitcnt vmcnt(6)
	v_pk_mov_b32 v[24:25], v[54:55], v[54:55] op_sel:[0,1]
	v_and_b32_e32 v5, 0x7fffffff, v24
	v_and_b32_e32 v6, 0x7fffffff, v25
	;;#ASMSTART
	v_max3_f32 v4, v4, v5, v6

	;;#ASMEND
	buffer_load_dword v30, off, s[40:43], 0 offset:256 ; 4-byte Folded Reload
	buffer_load_dword v31, off, s[40:43], 0 offset:260 ; 4-byte Folded Reload
	;; [unrolled: 1-line block ×32, first 2 shown]
	s_waitcnt vmcnt(4)
	v_pk_mov_b32 v[26:27], v[56:57], v[56:57] op_sel:[0,1]
	v_and_b32_e32 v5, 0x7fffffff, v26
	v_and_b32_e32 v6, 0x7fffffff, v27
	;;#ASMSTART
	v_max3_f32 v4, v4, v5, v6

	;;#ASMEND
	v_and_b32_e32 v5, 0x7fffffff, v28
	v_and_b32_e32 v6, 0x7fffffff, v29
	;;#ASMSTART
	v_max3_f32 v4, v4, v5, v6

	;;#ASMEND
	;; [unrolled: 6-line block ×3, first 2 shown]
.LBB87_24:
	s_or_b64 exec, exec, s[8:9]
	s_nop 0
	v_mov_b32_dpp v5, v4 quad_perm:[1,0,3,2] row_mask:0xf bank_mask:0xf
	v_cmp_gt_f32_e32 vcc, v4, v5
	v_cndmask_b32_e32 v4, v5, v4, vcc
	s_nop 1
	v_mov_b32_dpp v5, v4 quad_perm:[2,3,0,1] row_mask:0xf bank_mask:0xf
	v_cmp_gt_f32_e32 vcc, v4, v5
	v_cndmask_b32_e32 v4, v5, v4, vcc
	s_nop 1
	v_mov_b32_dpp v5, v4 row_half_mirror row_mask:0xf bank_mask:0xf
	v_cmp_gt_f32_e32 vcc, v4, v5
	v_cndmask_b32_e32 v4, v5, v4, vcc
	s_nop 1
	v_mov_b32_dpp v5, v4 row_mirror row_mask:0xf bank_mask:0xf
	v_cmp_gt_f32_e32 vcc, v4, v5
	v_cndmask_b32_e32 v4, v5, v4, vcc
	s_nop 1
	v_mov_b32_dpp v5, v4 row_bcast:15 row_mask:0xf bank_mask:0xf
	v_cmp_gt_f32_e32 vcc, v4, v5
	v_cndmask_b32_e32 v4, v5, v4, vcc
	s_nop 1
	v_mov_b32_dpp v5, v4 row_bcast:31 row_mask:0xf bank_mask:0xf
	s_and_saveexec_b64 s[8:9], s[2:3]
	s_cbranch_execz .LBB87_26
; %bb.25:
	v_cmp_gt_f32_e32 vcc, v4, v5
	v_cndmask_b32_e32 v4, v5, v4, vcc
	v_lshrrev_b32_e32 v5, 4, v0
	v_and_b32_e32 v5, 60, v5
	ds_write_b32 v5, v4
.LBB87_26:
	s_or_b64 exec, exec, s[8:9]
	s_waitcnt lgkmcnt(0)
	s_barrier
	ds_read_b32 v4, v70
	s_waitcnt lgkmcnt(0)
	s_nop 0
	v_mov_b32_dpp v5, v4 quad_perm:[1,0,3,2] row_mask:0xf bank_mask:0xf
	v_cmp_gt_f32_e32 vcc, v4, v5
	v_cndmask_b32_e32 v4, v5, v4, vcc
	s_nop 1
	v_mov_b32_dpp v5, v4 quad_perm:[2,3,0,1] row_mask:0xf bank_mask:0xf
	v_cmp_gt_f32_e32 vcc, v4, v5
	v_cndmask_b32_e32 v4, v5, v4, vcc
	v_mul_f32_e32 v4, 0x3b124925, v4
	v_cmp_eq_u32_e32 vcc, 0, v0
	s_and_saveexec_b64 s[8:9], vcc
	s_cbranch_execz .LBB87_28
; %bb.27:
	s_load_dwordx2 s[22:23], s[4:5], 0x8
	s_mul_hi_i32 s25, s11, s6
	s_mul_i32 s24, s11, s6
	s_lshl_b64 s[24:25], s[24:25], 2
	v_mov_b32_e32 v5, 0
	s_waitcnt lgkmcnt(0)
	s_add_u32 s22, s22, s24
	s_addc_u32 s23, s23, s25
	global_store_dword v5, v4, s[22:23]
.LBB87_28:
	s_or_b64 exec, exec, s[8:9]
	;;#ASMSTART
	v_rcp_f32 v4, v4
	;;#ASMEND
	s_and_saveexec_b64 s[22:23], s[0:1]
	s_cbranch_execz .LBB87_30
; %bb.29:
	v_mov_b32_e32 v5, v4
	;;#ASMSTART
	v_pk_mul_f32 v[2:3], v[2:3], v[4:5]
	;;#ASMEND
	v_mov_b32_e32 v8, 0xc3e00000
	v_mov_b32_e32 v9, 0x43e00000
	;;#ASMSTART
	v_med3_f32 v2, v2, v8, v9
v_med3_f32 v3, v3, v8, v9
v_cvt_pk_fp8_f32 v6, v2, v3
	;;#ASMEND
	;;#ASMSTART
	v_pk_mul_f32 v[2:3], v[74:75], v[4:5]
	;;#ASMEND
	;;#ASMSTART
	v_med3_f32 v2, v2, v8, v9
v_med3_f32 v3, v3, v8, v9
v_cvt_pk_fp8_f32 v7, v2, v3
	;;#ASMEND
	buffer_load_dword v30, off, s[40:43], 0 offset:1280 ; 4-byte Folded Reload
	buffer_load_dword v31, off, s[40:43], 0 offset:1284 ; 4-byte Folded Reload
	;; [unrolled: 1-line block ×32, first 2 shown]
	s_load_dwordx2 s[0:1], s[4:5], 0x0
	s_mul_i32 s8, s10, s6
	s_mov_b32 s7, 0x5040100
	s_mul_hi_i32 s9, s10, s6
	s_movk_i32 s12, 0xff
	s_waitcnt lgkmcnt(0)
	s_add_u32 s8, s0, s8
	s_addc_u32 s0, s1, s9
	s_add_i32 s1, s15, 3
	s_ashr_i32 s9, s1, 31
	s_mov_b32 s14, 0xffff
	s_lshr_b32 s9, s9, 30
	s_add_i32 s1, s1, s9
	s_and_b32 s10, s1, -4
	s_and_b32 s9, s0, 0xffff
	s_mov_b32 s11, 0x20000
	s_movk_i32 s0, 0x200
	s_waitcnt vmcnt(26)
	;;#ASMSTART
	v_pk_mul_f32 v[2:3], v[34:35], v[4:5]
	;;#ASMEND
	;;#ASMSTART
	v_med3_f32 v2, v2, v8, v9
v_med3_f32 v3, v3, v8, v9
v_cvt_pk_fp8_f32 v10, v2, v3
	;;#ASMEND
	buffer_load_dword v30, off, s[40:43], 0 offset:1152 ; 4-byte Folded Reload
	buffer_load_dword v31, off, s[40:43], 0 offset:1156 ; 4-byte Folded Reload
	;; [unrolled: 1-line block ×32, first 2 shown]
	s_waitcnt vmcnt(24)
	;;#ASMSTART
	v_pk_mul_f32 v[2:3], v[36:37], v[4:5]
	;;#ASMEND
	;;#ASMSTART
	v_med3_f32 v2, v2, v8, v9
v_med3_f32 v3, v3, v8, v9
v_cvt_pk_fp8_f32 v11, v2, v3
	;;#ASMEND
	buffer_load_dword v12, off, s[40:43], 0 offset:1536 ; 4-byte Folded Reload
	v_perm_b32 v2, v7, v6, s7
	v_and_b32_e32 v3, 0xffffff00, v7
	v_and_b32_sdwa v6, v2, s12 dst_sel:DWORD dst_unused:UNUSED_PAD src0_sel:WORD_1 src1_sel:DWORD
	v_or_b32_sdwa v3, v6, v3 dst_sel:WORD_1 dst_unused:UNUSED_PAD src0_sel:DWORD src1_sel:DWORD
	v_and_or_b32 v2, v2, s14, v3
	v_lshlrev_b32_e32 v3, 16, v11
	v_and_or_b32 v3, v10, s14, v3
	s_waitcnt vmcnt(0)
	buffer_store_dwordx2 v[2:3], v12, s[8:11], 0 offen
	;;#ASMSTART
	s_nop 0
	;;#ASMEND
	buffer_load_dword v30, off, s[40:43], 0 offset:1408 ; 4-byte Folded Reload
	buffer_load_dword v31, off, s[40:43], 0 offset:1412 ; 4-byte Folded Reload
	buffer_load_dword v32, off, s[40:43], 0 offset:1416 ; 4-byte Folded Reload
	buffer_load_dword v33, off, s[40:43], 0 offset:1420 ; 4-byte Folded Reload
	buffer_load_dword v34, off, s[40:43], 0 offset:1424 ; 4-byte Folded Reload
	buffer_load_dword v35, off, s[40:43], 0 offset:1428 ; 4-byte Folded Reload
	buffer_load_dword v36, off, s[40:43], 0 offset:1432 ; 4-byte Folded Reload
	buffer_load_dword v37, off, s[40:43], 0 offset:1436 ; 4-byte Folded Reload
	buffer_load_dword v38, off, s[40:43], 0 offset:1440 ; 4-byte Folded Reload
	buffer_load_dword v39, off, s[40:43], 0 offset:1444 ; 4-byte Folded Reload
	buffer_load_dword v40, off, s[40:43], 0 offset:1448 ; 4-byte Folded Reload
	buffer_load_dword v41, off, s[40:43], 0 offset:1452 ; 4-byte Folded Reload
	buffer_load_dword v42, off, s[40:43], 0 offset:1456 ; 4-byte Folded Reload
	buffer_load_dword v43, off, s[40:43], 0 offset:1460 ; 4-byte Folded Reload
	buffer_load_dword v44, off, s[40:43], 0 offset:1464 ; 4-byte Folded Reload
	buffer_load_dword v45, off, s[40:43], 0 offset:1468 ; 4-byte Folded Reload
	buffer_load_dword v46, off, s[40:43], 0 offset:1472 ; 4-byte Folded Reload
	buffer_load_dword v47, off, s[40:43], 0 offset:1476 ; 4-byte Folded Reload
	buffer_load_dword v48, off, s[40:43], 0 offset:1480 ; 4-byte Folded Reload
	buffer_load_dword v49, off, s[40:43], 0 offset:1484 ; 4-byte Folded Reload
	buffer_load_dword v50, off, s[40:43], 0 offset:1488 ; 4-byte Folded Reload
	buffer_load_dword v51, off, s[40:43], 0 offset:1492 ; 4-byte Folded Reload
	buffer_load_dword v52, off, s[40:43], 0 offset:1496 ; 4-byte Folded Reload
	buffer_load_dword v53, off, s[40:43], 0 offset:1500 ; 4-byte Folded Reload
	buffer_load_dword v54, off, s[40:43], 0 offset:1504 ; 4-byte Folded Reload
	buffer_load_dword v55, off, s[40:43], 0 offset:1508 ; 4-byte Folded Reload
	buffer_load_dword v56, off, s[40:43], 0 offset:1512 ; 4-byte Folded Reload
	buffer_load_dword v57, off, s[40:43], 0 offset:1516 ; 4-byte Folded Reload
	buffer_load_dword v58, off, s[40:43], 0 offset:1520 ; 4-byte Folded Reload
	buffer_load_dword v59, off, s[40:43], 0 offset:1524 ; 4-byte Folded Reload
	buffer_load_dword v60, off, s[40:43], 0 offset:1528 ; 4-byte Folded Reload
	buffer_load_dword v61, off, s[40:43], 0 offset:1532 ; 4-byte Folded Reload
	s_waitcnt vmcnt(22)
	;;#ASMSTART
	v_pk_mul_f32 v[2:3], v[38:39], v[4:5]
	;;#ASMEND
	;;#ASMSTART
	v_med3_f32 v2, v2, v8, v9
v_med3_f32 v3, v3, v8, v9
v_cvt_pk_fp8_f32 v6, v2, v3
	;;#ASMEND
	buffer_load_dword v30, off, s[40:43], 0 offset:1024 ; 4-byte Folded Reload
	buffer_load_dword v31, off, s[40:43], 0 offset:1028 ; 4-byte Folded Reload
	buffer_load_dword v32, off, s[40:43], 0 offset:1032 ; 4-byte Folded Reload
	buffer_load_dword v33, off, s[40:43], 0 offset:1036 ; 4-byte Folded Reload
	buffer_load_dword v34, off, s[40:43], 0 offset:1040 ; 4-byte Folded Reload
	buffer_load_dword v35, off, s[40:43], 0 offset:1044 ; 4-byte Folded Reload
	buffer_load_dword v36, off, s[40:43], 0 offset:1048 ; 4-byte Folded Reload
	buffer_load_dword v37, off, s[40:43], 0 offset:1052 ; 4-byte Folded Reload
	buffer_load_dword v38, off, s[40:43], 0 offset:1056 ; 4-byte Folded Reload
	buffer_load_dword v39, off, s[40:43], 0 offset:1060 ; 4-byte Folded Reload
	buffer_load_dword v40, off, s[40:43], 0 offset:1064 ; 4-byte Folded Reload
	buffer_load_dword v41, off, s[40:43], 0 offset:1068 ; 4-byte Folded Reload
	buffer_load_dword v42, off, s[40:43], 0 offset:1072 ; 4-byte Folded Reload
	buffer_load_dword v43, off, s[40:43], 0 offset:1076 ; 4-byte Folded Reload
	buffer_load_dword v44, off, s[40:43], 0 offset:1080 ; 4-byte Folded Reload
	buffer_load_dword v45, off, s[40:43], 0 offset:1084 ; 4-byte Folded Reload
	buffer_load_dword v46, off, s[40:43], 0 offset:1088 ; 4-byte Folded Reload
	buffer_load_dword v47, off, s[40:43], 0 offset:1092 ; 4-byte Folded Reload
	buffer_load_dword v48, off, s[40:43], 0 offset:1096 ; 4-byte Folded Reload
	buffer_load_dword v49, off, s[40:43], 0 offset:1100 ; 4-byte Folded Reload
	buffer_load_dword v50, off, s[40:43], 0 offset:1104 ; 4-byte Folded Reload
	buffer_load_dword v51, off, s[40:43], 0 offset:1108 ; 4-byte Folded Reload
	buffer_load_dword v52, off, s[40:43], 0 offset:1112 ; 4-byte Folded Reload
	buffer_load_dword v53, off, s[40:43], 0 offset:1116 ; 4-byte Folded Reload
	buffer_load_dword v54, off, s[40:43], 0 offset:1120 ; 4-byte Folded Reload
	buffer_load_dword v55, off, s[40:43], 0 offset:1124 ; 4-byte Folded Reload
	buffer_load_dword v56, off, s[40:43], 0 offset:1128 ; 4-byte Folded Reload
	buffer_load_dword v57, off, s[40:43], 0 offset:1132 ; 4-byte Folded Reload
	buffer_load_dword v58, off, s[40:43], 0 offset:1136 ; 4-byte Folded Reload
	buffer_load_dword v59, off, s[40:43], 0 offset:1140 ; 4-byte Folded Reload
	buffer_load_dword v60, off, s[40:43], 0 offset:1144 ; 4-byte Folded Reload
	buffer_load_dword v61, off, s[40:43], 0 offset:1148 ; 4-byte Folded Reload
	s_waitcnt vmcnt(20)
	;;#ASMSTART
	v_pk_mul_f32 v[2:3], v[40:41], v[4:5]
	;;#ASMEND
	;;#ASMSTART
	v_med3_f32 v2, v2, v8, v9
v_med3_f32 v3, v3, v8, v9
v_cvt_pk_fp8_f32 v7, v2, v3
	;; [unrolled: 41-line block ×4, first 2 shown]
	;;#ASMEND
	v_perm_b32 v2, v7, v6, s7
	v_and_b32_e32 v3, 0xffffff00, v7
	v_and_b32_sdwa v6, v2, s12 dst_sel:DWORD dst_unused:UNUSED_PAD src0_sel:WORD_1 src1_sel:DWORD
	v_or_b32_sdwa v3, v6, v3 dst_sel:WORD_1 dst_unused:UNUSED_PAD src0_sel:DWORD src1_sel:DWORD
	v_and_or_b32 v2, v2, s14, v3
	v_lshlrev_b32_e32 v3, 16, v11
	v_and_or_b32 v3, v10, s14, v3
	buffer_store_dwordx2 v[2:3], v12, s[8:11], s0 offen
	;;#ASMSTART
	s_nop 0
	;;#ASMEND
	buffer_load_dword v30, off, s[40:43], 0 offset:896 ; 4-byte Folded Reload
	buffer_load_dword v31, off, s[40:43], 0 offset:900 ; 4-byte Folded Reload
	;; [unrolled: 1-line block ×32, first 2 shown]
	s_movk_i32 s0, 0x400
	s_waitcnt vmcnt(14)
	;;#ASMSTART
	v_pk_mul_f32 v[2:3], v[46:47], v[4:5]
	;;#ASMEND
	;;#ASMSTART
	v_med3_f32 v2, v2, v8, v9
v_med3_f32 v3, v3, v8, v9
v_cvt_pk_fp8_f32 v6, v2, v3
	;;#ASMEND
	buffer_load_dword v30, off, s[40:43], 0 offset:768 ; 4-byte Folded Reload
	buffer_load_dword v31, off, s[40:43], 0 offset:772 ; 4-byte Folded Reload
	;; [unrolled: 1-line block ×32, first 2 shown]
	s_waitcnt vmcnt(12)
	;;#ASMSTART
	v_pk_mul_f32 v[2:3], v[48:49], v[4:5]
	;;#ASMEND
	;;#ASMSTART
	v_med3_f32 v2, v2, v8, v9
v_med3_f32 v3, v3, v8, v9
v_cvt_pk_fp8_f32 v7, v2, v3
	;;#ASMEND
	buffer_load_dword v30, off, s[40:43], 0 offset:128 ; 4-byte Folded Reload
	buffer_load_dword v31, off, s[40:43], 0 offset:132 ; 4-byte Folded Reload
	;; [unrolled: 1-line block ×32, first 2 shown]
	s_waitcnt vmcnt(10)
	;;#ASMSTART
	v_pk_mul_f32 v[2:3], v[50:51], v[4:5]
	;;#ASMEND
	;;#ASMSTART
	v_med3_f32 v2, v2, v8, v9
v_med3_f32 v3, v3, v8, v9
v_cvt_pk_fp8_f32 v10, v2, v3
	;;#ASMEND
	buffer_load_dword v30, off, s[40:43], 0 ; 4-byte Folded Reload
	buffer_load_dword v31, off, s[40:43], 0 offset:4 ; 4-byte Folded Reload
	buffer_load_dword v32, off, s[40:43], 0 offset:8 ; 4-byte Folded Reload
	;; [unrolled: 1-line block ×31, first 2 shown]
	s_waitcnt vmcnt(8)
	;;#ASMSTART
	v_pk_mul_f32 v[2:3], v[52:53], v[4:5]
	;;#ASMEND
	;;#ASMSTART
	v_med3_f32 v2, v2, v8, v9
v_med3_f32 v3, v3, v8, v9
v_cvt_pk_fp8_f32 v11, v2, v3
	;;#ASMEND
	v_perm_b32 v2, v7, v6, s7
	v_and_b32_e32 v3, 0xffffff00, v7
	v_and_b32_sdwa v6, v2, s12 dst_sel:DWORD dst_unused:UNUSED_PAD src0_sel:WORD_1 src1_sel:DWORD
	v_or_b32_sdwa v3, v6, v3 dst_sel:WORD_1 dst_unused:UNUSED_PAD src0_sel:DWORD src1_sel:DWORD
	v_and_or_b32 v2, v2, s14, v3
	v_lshlrev_b32_e32 v3, 16, v11
	v_and_or_b32 v3, v10, s14, v3
	buffer_store_dwordx2 v[2:3], v12, s[8:11], s0 offen
	;;#ASMSTART
	s_nop 0
	;;#ASMEND
	buffer_load_dword v30, off, s[40:43], 0 offset:384 ; 4-byte Folded Reload
	buffer_load_dword v31, off, s[40:43], 0 offset:388 ; 4-byte Folded Reload
	;; [unrolled: 1-line block ×32, first 2 shown]
	s_movk_i32 s0, 0x600
	s_waitcnt vmcnt(6)
	;;#ASMSTART
	v_pk_mul_f32 v[2:3], v[54:55], v[4:5]
	;;#ASMEND
	;;#ASMSTART
	v_med3_f32 v2, v2, v8, v9
v_med3_f32 v3, v3, v8, v9
v_cvt_pk_fp8_f32 v6, v2, v3
	;;#ASMEND
	buffer_load_dword v30, off, s[40:43], 0 offset:256 ; 4-byte Folded Reload
	buffer_load_dword v31, off, s[40:43], 0 offset:260 ; 4-byte Folded Reload
	buffer_load_dword v32, off, s[40:43], 0 offset:264 ; 4-byte Folded Reload
	buffer_load_dword v33, off, s[40:43], 0 offset:268 ; 4-byte Folded Reload
	buffer_load_dword v34, off, s[40:43], 0 offset:272 ; 4-byte Folded Reload
	buffer_load_dword v35, off, s[40:43], 0 offset:276 ; 4-byte Folded Reload
	buffer_load_dword v36, off, s[40:43], 0 offset:280 ; 4-byte Folded Reload
	buffer_load_dword v37, off, s[40:43], 0 offset:284 ; 4-byte Folded Reload
	buffer_load_dword v38, off, s[40:43], 0 offset:288 ; 4-byte Folded Reload
	buffer_load_dword v39, off, s[40:43], 0 offset:292 ; 4-byte Folded Reload
	buffer_load_dword v40, off, s[40:43], 0 offset:296 ; 4-byte Folded Reload
	buffer_load_dword v41, off, s[40:43], 0 offset:300 ; 4-byte Folded Reload
	buffer_load_dword v42, off, s[40:43], 0 offset:304 ; 4-byte Folded Reload
	buffer_load_dword v43, off, s[40:43], 0 offset:308 ; 4-byte Folded Reload
	buffer_load_dword v44, off, s[40:43], 0 offset:312 ; 4-byte Folded Reload
	buffer_load_dword v45, off, s[40:43], 0 offset:316 ; 4-byte Folded Reload
	buffer_load_dword v46, off, s[40:43], 0 offset:320 ; 4-byte Folded Reload
	buffer_load_dword v47, off, s[40:43], 0 offset:324 ; 4-byte Folded Reload
	buffer_load_dword v48, off, s[40:43], 0 offset:328 ; 4-byte Folded Reload
	buffer_load_dword v49, off, s[40:43], 0 offset:332 ; 4-byte Folded Reload
	buffer_load_dword v50, off, s[40:43], 0 offset:336 ; 4-byte Folded Reload
	buffer_load_dword v51, off, s[40:43], 0 offset:340 ; 4-byte Folded Reload
	buffer_load_dword v52, off, s[40:43], 0 offset:344 ; 4-byte Folded Reload
	buffer_load_dword v53, off, s[40:43], 0 offset:348 ; 4-byte Folded Reload
	buffer_load_dword v54, off, s[40:43], 0 offset:352 ; 4-byte Folded Reload
	buffer_load_dword v55, off, s[40:43], 0 offset:356 ; 4-byte Folded Reload
	buffer_load_dword v56, off, s[40:43], 0 offset:360 ; 4-byte Folded Reload
	buffer_load_dword v57, off, s[40:43], 0 offset:364 ; 4-byte Folded Reload
	buffer_load_dword v58, off, s[40:43], 0 offset:368 ; 4-byte Folded Reload
	buffer_load_dword v59, off, s[40:43], 0 offset:372 ; 4-byte Folded Reload
	buffer_load_dword v60, off, s[40:43], 0 offset:376 ; 4-byte Folded Reload
	buffer_load_dword v61, off, s[40:43], 0 offset:380 ; 4-byte Folded Reload
	s_waitcnt vmcnt(4)
	;;#ASMSTART
	v_pk_mul_f32 v[2:3], v[56:57], v[4:5]
	;;#ASMEND
	;;#ASMSTART
	v_med3_f32 v2, v2, v8, v9
v_med3_f32 v3, v3, v8, v9
v_cvt_pk_fp8_f32 v7, v2, v3
	;;#ASMEND
	v_perm_b32 v3, v7, v6, s7
	v_and_b32_e32 v2, 0xffffff00, v7
	v_and_b32_sdwa v6, v3, s12 dst_sel:DWORD dst_unused:UNUSED_PAD src0_sel:WORD_1 src1_sel:DWORD
	v_or_b32_sdwa v2, v6, v2 dst_sel:WORD_1 dst_unused:UNUSED_PAD src0_sel:DWORD src1_sel:DWORD
	v_and_or_b32 v2, v3, s14, v2
	;;#ASMSTART
	v_pk_mul_f32 v[6:7], v[28:29], v[4:5]
	;;#ASMEND
	v_mov_b32_e32 v3, v7
	;;#ASMSTART
	v_med3_f32 v6, v6, v8, v9
v_med3_f32 v3, v3, v8, v9
v_cvt_pk_fp8_f32 v7, v6, v3
	;;#ASMEND
	;;#ASMSTART
	v_pk_mul_f32 v[4:5], v[76:77], v[4:5]
	;;#ASMEND
	v_mov_b32_e32 v1, v5
	;;#ASMSTART
	v_med3_f32 v4, v4, v8, v9
v_med3_f32 v1, v1, v8, v9
v_cvt_pk_fp8_f32 v3, v4, v1
	;;#ASMEND
	v_lshlrev_b32_e32 v1, 16, v3
	v_and_or_b32 v3, v7, s14, v1
	buffer_store_dwordx2 v[2:3], v12, s[8:11], s0 offen
	;;#ASMSTART
	s_nop 0
	;;#ASMEND
.LBB87_30:
	s_or_b64 exec, exec, s[22:23]
	s_cmp_lt_i32 s16, 1
	s_cbranch_scc1 .LBB87_17
.LBB87_31:
	s_load_dword s0, s[4:5], 0x94
	s_waitcnt lgkmcnt(0)
	s_cmp_lg_u32 s0, 1
	s_cbranch_scc1 .LBB87_17
; %bb.32:
	s_waitcnt vmcnt(63) expcnt(7) lgkmcnt(15)
	s_barrier
	buffer_load_dword v1, off, s[40:43], 0 offset:1536 ; 4-byte Folded Reload
	s_lshl_b32 s0, s16, 1
	s_add_i32 s0, s0, 2
	s_and_b32 s22, s0, -4
	v_mov_b32_e32 v66, 0
	v_mov_b32_e32 v30, 0
	;; [unrolled: 1-line block ×33, first 2 shown]
	s_waitcnt vmcnt(0)
	v_cmp_gt_u32_e32 vcc, s16, v1
	v_lshlrev_b32_e32 v65, 1, v1
	s_and_saveexec_b64 s[0:1], vcc
	s_cbranch_execz .LBB87_34
; %bb.33:
	s_mul_hi_i32 s5, s18, s6
	s_mul_i32 s4, s18, s6
	s_and_b32 s21, s21, 0xffff
	s_lshl_b64 s[4:5], s[4:5], 1
	s_add_u32 s8, s30, s4
	s_mov_b32 s23, 0x20000
	s_addc_u32 s4, s31, s5
	s_and_b32 s9, s4, 0xffff
	s_mov_b32 s10, s22
	s_mov_b32 s11, s23
	s_movk_i32 s5, 0x800
	s_movk_i32 s4, 0x400
	buffer_load_dwordx4 v[30:33], v65, s[8:11], 0 offen glc slc
	buffer_load_dwordx4 v[22:25], v65, s[8:11], s4 offen glc slc
	s_movk_i32 s7, 0xc00
	buffer_load_dwordx4 v[26:29], v65, s[8:11], s5 offen glc slc
	buffer_load_dwordx4 v[18:21], v65, s[8:11], s7 offen glc slc
	buffer_load_dwordx4 v[14:17], v65, s[20:23], 0 offen
	buffer_load_dwordx4 v[10:13], v65, s[20:23], s4 offen
	;; [unrolled: 1-line block ×4, first 2 shown]
.LBB87_34:
	s_or_b64 exec, exec, s[0:1]
	v_mov_b32_e32 v67, 0
	v_mov_b32_e32 v62, 0
	;; [unrolled: 1-line block ×31, first 2 shown]
	s_and_saveexec_b64 s[0:1], vcc
	s_cbranch_execz .LBB87_36
; %bb.35:
	s_waitcnt vmcnt(7)
	v_cvt_f32_f16_sdwa v67, v30 dst_sel:DWORD dst_unused:UNUSED_PAD src0_sel:WORD_1
	v_cvt_f32_f16_e32 v66, v30
	v_cvt_f32_f16_sdwa v63, v31 dst_sel:DWORD dst_unused:UNUSED_PAD src0_sel:WORD_1
	v_cvt_f32_f16_e32 v62, v31
	v_cvt_f32_f16_sdwa v61, v32 dst_sel:DWORD dst_unused:UNUSED_PAD src0_sel:WORD_1
	v_cvt_f32_f16_e32 v60, v32
	v_cvt_f32_f16_sdwa v59, v33 dst_sel:DWORD dst_unused:UNUSED_PAD src0_sel:WORD_1
	v_cvt_f32_f16_e32 v58, v33
	s_waitcnt vmcnt(6)
	v_cvt_f32_f16_sdwa v57, v22 dst_sel:DWORD dst_unused:UNUSED_PAD src0_sel:WORD_1
	v_cvt_f32_f16_e32 v56, v22
	v_cvt_f32_f16_sdwa v55, v23 dst_sel:DWORD dst_unused:UNUSED_PAD src0_sel:WORD_1
	v_cvt_f32_f16_e32 v54, v23
	v_cvt_f32_f16_sdwa v53, v24 dst_sel:DWORD dst_unused:UNUSED_PAD src0_sel:WORD_1
	v_cvt_f32_f16_e32 v52, v24
	v_cvt_f32_f16_sdwa v51, v25 dst_sel:DWORD dst_unused:UNUSED_PAD src0_sel:WORD_1
	v_cvt_f32_f16_e32 v50, v25
	;; [unrolled: 9-line block ×4, first 2 shown]
.LBB87_36:
	s_or_b64 exec, exec, s[0:1]
	s_waitcnt vmcnt(4)
	v_mul_f32_e32 v18, v67, v67
	v_fmac_f32_e32 v18, v66, v66
	v_fmac_f32_e32 v18, v62, v62
	;; [unrolled: 1-line block ×31, first 2 shown]
	s_nop 1
	v_mov_b32_dpp v19, v18 quad_perm:[1,0,3,2] row_mask:0xf bank_mask:0xf
	v_add_f32_e32 v18, v18, v19
	s_nop 1
	v_mov_b32_dpp v19, v18 quad_perm:[2,3,0,1] row_mask:0xf bank_mask:0xf
	v_add_f32_e32 v18, v18, v19
	s_nop 1
	v_mov_b32_dpp v19, v18 row_half_mirror row_mask:0xf bank_mask:0xf
	v_add_f32_e32 v18, v18, v19
	s_nop 1
	v_mov_b32_dpp v19, v18 row_mirror row_mask:0xf bank_mask:0xf
	v_add_f32_e32 v18, v18, v19
	s_nop 1
	v_mov_b32_dpp v19, v18 row_bcast:15 row_mask:0xf bank_mask:0xf
	v_add_f32_e32 v18, v18, v19
	s_nop 1
	v_mov_b32_dpp v19, v18 row_bcast:31 row_mask:0xf bank_mask:0xf
	s_and_saveexec_b64 s[0:1], s[2:3]
	s_cbranch_execz .LBB87_38
; %bb.37:
	v_add_f32_e32 v18, v18, v19
	v_lshrrev_b32_e32 v19, 4, v0
	v_and_b32_e32 v19, 60, v19
	ds_write_b32 v19, v18 offset:16
.LBB87_38:
	s_or_b64 exec, exec, s[0:1]
	s_waitcnt lgkmcnt(0)
	s_barrier
	ds_read_b32 v18, v70 offset:16
	s_waitcnt lgkmcnt(0)
	s_nop 0
	v_mov_b32_dpp v19, v18 quad_perm:[1,0,3,2] row_mask:0xf bank_mask:0xf
	v_add_f32_e32 v18, v18, v19
	s_nop 1
	v_mov_b32_dpp v19, v18 quad_perm:[2,3,0,1] row_mask:0xf bank_mask:0xf
	s_and_saveexec_b64 s[0:1], vcc
	s_cbranch_execz .LBB87_17
; %bb.39:
	v_cvt_f32_u32_e32 v20, s16
	v_add_f32_e32 v18, v18, v19
	s_mov_b32 s23, 0x20000
	v_div_scale_f32 v19, s[0:1], v20, v20, v18
	v_rcp_f32_e32 v21, v19
	v_div_scale_f32 v22, vcc, v18, v20, v18
	s_mov_b32 s0, 0x800000
	v_fma_f32 v23, -v19, v21, 1.0
	v_fmac_f32_e32 v21, v23, v21
	v_mul_f32_e32 v23, v22, v21
	v_fma_f32 v24, -v19, v23, v22
	v_fmac_f32_e32 v23, v24, v21
	v_fma_f32 v19, -v19, v23, v22
	v_div_fmas_f32 v19, v19, v21, v23
	v_div_fixup_f32 v18, v19, v20, v18
	v_add_f32_e32 v18, s13, v18
	v_mul_f32_e32 v19, 0x4b800000, v18
	v_cmp_gt_f32_e32 vcc, s0, v18
	v_cndmask_b32_e32 v18, v18, v19, vcc
	v_rsq_f32_e32 v18, v18
	s_mul_hi_i32 s1, s28, s6
	s_mul_i32 s0, s28, s6
	s_lshl_b64 s[0:1], s[0:1], 1
	v_mul_f32_e32 v19, 0x45800000, v18
	v_cndmask_b32_e32 v18, v18, v19, vcc
	v_mov_b32_e32 v19, v18
	;;#ASMSTART
	v_pk_mul_f32 v[20:21], v[66:67], v[18:19]
	;;#ASMEND
	;;#ASMSTART
	v_pk_mul_f32 v[22:23], v[62:63], v[18:19]
	;;#ASMEND
	;; [unrolled: 3-line block ×16, first 2 shown]
	s_waitcnt vmcnt(3)
	v_cvt_f32_f16_sdwa v35, v14 dst_sel:DWORD dst_unused:UNUSED_PAD src0_sel:WORD_1
	v_cvt_f32_f16_e32 v34, v14
	v_cvt_f32_f16_sdwa v41, v15 dst_sel:DWORD dst_unused:UNUSED_PAD src0_sel:WORD_1
	v_cvt_f32_f16_e32 v40, v15
	;; [unrolled: 2-line block ×4, first 2 shown]
	;;#ASMSTART
	v_pk_mul_f32 v[16:17], v[20:21], v[34:35]
	;;#ASMEND
	;;#ASMSTART
	v_pk_mul_f32 v[20:21], v[22:23], v[40:41]
	;;#ASMEND
	;; [unrolled: 3-line block ×4, first 2 shown]
	s_waitcnt vmcnt(2)
	v_cvt_f32_f16_sdwa v25, v10 dst_sel:DWORD dst_unused:UNUSED_PAD src0_sel:WORD_1
	v_cvt_f32_f16_e32 v24, v10
	v_cvt_f32_f16_sdwa v27, v11 dst_sel:DWORD dst_unused:UNUSED_PAD src0_sel:WORD_1
	v_cvt_f32_f16_e32 v26, v11
	;; [unrolled: 2-line block ×4, first 2 shown]
	;;#ASMSTART
	v_pk_mul_f32 v[12:13], v[28:29], v[24:25]
	;;#ASMEND
	;;#ASMSTART
	v_pk_mul_f32 v[24:25], v[30:31], v[26:27]
	;;#ASMEND
	;; [unrolled: 3-line block ×3, first 2 shown]
	s_waitcnt vmcnt(1)
	v_cvt_f32_f16_sdwa v29, v6 dst_sel:DWORD dst_unused:UNUSED_PAD src0_sel:WORD_1
	v_cvt_f32_f16_e32 v28, v6
	v_cvt_f32_f16_sdwa v31, v7 dst_sel:DWORD dst_unused:UNUSED_PAD src0_sel:WORD_1
	v_cvt_f32_f16_e32 v30, v7
	;; [unrolled: 2-line block ×4, first 2 shown]
	;;#ASMSTART
	v_pk_mul_f32 v[26:27], v[50:51], v[34:35]
	;;#ASMEND
	;;#ASMSTART
	v_pk_mul_f32 v[8:9], v[48:49], v[28:29]
	;;#ASMEND
	;; [unrolled: 3-line block ×5, first 2 shown]
	s_waitcnt vmcnt(0)
	v_cvt_f32_f16_sdwa v33, v2 dst_sel:DWORD dst_unused:UNUSED_PAD src0_sel:WORD_1
	v_cvt_f32_f16_e32 v32, v2
	v_cvt_f32_f16_sdwa v35, v3 dst_sel:DWORD dst_unused:UNUSED_PAD src0_sel:WORD_1
	v_cvt_f32_f16_e32 v34, v3
	;; [unrolled: 2-line block ×4, first 2 shown]
	;;#ASMSTART
	v_pk_mul_f32 v[4:5], v[0:1], v[32:33]
	;;#ASMEND
	;;#ASMSTART
	v_pk_mul_f32 v[32:33], v[38:39], v[34:35]
	;;#ASMEND
	;; [unrolled: 3-line block ×3, first 2 shown]
	v_cvt_f16_f32_e32 v0, v16
	v_cvt_f16_f32_e32 v1, v17
	;; [unrolled: 1-line block ×8, first 2 shown]
	s_add_u32 s20, s34, s0
	s_addc_u32 s0, s35, s1
	s_and_b32 s21, s0, 0xffff
	v_pack_b32_f16 v0, v0, v1
	v_pack_b32_f16 v1, v2, v3
	v_pack_b32_f16 v2, v14, v15
	v_pack_b32_f16 v3, v16, v17
	;;#ASMSTART
	v_pk_mul_f32 v[18:19], v[18:19], v[40:41]
	;;#ASMEND
	buffer_store_dwordx4 v[0:3], v65, s[20:23], 0 offen
	v_cvt_f16_f32_e32 v10, v10
	v_cvt_f16_f32_e32 v0, v12
	v_cvt_f16_f32_e32 v1, v13
	v_cvt_f16_f32_e32 v2, v24
	v_cvt_f16_f32_e32 v3, v25
	v_cvt_f16_f32_e32 v11, v11
	v_cvt_f16_f32_e32 v12, v26
	v_cvt_f16_f32_e32 v13, v27
	v_pack_b32_f16 v0, v0, v1
	v_pack_b32_f16 v1, v2, v3
	v_pack_b32_f16 v2, v10, v11
	v_pack_b32_f16 v3, v12, v13
	s_movk_i32 s0, 0x400
	;;#ASMSTART
	s_nop 0
	;;#ASMEND
	buffer_store_dwordx4 v[0:3], v65, s[20:23], s0 offen
	v_cvt_f16_f32_e32 v0, v8
	v_cvt_f16_f32_e32 v1, v9
	v_cvt_f16_f32_e32 v2, v28
	v_cvt_f16_f32_e32 v3, v29
	v_cvt_f16_f32_e32 v6, v6
	v_cvt_f16_f32_e32 v7, v7
	v_cvt_f16_f32_e32 v8, v30
	v_cvt_f16_f32_e32 v9, v31
	v_pack_b32_f16 v0, v0, v1
	v_pack_b32_f16 v1, v2, v3
	v_pack_b32_f16 v2, v6, v7
	v_pack_b32_f16 v3, v8, v9
	s_movk_i32 s0, 0x800
	;;#ASMSTART
	s_nop 0
	;; [unrolled: 17-line block ×3, first 2 shown]
	;;#ASMEND
	buffer_store_dwordx4 v[0:3], v65, s[20:23], s0 offen
	;;#ASMSTART
	s_nop 0
	;;#ASMEND
	s_endpgm
	.section	.rodata,"a",@progbits
	.p2align	6, 0x0
	.amdhsa_kernel _ZN5aiter35fused_qk_rmsnorm_group_quant_kernelIDF16_DB8_Li256ELi32ELi1ELb1ELb0ELb0ELb0ELb1ELb1EEEvPT0_PvPT_S6_S6_PKS5_S8_S8_S8_S8_ffiiiiiiiiiiiii
		.amdhsa_group_segment_fixed_size 48
		.amdhsa_private_segment_fixed_size 1672
		.amdhsa_kernarg_size 400
		.amdhsa_user_sgpr_count 6
		.amdhsa_user_sgpr_private_segment_buffer 1
		.amdhsa_user_sgpr_dispatch_ptr 0
		.amdhsa_user_sgpr_queue_ptr 0
		.amdhsa_user_sgpr_kernarg_segment_ptr 1
		.amdhsa_user_sgpr_dispatch_id 0
		.amdhsa_user_sgpr_flat_scratch_init 0
		.amdhsa_user_sgpr_kernarg_preload_length 0
		.amdhsa_user_sgpr_kernarg_preload_offset 0
		.amdhsa_user_sgpr_private_segment_size 0
		.amdhsa_uses_dynamic_stack 0
		.amdhsa_system_sgpr_private_segment_wavefront_offset 1
		.amdhsa_system_sgpr_workgroup_id_x 1
		.amdhsa_system_sgpr_workgroup_id_y 1
		.amdhsa_system_sgpr_workgroup_id_z 0
		.amdhsa_system_sgpr_workgroup_info 0
		.amdhsa_system_vgpr_workitem_id 0
		.amdhsa_next_free_vgpr 128
		.amdhsa_next_free_sgpr 44
		.amdhsa_accum_offset 128
		.amdhsa_reserve_vcc 1
		.amdhsa_reserve_flat_scratch 0
		.amdhsa_float_round_mode_32 0
		.amdhsa_float_round_mode_16_64 0
		.amdhsa_float_denorm_mode_32 3
		.amdhsa_float_denorm_mode_16_64 3
		.amdhsa_dx10_clamp 1
		.amdhsa_ieee_mode 1
		.amdhsa_fp16_overflow 0
		.amdhsa_tg_split 0
		.amdhsa_exception_fp_ieee_invalid_op 0
		.amdhsa_exception_fp_denorm_src 0
		.amdhsa_exception_fp_ieee_div_zero 0
		.amdhsa_exception_fp_ieee_overflow 0
		.amdhsa_exception_fp_ieee_underflow 0
		.amdhsa_exception_fp_ieee_inexact 0
		.amdhsa_exception_int_div_zero 0
	.end_amdhsa_kernel
	.section	.text._ZN5aiter35fused_qk_rmsnorm_group_quant_kernelIDF16_DB8_Li256ELi32ELi1ELb1ELb0ELb0ELb0ELb1ELb1EEEvPT0_PvPT_S6_S6_PKS5_S8_S8_S8_S8_ffiiiiiiiiiiiii,"axG",@progbits,_ZN5aiter35fused_qk_rmsnorm_group_quant_kernelIDF16_DB8_Li256ELi32ELi1ELb1ELb0ELb0ELb0ELb1ELb1EEEvPT0_PvPT_S6_S6_PKS5_S8_S8_S8_S8_ffiiiiiiiiiiiii,comdat
.Lfunc_end87:
	.size	_ZN5aiter35fused_qk_rmsnorm_group_quant_kernelIDF16_DB8_Li256ELi32ELi1ELb1ELb0ELb0ELb0ELb1ELb1EEEvPT0_PvPT_S6_S6_PKS5_S8_S8_S8_S8_ffiiiiiiiiiiiii, .Lfunc_end87-_ZN5aiter35fused_qk_rmsnorm_group_quant_kernelIDF16_DB8_Li256ELi32ELi1ELb1ELb0ELb0ELb0ELb1ELb1EEEvPT0_PvPT_S6_S6_PKS5_S8_S8_S8_S8_ffiiiiiiiiiiiii
                                        ; -- End function
	.section	.AMDGPU.csdata,"",@progbits
; Kernel info:
; codeLenInByte = 39892
; NumSgprs: 48
; NumVgprs: 128
; NumAgprs: 0
; TotalNumVgprs: 128
; ScratchSize: 1672
; MemoryBound: 0
; FloatMode: 240
; IeeeMode: 1
; LDSByteSize: 48 bytes/workgroup (compile time only)
; SGPRBlocks: 5
; VGPRBlocks: 15
; NumSGPRsForWavesPerEU: 48
; NumVGPRsForWavesPerEU: 128
; AccumOffset: 128
; Occupancy: 4
; WaveLimiterHint : 0
; COMPUTE_PGM_RSRC2:SCRATCH_EN: 1
; COMPUTE_PGM_RSRC2:USER_SGPR: 6
; COMPUTE_PGM_RSRC2:TRAP_HANDLER: 0
; COMPUTE_PGM_RSRC2:TGID_X_EN: 1
; COMPUTE_PGM_RSRC2:TGID_Y_EN: 1
; COMPUTE_PGM_RSRC2:TGID_Z_EN: 0
; COMPUTE_PGM_RSRC2:TIDIG_COMP_CNT: 0
; COMPUTE_PGM_RSRC3_GFX90A:ACCUM_OFFSET: 31
; COMPUTE_PGM_RSRC3_GFX90A:TG_SPLIT: 0
	.section	.text._ZN5aiter35fused_qk_rmsnorm_group_quant_kernelItDB8_Li256ELi32ELi1ELb1ELb0ELb0ELb0ELb1ELb1EEEvPT0_PvPT_S6_S6_PKS5_S8_S8_S8_S8_ffiiiiiiiiiiiii,"axG",@progbits,_ZN5aiter35fused_qk_rmsnorm_group_quant_kernelItDB8_Li256ELi32ELi1ELb1ELb0ELb0ELb0ELb1ELb1EEEvPT0_PvPT_S6_S6_PKS5_S8_S8_S8_S8_ffiiiiiiiiiiiii,comdat
	.protected	_ZN5aiter35fused_qk_rmsnorm_group_quant_kernelItDB8_Li256ELi32ELi1ELb1ELb0ELb0ELb0ELb1ELb1EEEvPT0_PvPT_S6_S6_PKS5_S8_S8_S8_S8_ffiiiiiiiiiiiii ; -- Begin function _ZN5aiter35fused_qk_rmsnorm_group_quant_kernelItDB8_Li256ELi32ELi1ELb1ELb0ELb0ELb0ELb1ELb1EEEvPT0_PvPT_S6_S6_PKS5_S8_S8_S8_S8_ffiiiiiiiiiiiii
	.globl	_ZN5aiter35fused_qk_rmsnorm_group_quant_kernelItDB8_Li256ELi32ELi1ELb1ELb0ELb0ELb0ELb1ELb1EEEvPT0_PvPT_S6_S6_PKS5_S8_S8_S8_S8_ffiiiiiiiiiiiii
	.p2align	8
	.type	_ZN5aiter35fused_qk_rmsnorm_group_quant_kernelItDB8_Li256ELi32ELi1ELb1ELb0ELb0ELb0ELb1ELb1EEEvPT0_PvPT_S6_S6_PKS5_S8_S8_S8_S8_ffiiiiiiiiiiiii,@function
_ZN5aiter35fused_qk_rmsnorm_group_quant_kernelItDB8_Li256ELi32ELi1ELb1ELb0ELb0ELb0ELb1ELb1EEEvPT0_PvPT_S6_S6_PKS5_S8_S8_S8_S8_ffiiiiiiiiiiiii: ; @_ZN5aiter35fused_qk_rmsnorm_group_quant_kernelItDB8_Li256ELi32ELi1ELb1ELb0ELb0ELb0ELb1ELb1EEEvPT0_PvPT_S6_S6_PKS5_S8_S8_S8_S8_ffiiiiiiiiiiiii
; %bb.0:
	s_load_dwordx8 s[12:19], s[4:5], 0x50
	s_mov_b64 s[42:43], s[2:3]
	s_mov_b64 s[40:41], s[0:1]
	s_add_u32 s40, s40, s8
	s_addc_u32 s41, s41, 0
	s_waitcnt lgkmcnt(0)
	s_cmp_ge_i32 s6, s14
	s_cbranch_scc1 .LBB88_17
; %bb.1:
	s_cmp_lg_u32 s7, 0
	s_cselect_b64 s[22:23], -1, 0
	s_cmp_eq_u32 s7, 0
	s_cselect_b64 s[8:9], -1, 0
	s_and_b64 s[0:1], s[8:9], exec
	s_cselect_b32 s7, s15, s16
	s_add_i32 s0, s7, 1
	s_load_dwordx2 s[10:11], s[4:5], 0x70
	s_load_dwordx2 s[20:21], s[4:5], 0x48
	;; [unrolled: 1-line block ×3, first 2 shown]
	s_lshr_b32 s1, s0, 31
	s_add_i32 s0, s0, s1
	s_lshl_b32 s0, s0, 1
	v_lshlrev_b32_e32 v2, 5, v0
	s_and_b32 s26, s0, -4
	v_lshlrev_b32_e32 v1, 3, v0
	v_and_b32_e32 v2, 0x7800, v2
	s_movk_i32 s0, 0x1f8
	v_and_or_b32 v1, v1, s0, v2
	v_cmp_gt_i32_e64 s[0:1], s7, v1
	v_mov_b32_e32 v116, 0
	v_mov_b32_e32 v117, 0
	;; [unrolled: 1-line block ×32, first 2 shown]
	s_and_saveexec_b64 s[2:3], s[0:1]
	s_cbranch_execz .LBB88_3
; %bb.2:
	s_load_dwordx2 s[24:25], s[4:5], 0x28
	s_load_dwordx2 s[28:29], s[4:5], 0x40
	s_and_b64 s[34:35], s[8:9], exec
	s_cselect_b32 s14, s17, s18
	s_mov_b32 s38, s26
	s_waitcnt lgkmcnt(0)
	s_cselect_b32 s17, s25, s31
	s_cselect_b32 s27, s24, s30
	s_mul_hi_i32 s25, s14, s6
	s_mul_i32 s24, s14, s6
	s_lshl_b64 s[24:25], s[24:25], 1
	s_add_u32 s36, s27, s24
	s_addc_u32 s14, s17, s25
	s_and_b64 s[24:25], s[8:9], exec
	s_cselect_b32 s17, s29, s21
	s_mov_b32 s27, 0x20000
	s_cselect_b32 s24, s28, s20
	s_and_b32 s25, s17, 0xffff
	s_and_b32 s37, s14, 0xffff
	s_mov_b32 s39, s27
	v_lshlrev_b32_e32 v2, 1, v1
	s_movk_i32 s17, 0x800
	s_movk_i32 s14, 0x400
	buffer_load_dwordx4 v[120:123], v2, s[36:39], 0 offen glc slc
	buffer_load_dwordx4 v[66:69], v2, s[36:39], s14 offen glc slc
	s_movk_i32 s28, 0xc00
	buffer_load_dwordx4 v[98:101], v2, s[36:39], s17 offen glc slc
	buffer_load_dwordx4 v[124:127], v2, s[36:39], s28 offen glc slc
	buffer_load_dwordx4 v[116:119], v2, s[24:27], 0 offen
	buffer_load_dwordx4 v[112:115], v2, s[24:27], s14 offen
	buffer_load_dwordx4 v[108:111], v2, s[24:27], s17 offen
	buffer_load_dwordx4 v[104:107], v2, s[24:27], s28 offen
.LBB88_3:
	s_or_b64 exec, exec, s[2:3]
	s_load_dwordx2 s[28:29], s[4:5], 0x80
	s_and_b64 vcc, exec, s[22:23]
	s_cbranch_vccz .LBB88_7
; %bb.4:
	v_mov_b32_e32 v29, 0
	v_mov_b32_e32 v28, 0
	buffer_store_dword v0, off, s[40:43], 0 offset:256 ; 4-byte Folded Spill
	s_nop 0
	buffer_store_dword v1, off, s[40:43], 0 offset:260 ; 4-byte Folded Spill
	buffer_store_dword v2, off, s[40:43], 0 offset:264 ; 4-byte Folded Spill
	;; [unrolled: 1-line block ×31, first 2 shown]
	v_mov_b32_e32 v27, 0
	v_mov_b32_e32 v26, 0
	;; [unrolled: 1-line block ×6, first 2 shown]
	buffer_store_dword v0, off, s[40:43], 0 offset:384 ; 4-byte Folded Spill
	s_nop 0
	buffer_store_dword v1, off, s[40:43], 0 offset:388 ; 4-byte Folded Spill
	buffer_store_dword v2, off, s[40:43], 0 offset:392 ; 4-byte Folded Spill
	buffer_store_dword v3, off, s[40:43], 0 offset:396 ; 4-byte Folded Spill
	buffer_store_dword v4, off, s[40:43], 0 offset:400 ; 4-byte Folded Spill
	buffer_store_dword v5, off, s[40:43], 0 offset:404 ; 4-byte Folded Spill
	buffer_store_dword v6, off, s[40:43], 0 offset:408 ; 4-byte Folded Spill
	buffer_store_dword v7, off, s[40:43], 0 offset:412 ; 4-byte Folded Spill
	buffer_store_dword v8, off, s[40:43], 0 offset:416 ; 4-byte Folded Spill
	buffer_store_dword v9, off, s[40:43], 0 offset:420 ; 4-byte Folded Spill
	buffer_store_dword v10, off, s[40:43], 0 offset:424 ; 4-byte Folded Spill
	buffer_store_dword v11, off, s[40:43], 0 offset:428 ; 4-byte Folded Spill
	buffer_store_dword v12, off, s[40:43], 0 offset:432 ; 4-byte Folded Spill
	buffer_store_dword v13, off, s[40:43], 0 offset:436 ; 4-byte Folded Spill
	buffer_store_dword v14, off, s[40:43], 0 offset:440 ; 4-byte Folded Spill
	buffer_store_dword v15, off, s[40:43], 0 offset:444 ; 4-byte Folded Spill
	buffer_store_dword v16, off, s[40:43], 0 offset:448 ; 4-byte Folded Spill
	buffer_store_dword v17, off, s[40:43], 0 offset:452 ; 4-byte Folded Spill
	buffer_store_dword v18, off, s[40:43], 0 offset:456 ; 4-byte Folded Spill
	buffer_store_dword v19, off, s[40:43], 0 offset:460 ; 4-byte Folded Spill
	buffer_store_dword v20, off, s[40:43], 0 offset:464 ; 4-byte Folded Spill
	buffer_store_dword v21, off, s[40:43], 0 offset:468 ; 4-byte Folded Spill
	buffer_store_dword v22, off, s[40:43], 0 offset:472 ; 4-byte Folded Spill
	buffer_store_dword v23, off, s[40:43], 0 offset:476 ; 4-byte Folded Spill
	buffer_store_dword v24, off, s[40:43], 0 offset:480 ; 4-byte Folded Spill
	buffer_store_dword v25, off, s[40:43], 0 offset:484 ; 4-byte Folded Spill
	buffer_store_dword v26, off, s[40:43], 0 offset:488 ; 4-byte Folded Spill
	buffer_store_dword v27, off, s[40:43], 0 offset:492 ; 4-byte Folded Spill
	buffer_store_dword v28, off, s[40:43], 0 offset:496 ; 4-byte Folded Spill
	buffer_store_dword v29, off, s[40:43], 0 offset:500 ; 4-byte Folded Spill
	buffer_store_dword v30, off, s[40:43], 0 offset:504 ; 4-byte Folded Spill
	buffer_store_dword v31, off, s[40:43], 0 offset:508 ; 4-byte Folded Spill
	v_mov_b32_e32 v25, 0
	v_mov_b32_e32 v24, 0
	buffer_store_dword v0, off, s[40:43], 0 offset:640 ; 4-byte Folded Spill
	s_nop 0
	buffer_store_dword v1, off, s[40:43], 0 offset:644 ; 4-byte Folded Spill
	buffer_store_dword v2, off, s[40:43], 0 offset:648 ; 4-byte Folded Spill
	buffer_store_dword v3, off, s[40:43], 0 offset:652 ; 4-byte Folded Spill
	buffer_store_dword v4, off, s[40:43], 0 offset:656 ; 4-byte Folded Spill
	buffer_store_dword v5, off, s[40:43], 0 offset:660 ; 4-byte Folded Spill
	buffer_store_dword v6, off, s[40:43], 0 offset:664 ; 4-byte Folded Spill
	buffer_store_dword v7, off, s[40:43], 0 offset:668 ; 4-byte Folded Spill
	buffer_store_dword v8, off, s[40:43], 0 offset:672 ; 4-byte Folded Spill
	buffer_store_dword v9, off, s[40:43], 0 offset:676 ; 4-byte Folded Spill
	buffer_store_dword v10, off, s[40:43], 0 offset:680 ; 4-byte Folded Spill
	buffer_store_dword v11, off, s[40:43], 0 offset:684 ; 4-byte Folded Spill
	buffer_store_dword v12, off, s[40:43], 0 offset:688 ; 4-byte Folded Spill
	buffer_store_dword v13, off, s[40:43], 0 offset:692 ; 4-byte Folded Spill
	buffer_store_dword v14, off, s[40:43], 0 offset:696 ; 4-byte Folded Spill
	buffer_store_dword v15, off, s[40:43], 0 offset:700 ; 4-byte Folded Spill
	buffer_store_dword v16, off, s[40:43], 0 offset:704 ; 4-byte Folded Spill
	buffer_store_dword v17, off, s[40:43], 0 offset:708 ; 4-byte Folded Spill
	buffer_store_dword v18, off, s[40:43], 0 offset:712 ; 4-byte Folded Spill
	buffer_store_dword v19, off, s[40:43], 0 offset:716 ; 4-byte Folded Spill
	buffer_store_dword v20, off, s[40:43], 0 offset:720 ; 4-byte Folded Spill
	buffer_store_dword v21, off, s[40:43], 0 offset:724 ; 4-byte Folded Spill
	buffer_store_dword v22, off, s[40:43], 0 offset:728 ; 4-byte Folded Spill
	buffer_store_dword v23, off, s[40:43], 0 offset:732 ; 4-byte Folded Spill
	buffer_store_dword v24, off, s[40:43], 0 offset:736 ; 4-byte Folded Spill
	buffer_store_dword v25, off, s[40:43], 0 offset:740 ; 4-byte Folded Spill
	buffer_store_dword v26, off, s[40:43], 0 offset:744 ; 4-byte Folded Spill
	buffer_store_dword v27, off, s[40:43], 0 offset:748 ; 4-byte Folded Spill
	buffer_store_dword v28, off, s[40:43], 0 offset:752 ; 4-byte Folded Spill
	buffer_store_dword v29, off, s[40:43], 0 offset:756 ; 4-byte Folded Spill
	buffer_store_dword v30, off, s[40:43], 0 offset:760 ; 4-byte Folded Spill
	buffer_store_dword v31, off, s[40:43], 0 offset:764 ; 4-byte Folded Spill
	v_mov_b32_e32 v23, 0
	v_mov_b32_e32 v22, 0
	;; [unrolled: 35-line block ×11, first 2 shown]
	buffer_store_dword v0, off, s[40:43], 0 ; 4-byte Folded Spill
	s_nop 0
	buffer_store_dword v1, off, s[40:43], 0 offset:4 ; 4-byte Folded Spill
	buffer_store_dword v2, off, s[40:43], 0 offset:8 ; 4-byte Folded Spill
	;; [unrolled: 1-line block ×31, first 2 shown]
	v_mov_b32_e32 v3, 0
	v_mov_b32_e32 v2, 0
	buffer_store_dword v0, off, s[40:43], 0 offset:128 ; 4-byte Folded Spill
	s_nop 0
	buffer_store_dword v1, off, s[40:43], 0 offset:132 ; 4-byte Folded Spill
	buffer_store_dword v2, off, s[40:43], 0 offset:136 ; 4-byte Folded Spill
	;; [unrolled: 1-line block ×31, first 2 shown]
	s_and_saveexec_b64 s[2:3], s[0:1]
	s_cbranch_execz .LBB88_6
; %bb.5:
	s_waitcnt vmcnt(62)
	v_cvt_f32_u32_sdwa v2, v121 dst_sel:DWORD dst_unused:UNUSED_PAD src0_sel:WORD_0
	v_cvt_f32_u32_sdwa v3, v121 dst_sel:DWORD dst_unused:UNUSED_PAD src0_sel:WORD_1
	v_cvt_f32_u32_sdwa v34, v120 dst_sel:DWORD dst_unused:UNUSED_PAD src0_sel:WORD_0
	v_cvt_f32_u32_sdwa v35, v120 dst_sel:DWORD dst_unused:UNUSED_PAD src0_sel:WORD_1
	buffer_store_dword v0, off, s[40:43], 0 offset:128 ; 4-byte Folded Spill
	s_nop 0
	buffer_store_dword v1, off, s[40:43], 0 offset:132 ; 4-byte Folded Spill
	buffer_store_dword v2, off, s[40:43], 0 offset:136 ; 4-byte Folded Spill
	;; [unrolled: 1-line block ×31, first 2 shown]
	v_cvt_f32_u32_sdwa v4, v122 dst_sel:DWORD dst_unused:UNUSED_PAD src0_sel:WORD_0
	v_cvt_f32_u32_sdwa v5, v122 dst_sel:DWORD dst_unused:UNUSED_PAD src0_sel:WORD_1
	v_cvt_f32_u32_sdwa v70, v127 dst_sel:DWORD dst_unused:UNUSED_PAD src0_sel:WORD_0
	v_cvt_f32_u32_sdwa v71, v127 dst_sel:DWORD dst_unused:UNUSED_PAD src0_sel:WORD_1
	buffer_store_dword v0, off, s[40:43], 0 ; 4-byte Folded Spill
	s_nop 0
	buffer_store_dword v1, off, s[40:43], 0 offset:4 ; 4-byte Folded Spill
	buffer_store_dword v2, off, s[40:43], 0 offset:8 ; 4-byte Folded Spill
	buffer_store_dword v3, off, s[40:43], 0 offset:12 ; 4-byte Folded Spill
	buffer_store_dword v4, off, s[40:43], 0 offset:16 ; 4-byte Folded Spill
	buffer_store_dword v5, off, s[40:43], 0 offset:20 ; 4-byte Folded Spill
	buffer_store_dword v6, off, s[40:43], 0 offset:24 ; 4-byte Folded Spill
	buffer_store_dword v7, off, s[40:43], 0 offset:28 ; 4-byte Folded Spill
	buffer_store_dword v8, off, s[40:43], 0 offset:32 ; 4-byte Folded Spill
	buffer_store_dword v9, off, s[40:43], 0 offset:36 ; 4-byte Folded Spill
	buffer_store_dword v10, off, s[40:43], 0 offset:40 ; 4-byte Folded Spill
	buffer_store_dword v11, off, s[40:43], 0 offset:44 ; 4-byte Folded Spill
	buffer_store_dword v12, off, s[40:43], 0 offset:48 ; 4-byte Folded Spill
	buffer_store_dword v13, off, s[40:43], 0 offset:52 ; 4-byte Folded Spill
	buffer_store_dword v14, off, s[40:43], 0 offset:56 ; 4-byte Folded Spill
	buffer_store_dword v15, off, s[40:43], 0 offset:60 ; 4-byte Folded Spill
	buffer_store_dword v16, off, s[40:43], 0 offset:64 ; 4-byte Folded Spill
	buffer_store_dword v17, off, s[40:43], 0 offset:68 ; 4-byte Folded Spill
	buffer_store_dword v18, off, s[40:43], 0 offset:72 ; 4-byte Folded Spill
	buffer_store_dword v19, off, s[40:43], 0 offset:76 ; 4-byte Folded Spill
	buffer_store_dword v20, off, s[40:43], 0 offset:80 ; 4-byte Folded Spill
	buffer_store_dword v21, off, s[40:43], 0 offset:84 ; 4-byte Folded Spill
	buffer_store_dword v22, off, s[40:43], 0 offset:88 ; 4-byte Folded Spill
	buffer_store_dword v23, off, s[40:43], 0 offset:92 ; 4-byte Folded Spill
	buffer_store_dword v24, off, s[40:43], 0 offset:96 ; 4-byte Folded Spill
	buffer_store_dword v25, off, s[40:43], 0 offset:100 ; 4-byte Folded Spill
	buffer_store_dword v26, off, s[40:43], 0 offset:104 ; 4-byte Folded Spill
	buffer_store_dword v27, off, s[40:43], 0 offset:108 ; 4-byte Folded Spill
	buffer_store_dword v28, off, s[40:43], 0 offset:112 ; 4-byte Folded Spill
	buffer_store_dword v29, off, s[40:43], 0 offset:116 ; 4-byte Folded Spill
	buffer_store_dword v30, off, s[40:43], 0 offset:120 ; 4-byte Folded Spill
	buffer_store_dword v31, off, s[40:43], 0 offset:124 ; 4-byte Folded Spill
	v_cvt_f32_u32_sdwa v6, v123 dst_sel:DWORD dst_unused:UNUSED_PAD src0_sel:WORD_0
	v_cvt_f32_u32_sdwa v7, v123 dst_sel:DWORD dst_unused:UNUSED_PAD src0_sel:WORD_1
	buffer_store_dword v0, off, s[40:43], 0 offset:1664 ; 4-byte Folded Spill
	s_nop 0
	buffer_store_dword v1, off, s[40:43], 0 offset:1668 ; 4-byte Folded Spill
	buffer_store_dword v2, off, s[40:43], 0 offset:1672 ; 4-byte Folded Spill
	buffer_store_dword v3, off, s[40:43], 0 offset:1676 ; 4-byte Folded Spill
	buffer_store_dword v4, off, s[40:43], 0 offset:1680 ; 4-byte Folded Spill
	buffer_store_dword v5, off, s[40:43], 0 offset:1684 ; 4-byte Folded Spill
	buffer_store_dword v6, off, s[40:43], 0 offset:1688 ; 4-byte Folded Spill
	buffer_store_dword v7, off, s[40:43], 0 offset:1692 ; 4-byte Folded Spill
	buffer_store_dword v8, off, s[40:43], 0 offset:1696 ; 4-byte Folded Spill
	buffer_store_dword v9, off, s[40:43], 0 offset:1700 ; 4-byte Folded Spill
	buffer_store_dword v10, off, s[40:43], 0 offset:1704 ; 4-byte Folded Spill
	buffer_store_dword v11, off, s[40:43], 0 offset:1708 ; 4-byte Folded Spill
	buffer_store_dword v12, off, s[40:43], 0 offset:1712 ; 4-byte Folded Spill
	buffer_store_dword v13, off, s[40:43], 0 offset:1716 ; 4-byte Folded Spill
	buffer_store_dword v14, off, s[40:43], 0 offset:1720 ; 4-byte Folded Spill
	buffer_store_dword v15, off, s[40:43], 0 offset:1724 ; 4-byte Folded Spill
	buffer_store_dword v16, off, s[40:43], 0 offset:1728 ; 4-byte Folded Spill
	buffer_store_dword v17, off, s[40:43], 0 offset:1732 ; 4-byte Folded Spill
	buffer_store_dword v18, off, s[40:43], 0 offset:1736 ; 4-byte Folded Spill
	buffer_store_dword v19, off, s[40:43], 0 offset:1740 ; 4-byte Folded Spill
	buffer_store_dword v20, off, s[40:43], 0 offset:1744 ; 4-byte Folded Spill
	buffer_store_dword v21, off, s[40:43], 0 offset:1748 ; 4-byte Folded Spill
	buffer_store_dword v22, off, s[40:43], 0 offset:1752 ; 4-byte Folded Spill
	buffer_store_dword v23, off, s[40:43], 0 offset:1756 ; 4-byte Folded Spill
	buffer_store_dword v24, off, s[40:43], 0 offset:1760 ; 4-byte Folded Spill
	buffer_store_dword v25, off, s[40:43], 0 offset:1764 ; 4-byte Folded Spill
	buffer_store_dword v26, off, s[40:43], 0 offset:1768 ; 4-byte Folded Spill
	buffer_store_dword v27, off, s[40:43], 0 offset:1772 ; 4-byte Folded Spill
	buffer_store_dword v28, off, s[40:43], 0 offset:1776 ; 4-byte Folded Spill
	buffer_store_dword v29, off, s[40:43], 0 offset:1780 ; 4-byte Folded Spill
	buffer_store_dword v30, off, s[40:43], 0 offset:1784 ; 4-byte Folded Spill
	buffer_store_dword v31, off, s[40:43], 0 offset:1788 ; 4-byte Folded Spill
	v_cvt_f32_u32_sdwa v8, v66 dst_sel:DWORD dst_unused:UNUSED_PAD src0_sel:WORD_0
	v_cvt_f32_u32_sdwa v9, v66 dst_sel:DWORD dst_unused:UNUSED_PAD src0_sel:WORD_1
	buffer_store_dword v0, off, s[40:43], 0 offset:1536 ; 4-byte Folded Spill
	;; [unrolled: 35-line block ×12, first 2 shown]
	s_nop 0
	buffer_store_dword v1, off, s[40:43], 0 offset:260 ; 4-byte Folded Spill
	buffer_store_dword v2, off, s[40:43], 0 offset:264 ; 4-byte Folded Spill
	;; [unrolled: 1-line block ×31, first 2 shown]
.LBB88_6:
	s_or_b64 exec, exec, s[2:3]
	s_cbranch_execz .LBB88_8
	s_branch .LBB88_11
.LBB88_7:
                                        ; implicit-def: $vgpr2_vgpr3_vgpr4_vgpr5_vgpr6_vgpr7_vgpr8_vgpr9_vgpr10_vgpr11_vgpr12_vgpr13_vgpr14_vgpr15_vgpr16_vgpr17_vgpr18_vgpr19_vgpr20_vgpr21_vgpr22_vgpr23_vgpr24_vgpr25_vgpr26_vgpr27_vgpr28_vgpr29_vgpr30_vgpr31_vgpr32_vgpr33
                                        ; kill: killed $vgpr2_vgpr3_vgpr4_vgpr5_vgpr6_vgpr7_vgpr8_vgpr9_vgpr10_vgpr11_vgpr12_vgpr13_vgpr14_vgpr15_vgpr16_vgpr17_vgpr18_vgpr19_vgpr20_vgpr21_vgpr22_vgpr23_vgpr24_vgpr25_vgpr26_vgpr27_vgpr28_vgpr29_vgpr30_vgpr31_vgpr32_vgpr33
                                        ; implicit-def: $vgpr2_vgpr3_vgpr4_vgpr5_vgpr6_vgpr7_vgpr8_vgpr9_vgpr10_vgpr11_vgpr12_vgpr13_vgpr14_vgpr15_vgpr16_vgpr17_vgpr18_vgpr19_vgpr20_vgpr21_vgpr22_vgpr23_vgpr24_vgpr25_vgpr26_vgpr27_vgpr28_vgpr29_vgpr30_vgpr31_vgpr32_vgpr33
                                        ; kill: killed $vgpr2_vgpr3_vgpr4_vgpr5_vgpr6_vgpr7_vgpr8_vgpr9_vgpr10_vgpr11_vgpr12_vgpr13_vgpr14_vgpr15_vgpr16_vgpr17_vgpr18_vgpr19_vgpr20_vgpr21_vgpr22_vgpr23_vgpr24_vgpr25_vgpr26_vgpr27_vgpr28_vgpr29_vgpr30_vgpr31_vgpr32_vgpr33
                                        ; implicit-def: $vgpr71
                                        ; implicit-def: $vgpr34_vgpr35_vgpr36_vgpr37_vgpr38_vgpr39_vgpr40_vgpr41_vgpr42_vgpr43_vgpr44_vgpr45_vgpr46_vgpr47_vgpr48_vgpr49_vgpr50_vgpr51_vgpr52_vgpr53_vgpr54_vgpr55_vgpr56_vgpr57_vgpr58_vgpr59_vgpr60_vgpr61_vgpr62_vgpr63_vgpr64_vgpr65
                                        ; implicit-def: $vgpr2_vgpr3_vgpr4_vgpr5_vgpr6_vgpr7_vgpr8_vgpr9_vgpr10_vgpr11_vgpr12_vgpr13_vgpr14_vgpr15_vgpr16_vgpr17_vgpr18_vgpr19_vgpr20_vgpr21_vgpr22_vgpr23_vgpr24_vgpr25_vgpr26_vgpr27_vgpr28_vgpr29_vgpr30_vgpr31_vgpr32_vgpr33
                                        ; kill: killed $vgpr2_vgpr3_vgpr4_vgpr5_vgpr6_vgpr7_vgpr8_vgpr9_vgpr10_vgpr11_vgpr12_vgpr13_vgpr14_vgpr15_vgpr16_vgpr17_vgpr18_vgpr19_vgpr20_vgpr21_vgpr22_vgpr23_vgpr24_vgpr25_vgpr26_vgpr27_vgpr28_vgpr29_vgpr30_vgpr31_vgpr32_vgpr33
                                        ; implicit-def: $vgpr2_vgpr3_vgpr4_vgpr5_vgpr6_vgpr7_vgpr8_vgpr9_vgpr10_vgpr11_vgpr12_vgpr13_vgpr14_vgpr15_vgpr16_vgpr17_vgpr18_vgpr19_vgpr20_vgpr21_vgpr22_vgpr23_vgpr24_vgpr25_vgpr26_vgpr27_vgpr28_vgpr29_vgpr30_vgpr31_vgpr32_vgpr33
                                        ; kill: killed $vgpr2_vgpr3_vgpr4_vgpr5_vgpr6_vgpr7_vgpr8_vgpr9_vgpr10_vgpr11_vgpr12_vgpr13_vgpr14_vgpr15_vgpr16_vgpr17_vgpr18_vgpr19_vgpr20_vgpr21_vgpr22_vgpr23_vgpr24_vgpr25_vgpr26_vgpr27_vgpr28_vgpr29_vgpr30_vgpr31_vgpr32_vgpr33
	;; [unrolled: 2-line block ×12, first 2 shown]
.LBB88_8:
	v_mov_b32_e32 v29, 0
	v_mov_b32_e32 v28, 0
	buffer_store_dword v0, off, s[40:43], 0 offset:256 ; 4-byte Folded Spill
	s_nop 0
	buffer_store_dword v1, off, s[40:43], 0 offset:260 ; 4-byte Folded Spill
	buffer_store_dword v2, off, s[40:43], 0 offset:264 ; 4-byte Folded Spill
	;; [unrolled: 1-line block ×31, first 2 shown]
	v_mov_b32_e32 v27, 0
	v_mov_b32_e32 v26, 0
	;; [unrolled: 1-line block ×6, first 2 shown]
	buffer_store_dword v0, off, s[40:43], 0 offset:384 ; 4-byte Folded Spill
	s_nop 0
	buffer_store_dword v1, off, s[40:43], 0 offset:388 ; 4-byte Folded Spill
	buffer_store_dword v2, off, s[40:43], 0 offset:392 ; 4-byte Folded Spill
	buffer_store_dword v3, off, s[40:43], 0 offset:396 ; 4-byte Folded Spill
	buffer_store_dword v4, off, s[40:43], 0 offset:400 ; 4-byte Folded Spill
	buffer_store_dword v5, off, s[40:43], 0 offset:404 ; 4-byte Folded Spill
	buffer_store_dword v6, off, s[40:43], 0 offset:408 ; 4-byte Folded Spill
	buffer_store_dword v7, off, s[40:43], 0 offset:412 ; 4-byte Folded Spill
	buffer_store_dword v8, off, s[40:43], 0 offset:416 ; 4-byte Folded Spill
	buffer_store_dword v9, off, s[40:43], 0 offset:420 ; 4-byte Folded Spill
	buffer_store_dword v10, off, s[40:43], 0 offset:424 ; 4-byte Folded Spill
	buffer_store_dword v11, off, s[40:43], 0 offset:428 ; 4-byte Folded Spill
	buffer_store_dword v12, off, s[40:43], 0 offset:432 ; 4-byte Folded Spill
	buffer_store_dword v13, off, s[40:43], 0 offset:436 ; 4-byte Folded Spill
	buffer_store_dword v14, off, s[40:43], 0 offset:440 ; 4-byte Folded Spill
	buffer_store_dword v15, off, s[40:43], 0 offset:444 ; 4-byte Folded Spill
	buffer_store_dword v16, off, s[40:43], 0 offset:448 ; 4-byte Folded Spill
	buffer_store_dword v17, off, s[40:43], 0 offset:452 ; 4-byte Folded Spill
	buffer_store_dword v18, off, s[40:43], 0 offset:456 ; 4-byte Folded Spill
	buffer_store_dword v19, off, s[40:43], 0 offset:460 ; 4-byte Folded Spill
	buffer_store_dword v20, off, s[40:43], 0 offset:464 ; 4-byte Folded Spill
	buffer_store_dword v21, off, s[40:43], 0 offset:468 ; 4-byte Folded Spill
	buffer_store_dword v22, off, s[40:43], 0 offset:472 ; 4-byte Folded Spill
	buffer_store_dword v23, off, s[40:43], 0 offset:476 ; 4-byte Folded Spill
	buffer_store_dword v24, off, s[40:43], 0 offset:480 ; 4-byte Folded Spill
	buffer_store_dword v25, off, s[40:43], 0 offset:484 ; 4-byte Folded Spill
	buffer_store_dword v26, off, s[40:43], 0 offset:488 ; 4-byte Folded Spill
	buffer_store_dword v27, off, s[40:43], 0 offset:492 ; 4-byte Folded Spill
	buffer_store_dword v28, off, s[40:43], 0 offset:496 ; 4-byte Folded Spill
	buffer_store_dword v29, off, s[40:43], 0 offset:500 ; 4-byte Folded Spill
	buffer_store_dword v30, off, s[40:43], 0 offset:504 ; 4-byte Folded Spill
	buffer_store_dword v31, off, s[40:43], 0 offset:508 ; 4-byte Folded Spill
	v_mov_b32_e32 v25, 0
	v_mov_b32_e32 v24, 0
	buffer_store_dword v0, off, s[40:43], 0 offset:640 ; 4-byte Folded Spill
	s_nop 0
	buffer_store_dword v1, off, s[40:43], 0 offset:644 ; 4-byte Folded Spill
	buffer_store_dword v2, off, s[40:43], 0 offset:648 ; 4-byte Folded Spill
	buffer_store_dword v3, off, s[40:43], 0 offset:652 ; 4-byte Folded Spill
	buffer_store_dword v4, off, s[40:43], 0 offset:656 ; 4-byte Folded Spill
	buffer_store_dword v5, off, s[40:43], 0 offset:660 ; 4-byte Folded Spill
	buffer_store_dword v6, off, s[40:43], 0 offset:664 ; 4-byte Folded Spill
	buffer_store_dword v7, off, s[40:43], 0 offset:668 ; 4-byte Folded Spill
	buffer_store_dword v8, off, s[40:43], 0 offset:672 ; 4-byte Folded Spill
	buffer_store_dword v9, off, s[40:43], 0 offset:676 ; 4-byte Folded Spill
	buffer_store_dword v10, off, s[40:43], 0 offset:680 ; 4-byte Folded Spill
	buffer_store_dword v11, off, s[40:43], 0 offset:684 ; 4-byte Folded Spill
	buffer_store_dword v12, off, s[40:43], 0 offset:688 ; 4-byte Folded Spill
	buffer_store_dword v13, off, s[40:43], 0 offset:692 ; 4-byte Folded Spill
	buffer_store_dword v14, off, s[40:43], 0 offset:696 ; 4-byte Folded Spill
	buffer_store_dword v15, off, s[40:43], 0 offset:700 ; 4-byte Folded Spill
	buffer_store_dword v16, off, s[40:43], 0 offset:704 ; 4-byte Folded Spill
	buffer_store_dword v17, off, s[40:43], 0 offset:708 ; 4-byte Folded Spill
	buffer_store_dword v18, off, s[40:43], 0 offset:712 ; 4-byte Folded Spill
	buffer_store_dword v19, off, s[40:43], 0 offset:716 ; 4-byte Folded Spill
	buffer_store_dword v20, off, s[40:43], 0 offset:720 ; 4-byte Folded Spill
	buffer_store_dword v21, off, s[40:43], 0 offset:724 ; 4-byte Folded Spill
	buffer_store_dword v22, off, s[40:43], 0 offset:728 ; 4-byte Folded Spill
	buffer_store_dword v23, off, s[40:43], 0 offset:732 ; 4-byte Folded Spill
	buffer_store_dword v24, off, s[40:43], 0 offset:736 ; 4-byte Folded Spill
	buffer_store_dword v25, off, s[40:43], 0 offset:740 ; 4-byte Folded Spill
	buffer_store_dword v26, off, s[40:43], 0 offset:744 ; 4-byte Folded Spill
	buffer_store_dword v27, off, s[40:43], 0 offset:748 ; 4-byte Folded Spill
	buffer_store_dword v28, off, s[40:43], 0 offset:752 ; 4-byte Folded Spill
	buffer_store_dword v29, off, s[40:43], 0 offset:756 ; 4-byte Folded Spill
	buffer_store_dword v30, off, s[40:43], 0 offset:760 ; 4-byte Folded Spill
	buffer_store_dword v31, off, s[40:43], 0 offset:764 ; 4-byte Folded Spill
	v_mov_b32_e32 v23, 0
	v_mov_b32_e32 v22, 0
	;; [unrolled: 35-line block ×11, first 2 shown]
	buffer_store_dword v0, off, s[40:43], 0 ; 4-byte Folded Spill
	s_nop 0
	buffer_store_dword v1, off, s[40:43], 0 offset:4 ; 4-byte Folded Spill
	buffer_store_dword v2, off, s[40:43], 0 offset:8 ; 4-byte Folded Spill
	;; [unrolled: 1-line block ×31, first 2 shown]
	v_mov_b32_e32 v3, 0
	v_mov_b32_e32 v2, 0
	buffer_store_dword v0, off, s[40:43], 0 offset:128 ; 4-byte Folded Spill
	s_nop 0
	buffer_store_dword v1, off, s[40:43], 0 offset:132 ; 4-byte Folded Spill
	buffer_store_dword v2, off, s[40:43], 0 offset:136 ; 4-byte Folded Spill
	;; [unrolled: 1-line block ×31, first 2 shown]
	s_and_saveexec_b64 s[2:3], s[0:1]
	s_cbranch_execz .LBB88_10
; %bb.9:
	s_load_dwordx2 s[36:37], s[4:5], 0x38
	s_load_dwordx2 s[34:35], s[4:5], 0x20
	s_mul_hi_i32 s25, s19, s6
	s_mul_i32 s24, s19, s6
	s_lshl_b64 s[24:25], s[24:25], 1
	s_waitcnt lgkmcnt(0)
	s_add_u32 s24, s36, s24
	s_addc_u32 s14, s37, s25
	s_mov_b32 s27, 0x20000
	s_and_b32 s25, s14, 0xffff
	v_lshlrev_b32_e32 v44, 1, v1
	s_movk_i32 s19, 0x400
	s_movk_i32 s17, 0x800
	;; [unrolled: 1-line block ×3, first 2 shown]
	buffer_load_dwordx4 v[14:17], v44, s[24:27], s19 offen glc slc
	buffer_load_dwordx4 v[10:13], v44, s[24:27], s17 offen glc slc
	;; [unrolled: 1-line block ×4, first 2 shown]
	s_waitcnt vmcnt(62)
	v_cvt_f32_u32_sdwa v19, v66 dst_sel:DWORD dst_unused:UNUSED_PAD src0_sel:WORD_1
	v_cvt_f32_u32_sdwa v18, v66 dst_sel:DWORD dst_unused:UNUSED_PAD src0_sel:WORD_0
	v_cvt_f32_u32_sdwa v21, v67 dst_sel:DWORD dst_unused:UNUSED_PAD src0_sel:WORD_1
	v_cvt_f32_u32_sdwa v20, v67 dst_sel:DWORD dst_unused:UNUSED_PAD src0_sel:WORD_0
	;; [unrolled: 2-line block ×11, first 2 shown]
	s_mul_hi_i32 s25, s29, s6
	s_mul_i32 s24, s29, s6
	s_mov_b32 s29, 0x7060302
	v_cvt_f32_u32_sdwa v35, v120 dst_sel:DWORD dst_unused:UNUSED_PAD src0_sel:WORD_1
	v_cvt_f32_u32_sdwa v34, v120 dst_sel:DWORD dst_unused:UNUSED_PAD src0_sel:WORD_0
	v_cvt_f32_u32_sdwa v39, v101 dst_sel:DWORD dst_unused:UNUSED_PAD src0_sel:WORD_1
	v_cvt_f32_u32_sdwa v38, v101 dst_sel:DWORD dst_unused:UNUSED_PAD src0_sel:WORD_0
	;; [unrolled: 2-line block ×4, first 2 shown]
	v_cvt_f32_u32_sdwa v42, v127 dst_sel:DWORD dst_unused:UNUSED_PAD src0_sel:WORD_0
	v_cvt_f32_u32_sdwa v43, v127 dst_sel:DWORD dst_unused:UNUSED_PAD src0_sel:WORD_1
	s_lshl_b64 s[24:25], s[24:25], 1
	s_add_u32 s24, s34, s24
	s_addc_u32 s25, s35, s25
	s_and_b32 s25, s25, 0xffff
	s_waitcnt vmcnt(3)
	v_cvt_f32_u32_sdwa v53, v14 dst_sel:DWORD dst_unused:UNUSED_PAD src0_sel:WORD_1
	s_waitcnt vmcnt(1)
	v_cvt_f32_u32_sdwa v65, v8 dst_sel:DWORD dst_unused:UNUSED_PAD src0_sel:WORD_1
	v_cvt_f32_u32_sdwa v64, v8 dst_sel:DWORD dst_unused:UNUSED_PAD src0_sel:WORD_0
	v_cvt_f32_u32_sdwa v66, v9 dst_sel:DWORD dst_unused:UNUSED_PAD src0_sel:WORD_0
	v_cvt_f32_u32_sdwa v67, v9 dst_sel:DWORD dst_unused:UNUSED_PAD src0_sel:WORD_1
	s_waitcnt vmcnt(0)
	v_cvt_f32_u32_sdwa v9, v5 dst_sel:DWORD dst_unused:UNUSED_PAD src0_sel:WORD_1
	v_cvt_f32_u32_sdwa v8, v5 dst_sel:DWORD dst_unused:UNUSED_PAD src0_sel:WORD_0
	v_cvt_f32_u32_sdwa v52, v14 dst_sel:DWORD dst_unused:UNUSED_PAD src0_sel:WORD_0
	v_cvt_f32_u32_sdwa v55, v15 dst_sel:DWORD dst_unused:UNUSED_PAD src0_sel:WORD_1
	v_cvt_f32_u32_sdwa v54, v15 dst_sel:DWORD dst_unused:UNUSED_PAD src0_sel:WORD_0
	v_cvt_f32_u32_sdwa v57, v17 dst_sel:DWORD dst_unused:UNUSED_PAD src0_sel:WORD_1
	v_cvt_f32_u32_sdwa v56, v17 dst_sel:DWORD dst_unused:UNUSED_PAD src0_sel:WORD_0
	v_cvt_f32_u32_sdwa v59, v11 dst_sel:DWORD dst_unused:UNUSED_PAD src0_sel:WORD_1
	v_cvt_f32_u32_sdwa v58, v11 dst_sel:DWORD dst_unused:UNUSED_PAD src0_sel:WORD_0
	v_cvt_f32_u32_sdwa v61, v13 dst_sel:DWORD dst_unused:UNUSED_PAD src0_sel:WORD_1
	v_cvt_f32_u32_sdwa v60, v13 dst_sel:DWORD dst_unused:UNUSED_PAD src0_sel:WORD_0
	v_cvt_f32_u32_sdwa v63, v7 dst_sel:DWORD dst_unused:UNUSED_PAD src0_sel:WORD_1
	v_cvt_f32_u32_sdwa v62, v7 dst_sel:DWORD dst_unused:UNUSED_PAD src0_sel:WORD_0
	v_cvt_f32_u32_sdwa v69, v2 dst_sel:DWORD dst_unused:UNUSED_PAD src0_sel:WORD_1
	v_cvt_f32_u32_sdwa v68, v2 dst_sel:DWORD dst_unused:UNUSED_PAD src0_sel:WORD_0
	v_pk_add_f32 v[8:9], v[50:51], v[8:9]
	v_pk_mov_b32 v[50:51], v[8:9], v[8:9] op_sel:[0,1]
	buffer_store_dword v44, off, s[40:43], 0 offset:1664 ; 4-byte Folded Spill
	s_nop 0
	buffer_store_dword v45, off, s[40:43], 0 offset:1668 ; 4-byte Folded Spill
	buffer_store_dword v46, off, s[40:43], 0 offset:1672 ; 4-byte Folded Spill
	;; [unrolled: 1-line block ×31, first 2 shown]
	v_cvt_f32_u32_sdwa v5, v4 dst_sel:DWORD dst_unused:UNUSED_PAD src0_sel:WORD_1
	v_cvt_f32_u32_sdwa v4, v4 dst_sel:DWORD dst_unused:UNUSED_PAD src0_sel:WORD_0
	v_cvt_f32_u32_sdwa v15, v16 dst_sel:DWORD dst_unused:UNUSED_PAD src0_sel:WORD_1
	v_cvt_f32_u32_sdwa v14, v16 dst_sel:DWORD dst_unused:UNUSED_PAD src0_sel:WORD_0
	v_cvt_f32_u32_sdwa v17, v10 dst_sel:DWORD dst_unused:UNUSED_PAD src0_sel:WORD_1
	v_cvt_f32_u32_sdwa v16, v10 dst_sel:DWORD dst_unused:UNUSED_PAD src0_sel:WORD_0
	v_cvt_f32_u32_sdwa v11, v12 dst_sel:DWORD dst_unused:UNUSED_PAD src0_sel:WORD_1
	v_cvt_f32_u32_sdwa v10, v12 dst_sel:DWORD dst_unused:UNUSED_PAD src0_sel:WORD_0
	v_cvt_f32_u32_sdwa v13, v6 dst_sel:DWORD dst_unused:UNUSED_PAD src0_sel:WORD_1
	v_cvt_f32_u32_sdwa v12, v6 dst_sel:DWORD dst_unused:UNUSED_PAD src0_sel:WORD_0
	v_cvt_f32_u32_sdwa v7, v3 dst_sel:DWORD dst_unused:UNUSED_PAD src0_sel:WORD_1
	v_cvt_f32_u32_sdwa v6, v3 dst_sel:DWORD dst_unused:UNUSED_PAD src0_sel:WORD_0
	v_perm_b32 v9, v9, v8, s29
	v_pk_add_f32 v[4:5], v[48:49], v[4:5]
	v_pk_mov_b32 v[48:49], v[4:5], v[4:5] op_sel:[0,1]
	buffer_store_dword v44, off, s[40:43], 0 ; 4-byte Folded Spill
	s_nop 0
	buffer_store_dword v45, off, s[40:43], 0 offset:4 ; 4-byte Folded Spill
	buffer_store_dword v46, off, s[40:43], 0 offset:8 ; 4-byte Folded Spill
	;; [unrolled: 1-line block ×31, first 2 shown]
	v_perm_b32 v8, v5, v4, s29
	v_pk_add_f32 v[2:3], v[46:47], v[6:7]
	v_pk_mov_b32 v[4:5], v[2:3], v[2:3] op_sel:[0,1]
	buffer_store_dword v2, off, s[40:43], 0 offset:128 ; 4-byte Folded Spill
	s_nop 0
	buffer_store_dword v3, off, s[40:43], 0 offset:132 ; 4-byte Folded Spill
	buffer_store_dword v4, off, s[40:43], 0 offset:136 ; 4-byte Folded Spill
	;; [unrolled: 1-line block ×31, first 2 shown]
	v_pk_add_f32 v[34:35], v[34:35], v[68:69]
	v_perm_b32 v6, v35, v34, s29
	v_pk_add_f32 v[30:31], v[30:31], v[56:57]
	v_perm_b32 v7, v3, v2, s29
	v_pk_mov_b32 v[46:47], v[30:31], v[30:31] op_sel:[0,1]
	buffer_store_dwordx4 v[6:9], v44, s[24:27], 0 offen glc slc
	;;#ASMSTART
	s_nop 0
	;;#ASMEND
	buffer_store_dword v32, off, s[40:43], 0 offset:1024 ; 4-byte Folded Spill
	s_nop 0
	buffer_store_dword v33, off, s[40:43], 0 offset:1028 ; 4-byte Folded Spill
	buffer_store_dword v34, off, s[40:43], 0 offset:1032 ; 4-byte Folded Spill
	;; [unrolled: 1-line block ×31, first 2 shown]
	v_pk_add_f32 v[14:15], v[24:25], v[14:15]
	v_pk_mov_b32 v[24:25], v[14:15], v[14:15] op_sel:[0,1]
	v_perm_b32 v9, v31, v30, s29
	buffer_store_dword v12, off, s[40:43], 0 offset:1280 ; 4-byte Folded Spill
	s_nop 0
	buffer_store_dword v13, off, s[40:43], 0 offset:1284 ; 4-byte Folded Spill
	buffer_store_dword v14, off, s[40:43], 0 offset:1288 ; 4-byte Folded Spill
	;; [unrolled: 1-line block ×31, first 2 shown]
	v_perm_b32 v8, v15, v14, s29
	v_pk_add_f32 v[14:15], v[20:21], v[54:55]
	v_pk_mov_b32 v[20:21], v[14:15], v[14:15] op_sel:[0,1]
	buffer_store_dword v10, off, s[40:43], 0 offset:1408 ; 4-byte Folded Spill
	s_nop 0
	buffer_store_dword v11, off, s[40:43], 0 offset:1412 ; 4-byte Folded Spill
	buffer_store_dword v12, off, s[40:43], 0 offset:1416 ; 4-byte Folded Spill
	;; [unrolled: 1-line block ×31, first 2 shown]
	v_pk_add_f32 v[70:71], v[42:43], v[66:67]
	v_perm_b32 v7, v15, v14, s29
	v_pk_add_f32 v[14:15], v[18:19], v[52:53]
	v_pk_mov_b32 v[18:19], v[14:15], v[14:15] op_sel:[0,1]
	buffer_store_dword v10, off, s[40:43], 0 offset:1536 ; 4-byte Folded Spill
	s_nop 0
	buffer_store_dword v11, off, s[40:43], 0 offset:1540 ; 4-byte Folded Spill
	buffer_store_dword v12, off, s[40:43], 0 offset:1544 ; 4-byte Folded Spill
	;; [unrolled: 1-line block ×31, first 2 shown]
	v_pk_add_f32 v[24:25], v[38:39], v[60:61]
	v_perm_b32 v6, v15, v14, s29
	v_pk_mov_b32 v[30:31], v[24:25], v[24:25] op_sel:[0,1]
	buffer_store_dwordx4 v[6:9], v44, s[24:27], s19 offen glc slc
	;;#ASMSTART
	s_nop 0
	;;#ASMEND
	buffer_store_dword v8, off, s[40:43], 0 offset:512 ; 4-byte Folded Spill
	s_nop 0
	buffer_store_dword v9, off, s[40:43], 0 offset:516 ; 4-byte Folded Spill
	buffer_store_dword v10, off, s[40:43], 0 offset:520 ; 4-byte Folded Spill
	buffer_store_dword v11, off, s[40:43], 0 offset:524 ; 4-byte Folded Spill
	buffer_store_dword v12, off, s[40:43], 0 offset:528 ; 4-byte Folded Spill
	buffer_store_dword v13, off, s[40:43], 0 offset:532 ; 4-byte Folded Spill
	buffer_store_dword v14, off, s[40:43], 0 offset:536 ; 4-byte Folded Spill
	buffer_store_dword v15, off, s[40:43], 0 offset:540 ; 4-byte Folded Spill
	buffer_store_dword v16, off, s[40:43], 0 offset:544 ; 4-byte Folded Spill
	buffer_store_dword v17, off, s[40:43], 0 offset:548 ; 4-byte Folded Spill
	buffer_store_dword v18, off, s[40:43], 0 offset:552 ; 4-byte Folded Spill
	buffer_store_dword v19, off, s[40:43], 0 offset:556 ; 4-byte Folded Spill
	buffer_store_dword v20, off, s[40:43], 0 offset:560 ; 4-byte Folded Spill
	buffer_store_dword v21, off, s[40:43], 0 offset:564 ; 4-byte Folded Spill
	buffer_store_dword v22, off, s[40:43], 0 offset:568 ; 4-byte Folded Spill
	buffer_store_dword v23, off, s[40:43], 0 offset:572 ; 4-byte Folded Spill
	buffer_store_dword v24, off, s[40:43], 0 offset:576 ; 4-byte Folded Spill
	buffer_store_dword v25, off, s[40:43], 0 offset:580 ; 4-byte Folded Spill
	buffer_store_dword v26, off, s[40:43], 0 offset:584 ; 4-byte Folded Spill
	buffer_store_dword v27, off, s[40:43], 0 offset:588 ; 4-byte Folded Spill
	buffer_store_dword v28, off, s[40:43], 0 offset:592 ; 4-byte Folded Spill
	buffer_store_dword v29, off, s[40:43], 0 offset:596 ; 4-byte Folded Spill
	buffer_store_dword v30, off, s[40:43], 0 offset:600 ; 4-byte Folded Spill
	buffer_store_dword v31, off, s[40:43], 0 offset:604 ; 4-byte Folded Spill
	buffer_store_dword v32, off, s[40:43], 0 offset:608 ; 4-byte Folded Spill
	buffer_store_dword v33, off, s[40:43], 0 offset:612 ; 4-byte Folded Spill
	buffer_store_dword v34, off, s[40:43], 0 offset:616 ; 4-byte Folded Spill
	buffer_store_dword v35, off, s[40:43], 0 offset:620 ; 4-byte Folded Spill
	buffer_store_dword v36, off, s[40:43], 0 offset:624 ; 4-byte Folded Spill
	buffer_store_dword v37, off, s[40:43], 0 offset:628 ; 4-byte Folded Spill
	buffer_store_dword v38, off, s[40:43], 0 offset:632 ; 4-byte Folded Spill
	buffer_store_dword v39, off, s[40:43], 0 offset:636 ; 4-byte Folded Spill
	v_pk_add_f32 v[20:21], v[32:33], v[10:11]
	v_perm_b32 v9, v25, v24, s29
	v_pk_mov_b32 v[24:25], v[20:21], v[20:21] op_sel:[0,1]
	buffer_store_dword v4, off, s[40:43], 0 offset:768 ; 4-byte Folded Spill
	s_nop 0
	buffer_store_dword v5, off, s[40:43], 0 offset:772 ; 4-byte Folded Spill
	buffer_store_dword v6, off, s[40:43], 0 offset:776 ; 4-byte Folded Spill
	buffer_store_dword v7, off, s[40:43], 0 offset:780 ; 4-byte Folded Spill
	buffer_store_dword v8, off, s[40:43], 0 offset:784 ; 4-byte Folded Spill
	buffer_store_dword v9, off, s[40:43], 0 offset:788 ; 4-byte Folded Spill
	buffer_store_dword v10, off, s[40:43], 0 offset:792 ; 4-byte Folded Spill
	buffer_store_dword v11, off, s[40:43], 0 offset:796 ; 4-byte Folded Spill
	buffer_store_dword v12, off, s[40:43], 0 offset:800 ; 4-byte Folded Spill
	buffer_store_dword v13, off, s[40:43], 0 offset:804 ; 4-byte Folded Spill
	buffer_store_dword v14, off, s[40:43], 0 offset:808 ; 4-byte Folded Spill
	buffer_store_dword v15, off, s[40:43], 0 offset:812 ; 4-byte Folded Spill
	buffer_store_dword v16, off, s[40:43], 0 offset:816 ; 4-byte Folded Spill
	buffer_store_dword v17, off, s[40:43], 0 offset:820 ; 4-byte Folded Spill
	buffer_store_dword v18, off, s[40:43], 0 offset:824 ; 4-byte Folded Spill
	buffer_store_dword v19, off, s[40:43], 0 offset:828 ; 4-byte Folded Spill
	buffer_store_dword v20, off, s[40:43], 0 offset:832 ; 4-byte Folded Spill
	buffer_store_dword v21, off, s[40:43], 0 offset:836 ; 4-byte Folded Spill
	buffer_store_dword v22, off, s[40:43], 0 offset:840 ; 4-byte Folded Spill
	buffer_store_dword v23, off, s[40:43], 0 offset:844 ; 4-byte Folded Spill
	buffer_store_dword v24, off, s[40:43], 0 offset:848 ; 4-byte Folded Spill
	buffer_store_dword v25, off, s[40:43], 0 offset:852 ; 4-byte Folded Spill
	buffer_store_dword v26, off, s[40:43], 0 offset:856 ; 4-byte Folded Spill
	buffer_store_dword v27, off, s[40:43], 0 offset:860 ; 4-byte Folded Spill
	buffer_store_dword v28, off, s[40:43], 0 offset:864 ; 4-byte Folded Spill
	buffer_store_dword v29, off, s[40:43], 0 offset:868 ; 4-byte Folded Spill
	buffer_store_dword v30, off, s[40:43], 0 offset:872 ; 4-byte Folded Spill
	buffer_store_dword v31, off, s[40:43], 0 offset:876 ; 4-byte Folded Spill
	buffer_store_dword v32, off, s[40:43], 0 offset:880 ; 4-byte Folded Spill
	buffer_store_dword v33, off, s[40:43], 0 offset:884 ; 4-byte Folded Spill
	buffer_store_dword v34, off, s[40:43], 0 offset:888 ; 4-byte Folded Spill
	buffer_store_dword v35, off, s[40:43], 0 offset:892 ; 4-byte Folded Spill
	v_pk_add_f32 v[18:19], v[26:27], v[58:59]
	v_perm_b32 v8, v21, v20, s29
	v_pk_mov_b32 v[20:21], v[18:19], v[18:19] op_sel:[0,1]
	;; [unrolled: 36-line block ×3, first 2 shown]
	buffer_store_dword v2, off, s[40:43], 0 offset:1152 ; 4-byte Folded Spill
	s_nop 0
	buffer_store_dword v3, off, s[40:43], 0 offset:1156 ; 4-byte Folded Spill
	buffer_store_dword v4, off, s[40:43], 0 offset:1160 ; 4-byte Folded Spill
	;; [unrolled: 1-line block ×31, first 2 shown]
	v_pk_add_f32 v[30:31], v[40:41], v[64:65]
	v_pk_mov_b32 v[32:33], v[30:31], v[30:31] op_sel:[0,1]
	v_perm_b32 v6, v17, v16, s29
	buffer_store_dwordx4 v[6:9], v44, s[24:27], s17 offen glc slc
	v_perm_b32 v9, v71, v70, s29
	;;#ASMSTART
	s_nop 0
	;;#ASMEND
	buffer_store_dword v4, off, s[40:43], 0 offset:256 ; 4-byte Folded Spill
	s_nop 0
	buffer_store_dword v5, off, s[40:43], 0 offset:260 ; 4-byte Folded Spill
	buffer_store_dword v6, off, s[40:43], 0 offset:264 ; 4-byte Folded Spill
	;; [unrolled: 1-line block ×31, first 2 shown]
	v_pk_add_f32 v[26:27], v[36:37], v[62:63]
	v_perm_b32 v8, v31, v30, s29
	v_pk_mov_b32 v[30:31], v[26:27], v[26:27] op_sel:[0,1]
	buffer_store_dword v4, off, s[40:43], 0 offset:384 ; 4-byte Folded Spill
	s_nop 0
	buffer_store_dword v5, off, s[40:43], 0 offset:388 ; 4-byte Folded Spill
	buffer_store_dword v6, off, s[40:43], 0 offset:392 ; 4-byte Folded Spill
	;; [unrolled: 1-line block ×31, first 2 shown]
	v_pk_add_f32 v[24:25], v[28:29], v[12:13]
	v_perm_b32 v7, v27, v26, s29
	v_pk_mov_b32 v[26:27], v[24:25], v[24:25] op_sel:[0,1]
	buffer_store_dword v2, off, s[40:43], 0 offset:640 ; 4-byte Folded Spill
	s_nop 0
	buffer_store_dword v3, off, s[40:43], 0 offset:644 ; 4-byte Folded Spill
	buffer_store_dword v4, off, s[40:43], 0 offset:648 ; 4-byte Folded Spill
	;; [unrolled: 1-line block ×31, first 2 shown]
	v_perm_b32 v6, v25, v24, s29
	buffer_store_dwordx4 v[6:9], v44, s[24:27], s14 offen glc slc
	;;#ASMSTART
	s_nop 0
	;;#ASMEND
.LBB88_10:
	s_or_b64 exec, exec, s[2:3]
.LBB88_11:
	buffer_load_dword v36, off, s[40:43], 0 offset:128 ; 4-byte Folded Reload
	buffer_load_dword v37, off, s[40:43], 0 offset:132 ; 4-byte Folded Reload
	;; [unrolled: 1-line block ×32, first 2 shown]
	v_mul_f32_e32 v2, v35, v35
	v_fmac_f32_e32 v2, v34, v34
	s_waitcnt vmcnt(28)
	v_pk_mov_b32 v[4:5], v[38:39], v[38:39] op_sel:[0,1]
	buffer_load_dword v36, off, s[40:43], 0 ; 4-byte Folded Reload
	buffer_load_dword v37, off, s[40:43], 0 offset:4 ; 4-byte Folded Reload
	buffer_load_dword v38, off, s[40:43], 0 offset:8 ; 4-byte Folded Reload
	buffer_load_dword v39, off, s[40:43], 0 offset:12 ; 4-byte Folded Reload
	buffer_load_dword v40, off, s[40:43], 0 offset:16 ; 4-byte Folded Reload
	buffer_load_dword v41, off, s[40:43], 0 offset:20 ; 4-byte Folded Reload
	buffer_load_dword v42, off, s[40:43], 0 offset:24 ; 4-byte Folded Reload
	buffer_load_dword v43, off, s[40:43], 0 offset:28 ; 4-byte Folded Reload
	buffer_load_dword v44, off, s[40:43], 0 offset:32 ; 4-byte Folded Reload
	buffer_load_dword v45, off, s[40:43], 0 offset:36 ; 4-byte Folded Reload
	buffer_load_dword v46, off, s[40:43], 0 offset:40 ; 4-byte Folded Reload
	buffer_load_dword v47, off, s[40:43], 0 offset:44 ; 4-byte Folded Reload
	buffer_load_dword v48, off, s[40:43], 0 offset:48 ; 4-byte Folded Reload
	buffer_load_dword v49, off, s[40:43], 0 offset:52 ; 4-byte Folded Reload
	buffer_load_dword v50, off, s[40:43], 0 offset:56 ; 4-byte Folded Reload
	buffer_load_dword v51, off, s[40:43], 0 offset:60 ; 4-byte Folded Reload
	buffer_load_dword v52, off, s[40:43], 0 offset:64 ; 4-byte Folded Reload
	buffer_load_dword v53, off, s[40:43], 0 offset:68 ; 4-byte Folded Reload
	buffer_load_dword v54, off, s[40:43], 0 offset:72 ; 4-byte Folded Reload
	buffer_load_dword v55, off, s[40:43], 0 offset:76 ; 4-byte Folded Reload
	buffer_load_dword v56, off, s[40:43], 0 offset:80 ; 4-byte Folded Reload
	buffer_load_dword v57, off, s[40:43], 0 offset:84 ; 4-byte Folded Reload
	buffer_load_dword v58, off, s[40:43], 0 offset:88 ; 4-byte Folded Reload
	buffer_load_dword v59, off, s[40:43], 0 offset:92 ; 4-byte Folded Reload
	buffer_load_dword v60, off, s[40:43], 0 offset:96 ; 4-byte Folded Reload
	buffer_load_dword v61, off, s[40:43], 0 offset:100 ; 4-byte Folded Reload
	buffer_load_dword v62, off, s[40:43], 0 offset:104 ; 4-byte Folded Reload
	buffer_load_dword v63, off, s[40:43], 0 offset:108 ; 4-byte Folded Reload
	buffer_load_dword v64, off, s[40:43], 0 offset:112 ; 4-byte Folded Reload
	buffer_load_dword v65, off, s[40:43], 0 offset:116 ; 4-byte Folded Reload
	buffer_load_dword v66, off, s[40:43], 0 offset:120 ; 4-byte Folded Reload
	buffer_load_dword v67, off, s[40:43], 0 offset:124 ; 4-byte Folded Reload
	v_fmac_f32_e32 v2, v4, v4
	v_fmac_f32_e32 v2, v5, v5
	s_waitcnt vmcnt(26)
	v_pk_mov_b32 v[4:5], v[40:41], v[40:41] op_sel:[0,1]
	buffer_load_dword v36, off, s[40:43], 0 offset:1664 ; 4-byte Folded Reload
	buffer_load_dword v37, off, s[40:43], 0 offset:1668 ; 4-byte Folded Reload
	buffer_load_dword v38, off, s[40:43], 0 offset:1672 ; 4-byte Folded Reload
	buffer_load_dword v39, off, s[40:43], 0 offset:1676 ; 4-byte Folded Reload
	buffer_load_dword v40, off, s[40:43], 0 offset:1680 ; 4-byte Folded Reload
	buffer_load_dword v41, off, s[40:43], 0 offset:1684 ; 4-byte Folded Reload
	buffer_load_dword v42, off, s[40:43], 0 offset:1688 ; 4-byte Folded Reload
	buffer_load_dword v43, off, s[40:43], 0 offset:1692 ; 4-byte Folded Reload
	buffer_load_dword v44, off, s[40:43], 0 offset:1696 ; 4-byte Folded Reload
	buffer_load_dword v45, off, s[40:43], 0 offset:1700 ; 4-byte Folded Reload
	buffer_load_dword v46, off, s[40:43], 0 offset:1704 ; 4-byte Folded Reload
	buffer_load_dword v47, off, s[40:43], 0 offset:1708 ; 4-byte Folded Reload
	buffer_load_dword v48, off, s[40:43], 0 offset:1712 ; 4-byte Folded Reload
	buffer_load_dword v49, off, s[40:43], 0 offset:1716 ; 4-byte Folded Reload
	buffer_load_dword v50, off, s[40:43], 0 offset:1720 ; 4-byte Folded Reload
	buffer_load_dword v51, off, s[40:43], 0 offset:1724 ; 4-byte Folded Reload
	buffer_load_dword v52, off, s[40:43], 0 offset:1728 ; 4-byte Folded Reload
	buffer_load_dword v53, off, s[40:43], 0 offset:1732 ; 4-byte Folded Reload
	buffer_load_dword v54, off, s[40:43], 0 offset:1736 ; 4-byte Folded Reload
	buffer_load_dword v55, off, s[40:43], 0 offset:1740 ; 4-byte Folded Reload
	buffer_load_dword v56, off, s[40:43], 0 offset:1744 ; 4-byte Folded Reload
	buffer_load_dword v57, off, s[40:43], 0 offset:1748 ; 4-byte Folded Reload
	buffer_load_dword v58, off, s[40:43], 0 offset:1752 ; 4-byte Folded Reload
	buffer_load_dword v59, off, s[40:43], 0 offset:1756 ; 4-byte Folded Reload
	buffer_load_dword v60, off, s[40:43], 0 offset:1760 ; 4-byte Folded Reload
	buffer_load_dword v61, off, s[40:43], 0 offset:1764 ; 4-byte Folded Reload
	buffer_load_dword v62, off, s[40:43], 0 offset:1768 ; 4-byte Folded Reload
	buffer_load_dword v63, off, s[40:43], 0 offset:1772 ; 4-byte Folded Reload
	buffer_load_dword v64, off, s[40:43], 0 offset:1776 ; 4-byte Folded Reload
	buffer_load_dword v65, off, s[40:43], 0 offset:1780 ; 4-byte Folded Reload
	buffer_load_dword v66, off, s[40:43], 0 offset:1784 ; 4-byte Folded Reload
	buffer_load_dword v67, off, s[40:43], 0 offset:1788 ; 4-byte Folded Reload
	v_fmac_f32_e32 v2, v4, v4
	v_fmac_f32_e32 v2, v5, v5
	s_waitcnt vmcnt(24)
	v_pk_mov_b32 v[72:73], v[42:43], v[42:43] op_sel:[0,1]
	buffer_load_dword v36, off, s[40:43], 0 offset:1536 ; 4-byte Folded Reload
	;; [unrolled: 36-line block ×12, first 2 shown]
	buffer_load_dword v37, off, s[40:43], 0 offset:260 ; 4-byte Folded Reload
	buffer_load_dword v38, off, s[40:43], 0 offset:264 ; 4-byte Folded Reload
	;; [unrolled: 1-line block ×31, first 2 shown]
	v_fmac_f32_e32 v2, v28, v28
	v_fmac_f32_e32 v2, v29, v29
	s_waitcnt vmcnt(2)
	v_pk_mov_b32 v[32:33], v[64:65], v[64:65] op_sel:[0,1]
	v_fmac_f32_e32 v2, v32, v32
	v_fmac_f32_e32 v2, v33, v33
	;; [unrolled: 1-line block ×4, first 2 shown]
	s_nop 1
	v_mov_b32_dpp v3, v2 quad_perm:[1,0,3,2] row_mask:0xf bank_mask:0xf
	v_add_f32_e32 v2, v2, v3
	s_nop 1
	v_mov_b32_dpp v3, v2 quad_perm:[2,3,0,1] row_mask:0xf bank_mask:0xf
	v_add_f32_e32 v2, v2, v3
	s_nop 1
	v_mov_b32_dpp v3, v2 row_half_mirror row_mask:0xf bank_mask:0xf
	v_add_f32_e32 v2, v2, v3
	s_nop 1
	v_mov_b32_dpp v3, v2 row_mirror row_mask:0xf bank_mask:0xf
	v_add_f32_e32 v2, v2, v3
	s_nop 1
	v_mov_b32_dpp v3, v2 row_bcast:15 row_mask:0xf bank_mask:0xf
	v_add_f32_e32 v2, v2, v3
	v_and_b32_e32 v3, 63, v0
	v_cmp_eq_u32_e64 s[2:3], 63, v3
	s_nop 0
	v_mov_b32_dpp v3, v2 row_bcast:31 row_mask:0xf bank_mask:0xf
	s_and_saveexec_b64 s[24:25], s[2:3]
	s_cbranch_execz .LBB88_13
; %bb.12:
	v_add_f32_e32 v2, v2, v3
	v_lshrrev_b32_e32 v3, 4, v0
	v_and_b32_e32 v3, 60, v3
	ds_write_b32 v3, v2 offset:32
.LBB88_13:
	s_or_b64 exec, exec, s[24:25]
	v_and_b32_e32 v2, 3, v0
	s_waitcnt vmcnt(1)
	v_lshlrev_b32_e32 v66, 2, v2
	s_waitcnt lgkmcnt(0)
	s_barrier
	ds_read_b32 v2, v66 offset:32
	s_load_dwordx2 s[34:35], s[4:5], 0x18
	s_waitcnt lgkmcnt(0)
	v_mov_b32_dpp v3, v2 quad_perm:[1,0,3,2] row_mask:0xf bank_mask:0xf
	v_add_f32_e32 v2, v2, v3
	s_nop 1
	v_mov_b32_dpp v3, v2 quad_perm:[2,3,0,1] row_mask:0xf bank_mask:0xf
	s_and_saveexec_b64 s[24:25], s[0:1]
	s_cbranch_execnz .LBB88_18
; %bb.14:
	s_or_b64 exec, exec, s[24:25]
	s_mov_b64 s[8:9], -1
	s_and_b64 vcc, exec, s[22:23]
	s_cbranch_vccnz .LBB88_19
.LBB88_15:
	s_andn2_b64 vcc, exec, s[8:9]
	s_cbranch_vccz .LBB88_22
.LBB88_16:
	s_cmp_lt_i32 s16, 1
	s_cbranch_scc0 .LBB88_31
.LBB88_17:
	s_endpgm
.LBB88_18:
	v_add_f32_e32 v2, v2, v3
	v_cvt_f32_u32_e32 v3, s7
	s_mov_b32 s7, 0x800000
	v_div_scale_f32 v6, s[36:37], v3, v3, v2
	v_rcp_f32_e32 v7, v6
	v_fma_f32 v8, -v6, v7, 1.0
	v_fmac_f32_e32 v7, v8, v7
	v_div_scale_f32 v8, vcc, v2, v3, v2
	v_mul_f32_e32 v9, v8, v7
	v_fma_f32 v10, -v6, v9, v8
	v_fmac_f32_e32 v9, v10, v7
	v_fma_f32 v6, -v6, v9, v8
	v_div_fmas_f32 v6, v6, v7, v9
	v_div_fixup_f32 v2, v6, v3, v2
	v_mov_b32_e32 v3, s13
	v_mov_b32_e32 v6, s12
	v_cndmask_b32_e64 v3, v3, v6, s[8:9]
	v_add_f32_e32 v2, v3, v2
	v_mul_f32_e32 v3, 0x4b800000, v2
	v_cmp_gt_f32_e32 vcc, s7, v2
	v_cndmask_b32_e32 v2, v2, v3, vcc
	v_rsq_f32_e32 v2, v2
	v_mul_f32_e32 v3, 0x45800000, v2
	v_cndmask_b32_e32 v30, v2, v3, vcc
	v_mov_b32_e32 v31, v30
	;;#ASMSTART
	v_pk_mul_f32 v[2:3], v[34:35], v[30:31]
	;;#ASMEND
	buffer_load_dword v34, off, s[40:43], 0 offset:128 ; 4-byte Folded Reload
	buffer_load_dword v35, off, s[40:43], 0 offset:132 ; 4-byte Folded Reload
	;; [unrolled: 1-line block ×32, first 2 shown]
	s_waitcnt vmcnt(28)
	;;#ASMSTART
	v_pk_mul_f32 v[4:5], v[36:37], v[30:31]
	;;#ASMEND
	buffer_load_dword v34, off, s[40:43], 0 ; 4-byte Folded Reload
	buffer_load_dword v35, off, s[40:43], 0 offset:4 ; 4-byte Folded Reload
	buffer_load_dword v36, off, s[40:43], 0 offset:8 ; 4-byte Folded Reload
	;; [unrolled: 1-line block ×31, first 2 shown]
	s_waitcnt vmcnt(30)
	v_cvt_f32_u32_sdwa v35, v116 dst_sel:DWORD dst_unused:UNUSED_PAD src0_sel:WORD_1
	v_cvt_f32_u32_sdwa v34, v116 dst_sel:DWORD dst_unused:UNUSED_PAD src0_sel:WORD_0
	s_waitcnt vmcnt(28)
	v_cvt_f32_u32_sdwa v37, v117 dst_sel:DWORD dst_unused:UNUSED_PAD src0_sel:WORD_1
	v_cvt_f32_u32_sdwa v36, v117 dst_sel:DWORD dst_unused:UNUSED_PAD src0_sel:WORD_0
	;; [unrolled: 3-line block ×15, first 2 shown]
	;;#ASMSTART
	v_pk_mul_f32 v[6:7], v[38:39], v[30:31]
	;;#ASMEND
	;;#ASMSTART
	v_pk_mul_f32 v[8:9], v[72:73], v[30:31]
	;;#ASMEND
	;;#ASMSTART
	v_pk_mul_f32 v[10:11], v[68:69], v[30:31]
	;;#ASMEND
	;;#ASMSTART
	v_pk_mul_f32 v[12:13], v[12:13], v[30:31]
	;;#ASMEND
	;;#ASMSTART
	v_pk_mul_f32 v[14:15], v[14:15], v[30:31]
	;;#ASMEND
	;;#ASMSTART
	v_pk_mul_f32 v[16:17], v[16:17], v[30:31]
	;;#ASMEND
	;;#ASMSTART
	v_pk_mul_f32 v[18:19], v[18:19], v[30:31]
	;;#ASMEND
	;;#ASMSTART
	v_pk_mul_f32 v[20:21], v[20:21], v[30:31]
	;;#ASMEND
	;;#ASMSTART
	v_pk_mul_f32 v[22:23], v[22:23], v[30:31]
	;;#ASMEND
	;;#ASMSTART
	v_pk_mul_f32 v[24:25], v[24:25], v[30:31]
	;;#ASMEND
	;;#ASMSTART
	v_pk_mul_f32 v[26:27], v[26:27], v[30:31]
	;;#ASMEND
	;;#ASMSTART
	v_pk_mul_f32 v[28:29], v[28:29], v[30:31]
	;;#ASMEND
	;;#ASMSTART
	v_pk_mul_f32 v[32:33], v[32:33], v[30:31]
	;;#ASMEND
	;;#ASMSTART
	v_pk_mul_f32 v[30:31], v[70:71], v[30:31]
	;;#ASMEND
	;;#ASMSTART
	v_pk_mul_f32 v[34:35], v[2:3], v[34:35]
	;;#ASMEND
	;;#ASMSTART
	v_pk_mul_f32 v[2:3], v[4:5], v[36:37]
	;;#ASMEND
	buffer_store_dword v0, off, s[40:43], 0 offset:128 ; 4-byte Folded Spill
	s_nop 0
	buffer_store_dword v1, off, s[40:43], 0 offset:132 ; 4-byte Folded Spill
	buffer_store_dword v2, off, s[40:43], 0 offset:136 ; 4-byte Folded Spill
	;; [unrolled: 1-line block ×31, first 2 shown]
	v_cvt_f32_u32_sdwa v39, v118 dst_sel:DWORD dst_unused:UNUSED_PAD src0_sel:WORD_1
	v_cvt_f32_u32_sdwa v38, v118 dst_sel:DWORD dst_unused:UNUSED_PAD src0_sel:WORD_0
	;;#ASMSTART
	v_pk_mul_f32 v[4:5], v[6:7], v[38:39]
	;;#ASMEND
	buffer_store_dword v0, off, s[40:43], 0 ; 4-byte Folded Spill
	s_nop 0
	buffer_store_dword v1, off, s[40:43], 0 offset:4 ; 4-byte Folded Spill
	buffer_store_dword v2, off, s[40:43], 0 offset:8 ; 4-byte Folded Spill
	;; [unrolled: 1-line block ×31, first 2 shown]
	;;#ASMSTART
	v_pk_mul_f32 v[72:73], v[8:9], v[40:41]
	;;#ASMEND
	;;#ASMSTART
	v_pk_mul_f32 v[68:69], v[10:11], v[42:43]
	;;#ASMEND
	;; [unrolled: 3-line block ×13, first 2 shown]
	s_or_b64 exec, exec, s[24:25]
	s_mov_b64 s[8:9], -1
	s_and_b64 vcc, exec, s[22:23]
	s_cbranch_vccz .LBB88_15
.LBB88_19:
	s_and_saveexec_b64 s[8:9], s[0:1]
	s_cbranch_execz .LBB88_21
; %bb.20:
	buffer_load_dword v74, off, s[40:43], 0 ; 4-byte Folded Reload
	buffer_load_dword v75, off, s[40:43], 0 offset:4 ; 4-byte Folded Reload
	buffer_load_dword v76, off, s[40:43], 0 offset:8 ; 4-byte Folded Reload
	;; [unrolled: 1-line block ×31, first 2 shown]
	s_mul_hi_i32 s23, s28, s6
	s_mul_i32 s22, s28, s6
	s_lshl_b64 s[22:23], s[22:23], 1
	s_add_u32 s24, s34, s22
	s_addc_u32 s7, s35, s23
	s_and_b32 s25, s7, 0xffff
	s_mov_b32 s7, 0x7060302
	s_mov_b32 s27, 0x20000
	v_perm_b32 v9, v73, v72, s7
	v_perm_b32 v6, v35, v34, s7
	v_lshlrev_b32_e32 v2, 1, v1
	s_movk_i32 s12, 0x400
	s_waitcnt vmcnt(26)
	v_perm_b32 v8, v79, v78, s7
	buffer_load_dword v74, off, s[40:43], 0 offset:128 ; 4-byte Folded Reload
	buffer_load_dword v75, off, s[40:43], 0 offset:132 ; 4-byte Folded Reload
	;; [unrolled: 1-line block ×32, first 2 shown]
	s_waitcnt vmcnt(28)
	v_perm_b32 v7, v77, v76, s7
	buffer_store_dwordx4 v[6:9], v2, s[24:27], 0 offen
	;;#ASMSTART
	s_nop 0
	;;#ASMEND
	s_nop 0
	v_perm_b32 v9, v17, v16, s7
	v_perm_b32 v8, v15, v14, s7
	;; [unrolled: 1-line block ×4, first 2 shown]
	buffer_store_dwordx4 v[6:9], v2, s[24:27], s12 offen
	v_perm_b32 v9, v25, v24, s7
	v_perm_b32 v8, v23, v22, s7
	;; [unrolled: 1-line block ×4, first 2 shown]
	s_movk_i32 s12, 0x800
	;;#ASMSTART
	s_nop 0
	;;#ASMEND
	buffer_store_dwordx4 v[6:9], v2, s[24:27], s12 offen
	v_perm_b32 v9, v71, v70, s7
	v_perm_b32 v8, v33, v32, s7
	;; [unrolled: 1-line block ×4, first 2 shown]
	s_movk_i32 s7, 0xc00
	;;#ASMSTART
	s_nop 0
	;;#ASMEND
	buffer_store_dwordx4 v[6:9], v2, s[24:27], s7 offen
	;;#ASMSTART
	s_nop 0
	;;#ASMEND
.LBB88_21:
	s_or_b64 exec, exec, s[8:9]
	s_cbranch_execnz .LBB88_16
.LBB88_22:
	v_mov_b32_e32 v2, 0
	s_and_saveexec_b64 s[8:9], s[0:1]
	s_cbranch_execz .LBB88_24
; %bb.23:
	v_and_b32_e32 v2, 0x7fffffff, v34
	v_and_b32_e32 v3, 0x7fffffff, v35
	v_mov_b32_e32 v6, 0x2edbe6ff
	;;#ASMSTART
	v_max3_f32 v2, v6, v2, v3

	;;#ASMEND
	buffer_load_dword v74, off, s[40:43], 0 offset:128 ; 4-byte Folded Reload
	buffer_load_dword v75, off, s[40:43], 0 offset:132 ; 4-byte Folded Reload
	;; [unrolled: 1-line block ×32, first 2 shown]
	s_waitcnt vmcnt(28)
	v_pk_mov_b32 v[4:5], v[76:77], v[76:77] op_sel:[0,1]
	v_and_b32_e32 v3, 0x7fffffff, v4
	v_and_b32_e32 v6, 0x7fffffff, v5
	;;#ASMSTART
	v_max3_f32 v2, v2, v3, v6

	;;#ASMEND
	buffer_load_dword v74, off, s[40:43], 0 ; 4-byte Folded Reload
	buffer_load_dword v75, off, s[40:43], 0 offset:4 ; 4-byte Folded Reload
	buffer_load_dword v76, off, s[40:43], 0 offset:8 ; 4-byte Folded Reload
	;; [unrolled: 1-line block ×31, first 2 shown]
	s_waitcnt vmcnt(26)
	v_pk_mov_b32 v[4:5], v[78:79], v[78:79] op_sel:[0,1]
	v_and_b32_e32 v3, 0x7fffffff, v4
	v_and_b32_e32 v6, 0x7fffffff, v5
	;;#ASMSTART
	v_max3_f32 v2, v2, v3, v6

	;;#ASMEND
	v_and_b32_e32 v3, 0x7fffffff, v72
	v_and_b32_e32 v6, 0x7fffffff, v73
	;;#ASMSTART
	v_max3_f32 v2, v2, v3, v6

	;;#ASMEND
	;; [unrolled: 6-line block ×14, first 2 shown]
.LBB88_24:
	s_or_b64 exec, exec, s[8:9]
	s_nop 0
	v_mov_b32_dpp v3, v2 quad_perm:[1,0,3,2] row_mask:0xf bank_mask:0xf
	v_cmp_gt_f32_e32 vcc, v2, v3
	v_cndmask_b32_e32 v2, v3, v2, vcc
	s_nop 1
	v_mov_b32_dpp v3, v2 quad_perm:[2,3,0,1] row_mask:0xf bank_mask:0xf
	v_cmp_gt_f32_e32 vcc, v2, v3
	v_cndmask_b32_e32 v2, v3, v2, vcc
	s_nop 1
	v_mov_b32_dpp v3, v2 row_half_mirror row_mask:0xf bank_mask:0xf
	v_cmp_gt_f32_e32 vcc, v2, v3
	v_cndmask_b32_e32 v2, v3, v2, vcc
	s_nop 1
	v_mov_b32_dpp v3, v2 row_mirror row_mask:0xf bank_mask:0xf
	v_cmp_gt_f32_e32 vcc, v2, v3
	v_cndmask_b32_e32 v2, v3, v2, vcc
	s_nop 1
	v_mov_b32_dpp v3, v2 row_bcast:15 row_mask:0xf bank_mask:0xf
	v_cmp_gt_f32_e32 vcc, v2, v3
	v_cndmask_b32_e32 v2, v3, v2, vcc
	s_nop 1
	v_mov_b32_dpp v3, v2 row_bcast:31 row_mask:0xf bank_mask:0xf
	s_and_saveexec_b64 s[8:9], s[2:3]
	s_cbranch_execz .LBB88_26
; %bb.25:
	v_cmp_gt_f32_e32 vcc, v2, v3
	v_cndmask_b32_e32 v2, v3, v2, vcc
	v_lshrrev_b32_e32 v3, 4, v0
	v_and_b32_e32 v3, 60, v3
	ds_write_b32 v3, v2
.LBB88_26:
	s_or_b64 exec, exec, s[8:9]
	s_waitcnt lgkmcnt(0)
	s_barrier
	ds_read_b32 v2, v66
	s_waitcnt lgkmcnt(0)
	s_nop 0
	v_mov_b32_dpp v3, v2 quad_perm:[1,0,3,2] row_mask:0xf bank_mask:0xf
	v_cmp_gt_f32_e32 vcc, v2, v3
	v_cndmask_b32_e32 v2, v3, v2, vcc
	s_nop 1
	v_mov_b32_dpp v3, v2 quad_perm:[2,3,0,1] row_mask:0xf bank_mask:0xf
	v_cmp_gt_f32_e32 vcc, v2, v3
	v_cndmask_b32_e32 v2, v3, v2, vcc
	v_mul_f32_e32 v2, 0x3b124925, v2
	v_cmp_eq_u32_e32 vcc, 0, v0
	s_and_saveexec_b64 s[8:9], vcc
	s_cbranch_execz .LBB88_28
; %bb.27:
	s_load_dwordx2 s[22:23], s[4:5], 0x8
	s_mul_hi_i32 s25, s11, s6
	s_mul_i32 s24, s11, s6
	s_lshl_b64 s[24:25], s[24:25], 2
	v_mov_b32_e32 v3, 0
	s_waitcnt lgkmcnt(0)
	s_add_u32 s22, s22, s24
	s_addc_u32 s23, s23, s25
	global_store_dword v3, v2, s[22:23]
.LBB88_28:
	s_or_b64 exec, exec, s[8:9]
	;;#ASMSTART
	v_rcp_f32 v2, v2
	;;#ASMEND
	s_and_saveexec_b64 s[22:23], s[0:1]
	s_cbranch_execz .LBB88_30
; %bb.29:
	v_mov_b32_e32 v3, v2
	;;#ASMSTART
	v_pk_mul_f32 v[6:7], v[34:35], v[2:3]
	;;#ASMEND
	v_mov_b32_e32 v8, 0xc3e00000
	v_mov_b32_e32 v9, 0x43e00000
	;;#ASMSTART
	v_med3_f32 v6, v6, v8, v9
v_med3_f32 v7, v7, v8, v9
v_cvt_pk_fp8_f32 v10, v6, v7
	;;#ASMEND
	buffer_load_dword v34, off, s[40:43], 0 offset:128 ; 4-byte Folded Reload
	buffer_load_dword v35, off, s[40:43], 0 offset:132 ; 4-byte Folded Reload
	;; [unrolled: 1-line block ×32, first 2 shown]
	s_load_dwordx2 s[0:1], s[4:5], 0x0
	s_mul_i32 s8, s10, s6
	s_mov_b32 s7, 0x5040100
	s_mul_hi_i32 s9, s10, s6
	s_movk_i32 s12, 0xff
	s_waitcnt lgkmcnt(0)
	s_add_u32 s8, s0, s8
	s_addc_u32 s0, s1, s9
	s_add_i32 s1, s15, 3
	s_ashr_i32 s9, s1, 31
	s_mov_b32 s14, 0xffff
	s_lshr_b32 s9, s9, 30
	s_add_i32 s1, s1, s9
	s_and_b32 s10, s1, -4
	s_and_b32 s9, s0, 0xffff
	s_mov_b32 s11, 0x20000
	s_movk_i32 s0, 0x200
	s_waitcnt vmcnt(28)
	;;#ASMSTART
	v_pk_mul_f32 v[4:5], v[36:37], v[2:3]
	;;#ASMEND
	;;#ASMSTART
	v_med3_f32 v4, v4, v8, v9
v_med3_f32 v5, v5, v8, v9
v_cvt_pk_fp8_f32 v6, v4, v5
	;;#ASMEND
	buffer_load_dword v34, off, s[40:43], 0 ; 4-byte Folded Reload
	buffer_load_dword v35, off, s[40:43], 0 offset:4 ; 4-byte Folded Reload
	buffer_load_dword v36, off, s[40:43], 0 offset:8 ; 4-byte Folded Reload
	buffer_load_dword v37, off, s[40:43], 0 offset:12 ; 4-byte Folded Reload
	buffer_load_dword v38, off, s[40:43], 0 offset:16 ; 4-byte Folded Reload
	buffer_load_dword v39, off, s[40:43], 0 offset:20 ; 4-byte Folded Reload
	buffer_load_dword v40, off, s[40:43], 0 offset:24 ; 4-byte Folded Reload
	buffer_load_dword v41, off, s[40:43], 0 offset:28 ; 4-byte Folded Reload
	buffer_load_dword v42, off, s[40:43], 0 offset:32 ; 4-byte Folded Reload
	buffer_load_dword v43, off, s[40:43], 0 offset:36 ; 4-byte Folded Reload
	buffer_load_dword v44, off, s[40:43], 0 offset:40 ; 4-byte Folded Reload
	buffer_load_dword v45, off, s[40:43], 0 offset:44 ; 4-byte Folded Reload
	buffer_load_dword v46, off, s[40:43], 0 offset:48 ; 4-byte Folded Reload
	buffer_load_dword v47, off, s[40:43], 0 offset:52 ; 4-byte Folded Reload
	buffer_load_dword v48, off, s[40:43], 0 offset:56 ; 4-byte Folded Reload
	buffer_load_dword v49, off, s[40:43], 0 offset:60 ; 4-byte Folded Reload
	buffer_load_dword v50, off, s[40:43], 0 offset:64 ; 4-byte Folded Reload
	buffer_load_dword v51, off, s[40:43], 0 offset:68 ; 4-byte Folded Reload
	buffer_load_dword v52, off, s[40:43], 0 offset:72 ; 4-byte Folded Reload
	buffer_load_dword v53, off, s[40:43], 0 offset:76 ; 4-byte Folded Reload
	buffer_load_dword v54, off, s[40:43], 0 offset:80 ; 4-byte Folded Reload
	buffer_load_dword v55, off, s[40:43], 0 offset:84 ; 4-byte Folded Reload
	buffer_load_dword v56, off, s[40:43], 0 offset:88 ; 4-byte Folded Reload
	buffer_load_dword v57, off, s[40:43], 0 offset:92 ; 4-byte Folded Reload
	buffer_load_dword v58, off, s[40:43], 0 offset:96 ; 4-byte Folded Reload
	buffer_load_dword v59, off, s[40:43], 0 offset:100 ; 4-byte Folded Reload
	buffer_load_dword v60, off, s[40:43], 0 offset:104 ; 4-byte Folded Reload
	buffer_load_dword v61, off, s[40:43], 0 offset:108 ; 4-byte Folded Reload
	buffer_load_dword v62, off, s[40:43], 0 offset:112 ; 4-byte Folded Reload
	buffer_load_dword v63, off, s[40:43], 0 offset:116 ; 4-byte Folded Reload
	buffer_load_dword v64, off, s[40:43], 0 offset:120 ; 4-byte Folded Reload
	buffer_load_dword v65, off, s[40:43], 0 offset:124 ; 4-byte Folded Reload
	s_waitcnt vmcnt(26)
	;;#ASMSTART
	v_pk_mul_f32 v[4:5], v[38:39], v[2:3]
	;;#ASMEND
	;;#ASMSTART
	v_med3_f32 v4, v4, v8, v9
v_med3_f32 v5, v5, v8, v9
v_cvt_pk_fp8_f32 v7, v4, v5
	;;#ASMEND
	;;#ASMSTART
	v_pk_mul_f32 v[4:5], v[72:73], v[2:3]
	;;#ASMEND
	;;#ASMSTART
	v_med3_f32 v4, v4, v8, v9
v_med3_f32 v5, v5, v8, v9
v_cvt_pk_fp8_f32 v11, v4, v5
	;;#ASMEND
	v_perm_b32 v4, v6, v10, s7
	v_and_b32_e32 v5, 0xffffff00, v6
	v_and_b32_sdwa v6, v4, s12 dst_sel:DWORD dst_unused:UNUSED_PAD src0_sel:WORD_1 src1_sel:DWORD
	v_or_b32_sdwa v5, v6, v5 dst_sel:WORD_1 dst_unused:UNUSED_PAD src0_sel:DWORD src1_sel:DWORD
	v_and_or_b32 v4, v4, s14, v5
	v_lshlrev_b32_e32 v5, 16, v11
	v_and_or_b32 v5, v7, s14, v5
	buffer_store_dwordx2 v[4:5], v1, s[8:11], 0 offen
	;;#ASMSTART
	s_nop 0
	;;#ASMEND
	;;#ASMSTART
	v_pk_mul_f32 v[4:5], v[68:69], v[2:3]
	;;#ASMEND
	;;#ASMSTART
	v_med3_f32 v4, v4, v8, v9
v_med3_f32 v5, v5, v8, v9
v_cvt_pk_fp8_f32 v6, v4, v5
	;;#ASMEND
	;;#ASMSTART
	v_pk_mul_f32 v[4:5], v[12:13], v[2:3]
	;;#ASMEND
	;;#ASMSTART
	v_med3_f32 v4, v4, v8, v9
v_med3_f32 v5, v5, v8, v9
v_cvt_pk_fp8_f32 v7, v4, v5
	;; [unrolled: 8-line block ×4, first 2 shown]
	;;#ASMEND
	v_perm_b32 v4, v7, v6, s7
	v_and_b32_e32 v5, 0xffffff00, v7
	v_and_b32_sdwa v6, v4, s12 dst_sel:DWORD dst_unused:UNUSED_PAD src0_sel:WORD_1 src1_sel:DWORD
	v_or_b32_sdwa v5, v6, v5 dst_sel:WORD_1 dst_unused:UNUSED_PAD src0_sel:DWORD src1_sel:DWORD
	v_and_or_b32 v4, v4, s14, v5
	v_lshlrev_b32_e32 v5, 16, v11
	v_and_or_b32 v5, v10, s14, v5
	buffer_store_dwordx2 v[4:5], v1, s[8:11], s0 offen
	;;#ASMSTART
	s_nop 0
	;;#ASMEND
	;;#ASMSTART
	v_pk_mul_f32 v[4:5], v[18:19], v[2:3]
	;;#ASMEND
	;;#ASMSTART
	v_med3_f32 v4, v4, v8, v9
v_med3_f32 v5, v5, v8, v9
v_cvt_pk_fp8_f32 v6, v4, v5
	;;#ASMEND
	;;#ASMSTART
	v_pk_mul_f32 v[4:5], v[20:21], v[2:3]
	;;#ASMEND
	;;#ASMSTART
	v_med3_f32 v4, v4, v8, v9
v_med3_f32 v5, v5, v8, v9
v_cvt_pk_fp8_f32 v7, v4, v5
	;; [unrolled: 8-line block ×4, first 2 shown]
	;;#ASMEND
	v_perm_b32 v4, v7, v6, s7
	v_and_b32_e32 v5, 0xffffff00, v7
	v_and_b32_sdwa v6, v4, s12 dst_sel:DWORD dst_unused:UNUSED_PAD src0_sel:WORD_1 src1_sel:DWORD
	v_or_b32_sdwa v5, v6, v5 dst_sel:WORD_1 dst_unused:UNUSED_PAD src0_sel:DWORD src1_sel:DWORD
	v_and_or_b32 v4, v4, s14, v5
	v_lshlrev_b32_e32 v5, 16, v11
	v_and_or_b32 v5, v10, s14, v5
	s_movk_i32 s0, 0x400
	buffer_store_dwordx2 v[4:5], v1, s[8:11], s0 offen
	;;#ASMSTART
	s_nop 0
	;;#ASMEND
	;;#ASMSTART
	v_pk_mul_f32 v[4:5], v[26:27], v[2:3]
	;;#ASMEND
	;;#ASMSTART
	v_med3_f32 v4, v4, v8, v9
v_med3_f32 v5, v5, v8, v9
v_cvt_pk_fp8_f32 v6, v4, v5
	;;#ASMEND
	;;#ASMSTART
	v_pk_mul_f32 v[4:5], v[28:29], v[2:3]
	;;#ASMEND
	;;#ASMSTART
	v_med3_f32 v4, v4, v8, v9
v_med3_f32 v5, v5, v8, v9
v_cvt_pk_fp8_f32 v7, v4, v5
	;;#ASMEND
	v_perm_b32 v5, v7, v6, s7
	v_and_b32_e32 v4, 0xffffff00, v7
	v_and_b32_sdwa v6, v5, s12 dst_sel:DWORD dst_unused:UNUSED_PAD src0_sel:WORD_1 src1_sel:DWORD
	v_or_b32_sdwa v4, v6, v4 dst_sel:WORD_1 dst_unused:UNUSED_PAD src0_sel:DWORD src1_sel:DWORD
	v_and_or_b32 v4, v5, s14, v4
	;;#ASMSTART
	v_pk_mul_f32 v[6:7], v[32:33], v[2:3]
	;;#ASMEND
	v_mov_b32_e32 v5, v7
	;;#ASMSTART
	v_med3_f32 v6, v6, v8, v9
v_med3_f32 v5, v5, v8, v9
v_cvt_pk_fp8_f32 v7, v6, v5
	;;#ASMEND
	;;#ASMSTART
	v_pk_mul_f32 v[2:3], v[70:71], v[2:3]
	;;#ASMEND
	;;#ASMSTART
	v_med3_f32 v2, v2, v8, v9
v_med3_f32 v3, v3, v8, v9
v_cvt_pk_fp8_f32 v5, v2, v3
	;;#ASMEND
	v_lshlrev_b32_e32 v2, 16, v5
	v_and_or_b32 v5, v7, s14, v2
	s_movk_i32 s0, 0x600
	buffer_store_dwordx2 v[4:5], v1, s[8:11], s0 offen
	;;#ASMSTART
	s_nop 0
	;;#ASMEND
.LBB88_30:
	s_or_b64 exec, exec, s[22:23]
	s_cmp_lt_i32 s16, 1
	s_cbranch_scc1 .LBB88_17
.LBB88_31:
	s_load_dword s0, s[4:5], 0x94
	s_waitcnt lgkmcnt(0)
	s_cmp_lg_u32 s0, 1
	s_cbranch_scc1 .LBB88_17
; %bb.32:
	s_lshl_b32 s0, s16, 1
	s_add_i32 s0, s0, 2
	v_cmp_gt_u32_e32 vcc, s16, v1
	s_and_b32 s22, s0, -4
	v_mov_b32_e32 v34, 0
	s_waitcnt vmcnt(0)
	v_lshlrev_b32_e32 v67, 1, v1
	v_mov_b32_e32 v30, 0
	v_mov_b32_e32 v31, 0
	;; [unrolled: 1-line block ×32, first 2 shown]
	s_barrier
	s_and_saveexec_b64 s[0:1], vcc
	s_cbranch_execz .LBB88_34
; %bb.33:
	s_mul_hi_i32 s5, s18, s6
	s_mul_i32 s4, s18, s6
	s_and_b32 s21, s21, 0xffff
	s_lshl_b64 s[4:5], s[4:5], 1
	s_add_u32 s8, s30, s4
	s_mov_b32 s23, 0x20000
	s_addc_u32 s4, s31, s5
	s_and_b32 s9, s4, 0xffff
	s_mov_b32 s10, s22
	s_mov_b32 s11, s23
	s_movk_i32 s5, 0x800
	s_movk_i32 s4, 0x400
	buffer_load_dwordx4 v[30:33], v67, s[8:11], 0 offen glc slc
	buffer_load_dwordx4 v[22:25], v67, s[8:11], s4 offen glc slc
	s_movk_i32 s7, 0xc00
	buffer_load_dwordx4 v[26:29], v67, s[8:11], s5 offen glc slc
	buffer_load_dwordx4 v[18:21], v67, s[8:11], s7 offen glc slc
	buffer_load_dwordx4 v[14:17], v67, s[20:23], 0 offen
	buffer_load_dwordx4 v[10:13], v67, s[20:23], s4 offen
	;; [unrolled: 1-line block ×4, first 2 shown]
.LBB88_34:
	s_or_b64 exec, exec, s[0:1]
	v_mov_b32_e32 v35, 0
	v_mov_b32_e32 v64, 0
	v_mov_b32_e32 v65, 0
	v_mov_b32_e32 v62, 0
	v_mov_b32_e32 v63, 0
	v_mov_b32_e32 v60, 0
	v_mov_b32_e32 v61, 0
	v_mov_b32_e32 v58, 0
	v_mov_b32_e32 v59, 0
	v_mov_b32_e32 v56, 0
	v_mov_b32_e32 v57, 0
	v_mov_b32_e32 v54, 0
	v_mov_b32_e32 v55, 0
	v_mov_b32_e32 v52, 0
	v_mov_b32_e32 v53, 0
	v_mov_b32_e32 v50, 0
	v_mov_b32_e32 v51, 0
	v_mov_b32_e32 v48, 0
	v_mov_b32_e32 v49, 0
	v_mov_b32_e32 v46, 0
	v_mov_b32_e32 v47, 0
	v_mov_b32_e32 v44, 0
	v_mov_b32_e32 v45, 0
	v_mov_b32_e32 v42, 0
	v_mov_b32_e32 v43, 0
	v_mov_b32_e32 v40, 0
	v_mov_b32_e32 v41, 0
	v_mov_b32_e32 v38, 0
	v_mov_b32_e32 v39, 0
	v_mov_b32_e32 v36, 0
	v_mov_b32_e32 v37, 0
	s_and_saveexec_b64 s[0:1], vcc
	s_cbranch_execz .LBB88_36
; %bb.35:
	s_waitcnt vmcnt(7)
	v_cvt_f32_u32_sdwa v34, v30 dst_sel:DWORD dst_unused:UNUSED_PAD src0_sel:WORD_0
	v_cvt_f32_u32_sdwa v35, v30 dst_sel:DWORD dst_unused:UNUSED_PAD src0_sel:WORD_1
	v_cvt_f32_u32_sdwa v64, v31 dst_sel:DWORD dst_unused:UNUSED_PAD src0_sel:WORD_0
	v_cvt_f32_u32_sdwa v65, v31 dst_sel:DWORD dst_unused:UNUSED_PAD src0_sel:WORD_1
	v_cvt_f32_u32_sdwa v62, v32 dst_sel:DWORD dst_unused:UNUSED_PAD src0_sel:WORD_0
	v_cvt_f32_u32_sdwa v63, v32 dst_sel:DWORD dst_unused:UNUSED_PAD src0_sel:WORD_1
	v_cvt_f32_u32_sdwa v60, v33 dst_sel:DWORD dst_unused:UNUSED_PAD src0_sel:WORD_0
	v_cvt_f32_u32_sdwa v61, v33 dst_sel:DWORD dst_unused:UNUSED_PAD src0_sel:WORD_1
	s_waitcnt vmcnt(6)
	v_cvt_f32_u32_sdwa v58, v22 dst_sel:DWORD dst_unused:UNUSED_PAD src0_sel:WORD_0
	v_cvt_f32_u32_sdwa v59, v22 dst_sel:DWORD dst_unused:UNUSED_PAD src0_sel:WORD_1
	v_cvt_f32_u32_sdwa v56, v23 dst_sel:DWORD dst_unused:UNUSED_PAD src0_sel:WORD_0
	v_cvt_f32_u32_sdwa v57, v23 dst_sel:DWORD dst_unused:UNUSED_PAD src0_sel:WORD_1
	v_cvt_f32_u32_sdwa v54, v24 dst_sel:DWORD dst_unused:UNUSED_PAD src0_sel:WORD_0
	v_cvt_f32_u32_sdwa v55, v24 dst_sel:DWORD dst_unused:UNUSED_PAD src0_sel:WORD_1
	v_cvt_f32_u32_sdwa v52, v25 dst_sel:DWORD dst_unused:UNUSED_PAD src0_sel:WORD_0
	v_cvt_f32_u32_sdwa v53, v25 dst_sel:DWORD dst_unused:UNUSED_PAD src0_sel:WORD_1
	s_waitcnt vmcnt(5)
	v_cvt_f32_u32_sdwa v50, v26 dst_sel:DWORD dst_unused:UNUSED_PAD src0_sel:WORD_0
	v_cvt_f32_u32_sdwa v51, v26 dst_sel:DWORD dst_unused:UNUSED_PAD src0_sel:WORD_1
	v_cvt_f32_u32_sdwa v48, v27 dst_sel:DWORD dst_unused:UNUSED_PAD src0_sel:WORD_0
	v_cvt_f32_u32_sdwa v49, v27 dst_sel:DWORD dst_unused:UNUSED_PAD src0_sel:WORD_1
	v_cvt_f32_u32_sdwa v46, v28 dst_sel:DWORD dst_unused:UNUSED_PAD src0_sel:WORD_0
	v_cvt_f32_u32_sdwa v47, v28 dst_sel:DWORD dst_unused:UNUSED_PAD src0_sel:WORD_1
	v_cvt_f32_u32_sdwa v44, v29 dst_sel:DWORD dst_unused:UNUSED_PAD src0_sel:WORD_0
	v_cvt_f32_u32_sdwa v45, v29 dst_sel:DWORD dst_unused:UNUSED_PAD src0_sel:WORD_1
	s_waitcnt vmcnt(4)
	v_cvt_f32_u32_sdwa v42, v18 dst_sel:DWORD dst_unused:UNUSED_PAD src0_sel:WORD_0
	v_cvt_f32_u32_sdwa v43, v18 dst_sel:DWORD dst_unused:UNUSED_PAD src0_sel:WORD_1
	v_cvt_f32_u32_sdwa v40, v19 dst_sel:DWORD dst_unused:UNUSED_PAD src0_sel:WORD_0
	v_cvt_f32_u32_sdwa v41, v19 dst_sel:DWORD dst_unused:UNUSED_PAD src0_sel:WORD_1
	v_cvt_f32_u32_sdwa v38, v20 dst_sel:DWORD dst_unused:UNUSED_PAD src0_sel:WORD_0
	v_cvt_f32_u32_sdwa v39, v20 dst_sel:DWORD dst_unused:UNUSED_PAD src0_sel:WORD_1
	v_cvt_f32_u32_sdwa v36, v21 dst_sel:DWORD dst_unused:UNUSED_PAD src0_sel:WORD_0
	v_cvt_f32_u32_sdwa v37, v21 dst_sel:DWORD dst_unused:UNUSED_PAD src0_sel:WORD_1
.LBB88_36:
	s_or_b64 exec, exec, s[0:1]
	v_mul_f32_e32 v1, v35, v35
	v_fmac_f32_e32 v1, v34, v34
	v_fmac_f32_e32 v1, v64, v64
	v_fmac_f32_e32 v1, v65, v65
	v_fmac_f32_e32 v1, v62, v62
	v_fmac_f32_e32 v1, v63, v63
	v_fmac_f32_e32 v1, v60, v60
	v_fmac_f32_e32 v1, v61, v61
	v_fmac_f32_e32 v1, v58, v58
	v_fmac_f32_e32 v1, v59, v59
	v_fmac_f32_e32 v1, v56, v56
	v_fmac_f32_e32 v1, v57, v57
	v_fmac_f32_e32 v1, v54, v54
	v_fmac_f32_e32 v1, v55, v55
	v_fmac_f32_e32 v1, v52, v52
	v_fmac_f32_e32 v1, v53, v53
	v_fmac_f32_e32 v1, v50, v50
	v_fmac_f32_e32 v1, v51, v51
	v_fmac_f32_e32 v1, v48, v48
	v_fmac_f32_e32 v1, v49, v49
	v_fmac_f32_e32 v1, v46, v46
	v_fmac_f32_e32 v1, v47, v47
	v_fmac_f32_e32 v1, v44, v44
	v_fmac_f32_e32 v1, v45, v45
	v_fmac_f32_e32 v1, v42, v42
	v_fmac_f32_e32 v1, v43, v43
	v_fmac_f32_e32 v1, v40, v40
	v_fmac_f32_e32 v1, v41, v41
	v_fmac_f32_e32 v1, v38, v38
	v_fmac_f32_e32 v1, v39, v39
	v_fmac_f32_e32 v1, v36, v36
	v_fmac_f32_e32 v1, v37, v37
	s_waitcnt vmcnt(4)
	s_nop 0
	v_mov_b32_dpp v18, v1 quad_perm:[1,0,3,2] row_mask:0xf bank_mask:0xf
	v_add_f32_e32 v1, v1, v18
	s_nop 1
	v_mov_b32_dpp v18, v1 quad_perm:[2,3,0,1] row_mask:0xf bank_mask:0xf
	v_add_f32_e32 v1, v1, v18
	s_nop 1
	v_mov_b32_dpp v18, v1 row_half_mirror row_mask:0xf bank_mask:0xf
	v_add_f32_e32 v1, v1, v18
	s_nop 1
	v_mov_b32_dpp v18, v1 row_mirror row_mask:0xf bank_mask:0xf
	v_add_f32_e32 v1, v1, v18
	s_nop 1
	v_mov_b32_dpp v18, v1 row_bcast:15 row_mask:0xf bank_mask:0xf
	v_add_f32_e32 v1, v1, v18
	s_nop 1
	v_mov_b32_dpp v18, v1 row_bcast:31 row_mask:0xf bank_mask:0xf
	s_and_saveexec_b64 s[0:1], s[2:3]
	s_cbranch_execz .LBB88_38
; %bb.37:
	v_lshrrev_b32_e32 v0, 4, v0
	v_add_f32_e32 v1, v1, v18
	v_and_b32_e32 v0, 60, v0
	ds_write_b32 v0, v1 offset:16
.LBB88_38:
	s_or_b64 exec, exec, s[0:1]
	s_waitcnt lgkmcnt(0)
	s_barrier
	ds_read_b32 v0, v66 offset:16
	s_waitcnt lgkmcnt(0)
	s_nop 0
	v_mov_b32_dpp v1, v0 quad_perm:[1,0,3,2] row_mask:0xf bank_mask:0xf
	v_add_f32_e32 v0, v0, v1
	s_nop 1
	v_mov_b32_dpp v1, v0 quad_perm:[2,3,0,1] row_mask:0xf bank_mask:0xf
	s_and_saveexec_b64 s[0:1], vcc
	s_cbranch_execz .LBB88_17
; %bb.39:
	v_cvt_f32_u32_e32 v18, s16
	v_add_f32_e32 v0, v0, v1
	s_mov_b32 s23, 0x20000
	v_div_scale_f32 v1, s[0:1], v18, v18, v0
	v_rcp_f32_e32 v19, v1
	v_div_scale_f32 v20, vcc, v0, v18, v0
	s_mov_b32 s0, 0x800000
	v_fma_f32 v21, -v1, v19, 1.0
	v_fmac_f32_e32 v19, v21, v19
	v_mul_f32_e32 v21, v20, v19
	v_fma_f32 v22, -v1, v21, v20
	v_fmac_f32_e32 v21, v22, v19
	v_fma_f32 v1, -v1, v21, v20
	v_div_fmas_f32 v1, v1, v19, v21
	v_div_fixup_f32 v0, v1, v18, v0
	v_add_f32_e32 v0, s13, v0
	v_mul_f32_e32 v1, 0x4b800000, v0
	v_cmp_gt_f32_e32 vcc, s0, v0
	v_cndmask_b32_e32 v0, v0, v1, vcc
	v_rsq_f32_e32 v0, v0
	s_mul_hi_i32 s1, s28, s6
	s_mul_i32 s0, s28, s6
	s_lshl_b64 s[0:1], s[0:1], 1
	v_mul_f32_e32 v1, 0x45800000, v0
	v_cndmask_b32_e32 v18, v0, v1, vcc
	v_mov_b32_e32 v19, v18
	;;#ASMSTART
	v_pk_mul_f32 v[20:21], v[34:35], v[18:19]
	;;#ASMEND
	;;#ASMSTART
	v_pk_mul_f32 v[22:23], v[64:65], v[18:19]
	;;#ASMEND
	;; [unrolled: 3-line block ×16, first 2 shown]
	s_waitcnt vmcnt(3)
	v_cvt_f32_u32_sdwa v37, v14 dst_sel:DWORD dst_unused:UNUSED_PAD src0_sel:WORD_1
	v_cvt_f32_u32_sdwa v36, v14 dst_sel:DWORD dst_unused:UNUSED_PAD src0_sel:WORD_0
	v_cvt_f32_u32_sdwa v43, v15 dst_sel:DWORD dst_unused:UNUSED_PAD src0_sel:WORD_1
	v_cvt_f32_u32_sdwa v42, v15 dst_sel:DWORD dst_unused:UNUSED_PAD src0_sel:WORD_0
	;; [unrolled: 2-line block ×4, first 2 shown]
	;;#ASMSTART
	v_pk_mul_f32 v[16:17], v[20:21], v[36:37]
	;;#ASMEND
	;;#ASMSTART
	v_pk_mul_f32 v[20:21], v[22:23], v[42:43]
	;;#ASMEND
	;; [unrolled: 3-line block ×4, first 2 shown]
	s_waitcnt vmcnt(2)
	v_cvt_f32_u32_sdwa v25, v10 dst_sel:DWORD dst_unused:UNUSED_PAD src0_sel:WORD_1
	v_cvt_f32_u32_sdwa v24, v10 dst_sel:DWORD dst_unused:UNUSED_PAD src0_sel:WORD_0
	v_cvt_f32_u32_sdwa v27, v11 dst_sel:DWORD dst_unused:UNUSED_PAD src0_sel:WORD_1
	v_cvt_f32_u32_sdwa v26, v11 dst_sel:DWORD dst_unused:UNUSED_PAD src0_sel:WORD_0
	;; [unrolled: 2-line block ×3, first 2 shown]
	s_add_u32 s20, s34, s0
	v_cvt_f32_u32_sdwa v37, v13 dst_sel:DWORD dst_unused:UNUSED_PAD src0_sel:WORD_1
	v_cvt_f32_u32_sdwa v36, v13 dst_sel:DWORD dst_unused:UNUSED_PAD src0_sel:WORD_0
	;;#ASMSTART
	v_pk_mul_f32 v[12:13], v[28:29], v[24:25]
	;;#ASMEND
	;;#ASMSTART
	v_pk_mul_f32 v[24:25], v[30:31], v[26:27]
	;;#ASMEND
	;; [unrolled: 3-line block ×3, first 2 shown]
	s_waitcnt vmcnt(1)
	v_cvt_f32_u32_sdwa v29, v6 dst_sel:DWORD dst_unused:UNUSED_PAD src0_sel:WORD_1
	v_cvt_f32_u32_sdwa v28, v6 dst_sel:DWORD dst_unused:UNUSED_PAD src0_sel:WORD_0
	v_cvt_f32_u32_sdwa v31, v7 dst_sel:DWORD dst_unused:UNUSED_PAD src0_sel:WORD_1
	v_cvt_f32_u32_sdwa v30, v7 dst_sel:DWORD dst_unused:UNUSED_PAD src0_sel:WORD_0
	;; [unrolled: 2-line block ×4, first 2 shown]
	s_addc_u32 s0, s35, s1
	;;#ASMSTART
	v_pk_mul_f32 v[26:27], v[34:35], v[36:37]
	;;#ASMEND
	;;#ASMSTART
	v_pk_mul_f32 v[8:9], v[50:51], v[28:29]
	;;#ASMEND
	;; [unrolled: 3-line block ×5, first 2 shown]
	s_waitcnt vmcnt(0)
	v_cvt_f32_u32_sdwa v33, v2 dst_sel:DWORD dst_unused:UNUSED_PAD src0_sel:WORD_1
	v_cvt_f32_u32_sdwa v32, v2 dst_sel:DWORD dst_unused:UNUSED_PAD src0_sel:WORD_0
	v_cvt_f32_u32_sdwa v35, v3 dst_sel:DWORD dst_unused:UNUSED_PAD src0_sel:WORD_1
	v_cvt_f32_u32_sdwa v34, v3 dst_sel:DWORD dst_unused:UNUSED_PAD src0_sel:WORD_0
	v_cvt_f32_u32_sdwa v3, v4 dst_sel:DWORD dst_unused:UNUSED_PAD src0_sel:WORD_1
	v_cvt_f32_u32_sdwa v2, v4 dst_sel:DWORD dst_unused:UNUSED_PAD src0_sel:WORD_0
	s_and_b32 s21, s0, 0xffff
	s_mov_b32 s0, 0x7060302
	v_cvt_f32_u32_sdwa v37, v5 dst_sel:DWORD dst_unused:UNUSED_PAD src0_sel:WORD_1
	v_cvt_f32_u32_sdwa v36, v5 dst_sel:DWORD dst_unused:UNUSED_PAD src0_sel:WORD_0
	;;#ASMSTART
	v_pk_mul_f32 v[4:5], v[0:1], v[32:33]
	;;#ASMEND
	;;#ASMSTART
	v_pk_mul_f32 v[32:33], v[40:41], v[34:35]
	;;#ASMEND
	;; [unrolled: 3-line block ×3, first 2 shown]
	v_perm_b32 v0, v17, v16, s0
	v_perm_b32 v1, v21, v20, s0
	;; [unrolled: 1-line block ×4, first 2 shown]
	;;#ASMSTART
	v_pk_mul_f32 v[18:19], v[18:19], v[36:37]
	;;#ASMEND
	buffer_store_dwordx4 v[0:3], v67, s[20:23], 0 offen
	s_movk_i32 s1, 0x400
	v_perm_b32 v0, v13, v12, s0
	v_perm_b32 v1, v25, v24, s0
	;; [unrolled: 1-line block ×4, first 2 shown]
	;;#ASMSTART
	s_nop 0
	;;#ASMEND
	buffer_store_dwordx4 v[0:3], v67, s[20:23], s1 offen
	v_perm_b32 v0, v9, v8, s0
	v_perm_b32 v1, v29, v28, s0
	;; [unrolled: 1-line block ×4, first 2 shown]
	s_movk_i32 s1, 0x800
	;;#ASMSTART
	s_nop 0
	;;#ASMEND
	buffer_store_dwordx4 v[0:3], v67, s[20:23], s1 offen
	v_perm_b32 v0, v5, v4, s0
	v_perm_b32 v1, v33, v32, s0
	;; [unrolled: 1-line block ×4, first 2 shown]
	s_movk_i32 s0, 0xc00
	;;#ASMSTART
	s_nop 0
	;;#ASMEND
	buffer_store_dwordx4 v[0:3], v67, s[20:23], s0 offen
	;;#ASMSTART
	s_nop 0
	;;#ASMEND
	s_endpgm
	.section	.rodata,"a",@progbits
	.p2align	6, 0x0
	.amdhsa_kernel _ZN5aiter35fused_qk_rmsnorm_group_quant_kernelItDB8_Li256ELi32ELi1ELb1ELb0ELb0ELb0ELb1ELb1EEEvPT0_PvPT_S6_S6_PKS5_S8_S8_S8_S8_ffiiiiiiiiiiiii
		.amdhsa_group_segment_fixed_size 48
		.amdhsa_private_segment_fixed_size 1796
		.amdhsa_kernarg_size 400
		.amdhsa_user_sgpr_count 6
		.amdhsa_user_sgpr_private_segment_buffer 1
		.amdhsa_user_sgpr_dispatch_ptr 0
		.amdhsa_user_sgpr_queue_ptr 0
		.amdhsa_user_sgpr_kernarg_segment_ptr 1
		.amdhsa_user_sgpr_dispatch_id 0
		.amdhsa_user_sgpr_flat_scratch_init 0
		.amdhsa_user_sgpr_kernarg_preload_length 0
		.amdhsa_user_sgpr_kernarg_preload_offset 0
		.amdhsa_user_sgpr_private_segment_size 0
		.amdhsa_uses_dynamic_stack 0
		.amdhsa_system_sgpr_private_segment_wavefront_offset 1
		.amdhsa_system_sgpr_workgroup_id_x 1
		.amdhsa_system_sgpr_workgroup_id_y 1
		.amdhsa_system_sgpr_workgroup_id_z 0
		.amdhsa_system_sgpr_workgroup_info 0
		.amdhsa_system_vgpr_workitem_id 0
		.amdhsa_next_free_vgpr 128
		.amdhsa_next_free_sgpr 44
		.amdhsa_accum_offset 128
		.amdhsa_reserve_vcc 1
		.amdhsa_reserve_flat_scratch 0
		.amdhsa_float_round_mode_32 0
		.amdhsa_float_round_mode_16_64 0
		.amdhsa_float_denorm_mode_32 3
		.amdhsa_float_denorm_mode_16_64 3
		.amdhsa_dx10_clamp 1
		.amdhsa_ieee_mode 1
		.amdhsa_fp16_overflow 0
		.amdhsa_tg_split 0
		.amdhsa_exception_fp_ieee_invalid_op 0
		.amdhsa_exception_fp_denorm_src 0
		.amdhsa_exception_fp_ieee_div_zero 0
		.amdhsa_exception_fp_ieee_overflow 0
		.amdhsa_exception_fp_ieee_underflow 0
		.amdhsa_exception_fp_ieee_inexact 0
		.amdhsa_exception_int_div_zero 0
	.end_amdhsa_kernel
	.section	.text._ZN5aiter35fused_qk_rmsnorm_group_quant_kernelItDB8_Li256ELi32ELi1ELb1ELb0ELb0ELb0ELb1ELb1EEEvPT0_PvPT_S6_S6_PKS5_S8_S8_S8_S8_ffiiiiiiiiiiiii,"axG",@progbits,_ZN5aiter35fused_qk_rmsnorm_group_quant_kernelItDB8_Li256ELi32ELi1ELb1ELb0ELb0ELb0ELb1ELb1EEEvPT0_PvPT_S6_S6_PKS5_S8_S8_S8_S8_ffiiiiiiiiiiiii,comdat
.Lfunc_end88:
	.size	_ZN5aiter35fused_qk_rmsnorm_group_quant_kernelItDB8_Li256ELi32ELi1ELb1ELb0ELb0ELb0ELb1ELb1EEEvPT0_PvPT_S6_S6_PKS5_S8_S8_S8_S8_ffiiiiiiiiiiiii, .Lfunc_end88-_ZN5aiter35fused_qk_rmsnorm_group_quant_kernelItDB8_Li256ELi32ELi1ELb1ELb0ELb0ELb0ELb1ELb1EEEvPT0_PvPT_S6_S6_PKS5_S8_S8_S8_S8_ffiiiiiiiiiiiii
                                        ; -- End function
	.section	.AMDGPU.csdata,"",@progbits
; Kernel info:
; codeLenInByte = 27988
; NumSgprs: 48
; NumVgprs: 128
; NumAgprs: 0
; TotalNumVgprs: 128
; ScratchSize: 1796
; MemoryBound: 0
; FloatMode: 240
; IeeeMode: 1
; LDSByteSize: 48 bytes/workgroup (compile time only)
; SGPRBlocks: 5
; VGPRBlocks: 15
; NumSGPRsForWavesPerEU: 48
; NumVGPRsForWavesPerEU: 128
; AccumOffset: 128
; Occupancy: 4
; WaveLimiterHint : 0
; COMPUTE_PGM_RSRC2:SCRATCH_EN: 1
; COMPUTE_PGM_RSRC2:USER_SGPR: 6
; COMPUTE_PGM_RSRC2:TRAP_HANDLER: 0
; COMPUTE_PGM_RSRC2:TGID_X_EN: 1
; COMPUTE_PGM_RSRC2:TGID_Y_EN: 1
; COMPUTE_PGM_RSRC2:TGID_Z_EN: 0
; COMPUTE_PGM_RSRC2:TIDIG_COMP_CNT: 0
; COMPUTE_PGM_RSRC3_GFX90A:ACCUM_OFFSET: 31
; COMPUTE_PGM_RSRC3_GFX90A:TG_SPLIT: 0
	.section	.text._ZN5aiter35fused_qk_rmsnorm_group_quant_kernelIDF16_DB8_Li256ELi32ELi1ELb0ELb1ELb1ELb0ELb1ELb1EEEvPT0_PvPT_S6_S6_PKS5_S8_S8_S8_S8_ffiiiiiiiiiiiii,"axG",@progbits,_ZN5aiter35fused_qk_rmsnorm_group_quant_kernelIDF16_DB8_Li256ELi32ELi1ELb0ELb1ELb1ELb0ELb1ELb1EEEvPT0_PvPT_S6_S6_PKS5_S8_S8_S8_S8_ffiiiiiiiiiiiii,comdat
	.protected	_ZN5aiter35fused_qk_rmsnorm_group_quant_kernelIDF16_DB8_Li256ELi32ELi1ELb0ELb1ELb1ELb0ELb1ELb1EEEvPT0_PvPT_S6_S6_PKS5_S8_S8_S8_S8_ffiiiiiiiiiiiii ; -- Begin function _ZN5aiter35fused_qk_rmsnorm_group_quant_kernelIDF16_DB8_Li256ELi32ELi1ELb0ELb1ELb1ELb0ELb1ELb1EEEvPT0_PvPT_S6_S6_PKS5_S8_S8_S8_S8_ffiiiiiiiiiiiii
	.globl	_ZN5aiter35fused_qk_rmsnorm_group_quant_kernelIDF16_DB8_Li256ELi32ELi1ELb0ELb1ELb1ELb0ELb1ELb1EEEvPT0_PvPT_S6_S6_PKS5_S8_S8_S8_S8_ffiiiiiiiiiiiii
	.p2align	8
	.type	_ZN5aiter35fused_qk_rmsnorm_group_quant_kernelIDF16_DB8_Li256ELi32ELi1ELb0ELb1ELb1ELb0ELb1ELb1EEEvPT0_PvPT_S6_S6_PKS5_S8_S8_S8_S8_ffiiiiiiiiiiiii,@function
_ZN5aiter35fused_qk_rmsnorm_group_quant_kernelIDF16_DB8_Li256ELi32ELi1ELb0ELb1ELb1ELb0ELb1ELb1EEEvPT0_PvPT_S6_S6_PKS5_S8_S8_S8_S8_ffiiiiiiiiiiiii: ; @_ZN5aiter35fused_qk_rmsnorm_group_quant_kernelIDF16_DB8_Li256ELi32ELi1ELb0ELb1ELb1ELb0ELb1ELb1EEEvPT0_PvPT_S6_S6_PKS5_S8_S8_S8_S8_ffiiiiiiiiiiiii
; %bb.0:
	s_load_dwordx4 s[12:15], s[4:5], 0x50
	s_waitcnt lgkmcnt(0)
	s_cmp_ge_i32 s6, s14
	s_cbranch_scc1 .LBB89_12
; %bb.1:
	s_load_dwordx2 s[8:9], s[4:5], 0x48
	s_load_dwordx2 s[26:27], s[4:5], 0x30
	s_load_dwordx4 s[16:19], s[4:5], 0x60
	s_cmp_lg_u32 s7, 0
	s_cselect_b64 s[10:11], -1, 0
	s_cmp_eq_u32 s7, 0
	s_cselect_b64 vcc, -1, 0
	s_and_b64 s[0:1], vcc, exec
	s_waitcnt lgkmcnt(0)
	s_cselect_b32 s7, s15, s16
	s_add_i32 s0, s7, 1
	s_lshr_b32 s1, s0, 31
	s_add_i32 s0, s0, s1
	s_lshl_b32 s0, s0, 1
	v_lshlrev_b32_e32 v2, 5, v0
	s_and_b32 s22, s0, -4
	v_lshlrev_b32_e32 v1, 3, v0
	v_and_b32_e32 v2, 0x7800, v2
	s_movk_i32 s0, 0x1f8
	v_and_or_b32 v1, v1, s0, v2
	v_cmp_gt_i32_e64 s[2:3], s7, v1
	v_mov_b32_e32 v34, 0
	v_mov_b32_e32 v14, 0
	;; [unrolled: 1-line block ×33, first 2 shown]
	s_and_saveexec_b64 s[0:1], s[2:3]
	s_cbranch_execz .LBB89_3
; %bb.2:
	s_load_dwordx2 s[20:21], s[4:5], 0x28
	s_load_dwordx2 s[24:25], s[4:5], 0x40
	s_and_b64 s[28:29], vcc, exec
	s_cselect_b32 s14, s17, s18
	s_mov_b32 s23, 0x20000
	s_waitcnt lgkmcnt(0)
	s_cselect_b32 s17, s21, s27
	s_cselect_b32 s19, s20, s26
	s_mul_hi_i32 s21, s14, s6
	s_mul_i32 s20, s14, s6
	s_lshl_b64 s[20:21], s[20:21], 1
	s_add_u32 s28, s19, s20
	s_addc_u32 s14, s17, s21
	s_and_b64 s[20:21], vcc, exec
	s_cselect_b32 s17, s25, s9
	s_cselect_b32 s20, s24, s8
	s_and_b32 s21, s17, 0xffff
	s_and_b32 s29, s14, 0xffff
	s_mov_b32 s30, s22
	s_mov_b32 s31, s23
	v_lshlrev_b32_e32 v35, 1, v1
	s_movk_i32 s17, 0x800
	s_movk_i32 s14, 0x400
	buffer_load_dwordx4 v[30:33], v35, s[28:31], 0 offen glc slc
	buffer_load_dwordx4 v[22:25], v35, s[28:31], s14 offen glc slc
	s_movk_i32 s19, 0xc00
	buffer_load_dwordx4 v[26:29], v35, s[28:31], s17 offen glc slc
	buffer_load_dwordx4 v[18:21], v35, s[28:31], s19 offen glc slc
	buffer_load_dwordx4 v[14:17], v35, s[20:23], 0 offen
	buffer_load_dwordx4 v[10:13], v35, s[20:23], s14 offen
	;; [unrolled: 1-line block ×4, first 2 shown]
.LBB89_3:
	s_or_b64 exec, exec, s[0:1]
	v_mov_b32_e32 v35, 0
	v_mov_b32_e32 v64, 0
	;; [unrolled: 1-line block ×31, first 2 shown]
	s_and_saveexec_b64 s[0:1], s[2:3]
	s_cbranch_execz .LBB89_5
; %bb.4:
	s_waitcnt vmcnt(7)
	v_cvt_f32_f16_sdwa v35, v30 dst_sel:DWORD dst_unused:UNUSED_PAD src0_sel:WORD_1
	v_cvt_f32_f16_e32 v34, v30
	v_cvt_f32_f16_sdwa v65, v31 dst_sel:DWORD dst_unused:UNUSED_PAD src0_sel:WORD_1
	v_cvt_f32_f16_e32 v64, v31
	v_cvt_f32_f16_sdwa v61, v32 dst_sel:DWORD dst_unused:UNUSED_PAD src0_sel:WORD_1
	v_cvt_f32_f16_e32 v60, v32
	v_cvt_f32_f16_sdwa v63, v33 dst_sel:DWORD dst_unused:UNUSED_PAD src0_sel:WORD_1
	v_cvt_f32_f16_e32 v62, v33
	s_waitcnt vmcnt(6)
	v_cvt_f32_f16_sdwa v55, v22 dst_sel:DWORD dst_unused:UNUSED_PAD src0_sel:WORD_1
	v_cvt_f32_f16_e32 v54, v22
	v_cvt_f32_f16_sdwa v59, v23 dst_sel:DWORD dst_unused:UNUSED_PAD src0_sel:WORD_1
	v_cvt_f32_f16_e32 v58, v23
	v_cvt_f32_f16_sdwa v53, v24 dst_sel:DWORD dst_unused:UNUSED_PAD src0_sel:WORD_1
	v_cvt_f32_f16_e32 v52, v24
	v_cvt_f32_f16_sdwa v57, v25 dst_sel:DWORD dst_unused:UNUSED_PAD src0_sel:WORD_1
	v_cvt_f32_f16_e32 v56, v25
	;; [unrolled: 9-line block ×4, first 2 shown]
.LBB89_5:
	s_or_b64 exec, exec, s[0:1]
	s_waitcnt vmcnt(4)
	v_mul_f32_e32 v18, v35, v35
	v_fmac_f32_e32 v18, v34, v34
	v_fmac_f32_e32 v18, v64, v64
	;; [unrolled: 1-line block ×31, first 2 shown]
	v_and_b32_e32 v20, 63, v0
	v_cmp_eq_u32_e64 s[0:1], 63, v20
	v_mov_b32_dpp v19, v18 quad_perm:[1,0,3,2] row_mask:0xf bank_mask:0xf
	v_add_f32_e32 v18, v18, v19
	s_nop 1
	v_mov_b32_dpp v19, v18 quad_perm:[2,3,0,1] row_mask:0xf bank_mask:0xf
	v_add_f32_e32 v18, v18, v19
	s_nop 1
	v_mov_b32_dpp v19, v18 row_half_mirror row_mask:0xf bank_mask:0xf
	v_add_f32_e32 v18, v18, v19
	s_nop 1
	v_mov_b32_dpp v19, v18 row_mirror row_mask:0xf bank_mask:0xf
	v_add_f32_e32 v18, v18, v19
	s_nop 1
	v_mov_b32_dpp v19, v18 row_bcast:15 row_mask:0xf bank_mask:0xf
	v_add_f32_e32 v18, v18, v19
	s_nop 1
	v_mov_b32_dpp v19, v18 row_bcast:31 row_mask:0xf bank_mask:0xf
	s_and_saveexec_b64 s[20:21], s[0:1]
	s_cbranch_execz .LBB89_7
; %bb.6:
	v_add_f32_e32 v18, v18, v19
	v_lshrrev_b32_e32 v19, 4, v0
	v_and_b32_e32 v19, 60, v19
	ds_write_b32 v19, v18 offset:32
.LBB89_7:
	s_or_b64 exec, exec, s[20:21]
	v_and_b32_e32 v18, 3, v0
	v_lshlrev_b32_e32 v66, 2, v18
	s_waitcnt lgkmcnt(0)
	s_barrier
	ds_read_b32 v18, v66 offset:32
	s_load_dwordx2 s[24:25], s[4:5], 0x18
	s_waitcnt lgkmcnt(0)
	v_mov_b32_dpp v19, v18 quad_perm:[1,0,3,2] row_mask:0xf bank_mask:0xf
	v_add_f32_e32 v18, v18, v19
	s_nop 1
	v_mov_b32_dpp v19, v18 quad_perm:[2,3,0,1] row_mask:0xf bank_mask:0xf
	s_and_saveexec_b64 s[20:21], s[2:3]
	s_cbranch_execz .LBB89_9
; %bb.8:
	v_cvt_f32_u32_e32 v20, s7
	v_add_f32_e32 v18, v18, v19
	v_mov_b32_e32 v22, s13
	v_mov_b32_e32 v23, s12
	v_div_scale_f32 v19, s[28:29], v20, v20, v18
	v_rcp_f32_e32 v21, v19
	v_cndmask_b32_e32 v22, v22, v23, vcc
	s_mov_b32 s7, 0x800000
	v_fma_f32 v23, -v19, v21, 1.0
	v_fmac_f32_e32 v21, v23, v21
	v_div_scale_f32 v23, vcc, v18, v20, v18
	v_mul_f32_e32 v24, v23, v21
	v_fma_f32 v25, -v19, v24, v23
	v_fmac_f32_e32 v24, v25, v21
	v_fma_f32 v19, -v19, v24, v23
	v_div_fmas_f32 v19, v19, v21, v24
	v_div_fixup_f32 v18, v19, v20, v18
	v_add_f32_e32 v18, v22, v18
	v_mul_f32_e32 v19, 0x4b800000, v18
	v_cmp_gt_f32_e32 vcc, s7, v18
	v_cndmask_b32_e32 v18, v18, v19, vcc
	v_rsq_f32_e32 v18, v18
	v_mul_f32_e32 v19, 0x45800000, v18
	v_cndmask_b32_e32 v22, v18, v19, vcc
	v_mov_b32_e32 v23, v22
	;;#ASMSTART
	v_pk_mul_f32 v[24:25], v[34:35], v[22:23]
	;;#ASMEND
	s_waitcnt vmcnt(3)
	v_cvt_f32_f16_sdwa v35, v14 dst_sel:DWORD dst_unused:UNUSED_PAD src0_sel:WORD_1
	v_cvt_f32_f16_e32 v34, v14
	;;#ASMSTART
	v_pk_mul_f32 v[26:27], v[64:65], v[22:23]
	;;#ASMEND
	;;#ASMSTART
	v_pk_mul_f32 v[28:29], v[60:61], v[22:23]
	;;#ASMEND
	;; [unrolled: 3-line block ×14, first 2 shown]
	v_cvt_f32_f16_sdwa v39, v15 dst_sel:DWORD dst_unused:UNUSED_PAD src0_sel:WORD_1
	v_cvt_f32_f16_e32 v38, v15
	;;#ASMSTART
	v_pk_mul_f32 v[14:15], v[36:37], v[22:23]
	;;#ASMEND
	v_pk_add_f32 v[22:23], v[34:35], 1.0 op_sel_hi:[1,0]
	;;#ASMSTART
	v_pk_mul_f32 v[34:35], v[24:25], v[22:23]
	;;#ASMEND
	v_cvt_f32_f16_sdwa v25, v16 dst_sel:DWORD dst_unused:UNUSED_PAD src0_sel:WORD_1
	v_cvt_f32_f16_e32 v24, v16
	v_cvt_f32_f16_sdwa v37, v17 dst_sel:DWORD dst_unused:UNUSED_PAD src0_sel:WORD_1
	v_cvt_f32_f16_e32 v36, v17
	v_pk_add_f32 v[22:23], v[38:39], 1.0 op_sel_hi:[1,0]
	;;#ASMSTART
	v_pk_mul_f32 v[64:65], v[26:27], v[22:23]
	;;#ASMEND
	s_waitcnt vmcnt(2)
	v_cvt_f32_f16_sdwa v23, v10 dst_sel:DWORD dst_unused:UNUSED_PAD src0_sel:WORD_1
	v_cvt_f32_f16_e32 v22, v10
	v_pk_add_f32 v[16:17], v[24:25], 1.0 op_sel_hi:[1,0]
	;;#ASMSTART
	v_pk_mul_f32 v[60:61], v[28:29], v[16:17]
	;;#ASMEND
	v_pk_add_f32 v[16:17], v[36:37], 1.0 op_sel_hi:[1,0]
	v_cvt_f32_f16_sdwa v25, v11 dst_sel:DWORD dst_unused:UNUSED_PAD src0_sel:WORD_1
	v_cvt_f32_f16_e32 v24, v11
	;;#ASMSTART
	v_pk_mul_f32 v[62:63], v[30:31], v[16:17]
	;;#ASMEND
	v_cvt_f32_f16_sdwa v17, v12 dst_sel:DWORD dst_unused:UNUSED_PAD src0_sel:WORD_1
	v_cvt_f32_f16_e32 v16, v12
	v_pk_add_f32 v[10:11], v[22:23], 1.0 op_sel_hi:[1,0]
	v_cvt_f32_f16_sdwa v23, v13 dst_sel:DWORD dst_unused:UNUSED_PAD src0_sel:WORD_1
	v_cvt_f32_f16_e32 v22, v13
	;;#ASMSTART
	v_pk_mul_f32 v[54:55], v[32:33], v[10:11]
	;;#ASMEND
	v_pk_add_f32 v[10:11], v[24:25], 1.0 op_sel_hi:[1,0]
	s_waitcnt vmcnt(1)
	v_cvt_f32_f16_sdwa v13, v6 dst_sel:DWORD dst_unused:UNUSED_PAD src0_sel:WORD_1
	v_cvt_f32_f16_e32 v12, v6
	;;#ASMSTART
	v_pk_mul_f32 v[58:59], v[58:59], v[10:11]
	;;#ASMEND
	v_pk_add_f32 v[10:11], v[16:17], 1.0 op_sel_hi:[1,0]
	;;#ASMSTART
	v_pk_mul_f32 v[52:53], v[52:53], v[10:11]
	;;#ASMEND
	v_pk_add_f32 v[10:11], v[22:23], 1.0 op_sel_hi:[1,0]
	v_cvt_f32_f16_sdwa v17, v7 dst_sel:DWORD dst_unused:UNUSED_PAD src0_sel:WORD_1
	v_cvt_f32_f16_e32 v16, v7
	;;#ASMSTART
	v_pk_mul_f32 v[56:57], v[56:57], v[10:11]
	;;#ASMEND
	v_cvt_f32_f16_sdwa v11, v8 dst_sel:DWORD dst_unused:UNUSED_PAD src0_sel:WORD_1
	v_cvt_f32_f16_e32 v10, v8
	v_pk_add_f32 v[6:7], v[12:13], 1.0 op_sel_hi:[1,0]
	v_cvt_f32_f16_sdwa v13, v9 dst_sel:DWORD dst_unused:UNUSED_PAD src0_sel:WORD_1
	v_cvt_f32_f16_e32 v12, v9
	;;#ASMSTART
	v_pk_mul_f32 v[46:47], v[46:47], v[6:7]
	;;#ASMEND
	v_pk_add_f32 v[6:7], v[16:17], 1.0 op_sel_hi:[1,0]
	s_waitcnt vmcnt(0)
	v_cvt_f32_f16_sdwa v9, v2 dst_sel:DWORD dst_unused:UNUSED_PAD src0_sel:WORD_1
	v_cvt_f32_f16_e32 v8, v2
	;;#ASMSTART
	v_pk_mul_f32 v[50:51], v[50:51], v[6:7]
	;;#ASMEND
	v_pk_add_f32 v[6:7], v[10:11], 1.0 op_sel_hi:[1,0]
	;;#ASMSTART
	v_pk_mul_f32 v[44:45], v[44:45], v[6:7]
	;;#ASMEND
	v_pk_add_f32 v[6:7], v[12:13], 1.0 op_sel_hi:[1,0]
	v_cvt_f32_f16_sdwa v11, v3 dst_sel:DWORD dst_unused:UNUSED_PAD src0_sel:WORD_1
	v_cvt_f32_f16_e32 v10, v3
	;;#ASMSTART
	v_pk_mul_f32 v[48:49], v[48:49], v[6:7]
	;;#ASMEND
	v_cvt_f32_f16_sdwa v7, v4 dst_sel:DWORD dst_unused:UNUSED_PAD src0_sel:WORD_1
	v_cvt_f32_f16_e32 v6, v4
	v_pk_add_f32 v[2:3], v[8:9], 1.0 op_sel_hi:[1,0]
	v_cvt_f32_f16_sdwa v9, v5 dst_sel:DWORD dst_unused:UNUSED_PAD src0_sel:WORD_1
	v_cvt_f32_f16_e32 v8, v5
	;;#ASMSTART
	v_pk_mul_f32 v[40:41], v[40:41], v[2:3]
	;;#ASMEND
	v_pk_add_f32 v[2:3], v[10:11], 1.0 op_sel_hi:[1,0]
	;;#ASMSTART
	v_pk_mul_f32 v[42:43], v[18:19], v[2:3]
	;;#ASMEND
	v_pk_add_f32 v[2:3], v[6:7], 1.0 op_sel_hi:[1,0]
	;; [unrolled: 4-line block ×3, first 2 shown]
	;;#ASMSTART
	v_pk_mul_f32 v[36:37], v[14:15], v[2:3]
	;;#ASMEND
.LBB89_9:
	s_or_b64 exec, exec, s[20:21]
	s_load_dwordx2 s[28:29], s[4:5], 0x7c
	s_mov_b64 s[20:21], -1
	s_and_b64 vcc, exec, s[10:11]
	s_cbranch_vccnz .LBB89_13
; %bb.10:
	s_andn2_b64 vcc, exec, s[20:21]
	s_cbranch_vccz .LBB89_16
.LBB89_11:
	s_cmp_lt_i32 s16, 1
	s_cbranch_scc0 .LBB89_27
.LBB89_12:
	s_endpgm
.LBB89_13:
	s_and_saveexec_b64 s[10:11], s[2:3]
	s_cbranch_execz .LBB89_15
; %bb.14:
	s_waitcnt lgkmcnt(0)
	s_mul_hi_i32 s21, s29, s6
	s_mul_i32 s20, s29, s6
	s_waitcnt vmcnt(0)
	v_cvt_f16_f32_e32 v2, v34
	v_cvt_f16_f32_e32 v3, v64
	;; [unrolled: 1-line block ×8, first 2 shown]
	s_lshl_b64 s[20:21], s[20:21], 1
	s_add_u32 s20, s24, s20
	s_addc_u32 s7, s25, s21
	s_and_b32 s21, s7, 0xffff
	s_mov_b32 s23, 0x20000
	v_pack_b32_f16 v5, v5, v6
	v_pack_b32_f16 v4, v4, v7
	;; [unrolled: 1-line block ×4, first 2 shown]
	v_lshlrev_b32_e32 v6, 1, v1
	buffer_store_dwordx4 v[2:5], v6, s[20:23], 0 offen
	v_cvt_f16_f32_e32 v7, v57
	v_cvt_f16_f32_e32 v2, v54
	v_cvt_f16_f32_e32 v3, v58
	v_cvt_f16_f32_e32 v4, v52
	v_cvt_f16_f32_e32 v5, v56
	v_cvt_f16_f32_e32 v8, v53
	v_cvt_f16_f32_e32 v9, v59
	v_cvt_f16_f32_e32 v10, v55
	v_pack_b32_f16 v5, v5, v7
	v_pack_b32_f16 v4, v4, v8
	v_pack_b32_f16 v3, v3, v9
	v_pack_b32_f16 v2, v2, v10
	s_movk_i32 s7, 0x400
	;;#ASMSTART
	s_nop 0
	;;#ASMEND
	buffer_store_dwordx4 v[2:5], v6, s[20:23], s7 offen
	v_cvt_f16_f32_e32 v2, v46
	v_cvt_f16_f32_e32 v3, v50
	v_cvt_f16_f32_e32 v4, v44
	v_cvt_f16_f32_e32 v5, v48
	v_cvt_f16_f32_e32 v7, v49
	v_cvt_f16_f32_e32 v8, v45
	v_cvt_f16_f32_e32 v9, v51
	v_cvt_f16_f32_e32 v10, v47
	v_pack_b32_f16 v5, v5, v7
	v_pack_b32_f16 v4, v4, v8
	v_pack_b32_f16 v3, v3, v9
	v_pack_b32_f16 v2, v2, v10
	s_movk_i32 s7, 0x800
	;;#ASMSTART
	s_nop 0
	;;#ASMEND
	;; [unrolled: 17-line block ×3, first 2 shown]
	buffer_store_dwordx4 v[2:5], v6, s[20:23], s7 offen
	;;#ASMSTART
	s_nop 0
	;;#ASMEND
.LBB89_15:
	s_or_b64 exec, exec, s[10:11]
	s_cbranch_execnz .LBB89_11
.LBB89_16:
	s_waitcnt vmcnt(0)
	v_mov_b32_e32 v2, 0
	s_and_saveexec_b64 s[10:11], s[2:3]
	s_cbranch_execz .LBB89_18
; %bb.17:
	s_load_dwordx2 s[20:21], s[4:5], 0x10
	s_waitcnt lgkmcnt(0)
	s_mul_hi_i32 s31, s28, s6
	s_mul_i32 s30, s28, s6
	v_cvt_f16_f32_e32 v2, v34
	v_cvt_f16_f32_e32 v3, v64
	;; [unrolled: 1-line block ×8, first 2 shown]
	s_lshl_b64 s[30:31], s[30:31], 1
	s_add_u32 s20, s20, s30
	s_addc_u32 s7, s21, s31
	s_mov_b32 s23, 0x20000
	s_and_b32 s21, s7, 0xffff
	v_pack_b32_f16 v5, v5, v6
	v_pack_b32_f16 v4, v4, v7
	;; [unrolled: 1-line block ×4, first 2 shown]
	v_lshlrev_b32_e32 v6, 1, v1
	buffer_store_dwordx4 v[2:5], v6, s[20:23], 0 offen
	v_cvt_f16_f32_e32 v7, v57
	v_cvt_f16_f32_e32 v2, v54
	v_cvt_f16_f32_e32 v3, v58
	v_cvt_f16_f32_e32 v4, v52
	v_cvt_f16_f32_e32 v5, v56
	v_cvt_f16_f32_e32 v8, v53
	v_cvt_f16_f32_e32 v9, v59
	v_cvt_f16_f32_e32 v10, v55
	v_pack_b32_f16 v5, v5, v7
	v_pack_b32_f16 v4, v4, v8
	v_pack_b32_f16 v3, v3, v9
	v_pack_b32_f16 v2, v2, v10
	s_movk_i32 s7, 0x400
	;;#ASMSTART
	s_nop 0
	;;#ASMEND
	buffer_store_dwordx4 v[2:5], v6, s[20:23], s7 offen
	v_cvt_f16_f32_e32 v2, v46
	v_cvt_f16_f32_e32 v3, v50
	v_cvt_f16_f32_e32 v4, v44
	v_cvt_f16_f32_e32 v5, v48
	v_cvt_f16_f32_e32 v7, v49
	v_cvt_f16_f32_e32 v8, v45
	v_cvt_f16_f32_e32 v9, v51
	v_cvt_f16_f32_e32 v10, v47
	v_pack_b32_f16 v5, v5, v7
	v_pack_b32_f16 v4, v4, v8
	v_pack_b32_f16 v3, v3, v9
	v_pack_b32_f16 v2, v2, v10
	s_movk_i32 s7, 0x800
	;;#ASMSTART
	s_nop 0
	;;#ASMEND
	;; [unrolled: 17-line block ×3, first 2 shown]
	buffer_store_dwordx4 v[2:5], v6, s[20:23], s7 offen
	v_mov_b32_e32 v2, 0x2edbe6ff
	;;#ASMSTART
	s_nop 0
	;;#ASMEND
.LBB89_18:
	s_or_b64 exec, exec, s[10:11]
	s_and_saveexec_b64 s[10:11], s[2:3]
	s_cbranch_execz .LBB89_20
; %bb.19:
	v_and_b32_e32 v3, 0x7fffffff, v34
	v_and_b32_e32 v4, 0x7fffffff, v35
	;;#ASMSTART
	v_max3_f32 v2, v2, v3, v4

	;;#ASMEND
	v_and_b32_e32 v3, 0x7fffffff, v64
	v_and_b32_e32 v4, 0x7fffffff, v65
	;;#ASMSTART
	v_max3_f32 v2, v2, v3, v4

	;;#ASMEND
	;; [unrolled: 6-line block ×16, first 2 shown]
.LBB89_20:
	s_or_b64 exec, exec, s[10:11]
	s_nop 0
	v_mov_b32_dpp v3, v2 quad_perm:[1,0,3,2] row_mask:0xf bank_mask:0xf
	v_cmp_gt_f32_e32 vcc, v2, v3
	v_cndmask_b32_e32 v2, v3, v2, vcc
	s_nop 1
	v_mov_b32_dpp v3, v2 quad_perm:[2,3,0,1] row_mask:0xf bank_mask:0xf
	v_cmp_gt_f32_e32 vcc, v2, v3
	v_cndmask_b32_e32 v2, v3, v2, vcc
	s_nop 1
	v_mov_b32_dpp v3, v2 row_half_mirror row_mask:0xf bank_mask:0xf
	v_cmp_gt_f32_e32 vcc, v2, v3
	v_cndmask_b32_e32 v2, v3, v2, vcc
	s_nop 1
	v_mov_b32_dpp v3, v2 row_mirror row_mask:0xf bank_mask:0xf
	v_cmp_gt_f32_e32 vcc, v2, v3
	v_cndmask_b32_e32 v2, v3, v2, vcc
	s_nop 1
	v_mov_b32_dpp v3, v2 row_bcast:15 row_mask:0xf bank_mask:0xf
	v_cmp_gt_f32_e32 vcc, v2, v3
	v_cndmask_b32_e32 v2, v3, v2, vcc
	s_nop 1
	v_mov_b32_dpp v3, v2 row_bcast:31 row_mask:0xf bank_mask:0xf
	s_and_saveexec_b64 s[10:11], s[0:1]
	s_cbranch_execz .LBB89_22
; %bb.21:
	v_cmp_gt_f32_e32 vcc, v2, v3
	v_cndmask_b32_e32 v2, v3, v2, vcc
	v_lshrrev_b32_e32 v3, 4, v0
	v_and_b32_e32 v3, 60, v3
	ds_write_b32 v3, v2
.LBB89_22:
	s_or_b64 exec, exec, s[10:11]
	s_waitcnt lgkmcnt(0)
	s_barrier
	ds_read_b32 v2, v66
	s_load_dwordx2 s[20:21], s[4:5], 0x70
	s_waitcnt lgkmcnt(0)
	v_mov_b32_dpp v3, v2 quad_perm:[1,0,3,2] row_mask:0xf bank_mask:0xf
	v_cmp_gt_f32_e32 vcc, v2, v3
	v_cndmask_b32_e32 v2, v3, v2, vcc
	s_nop 1
	v_mov_b32_dpp v3, v2 quad_perm:[2,3,0,1] row_mask:0xf bank_mask:0xf
	v_cmp_gt_f32_e32 vcc, v2, v3
	v_cndmask_b32_e32 v2, v3, v2, vcc
	v_mul_f32_e32 v2, 0x3b124925, v2
	v_cmp_eq_u32_e32 vcc, 0, v0
	s_and_saveexec_b64 s[10:11], vcc
	s_cbranch_execz .LBB89_24
; %bb.23:
	s_load_dwordx2 s[22:23], s[4:5], 0x8
	s_mul_hi_i32 s31, s21, s6
	s_mul_i32 s30, s21, s6
	s_lshl_b64 s[30:31], s[30:31], 2
	v_mov_b32_e32 v3, 0
	s_waitcnt lgkmcnt(0)
	s_add_u32 s22, s22, s30
	s_addc_u32 s23, s23, s31
	global_store_dword v3, v2, s[22:23]
.LBB89_24:
	s_or_b64 exec, exec, s[10:11]
	;;#ASMSTART
	v_rcp_f32 v2, v2
	;;#ASMEND
	s_and_saveexec_b64 s[10:11], s[2:3]
	s_cbranch_execz .LBB89_26
; %bb.25:
	s_load_dwordx2 s[22:23], s[4:5], 0x0
	s_mul_i32 s7, s20, s6
	s_mul_hi_i32 s3, s20, s6
	v_mov_b32_e32 v3, v2
	;;#ASMSTART
	v_pk_mul_f32 v[4:5], v[34:35], v[2:3]
	;;#ASMEND
	s_waitcnt lgkmcnt(0)
	s_add_u32 s20, s22, s7
	s_addc_u32 s3, s23, s3
	s_add_i32 s7, s15, 3
	s_ashr_i32 s12, s7, 31
	v_mov_b32_e32 v8, 0xc3e00000
	v_mov_b32_e32 v9, 0x43e00000
	;;#ASMSTART
	v_med3_f32 v4, v4, v8, v9
v_med3_f32 v5, v5, v8, v9
v_cvt_pk_fp8_f32 v6, v4, v5
	;;#ASMEND
	s_lshr_b32 s12, s12, 30
	;;#ASMSTART
	v_pk_mul_f32 v[4:5], v[64:65], v[2:3]
	;;#ASMEND
	s_add_i32 s7, s7, s12
	s_and_b32 s21, s3, 0xffff
	;;#ASMSTART
	v_med3_f32 v4, v4, v8, v9
v_med3_f32 v5, v5, v8, v9
v_cvt_pk_fp8_f32 v7, v4, v5
	;;#ASMEND
	s_mov_b32 s3, 0x5040100
	s_and_b32 s22, s7, -4
	v_perm_b32 v5, v7, v6, s3
	s_movk_i32 s7, 0xff
	v_and_b32_e32 v4, 0xffffff00, v7
	v_and_b32_sdwa v6, v5, s7 dst_sel:DWORD dst_unused:UNUSED_PAD src0_sel:WORD_1 src1_sel:DWORD
	s_mov_b32 s2, 0xffff
	v_or_b32_sdwa v4, v6, v4 dst_sel:WORD_1 dst_unused:UNUSED_PAD src0_sel:DWORD src1_sel:DWORD
	v_and_or_b32 v4, v5, s2, v4
	;;#ASMSTART
	v_pk_mul_f32 v[6:7], v[60:61], v[2:3]
	;;#ASMEND
	v_mov_b32_e32 v5, v7
	;;#ASMSTART
	v_med3_f32 v6, v6, v8, v9
v_med3_f32 v5, v5, v8, v9
v_cvt_pk_fp8_f32 v10, v6, v5
	;;#ASMEND
	;;#ASMSTART
	v_pk_mul_f32 v[6:7], v[62:63], v[2:3]
	;;#ASMEND
	v_mov_b32_e32 v5, v6
	;;#ASMSTART
	v_med3_f32 v5, v5, v8, v9
v_med3_f32 v7, v7, v8, v9
v_cvt_pk_fp8_f32 v6, v5, v7
	;;#ASMEND
	v_lshlrev_b32_e32 v5, 16, v6
	s_mov_b32 s23, 0x20000
	v_and_or_b32 v5, v10, s2, v5
	buffer_store_dwordx2 v[4:5], v1, s[20:23], 0 offen
	;;#ASMSTART
	s_nop 0
	;;#ASMEND
	;;#ASMSTART
	v_pk_mul_f32 v[4:5], v[54:55], v[2:3]
	;;#ASMEND
	;;#ASMSTART
	v_med3_f32 v4, v4, v8, v9
v_med3_f32 v5, v5, v8, v9
v_cvt_pk_fp8_f32 v6, v4, v5
	;;#ASMEND
	;;#ASMSTART
	v_pk_mul_f32 v[4:5], v[58:59], v[2:3]
	;;#ASMEND
	;;#ASMSTART
	v_med3_f32 v4, v4, v8, v9
v_med3_f32 v5, v5, v8, v9
v_cvt_pk_fp8_f32 v7, v4, v5
	;;#ASMEND
	v_perm_b32 v5, v7, v6, s3
	v_and_b32_e32 v4, 0xffffff00, v7
	v_and_b32_sdwa v6, v5, s7 dst_sel:DWORD dst_unused:UNUSED_PAD src0_sel:WORD_1 src1_sel:DWORD
	v_or_b32_sdwa v4, v6, v4 dst_sel:WORD_1 dst_unused:UNUSED_PAD src0_sel:DWORD src1_sel:DWORD
	v_and_or_b32 v4, v5, s2, v4
	;;#ASMSTART
	v_pk_mul_f32 v[6:7], v[52:53], v[2:3]
	;;#ASMEND
	v_mov_b32_e32 v5, v7
	;;#ASMSTART
	v_med3_f32 v6, v6, v8, v9
v_med3_f32 v5, v5, v8, v9
v_cvt_pk_fp8_f32 v10, v6, v5
	;;#ASMEND
	;;#ASMSTART
	v_pk_mul_f32 v[6:7], v[56:57], v[2:3]
	;;#ASMEND
	v_mov_b32_e32 v5, v6
	;;#ASMSTART
	v_med3_f32 v5, v5, v8, v9
v_med3_f32 v7, v7, v8, v9
v_cvt_pk_fp8_f32 v6, v5, v7
	;;#ASMEND
	v_lshlrev_b32_e32 v5, 16, v6
	v_and_or_b32 v5, v10, s2, v5
	s_movk_i32 s12, 0x200
	buffer_store_dwordx2 v[4:5], v1, s[20:23], s12 offen
	;;#ASMSTART
	s_nop 0
	;;#ASMEND
	;;#ASMSTART
	v_pk_mul_f32 v[4:5], v[46:47], v[2:3]
	;;#ASMEND
	;;#ASMSTART
	v_med3_f32 v4, v4, v8, v9
v_med3_f32 v5, v5, v8, v9
v_cvt_pk_fp8_f32 v6, v4, v5
	;;#ASMEND
	;;#ASMSTART
	v_pk_mul_f32 v[4:5], v[50:51], v[2:3]
	;;#ASMEND
	;;#ASMSTART
	v_med3_f32 v4, v4, v8, v9
v_med3_f32 v5, v5, v8, v9
v_cvt_pk_fp8_f32 v7, v4, v5
	;;#ASMEND
	v_perm_b32 v5, v7, v6, s3
	v_and_b32_e32 v4, 0xffffff00, v7
	v_and_b32_sdwa v6, v5, s7 dst_sel:DWORD dst_unused:UNUSED_PAD src0_sel:WORD_1 src1_sel:DWORD
	v_or_b32_sdwa v4, v6, v4 dst_sel:WORD_1 dst_unused:UNUSED_PAD src0_sel:DWORD src1_sel:DWORD
	v_and_or_b32 v4, v5, s2, v4
	;;#ASMSTART
	v_pk_mul_f32 v[6:7], v[44:45], v[2:3]
	;;#ASMEND
	v_mov_b32_e32 v5, v7
	;;#ASMSTART
	v_med3_f32 v6, v6, v8, v9
v_med3_f32 v5, v5, v8, v9
v_cvt_pk_fp8_f32 v10, v6, v5
	;;#ASMEND
	;;#ASMSTART
	v_pk_mul_f32 v[6:7], v[48:49], v[2:3]
	;;#ASMEND
	v_mov_b32_e32 v5, v6
	;;#ASMSTART
	v_med3_f32 v5, v5, v8, v9
v_med3_f32 v7, v7, v8, v9
v_cvt_pk_fp8_f32 v6, v5, v7
	;;#ASMEND
	v_lshlrev_b32_e32 v5, 16, v6
	v_and_or_b32 v5, v10, s2, v5
	s_movk_i32 s12, 0x400
	buffer_store_dwordx2 v[4:5], v1, s[20:23], s12 offen
	;;#ASMSTART
	s_nop 0
	;;#ASMEND
	;;#ASMSTART
	v_pk_mul_f32 v[4:5], v[40:41], v[2:3]
	;;#ASMEND
	;;#ASMSTART
	v_med3_f32 v4, v4, v8, v9
v_med3_f32 v5, v5, v8, v9
v_cvt_pk_fp8_f32 v6, v4, v5
	;;#ASMEND
	;;#ASMSTART
	v_pk_mul_f32 v[4:5], v[42:43], v[2:3]
	;;#ASMEND
	;;#ASMSTART
	v_med3_f32 v4, v4, v8, v9
v_med3_f32 v5, v5, v8, v9
v_cvt_pk_fp8_f32 v7, v4, v5
	;;#ASMEND
	v_perm_b32 v5, v7, v6, s3
	v_and_b32_e32 v4, 0xffffff00, v7
	v_and_b32_sdwa v6, v5, s7 dst_sel:DWORD dst_unused:UNUSED_PAD src0_sel:WORD_1 src1_sel:DWORD
	v_or_b32_sdwa v4, v6, v4 dst_sel:WORD_1 dst_unused:UNUSED_PAD src0_sel:DWORD src1_sel:DWORD
	v_and_or_b32 v4, v5, s2, v4
	;;#ASMSTART
	v_pk_mul_f32 v[6:7], v[38:39], v[2:3]
	;;#ASMEND
	v_mov_b32_e32 v5, v7
	;;#ASMSTART
	v_med3_f32 v6, v6, v8, v9
v_med3_f32 v5, v5, v8, v9
v_cvt_pk_fp8_f32 v7, v6, v5
	;;#ASMEND
	;;#ASMSTART
	v_pk_mul_f32 v[2:3], v[36:37], v[2:3]
	;;#ASMEND
	;;#ASMSTART
	v_med3_f32 v2, v2, v8, v9
v_med3_f32 v3, v3, v8, v9
v_cvt_pk_fp8_f32 v5, v2, v3
	;;#ASMEND
	v_lshlrev_b32_e32 v2, 16, v5
	v_and_or_b32 v5, v7, s2, v2
	s_movk_i32 s2, 0x600
	buffer_store_dwordx2 v[4:5], v1, s[20:23], s2 offen
	;;#ASMSTART
	s_nop 0
	;;#ASMEND
.LBB89_26:
	s_or_b64 exec, exec, s[10:11]
	s_cmp_lt_i32 s16, 1
	s_cbranch_scc1 .LBB89_12
.LBB89_27:
	s_load_dword s2, s[4:5], 0x94
	s_waitcnt lgkmcnt(0)
	s_cmp_lg_u32 s2, 1
	s_cbranch_scc1 .LBB89_12
; %bb.28:
	s_lshl_b32 s2, s16, 1
	s_add_i32 s2, s2, 2
	v_cmp_gt_u32_e32 vcc, s16, v1
	s_and_b32 s10, s2, -4
	v_mov_b32_e32 v34, 0
	v_lshlrev_b32_e32 v67, 1, v1
	v_mov_b32_e32 v30, 0
	v_mov_b32_e32 v31, 0
	;; [unrolled: 1-line block ×16, first 2 shown]
	s_waitcnt vmcnt(3)
	v_mov_b32_e32 v14, 0
	v_mov_b32_e32 v15, 0
	v_mov_b32_e32 v16, 0
	v_mov_b32_e32 v17, 0
	s_waitcnt vmcnt(2)
	v_mov_b32_e32 v10, 0
	v_mov_b32_e32 v11, 0
	v_mov_b32_e32 v12, 0
	v_mov_b32_e32 v13, 0
	;; [unrolled: 5-line block ×4, first 2 shown]
	s_barrier
	s_and_saveexec_b64 s[2:3], vcc
	s_cbranch_execz .LBB89_30
; %bb.29:
	s_mul_hi_i32 s5, s18, s6
	s_mul_i32 s4, s18, s6
	s_and_b32 s9, s9, 0xffff
	s_lshl_b64 s[4:5], s[4:5], 1
	s_add_u32 s20, s26, s4
	s_mov_b32 s11, 0x20000
	s_addc_u32 s4, s27, s5
	s_and_b32 s21, s4, 0xffff
	s_mov_b32 s22, s10
	s_mov_b32 s23, s11
	s_movk_i32 s5, 0x800
	s_movk_i32 s4, 0x400
	buffer_load_dwordx4 v[30:33], v67, s[20:23], 0 offen glc slc
	buffer_load_dwordx4 v[22:25], v67, s[20:23], s4 offen glc slc
	s_movk_i32 s7, 0xc00
	buffer_load_dwordx4 v[26:29], v67, s[20:23], s5 offen glc slc
	buffer_load_dwordx4 v[18:21], v67, s[20:23], s7 offen glc slc
	buffer_load_dwordx4 v[14:17], v67, s[8:11], 0 offen
	buffer_load_dwordx4 v[10:13], v67, s[8:11], s4 offen
	;; [unrolled: 1-line block ×4, first 2 shown]
.LBB89_30:
	s_or_b64 exec, exec, s[2:3]
	v_mov_b32_e32 v35, 0
	v_mov_b32_e32 v64, 0
	v_mov_b32_e32 v65, 0
	v_mov_b32_e32 v62, 0
	v_mov_b32_e32 v63, 0
	v_mov_b32_e32 v60, 0
	v_mov_b32_e32 v61, 0
	v_mov_b32_e32 v58, 0
	v_mov_b32_e32 v59, 0
	v_mov_b32_e32 v56, 0
	v_mov_b32_e32 v57, 0
	v_mov_b32_e32 v54, 0
	v_mov_b32_e32 v55, 0
	v_mov_b32_e32 v52, 0
	v_mov_b32_e32 v53, 0
	v_mov_b32_e32 v50, 0
	v_mov_b32_e32 v51, 0
	v_mov_b32_e32 v48, 0
	v_mov_b32_e32 v49, 0
	v_mov_b32_e32 v46, 0
	v_mov_b32_e32 v47, 0
	v_mov_b32_e32 v44, 0
	v_mov_b32_e32 v45, 0
	v_mov_b32_e32 v42, 0
	v_mov_b32_e32 v43, 0
	v_mov_b32_e32 v40, 0
	v_mov_b32_e32 v41, 0
	v_mov_b32_e32 v38, 0
	v_mov_b32_e32 v39, 0
	v_mov_b32_e32 v36, 0
	v_mov_b32_e32 v37, 0
	s_and_saveexec_b64 s[2:3], vcc
	s_cbranch_execz .LBB89_32
; %bb.31:
	s_waitcnt vmcnt(7)
	v_cvt_f32_f16_sdwa v35, v30 dst_sel:DWORD dst_unused:UNUSED_PAD src0_sel:WORD_1
	v_cvt_f32_f16_e32 v34, v30
	v_cvt_f32_f16_sdwa v65, v31 dst_sel:DWORD dst_unused:UNUSED_PAD src0_sel:WORD_1
	v_cvt_f32_f16_e32 v64, v31
	v_cvt_f32_f16_sdwa v63, v32 dst_sel:DWORD dst_unused:UNUSED_PAD src0_sel:WORD_1
	v_cvt_f32_f16_e32 v62, v32
	v_cvt_f32_f16_sdwa v61, v33 dst_sel:DWORD dst_unused:UNUSED_PAD src0_sel:WORD_1
	v_cvt_f32_f16_e32 v60, v33
	s_waitcnt vmcnt(6)
	v_cvt_f32_f16_sdwa v59, v22 dst_sel:DWORD dst_unused:UNUSED_PAD src0_sel:WORD_1
	v_cvt_f32_f16_e32 v58, v22
	v_cvt_f32_f16_sdwa v57, v23 dst_sel:DWORD dst_unused:UNUSED_PAD src0_sel:WORD_1
	v_cvt_f32_f16_e32 v56, v23
	v_cvt_f32_f16_sdwa v55, v24 dst_sel:DWORD dst_unused:UNUSED_PAD src0_sel:WORD_1
	v_cvt_f32_f16_e32 v54, v24
	v_cvt_f32_f16_sdwa v53, v25 dst_sel:DWORD dst_unused:UNUSED_PAD src0_sel:WORD_1
	v_cvt_f32_f16_e32 v52, v25
	;; [unrolled: 9-line block ×4, first 2 shown]
.LBB89_32:
	s_or_b64 exec, exec, s[2:3]
	v_mul_f32_e32 v1, v35, v35
	v_fmac_f32_e32 v1, v34, v34
	v_fmac_f32_e32 v1, v64, v64
	;; [unrolled: 1-line block ×31, first 2 shown]
	s_waitcnt vmcnt(4)
	s_nop 0
	v_mov_b32_dpp v18, v1 quad_perm:[1,0,3,2] row_mask:0xf bank_mask:0xf
	v_add_f32_e32 v1, v1, v18
	s_nop 1
	v_mov_b32_dpp v18, v1 quad_perm:[2,3,0,1] row_mask:0xf bank_mask:0xf
	v_add_f32_e32 v1, v1, v18
	s_nop 1
	v_mov_b32_dpp v18, v1 row_half_mirror row_mask:0xf bank_mask:0xf
	v_add_f32_e32 v1, v1, v18
	s_nop 1
	v_mov_b32_dpp v18, v1 row_mirror row_mask:0xf bank_mask:0xf
	v_add_f32_e32 v1, v1, v18
	s_nop 1
	v_mov_b32_dpp v18, v1 row_bcast:15 row_mask:0xf bank_mask:0xf
	v_add_f32_e32 v1, v1, v18
	s_nop 1
	v_mov_b32_dpp v18, v1 row_bcast:31 row_mask:0xf bank_mask:0xf
	s_and_saveexec_b64 s[2:3], s[0:1]
	s_cbranch_execz .LBB89_34
; %bb.33:
	v_lshrrev_b32_e32 v0, 4, v0
	v_add_f32_e32 v1, v1, v18
	v_and_b32_e32 v0, 60, v0
	ds_write_b32 v0, v1 offset:16
.LBB89_34:
	s_or_b64 exec, exec, s[2:3]
	s_waitcnt lgkmcnt(0)
	s_barrier
	ds_read_b32 v0, v66 offset:16
	s_waitcnt lgkmcnt(0)
	s_nop 0
	v_mov_b32_dpp v1, v0 quad_perm:[1,0,3,2] row_mask:0xf bank_mask:0xf
	v_add_f32_e32 v0, v0, v1
	s_nop 1
	v_mov_b32_dpp v1, v0 quad_perm:[2,3,0,1] row_mask:0xf bank_mask:0xf
	s_and_saveexec_b64 s[0:1], vcc
	s_cbranch_execz .LBB89_12
; %bb.35:
	v_cvt_f32_u32_e32 v18, s16
	v_add_f32_e32 v0, v0, v1
	s_mov_b32 s11, 0x20000
	v_div_scale_f32 v1, s[0:1], v18, v18, v0
	v_rcp_f32_e32 v19, v1
	v_div_scale_f32 v20, vcc, v0, v18, v0
	s_mov_b32 s0, 0x800000
	v_fma_f32 v21, -v1, v19, 1.0
	v_fmac_f32_e32 v19, v21, v19
	v_mul_f32_e32 v21, v20, v19
	v_fma_f32 v22, -v1, v21, v20
	v_fmac_f32_e32 v21, v22, v19
	v_fma_f32 v1, -v1, v21, v20
	v_div_fmas_f32 v1, v1, v19, v21
	v_div_fixup_f32 v0, v1, v18, v0
	v_add_f32_e32 v0, s13, v0
	v_mul_f32_e32 v1, 0x4b800000, v0
	v_cmp_gt_f32_e32 vcc, s0, v0
	v_cndmask_b32_e32 v0, v0, v1, vcc
	v_rsq_f32_e32 v0, v0
	s_mul_hi_i32 s1, s29, s6
	s_mul_i32 s0, s29, s6
	s_lshl_b64 s[0:1], s[0:1], 1
	v_mul_f32_e32 v1, 0x45800000, v0
	v_cndmask_b32_e32 v0, v0, v1, vcc
	v_mov_b32_e32 v1, v0
	;;#ASMSTART
	v_pk_mul_f32 v[22:23], v[34:35], v[0:1]
	;;#ASMEND
	;;#ASMSTART
	v_pk_mul_f32 v[24:25], v[64:65], v[0:1]
	;;#ASMEND
	;; [unrolled: 3-line block ×15, first 2 shown]
	s_waitcnt vmcnt(3)
	v_cvt_f32_f16_sdwa v39, v14 dst_sel:DWORD dst_unused:UNUSED_PAD src0_sel:WORD_1
	v_cvt_f32_f16_e32 v38, v14
	v_cvt_f32_f16_sdwa v41, v15 dst_sel:DWORD dst_unused:UNUSED_PAD src0_sel:WORD_1
	v_cvt_f32_f16_e32 v40, v15
	;;#ASMSTART
	v_pk_mul_f32 v[14:15], v[36:37], v[0:1]
	;;#ASMEND
	v_cvt_f32_f16_sdwa v37, v16 dst_sel:DWORD dst_unused:UNUSED_PAD src0_sel:WORD_1
	v_cvt_f32_f16_e32 v36, v16
	v_pk_add_f32 v[0:1], v[38:39], 1.0 op_sel_hi:[1,0]
	;;#ASMSTART
	v_pk_mul_f32 v[0:1], v[22:23], v[0:1]
	;;#ASMEND
	v_pk_add_f32 v[22:23], v[40:41], 1.0 op_sel_hi:[1,0]
	v_cvt_f32_f16_sdwa v39, v17 dst_sel:DWORD dst_unused:UNUSED_PAD src0_sel:WORD_1
	v_cvt_f32_f16_e32 v38, v17
	;;#ASMSTART
	v_pk_mul_f32 v[16:17], v[24:25], v[22:23]
	;;#ASMEND
	v_pk_add_f32 v[22:23], v[36:37], 1.0 op_sel_hi:[1,0]
	;;#ASMSTART
	v_pk_mul_f32 v[22:23], v[26:27], v[22:23]
	;;#ASMEND
	s_waitcnt vmcnt(2)
	v_cvt_f32_f16_sdwa v27, v10 dst_sel:DWORD dst_unused:UNUSED_PAD src0_sel:WORD_1
	v_cvt_f32_f16_e32 v26, v10
	v_pk_add_f32 v[24:25], v[38:39], 1.0 op_sel_hi:[1,0]
	v_cvt_f32_f16_sdwa v37, v11 dst_sel:DWORD dst_unused:UNUSED_PAD src0_sel:WORD_1
	v_cvt_f32_f16_e32 v36, v11
	;;#ASMSTART
	v_pk_mul_f32 v[10:11], v[28:29], v[24:25]
	;;#ASMEND
	v_pk_add_f32 v[24:25], v[26:27], 1.0 op_sel_hi:[1,0]
	;;#ASMSTART
	v_pk_mul_f32 v[24:25], v[30:31], v[24:25]
	;;#ASMEND
	v_cvt_f32_f16_sdwa v29, v12 dst_sel:DWORD dst_unused:UNUSED_PAD src0_sel:WORD_1
	v_cvt_f32_f16_e32 v28, v12
	v_cvt_f32_f16_sdwa v31, v13 dst_sel:DWORD dst_unused:UNUSED_PAD src0_sel:WORD_1
	v_cvt_f32_f16_e32 v30, v13
	v_pk_add_f32 v[26:27], v[36:37], 1.0 op_sel_hi:[1,0]
	;;#ASMSTART
	v_pk_mul_f32 v[12:13], v[32:33], v[26:27]
	;;#ASMEND
	v_pk_add_f32 v[26:27], v[28:29], 1.0 op_sel_hi:[1,0]
	v_pk_add_f32 v[28:29], v[30:31], 1.0 op_sel_hi:[1,0]
	s_waitcnt vmcnt(1)
	v_cvt_f32_f16_sdwa v31, v6 dst_sel:DWORD dst_unused:UNUSED_PAD src0_sel:WORD_1
	v_cvt_f32_f16_e32 v30, v6
	v_cvt_f32_f16_sdwa v33, v7 dst_sel:DWORD dst_unused:UNUSED_PAD src0_sel:WORD_1
	v_cvt_f32_f16_e32 v32, v7
	;;#ASMSTART
	v_pk_mul_f32 v[26:27], v[34:35], v[26:27]
	;;#ASMEND
	;;#ASMSTART
	v_pk_mul_f32 v[6:7], v[52:53], v[28:29]
	;;#ASMEND
	v_pk_add_f32 v[28:29], v[30:31], 1.0 op_sel_hi:[1,0]
	v_pk_add_f32 v[30:31], v[32:33], 1.0 op_sel_hi:[1,0]
	v_cvt_f32_f16_sdwa v33, v8 dst_sel:DWORD dst_unused:UNUSED_PAD src0_sel:WORD_1
	v_cvt_f32_f16_e32 v32, v8
	v_cvt_f32_f16_sdwa v35, v9 dst_sel:DWORD dst_unused:UNUSED_PAD src0_sel:WORD_1
	v_cvt_f32_f16_e32 v34, v9
	;;#ASMSTART
	v_pk_mul_f32 v[28:29], v[50:51], v[28:29]
	;;#ASMEND
	;;#ASMSTART
	v_pk_mul_f32 v[8:9], v[48:49], v[30:31]
	;;#ASMEND
	v_pk_add_f32 v[30:31], v[32:33], 1.0 op_sel_hi:[1,0]
	v_pk_add_f32 v[32:33], v[34:35], 1.0 op_sel_hi:[1,0]
	s_waitcnt vmcnt(0)
	v_cvt_f32_f16_sdwa v35, v2 dst_sel:DWORD dst_unused:UNUSED_PAD src0_sel:WORD_1
	v_cvt_f32_f16_e32 v34, v2
	v_cvt_f32_f16_sdwa v37, v3 dst_sel:DWORD dst_unused:UNUSED_PAD src0_sel:WORD_1
	v_cvt_f32_f16_e32 v36, v3
	;;#ASMSTART
	v_pk_mul_f32 v[30:31], v[46:47], v[30:31]
	;;#ASMEND
	v_pk_add_f32 v[2:3], v[34:35], 1.0 op_sel_hi:[1,0]
	;;#ASMSTART
	v_pk_mul_f32 v[32:33], v[44:45], v[32:33]
	;;#ASMEND
	;;#ASMSTART
	v_pk_mul_f32 v[34:35], v[42:43], v[2:3]
	;;#ASMEND
	v_pk_add_f32 v[2:3], v[36:37], 1.0 op_sel_hi:[1,0]
	v_cvt_f32_f16_sdwa v37, v4 dst_sel:DWORD dst_unused:UNUSED_PAD src0_sel:WORD_1
	v_cvt_f32_f16_e32 v36, v4
	v_cvt_f32_f16_sdwa v39, v5 dst_sel:DWORD dst_unused:UNUSED_PAD src0_sel:WORD_1
	v_cvt_f32_f16_e32 v38, v5
	;;#ASMSTART
	v_pk_mul_f32 v[4:5], v[18:19], v[2:3]
	;;#ASMEND
	v_pk_add_f32 v[2:3], v[36:37], 1.0 op_sel_hi:[1,0]
	;;#ASMSTART
	v_pk_mul_f32 v[18:19], v[20:21], v[2:3]
	;;#ASMEND
	v_pk_add_f32 v[2:3], v[38:39], 1.0 op_sel_hi:[1,0]
	;;#ASMSTART
	v_pk_mul_f32 v[14:15], v[14:15], v[2:3]
	;;#ASMEND
	v_cvt_f16_f32_e32 v0, v0
	v_cvt_f16_f32_e32 v1, v1
	v_cvt_f16_f32_e32 v2, v16
	v_cvt_f16_f32_e32 v3, v17
	v_cvt_f16_f32_e32 v16, v22
	v_cvt_f16_f32_e32 v17, v23
	v_cvt_f16_f32_e32 v10, v10
	v_cvt_f16_f32_e32 v11, v11
	s_add_u32 s8, s24, s0
	s_addc_u32 s0, s25, s1
	s_and_b32 s9, s0, 0xffff
	v_pack_b32_f16 v0, v0, v1
	v_pack_b32_f16 v1, v2, v3
	;; [unrolled: 1-line block ×4, first 2 shown]
	buffer_store_dwordx4 v[0:3], v67, s[8:11], 0 offen
	v_cvt_f16_f32_e32 v10, v26
	v_cvt_f16_f32_e32 v0, v24
	v_cvt_f16_f32_e32 v1, v25
	v_cvt_f16_f32_e32 v2, v12
	v_cvt_f16_f32_e32 v3, v13
	v_cvt_f16_f32_e32 v11, v27
	v_cvt_f16_f32_e32 v6, v6
	v_cvt_f16_f32_e32 v7, v7
	v_pack_b32_f16 v0, v0, v1
	v_pack_b32_f16 v1, v2, v3
	v_pack_b32_f16 v2, v10, v11
	v_pack_b32_f16 v3, v6, v7
	s_movk_i32 s0, 0x400
	;;#ASMSTART
	s_nop 0
	;;#ASMEND
	buffer_store_dwordx4 v[0:3], v67, s[8:11], s0 offen
	v_cvt_f16_f32_e32 v0, v28
	v_cvt_f16_f32_e32 v1, v29
	v_cvt_f16_f32_e32 v2, v8
	v_cvt_f16_f32_e32 v3, v9
	v_cvt_f16_f32_e32 v6, v30
	v_cvt_f16_f32_e32 v7, v31
	v_cvt_f16_f32_e32 v8, v32
	v_cvt_f16_f32_e32 v9, v33
	v_pack_b32_f16 v0, v0, v1
	v_pack_b32_f16 v1, v2, v3
	v_pack_b32_f16 v2, v6, v7
	v_pack_b32_f16 v3, v8, v9
	s_movk_i32 s0, 0x800
	;;#ASMSTART
	s_nop 0
	;;#ASMEND
	;; [unrolled: 17-line block ×3, first 2 shown]
	buffer_store_dwordx4 v[0:3], v67, s[8:11], s0 offen
	;;#ASMSTART
	s_nop 0
	;;#ASMEND
	s_endpgm
	.section	.rodata,"a",@progbits
	.p2align	6, 0x0
	.amdhsa_kernel _ZN5aiter35fused_qk_rmsnorm_group_quant_kernelIDF16_DB8_Li256ELi32ELi1ELb0ELb1ELb1ELb0ELb1ELb1EEEvPT0_PvPT_S6_S6_PKS5_S8_S8_S8_S8_ffiiiiiiiiiiiii
		.amdhsa_group_segment_fixed_size 48
		.amdhsa_private_segment_fixed_size 0
		.amdhsa_kernarg_size 400
		.amdhsa_user_sgpr_count 6
		.amdhsa_user_sgpr_private_segment_buffer 1
		.amdhsa_user_sgpr_dispatch_ptr 0
		.amdhsa_user_sgpr_queue_ptr 0
		.amdhsa_user_sgpr_kernarg_segment_ptr 1
		.amdhsa_user_sgpr_dispatch_id 0
		.amdhsa_user_sgpr_flat_scratch_init 0
		.amdhsa_user_sgpr_kernarg_preload_length 0
		.amdhsa_user_sgpr_kernarg_preload_offset 0
		.amdhsa_user_sgpr_private_segment_size 0
		.amdhsa_uses_dynamic_stack 0
		.amdhsa_system_sgpr_private_segment_wavefront_offset 0
		.amdhsa_system_sgpr_workgroup_id_x 1
		.amdhsa_system_sgpr_workgroup_id_y 1
		.amdhsa_system_sgpr_workgroup_id_z 0
		.amdhsa_system_sgpr_workgroup_info 0
		.amdhsa_system_vgpr_workitem_id 0
		.amdhsa_next_free_vgpr 68
		.amdhsa_next_free_sgpr 32
		.amdhsa_accum_offset 68
		.amdhsa_reserve_vcc 1
		.amdhsa_reserve_flat_scratch 0
		.amdhsa_float_round_mode_32 0
		.amdhsa_float_round_mode_16_64 0
		.amdhsa_float_denorm_mode_32 3
		.amdhsa_float_denorm_mode_16_64 3
		.amdhsa_dx10_clamp 1
		.amdhsa_ieee_mode 1
		.amdhsa_fp16_overflow 0
		.amdhsa_tg_split 0
		.amdhsa_exception_fp_ieee_invalid_op 0
		.amdhsa_exception_fp_denorm_src 0
		.amdhsa_exception_fp_ieee_div_zero 0
		.amdhsa_exception_fp_ieee_overflow 0
		.amdhsa_exception_fp_ieee_underflow 0
		.amdhsa_exception_fp_ieee_inexact 0
		.amdhsa_exception_int_div_zero 0
	.end_amdhsa_kernel
	.section	.text._ZN5aiter35fused_qk_rmsnorm_group_quant_kernelIDF16_DB8_Li256ELi32ELi1ELb0ELb1ELb1ELb0ELb1ELb1EEEvPT0_PvPT_S6_S6_PKS5_S8_S8_S8_S8_ffiiiiiiiiiiiii,"axG",@progbits,_ZN5aiter35fused_qk_rmsnorm_group_quant_kernelIDF16_DB8_Li256ELi32ELi1ELb0ELb1ELb1ELb0ELb1ELb1EEEvPT0_PvPT_S6_S6_PKS5_S8_S8_S8_S8_ffiiiiiiiiiiiii,comdat
.Lfunc_end89:
	.size	_ZN5aiter35fused_qk_rmsnorm_group_quant_kernelIDF16_DB8_Li256ELi32ELi1ELb0ELb1ELb1ELb0ELb1ELb1EEEvPT0_PvPT_S6_S6_PKS5_S8_S8_S8_S8_ffiiiiiiiiiiiii, .Lfunc_end89-_ZN5aiter35fused_qk_rmsnorm_group_quant_kernelIDF16_DB8_Li256ELi32ELi1ELb0ELb1ELb1ELb0ELb1ELb1EEEvPT0_PvPT_S6_S6_PKS5_S8_S8_S8_S8_ffiiiiiiiiiiiii
                                        ; -- End function
	.section	.AMDGPU.csdata,"",@progbits
; Kernel info:
; codeLenInByte = 6424
; NumSgprs: 36
; NumVgprs: 68
; NumAgprs: 0
; TotalNumVgprs: 68
; ScratchSize: 0
; MemoryBound: 0
; FloatMode: 240
; IeeeMode: 1
; LDSByteSize: 48 bytes/workgroup (compile time only)
; SGPRBlocks: 4
; VGPRBlocks: 8
; NumSGPRsForWavesPerEU: 36
; NumVGPRsForWavesPerEU: 68
; AccumOffset: 68
; Occupancy: 7
; WaveLimiterHint : 0
; COMPUTE_PGM_RSRC2:SCRATCH_EN: 0
; COMPUTE_PGM_RSRC2:USER_SGPR: 6
; COMPUTE_PGM_RSRC2:TRAP_HANDLER: 0
; COMPUTE_PGM_RSRC2:TGID_X_EN: 1
; COMPUTE_PGM_RSRC2:TGID_Y_EN: 1
; COMPUTE_PGM_RSRC2:TGID_Z_EN: 0
; COMPUTE_PGM_RSRC2:TIDIG_COMP_CNT: 0
; COMPUTE_PGM_RSRC3_GFX90A:ACCUM_OFFSET: 16
; COMPUTE_PGM_RSRC3_GFX90A:TG_SPLIT: 0
	.section	.text._ZN5aiter35fused_qk_rmsnorm_group_quant_kernelItDB8_Li256ELi32ELi1ELb0ELb1ELb1ELb0ELb1ELb1EEEvPT0_PvPT_S6_S6_PKS5_S8_S8_S8_S8_ffiiiiiiiiiiiii,"axG",@progbits,_ZN5aiter35fused_qk_rmsnorm_group_quant_kernelItDB8_Li256ELi32ELi1ELb0ELb1ELb1ELb0ELb1ELb1EEEvPT0_PvPT_S6_S6_PKS5_S8_S8_S8_S8_ffiiiiiiiiiiiii,comdat
	.protected	_ZN5aiter35fused_qk_rmsnorm_group_quant_kernelItDB8_Li256ELi32ELi1ELb0ELb1ELb1ELb0ELb1ELb1EEEvPT0_PvPT_S6_S6_PKS5_S8_S8_S8_S8_ffiiiiiiiiiiiii ; -- Begin function _ZN5aiter35fused_qk_rmsnorm_group_quant_kernelItDB8_Li256ELi32ELi1ELb0ELb1ELb1ELb0ELb1ELb1EEEvPT0_PvPT_S6_S6_PKS5_S8_S8_S8_S8_ffiiiiiiiiiiiii
	.globl	_ZN5aiter35fused_qk_rmsnorm_group_quant_kernelItDB8_Li256ELi32ELi1ELb0ELb1ELb1ELb0ELb1ELb1EEEvPT0_PvPT_S6_S6_PKS5_S8_S8_S8_S8_ffiiiiiiiiiiiii
	.p2align	8
	.type	_ZN5aiter35fused_qk_rmsnorm_group_quant_kernelItDB8_Li256ELi32ELi1ELb0ELb1ELb1ELb0ELb1ELb1EEEvPT0_PvPT_S6_S6_PKS5_S8_S8_S8_S8_ffiiiiiiiiiiiii,@function
_ZN5aiter35fused_qk_rmsnorm_group_quant_kernelItDB8_Li256ELi32ELi1ELb0ELb1ELb1ELb0ELb1ELb1EEEvPT0_PvPT_S6_S6_PKS5_S8_S8_S8_S8_ffiiiiiiiiiiiii: ; @_ZN5aiter35fused_qk_rmsnorm_group_quant_kernelItDB8_Li256ELi32ELi1ELb0ELb1ELb1ELb0ELb1ELb1EEEvPT0_PvPT_S6_S6_PKS5_S8_S8_S8_S8_ffiiiiiiiiiiiii
; %bb.0:
	s_load_dwordx4 s[12:15], s[4:5], 0x50
	s_waitcnt lgkmcnt(0)
	s_cmp_ge_i32 s6, s14
	s_cbranch_scc1 .LBB90_12
; %bb.1:
	s_load_dwordx2 s[8:9], s[4:5], 0x48
	s_load_dwordx2 s[26:27], s[4:5], 0x30
	s_load_dwordx4 s[16:19], s[4:5], 0x60
	s_cmp_lg_u32 s7, 0
	s_cselect_b64 s[10:11], -1, 0
	s_cmp_eq_u32 s7, 0
	s_cselect_b64 vcc, -1, 0
	s_and_b64 s[0:1], vcc, exec
	s_waitcnt lgkmcnt(0)
	s_cselect_b32 s7, s15, s16
	s_add_i32 s0, s7, 1
	s_lshr_b32 s1, s0, 31
	s_add_i32 s0, s0, s1
	s_lshl_b32 s0, s0, 1
	v_lshlrev_b32_e32 v2, 5, v0
	s_and_b32 s22, s0, -4
	v_lshlrev_b32_e32 v1, 3, v0
	v_and_b32_e32 v2, 0x7800, v2
	s_movk_i32 s0, 0x1f8
	v_and_or_b32 v1, v1, s0, v2
	v_cmp_gt_i32_e64 s[2:3], s7, v1
	v_mov_b32_e32 v34, 0
	v_mov_b32_e32 v14, 0
	;; [unrolled: 1-line block ×33, first 2 shown]
	s_and_saveexec_b64 s[0:1], s[2:3]
	s_cbranch_execz .LBB90_3
; %bb.2:
	s_load_dwordx2 s[20:21], s[4:5], 0x28
	s_load_dwordx2 s[24:25], s[4:5], 0x40
	s_and_b64 s[28:29], vcc, exec
	s_cselect_b32 s14, s17, s18
	s_mov_b32 s23, 0x20000
	s_waitcnt lgkmcnt(0)
	s_cselect_b32 s17, s21, s27
	s_cselect_b32 s19, s20, s26
	s_mul_hi_i32 s21, s14, s6
	s_mul_i32 s20, s14, s6
	s_lshl_b64 s[20:21], s[20:21], 1
	s_add_u32 s28, s19, s20
	s_addc_u32 s14, s17, s21
	s_and_b64 s[20:21], vcc, exec
	s_cselect_b32 s17, s25, s9
	s_cselect_b32 s20, s24, s8
	s_and_b32 s21, s17, 0xffff
	s_and_b32 s29, s14, 0xffff
	s_mov_b32 s30, s22
	s_mov_b32 s31, s23
	v_lshlrev_b32_e32 v35, 1, v1
	s_movk_i32 s17, 0x800
	s_movk_i32 s14, 0x400
	buffer_load_dwordx4 v[30:33], v35, s[28:31], 0 offen glc slc
	buffer_load_dwordx4 v[22:25], v35, s[28:31], s14 offen glc slc
	s_movk_i32 s19, 0xc00
	buffer_load_dwordx4 v[26:29], v35, s[28:31], s17 offen glc slc
	buffer_load_dwordx4 v[18:21], v35, s[28:31], s19 offen glc slc
	buffer_load_dwordx4 v[14:17], v35, s[20:23], 0 offen
	buffer_load_dwordx4 v[10:13], v35, s[20:23], s14 offen
	;; [unrolled: 1-line block ×4, first 2 shown]
.LBB90_3:
	s_or_b64 exec, exec, s[0:1]
	v_mov_b32_e32 v35, 0
	v_mov_b32_e32 v64, 0
	;; [unrolled: 1-line block ×31, first 2 shown]
	s_and_saveexec_b64 s[0:1], s[2:3]
	s_cbranch_execz .LBB90_5
; %bb.4:
	s_waitcnt vmcnt(7)
	v_cvt_f32_u32_sdwa v34, v30 dst_sel:DWORD dst_unused:UNUSED_PAD src0_sel:WORD_0
	v_cvt_f32_u32_sdwa v35, v30 dst_sel:DWORD dst_unused:UNUSED_PAD src0_sel:WORD_1
	v_cvt_f32_u32_sdwa v64, v31 dst_sel:DWORD dst_unused:UNUSED_PAD src0_sel:WORD_0
	v_cvt_f32_u32_sdwa v65, v31 dst_sel:DWORD dst_unused:UNUSED_PAD src0_sel:WORD_1
	v_cvt_f32_u32_sdwa v60, v32 dst_sel:DWORD dst_unused:UNUSED_PAD src0_sel:WORD_0
	v_cvt_f32_u32_sdwa v61, v32 dst_sel:DWORD dst_unused:UNUSED_PAD src0_sel:WORD_1
	v_cvt_f32_u32_sdwa v62, v33 dst_sel:DWORD dst_unused:UNUSED_PAD src0_sel:WORD_0
	v_cvt_f32_u32_sdwa v63, v33 dst_sel:DWORD dst_unused:UNUSED_PAD src0_sel:WORD_1
	s_waitcnt vmcnt(6)
	v_cvt_f32_u32_sdwa v54, v22 dst_sel:DWORD dst_unused:UNUSED_PAD src0_sel:WORD_0
	v_cvt_f32_u32_sdwa v55, v22 dst_sel:DWORD dst_unused:UNUSED_PAD src0_sel:WORD_1
	v_cvt_f32_u32_sdwa v58, v23 dst_sel:DWORD dst_unused:UNUSED_PAD src0_sel:WORD_0
	v_cvt_f32_u32_sdwa v59, v23 dst_sel:DWORD dst_unused:UNUSED_PAD src0_sel:WORD_1
	v_cvt_f32_u32_sdwa v52, v24 dst_sel:DWORD dst_unused:UNUSED_PAD src0_sel:WORD_0
	v_cvt_f32_u32_sdwa v53, v24 dst_sel:DWORD dst_unused:UNUSED_PAD src0_sel:WORD_1
	v_cvt_f32_u32_sdwa v56, v25 dst_sel:DWORD dst_unused:UNUSED_PAD src0_sel:WORD_0
	v_cvt_f32_u32_sdwa v57, v25 dst_sel:DWORD dst_unused:UNUSED_PAD src0_sel:WORD_1
	;; [unrolled: 9-line block ×4, first 2 shown]
.LBB90_5:
	s_or_b64 exec, exec, s[0:1]
	s_waitcnt vmcnt(4)
	v_mul_f32_e32 v18, v35, v35
	v_fmac_f32_e32 v18, v34, v34
	v_fmac_f32_e32 v18, v64, v64
	v_fmac_f32_e32 v18, v65, v65
	v_fmac_f32_e32 v18, v60, v60
	v_fmac_f32_e32 v18, v61, v61
	v_fmac_f32_e32 v18, v62, v62
	v_fmac_f32_e32 v18, v63, v63
	v_fmac_f32_e32 v18, v54, v54
	v_fmac_f32_e32 v18, v55, v55
	v_fmac_f32_e32 v18, v58, v58
	v_fmac_f32_e32 v18, v59, v59
	v_fmac_f32_e32 v18, v52, v52
	v_fmac_f32_e32 v18, v53, v53
	v_fmac_f32_e32 v18, v56, v56
	v_fmac_f32_e32 v18, v57, v57
	v_fmac_f32_e32 v18, v46, v46
	v_fmac_f32_e32 v18, v47, v47
	v_fmac_f32_e32 v18, v50, v50
	v_fmac_f32_e32 v18, v51, v51
	v_fmac_f32_e32 v18, v44, v44
	v_fmac_f32_e32 v18, v45, v45
	v_fmac_f32_e32 v18, v48, v48
	v_fmac_f32_e32 v18, v49, v49
	v_fmac_f32_e32 v18, v40, v40
	v_fmac_f32_e32 v18, v41, v41
	v_fmac_f32_e32 v18, v42, v42
	v_fmac_f32_e32 v18, v43, v43
	v_fmac_f32_e32 v18, v38, v38
	v_fmac_f32_e32 v18, v39, v39
	v_fmac_f32_e32 v18, v36, v36
	v_fmac_f32_e32 v18, v37, v37
	v_and_b32_e32 v20, 63, v0
	v_cmp_eq_u32_e64 s[0:1], 63, v20
	v_mov_b32_dpp v19, v18 quad_perm:[1,0,3,2] row_mask:0xf bank_mask:0xf
	v_add_f32_e32 v18, v18, v19
	s_nop 1
	v_mov_b32_dpp v19, v18 quad_perm:[2,3,0,1] row_mask:0xf bank_mask:0xf
	v_add_f32_e32 v18, v18, v19
	s_nop 1
	v_mov_b32_dpp v19, v18 row_half_mirror row_mask:0xf bank_mask:0xf
	v_add_f32_e32 v18, v18, v19
	s_nop 1
	v_mov_b32_dpp v19, v18 row_mirror row_mask:0xf bank_mask:0xf
	v_add_f32_e32 v18, v18, v19
	s_nop 1
	v_mov_b32_dpp v19, v18 row_bcast:15 row_mask:0xf bank_mask:0xf
	v_add_f32_e32 v18, v18, v19
	s_nop 1
	v_mov_b32_dpp v19, v18 row_bcast:31 row_mask:0xf bank_mask:0xf
	s_and_saveexec_b64 s[20:21], s[0:1]
	s_cbranch_execz .LBB90_7
; %bb.6:
	v_add_f32_e32 v18, v18, v19
	v_lshrrev_b32_e32 v19, 4, v0
	v_and_b32_e32 v19, 60, v19
	ds_write_b32 v19, v18 offset:32
.LBB90_7:
	s_or_b64 exec, exec, s[20:21]
	v_and_b32_e32 v18, 3, v0
	v_lshlrev_b32_e32 v66, 2, v18
	s_waitcnt lgkmcnt(0)
	s_barrier
	ds_read_b32 v18, v66 offset:32
	s_load_dwordx2 s[24:25], s[4:5], 0x18
	s_waitcnt lgkmcnt(0)
	v_mov_b32_dpp v19, v18 quad_perm:[1,0,3,2] row_mask:0xf bank_mask:0xf
	v_add_f32_e32 v18, v18, v19
	s_nop 1
	v_mov_b32_dpp v19, v18 quad_perm:[2,3,0,1] row_mask:0xf bank_mask:0xf
	s_and_saveexec_b64 s[20:21], s[2:3]
	s_cbranch_execz .LBB90_9
; %bb.8:
	v_cvt_f32_u32_e32 v20, s7
	v_add_f32_e32 v18, v18, v19
	v_mov_b32_e32 v22, s13
	v_mov_b32_e32 v23, s12
	v_div_scale_f32 v19, s[28:29], v20, v20, v18
	v_rcp_f32_e32 v21, v19
	v_cndmask_b32_e32 v22, v22, v23, vcc
	s_mov_b32 s7, 0x800000
	v_fma_f32 v23, -v19, v21, 1.0
	v_fmac_f32_e32 v21, v23, v21
	v_div_scale_f32 v23, vcc, v18, v20, v18
	v_mul_f32_e32 v24, v23, v21
	v_fma_f32 v25, -v19, v24, v23
	v_fmac_f32_e32 v24, v25, v21
	v_fma_f32 v19, -v19, v24, v23
	v_div_fmas_f32 v19, v19, v21, v24
	v_div_fixup_f32 v18, v19, v20, v18
	v_add_f32_e32 v18, v22, v18
	v_mul_f32_e32 v19, 0x4b800000, v18
	v_cmp_gt_f32_e32 vcc, s7, v18
	v_cndmask_b32_e32 v18, v18, v19, vcc
	v_rsq_f32_e32 v18, v18
	v_mul_f32_e32 v19, 0x45800000, v18
	v_cndmask_b32_e32 v22, v18, v19, vcc
	v_mov_b32_e32 v23, v22
	;;#ASMSTART
	v_pk_mul_f32 v[24:25], v[34:35], v[22:23]
	;;#ASMEND
	s_waitcnt vmcnt(3)
	v_cvt_f32_u32_sdwa v35, v14 dst_sel:DWORD dst_unused:UNUSED_PAD src0_sel:WORD_1
	v_cvt_f32_u32_sdwa v34, v14 dst_sel:DWORD dst_unused:UNUSED_PAD src0_sel:WORD_0
	;;#ASMSTART
	v_pk_mul_f32 v[26:27], v[64:65], v[22:23]
	;;#ASMEND
	;;#ASMSTART
	v_pk_mul_f32 v[28:29], v[60:61], v[22:23]
	;;#ASMEND
	;; [unrolled: 3-line block ×14, first 2 shown]
	v_cvt_f32_u32_sdwa v39, v15 dst_sel:DWORD dst_unused:UNUSED_PAD src0_sel:WORD_1
	v_cvt_f32_u32_sdwa v38, v15 dst_sel:DWORD dst_unused:UNUSED_PAD src0_sel:WORD_0
	;;#ASMSTART
	v_pk_mul_f32 v[14:15], v[36:37], v[22:23]
	;;#ASMEND
	v_pk_add_f32 v[22:23], v[34:35], 1.0 op_sel_hi:[1,0]
	;;#ASMSTART
	v_pk_mul_f32 v[34:35], v[24:25], v[22:23]
	;;#ASMEND
	v_cvt_f32_u32_sdwa v25, v16 dst_sel:DWORD dst_unused:UNUSED_PAD src0_sel:WORD_1
	v_cvt_f32_u32_sdwa v24, v16 dst_sel:DWORD dst_unused:UNUSED_PAD src0_sel:WORD_0
	v_cvt_f32_u32_sdwa v37, v17 dst_sel:DWORD dst_unused:UNUSED_PAD src0_sel:WORD_1
	v_cvt_f32_u32_sdwa v36, v17 dst_sel:DWORD dst_unused:UNUSED_PAD src0_sel:WORD_0
	v_pk_add_f32 v[22:23], v[38:39], 1.0 op_sel_hi:[1,0]
	;;#ASMSTART
	v_pk_mul_f32 v[64:65], v[26:27], v[22:23]
	;;#ASMEND
	s_waitcnt vmcnt(2)
	v_cvt_f32_u32_sdwa v23, v10 dst_sel:DWORD dst_unused:UNUSED_PAD src0_sel:WORD_1
	v_cvt_f32_u32_sdwa v22, v10 dst_sel:DWORD dst_unused:UNUSED_PAD src0_sel:WORD_0
	v_pk_add_f32 v[16:17], v[24:25], 1.0 op_sel_hi:[1,0]
	;;#ASMSTART
	v_pk_mul_f32 v[60:61], v[28:29], v[16:17]
	;;#ASMEND
	v_pk_add_f32 v[16:17], v[36:37], 1.0 op_sel_hi:[1,0]
	v_cvt_f32_u32_sdwa v25, v11 dst_sel:DWORD dst_unused:UNUSED_PAD src0_sel:WORD_1
	v_cvt_f32_u32_sdwa v24, v11 dst_sel:DWORD dst_unused:UNUSED_PAD src0_sel:WORD_0
	;;#ASMSTART
	v_pk_mul_f32 v[62:63], v[30:31], v[16:17]
	;;#ASMEND
	v_cvt_f32_u32_sdwa v17, v12 dst_sel:DWORD dst_unused:UNUSED_PAD src0_sel:WORD_1
	v_cvt_f32_u32_sdwa v16, v12 dst_sel:DWORD dst_unused:UNUSED_PAD src0_sel:WORD_0
	v_pk_add_f32 v[10:11], v[22:23], 1.0 op_sel_hi:[1,0]
	v_cvt_f32_u32_sdwa v23, v13 dst_sel:DWORD dst_unused:UNUSED_PAD src0_sel:WORD_1
	v_cvt_f32_u32_sdwa v22, v13 dst_sel:DWORD dst_unused:UNUSED_PAD src0_sel:WORD_0
	;;#ASMSTART
	v_pk_mul_f32 v[54:55], v[32:33], v[10:11]
	;;#ASMEND
	v_pk_add_f32 v[10:11], v[24:25], 1.0 op_sel_hi:[1,0]
	s_waitcnt vmcnt(1)
	v_cvt_f32_u32_sdwa v13, v6 dst_sel:DWORD dst_unused:UNUSED_PAD src0_sel:WORD_1
	v_cvt_f32_u32_sdwa v12, v6 dst_sel:DWORD dst_unused:UNUSED_PAD src0_sel:WORD_0
	;;#ASMSTART
	v_pk_mul_f32 v[58:59], v[58:59], v[10:11]
	;;#ASMEND
	v_pk_add_f32 v[10:11], v[16:17], 1.0 op_sel_hi:[1,0]
	;;#ASMSTART
	v_pk_mul_f32 v[52:53], v[52:53], v[10:11]
	;;#ASMEND
	v_pk_add_f32 v[10:11], v[22:23], 1.0 op_sel_hi:[1,0]
	v_cvt_f32_u32_sdwa v17, v7 dst_sel:DWORD dst_unused:UNUSED_PAD src0_sel:WORD_1
	v_cvt_f32_u32_sdwa v16, v7 dst_sel:DWORD dst_unused:UNUSED_PAD src0_sel:WORD_0
	;;#ASMSTART
	v_pk_mul_f32 v[56:57], v[56:57], v[10:11]
	;;#ASMEND
	v_cvt_f32_u32_sdwa v11, v8 dst_sel:DWORD dst_unused:UNUSED_PAD src0_sel:WORD_1
	v_cvt_f32_u32_sdwa v10, v8 dst_sel:DWORD dst_unused:UNUSED_PAD src0_sel:WORD_0
	v_pk_add_f32 v[6:7], v[12:13], 1.0 op_sel_hi:[1,0]
	v_cvt_f32_u32_sdwa v13, v9 dst_sel:DWORD dst_unused:UNUSED_PAD src0_sel:WORD_1
	v_cvt_f32_u32_sdwa v12, v9 dst_sel:DWORD dst_unused:UNUSED_PAD src0_sel:WORD_0
	;;#ASMSTART
	v_pk_mul_f32 v[46:47], v[46:47], v[6:7]
	;;#ASMEND
	v_pk_add_f32 v[6:7], v[16:17], 1.0 op_sel_hi:[1,0]
	s_waitcnt vmcnt(0)
	v_cvt_f32_u32_sdwa v9, v2 dst_sel:DWORD dst_unused:UNUSED_PAD src0_sel:WORD_1
	v_cvt_f32_u32_sdwa v8, v2 dst_sel:DWORD dst_unused:UNUSED_PAD src0_sel:WORD_0
	;;#ASMSTART
	v_pk_mul_f32 v[50:51], v[50:51], v[6:7]
	;;#ASMEND
	v_pk_add_f32 v[6:7], v[10:11], 1.0 op_sel_hi:[1,0]
	;;#ASMSTART
	v_pk_mul_f32 v[44:45], v[44:45], v[6:7]
	;;#ASMEND
	v_pk_add_f32 v[6:7], v[12:13], 1.0 op_sel_hi:[1,0]
	v_cvt_f32_u32_sdwa v11, v3 dst_sel:DWORD dst_unused:UNUSED_PAD src0_sel:WORD_1
	v_cvt_f32_u32_sdwa v10, v3 dst_sel:DWORD dst_unused:UNUSED_PAD src0_sel:WORD_0
	;;#ASMSTART
	v_pk_mul_f32 v[48:49], v[48:49], v[6:7]
	;;#ASMEND
	v_cvt_f32_u32_sdwa v7, v4 dst_sel:DWORD dst_unused:UNUSED_PAD src0_sel:WORD_1
	v_cvt_f32_u32_sdwa v6, v4 dst_sel:DWORD dst_unused:UNUSED_PAD src0_sel:WORD_0
	v_pk_add_f32 v[2:3], v[8:9], 1.0 op_sel_hi:[1,0]
	v_cvt_f32_u32_sdwa v9, v5 dst_sel:DWORD dst_unused:UNUSED_PAD src0_sel:WORD_1
	v_cvt_f32_u32_sdwa v8, v5 dst_sel:DWORD dst_unused:UNUSED_PAD src0_sel:WORD_0
	;;#ASMSTART
	v_pk_mul_f32 v[40:41], v[40:41], v[2:3]
	;;#ASMEND
	v_pk_add_f32 v[2:3], v[10:11], 1.0 op_sel_hi:[1,0]
	;;#ASMSTART
	v_pk_mul_f32 v[42:43], v[18:19], v[2:3]
	;;#ASMEND
	v_pk_add_f32 v[2:3], v[6:7], 1.0 op_sel_hi:[1,0]
	;; [unrolled: 4-line block ×3, first 2 shown]
	;;#ASMSTART
	v_pk_mul_f32 v[36:37], v[14:15], v[2:3]
	;;#ASMEND
.LBB90_9:
	s_or_b64 exec, exec, s[20:21]
	s_load_dwordx2 s[28:29], s[4:5], 0x7c
	s_mov_b64 s[20:21], -1
	s_and_b64 vcc, exec, s[10:11]
	s_cbranch_vccnz .LBB90_13
; %bb.10:
	s_andn2_b64 vcc, exec, s[20:21]
	s_cbranch_vccz .LBB90_16
.LBB90_11:
	s_cmp_lt_i32 s16, 1
	s_cbranch_scc0 .LBB90_27
.LBB90_12:
	s_endpgm
.LBB90_13:
	s_and_saveexec_b64 s[10:11], s[2:3]
	s_cbranch_execz .LBB90_15
; %bb.14:
	s_waitcnt lgkmcnt(0)
	s_mul_hi_i32 s21, s29, s6
	s_mul_i32 s20, s29, s6
	s_lshl_b64 s[20:21], s[20:21], 1
	s_add_u32 s20, s24, s20
	s_addc_u32 s7, s25, s21
	s_and_b32 s21, s7, 0xffff
	s_mov_b32 s7, 0x7060302
	s_mov_b32 s23, 0x20000
	s_waitcnt vmcnt(0)
	v_perm_b32 v5, v63, v62, s7
	v_perm_b32 v4, v61, v60, s7
	;; [unrolled: 1-line block ×4, first 2 shown]
	v_lshlrev_b32_e32 v6, 1, v1
	buffer_store_dwordx4 v[2:5], v6, s[20:23], 0 offen
	s_movk_i32 s12, 0x400
	v_perm_b32 v5, v57, v56, s7
	v_perm_b32 v4, v53, v52, s7
	;; [unrolled: 1-line block ×4, first 2 shown]
	;;#ASMSTART
	s_nop 0
	;;#ASMEND
	buffer_store_dwordx4 v[2:5], v6, s[20:23], s12 offen
	v_perm_b32 v5, v49, v48, s7
	v_perm_b32 v4, v45, v44, s7
	;; [unrolled: 1-line block ×4, first 2 shown]
	s_movk_i32 s12, 0x800
	;;#ASMSTART
	s_nop 0
	;;#ASMEND
	buffer_store_dwordx4 v[2:5], v6, s[20:23], s12 offen
	v_perm_b32 v5, v37, v36, s7
	v_perm_b32 v4, v39, v38, s7
	;; [unrolled: 1-line block ×4, first 2 shown]
	s_movk_i32 s7, 0xc00
	;;#ASMSTART
	s_nop 0
	;;#ASMEND
	buffer_store_dwordx4 v[2:5], v6, s[20:23], s7 offen
	;;#ASMSTART
	s_nop 0
	;;#ASMEND
.LBB90_15:
	s_or_b64 exec, exec, s[10:11]
	s_cbranch_execnz .LBB90_11
.LBB90_16:
	s_waitcnt vmcnt(0)
	v_mov_b32_e32 v2, 0
	s_and_saveexec_b64 s[10:11], s[2:3]
	s_cbranch_execz .LBB90_18
; %bb.17:
	s_load_dwordx2 s[20:21], s[4:5], 0x10
	s_waitcnt lgkmcnt(0)
	s_mul_hi_i32 s31, s28, s6
	s_mul_i32 s30, s28, s6
	s_lshl_b64 s[30:31], s[30:31], 1
	s_mov_b32 s23, 0x20000
	s_add_u32 s20, s20, s30
	s_addc_u32 s7, s21, s31
	s_and_b32 s21, s7, 0xffff
	s_mov_b32 s7, 0x7060302
	v_perm_b32 v5, v63, v62, s7
	v_perm_b32 v4, v61, v60, s7
	;; [unrolled: 1-line block ×4, first 2 shown]
	v_lshlrev_b32_e32 v6, 1, v1
	buffer_store_dwordx4 v[2:5], v6, s[20:23], 0 offen
	s_movk_i32 s12, 0x400
	v_perm_b32 v5, v57, v56, s7
	v_perm_b32 v4, v53, v52, s7
	;; [unrolled: 1-line block ×4, first 2 shown]
	;;#ASMSTART
	s_nop 0
	;;#ASMEND
	buffer_store_dwordx4 v[2:5], v6, s[20:23], s12 offen
	v_perm_b32 v5, v49, v48, s7
	v_perm_b32 v4, v45, v44, s7
	;; [unrolled: 1-line block ×4, first 2 shown]
	s_movk_i32 s12, 0x800
	;;#ASMSTART
	s_nop 0
	;;#ASMEND
	buffer_store_dwordx4 v[2:5], v6, s[20:23], s12 offen
	v_perm_b32 v5, v37, v36, s7
	v_perm_b32 v4, v39, v38, s7
	;; [unrolled: 1-line block ×4, first 2 shown]
	s_movk_i32 s7, 0xc00
	;;#ASMSTART
	s_nop 0
	;;#ASMEND
	buffer_store_dwordx4 v[2:5], v6, s[20:23], s7 offen
	v_mov_b32_e32 v2, 0x2edbe6ff
	;;#ASMSTART
	s_nop 0
	;;#ASMEND
.LBB90_18:
	s_or_b64 exec, exec, s[10:11]
	s_and_saveexec_b64 s[10:11], s[2:3]
	s_cbranch_execz .LBB90_20
; %bb.19:
	v_and_b32_e32 v3, 0x7fffffff, v34
	v_and_b32_e32 v4, 0x7fffffff, v35
	;;#ASMSTART
	v_max3_f32 v2, v2, v3, v4

	;;#ASMEND
	v_and_b32_e32 v3, 0x7fffffff, v64
	v_and_b32_e32 v4, 0x7fffffff, v65
	;;#ASMSTART
	v_max3_f32 v2, v2, v3, v4

	;;#ASMEND
	;; [unrolled: 6-line block ×16, first 2 shown]
.LBB90_20:
	s_or_b64 exec, exec, s[10:11]
	s_nop 0
	v_mov_b32_dpp v3, v2 quad_perm:[1,0,3,2] row_mask:0xf bank_mask:0xf
	v_cmp_gt_f32_e32 vcc, v2, v3
	v_cndmask_b32_e32 v2, v3, v2, vcc
	s_nop 1
	v_mov_b32_dpp v3, v2 quad_perm:[2,3,0,1] row_mask:0xf bank_mask:0xf
	v_cmp_gt_f32_e32 vcc, v2, v3
	v_cndmask_b32_e32 v2, v3, v2, vcc
	s_nop 1
	v_mov_b32_dpp v3, v2 row_half_mirror row_mask:0xf bank_mask:0xf
	v_cmp_gt_f32_e32 vcc, v2, v3
	v_cndmask_b32_e32 v2, v3, v2, vcc
	s_nop 1
	v_mov_b32_dpp v3, v2 row_mirror row_mask:0xf bank_mask:0xf
	v_cmp_gt_f32_e32 vcc, v2, v3
	v_cndmask_b32_e32 v2, v3, v2, vcc
	s_nop 1
	v_mov_b32_dpp v3, v2 row_bcast:15 row_mask:0xf bank_mask:0xf
	v_cmp_gt_f32_e32 vcc, v2, v3
	v_cndmask_b32_e32 v2, v3, v2, vcc
	s_nop 1
	v_mov_b32_dpp v3, v2 row_bcast:31 row_mask:0xf bank_mask:0xf
	s_and_saveexec_b64 s[10:11], s[0:1]
	s_cbranch_execz .LBB90_22
; %bb.21:
	v_cmp_gt_f32_e32 vcc, v2, v3
	v_cndmask_b32_e32 v2, v3, v2, vcc
	v_lshrrev_b32_e32 v3, 4, v0
	v_and_b32_e32 v3, 60, v3
	ds_write_b32 v3, v2
.LBB90_22:
	s_or_b64 exec, exec, s[10:11]
	s_waitcnt lgkmcnt(0)
	s_barrier
	ds_read_b32 v2, v66
	s_load_dwordx2 s[20:21], s[4:5], 0x70
	s_waitcnt lgkmcnt(0)
	v_mov_b32_dpp v3, v2 quad_perm:[1,0,3,2] row_mask:0xf bank_mask:0xf
	v_cmp_gt_f32_e32 vcc, v2, v3
	v_cndmask_b32_e32 v2, v3, v2, vcc
	s_nop 1
	v_mov_b32_dpp v3, v2 quad_perm:[2,3,0,1] row_mask:0xf bank_mask:0xf
	v_cmp_gt_f32_e32 vcc, v2, v3
	v_cndmask_b32_e32 v2, v3, v2, vcc
	v_mul_f32_e32 v2, 0x3b124925, v2
	v_cmp_eq_u32_e32 vcc, 0, v0
	s_and_saveexec_b64 s[10:11], vcc
	s_cbranch_execz .LBB90_24
; %bb.23:
	s_load_dwordx2 s[22:23], s[4:5], 0x8
	s_mul_hi_i32 s31, s21, s6
	s_mul_i32 s30, s21, s6
	s_lshl_b64 s[30:31], s[30:31], 2
	v_mov_b32_e32 v3, 0
	s_waitcnt lgkmcnt(0)
	s_add_u32 s22, s22, s30
	s_addc_u32 s23, s23, s31
	global_store_dword v3, v2, s[22:23]
.LBB90_24:
	s_or_b64 exec, exec, s[10:11]
	;;#ASMSTART
	v_rcp_f32 v2, v2
	;;#ASMEND
	s_and_saveexec_b64 s[10:11], s[2:3]
	s_cbranch_execz .LBB90_26
; %bb.25:
	s_load_dwordx2 s[22:23], s[4:5], 0x0
	s_mul_i32 s7, s20, s6
	s_mul_hi_i32 s3, s20, s6
	v_mov_b32_e32 v3, v2
	;;#ASMSTART
	v_pk_mul_f32 v[4:5], v[34:35], v[2:3]
	;;#ASMEND
	s_waitcnt lgkmcnt(0)
	s_add_u32 s20, s22, s7
	s_addc_u32 s3, s23, s3
	s_add_i32 s7, s15, 3
	s_ashr_i32 s12, s7, 31
	v_mov_b32_e32 v8, 0xc3e00000
	v_mov_b32_e32 v9, 0x43e00000
	;;#ASMSTART
	v_med3_f32 v4, v4, v8, v9
v_med3_f32 v5, v5, v8, v9
v_cvt_pk_fp8_f32 v6, v4, v5
	;;#ASMEND
	s_lshr_b32 s12, s12, 30
	;;#ASMSTART
	v_pk_mul_f32 v[4:5], v[64:65], v[2:3]
	;;#ASMEND
	s_add_i32 s7, s7, s12
	s_and_b32 s21, s3, 0xffff
	;;#ASMSTART
	v_med3_f32 v4, v4, v8, v9
v_med3_f32 v5, v5, v8, v9
v_cvt_pk_fp8_f32 v7, v4, v5
	;;#ASMEND
	s_mov_b32 s3, 0x5040100
	s_and_b32 s22, s7, -4
	v_perm_b32 v5, v7, v6, s3
	s_movk_i32 s7, 0xff
	v_and_b32_e32 v4, 0xffffff00, v7
	v_and_b32_sdwa v6, v5, s7 dst_sel:DWORD dst_unused:UNUSED_PAD src0_sel:WORD_1 src1_sel:DWORD
	s_mov_b32 s2, 0xffff
	v_or_b32_sdwa v4, v6, v4 dst_sel:WORD_1 dst_unused:UNUSED_PAD src0_sel:DWORD src1_sel:DWORD
	v_and_or_b32 v4, v5, s2, v4
	;;#ASMSTART
	v_pk_mul_f32 v[6:7], v[60:61], v[2:3]
	;;#ASMEND
	v_mov_b32_e32 v5, v7
	;;#ASMSTART
	v_med3_f32 v6, v6, v8, v9
v_med3_f32 v5, v5, v8, v9
v_cvt_pk_fp8_f32 v10, v6, v5
	;;#ASMEND
	;;#ASMSTART
	v_pk_mul_f32 v[6:7], v[62:63], v[2:3]
	;;#ASMEND
	v_mov_b32_e32 v5, v6
	;;#ASMSTART
	v_med3_f32 v5, v5, v8, v9
v_med3_f32 v7, v7, v8, v9
v_cvt_pk_fp8_f32 v6, v5, v7
	;;#ASMEND
	v_lshlrev_b32_e32 v5, 16, v6
	s_mov_b32 s23, 0x20000
	v_and_or_b32 v5, v10, s2, v5
	buffer_store_dwordx2 v[4:5], v1, s[20:23], 0 offen
	;;#ASMSTART
	s_nop 0
	;;#ASMEND
	;;#ASMSTART
	v_pk_mul_f32 v[4:5], v[54:55], v[2:3]
	;;#ASMEND
	;;#ASMSTART
	v_med3_f32 v4, v4, v8, v9
v_med3_f32 v5, v5, v8, v9
v_cvt_pk_fp8_f32 v6, v4, v5
	;;#ASMEND
	;;#ASMSTART
	v_pk_mul_f32 v[4:5], v[58:59], v[2:3]
	;;#ASMEND
	;;#ASMSTART
	v_med3_f32 v4, v4, v8, v9
v_med3_f32 v5, v5, v8, v9
v_cvt_pk_fp8_f32 v7, v4, v5
	;;#ASMEND
	v_perm_b32 v5, v7, v6, s3
	v_and_b32_e32 v4, 0xffffff00, v7
	v_and_b32_sdwa v6, v5, s7 dst_sel:DWORD dst_unused:UNUSED_PAD src0_sel:WORD_1 src1_sel:DWORD
	v_or_b32_sdwa v4, v6, v4 dst_sel:WORD_1 dst_unused:UNUSED_PAD src0_sel:DWORD src1_sel:DWORD
	v_and_or_b32 v4, v5, s2, v4
	;;#ASMSTART
	v_pk_mul_f32 v[6:7], v[52:53], v[2:3]
	;;#ASMEND
	v_mov_b32_e32 v5, v7
	;;#ASMSTART
	v_med3_f32 v6, v6, v8, v9
v_med3_f32 v5, v5, v8, v9
v_cvt_pk_fp8_f32 v10, v6, v5
	;;#ASMEND
	;;#ASMSTART
	v_pk_mul_f32 v[6:7], v[56:57], v[2:3]
	;;#ASMEND
	v_mov_b32_e32 v5, v6
	;;#ASMSTART
	v_med3_f32 v5, v5, v8, v9
v_med3_f32 v7, v7, v8, v9
v_cvt_pk_fp8_f32 v6, v5, v7
	;;#ASMEND
	v_lshlrev_b32_e32 v5, 16, v6
	v_and_or_b32 v5, v10, s2, v5
	s_movk_i32 s12, 0x200
	buffer_store_dwordx2 v[4:5], v1, s[20:23], s12 offen
	;;#ASMSTART
	s_nop 0
	;;#ASMEND
	;;#ASMSTART
	v_pk_mul_f32 v[4:5], v[46:47], v[2:3]
	;;#ASMEND
	;;#ASMSTART
	v_med3_f32 v4, v4, v8, v9
v_med3_f32 v5, v5, v8, v9
v_cvt_pk_fp8_f32 v6, v4, v5
	;;#ASMEND
	;;#ASMSTART
	v_pk_mul_f32 v[4:5], v[50:51], v[2:3]
	;;#ASMEND
	;;#ASMSTART
	v_med3_f32 v4, v4, v8, v9
v_med3_f32 v5, v5, v8, v9
v_cvt_pk_fp8_f32 v7, v4, v5
	;;#ASMEND
	v_perm_b32 v5, v7, v6, s3
	v_and_b32_e32 v4, 0xffffff00, v7
	v_and_b32_sdwa v6, v5, s7 dst_sel:DWORD dst_unused:UNUSED_PAD src0_sel:WORD_1 src1_sel:DWORD
	v_or_b32_sdwa v4, v6, v4 dst_sel:WORD_1 dst_unused:UNUSED_PAD src0_sel:DWORD src1_sel:DWORD
	v_and_or_b32 v4, v5, s2, v4
	;;#ASMSTART
	v_pk_mul_f32 v[6:7], v[44:45], v[2:3]
	;;#ASMEND
	v_mov_b32_e32 v5, v7
	;;#ASMSTART
	v_med3_f32 v6, v6, v8, v9
v_med3_f32 v5, v5, v8, v9
v_cvt_pk_fp8_f32 v10, v6, v5
	;;#ASMEND
	;;#ASMSTART
	v_pk_mul_f32 v[6:7], v[48:49], v[2:3]
	;;#ASMEND
	v_mov_b32_e32 v5, v6
	;;#ASMSTART
	v_med3_f32 v5, v5, v8, v9
v_med3_f32 v7, v7, v8, v9
v_cvt_pk_fp8_f32 v6, v5, v7
	;;#ASMEND
	v_lshlrev_b32_e32 v5, 16, v6
	v_and_or_b32 v5, v10, s2, v5
	s_movk_i32 s12, 0x400
	buffer_store_dwordx2 v[4:5], v1, s[20:23], s12 offen
	;;#ASMSTART
	s_nop 0
	;;#ASMEND
	;;#ASMSTART
	v_pk_mul_f32 v[4:5], v[40:41], v[2:3]
	;;#ASMEND
	;;#ASMSTART
	v_med3_f32 v4, v4, v8, v9
v_med3_f32 v5, v5, v8, v9
v_cvt_pk_fp8_f32 v6, v4, v5
	;;#ASMEND
	;;#ASMSTART
	v_pk_mul_f32 v[4:5], v[42:43], v[2:3]
	;;#ASMEND
	;;#ASMSTART
	v_med3_f32 v4, v4, v8, v9
v_med3_f32 v5, v5, v8, v9
v_cvt_pk_fp8_f32 v7, v4, v5
	;;#ASMEND
	v_perm_b32 v5, v7, v6, s3
	v_and_b32_e32 v4, 0xffffff00, v7
	v_and_b32_sdwa v6, v5, s7 dst_sel:DWORD dst_unused:UNUSED_PAD src0_sel:WORD_1 src1_sel:DWORD
	v_or_b32_sdwa v4, v6, v4 dst_sel:WORD_1 dst_unused:UNUSED_PAD src0_sel:DWORD src1_sel:DWORD
	v_and_or_b32 v4, v5, s2, v4
	;;#ASMSTART
	v_pk_mul_f32 v[6:7], v[38:39], v[2:3]
	;;#ASMEND
	v_mov_b32_e32 v5, v7
	;;#ASMSTART
	v_med3_f32 v6, v6, v8, v9
v_med3_f32 v5, v5, v8, v9
v_cvt_pk_fp8_f32 v7, v6, v5
	;;#ASMEND
	;;#ASMSTART
	v_pk_mul_f32 v[2:3], v[36:37], v[2:3]
	;;#ASMEND
	;;#ASMSTART
	v_med3_f32 v2, v2, v8, v9
v_med3_f32 v3, v3, v8, v9
v_cvt_pk_fp8_f32 v5, v2, v3
	;;#ASMEND
	v_lshlrev_b32_e32 v2, 16, v5
	v_and_or_b32 v5, v7, s2, v2
	s_movk_i32 s2, 0x600
	buffer_store_dwordx2 v[4:5], v1, s[20:23], s2 offen
	;;#ASMSTART
	s_nop 0
	;;#ASMEND
.LBB90_26:
	s_or_b64 exec, exec, s[10:11]
	s_cmp_lt_i32 s16, 1
	s_cbranch_scc1 .LBB90_12
.LBB90_27:
	s_load_dword s2, s[4:5], 0x94
	s_waitcnt lgkmcnt(0)
	s_cmp_lg_u32 s2, 1
	s_cbranch_scc1 .LBB90_12
; %bb.28:
	s_lshl_b32 s2, s16, 1
	s_add_i32 s2, s2, 2
	v_cmp_gt_u32_e32 vcc, s16, v1
	s_and_b32 s10, s2, -4
	v_mov_b32_e32 v34, 0
	v_lshlrev_b32_e32 v67, 1, v1
	v_mov_b32_e32 v30, 0
	v_mov_b32_e32 v31, 0
	;; [unrolled: 1-line block ×16, first 2 shown]
	s_waitcnt vmcnt(3)
	v_mov_b32_e32 v14, 0
	v_mov_b32_e32 v15, 0
	v_mov_b32_e32 v16, 0
	v_mov_b32_e32 v17, 0
	s_waitcnt vmcnt(2)
	v_mov_b32_e32 v10, 0
	v_mov_b32_e32 v11, 0
	v_mov_b32_e32 v12, 0
	v_mov_b32_e32 v13, 0
	;; [unrolled: 5-line block ×4, first 2 shown]
	s_barrier
	s_and_saveexec_b64 s[2:3], vcc
	s_cbranch_execz .LBB90_30
; %bb.29:
	s_mul_hi_i32 s5, s18, s6
	s_mul_i32 s4, s18, s6
	s_and_b32 s9, s9, 0xffff
	s_lshl_b64 s[4:5], s[4:5], 1
	s_add_u32 s20, s26, s4
	s_mov_b32 s11, 0x20000
	s_addc_u32 s4, s27, s5
	s_and_b32 s21, s4, 0xffff
	s_mov_b32 s22, s10
	s_mov_b32 s23, s11
	s_movk_i32 s5, 0x800
	s_movk_i32 s4, 0x400
	buffer_load_dwordx4 v[30:33], v67, s[20:23], 0 offen glc slc
	buffer_load_dwordx4 v[22:25], v67, s[20:23], s4 offen glc slc
	s_movk_i32 s7, 0xc00
	buffer_load_dwordx4 v[26:29], v67, s[20:23], s5 offen glc slc
	buffer_load_dwordx4 v[18:21], v67, s[20:23], s7 offen glc slc
	buffer_load_dwordx4 v[14:17], v67, s[8:11], 0 offen
	buffer_load_dwordx4 v[10:13], v67, s[8:11], s4 offen
	;; [unrolled: 1-line block ×4, first 2 shown]
.LBB90_30:
	s_or_b64 exec, exec, s[2:3]
	v_mov_b32_e32 v35, 0
	v_mov_b32_e32 v64, 0
	v_mov_b32_e32 v65, 0
	v_mov_b32_e32 v62, 0
	v_mov_b32_e32 v63, 0
	v_mov_b32_e32 v60, 0
	v_mov_b32_e32 v61, 0
	v_mov_b32_e32 v58, 0
	v_mov_b32_e32 v59, 0
	v_mov_b32_e32 v56, 0
	v_mov_b32_e32 v57, 0
	v_mov_b32_e32 v54, 0
	v_mov_b32_e32 v55, 0
	v_mov_b32_e32 v52, 0
	v_mov_b32_e32 v53, 0
	v_mov_b32_e32 v50, 0
	v_mov_b32_e32 v51, 0
	v_mov_b32_e32 v48, 0
	v_mov_b32_e32 v49, 0
	v_mov_b32_e32 v46, 0
	v_mov_b32_e32 v47, 0
	v_mov_b32_e32 v44, 0
	v_mov_b32_e32 v45, 0
	v_mov_b32_e32 v42, 0
	v_mov_b32_e32 v43, 0
	v_mov_b32_e32 v40, 0
	v_mov_b32_e32 v41, 0
	v_mov_b32_e32 v38, 0
	v_mov_b32_e32 v39, 0
	v_mov_b32_e32 v36, 0
	v_mov_b32_e32 v37, 0
	s_and_saveexec_b64 s[2:3], vcc
	s_cbranch_execz .LBB90_32
; %bb.31:
	s_waitcnt vmcnt(7)
	v_cvt_f32_u32_sdwa v34, v30 dst_sel:DWORD dst_unused:UNUSED_PAD src0_sel:WORD_0
	v_cvt_f32_u32_sdwa v35, v30 dst_sel:DWORD dst_unused:UNUSED_PAD src0_sel:WORD_1
	v_cvt_f32_u32_sdwa v64, v31 dst_sel:DWORD dst_unused:UNUSED_PAD src0_sel:WORD_0
	v_cvt_f32_u32_sdwa v65, v31 dst_sel:DWORD dst_unused:UNUSED_PAD src0_sel:WORD_1
	v_cvt_f32_u32_sdwa v62, v32 dst_sel:DWORD dst_unused:UNUSED_PAD src0_sel:WORD_0
	v_cvt_f32_u32_sdwa v63, v32 dst_sel:DWORD dst_unused:UNUSED_PAD src0_sel:WORD_1
	v_cvt_f32_u32_sdwa v60, v33 dst_sel:DWORD dst_unused:UNUSED_PAD src0_sel:WORD_0
	v_cvt_f32_u32_sdwa v61, v33 dst_sel:DWORD dst_unused:UNUSED_PAD src0_sel:WORD_1
	s_waitcnt vmcnt(6)
	v_cvt_f32_u32_sdwa v58, v22 dst_sel:DWORD dst_unused:UNUSED_PAD src0_sel:WORD_0
	v_cvt_f32_u32_sdwa v59, v22 dst_sel:DWORD dst_unused:UNUSED_PAD src0_sel:WORD_1
	v_cvt_f32_u32_sdwa v56, v23 dst_sel:DWORD dst_unused:UNUSED_PAD src0_sel:WORD_0
	v_cvt_f32_u32_sdwa v57, v23 dst_sel:DWORD dst_unused:UNUSED_PAD src0_sel:WORD_1
	v_cvt_f32_u32_sdwa v54, v24 dst_sel:DWORD dst_unused:UNUSED_PAD src0_sel:WORD_0
	v_cvt_f32_u32_sdwa v55, v24 dst_sel:DWORD dst_unused:UNUSED_PAD src0_sel:WORD_1
	v_cvt_f32_u32_sdwa v52, v25 dst_sel:DWORD dst_unused:UNUSED_PAD src0_sel:WORD_0
	v_cvt_f32_u32_sdwa v53, v25 dst_sel:DWORD dst_unused:UNUSED_PAD src0_sel:WORD_1
	;; [unrolled: 9-line block ×4, first 2 shown]
.LBB90_32:
	s_or_b64 exec, exec, s[2:3]
	v_mul_f32_e32 v1, v35, v35
	v_fmac_f32_e32 v1, v34, v34
	v_fmac_f32_e32 v1, v64, v64
	;; [unrolled: 1-line block ×31, first 2 shown]
	s_waitcnt vmcnt(4)
	s_nop 0
	v_mov_b32_dpp v18, v1 quad_perm:[1,0,3,2] row_mask:0xf bank_mask:0xf
	v_add_f32_e32 v1, v1, v18
	s_nop 1
	v_mov_b32_dpp v18, v1 quad_perm:[2,3,0,1] row_mask:0xf bank_mask:0xf
	v_add_f32_e32 v1, v1, v18
	s_nop 1
	v_mov_b32_dpp v18, v1 row_half_mirror row_mask:0xf bank_mask:0xf
	v_add_f32_e32 v1, v1, v18
	s_nop 1
	v_mov_b32_dpp v18, v1 row_mirror row_mask:0xf bank_mask:0xf
	v_add_f32_e32 v1, v1, v18
	s_nop 1
	v_mov_b32_dpp v18, v1 row_bcast:15 row_mask:0xf bank_mask:0xf
	v_add_f32_e32 v1, v1, v18
	s_nop 1
	v_mov_b32_dpp v18, v1 row_bcast:31 row_mask:0xf bank_mask:0xf
	s_and_saveexec_b64 s[2:3], s[0:1]
	s_cbranch_execz .LBB90_34
; %bb.33:
	v_lshrrev_b32_e32 v0, 4, v0
	v_add_f32_e32 v1, v1, v18
	v_and_b32_e32 v0, 60, v0
	ds_write_b32 v0, v1 offset:16
.LBB90_34:
	s_or_b64 exec, exec, s[2:3]
	s_waitcnt lgkmcnt(0)
	s_barrier
	ds_read_b32 v0, v66 offset:16
	s_waitcnt lgkmcnt(0)
	s_nop 0
	v_mov_b32_dpp v1, v0 quad_perm:[1,0,3,2] row_mask:0xf bank_mask:0xf
	v_add_f32_e32 v0, v0, v1
	s_nop 1
	v_mov_b32_dpp v1, v0 quad_perm:[2,3,0,1] row_mask:0xf bank_mask:0xf
	s_and_saveexec_b64 s[0:1], vcc
	s_cbranch_execz .LBB90_12
; %bb.35:
	v_cvt_f32_u32_e32 v18, s16
	v_add_f32_e32 v0, v0, v1
	s_mov_b32 s11, 0x20000
	v_div_scale_f32 v1, s[0:1], v18, v18, v0
	v_rcp_f32_e32 v19, v1
	v_div_scale_f32 v20, vcc, v0, v18, v0
	s_mov_b32 s0, 0x800000
	v_fma_f32 v21, -v1, v19, 1.0
	v_fmac_f32_e32 v19, v21, v19
	v_mul_f32_e32 v21, v20, v19
	v_fma_f32 v22, -v1, v21, v20
	v_fmac_f32_e32 v21, v22, v19
	v_fma_f32 v1, -v1, v21, v20
	v_div_fmas_f32 v1, v1, v19, v21
	v_div_fixup_f32 v0, v1, v18, v0
	v_add_f32_e32 v0, s13, v0
	v_mul_f32_e32 v1, 0x4b800000, v0
	v_cmp_gt_f32_e32 vcc, s0, v0
	v_cndmask_b32_e32 v0, v0, v1, vcc
	v_rsq_f32_e32 v0, v0
	s_mul_hi_i32 s1, s29, s6
	s_mul_i32 s0, s29, s6
	s_lshl_b64 s[0:1], s[0:1], 1
	v_mul_f32_e32 v1, 0x45800000, v0
	v_cndmask_b32_e32 v0, v0, v1, vcc
	v_mov_b32_e32 v1, v0
	;;#ASMSTART
	v_pk_mul_f32 v[22:23], v[34:35], v[0:1]
	;;#ASMEND
	;;#ASMSTART
	v_pk_mul_f32 v[24:25], v[64:65], v[0:1]
	;;#ASMEND
	;; [unrolled: 3-line block ×15, first 2 shown]
	s_waitcnt vmcnt(3)
	v_cvt_f32_u32_sdwa v39, v14 dst_sel:DWORD dst_unused:UNUSED_PAD src0_sel:WORD_1
	v_cvt_f32_u32_sdwa v38, v14 dst_sel:DWORD dst_unused:UNUSED_PAD src0_sel:WORD_0
	v_cvt_f32_u32_sdwa v41, v15 dst_sel:DWORD dst_unused:UNUSED_PAD src0_sel:WORD_1
	v_cvt_f32_u32_sdwa v40, v15 dst_sel:DWORD dst_unused:UNUSED_PAD src0_sel:WORD_0
	;;#ASMSTART
	v_pk_mul_f32 v[14:15], v[36:37], v[0:1]
	;;#ASMEND
	v_cvt_f32_u32_sdwa v37, v16 dst_sel:DWORD dst_unused:UNUSED_PAD src0_sel:WORD_1
	v_cvt_f32_u32_sdwa v36, v16 dst_sel:DWORD dst_unused:UNUSED_PAD src0_sel:WORD_0
	v_pk_add_f32 v[0:1], v[38:39], 1.0 op_sel_hi:[1,0]
	;;#ASMSTART
	v_pk_mul_f32 v[0:1], v[22:23], v[0:1]
	;;#ASMEND
	v_pk_add_f32 v[22:23], v[40:41], 1.0 op_sel_hi:[1,0]
	v_cvt_f32_u32_sdwa v39, v17 dst_sel:DWORD dst_unused:UNUSED_PAD src0_sel:WORD_1
	v_cvt_f32_u32_sdwa v38, v17 dst_sel:DWORD dst_unused:UNUSED_PAD src0_sel:WORD_0
	;;#ASMSTART
	v_pk_mul_f32 v[16:17], v[24:25], v[22:23]
	;;#ASMEND
	v_pk_add_f32 v[22:23], v[36:37], 1.0 op_sel_hi:[1,0]
	;;#ASMSTART
	v_pk_mul_f32 v[22:23], v[26:27], v[22:23]
	;;#ASMEND
	s_waitcnt vmcnt(2)
	v_cvt_f32_u32_sdwa v27, v10 dst_sel:DWORD dst_unused:UNUSED_PAD src0_sel:WORD_1
	v_cvt_f32_u32_sdwa v26, v10 dst_sel:DWORD dst_unused:UNUSED_PAD src0_sel:WORD_0
	v_pk_add_f32 v[24:25], v[38:39], 1.0 op_sel_hi:[1,0]
	v_cvt_f32_u32_sdwa v37, v11 dst_sel:DWORD dst_unused:UNUSED_PAD src0_sel:WORD_1
	v_cvt_f32_u32_sdwa v36, v11 dst_sel:DWORD dst_unused:UNUSED_PAD src0_sel:WORD_0
	;;#ASMSTART
	v_pk_mul_f32 v[10:11], v[28:29], v[24:25]
	;;#ASMEND
	v_pk_add_f32 v[24:25], v[26:27], 1.0 op_sel_hi:[1,0]
	;;#ASMSTART
	v_pk_mul_f32 v[24:25], v[30:31], v[24:25]
	;;#ASMEND
	v_cvt_f32_u32_sdwa v29, v12 dst_sel:DWORD dst_unused:UNUSED_PAD src0_sel:WORD_1
	v_cvt_f32_u32_sdwa v28, v12 dst_sel:DWORD dst_unused:UNUSED_PAD src0_sel:WORD_0
	v_cvt_f32_u32_sdwa v31, v13 dst_sel:DWORD dst_unused:UNUSED_PAD src0_sel:WORD_1
	v_cvt_f32_u32_sdwa v30, v13 dst_sel:DWORD dst_unused:UNUSED_PAD src0_sel:WORD_0
	v_pk_add_f32 v[26:27], v[36:37], 1.0 op_sel_hi:[1,0]
	;;#ASMSTART
	v_pk_mul_f32 v[12:13], v[32:33], v[26:27]
	;;#ASMEND
	v_pk_add_f32 v[26:27], v[28:29], 1.0 op_sel_hi:[1,0]
	v_pk_add_f32 v[28:29], v[30:31], 1.0 op_sel_hi:[1,0]
	s_waitcnt vmcnt(1)
	v_cvt_f32_u32_sdwa v31, v6 dst_sel:DWORD dst_unused:UNUSED_PAD src0_sel:WORD_1
	v_cvt_f32_u32_sdwa v30, v6 dst_sel:DWORD dst_unused:UNUSED_PAD src0_sel:WORD_0
	v_cvt_f32_u32_sdwa v33, v7 dst_sel:DWORD dst_unused:UNUSED_PAD src0_sel:WORD_1
	v_cvt_f32_u32_sdwa v32, v7 dst_sel:DWORD dst_unused:UNUSED_PAD src0_sel:WORD_0
	;;#ASMSTART
	v_pk_mul_f32 v[26:27], v[34:35], v[26:27]
	;;#ASMEND
	;;#ASMSTART
	v_pk_mul_f32 v[6:7], v[52:53], v[28:29]
	;;#ASMEND
	v_pk_add_f32 v[28:29], v[30:31], 1.0 op_sel_hi:[1,0]
	v_pk_add_f32 v[30:31], v[32:33], 1.0 op_sel_hi:[1,0]
	v_cvt_f32_u32_sdwa v33, v8 dst_sel:DWORD dst_unused:UNUSED_PAD src0_sel:WORD_1
	v_cvt_f32_u32_sdwa v32, v8 dst_sel:DWORD dst_unused:UNUSED_PAD src0_sel:WORD_0
	v_cvt_f32_u32_sdwa v35, v9 dst_sel:DWORD dst_unused:UNUSED_PAD src0_sel:WORD_1
	v_cvt_f32_u32_sdwa v34, v9 dst_sel:DWORD dst_unused:UNUSED_PAD src0_sel:WORD_0
	;;#ASMSTART
	v_pk_mul_f32 v[28:29], v[50:51], v[28:29]
	;;#ASMEND
	;;#ASMSTART
	v_pk_mul_f32 v[8:9], v[48:49], v[30:31]
	;;#ASMEND
	v_pk_add_f32 v[30:31], v[32:33], 1.0 op_sel_hi:[1,0]
	v_pk_add_f32 v[32:33], v[34:35], 1.0 op_sel_hi:[1,0]
	s_waitcnt vmcnt(0)
	v_cvt_f32_u32_sdwa v35, v2 dst_sel:DWORD dst_unused:UNUSED_PAD src0_sel:WORD_1
	v_cvt_f32_u32_sdwa v34, v2 dst_sel:DWORD dst_unused:UNUSED_PAD src0_sel:WORD_0
	v_cvt_f32_u32_sdwa v37, v3 dst_sel:DWORD dst_unused:UNUSED_PAD src0_sel:WORD_1
	v_cvt_f32_u32_sdwa v36, v3 dst_sel:DWORD dst_unused:UNUSED_PAD src0_sel:WORD_0
	;;#ASMSTART
	v_pk_mul_f32 v[30:31], v[46:47], v[30:31]
	;;#ASMEND
	v_pk_add_f32 v[2:3], v[34:35], 1.0 op_sel_hi:[1,0]
	;;#ASMSTART
	v_pk_mul_f32 v[32:33], v[44:45], v[32:33]
	;;#ASMEND
	;;#ASMSTART
	v_pk_mul_f32 v[34:35], v[42:43], v[2:3]
	;;#ASMEND
	v_pk_add_f32 v[2:3], v[36:37], 1.0 op_sel_hi:[1,0]
	v_cvt_f32_u32_sdwa v37, v4 dst_sel:DWORD dst_unused:UNUSED_PAD src0_sel:WORD_1
	v_cvt_f32_u32_sdwa v36, v4 dst_sel:DWORD dst_unused:UNUSED_PAD src0_sel:WORD_0
	v_cvt_f32_u32_sdwa v39, v5 dst_sel:DWORD dst_unused:UNUSED_PAD src0_sel:WORD_1
	v_cvt_f32_u32_sdwa v38, v5 dst_sel:DWORD dst_unused:UNUSED_PAD src0_sel:WORD_0
	s_add_u32 s8, s24, s0
	;;#ASMSTART
	v_pk_mul_f32 v[4:5], v[18:19], v[2:3]
	;;#ASMEND
	v_pk_add_f32 v[2:3], v[36:37], 1.0 op_sel_hi:[1,0]
	s_addc_u32 s0, s25, s1
	;;#ASMSTART
	v_pk_mul_f32 v[18:19], v[20:21], v[2:3]
	;;#ASMEND
	v_pk_add_f32 v[2:3], v[38:39], 1.0 op_sel_hi:[1,0]
	s_and_b32 s9, s0, 0xffff
	s_mov_b32 s0, 0x7060302
	;;#ASMSTART
	v_pk_mul_f32 v[14:15], v[14:15], v[2:3]
	;;#ASMEND
	v_perm_b32 v0, v1, v0, s0
	v_perm_b32 v1, v17, v16, s0
	v_perm_b32 v2, v23, v22, s0
	v_perm_b32 v3, v11, v10, s0
	buffer_store_dwordx4 v[0:3], v67, s[8:11], 0 offen
	s_movk_i32 s1, 0x400
	v_perm_b32 v0, v25, v24, s0
	v_perm_b32 v1, v13, v12, s0
	;; [unrolled: 1-line block ×4, first 2 shown]
	;;#ASMSTART
	s_nop 0
	;;#ASMEND
	buffer_store_dwordx4 v[0:3], v67, s[8:11], s1 offen
	v_perm_b32 v0, v29, v28, s0
	v_perm_b32 v1, v9, v8, s0
	;; [unrolled: 1-line block ×4, first 2 shown]
	s_movk_i32 s1, 0x800
	;;#ASMSTART
	s_nop 0
	;;#ASMEND
	buffer_store_dwordx4 v[0:3], v67, s[8:11], s1 offen
	v_perm_b32 v0, v35, v34, s0
	v_perm_b32 v1, v5, v4, s0
	v_perm_b32 v2, v19, v18, s0
	v_perm_b32 v3, v15, v14, s0
	s_movk_i32 s0, 0xc00
	;;#ASMSTART
	s_nop 0
	;;#ASMEND
	buffer_store_dwordx4 v[0:3], v67, s[8:11], s0 offen
	;;#ASMSTART
	s_nop 0
	;;#ASMEND
	s_endpgm
	.section	.rodata,"a",@progbits
	.p2align	6, 0x0
	.amdhsa_kernel _ZN5aiter35fused_qk_rmsnorm_group_quant_kernelItDB8_Li256ELi32ELi1ELb0ELb1ELb1ELb0ELb1ELb1EEEvPT0_PvPT_S6_S6_PKS5_S8_S8_S8_S8_ffiiiiiiiiiiiii
		.amdhsa_group_segment_fixed_size 48
		.amdhsa_private_segment_fixed_size 0
		.amdhsa_kernarg_size 400
		.amdhsa_user_sgpr_count 6
		.amdhsa_user_sgpr_private_segment_buffer 1
		.amdhsa_user_sgpr_dispatch_ptr 0
		.amdhsa_user_sgpr_queue_ptr 0
		.amdhsa_user_sgpr_kernarg_segment_ptr 1
		.amdhsa_user_sgpr_dispatch_id 0
		.amdhsa_user_sgpr_flat_scratch_init 0
		.amdhsa_user_sgpr_kernarg_preload_length 0
		.amdhsa_user_sgpr_kernarg_preload_offset 0
		.amdhsa_user_sgpr_private_segment_size 0
		.amdhsa_uses_dynamic_stack 0
		.amdhsa_system_sgpr_private_segment_wavefront_offset 0
		.amdhsa_system_sgpr_workgroup_id_x 1
		.amdhsa_system_sgpr_workgroup_id_y 1
		.amdhsa_system_sgpr_workgroup_id_z 0
		.amdhsa_system_sgpr_workgroup_info 0
		.amdhsa_system_vgpr_workitem_id 0
		.amdhsa_next_free_vgpr 68
		.amdhsa_next_free_sgpr 32
		.amdhsa_accum_offset 68
		.amdhsa_reserve_vcc 1
		.amdhsa_reserve_flat_scratch 0
		.amdhsa_float_round_mode_32 0
		.amdhsa_float_round_mode_16_64 0
		.amdhsa_float_denorm_mode_32 3
		.amdhsa_float_denorm_mode_16_64 3
		.amdhsa_dx10_clamp 1
		.amdhsa_ieee_mode 1
		.amdhsa_fp16_overflow 0
		.amdhsa_tg_split 0
		.amdhsa_exception_fp_ieee_invalid_op 0
		.amdhsa_exception_fp_denorm_src 0
		.amdhsa_exception_fp_ieee_div_zero 0
		.amdhsa_exception_fp_ieee_overflow 0
		.amdhsa_exception_fp_ieee_underflow 0
		.amdhsa_exception_fp_ieee_inexact 0
		.amdhsa_exception_int_div_zero 0
	.end_amdhsa_kernel
	.section	.text._ZN5aiter35fused_qk_rmsnorm_group_quant_kernelItDB8_Li256ELi32ELi1ELb0ELb1ELb1ELb0ELb1ELb1EEEvPT0_PvPT_S6_S6_PKS5_S8_S8_S8_S8_ffiiiiiiiiiiiii,"axG",@progbits,_ZN5aiter35fused_qk_rmsnorm_group_quant_kernelItDB8_Li256ELi32ELi1ELb0ELb1ELb1ELb0ELb1ELb1EEEvPT0_PvPT_S6_S6_PKS5_S8_S8_S8_S8_ffiiiiiiiiiiiii,comdat
.Lfunc_end90:
	.size	_ZN5aiter35fused_qk_rmsnorm_group_quant_kernelItDB8_Li256ELi32ELi1ELb0ELb1ELb1ELb0ELb1ELb1EEEvPT0_PvPT_S6_S6_PKS5_S8_S8_S8_S8_ffiiiiiiiiiiiii, .Lfunc_end90-_ZN5aiter35fused_qk_rmsnorm_group_quant_kernelItDB8_Li256ELi32ELi1ELb0ELb1ELb1ELb0ELb1ELb1EEEvPT0_PvPT_S6_S6_PKS5_S8_S8_S8_S8_ffiiiiiiiiiiiii
                                        ; -- End function
	.section	.AMDGPU.csdata,"",@progbits
; Kernel info:
; codeLenInByte = 6320
; NumSgprs: 36
; NumVgprs: 68
; NumAgprs: 0
; TotalNumVgprs: 68
; ScratchSize: 0
; MemoryBound: 0
; FloatMode: 240
; IeeeMode: 1
; LDSByteSize: 48 bytes/workgroup (compile time only)
; SGPRBlocks: 4
; VGPRBlocks: 8
; NumSGPRsForWavesPerEU: 36
; NumVGPRsForWavesPerEU: 68
; AccumOffset: 68
; Occupancy: 7
; WaveLimiterHint : 0
; COMPUTE_PGM_RSRC2:SCRATCH_EN: 0
; COMPUTE_PGM_RSRC2:USER_SGPR: 6
; COMPUTE_PGM_RSRC2:TRAP_HANDLER: 0
; COMPUTE_PGM_RSRC2:TGID_X_EN: 1
; COMPUTE_PGM_RSRC2:TGID_Y_EN: 1
; COMPUTE_PGM_RSRC2:TGID_Z_EN: 0
; COMPUTE_PGM_RSRC2:TIDIG_COMP_CNT: 0
; COMPUTE_PGM_RSRC3_GFX90A:ACCUM_OFFSET: 16
; COMPUTE_PGM_RSRC3_GFX90A:TG_SPLIT: 0
	.section	.text._ZN5aiter35fused_qk_rmsnorm_group_quant_kernelIDF16_DB8_Li256ELi32ELi1ELb0ELb1ELb0ELb0ELb1ELb1EEEvPT0_PvPT_S6_S6_PKS5_S8_S8_S8_S8_ffiiiiiiiiiiiii,"axG",@progbits,_ZN5aiter35fused_qk_rmsnorm_group_quant_kernelIDF16_DB8_Li256ELi32ELi1ELb0ELb1ELb0ELb0ELb1ELb1EEEvPT0_PvPT_S6_S6_PKS5_S8_S8_S8_S8_ffiiiiiiiiiiiii,comdat
	.protected	_ZN5aiter35fused_qk_rmsnorm_group_quant_kernelIDF16_DB8_Li256ELi32ELi1ELb0ELb1ELb0ELb0ELb1ELb1EEEvPT0_PvPT_S6_S6_PKS5_S8_S8_S8_S8_ffiiiiiiiiiiiii ; -- Begin function _ZN5aiter35fused_qk_rmsnorm_group_quant_kernelIDF16_DB8_Li256ELi32ELi1ELb0ELb1ELb0ELb0ELb1ELb1EEEvPT0_PvPT_S6_S6_PKS5_S8_S8_S8_S8_ffiiiiiiiiiiiii
	.globl	_ZN5aiter35fused_qk_rmsnorm_group_quant_kernelIDF16_DB8_Li256ELi32ELi1ELb0ELb1ELb0ELb0ELb1ELb1EEEvPT0_PvPT_S6_S6_PKS5_S8_S8_S8_S8_ffiiiiiiiiiiiii
	.p2align	8
	.type	_ZN5aiter35fused_qk_rmsnorm_group_quant_kernelIDF16_DB8_Li256ELi32ELi1ELb0ELb1ELb0ELb0ELb1ELb1EEEvPT0_PvPT_S6_S6_PKS5_S8_S8_S8_S8_ffiiiiiiiiiiiii,@function
_ZN5aiter35fused_qk_rmsnorm_group_quant_kernelIDF16_DB8_Li256ELi32ELi1ELb0ELb1ELb0ELb0ELb1ELb1EEEvPT0_PvPT_S6_S6_PKS5_S8_S8_S8_S8_ffiiiiiiiiiiiii: ; @_ZN5aiter35fused_qk_rmsnorm_group_quant_kernelIDF16_DB8_Li256ELi32ELi1ELb0ELb1ELb0ELb0ELb1ELb1EEEvPT0_PvPT_S6_S6_PKS5_S8_S8_S8_S8_ffiiiiiiiiiiiii
; %bb.0:
	s_load_dwordx4 s[12:15], s[4:5], 0x50
	s_waitcnt lgkmcnt(0)
	s_cmp_ge_i32 s6, s14
	s_cbranch_scc1 .LBB91_12
; %bb.1:
	s_load_dwordx2 s[8:9], s[4:5], 0x48
	s_load_dwordx2 s[26:27], s[4:5], 0x30
	s_load_dwordx4 s[16:19], s[4:5], 0x60
	s_cmp_lg_u32 s7, 0
	s_cselect_b64 s[10:11], -1, 0
	s_cmp_eq_u32 s7, 0
	s_cselect_b64 vcc, -1, 0
	s_and_b64 s[0:1], vcc, exec
	s_waitcnt lgkmcnt(0)
	s_cselect_b32 s7, s15, s16
	s_add_i32 s0, s7, 1
	s_lshr_b32 s1, s0, 31
	s_add_i32 s0, s0, s1
	s_lshl_b32 s0, s0, 1
	v_lshlrev_b32_e32 v2, 5, v0
	s_and_b32 s22, s0, -4
	v_lshlrev_b32_e32 v1, 3, v0
	v_and_b32_e32 v2, 0x7800, v2
	s_movk_i32 s0, 0x1f8
	v_and_or_b32 v1, v1, s0, v2
	v_cmp_gt_i32_e64 s[2:3], s7, v1
	v_mov_b32_e32 v34, 0
	v_mov_b32_e32 v14, 0
	;; [unrolled: 1-line block ×33, first 2 shown]
	s_and_saveexec_b64 s[0:1], s[2:3]
	s_cbranch_execz .LBB91_3
; %bb.2:
	s_load_dwordx2 s[20:21], s[4:5], 0x28
	s_load_dwordx2 s[24:25], s[4:5], 0x40
	s_and_b64 s[28:29], vcc, exec
	s_cselect_b32 s14, s17, s18
	s_mov_b32 s23, 0x20000
	s_waitcnt lgkmcnt(0)
	s_cselect_b32 s17, s21, s27
	s_cselect_b32 s19, s20, s26
	s_mul_hi_i32 s21, s14, s6
	s_mul_i32 s20, s14, s6
	s_lshl_b64 s[20:21], s[20:21], 1
	s_add_u32 s28, s19, s20
	s_addc_u32 s14, s17, s21
	s_and_b64 s[20:21], vcc, exec
	s_cselect_b32 s17, s25, s9
	s_cselect_b32 s20, s24, s8
	s_and_b32 s21, s17, 0xffff
	s_and_b32 s29, s14, 0xffff
	s_mov_b32 s30, s22
	s_mov_b32 s31, s23
	v_lshlrev_b32_e32 v35, 1, v1
	s_movk_i32 s17, 0x800
	s_movk_i32 s14, 0x400
	buffer_load_dwordx4 v[30:33], v35, s[28:31], 0 offen glc slc
	buffer_load_dwordx4 v[22:25], v35, s[28:31], s14 offen glc slc
	s_movk_i32 s19, 0xc00
	buffer_load_dwordx4 v[26:29], v35, s[28:31], s17 offen glc slc
	buffer_load_dwordx4 v[18:21], v35, s[28:31], s19 offen glc slc
	buffer_load_dwordx4 v[14:17], v35, s[20:23], 0 offen
	buffer_load_dwordx4 v[10:13], v35, s[20:23], s14 offen
	;; [unrolled: 1-line block ×4, first 2 shown]
.LBB91_3:
	s_or_b64 exec, exec, s[0:1]
	v_mov_b32_e32 v35, 0
	v_mov_b32_e32 v64, 0
	;; [unrolled: 1-line block ×31, first 2 shown]
	s_and_saveexec_b64 s[0:1], s[2:3]
	s_cbranch_execz .LBB91_5
; %bb.4:
	s_waitcnt vmcnt(7)
	v_cvt_f32_f16_sdwa v35, v30 dst_sel:DWORD dst_unused:UNUSED_PAD src0_sel:WORD_1
	v_cvt_f32_f16_e32 v34, v30
	v_cvt_f32_f16_sdwa v65, v31 dst_sel:DWORD dst_unused:UNUSED_PAD src0_sel:WORD_1
	v_cvt_f32_f16_e32 v64, v31
	v_cvt_f32_f16_sdwa v61, v32 dst_sel:DWORD dst_unused:UNUSED_PAD src0_sel:WORD_1
	v_cvt_f32_f16_e32 v60, v32
	v_cvt_f32_f16_sdwa v57, v33 dst_sel:DWORD dst_unused:UNUSED_PAD src0_sel:WORD_1
	v_cvt_f32_f16_e32 v56, v33
	s_waitcnt vmcnt(6)
	v_cvt_f32_f16_sdwa v63, v22 dst_sel:DWORD dst_unused:UNUSED_PAD src0_sel:WORD_1
	v_cvt_f32_f16_e32 v62, v22
	v_cvt_f32_f16_sdwa v59, v23 dst_sel:DWORD dst_unused:UNUSED_PAD src0_sel:WORD_1
	v_cvt_f32_f16_e32 v58, v23
	v_cvt_f32_f16_sdwa v53, v24 dst_sel:DWORD dst_unused:UNUSED_PAD src0_sel:WORD_1
	v_cvt_f32_f16_e32 v52, v24
	v_cvt_f32_f16_sdwa v49, v25 dst_sel:DWORD dst_unused:UNUSED_PAD src0_sel:WORD_1
	v_cvt_f32_f16_e32 v48, v25
	s_waitcnt vmcnt(5)
	v_cvt_f32_f16_sdwa v55, v26 dst_sel:DWORD dst_unused:UNUSED_PAD src0_sel:WORD_1
	v_cvt_f32_f16_e32 v54, v26
	v_cvt_f32_f16_sdwa v51, v27 dst_sel:DWORD dst_unused:UNUSED_PAD src0_sel:WORD_1
	v_cvt_f32_f16_e32 v50, v27
	v_cvt_f32_f16_sdwa v45, v28 dst_sel:DWORD dst_unused:UNUSED_PAD src0_sel:WORD_1
	v_cvt_f32_f16_e32 v44, v28
	v_cvt_f32_f16_sdwa v41, v29 dst_sel:DWORD dst_unused:UNUSED_PAD src0_sel:WORD_1
	v_cvt_f32_f16_e32 v40, v29
	s_waitcnt vmcnt(4)
	v_cvt_f32_f16_sdwa v47, v18 dst_sel:DWORD dst_unused:UNUSED_PAD src0_sel:WORD_1
	v_cvt_f32_f16_e32 v46, v18
	v_cvt_f32_f16_sdwa v43, v19 dst_sel:DWORD dst_unused:UNUSED_PAD src0_sel:WORD_1
	v_cvt_f32_f16_e32 v42, v19
	v_cvt_f32_f16_sdwa v39, v20 dst_sel:DWORD dst_unused:UNUSED_PAD src0_sel:WORD_1
	v_cvt_f32_f16_e32 v38, v20
	v_cvt_f32_f16_sdwa v37, v21 dst_sel:DWORD dst_unused:UNUSED_PAD src0_sel:WORD_1
	v_cvt_f32_f16_e32 v36, v21
.LBB91_5:
	s_or_b64 exec, exec, s[0:1]
	s_waitcnt vmcnt(4)
	v_mul_f32_e32 v18, v35, v35
	v_fmac_f32_e32 v18, v34, v34
	v_fmac_f32_e32 v18, v64, v64
	;; [unrolled: 1-line block ×31, first 2 shown]
	v_and_b32_e32 v20, 63, v0
	v_cmp_eq_u32_e64 s[0:1], 63, v20
	v_mov_b32_dpp v19, v18 quad_perm:[1,0,3,2] row_mask:0xf bank_mask:0xf
	v_add_f32_e32 v18, v18, v19
	s_nop 1
	v_mov_b32_dpp v19, v18 quad_perm:[2,3,0,1] row_mask:0xf bank_mask:0xf
	v_add_f32_e32 v18, v18, v19
	s_nop 1
	v_mov_b32_dpp v19, v18 row_half_mirror row_mask:0xf bank_mask:0xf
	v_add_f32_e32 v18, v18, v19
	s_nop 1
	v_mov_b32_dpp v19, v18 row_mirror row_mask:0xf bank_mask:0xf
	v_add_f32_e32 v18, v18, v19
	s_nop 1
	v_mov_b32_dpp v19, v18 row_bcast:15 row_mask:0xf bank_mask:0xf
	v_add_f32_e32 v18, v18, v19
	s_nop 1
	v_mov_b32_dpp v19, v18 row_bcast:31 row_mask:0xf bank_mask:0xf
	s_and_saveexec_b64 s[20:21], s[0:1]
	s_cbranch_execz .LBB91_7
; %bb.6:
	v_add_f32_e32 v18, v18, v19
	v_lshrrev_b32_e32 v19, 4, v0
	v_and_b32_e32 v19, 60, v19
	ds_write_b32 v19, v18 offset:32
.LBB91_7:
	s_or_b64 exec, exec, s[20:21]
	v_and_b32_e32 v18, 3, v0
	v_lshlrev_b32_e32 v66, 2, v18
	s_waitcnt lgkmcnt(0)
	s_barrier
	ds_read_b32 v18, v66 offset:32
	s_load_dwordx2 s[24:25], s[4:5], 0x18
	s_waitcnt lgkmcnt(0)
	v_mov_b32_dpp v19, v18 quad_perm:[1,0,3,2] row_mask:0xf bank_mask:0xf
	v_add_f32_e32 v18, v18, v19
	s_nop 1
	v_mov_b32_dpp v19, v18 quad_perm:[2,3,0,1] row_mask:0xf bank_mask:0xf
	s_and_saveexec_b64 s[20:21], s[2:3]
	s_cbranch_execz .LBB91_9
; %bb.8:
	v_cvt_f32_u32_e32 v20, s7
	v_add_f32_e32 v18, v18, v19
	v_mov_b32_e32 v22, s13
	v_mov_b32_e32 v23, s12
	v_div_scale_f32 v19, s[28:29], v20, v20, v18
	v_rcp_f32_e32 v21, v19
	v_cndmask_b32_e32 v22, v22, v23, vcc
	s_mov_b32 s7, 0x800000
	v_fma_f32 v23, -v19, v21, 1.0
	v_fmac_f32_e32 v21, v23, v21
	v_div_scale_f32 v23, vcc, v18, v20, v18
	v_mul_f32_e32 v24, v23, v21
	v_fma_f32 v25, -v19, v24, v23
	v_fmac_f32_e32 v24, v25, v21
	v_fma_f32 v19, -v19, v24, v23
	v_div_fmas_f32 v19, v19, v21, v24
	v_div_fixup_f32 v18, v19, v20, v18
	v_add_f32_e32 v18, v22, v18
	v_mul_f32_e32 v19, 0x4b800000, v18
	v_cmp_gt_f32_e32 vcc, s7, v18
	v_cndmask_b32_e32 v18, v18, v19, vcc
	v_rsq_f32_e32 v18, v18
	v_mul_f32_e32 v19, 0x45800000, v18
	v_cndmask_b32_e32 v20, v18, v19, vcc
	v_mov_b32_e32 v21, v20
	;;#ASMSTART
	v_pk_mul_f32 v[22:23], v[34:35], v[20:21]
	;;#ASMEND
	;;#ASMSTART
	v_pk_mul_f32 v[24:25], v[64:65], v[20:21]
	;;#ASMEND
	;; [unrolled: 3-line block ×16, first 2 shown]
	s_waitcnt vmcnt(3)
	v_cvt_f32_f16_sdwa v35, v14 dst_sel:DWORD dst_unused:UNUSED_PAD src0_sel:WORD_1
	v_cvt_f32_f16_e32 v34, v14
	v_cvt_f32_f16_sdwa v37, v15 dst_sel:DWORD dst_unused:UNUSED_PAD src0_sel:WORD_1
	v_cvt_f32_f16_e32 v36, v15
	;; [unrolled: 2-line block ×4, first 2 shown]
	;;#ASMSTART
	v_pk_mul_f32 v[34:35], v[22:23], v[34:35]
	;;#ASMEND
	;;#ASMSTART
	v_pk_mul_f32 v[64:65], v[24:25], v[36:37]
	;;#ASMEND
	;; [unrolled: 3-line block ×3, first 2 shown]
	s_waitcnt vmcnt(2)
	v_cvt_f32_f16_sdwa v15, v10 dst_sel:DWORD dst_unused:UNUSED_PAD src0_sel:WORD_1
	v_cvt_f32_f16_e32 v14, v10
	v_cvt_f32_f16_sdwa v17, v11 dst_sel:DWORD dst_unused:UNUSED_PAD src0_sel:WORD_1
	v_cvt_f32_f16_e32 v16, v11
	;; [unrolled: 2-line block ×3, first 2 shown]
	;;#ASMSTART
	v_pk_mul_f32 v[56:57], v[28:29], v[46:47]
	;;#ASMEND
	v_cvt_f32_f16_sdwa v23, v13 dst_sel:DWORD dst_unused:UNUSED_PAD src0_sel:WORD_1
	v_cvt_f32_f16_e32 v22, v13
	;;#ASMSTART
	v_pk_mul_f32 v[62:63], v[30:31], v[14:15]
	;;#ASMEND
	;;#ASMSTART
	v_pk_mul_f32 v[58:59], v[32:33], v[16:17]
	;;#ASMEND
	;; [unrolled: 3-line block ×3, first 2 shown]
	s_waitcnt vmcnt(1)
	v_cvt_f32_f16_sdwa v11, v6 dst_sel:DWORD dst_unused:UNUSED_PAD src0_sel:WORD_1
	v_cvt_f32_f16_e32 v10, v6
	v_cvt_f32_f16_sdwa v13, v7 dst_sel:DWORD dst_unused:UNUSED_PAD src0_sel:WORD_1
	v_cvt_f32_f16_e32 v12, v7
	v_cvt_f32_f16_sdwa v7, v8 dst_sel:DWORD dst_unused:UNUSED_PAD src0_sel:WORD_1
	v_cvt_f32_f16_e32 v6, v8
	;;#ASMSTART
	v_pk_mul_f32 v[48:49], v[48:49], v[22:23]
	;;#ASMEND
	v_cvt_f32_f16_sdwa v15, v9 dst_sel:DWORD dst_unused:UNUSED_PAD src0_sel:WORD_1
	v_cvt_f32_f16_e32 v14, v9
	;;#ASMSTART
	v_pk_mul_f32 v[54:55], v[54:55], v[10:11]
	;;#ASMEND
	;;#ASMSTART
	v_pk_mul_f32 v[50:51], v[50:51], v[12:13]
	;;#ASMEND
	;; [unrolled: 3-line block ×4, first 2 shown]
	s_waitcnt vmcnt(0)
	v_cvt_f32_f16_sdwa v7, v2 dst_sel:DWORD dst_unused:UNUSED_PAD src0_sel:WORD_1
	v_cvt_f32_f16_e32 v6, v2
	v_cvt_f32_f16_sdwa v9, v3 dst_sel:DWORD dst_unused:UNUSED_PAD src0_sel:WORD_1
	v_cvt_f32_f16_e32 v8, v3
	;; [unrolled: 2-line block ×4, first 2 shown]
	;;#ASMSTART
	v_pk_mul_f32 v[46:47], v[18:19], v[6:7]
	;;#ASMEND
	;;#ASMSTART
	v_pk_mul_f32 v[42:43], v[42:43], v[8:9]
	;;#ASMEND
	;;#ASMSTART
	v_pk_mul_f32 v[38:39], v[38:39], v[2:3]
	;;#ASMEND
	;;#ASMSTART
	v_pk_mul_f32 v[36:37], v[20:21], v[10:11]
	;;#ASMEND
.LBB91_9:
	s_or_b64 exec, exec, s[20:21]
	s_load_dwordx2 s[28:29], s[4:5], 0x7c
	s_mov_b64 s[20:21], -1
	s_and_b64 vcc, exec, s[10:11]
	s_cbranch_vccnz .LBB91_13
; %bb.10:
	s_andn2_b64 vcc, exec, s[20:21]
	s_cbranch_vccz .LBB91_16
.LBB91_11:
	s_cmp_lt_i32 s16, 1
	s_cbranch_scc0 .LBB91_27
.LBB91_12:
	s_endpgm
.LBB91_13:
	s_and_saveexec_b64 s[10:11], s[2:3]
	s_cbranch_execz .LBB91_15
; %bb.14:
	s_waitcnt lgkmcnt(0)
	s_mul_hi_i32 s21, s29, s6
	s_mul_i32 s20, s29, s6
	s_waitcnt vmcnt(0)
	v_cvt_f16_f32_e32 v2, v34
	v_cvt_f16_f32_e32 v3, v64
	;; [unrolled: 1-line block ×8, first 2 shown]
	s_lshl_b64 s[20:21], s[20:21], 1
	s_add_u32 s20, s24, s20
	s_addc_u32 s7, s25, s21
	s_and_b32 s21, s7, 0xffff
	s_mov_b32 s23, 0x20000
	v_pack_b32_f16 v5, v5, v6
	v_pack_b32_f16 v4, v4, v7
	;; [unrolled: 1-line block ×4, first 2 shown]
	v_lshlrev_b32_e32 v6, 1, v1
	buffer_store_dwordx4 v[2:5], v6, s[20:23], 0 offen
	v_cvt_f16_f32_e32 v7, v49
	v_cvt_f16_f32_e32 v2, v62
	v_cvt_f16_f32_e32 v3, v58
	v_cvt_f16_f32_e32 v4, v52
	v_cvt_f16_f32_e32 v5, v48
	v_cvt_f16_f32_e32 v8, v53
	v_cvt_f16_f32_e32 v9, v59
	v_cvt_f16_f32_e32 v10, v63
	v_pack_b32_f16 v5, v5, v7
	v_pack_b32_f16 v4, v4, v8
	v_pack_b32_f16 v3, v3, v9
	v_pack_b32_f16 v2, v2, v10
	s_movk_i32 s7, 0x400
	;;#ASMSTART
	s_nop 0
	;;#ASMEND
	buffer_store_dwordx4 v[2:5], v6, s[20:23], s7 offen
	v_cvt_f16_f32_e32 v2, v54
	v_cvt_f16_f32_e32 v3, v50
	v_cvt_f16_f32_e32 v4, v44
	v_cvt_f16_f32_e32 v5, v40
	v_cvt_f16_f32_e32 v7, v41
	v_cvt_f16_f32_e32 v8, v45
	v_cvt_f16_f32_e32 v9, v51
	v_cvt_f16_f32_e32 v10, v55
	v_pack_b32_f16 v5, v5, v7
	v_pack_b32_f16 v4, v4, v8
	v_pack_b32_f16 v3, v3, v9
	v_pack_b32_f16 v2, v2, v10
	s_movk_i32 s7, 0x800
	;;#ASMSTART
	s_nop 0
	;;#ASMEND
	;; [unrolled: 17-line block ×3, first 2 shown]
	buffer_store_dwordx4 v[2:5], v6, s[20:23], s7 offen
	;;#ASMSTART
	s_nop 0
	;;#ASMEND
.LBB91_15:
	s_or_b64 exec, exec, s[10:11]
	s_cbranch_execnz .LBB91_11
.LBB91_16:
	s_waitcnt vmcnt(0)
	v_mov_b32_e32 v2, 0
	s_and_saveexec_b64 s[10:11], s[2:3]
	s_cbranch_execz .LBB91_18
; %bb.17:
	s_load_dwordx2 s[20:21], s[4:5], 0x10
	s_waitcnt lgkmcnt(0)
	s_mul_hi_i32 s31, s28, s6
	s_mul_i32 s30, s28, s6
	v_cvt_f16_f32_e32 v2, v34
	v_cvt_f16_f32_e32 v3, v64
	;; [unrolled: 1-line block ×8, first 2 shown]
	s_lshl_b64 s[30:31], s[30:31], 1
	s_add_u32 s20, s20, s30
	s_addc_u32 s7, s21, s31
	s_mov_b32 s23, 0x20000
	s_and_b32 s21, s7, 0xffff
	v_pack_b32_f16 v5, v5, v6
	v_pack_b32_f16 v4, v4, v7
	;; [unrolled: 1-line block ×4, first 2 shown]
	v_lshlrev_b32_e32 v6, 1, v1
	buffer_store_dwordx4 v[2:5], v6, s[20:23], 0 offen
	v_cvt_f16_f32_e32 v7, v49
	v_cvt_f16_f32_e32 v2, v62
	v_cvt_f16_f32_e32 v3, v58
	v_cvt_f16_f32_e32 v4, v52
	v_cvt_f16_f32_e32 v5, v48
	v_cvt_f16_f32_e32 v8, v53
	v_cvt_f16_f32_e32 v9, v59
	v_cvt_f16_f32_e32 v10, v63
	v_pack_b32_f16 v5, v5, v7
	v_pack_b32_f16 v4, v4, v8
	v_pack_b32_f16 v3, v3, v9
	v_pack_b32_f16 v2, v2, v10
	s_movk_i32 s7, 0x400
	;;#ASMSTART
	s_nop 0
	;;#ASMEND
	buffer_store_dwordx4 v[2:5], v6, s[20:23], s7 offen
	v_cvt_f16_f32_e32 v2, v54
	v_cvt_f16_f32_e32 v3, v50
	v_cvt_f16_f32_e32 v4, v44
	v_cvt_f16_f32_e32 v5, v40
	v_cvt_f16_f32_e32 v7, v41
	v_cvt_f16_f32_e32 v8, v45
	v_cvt_f16_f32_e32 v9, v51
	v_cvt_f16_f32_e32 v10, v55
	v_pack_b32_f16 v5, v5, v7
	v_pack_b32_f16 v4, v4, v8
	v_pack_b32_f16 v3, v3, v9
	v_pack_b32_f16 v2, v2, v10
	s_movk_i32 s7, 0x800
	;;#ASMSTART
	s_nop 0
	;;#ASMEND
	;; [unrolled: 17-line block ×3, first 2 shown]
	buffer_store_dwordx4 v[2:5], v6, s[20:23], s7 offen
	v_mov_b32_e32 v2, 0x2edbe6ff
	;;#ASMSTART
	s_nop 0
	;;#ASMEND
.LBB91_18:
	s_or_b64 exec, exec, s[10:11]
	s_and_saveexec_b64 s[10:11], s[2:3]
	s_cbranch_execz .LBB91_20
; %bb.19:
	v_and_b32_e32 v3, 0x7fffffff, v34
	v_and_b32_e32 v4, 0x7fffffff, v35
	;;#ASMSTART
	v_max3_f32 v2, v2, v3, v4

	;;#ASMEND
	v_and_b32_e32 v3, 0x7fffffff, v64
	v_and_b32_e32 v4, 0x7fffffff, v65
	;;#ASMSTART
	v_max3_f32 v2, v2, v3, v4

	;;#ASMEND
	;; [unrolled: 6-line block ×16, first 2 shown]
.LBB91_20:
	s_or_b64 exec, exec, s[10:11]
	s_nop 0
	v_mov_b32_dpp v3, v2 quad_perm:[1,0,3,2] row_mask:0xf bank_mask:0xf
	v_cmp_gt_f32_e32 vcc, v2, v3
	v_cndmask_b32_e32 v2, v3, v2, vcc
	s_nop 1
	v_mov_b32_dpp v3, v2 quad_perm:[2,3,0,1] row_mask:0xf bank_mask:0xf
	v_cmp_gt_f32_e32 vcc, v2, v3
	v_cndmask_b32_e32 v2, v3, v2, vcc
	s_nop 1
	v_mov_b32_dpp v3, v2 row_half_mirror row_mask:0xf bank_mask:0xf
	v_cmp_gt_f32_e32 vcc, v2, v3
	v_cndmask_b32_e32 v2, v3, v2, vcc
	s_nop 1
	v_mov_b32_dpp v3, v2 row_mirror row_mask:0xf bank_mask:0xf
	v_cmp_gt_f32_e32 vcc, v2, v3
	v_cndmask_b32_e32 v2, v3, v2, vcc
	s_nop 1
	v_mov_b32_dpp v3, v2 row_bcast:15 row_mask:0xf bank_mask:0xf
	v_cmp_gt_f32_e32 vcc, v2, v3
	v_cndmask_b32_e32 v2, v3, v2, vcc
	s_nop 1
	v_mov_b32_dpp v3, v2 row_bcast:31 row_mask:0xf bank_mask:0xf
	s_and_saveexec_b64 s[10:11], s[0:1]
	s_cbranch_execz .LBB91_22
; %bb.21:
	v_cmp_gt_f32_e32 vcc, v2, v3
	v_cndmask_b32_e32 v2, v3, v2, vcc
	v_lshrrev_b32_e32 v3, 4, v0
	v_and_b32_e32 v3, 60, v3
	ds_write_b32 v3, v2
.LBB91_22:
	s_or_b64 exec, exec, s[10:11]
	s_waitcnt lgkmcnt(0)
	s_barrier
	ds_read_b32 v2, v66
	s_load_dwordx2 s[20:21], s[4:5], 0x70
	s_waitcnt lgkmcnt(0)
	v_mov_b32_dpp v3, v2 quad_perm:[1,0,3,2] row_mask:0xf bank_mask:0xf
	v_cmp_gt_f32_e32 vcc, v2, v3
	v_cndmask_b32_e32 v2, v3, v2, vcc
	s_nop 1
	v_mov_b32_dpp v3, v2 quad_perm:[2,3,0,1] row_mask:0xf bank_mask:0xf
	v_cmp_gt_f32_e32 vcc, v2, v3
	v_cndmask_b32_e32 v2, v3, v2, vcc
	v_mul_f32_e32 v2, 0x3b124925, v2
	v_cmp_eq_u32_e32 vcc, 0, v0
	s_and_saveexec_b64 s[10:11], vcc
	s_cbranch_execz .LBB91_24
; %bb.23:
	s_load_dwordx2 s[22:23], s[4:5], 0x8
	s_mul_hi_i32 s31, s21, s6
	s_mul_i32 s30, s21, s6
	s_lshl_b64 s[30:31], s[30:31], 2
	v_mov_b32_e32 v3, 0
	s_waitcnt lgkmcnt(0)
	s_add_u32 s22, s22, s30
	s_addc_u32 s23, s23, s31
	global_store_dword v3, v2, s[22:23]
.LBB91_24:
	s_or_b64 exec, exec, s[10:11]
	;;#ASMSTART
	v_rcp_f32 v2, v2
	;;#ASMEND
	s_and_saveexec_b64 s[10:11], s[2:3]
	s_cbranch_execz .LBB91_26
; %bb.25:
	s_load_dwordx2 s[22:23], s[4:5], 0x0
	s_mul_i32 s7, s20, s6
	s_mul_hi_i32 s3, s20, s6
	v_mov_b32_e32 v3, v2
	;;#ASMSTART
	v_pk_mul_f32 v[4:5], v[34:35], v[2:3]
	;;#ASMEND
	s_waitcnt lgkmcnt(0)
	s_add_u32 s20, s22, s7
	s_addc_u32 s3, s23, s3
	s_add_i32 s7, s15, 3
	s_ashr_i32 s12, s7, 31
	v_mov_b32_e32 v8, 0xc3e00000
	v_mov_b32_e32 v9, 0x43e00000
	;;#ASMSTART
	v_med3_f32 v4, v4, v8, v9
v_med3_f32 v5, v5, v8, v9
v_cvt_pk_fp8_f32 v6, v4, v5
	;;#ASMEND
	s_lshr_b32 s12, s12, 30
	;;#ASMSTART
	v_pk_mul_f32 v[4:5], v[64:65], v[2:3]
	;;#ASMEND
	s_add_i32 s7, s7, s12
	s_and_b32 s21, s3, 0xffff
	;;#ASMSTART
	v_med3_f32 v4, v4, v8, v9
v_med3_f32 v5, v5, v8, v9
v_cvt_pk_fp8_f32 v7, v4, v5
	;;#ASMEND
	s_mov_b32 s3, 0x5040100
	s_and_b32 s22, s7, -4
	v_perm_b32 v5, v7, v6, s3
	s_movk_i32 s7, 0xff
	v_and_b32_e32 v4, 0xffffff00, v7
	v_and_b32_sdwa v6, v5, s7 dst_sel:DWORD dst_unused:UNUSED_PAD src0_sel:WORD_1 src1_sel:DWORD
	s_mov_b32 s2, 0xffff
	v_or_b32_sdwa v4, v6, v4 dst_sel:WORD_1 dst_unused:UNUSED_PAD src0_sel:DWORD src1_sel:DWORD
	v_and_or_b32 v4, v5, s2, v4
	;;#ASMSTART
	v_pk_mul_f32 v[6:7], v[60:61], v[2:3]
	;;#ASMEND
	v_mov_b32_e32 v5, v7
	;;#ASMSTART
	v_med3_f32 v6, v6, v8, v9
v_med3_f32 v5, v5, v8, v9
v_cvt_pk_fp8_f32 v10, v6, v5
	;;#ASMEND
	;;#ASMSTART
	v_pk_mul_f32 v[6:7], v[56:57], v[2:3]
	;;#ASMEND
	v_mov_b32_e32 v5, v6
	;;#ASMSTART
	v_med3_f32 v5, v5, v8, v9
v_med3_f32 v7, v7, v8, v9
v_cvt_pk_fp8_f32 v6, v5, v7
	;;#ASMEND
	v_lshlrev_b32_e32 v5, 16, v6
	s_mov_b32 s23, 0x20000
	v_and_or_b32 v5, v10, s2, v5
	buffer_store_dwordx2 v[4:5], v1, s[20:23], 0 offen
	;;#ASMSTART
	s_nop 0
	;;#ASMEND
	;;#ASMSTART
	v_pk_mul_f32 v[4:5], v[62:63], v[2:3]
	;;#ASMEND
	;;#ASMSTART
	v_med3_f32 v4, v4, v8, v9
v_med3_f32 v5, v5, v8, v9
v_cvt_pk_fp8_f32 v6, v4, v5
	;;#ASMEND
	;;#ASMSTART
	v_pk_mul_f32 v[4:5], v[58:59], v[2:3]
	;;#ASMEND
	;;#ASMSTART
	v_med3_f32 v4, v4, v8, v9
v_med3_f32 v5, v5, v8, v9
v_cvt_pk_fp8_f32 v7, v4, v5
	;;#ASMEND
	v_perm_b32 v5, v7, v6, s3
	v_and_b32_e32 v4, 0xffffff00, v7
	v_and_b32_sdwa v6, v5, s7 dst_sel:DWORD dst_unused:UNUSED_PAD src0_sel:WORD_1 src1_sel:DWORD
	v_or_b32_sdwa v4, v6, v4 dst_sel:WORD_1 dst_unused:UNUSED_PAD src0_sel:DWORD src1_sel:DWORD
	v_and_or_b32 v4, v5, s2, v4
	;;#ASMSTART
	v_pk_mul_f32 v[6:7], v[52:53], v[2:3]
	;;#ASMEND
	v_mov_b32_e32 v5, v7
	;;#ASMSTART
	v_med3_f32 v6, v6, v8, v9
v_med3_f32 v5, v5, v8, v9
v_cvt_pk_fp8_f32 v10, v6, v5
	;;#ASMEND
	;;#ASMSTART
	v_pk_mul_f32 v[6:7], v[48:49], v[2:3]
	;;#ASMEND
	v_mov_b32_e32 v5, v6
	;;#ASMSTART
	v_med3_f32 v5, v5, v8, v9
v_med3_f32 v7, v7, v8, v9
v_cvt_pk_fp8_f32 v6, v5, v7
	;;#ASMEND
	v_lshlrev_b32_e32 v5, 16, v6
	v_and_or_b32 v5, v10, s2, v5
	s_movk_i32 s12, 0x200
	buffer_store_dwordx2 v[4:5], v1, s[20:23], s12 offen
	;;#ASMSTART
	s_nop 0
	;;#ASMEND
	;;#ASMSTART
	v_pk_mul_f32 v[4:5], v[54:55], v[2:3]
	;;#ASMEND
	;;#ASMSTART
	v_med3_f32 v4, v4, v8, v9
v_med3_f32 v5, v5, v8, v9
v_cvt_pk_fp8_f32 v6, v4, v5
	;;#ASMEND
	;;#ASMSTART
	v_pk_mul_f32 v[4:5], v[50:51], v[2:3]
	;;#ASMEND
	;;#ASMSTART
	v_med3_f32 v4, v4, v8, v9
v_med3_f32 v5, v5, v8, v9
v_cvt_pk_fp8_f32 v7, v4, v5
	;;#ASMEND
	v_perm_b32 v5, v7, v6, s3
	v_and_b32_e32 v4, 0xffffff00, v7
	v_and_b32_sdwa v6, v5, s7 dst_sel:DWORD dst_unused:UNUSED_PAD src0_sel:WORD_1 src1_sel:DWORD
	v_or_b32_sdwa v4, v6, v4 dst_sel:WORD_1 dst_unused:UNUSED_PAD src0_sel:DWORD src1_sel:DWORD
	v_and_or_b32 v4, v5, s2, v4
	;;#ASMSTART
	v_pk_mul_f32 v[6:7], v[44:45], v[2:3]
	;;#ASMEND
	v_mov_b32_e32 v5, v7
	;;#ASMSTART
	v_med3_f32 v6, v6, v8, v9
v_med3_f32 v5, v5, v8, v9
v_cvt_pk_fp8_f32 v10, v6, v5
	;;#ASMEND
	;;#ASMSTART
	v_pk_mul_f32 v[6:7], v[40:41], v[2:3]
	;;#ASMEND
	v_mov_b32_e32 v5, v6
	;;#ASMSTART
	v_med3_f32 v5, v5, v8, v9
v_med3_f32 v7, v7, v8, v9
v_cvt_pk_fp8_f32 v6, v5, v7
	;;#ASMEND
	v_lshlrev_b32_e32 v5, 16, v6
	v_and_or_b32 v5, v10, s2, v5
	s_movk_i32 s12, 0x400
	buffer_store_dwordx2 v[4:5], v1, s[20:23], s12 offen
	;;#ASMSTART
	s_nop 0
	;;#ASMEND
	;;#ASMSTART
	v_pk_mul_f32 v[4:5], v[46:47], v[2:3]
	;;#ASMEND
	;;#ASMSTART
	v_med3_f32 v4, v4, v8, v9
v_med3_f32 v5, v5, v8, v9
v_cvt_pk_fp8_f32 v6, v4, v5
	;;#ASMEND
	;;#ASMSTART
	v_pk_mul_f32 v[4:5], v[42:43], v[2:3]
	;;#ASMEND
	;;#ASMSTART
	v_med3_f32 v4, v4, v8, v9
v_med3_f32 v5, v5, v8, v9
v_cvt_pk_fp8_f32 v7, v4, v5
	;;#ASMEND
	v_perm_b32 v5, v7, v6, s3
	v_and_b32_e32 v4, 0xffffff00, v7
	v_and_b32_sdwa v6, v5, s7 dst_sel:DWORD dst_unused:UNUSED_PAD src0_sel:WORD_1 src1_sel:DWORD
	v_or_b32_sdwa v4, v6, v4 dst_sel:WORD_1 dst_unused:UNUSED_PAD src0_sel:DWORD src1_sel:DWORD
	v_and_or_b32 v4, v5, s2, v4
	;;#ASMSTART
	v_pk_mul_f32 v[6:7], v[38:39], v[2:3]
	;;#ASMEND
	v_mov_b32_e32 v5, v7
	;;#ASMSTART
	v_med3_f32 v6, v6, v8, v9
v_med3_f32 v5, v5, v8, v9
v_cvt_pk_fp8_f32 v7, v6, v5
	;;#ASMEND
	;;#ASMSTART
	v_pk_mul_f32 v[2:3], v[36:37], v[2:3]
	;;#ASMEND
	;;#ASMSTART
	v_med3_f32 v2, v2, v8, v9
v_med3_f32 v3, v3, v8, v9
v_cvt_pk_fp8_f32 v5, v2, v3
	;;#ASMEND
	v_lshlrev_b32_e32 v2, 16, v5
	v_and_or_b32 v5, v7, s2, v2
	s_movk_i32 s2, 0x600
	buffer_store_dwordx2 v[4:5], v1, s[20:23], s2 offen
	;;#ASMSTART
	s_nop 0
	;;#ASMEND
.LBB91_26:
	s_or_b64 exec, exec, s[10:11]
	s_cmp_lt_i32 s16, 1
	s_cbranch_scc1 .LBB91_12
.LBB91_27:
	s_load_dword s2, s[4:5], 0x94
	s_waitcnt lgkmcnt(0)
	s_cmp_lg_u32 s2, 1
	s_cbranch_scc1 .LBB91_12
; %bb.28:
	s_lshl_b32 s2, s16, 1
	s_add_i32 s2, s2, 2
	v_cmp_gt_u32_e32 vcc, s16, v1
	s_and_b32 s10, s2, -4
	v_mov_b32_e32 v34, 0
	v_lshlrev_b32_e32 v67, 1, v1
	v_mov_b32_e32 v30, 0
	v_mov_b32_e32 v31, 0
	;; [unrolled: 1-line block ×16, first 2 shown]
	s_waitcnt vmcnt(3)
	v_mov_b32_e32 v14, 0
	v_mov_b32_e32 v15, 0
	v_mov_b32_e32 v16, 0
	v_mov_b32_e32 v17, 0
	s_waitcnt vmcnt(2)
	v_mov_b32_e32 v10, 0
	v_mov_b32_e32 v11, 0
	v_mov_b32_e32 v12, 0
	v_mov_b32_e32 v13, 0
	s_waitcnt vmcnt(1)
	v_mov_b32_e32 v6, 0
	v_mov_b32_e32 v7, 0
	v_mov_b32_e32 v8, 0
	v_mov_b32_e32 v9, 0
	s_waitcnt vmcnt(0)
	v_mov_b32_e32 v2, 0
	v_mov_b32_e32 v3, 0
	v_mov_b32_e32 v4, 0
	v_mov_b32_e32 v5, 0
	s_barrier
	s_and_saveexec_b64 s[2:3], vcc
	s_cbranch_execz .LBB91_30
; %bb.29:
	s_mul_hi_i32 s5, s18, s6
	s_mul_i32 s4, s18, s6
	s_and_b32 s9, s9, 0xffff
	s_lshl_b64 s[4:5], s[4:5], 1
	s_add_u32 s20, s26, s4
	s_mov_b32 s11, 0x20000
	s_addc_u32 s4, s27, s5
	s_and_b32 s21, s4, 0xffff
	s_mov_b32 s22, s10
	s_mov_b32 s23, s11
	s_movk_i32 s5, 0x800
	s_movk_i32 s4, 0x400
	buffer_load_dwordx4 v[30:33], v67, s[20:23], 0 offen glc slc
	buffer_load_dwordx4 v[22:25], v67, s[20:23], s4 offen glc slc
	s_movk_i32 s7, 0xc00
	buffer_load_dwordx4 v[26:29], v67, s[20:23], s5 offen glc slc
	buffer_load_dwordx4 v[18:21], v67, s[20:23], s7 offen glc slc
	buffer_load_dwordx4 v[14:17], v67, s[8:11], 0 offen
	buffer_load_dwordx4 v[10:13], v67, s[8:11], s4 offen
	;; [unrolled: 1-line block ×4, first 2 shown]
.LBB91_30:
	s_or_b64 exec, exec, s[2:3]
	v_mov_b32_e32 v35, 0
	v_mov_b32_e32 v64, 0
	;; [unrolled: 1-line block ×31, first 2 shown]
	s_and_saveexec_b64 s[2:3], vcc
	s_cbranch_execz .LBB91_32
; %bb.31:
	s_waitcnt vmcnt(7)
	v_cvt_f32_f16_sdwa v35, v30 dst_sel:DWORD dst_unused:UNUSED_PAD src0_sel:WORD_1
	v_cvt_f32_f16_e32 v34, v30
	v_cvt_f32_f16_sdwa v65, v31 dst_sel:DWORD dst_unused:UNUSED_PAD src0_sel:WORD_1
	v_cvt_f32_f16_e32 v64, v31
	v_cvt_f32_f16_sdwa v63, v32 dst_sel:DWORD dst_unused:UNUSED_PAD src0_sel:WORD_1
	v_cvt_f32_f16_e32 v62, v32
	v_cvt_f32_f16_sdwa v61, v33 dst_sel:DWORD dst_unused:UNUSED_PAD src0_sel:WORD_1
	v_cvt_f32_f16_e32 v60, v33
	s_waitcnt vmcnt(6)
	v_cvt_f32_f16_sdwa v59, v22 dst_sel:DWORD dst_unused:UNUSED_PAD src0_sel:WORD_1
	v_cvt_f32_f16_e32 v58, v22
	v_cvt_f32_f16_sdwa v57, v23 dst_sel:DWORD dst_unused:UNUSED_PAD src0_sel:WORD_1
	v_cvt_f32_f16_e32 v56, v23
	v_cvt_f32_f16_sdwa v55, v24 dst_sel:DWORD dst_unused:UNUSED_PAD src0_sel:WORD_1
	v_cvt_f32_f16_e32 v54, v24
	v_cvt_f32_f16_sdwa v53, v25 dst_sel:DWORD dst_unused:UNUSED_PAD src0_sel:WORD_1
	v_cvt_f32_f16_e32 v52, v25
	;; [unrolled: 9-line block ×4, first 2 shown]
.LBB91_32:
	s_or_b64 exec, exec, s[2:3]
	v_mul_f32_e32 v1, v35, v35
	v_fmac_f32_e32 v1, v34, v34
	v_fmac_f32_e32 v1, v64, v64
	;; [unrolled: 1-line block ×31, first 2 shown]
	s_waitcnt vmcnt(4)
	s_nop 0
	v_mov_b32_dpp v18, v1 quad_perm:[1,0,3,2] row_mask:0xf bank_mask:0xf
	v_add_f32_e32 v1, v1, v18
	s_nop 1
	v_mov_b32_dpp v18, v1 quad_perm:[2,3,0,1] row_mask:0xf bank_mask:0xf
	v_add_f32_e32 v1, v1, v18
	s_nop 1
	v_mov_b32_dpp v18, v1 row_half_mirror row_mask:0xf bank_mask:0xf
	v_add_f32_e32 v1, v1, v18
	s_nop 1
	v_mov_b32_dpp v18, v1 row_mirror row_mask:0xf bank_mask:0xf
	v_add_f32_e32 v1, v1, v18
	s_nop 1
	v_mov_b32_dpp v18, v1 row_bcast:15 row_mask:0xf bank_mask:0xf
	v_add_f32_e32 v1, v1, v18
	s_nop 1
	v_mov_b32_dpp v18, v1 row_bcast:31 row_mask:0xf bank_mask:0xf
	s_and_saveexec_b64 s[2:3], s[0:1]
	s_cbranch_execz .LBB91_34
; %bb.33:
	v_lshrrev_b32_e32 v0, 4, v0
	v_add_f32_e32 v1, v1, v18
	v_and_b32_e32 v0, 60, v0
	ds_write_b32 v0, v1 offset:16
.LBB91_34:
	s_or_b64 exec, exec, s[2:3]
	s_waitcnt lgkmcnt(0)
	s_barrier
	ds_read_b32 v0, v66 offset:16
	s_waitcnt lgkmcnt(0)
	s_nop 0
	v_mov_b32_dpp v1, v0 quad_perm:[1,0,3,2] row_mask:0xf bank_mask:0xf
	v_add_f32_e32 v0, v0, v1
	s_nop 1
	v_mov_b32_dpp v1, v0 quad_perm:[2,3,0,1] row_mask:0xf bank_mask:0xf
	s_and_saveexec_b64 s[0:1], vcc
	s_cbranch_execz .LBB91_12
; %bb.35:
	v_cvt_f32_u32_e32 v18, s16
	v_add_f32_e32 v0, v0, v1
	s_mov_b32 s11, 0x20000
	v_div_scale_f32 v1, s[0:1], v18, v18, v0
	v_rcp_f32_e32 v19, v1
	v_div_scale_f32 v20, vcc, v0, v18, v0
	s_mov_b32 s0, 0x800000
	v_fma_f32 v21, -v1, v19, 1.0
	v_fmac_f32_e32 v19, v21, v19
	v_mul_f32_e32 v21, v20, v19
	v_fma_f32 v22, -v1, v21, v20
	v_fmac_f32_e32 v21, v22, v19
	v_fma_f32 v1, -v1, v21, v20
	v_div_fmas_f32 v1, v1, v19, v21
	v_div_fixup_f32 v0, v1, v18, v0
	v_add_f32_e32 v0, s13, v0
	v_mul_f32_e32 v1, 0x4b800000, v0
	v_cmp_gt_f32_e32 vcc, s0, v0
	v_cndmask_b32_e32 v0, v0, v1, vcc
	v_rsq_f32_e32 v0, v0
	s_mul_hi_i32 s1, s29, s6
	s_mul_i32 s0, s29, s6
	s_lshl_b64 s[0:1], s[0:1], 1
	v_mul_f32_e32 v1, 0x45800000, v0
	v_cndmask_b32_e32 v18, v0, v1, vcc
	v_mov_b32_e32 v19, v18
	;;#ASMSTART
	v_pk_mul_f32 v[20:21], v[34:35], v[18:19]
	;;#ASMEND
	;;#ASMSTART
	v_pk_mul_f32 v[22:23], v[64:65], v[18:19]
	;;#ASMEND
	;; [unrolled: 3-line block ×16, first 2 shown]
	s_waitcnt vmcnt(3)
	v_cvt_f32_f16_sdwa v37, v14 dst_sel:DWORD dst_unused:UNUSED_PAD src0_sel:WORD_1
	v_cvt_f32_f16_e32 v36, v14
	v_cvt_f32_f16_sdwa v43, v15 dst_sel:DWORD dst_unused:UNUSED_PAD src0_sel:WORD_1
	v_cvt_f32_f16_e32 v42, v15
	;; [unrolled: 2-line block ×4, first 2 shown]
	;;#ASMSTART
	v_pk_mul_f32 v[16:17], v[20:21], v[36:37]
	;;#ASMEND
	;;#ASMSTART
	v_pk_mul_f32 v[20:21], v[22:23], v[42:43]
	;;#ASMEND
	;; [unrolled: 3-line block ×4, first 2 shown]
	s_waitcnt vmcnt(2)
	v_cvt_f32_f16_sdwa v25, v10 dst_sel:DWORD dst_unused:UNUSED_PAD src0_sel:WORD_1
	v_cvt_f32_f16_e32 v24, v10
	v_cvt_f32_f16_sdwa v27, v11 dst_sel:DWORD dst_unused:UNUSED_PAD src0_sel:WORD_1
	v_cvt_f32_f16_e32 v26, v11
	;; [unrolled: 2-line block ×4, first 2 shown]
	;;#ASMSTART
	v_pk_mul_f32 v[12:13], v[28:29], v[24:25]
	;;#ASMEND
	;;#ASMSTART
	v_pk_mul_f32 v[24:25], v[30:31], v[26:27]
	;;#ASMEND
	;; [unrolled: 3-line block ×3, first 2 shown]
	s_waitcnt vmcnt(1)
	v_cvt_f32_f16_sdwa v29, v6 dst_sel:DWORD dst_unused:UNUSED_PAD src0_sel:WORD_1
	v_cvt_f32_f16_e32 v28, v6
	v_cvt_f32_f16_sdwa v31, v7 dst_sel:DWORD dst_unused:UNUSED_PAD src0_sel:WORD_1
	v_cvt_f32_f16_e32 v30, v7
	;; [unrolled: 2-line block ×4, first 2 shown]
	;;#ASMSTART
	v_pk_mul_f32 v[26:27], v[34:35], v[36:37]
	;;#ASMEND
	;;#ASMSTART
	v_pk_mul_f32 v[8:9], v[50:51], v[28:29]
	;;#ASMEND
	;; [unrolled: 3-line block ×5, first 2 shown]
	s_waitcnt vmcnt(0)
	v_cvt_f32_f16_sdwa v33, v2 dst_sel:DWORD dst_unused:UNUSED_PAD src0_sel:WORD_1
	v_cvt_f32_f16_e32 v32, v2
	v_cvt_f32_f16_sdwa v35, v3 dst_sel:DWORD dst_unused:UNUSED_PAD src0_sel:WORD_1
	v_cvt_f32_f16_e32 v34, v3
	;; [unrolled: 2-line block ×4, first 2 shown]
	;;#ASMSTART
	v_pk_mul_f32 v[4:5], v[0:1], v[32:33]
	;;#ASMEND
	;;#ASMSTART
	v_pk_mul_f32 v[32:33], v[40:41], v[34:35]
	;;#ASMEND
	;; [unrolled: 3-line block ×3, first 2 shown]
	v_cvt_f16_f32_e32 v0, v16
	v_cvt_f16_f32_e32 v1, v17
	;; [unrolled: 1-line block ×8, first 2 shown]
	s_add_u32 s8, s24, s0
	s_addc_u32 s0, s25, s1
	s_and_b32 s9, s0, 0xffff
	v_pack_b32_f16 v0, v0, v1
	v_pack_b32_f16 v1, v2, v3
	;; [unrolled: 1-line block ×4, first 2 shown]
	;;#ASMSTART
	v_pk_mul_f32 v[18:19], v[18:19], v[36:37]
	;;#ASMEND
	buffer_store_dwordx4 v[0:3], v67, s[8:11], 0 offen
	v_cvt_f16_f32_e32 v10, v10
	v_cvt_f16_f32_e32 v0, v12
	v_cvt_f16_f32_e32 v1, v13
	v_cvt_f16_f32_e32 v2, v24
	v_cvt_f16_f32_e32 v3, v25
	v_cvt_f16_f32_e32 v11, v11
	v_cvt_f16_f32_e32 v12, v26
	v_cvt_f16_f32_e32 v13, v27
	v_pack_b32_f16 v0, v0, v1
	v_pack_b32_f16 v1, v2, v3
	v_pack_b32_f16 v2, v10, v11
	v_pack_b32_f16 v3, v12, v13
	s_movk_i32 s0, 0x400
	;;#ASMSTART
	s_nop 0
	;;#ASMEND
	buffer_store_dwordx4 v[0:3], v67, s[8:11], s0 offen
	v_cvt_f16_f32_e32 v0, v8
	v_cvt_f16_f32_e32 v1, v9
	v_cvt_f16_f32_e32 v2, v28
	v_cvt_f16_f32_e32 v3, v29
	v_cvt_f16_f32_e32 v6, v6
	v_cvt_f16_f32_e32 v7, v7
	v_cvt_f16_f32_e32 v8, v30
	v_cvt_f16_f32_e32 v9, v31
	v_pack_b32_f16 v0, v0, v1
	v_pack_b32_f16 v1, v2, v3
	v_pack_b32_f16 v2, v6, v7
	v_pack_b32_f16 v3, v8, v9
	s_movk_i32 s0, 0x800
	;;#ASMSTART
	s_nop 0
	;; [unrolled: 17-line block ×3, first 2 shown]
	;;#ASMEND
	buffer_store_dwordx4 v[0:3], v67, s[8:11], s0 offen
	;;#ASMSTART
	s_nop 0
	;;#ASMEND
	s_endpgm
	.section	.rodata,"a",@progbits
	.p2align	6, 0x0
	.amdhsa_kernel _ZN5aiter35fused_qk_rmsnorm_group_quant_kernelIDF16_DB8_Li256ELi32ELi1ELb0ELb1ELb0ELb0ELb1ELb1EEEvPT0_PvPT_S6_S6_PKS5_S8_S8_S8_S8_ffiiiiiiiiiiiii
		.amdhsa_group_segment_fixed_size 48
		.amdhsa_private_segment_fixed_size 0
		.amdhsa_kernarg_size 400
		.amdhsa_user_sgpr_count 6
		.amdhsa_user_sgpr_private_segment_buffer 1
		.amdhsa_user_sgpr_dispatch_ptr 0
		.amdhsa_user_sgpr_queue_ptr 0
		.amdhsa_user_sgpr_kernarg_segment_ptr 1
		.amdhsa_user_sgpr_dispatch_id 0
		.amdhsa_user_sgpr_flat_scratch_init 0
		.amdhsa_user_sgpr_kernarg_preload_length 0
		.amdhsa_user_sgpr_kernarg_preload_offset 0
		.amdhsa_user_sgpr_private_segment_size 0
		.amdhsa_uses_dynamic_stack 0
		.amdhsa_system_sgpr_private_segment_wavefront_offset 0
		.amdhsa_system_sgpr_workgroup_id_x 1
		.amdhsa_system_sgpr_workgroup_id_y 1
		.amdhsa_system_sgpr_workgroup_id_z 0
		.amdhsa_system_sgpr_workgroup_info 0
		.amdhsa_system_vgpr_workitem_id 0
		.amdhsa_next_free_vgpr 68
		.amdhsa_next_free_sgpr 32
		.amdhsa_accum_offset 68
		.amdhsa_reserve_vcc 1
		.amdhsa_reserve_flat_scratch 0
		.amdhsa_float_round_mode_32 0
		.amdhsa_float_round_mode_16_64 0
		.amdhsa_float_denorm_mode_32 3
		.amdhsa_float_denorm_mode_16_64 3
		.amdhsa_dx10_clamp 1
		.amdhsa_ieee_mode 1
		.amdhsa_fp16_overflow 0
		.amdhsa_tg_split 0
		.amdhsa_exception_fp_ieee_invalid_op 0
		.amdhsa_exception_fp_denorm_src 0
		.amdhsa_exception_fp_ieee_div_zero 0
		.amdhsa_exception_fp_ieee_overflow 0
		.amdhsa_exception_fp_ieee_underflow 0
		.amdhsa_exception_fp_ieee_inexact 0
		.amdhsa_exception_int_div_zero 0
	.end_amdhsa_kernel
	.section	.text._ZN5aiter35fused_qk_rmsnorm_group_quant_kernelIDF16_DB8_Li256ELi32ELi1ELb0ELb1ELb0ELb0ELb1ELb1EEEvPT0_PvPT_S6_S6_PKS5_S8_S8_S8_S8_ffiiiiiiiiiiiii,"axG",@progbits,_ZN5aiter35fused_qk_rmsnorm_group_quant_kernelIDF16_DB8_Li256ELi32ELi1ELb0ELb1ELb0ELb0ELb1ELb1EEEvPT0_PvPT_S6_S6_PKS5_S8_S8_S8_S8_ffiiiiiiiiiiiii,comdat
.Lfunc_end91:
	.size	_ZN5aiter35fused_qk_rmsnorm_group_quant_kernelIDF16_DB8_Li256ELi32ELi1ELb0ELb1ELb0ELb0ELb1ELb1EEEvPT0_PvPT_S6_S6_PKS5_S8_S8_S8_S8_ffiiiiiiiiiiiii, .Lfunc_end91-_ZN5aiter35fused_qk_rmsnorm_group_quant_kernelIDF16_DB8_Li256ELi32ELi1ELb0ELb1ELb0ELb0ELb1ELb1EEEvPT0_PvPT_S6_S6_PKS5_S8_S8_S8_S8_ffiiiiiiiiiiiii
                                        ; -- End function
	.section	.AMDGPU.csdata,"",@progbits
; Kernel info:
; codeLenInByte = 6168
; NumSgprs: 36
; NumVgprs: 68
; NumAgprs: 0
; TotalNumVgprs: 68
; ScratchSize: 0
; MemoryBound: 0
; FloatMode: 240
; IeeeMode: 1
; LDSByteSize: 48 bytes/workgroup (compile time only)
; SGPRBlocks: 4
; VGPRBlocks: 8
; NumSGPRsForWavesPerEU: 36
; NumVGPRsForWavesPerEU: 68
; AccumOffset: 68
; Occupancy: 7
; WaveLimiterHint : 0
; COMPUTE_PGM_RSRC2:SCRATCH_EN: 0
; COMPUTE_PGM_RSRC2:USER_SGPR: 6
; COMPUTE_PGM_RSRC2:TRAP_HANDLER: 0
; COMPUTE_PGM_RSRC2:TGID_X_EN: 1
; COMPUTE_PGM_RSRC2:TGID_Y_EN: 1
; COMPUTE_PGM_RSRC2:TGID_Z_EN: 0
; COMPUTE_PGM_RSRC2:TIDIG_COMP_CNT: 0
; COMPUTE_PGM_RSRC3_GFX90A:ACCUM_OFFSET: 16
; COMPUTE_PGM_RSRC3_GFX90A:TG_SPLIT: 0
	.section	.text._ZN5aiter35fused_qk_rmsnorm_group_quant_kernelItDB8_Li256ELi32ELi1ELb0ELb1ELb0ELb0ELb1ELb1EEEvPT0_PvPT_S6_S6_PKS5_S8_S8_S8_S8_ffiiiiiiiiiiiii,"axG",@progbits,_ZN5aiter35fused_qk_rmsnorm_group_quant_kernelItDB8_Li256ELi32ELi1ELb0ELb1ELb0ELb0ELb1ELb1EEEvPT0_PvPT_S6_S6_PKS5_S8_S8_S8_S8_ffiiiiiiiiiiiii,comdat
	.protected	_ZN5aiter35fused_qk_rmsnorm_group_quant_kernelItDB8_Li256ELi32ELi1ELb0ELb1ELb0ELb0ELb1ELb1EEEvPT0_PvPT_S6_S6_PKS5_S8_S8_S8_S8_ffiiiiiiiiiiiii ; -- Begin function _ZN5aiter35fused_qk_rmsnorm_group_quant_kernelItDB8_Li256ELi32ELi1ELb0ELb1ELb0ELb0ELb1ELb1EEEvPT0_PvPT_S6_S6_PKS5_S8_S8_S8_S8_ffiiiiiiiiiiiii
	.globl	_ZN5aiter35fused_qk_rmsnorm_group_quant_kernelItDB8_Li256ELi32ELi1ELb0ELb1ELb0ELb0ELb1ELb1EEEvPT0_PvPT_S6_S6_PKS5_S8_S8_S8_S8_ffiiiiiiiiiiiii
	.p2align	8
	.type	_ZN5aiter35fused_qk_rmsnorm_group_quant_kernelItDB8_Li256ELi32ELi1ELb0ELb1ELb0ELb0ELb1ELb1EEEvPT0_PvPT_S6_S6_PKS5_S8_S8_S8_S8_ffiiiiiiiiiiiii,@function
_ZN5aiter35fused_qk_rmsnorm_group_quant_kernelItDB8_Li256ELi32ELi1ELb0ELb1ELb0ELb0ELb1ELb1EEEvPT0_PvPT_S6_S6_PKS5_S8_S8_S8_S8_ffiiiiiiiiiiiii: ; @_ZN5aiter35fused_qk_rmsnorm_group_quant_kernelItDB8_Li256ELi32ELi1ELb0ELb1ELb0ELb0ELb1ELb1EEEvPT0_PvPT_S6_S6_PKS5_S8_S8_S8_S8_ffiiiiiiiiiiiii
; %bb.0:
	s_load_dwordx4 s[12:15], s[4:5], 0x50
	s_waitcnt lgkmcnt(0)
	s_cmp_ge_i32 s6, s14
	s_cbranch_scc1 .LBB92_12
; %bb.1:
	s_load_dwordx2 s[8:9], s[4:5], 0x48
	s_load_dwordx2 s[26:27], s[4:5], 0x30
	s_load_dwordx4 s[16:19], s[4:5], 0x60
	s_cmp_lg_u32 s7, 0
	s_cselect_b64 s[10:11], -1, 0
	s_cmp_eq_u32 s7, 0
	s_cselect_b64 vcc, -1, 0
	s_and_b64 s[0:1], vcc, exec
	s_waitcnt lgkmcnt(0)
	s_cselect_b32 s7, s15, s16
	s_add_i32 s0, s7, 1
	s_lshr_b32 s1, s0, 31
	s_add_i32 s0, s0, s1
	s_lshl_b32 s0, s0, 1
	v_lshlrev_b32_e32 v2, 5, v0
	s_and_b32 s22, s0, -4
	v_lshlrev_b32_e32 v1, 3, v0
	v_and_b32_e32 v2, 0x7800, v2
	s_movk_i32 s0, 0x1f8
	v_and_or_b32 v1, v1, s0, v2
	v_cmp_gt_i32_e64 s[2:3], s7, v1
	v_mov_b32_e32 v34, 0
	v_mov_b32_e32 v14, 0
	;; [unrolled: 1-line block ×33, first 2 shown]
	s_and_saveexec_b64 s[0:1], s[2:3]
	s_cbranch_execz .LBB92_3
; %bb.2:
	s_load_dwordx2 s[20:21], s[4:5], 0x28
	s_load_dwordx2 s[24:25], s[4:5], 0x40
	s_and_b64 s[28:29], vcc, exec
	s_cselect_b32 s14, s17, s18
	s_mov_b32 s23, 0x20000
	s_waitcnt lgkmcnt(0)
	s_cselect_b32 s17, s21, s27
	s_cselect_b32 s19, s20, s26
	s_mul_hi_i32 s21, s14, s6
	s_mul_i32 s20, s14, s6
	s_lshl_b64 s[20:21], s[20:21], 1
	s_add_u32 s28, s19, s20
	s_addc_u32 s14, s17, s21
	s_and_b64 s[20:21], vcc, exec
	s_cselect_b32 s17, s25, s9
	s_cselect_b32 s20, s24, s8
	s_and_b32 s21, s17, 0xffff
	s_and_b32 s29, s14, 0xffff
	s_mov_b32 s30, s22
	s_mov_b32 s31, s23
	v_lshlrev_b32_e32 v35, 1, v1
	s_movk_i32 s17, 0x800
	s_movk_i32 s14, 0x400
	buffer_load_dwordx4 v[30:33], v35, s[28:31], 0 offen glc slc
	buffer_load_dwordx4 v[22:25], v35, s[28:31], s14 offen glc slc
	s_movk_i32 s19, 0xc00
	buffer_load_dwordx4 v[26:29], v35, s[28:31], s17 offen glc slc
	buffer_load_dwordx4 v[18:21], v35, s[28:31], s19 offen glc slc
	buffer_load_dwordx4 v[14:17], v35, s[20:23], 0 offen
	buffer_load_dwordx4 v[10:13], v35, s[20:23], s14 offen
	;; [unrolled: 1-line block ×4, first 2 shown]
.LBB92_3:
	s_or_b64 exec, exec, s[0:1]
	v_mov_b32_e32 v35, 0
	v_mov_b32_e32 v64, 0
	;; [unrolled: 1-line block ×31, first 2 shown]
	s_and_saveexec_b64 s[0:1], s[2:3]
	s_cbranch_execz .LBB92_5
; %bb.4:
	s_waitcnt vmcnt(7)
	v_cvt_f32_u32_sdwa v34, v30 dst_sel:DWORD dst_unused:UNUSED_PAD src0_sel:WORD_0
	v_cvt_f32_u32_sdwa v35, v30 dst_sel:DWORD dst_unused:UNUSED_PAD src0_sel:WORD_1
	v_cvt_f32_u32_sdwa v64, v31 dst_sel:DWORD dst_unused:UNUSED_PAD src0_sel:WORD_0
	v_cvt_f32_u32_sdwa v65, v31 dst_sel:DWORD dst_unused:UNUSED_PAD src0_sel:WORD_1
	v_cvt_f32_u32_sdwa v60, v32 dst_sel:DWORD dst_unused:UNUSED_PAD src0_sel:WORD_0
	v_cvt_f32_u32_sdwa v61, v32 dst_sel:DWORD dst_unused:UNUSED_PAD src0_sel:WORD_1
	v_cvt_f32_u32_sdwa v56, v33 dst_sel:DWORD dst_unused:UNUSED_PAD src0_sel:WORD_0
	v_cvt_f32_u32_sdwa v57, v33 dst_sel:DWORD dst_unused:UNUSED_PAD src0_sel:WORD_1
	s_waitcnt vmcnt(6)
	v_cvt_f32_u32_sdwa v62, v22 dst_sel:DWORD dst_unused:UNUSED_PAD src0_sel:WORD_0
	v_cvt_f32_u32_sdwa v63, v22 dst_sel:DWORD dst_unused:UNUSED_PAD src0_sel:WORD_1
	v_cvt_f32_u32_sdwa v58, v23 dst_sel:DWORD dst_unused:UNUSED_PAD src0_sel:WORD_0
	v_cvt_f32_u32_sdwa v59, v23 dst_sel:DWORD dst_unused:UNUSED_PAD src0_sel:WORD_1
	v_cvt_f32_u32_sdwa v52, v24 dst_sel:DWORD dst_unused:UNUSED_PAD src0_sel:WORD_0
	v_cvt_f32_u32_sdwa v53, v24 dst_sel:DWORD dst_unused:UNUSED_PAD src0_sel:WORD_1
	v_cvt_f32_u32_sdwa v48, v25 dst_sel:DWORD dst_unused:UNUSED_PAD src0_sel:WORD_0
	v_cvt_f32_u32_sdwa v49, v25 dst_sel:DWORD dst_unused:UNUSED_PAD src0_sel:WORD_1
	;; [unrolled: 9-line block ×4, first 2 shown]
.LBB92_5:
	s_or_b64 exec, exec, s[0:1]
	s_waitcnt vmcnt(4)
	v_mul_f32_e32 v18, v35, v35
	v_fmac_f32_e32 v18, v34, v34
	v_fmac_f32_e32 v18, v64, v64
	;; [unrolled: 1-line block ×31, first 2 shown]
	v_and_b32_e32 v20, 63, v0
	v_cmp_eq_u32_e64 s[0:1], 63, v20
	v_mov_b32_dpp v19, v18 quad_perm:[1,0,3,2] row_mask:0xf bank_mask:0xf
	v_add_f32_e32 v18, v18, v19
	s_nop 1
	v_mov_b32_dpp v19, v18 quad_perm:[2,3,0,1] row_mask:0xf bank_mask:0xf
	v_add_f32_e32 v18, v18, v19
	s_nop 1
	v_mov_b32_dpp v19, v18 row_half_mirror row_mask:0xf bank_mask:0xf
	v_add_f32_e32 v18, v18, v19
	s_nop 1
	v_mov_b32_dpp v19, v18 row_mirror row_mask:0xf bank_mask:0xf
	v_add_f32_e32 v18, v18, v19
	s_nop 1
	v_mov_b32_dpp v19, v18 row_bcast:15 row_mask:0xf bank_mask:0xf
	v_add_f32_e32 v18, v18, v19
	s_nop 1
	v_mov_b32_dpp v19, v18 row_bcast:31 row_mask:0xf bank_mask:0xf
	s_and_saveexec_b64 s[20:21], s[0:1]
	s_cbranch_execz .LBB92_7
; %bb.6:
	v_add_f32_e32 v18, v18, v19
	v_lshrrev_b32_e32 v19, 4, v0
	v_and_b32_e32 v19, 60, v19
	ds_write_b32 v19, v18 offset:32
.LBB92_7:
	s_or_b64 exec, exec, s[20:21]
	v_and_b32_e32 v18, 3, v0
	v_lshlrev_b32_e32 v66, 2, v18
	s_waitcnt lgkmcnt(0)
	s_barrier
	ds_read_b32 v18, v66 offset:32
	s_load_dwordx2 s[24:25], s[4:5], 0x18
	s_waitcnt lgkmcnt(0)
	v_mov_b32_dpp v19, v18 quad_perm:[1,0,3,2] row_mask:0xf bank_mask:0xf
	v_add_f32_e32 v18, v18, v19
	s_nop 1
	v_mov_b32_dpp v19, v18 quad_perm:[2,3,0,1] row_mask:0xf bank_mask:0xf
	s_and_saveexec_b64 s[20:21], s[2:3]
	s_cbranch_execz .LBB92_9
; %bb.8:
	v_cvt_f32_u32_e32 v20, s7
	v_add_f32_e32 v18, v18, v19
	v_mov_b32_e32 v22, s13
	v_mov_b32_e32 v23, s12
	v_div_scale_f32 v19, s[28:29], v20, v20, v18
	v_rcp_f32_e32 v21, v19
	v_cndmask_b32_e32 v22, v22, v23, vcc
	s_mov_b32 s7, 0x800000
	v_fma_f32 v23, -v19, v21, 1.0
	v_fmac_f32_e32 v21, v23, v21
	v_div_scale_f32 v23, vcc, v18, v20, v18
	v_mul_f32_e32 v24, v23, v21
	v_fma_f32 v25, -v19, v24, v23
	v_fmac_f32_e32 v24, v25, v21
	v_fma_f32 v19, -v19, v24, v23
	v_div_fmas_f32 v19, v19, v21, v24
	v_div_fixup_f32 v18, v19, v20, v18
	v_add_f32_e32 v18, v22, v18
	v_mul_f32_e32 v19, 0x4b800000, v18
	v_cmp_gt_f32_e32 vcc, s7, v18
	v_cndmask_b32_e32 v18, v18, v19, vcc
	v_rsq_f32_e32 v18, v18
	v_mul_f32_e32 v19, 0x45800000, v18
	v_cndmask_b32_e32 v20, v18, v19, vcc
	v_mov_b32_e32 v21, v20
	;;#ASMSTART
	v_pk_mul_f32 v[22:23], v[34:35], v[20:21]
	;;#ASMEND
	;;#ASMSTART
	v_pk_mul_f32 v[24:25], v[64:65], v[20:21]
	;;#ASMEND
	;; [unrolled: 3-line block ×16, first 2 shown]
	s_waitcnt vmcnt(3)
	v_cvt_f32_u32_sdwa v35, v14 dst_sel:DWORD dst_unused:UNUSED_PAD src0_sel:WORD_1
	v_cvt_f32_u32_sdwa v34, v14 dst_sel:DWORD dst_unused:UNUSED_PAD src0_sel:WORD_0
	v_cvt_f32_u32_sdwa v37, v15 dst_sel:DWORD dst_unused:UNUSED_PAD src0_sel:WORD_1
	v_cvt_f32_u32_sdwa v36, v15 dst_sel:DWORD dst_unused:UNUSED_PAD src0_sel:WORD_0
	;; [unrolled: 2-line block ×4, first 2 shown]
	;;#ASMSTART
	v_pk_mul_f32 v[34:35], v[22:23], v[34:35]
	;;#ASMEND
	;;#ASMSTART
	v_pk_mul_f32 v[64:65], v[24:25], v[36:37]
	;;#ASMEND
	;; [unrolled: 3-line block ×3, first 2 shown]
	s_waitcnt vmcnt(2)
	v_cvt_f32_u32_sdwa v15, v10 dst_sel:DWORD dst_unused:UNUSED_PAD src0_sel:WORD_1
	v_cvt_f32_u32_sdwa v14, v10 dst_sel:DWORD dst_unused:UNUSED_PAD src0_sel:WORD_0
	v_cvt_f32_u32_sdwa v17, v11 dst_sel:DWORD dst_unused:UNUSED_PAD src0_sel:WORD_1
	v_cvt_f32_u32_sdwa v16, v11 dst_sel:DWORD dst_unused:UNUSED_PAD src0_sel:WORD_0
	;; [unrolled: 2-line block ×3, first 2 shown]
	;;#ASMSTART
	v_pk_mul_f32 v[56:57], v[28:29], v[46:47]
	;;#ASMEND
	v_cvt_f32_u32_sdwa v23, v13 dst_sel:DWORD dst_unused:UNUSED_PAD src0_sel:WORD_1
	v_cvt_f32_u32_sdwa v22, v13 dst_sel:DWORD dst_unused:UNUSED_PAD src0_sel:WORD_0
	;;#ASMSTART
	v_pk_mul_f32 v[62:63], v[30:31], v[14:15]
	;;#ASMEND
	;;#ASMSTART
	v_pk_mul_f32 v[58:59], v[32:33], v[16:17]
	;;#ASMEND
	;;#ASMSTART
	v_pk_mul_f32 v[52:53], v[52:53], v[10:11]
	;;#ASMEND
	s_waitcnt vmcnt(1)
	v_cvt_f32_u32_sdwa v11, v6 dst_sel:DWORD dst_unused:UNUSED_PAD src0_sel:WORD_1
	v_cvt_f32_u32_sdwa v10, v6 dst_sel:DWORD dst_unused:UNUSED_PAD src0_sel:WORD_0
	v_cvt_f32_u32_sdwa v13, v7 dst_sel:DWORD dst_unused:UNUSED_PAD src0_sel:WORD_1
	v_cvt_f32_u32_sdwa v12, v7 dst_sel:DWORD dst_unused:UNUSED_PAD src0_sel:WORD_0
	;; [unrolled: 2-line block ×3, first 2 shown]
	;;#ASMSTART
	v_pk_mul_f32 v[48:49], v[48:49], v[22:23]
	;;#ASMEND
	v_cvt_f32_u32_sdwa v15, v9 dst_sel:DWORD dst_unused:UNUSED_PAD src0_sel:WORD_1
	v_cvt_f32_u32_sdwa v14, v9 dst_sel:DWORD dst_unused:UNUSED_PAD src0_sel:WORD_0
	;;#ASMSTART
	v_pk_mul_f32 v[54:55], v[54:55], v[10:11]
	;;#ASMEND
	;;#ASMSTART
	v_pk_mul_f32 v[50:51], v[50:51], v[12:13]
	;;#ASMEND
	;; [unrolled: 3-line block ×4, first 2 shown]
	s_waitcnt vmcnt(0)
	v_cvt_f32_u32_sdwa v7, v2 dst_sel:DWORD dst_unused:UNUSED_PAD src0_sel:WORD_1
	v_cvt_f32_u32_sdwa v6, v2 dst_sel:DWORD dst_unused:UNUSED_PAD src0_sel:WORD_0
	v_cvt_f32_u32_sdwa v9, v3 dst_sel:DWORD dst_unused:UNUSED_PAD src0_sel:WORD_1
	v_cvt_f32_u32_sdwa v8, v3 dst_sel:DWORD dst_unused:UNUSED_PAD src0_sel:WORD_0
	;; [unrolled: 2-line block ×4, first 2 shown]
	;;#ASMSTART
	v_pk_mul_f32 v[46:47], v[18:19], v[6:7]
	;;#ASMEND
	;;#ASMSTART
	v_pk_mul_f32 v[42:43], v[42:43], v[8:9]
	;;#ASMEND
	;;#ASMSTART
	v_pk_mul_f32 v[38:39], v[38:39], v[2:3]
	;;#ASMEND
	;;#ASMSTART
	v_pk_mul_f32 v[36:37], v[20:21], v[10:11]
	;;#ASMEND
.LBB92_9:
	s_or_b64 exec, exec, s[20:21]
	s_load_dwordx2 s[28:29], s[4:5], 0x7c
	s_mov_b64 s[20:21], -1
	s_and_b64 vcc, exec, s[10:11]
	s_cbranch_vccnz .LBB92_13
; %bb.10:
	s_andn2_b64 vcc, exec, s[20:21]
	s_cbranch_vccz .LBB92_16
.LBB92_11:
	s_cmp_lt_i32 s16, 1
	s_cbranch_scc0 .LBB92_27
.LBB92_12:
	s_endpgm
.LBB92_13:
	s_and_saveexec_b64 s[10:11], s[2:3]
	s_cbranch_execz .LBB92_15
; %bb.14:
	s_waitcnt lgkmcnt(0)
	s_mul_hi_i32 s21, s29, s6
	s_mul_i32 s20, s29, s6
	s_lshl_b64 s[20:21], s[20:21], 1
	s_add_u32 s20, s24, s20
	s_addc_u32 s7, s25, s21
	s_and_b32 s21, s7, 0xffff
	s_mov_b32 s7, 0x7060302
	s_mov_b32 s23, 0x20000
	s_waitcnt vmcnt(0)
	v_perm_b32 v5, v57, v56, s7
	v_perm_b32 v4, v61, v60, s7
	;; [unrolled: 1-line block ×4, first 2 shown]
	v_lshlrev_b32_e32 v6, 1, v1
	buffer_store_dwordx4 v[2:5], v6, s[20:23], 0 offen
	s_movk_i32 s12, 0x400
	v_perm_b32 v5, v49, v48, s7
	v_perm_b32 v4, v53, v52, s7
	;; [unrolled: 1-line block ×4, first 2 shown]
	;;#ASMSTART
	s_nop 0
	;;#ASMEND
	buffer_store_dwordx4 v[2:5], v6, s[20:23], s12 offen
	v_perm_b32 v5, v41, v40, s7
	v_perm_b32 v4, v45, v44, s7
	;; [unrolled: 1-line block ×4, first 2 shown]
	s_movk_i32 s12, 0x800
	;;#ASMSTART
	s_nop 0
	;;#ASMEND
	buffer_store_dwordx4 v[2:5], v6, s[20:23], s12 offen
	v_perm_b32 v5, v37, v36, s7
	v_perm_b32 v4, v39, v38, s7
	;; [unrolled: 1-line block ×4, first 2 shown]
	s_movk_i32 s7, 0xc00
	;;#ASMSTART
	s_nop 0
	;;#ASMEND
	buffer_store_dwordx4 v[2:5], v6, s[20:23], s7 offen
	;;#ASMSTART
	s_nop 0
	;;#ASMEND
.LBB92_15:
	s_or_b64 exec, exec, s[10:11]
	s_cbranch_execnz .LBB92_11
.LBB92_16:
	s_waitcnt vmcnt(0)
	v_mov_b32_e32 v2, 0
	s_and_saveexec_b64 s[10:11], s[2:3]
	s_cbranch_execz .LBB92_18
; %bb.17:
	s_load_dwordx2 s[20:21], s[4:5], 0x10
	s_waitcnt lgkmcnt(0)
	s_mul_hi_i32 s31, s28, s6
	s_mul_i32 s30, s28, s6
	s_lshl_b64 s[30:31], s[30:31], 1
	s_mov_b32 s23, 0x20000
	s_add_u32 s20, s20, s30
	s_addc_u32 s7, s21, s31
	s_and_b32 s21, s7, 0xffff
	s_mov_b32 s7, 0x7060302
	v_perm_b32 v5, v57, v56, s7
	v_perm_b32 v4, v61, v60, s7
	;; [unrolled: 1-line block ×4, first 2 shown]
	v_lshlrev_b32_e32 v6, 1, v1
	buffer_store_dwordx4 v[2:5], v6, s[20:23], 0 offen
	s_movk_i32 s12, 0x400
	v_perm_b32 v5, v49, v48, s7
	v_perm_b32 v4, v53, v52, s7
	;; [unrolled: 1-line block ×4, first 2 shown]
	;;#ASMSTART
	s_nop 0
	;;#ASMEND
	buffer_store_dwordx4 v[2:5], v6, s[20:23], s12 offen
	v_perm_b32 v5, v41, v40, s7
	v_perm_b32 v4, v45, v44, s7
	;; [unrolled: 1-line block ×4, first 2 shown]
	s_movk_i32 s12, 0x800
	;;#ASMSTART
	s_nop 0
	;;#ASMEND
	buffer_store_dwordx4 v[2:5], v6, s[20:23], s12 offen
	v_perm_b32 v5, v37, v36, s7
	v_perm_b32 v4, v39, v38, s7
	;; [unrolled: 1-line block ×4, first 2 shown]
	s_movk_i32 s7, 0xc00
	;;#ASMSTART
	s_nop 0
	;;#ASMEND
	buffer_store_dwordx4 v[2:5], v6, s[20:23], s7 offen
	v_mov_b32_e32 v2, 0x2edbe6ff
	;;#ASMSTART
	s_nop 0
	;;#ASMEND
.LBB92_18:
	s_or_b64 exec, exec, s[10:11]
	s_and_saveexec_b64 s[10:11], s[2:3]
	s_cbranch_execz .LBB92_20
; %bb.19:
	v_and_b32_e32 v3, 0x7fffffff, v34
	v_and_b32_e32 v4, 0x7fffffff, v35
	;;#ASMSTART
	v_max3_f32 v2, v2, v3, v4

	;;#ASMEND
	v_and_b32_e32 v3, 0x7fffffff, v64
	v_and_b32_e32 v4, 0x7fffffff, v65
	;;#ASMSTART
	v_max3_f32 v2, v2, v3, v4

	;;#ASMEND
	;; [unrolled: 6-line block ×16, first 2 shown]
.LBB92_20:
	s_or_b64 exec, exec, s[10:11]
	s_nop 0
	v_mov_b32_dpp v3, v2 quad_perm:[1,0,3,2] row_mask:0xf bank_mask:0xf
	v_cmp_gt_f32_e32 vcc, v2, v3
	v_cndmask_b32_e32 v2, v3, v2, vcc
	s_nop 1
	v_mov_b32_dpp v3, v2 quad_perm:[2,3,0,1] row_mask:0xf bank_mask:0xf
	v_cmp_gt_f32_e32 vcc, v2, v3
	v_cndmask_b32_e32 v2, v3, v2, vcc
	s_nop 1
	v_mov_b32_dpp v3, v2 row_half_mirror row_mask:0xf bank_mask:0xf
	v_cmp_gt_f32_e32 vcc, v2, v3
	v_cndmask_b32_e32 v2, v3, v2, vcc
	s_nop 1
	v_mov_b32_dpp v3, v2 row_mirror row_mask:0xf bank_mask:0xf
	v_cmp_gt_f32_e32 vcc, v2, v3
	v_cndmask_b32_e32 v2, v3, v2, vcc
	s_nop 1
	v_mov_b32_dpp v3, v2 row_bcast:15 row_mask:0xf bank_mask:0xf
	v_cmp_gt_f32_e32 vcc, v2, v3
	v_cndmask_b32_e32 v2, v3, v2, vcc
	s_nop 1
	v_mov_b32_dpp v3, v2 row_bcast:31 row_mask:0xf bank_mask:0xf
	s_and_saveexec_b64 s[10:11], s[0:1]
	s_cbranch_execz .LBB92_22
; %bb.21:
	v_cmp_gt_f32_e32 vcc, v2, v3
	v_cndmask_b32_e32 v2, v3, v2, vcc
	v_lshrrev_b32_e32 v3, 4, v0
	v_and_b32_e32 v3, 60, v3
	ds_write_b32 v3, v2
.LBB92_22:
	s_or_b64 exec, exec, s[10:11]
	s_waitcnt lgkmcnt(0)
	s_barrier
	ds_read_b32 v2, v66
	s_load_dwordx2 s[20:21], s[4:5], 0x70
	s_waitcnt lgkmcnt(0)
	v_mov_b32_dpp v3, v2 quad_perm:[1,0,3,2] row_mask:0xf bank_mask:0xf
	v_cmp_gt_f32_e32 vcc, v2, v3
	v_cndmask_b32_e32 v2, v3, v2, vcc
	s_nop 1
	v_mov_b32_dpp v3, v2 quad_perm:[2,3,0,1] row_mask:0xf bank_mask:0xf
	v_cmp_gt_f32_e32 vcc, v2, v3
	v_cndmask_b32_e32 v2, v3, v2, vcc
	v_mul_f32_e32 v2, 0x3b124925, v2
	v_cmp_eq_u32_e32 vcc, 0, v0
	s_and_saveexec_b64 s[10:11], vcc
	s_cbranch_execz .LBB92_24
; %bb.23:
	s_load_dwordx2 s[22:23], s[4:5], 0x8
	s_mul_hi_i32 s31, s21, s6
	s_mul_i32 s30, s21, s6
	s_lshl_b64 s[30:31], s[30:31], 2
	v_mov_b32_e32 v3, 0
	s_waitcnt lgkmcnt(0)
	s_add_u32 s22, s22, s30
	s_addc_u32 s23, s23, s31
	global_store_dword v3, v2, s[22:23]
.LBB92_24:
	s_or_b64 exec, exec, s[10:11]
	;;#ASMSTART
	v_rcp_f32 v2, v2
	;;#ASMEND
	s_and_saveexec_b64 s[10:11], s[2:3]
	s_cbranch_execz .LBB92_26
; %bb.25:
	s_load_dwordx2 s[22:23], s[4:5], 0x0
	s_mul_i32 s7, s20, s6
	s_mul_hi_i32 s3, s20, s6
	v_mov_b32_e32 v3, v2
	;;#ASMSTART
	v_pk_mul_f32 v[4:5], v[34:35], v[2:3]
	;;#ASMEND
	s_waitcnt lgkmcnt(0)
	s_add_u32 s20, s22, s7
	s_addc_u32 s3, s23, s3
	s_add_i32 s7, s15, 3
	s_ashr_i32 s12, s7, 31
	v_mov_b32_e32 v8, 0xc3e00000
	v_mov_b32_e32 v9, 0x43e00000
	;;#ASMSTART
	v_med3_f32 v4, v4, v8, v9
v_med3_f32 v5, v5, v8, v9
v_cvt_pk_fp8_f32 v6, v4, v5
	;;#ASMEND
	s_lshr_b32 s12, s12, 30
	;;#ASMSTART
	v_pk_mul_f32 v[4:5], v[64:65], v[2:3]
	;;#ASMEND
	s_add_i32 s7, s7, s12
	s_and_b32 s21, s3, 0xffff
	;;#ASMSTART
	v_med3_f32 v4, v4, v8, v9
v_med3_f32 v5, v5, v8, v9
v_cvt_pk_fp8_f32 v7, v4, v5
	;;#ASMEND
	s_mov_b32 s3, 0x5040100
	s_and_b32 s22, s7, -4
	v_perm_b32 v5, v7, v6, s3
	s_movk_i32 s7, 0xff
	v_and_b32_e32 v4, 0xffffff00, v7
	v_and_b32_sdwa v6, v5, s7 dst_sel:DWORD dst_unused:UNUSED_PAD src0_sel:WORD_1 src1_sel:DWORD
	s_mov_b32 s2, 0xffff
	v_or_b32_sdwa v4, v6, v4 dst_sel:WORD_1 dst_unused:UNUSED_PAD src0_sel:DWORD src1_sel:DWORD
	v_and_or_b32 v4, v5, s2, v4
	;;#ASMSTART
	v_pk_mul_f32 v[6:7], v[60:61], v[2:3]
	;;#ASMEND
	v_mov_b32_e32 v5, v7
	;;#ASMSTART
	v_med3_f32 v6, v6, v8, v9
v_med3_f32 v5, v5, v8, v9
v_cvt_pk_fp8_f32 v10, v6, v5
	;;#ASMEND
	;;#ASMSTART
	v_pk_mul_f32 v[6:7], v[56:57], v[2:3]
	;;#ASMEND
	v_mov_b32_e32 v5, v6
	;;#ASMSTART
	v_med3_f32 v5, v5, v8, v9
v_med3_f32 v7, v7, v8, v9
v_cvt_pk_fp8_f32 v6, v5, v7
	;;#ASMEND
	v_lshlrev_b32_e32 v5, 16, v6
	s_mov_b32 s23, 0x20000
	v_and_or_b32 v5, v10, s2, v5
	buffer_store_dwordx2 v[4:5], v1, s[20:23], 0 offen
	;;#ASMSTART
	s_nop 0
	;;#ASMEND
	;;#ASMSTART
	v_pk_mul_f32 v[4:5], v[62:63], v[2:3]
	;;#ASMEND
	;;#ASMSTART
	v_med3_f32 v4, v4, v8, v9
v_med3_f32 v5, v5, v8, v9
v_cvt_pk_fp8_f32 v6, v4, v5
	;;#ASMEND
	;;#ASMSTART
	v_pk_mul_f32 v[4:5], v[58:59], v[2:3]
	;;#ASMEND
	;;#ASMSTART
	v_med3_f32 v4, v4, v8, v9
v_med3_f32 v5, v5, v8, v9
v_cvt_pk_fp8_f32 v7, v4, v5
	;;#ASMEND
	v_perm_b32 v5, v7, v6, s3
	v_and_b32_e32 v4, 0xffffff00, v7
	v_and_b32_sdwa v6, v5, s7 dst_sel:DWORD dst_unused:UNUSED_PAD src0_sel:WORD_1 src1_sel:DWORD
	v_or_b32_sdwa v4, v6, v4 dst_sel:WORD_1 dst_unused:UNUSED_PAD src0_sel:DWORD src1_sel:DWORD
	v_and_or_b32 v4, v5, s2, v4
	;;#ASMSTART
	v_pk_mul_f32 v[6:7], v[52:53], v[2:3]
	;;#ASMEND
	v_mov_b32_e32 v5, v7
	;;#ASMSTART
	v_med3_f32 v6, v6, v8, v9
v_med3_f32 v5, v5, v8, v9
v_cvt_pk_fp8_f32 v10, v6, v5
	;;#ASMEND
	;;#ASMSTART
	v_pk_mul_f32 v[6:7], v[48:49], v[2:3]
	;;#ASMEND
	v_mov_b32_e32 v5, v6
	;;#ASMSTART
	v_med3_f32 v5, v5, v8, v9
v_med3_f32 v7, v7, v8, v9
v_cvt_pk_fp8_f32 v6, v5, v7
	;;#ASMEND
	v_lshlrev_b32_e32 v5, 16, v6
	v_and_or_b32 v5, v10, s2, v5
	s_movk_i32 s12, 0x200
	buffer_store_dwordx2 v[4:5], v1, s[20:23], s12 offen
	;;#ASMSTART
	s_nop 0
	;;#ASMEND
	;;#ASMSTART
	v_pk_mul_f32 v[4:5], v[54:55], v[2:3]
	;;#ASMEND
	;;#ASMSTART
	v_med3_f32 v4, v4, v8, v9
v_med3_f32 v5, v5, v8, v9
v_cvt_pk_fp8_f32 v6, v4, v5
	;;#ASMEND
	;;#ASMSTART
	v_pk_mul_f32 v[4:5], v[50:51], v[2:3]
	;;#ASMEND
	;;#ASMSTART
	v_med3_f32 v4, v4, v8, v9
v_med3_f32 v5, v5, v8, v9
v_cvt_pk_fp8_f32 v7, v4, v5
	;;#ASMEND
	v_perm_b32 v5, v7, v6, s3
	v_and_b32_e32 v4, 0xffffff00, v7
	v_and_b32_sdwa v6, v5, s7 dst_sel:DWORD dst_unused:UNUSED_PAD src0_sel:WORD_1 src1_sel:DWORD
	v_or_b32_sdwa v4, v6, v4 dst_sel:WORD_1 dst_unused:UNUSED_PAD src0_sel:DWORD src1_sel:DWORD
	v_and_or_b32 v4, v5, s2, v4
	;;#ASMSTART
	v_pk_mul_f32 v[6:7], v[44:45], v[2:3]
	;;#ASMEND
	v_mov_b32_e32 v5, v7
	;;#ASMSTART
	v_med3_f32 v6, v6, v8, v9
v_med3_f32 v5, v5, v8, v9
v_cvt_pk_fp8_f32 v10, v6, v5
	;;#ASMEND
	;;#ASMSTART
	v_pk_mul_f32 v[6:7], v[40:41], v[2:3]
	;;#ASMEND
	v_mov_b32_e32 v5, v6
	;;#ASMSTART
	v_med3_f32 v5, v5, v8, v9
v_med3_f32 v7, v7, v8, v9
v_cvt_pk_fp8_f32 v6, v5, v7
	;;#ASMEND
	v_lshlrev_b32_e32 v5, 16, v6
	v_and_or_b32 v5, v10, s2, v5
	s_movk_i32 s12, 0x400
	buffer_store_dwordx2 v[4:5], v1, s[20:23], s12 offen
	;;#ASMSTART
	s_nop 0
	;;#ASMEND
	;;#ASMSTART
	v_pk_mul_f32 v[4:5], v[46:47], v[2:3]
	;;#ASMEND
	;;#ASMSTART
	v_med3_f32 v4, v4, v8, v9
v_med3_f32 v5, v5, v8, v9
v_cvt_pk_fp8_f32 v6, v4, v5
	;;#ASMEND
	;;#ASMSTART
	v_pk_mul_f32 v[4:5], v[42:43], v[2:3]
	;;#ASMEND
	;;#ASMSTART
	v_med3_f32 v4, v4, v8, v9
v_med3_f32 v5, v5, v8, v9
v_cvt_pk_fp8_f32 v7, v4, v5
	;;#ASMEND
	v_perm_b32 v5, v7, v6, s3
	v_and_b32_e32 v4, 0xffffff00, v7
	v_and_b32_sdwa v6, v5, s7 dst_sel:DWORD dst_unused:UNUSED_PAD src0_sel:WORD_1 src1_sel:DWORD
	v_or_b32_sdwa v4, v6, v4 dst_sel:WORD_1 dst_unused:UNUSED_PAD src0_sel:DWORD src1_sel:DWORD
	v_and_or_b32 v4, v5, s2, v4
	;;#ASMSTART
	v_pk_mul_f32 v[6:7], v[38:39], v[2:3]
	;;#ASMEND
	v_mov_b32_e32 v5, v7
	;;#ASMSTART
	v_med3_f32 v6, v6, v8, v9
v_med3_f32 v5, v5, v8, v9
v_cvt_pk_fp8_f32 v7, v6, v5
	;;#ASMEND
	;;#ASMSTART
	v_pk_mul_f32 v[2:3], v[36:37], v[2:3]
	;;#ASMEND
	;;#ASMSTART
	v_med3_f32 v2, v2, v8, v9
v_med3_f32 v3, v3, v8, v9
v_cvt_pk_fp8_f32 v5, v2, v3
	;;#ASMEND
	v_lshlrev_b32_e32 v2, 16, v5
	v_and_or_b32 v5, v7, s2, v2
	s_movk_i32 s2, 0x600
	buffer_store_dwordx2 v[4:5], v1, s[20:23], s2 offen
	;;#ASMSTART
	s_nop 0
	;;#ASMEND
.LBB92_26:
	s_or_b64 exec, exec, s[10:11]
	s_cmp_lt_i32 s16, 1
	s_cbranch_scc1 .LBB92_12
.LBB92_27:
	s_load_dword s2, s[4:5], 0x94
	s_waitcnt lgkmcnt(0)
	s_cmp_lg_u32 s2, 1
	s_cbranch_scc1 .LBB92_12
; %bb.28:
	s_lshl_b32 s2, s16, 1
	s_add_i32 s2, s2, 2
	v_cmp_gt_u32_e32 vcc, s16, v1
	s_and_b32 s10, s2, -4
	v_mov_b32_e32 v34, 0
	v_lshlrev_b32_e32 v67, 1, v1
	v_mov_b32_e32 v30, 0
	v_mov_b32_e32 v31, 0
	;; [unrolled: 1-line block ×16, first 2 shown]
	s_waitcnt vmcnt(3)
	v_mov_b32_e32 v14, 0
	v_mov_b32_e32 v15, 0
	v_mov_b32_e32 v16, 0
	v_mov_b32_e32 v17, 0
	s_waitcnt vmcnt(2)
	v_mov_b32_e32 v10, 0
	v_mov_b32_e32 v11, 0
	v_mov_b32_e32 v12, 0
	v_mov_b32_e32 v13, 0
	s_waitcnt vmcnt(1)
	v_mov_b32_e32 v6, 0
	v_mov_b32_e32 v7, 0
	v_mov_b32_e32 v8, 0
	v_mov_b32_e32 v9, 0
	s_waitcnt vmcnt(0)
	v_mov_b32_e32 v2, 0
	v_mov_b32_e32 v3, 0
	v_mov_b32_e32 v4, 0
	v_mov_b32_e32 v5, 0
	s_barrier
	s_and_saveexec_b64 s[2:3], vcc
	s_cbranch_execz .LBB92_30
; %bb.29:
	s_mul_hi_i32 s5, s18, s6
	s_mul_i32 s4, s18, s6
	s_and_b32 s9, s9, 0xffff
	s_lshl_b64 s[4:5], s[4:5], 1
	s_add_u32 s20, s26, s4
	s_mov_b32 s11, 0x20000
	s_addc_u32 s4, s27, s5
	s_and_b32 s21, s4, 0xffff
	s_mov_b32 s22, s10
	s_mov_b32 s23, s11
	s_movk_i32 s5, 0x800
	s_movk_i32 s4, 0x400
	buffer_load_dwordx4 v[30:33], v67, s[20:23], 0 offen glc slc
	buffer_load_dwordx4 v[22:25], v67, s[20:23], s4 offen glc slc
	s_movk_i32 s7, 0xc00
	buffer_load_dwordx4 v[26:29], v67, s[20:23], s5 offen glc slc
	buffer_load_dwordx4 v[18:21], v67, s[20:23], s7 offen glc slc
	buffer_load_dwordx4 v[14:17], v67, s[8:11], 0 offen
	buffer_load_dwordx4 v[10:13], v67, s[8:11], s4 offen
	;; [unrolled: 1-line block ×4, first 2 shown]
.LBB92_30:
	s_or_b64 exec, exec, s[2:3]
	v_mov_b32_e32 v35, 0
	v_mov_b32_e32 v64, 0
	;; [unrolled: 1-line block ×31, first 2 shown]
	s_and_saveexec_b64 s[2:3], vcc
	s_cbranch_execz .LBB92_32
; %bb.31:
	s_waitcnt vmcnt(7)
	v_cvt_f32_u32_sdwa v34, v30 dst_sel:DWORD dst_unused:UNUSED_PAD src0_sel:WORD_0
	v_cvt_f32_u32_sdwa v35, v30 dst_sel:DWORD dst_unused:UNUSED_PAD src0_sel:WORD_1
	v_cvt_f32_u32_sdwa v64, v31 dst_sel:DWORD dst_unused:UNUSED_PAD src0_sel:WORD_0
	v_cvt_f32_u32_sdwa v65, v31 dst_sel:DWORD dst_unused:UNUSED_PAD src0_sel:WORD_1
	v_cvt_f32_u32_sdwa v62, v32 dst_sel:DWORD dst_unused:UNUSED_PAD src0_sel:WORD_0
	v_cvt_f32_u32_sdwa v63, v32 dst_sel:DWORD dst_unused:UNUSED_PAD src0_sel:WORD_1
	v_cvt_f32_u32_sdwa v60, v33 dst_sel:DWORD dst_unused:UNUSED_PAD src0_sel:WORD_0
	v_cvt_f32_u32_sdwa v61, v33 dst_sel:DWORD dst_unused:UNUSED_PAD src0_sel:WORD_1
	s_waitcnt vmcnt(6)
	v_cvt_f32_u32_sdwa v58, v22 dst_sel:DWORD dst_unused:UNUSED_PAD src0_sel:WORD_0
	v_cvt_f32_u32_sdwa v59, v22 dst_sel:DWORD dst_unused:UNUSED_PAD src0_sel:WORD_1
	v_cvt_f32_u32_sdwa v56, v23 dst_sel:DWORD dst_unused:UNUSED_PAD src0_sel:WORD_0
	v_cvt_f32_u32_sdwa v57, v23 dst_sel:DWORD dst_unused:UNUSED_PAD src0_sel:WORD_1
	v_cvt_f32_u32_sdwa v54, v24 dst_sel:DWORD dst_unused:UNUSED_PAD src0_sel:WORD_0
	v_cvt_f32_u32_sdwa v55, v24 dst_sel:DWORD dst_unused:UNUSED_PAD src0_sel:WORD_1
	v_cvt_f32_u32_sdwa v52, v25 dst_sel:DWORD dst_unused:UNUSED_PAD src0_sel:WORD_0
	v_cvt_f32_u32_sdwa v53, v25 dst_sel:DWORD dst_unused:UNUSED_PAD src0_sel:WORD_1
	;; [unrolled: 9-line block ×4, first 2 shown]
.LBB92_32:
	s_or_b64 exec, exec, s[2:3]
	v_mul_f32_e32 v1, v35, v35
	v_fmac_f32_e32 v1, v34, v34
	v_fmac_f32_e32 v1, v64, v64
	;; [unrolled: 1-line block ×31, first 2 shown]
	s_waitcnt vmcnt(4)
	s_nop 0
	v_mov_b32_dpp v18, v1 quad_perm:[1,0,3,2] row_mask:0xf bank_mask:0xf
	v_add_f32_e32 v1, v1, v18
	s_nop 1
	v_mov_b32_dpp v18, v1 quad_perm:[2,3,0,1] row_mask:0xf bank_mask:0xf
	v_add_f32_e32 v1, v1, v18
	s_nop 1
	v_mov_b32_dpp v18, v1 row_half_mirror row_mask:0xf bank_mask:0xf
	v_add_f32_e32 v1, v1, v18
	s_nop 1
	v_mov_b32_dpp v18, v1 row_mirror row_mask:0xf bank_mask:0xf
	v_add_f32_e32 v1, v1, v18
	s_nop 1
	v_mov_b32_dpp v18, v1 row_bcast:15 row_mask:0xf bank_mask:0xf
	v_add_f32_e32 v1, v1, v18
	s_nop 1
	v_mov_b32_dpp v18, v1 row_bcast:31 row_mask:0xf bank_mask:0xf
	s_and_saveexec_b64 s[2:3], s[0:1]
	s_cbranch_execz .LBB92_34
; %bb.33:
	v_lshrrev_b32_e32 v0, 4, v0
	v_add_f32_e32 v1, v1, v18
	v_and_b32_e32 v0, 60, v0
	ds_write_b32 v0, v1 offset:16
.LBB92_34:
	s_or_b64 exec, exec, s[2:3]
	s_waitcnt lgkmcnt(0)
	s_barrier
	ds_read_b32 v0, v66 offset:16
	s_waitcnt lgkmcnt(0)
	s_nop 0
	v_mov_b32_dpp v1, v0 quad_perm:[1,0,3,2] row_mask:0xf bank_mask:0xf
	v_add_f32_e32 v0, v0, v1
	s_nop 1
	v_mov_b32_dpp v1, v0 quad_perm:[2,3,0,1] row_mask:0xf bank_mask:0xf
	s_and_saveexec_b64 s[0:1], vcc
	s_cbranch_execz .LBB92_12
; %bb.35:
	v_cvt_f32_u32_e32 v18, s16
	v_add_f32_e32 v0, v0, v1
	s_mov_b32 s11, 0x20000
	v_div_scale_f32 v1, s[0:1], v18, v18, v0
	v_rcp_f32_e32 v19, v1
	v_div_scale_f32 v20, vcc, v0, v18, v0
	s_mov_b32 s0, 0x800000
	v_fma_f32 v21, -v1, v19, 1.0
	v_fmac_f32_e32 v19, v21, v19
	v_mul_f32_e32 v21, v20, v19
	v_fma_f32 v22, -v1, v21, v20
	v_fmac_f32_e32 v21, v22, v19
	v_fma_f32 v1, -v1, v21, v20
	v_div_fmas_f32 v1, v1, v19, v21
	v_div_fixup_f32 v0, v1, v18, v0
	v_add_f32_e32 v0, s13, v0
	v_mul_f32_e32 v1, 0x4b800000, v0
	v_cmp_gt_f32_e32 vcc, s0, v0
	v_cndmask_b32_e32 v0, v0, v1, vcc
	v_rsq_f32_e32 v0, v0
	s_mul_hi_i32 s1, s29, s6
	s_mul_i32 s0, s29, s6
	s_lshl_b64 s[0:1], s[0:1], 1
	v_mul_f32_e32 v1, 0x45800000, v0
	v_cndmask_b32_e32 v18, v0, v1, vcc
	v_mov_b32_e32 v19, v18
	;;#ASMSTART
	v_pk_mul_f32 v[20:21], v[34:35], v[18:19]
	;;#ASMEND
	;;#ASMSTART
	v_pk_mul_f32 v[22:23], v[64:65], v[18:19]
	;;#ASMEND
	;; [unrolled: 3-line block ×16, first 2 shown]
	s_waitcnt vmcnt(3)
	v_cvt_f32_u32_sdwa v37, v14 dst_sel:DWORD dst_unused:UNUSED_PAD src0_sel:WORD_1
	v_cvt_f32_u32_sdwa v36, v14 dst_sel:DWORD dst_unused:UNUSED_PAD src0_sel:WORD_0
	v_cvt_f32_u32_sdwa v43, v15 dst_sel:DWORD dst_unused:UNUSED_PAD src0_sel:WORD_1
	v_cvt_f32_u32_sdwa v42, v15 dst_sel:DWORD dst_unused:UNUSED_PAD src0_sel:WORD_0
	;; [unrolled: 2-line block ×4, first 2 shown]
	;;#ASMSTART
	v_pk_mul_f32 v[16:17], v[20:21], v[36:37]
	;;#ASMEND
	;;#ASMSTART
	v_pk_mul_f32 v[20:21], v[22:23], v[42:43]
	;;#ASMEND
	;; [unrolled: 3-line block ×4, first 2 shown]
	s_waitcnt vmcnt(2)
	v_cvt_f32_u32_sdwa v25, v10 dst_sel:DWORD dst_unused:UNUSED_PAD src0_sel:WORD_1
	v_cvt_f32_u32_sdwa v24, v10 dst_sel:DWORD dst_unused:UNUSED_PAD src0_sel:WORD_0
	v_cvt_f32_u32_sdwa v27, v11 dst_sel:DWORD dst_unused:UNUSED_PAD src0_sel:WORD_1
	v_cvt_f32_u32_sdwa v26, v11 dst_sel:DWORD dst_unused:UNUSED_PAD src0_sel:WORD_0
	v_cvt_f32_u32_sdwa v11, v12 dst_sel:DWORD dst_unused:UNUSED_PAD src0_sel:WORD_1
	v_cvt_f32_u32_sdwa v10, v12 dst_sel:DWORD dst_unused:UNUSED_PAD src0_sel:WORD_0
	s_add_u32 s8, s24, s0
	v_cvt_f32_u32_sdwa v37, v13 dst_sel:DWORD dst_unused:UNUSED_PAD src0_sel:WORD_1
	v_cvt_f32_u32_sdwa v36, v13 dst_sel:DWORD dst_unused:UNUSED_PAD src0_sel:WORD_0
	;;#ASMSTART
	v_pk_mul_f32 v[12:13], v[28:29], v[24:25]
	;;#ASMEND
	;;#ASMSTART
	v_pk_mul_f32 v[24:25], v[30:31], v[26:27]
	;;#ASMEND
	;; [unrolled: 3-line block ×3, first 2 shown]
	s_waitcnt vmcnt(1)
	v_cvt_f32_u32_sdwa v29, v6 dst_sel:DWORD dst_unused:UNUSED_PAD src0_sel:WORD_1
	v_cvt_f32_u32_sdwa v28, v6 dst_sel:DWORD dst_unused:UNUSED_PAD src0_sel:WORD_0
	v_cvt_f32_u32_sdwa v31, v7 dst_sel:DWORD dst_unused:UNUSED_PAD src0_sel:WORD_1
	v_cvt_f32_u32_sdwa v30, v7 dst_sel:DWORD dst_unused:UNUSED_PAD src0_sel:WORD_0
	;; [unrolled: 2-line block ×4, first 2 shown]
	s_addc_u32 s0, s25, s1
	;;#ASMSTART
	v_pk_mul_f32 v[26:27], v[34:35], v[36:37]
	;;#ASMEND
	;;#ASMSTART
	v_pk_mul_f32 v[8:9], v[50:51], v[28:29]
	;;#ASMEND
	;; [unrolled: 3-line block ×5, first 2 shown]
	s_waitcnt vmcnt(0)
	v_cvt_f32_u32_sdwa v33, v2 dst_sel:DWORD dst_unused:UNUSED_PAD src0_sel:WORD_1
	v_cvt_f32_u32_sdwa v32, v2 dst_sel:DWORD dst_unused:UNUSED_PAD src0_sel:WORD_0
	v_cvt_f32_u32_sdwa v35, v3 dst_sel:DWORD dst_unused:UNUSED_PAD src0_sel:WORD_1
	v_cvt_f32_u32_sdwa v34, v3 dst_sel:DWORD dst_unused:UNUSED_PAD src0_sel:WORD_0
	;; [unrolled: 2-line block ×3, first 2 shown]
	s_and_b32 s9, s0, 0xffff
	s_mov_b32 s0, 0x7060302
	v_cvt_f32_u32_sdwa v37, v5 dst_sel:DWORD dst_unused:UNUSED_PAD src0_sel:WORD_1
	v_cvt_f32_u32_sdwa v36, v5 dst_sel:DWORD dst_unused:UNUSED_PAD src0_sel:WORD_0
	;;#ASMSTART
	v_pk_mul_f32 v[4:5], v[0:1], v[32:33]
	;;#ASMEND
	;;#ASMSTART
	v_pk_mul_f32 v[32:33], v[40:41], v[34:35]
	;;#ASMEND
	;; [unrolled: 3-line block ×3, first 2 shown]
	v_perm_b32 v0, v17, v16, s0
	v_perm_b32 v1, v21, v20, s0
	;; [unrolled: 1-line block ×4, first 2 shown]
	;;#ASMSTART
	v_pk_mul_f32 v[18:19], v[18:19], v[36:37]
	;;#ASMEND
	buffer_store_dwordx4 v[0:3], v67, s[8:11], 0 offen
	s_movk_i32 s1, 0x400
	v_perm_b32 v0, v13, v12, s0
	v_perm_b32 v1, v25, v24, s0
	;; [unrolled: 1-line block ×4, first 2 shown]
	;;#ASMSTART
	s_nop 0
	;;#ASMEND
	buffer_store_dwordx4 v[0:3], v67, s[8:11], s1 offen
	v_perm_b32 v0, v9, v8, s0
	v_perm_b32 v1, v29, v28, s0
	v_perm_b32 v2, v7, v6, s0
	v_perm_b32 v3, v31, v30, s0
	s_movk_i32 s1, 0x800
	;;#ASMSTART
	s_nop 0
	;;#ASMEND
	buffer_store_dwordx4 v[0:3], v67, s[8:11], s1 offen
	v_perm_b32 v0, v5, v4, s0
	v_perm_b32 v1, v33, v32, s0
	;; [unrolled: 1-line block ×4, first 2 shown]
	s_movk_i32 s0, 0xc00
	;;#ASMSTART
	s_nop 0
	;;#ASMEND
	buffer_store_dwordx4 v[0:3], v67, s[8:11], s0 offen
	;;#ASMSTART
	s_nop 0
	;;#ASMEND
	s_endpgm
	.section	.rodata,"a",@progbits
	.p2align	6, 0x0
	.amdhsa_kernel _ZN5aiter35fused_qk_rmsnorm_group_quant_kernelItDB8_Li256ELi32ELi1ELb0ELb1ELb0ELb0ELb1ELb1EEEvPT0_PvPT_S6_S6_PKS5_S8_S8_S8_S8_ffiiiiiiiiiiiii
		.amdhsa_group_segment_fixed_size 48
		.amdhsa_private_segment_fixed_size 0
		.amdhsa_kernarg_size 400
		.amdhsa_user_sgpr_count 6
		.amdhsa_user_sgpr_private_segment_buffer 1
		.amdhsa_user_sgpr_dispatch_ptr 0
		.amdhsa_user_sgpr_queue_ptr 0
		.amdhsa_user_sgpr_kernarg_segment_ptr 1
		.amdhsa_user_sgpr_dispatch_id 0
		.amdhsa_user_sgpr_flat_scratch_init 0
		.amdhsa_user_sgpr_kernarg_preload_length 0
		.amdhsa_user_sgpr_kernarg_preload_offset 0
		.amdhsa_user_sgpr_private_segment_size 0
		.amdhsa_uses_dynamic_stack 0
		.amdhsa_system_sgpr_private_segment_wavefront_offset 0
		.amdhsa_system_sgpr_workgroup_id_x 1
		.amdhsa_system_sgpr_workgroup_id_y 1
		.amdhsa_system_sgpr_workgroup_id_z 0
		.amdhsa_system_sgpr_workgroup_info 0
		.amdhsa_system_vgpr_workitem_id 0
		.amdhsa_next_free_vgpr 68
		.amdhsa_next_free_sgpr 32
		.amdhsa_accum_offset 68
		.amdhsa_reserve_vcc 1
		.amdhsa_reserve_flat_scratch 0
		.amdhsa_float_round_mode_32 0
		.amdhsa_float_round_mode_16_64 0
		.amdhsa_float_denorm_mode_32 3
		.amdhsa_float_denorm_mode_16_64 3
		.amdhsa_dx10_clamp 1
		.amdhsa_ieee_mode 1
		.amdhsa_fp16_overflow 0
		.amdhsa_tg_split 0
		.amdhsa_exception_fp_ieee_invalid_op 0
		.amdhsa_exception_fp_denorm_src 0
		.amdhsa_exception_fp_ieee_div_zero 0
		.amdhsa_exception_fp_ieee_overflow 0
		.amdhsa_exception_fp_ieee_underflow 0
		.amdhsa_exception_fp_ieee_inexact 0
		.amdhsa_exception_int_div_zero 0
	.end_amdhsa_kernel
	.section	.text._ZN5aiter35fused_qk_rmsnorm_group_quant_kernelItDB8_Li256ELi32ELi1ELb0ELb1ELb0ELb0ELb1ELb1EEEvPT0_PvPT_S6_S6_PKS5_S8_S8_S8_S8_ffiiiiiiiiiiiii,"axG",@progbits,_ZN5aiter35fused_qk_rmsnorm_group_quant_kernelItDB8_Li256ELi32ELi1ELb0ELb1ELb0ELb0ELb1ELb1EEEvPT0_PvPT_S6_S6_PKS5_S8_S8_S8_S8_ffiiiiiiiiiiiii,comdat
.Lfunc_end92:
	.size	_ZN5aiter35fused_qk_rmsnorm_group_quant_kernelItDB8_Li256ELi32ELi1ELb0ELb1ELb0ELb0ELb1ELb1EEEvPT0_PvPT_S6_S6_PKS5_S8_S8_S8_S8_ffiiiiiiiiiiiii, .Lfunc_end92-_ZN5aiter35fused_qk_rmsnorm_group_quant_kernelItDB8_Li256ELi32ELi1ELb0ELb1ELb0ELb0ELb1ELb1EEEvPT0_PvPT_S6_S6_PKS5_S8_S8_S8_S8_ffiiiiiiiiiiiii
                                        ; -- End function
	.section	.AMDGPU.csdata,"",@progbits
; Kernel info:
; codeLenInByte = 6064
; NumSgprs: 36
; NumVgprs: 68
; NumAgprs: 0
; TotalNumVgprs: 68
; ScratchSize: 0
; MemoryBound: 0
; FloatMode: 240
; IeeeMode: 1
; LDSByteSize: 48 bytes/workgroup (compile time only)
; SGPRBlocks: 4
; VGPRBlocks: 8
; NumSGPRsForWavesPerEU: 36
; NumVGPRsForWavesPerEU: 68
; AccumOffset: 68
; Occupancy: 7
; WaveLimiterHint : 0
; COMPUTE_PGM_RSRC2:SCRATCH_EN: 0
; COMPUTE_PGM_RSRC2:USER_SGPR: 6
; COMPUTE_PGM_RSRC2:TRAP_HANDLER: 0
; COMPUTE_PGM_RSRC2:TGID_X_EN: 1
; COMPUTE_PGM_RSRC2:TGID_Y_EN: 1
; COMPUTE_PGM_RSRC2:TGID_Z_EN: 0
; COMPUTE_PGM_RSRC2:TIDIG_COMP_CNT: 0
; COMPUTE_PGM_RSRC3_GFX90A:ACCUM_OFFSET: 16
; COMPUTE_PGM_RSRC3_GFX90A:TG_SPLIT: 0
	.section	.text._ZN5aiter35fused_qk_rmsnorm_group_quant_kernelIDF16_DB8_Li256ELi32ELi1ELb0ELb0ELb1ELb0ELb1ELb1EEEvPT0_PvPT_S6_S6_PKS5_S8_S8_S8_S8_ffiiiiiiiiiiiii,"axG",@progbits,_ZN5aiter35fused_qk_rmsnorm_group_quant_kernelIDF16_DB8_Li256ELi32ELi1ELb0ELb0ELb1ELb0ELb1ELb1EEEvPT0_PvPT_S6_S6_PKS5_S8_S8_S8_S8_ffiiiiiiiiiiiii,comdat
	.protected	_ZN5aiter35fused_qk_rmsnorm_group_quant_kernelIDF16_DB8_Li256ELi32ELi1ELb0ELb0ELb1ELb0ELb1ELb1EEEvPT0_PvPT_S6_S6_PKS5_S8_S8_S8_S8_ffiiiiiiiiiiiii ; -- Begin function _ZN5aiter35fused_qk_rmsnorm_group_quant_kernelIDF16_DB8_Li256ELi32ELi1ELb0ELb0ELb1ELb0ELb1ELb1EEEvPT0_PvPT_S6_S6_PKS5_S8_S8_S8_S8_ffiiiiiiiiiiiii
	.globl	_ZN5aiter35fused_qk_rmsnorm_group_quant_kernelIDF16_DB8_Li256ELi32ELi1ELb0ELb0ELb1ELb0ELb1ELb1EEEvPT0_PvPT_S6_S6_PKS5_S8_S8_S8_S8_ffiiiiiiiiiiiii
	.p2align	8
	.type	_ZN5aiter35fused_qk_rmsnorm_group_quant_kernelIDF16_DB8_Li256ELi32ELi1ELb0ELb0ELb1ELb0ELb1ELb1EEEvPT0_PvPT_S6_S6_PKS5_S8_S8_S8_S8_ffiiiiiiiiiiiii,@function
_ZN5aiter35fused_qk_rmsnorm_group_quant_kernelIDF16_DB8_Li256ELi32ELi1ELb0ELb0ELb1ELb0ELb1ELb1EEEvPT0_PvPT_S6_S6_PKS5_S8_S8_S8_S8_ffiiiiiiiiiiiii: ; @_ZN5aiter35fused_qk_rmsnorm_group_quant_kernelIDF16_DB8_Li256ELi32ELi1ELb0ELb0ELb1ELb0ELb1ELb1EEEvPT0_PvPT_S6_S6_PKS5_S8_S8_S8_S8_ffiiiiiiiiiiiii
; %bb.0:
	s_load_dwordx4 s[12:15], s[4:5], 0x50
	s_waitcnt lgkmcnt(0)
	s_cmp_ge_i32 s6, s14
	s_cbranch_scc1 .LBB93_12
; %bb.1:
	s_load_dwordx2 s[8:9], s[4:5], 0x48
	s_load_dwordx2 s[26:27], s[4:5], 0x30
	s_load_dwordx4 s[16:19], s[4:5], 0x60
	s_cmp_lg_u32 s7, 0
	s_cselect_b64 s[10:11], -1, 0
	s_cmp_eq_u32 s7, 0
	s_cselect_b64 vcc, -1, 0
	s_and_b64 s[0:1], vcc, exec
	s_waitcnt lgkmcnt(0)
	s_cselect_b32 s7, s15, s16
	s_add_i32 s0, s7, 1
	s_lshr_b32 s1, s0, 31
	s_add_i32 s0, s0, s1
	s_lshl_b32 s0, s0, 1
	v_lshlrev_b32_e32 v2, 5, v0
	s_and_b32 s22, s0, -4
	v_lshlrev_b32_e32 v1, 3, v0
	v_and_b32_e32 v2, 0x7800, v2
	s_movk_i32 s0, 0x1f8
	v_and_or_b32 v1, v1, s0, v2
	v_cmp_gt_i32_e64 s[2:3], s7, v1
	v_mov_b32_e32 v34, 0
	v_mov_b32_e32 v14, 0
	;; [unrolled: 1-line block ×33, first 2 shown]
	s_and_saveexec_b64 s[0:1], s[2:3]
	s_cbranch_execz .LBB93_3
; %bb.2:
	s_load_dwordx2 s[20:21], s[4:5], 0x28
	s_load_dwordx2 s[24:25], s[4:5], 0x40
	s_and_b64 s[28:29], vcc, exec
	s_cselect_b32 s14, s17, s18
	s_mov_b32 s23, 0x20000
	s_waitcnt lgkmcnt(0)
	s_cselect_b32 s17, s21, s27
	s_cselect_b32 s19, s20, s26
	s_mul_hi_i32 s21, s14, s6
	s_mul_i32 s20, s14, s6
	s_lshl_b64 s[20:21], s[20:21], 1
	s_add_u32 s28, s19, s20
	s_addc_u32 s14, s17, s21
	s_and_b64 s[20:21], vcc, exec
	s_cselect_b32 s17, s25, s9
	s_cselect_b32 s20, s24, s8
	s_and_b32 s21, s17, 0xffff
	s_and_b32 s29, s14, 0xffff
	s_mov_b32 s30, s22
	s_mov_b32 s31, s23
	v_lshlrev_b32_e32 v35, 1, v1
	s_movk_i32 s17, 0x800
	s_movk_i32 s14, 0x400
	buffer_load_dwordx4 v[30:33], v35, s[28:31], 0 offen glc slc
	buffer_load_dwordx4 v[22:25], v35, s[28:31], s14 offen glc slc
	s_movk_i32 s19, 0xc00
	buffer_load_dwordx4 v[26:29], v35, s[28:31], s17 offen glc slc
	buffer_load_dwordx4 v[18:21], v35, s[28:31], s19 offen glc slc
	buffer_load_dwordx4 v[14:17], v35, s[20:23], 0 offen
	buffer_load_dwordx4 v[10:13], v35, s[20:23], s14 offen
	;; [unrolled: 1-line block ×4, first 2 shown]
.LBB93_3:
	s_or_b64 exec, exec, s[0:1]
	v_mov_b32_e32 v35, 0
	v_mov_b32_e32 v64, 0
	;; [unrolled: 1-line block ×31, first 2 shown]
	s_and_saveexec_b64 s[0:1], s[2:3]
	s_cbranch_execz .LBB93_5
; %bb.4:
	s_waitcnt vmcnt(7)
	v_cvt_f32_f16_sdwa v35, v30 dst_sel:DWORD dst_unused:UNUSED_PAD src0_sel:WORD_1
	v_cvt_f32_f16_e32 v34, v30
	v_cvt_f32_f16_sdwa v65, v31 dst_sel:DWORD dst_unused:UNUSED_PAD src0_sel:WORD_1
	v_cvt_f32_f16_e32 v64, v31
	v_cvt_f32_f16_sdwa v61, v32 dst_sel:DWORD dst_unused:UNUSED_PAD src0_sel:WORD_1
	v_cvt_f32_f16_e32 v60, v32
	v_cvt_f32_f16_sdwa v63, v33 dst_sel:DWORD dst_unused:UNUSED_PAD src0_sel:WORD_1
	v_cvt_f32_f16_e32 v62, v33
	s_waitcnt vmcnt(6)
	v_cvt_f32_f16_sdwa v55, v22 dst_sel:DWORD dst_unused:UNUSED_PAD src0_sel:WORD_1
	v_cvt_f32_f16_e32 v54, v22
	v_cvt_f32_f16_sdwa v59, v23 dst_sel:DWORD dst_unused:UNUSED_PAD src0_sel:WORD_1
	v_cvt_f32_f16_e32 v58, v23
	v_cvt_f32_f16_sdwa v53, v24 dst_sel:DWORD dst_unused:UNUSED_PAD src0_sel:WORD_1
	v_cvt_f32_f16_e32 v52, v24
	v_cvt_f32_f16_sdwa v57, v25 dst_sel:DWORD dst_unused:UNUSED_PAD src0_sel:WORD_1
	v_cvt_f32_f16_e32 v56, v25
	;; [unrolled: 9-line block ×4, first 2 shown]
.LBB93_5:
	s_or_b64 exec, exec, s[0:1]
	s_waitcnt vmcnt(4)
	v_mul_f32_e32 v18, v35, v35
	v_fmac_f32_e32 v18, v34, v34
	v_fmac_f32_e32 v18, v64, v64
	;; [unrolled: 1-line block ×31, first 2 shown]
	v_and_b32_e32 v20, 63, v0
	v_cmp_eq_u32_e64 s[0:1], 63, v20
	v_mov_b32_dpp v19, v18 quad_perm:[1,0,3,2] row_mask:0xf bank_mask:0xf
	v_add_f32_e32 v18, v18, v19
	s_nop 1
	v_mov_b32_dpp v19, v18 quad_perm:[2,3,0,1] row_mask:0xf bank_mask:0xf
	v_add_f32_e32 v18, v18, v19
	s_nop 1
	v_mov_b32_dpp v19, v18 row_half_mirror row_mask:0xf bank_mask:0xf
	v_add_f32_e32 v18, v18, v19
	s_nop 1
	v_mov_b32_dpp v19, v18 row_mirror row_mask:0xf bank_mask:0xf
	v_add_f32_e32 v18, v18, v19
	s_nop 1
	v_mov_b32_dpp v19, v18 row_bcast:15 row_mask:0xf bank_mask:0xf
	v_add_f32_e32 v18, v18, v19
	s_nop 1
	v_mov_b32_dpp v19, v18 row_bcast:31 row_mask:0xf bank_mask:0xf
	s_and_saveexec_b64 s[20:21], s[0:1]
	s_cbranch_execz .LBB93_7
; %bb.6:
	v_add_f32_e32 v18, v18, v19
	v_lshrrev_b32_e32 v19, 4, v0
	v_and_b32_e32 v19, 60, v19
	ds_write_b32 v19, v18 offset:32
.LBB93_7:
	s_or_b64 exec, exec, s[20:21]
	v_and_b32_e32 v18, 3, v0
	v_lshlrev_b32_e32 v66, 2, v18
	s_waitcnt lgkmcnt(0)
	s_barrier
	ds_read_b32 v18, v66 offset:32
	s_load_dwordx2 s[24:25], s[4:5], 0x18
	s_waitcnt lgkmcnt(0)
	v_mov_b32_dpp v19, v18 quad_perm:[1,0,3,2] row_mask:0xf bank_mask:0xf
	v_add_f32_e32 v18, v18, v19
	s_nop 1
	v_mov_b32_dpp v19, v18 quad_perm:[2,3,0,1] row_mask:0xf bank_mask:0xf
	s_and_saveexec_b64 s[20:21], s[2:3]
	s_cbranch_execz .LBB93_9
; %bb.8:
	v_cvt_f32_u32_e32 v20, s7
	v_add_f32_e32 v18, v18, v19
	v_mov_b32_e32 v22, s13
	v_mov_b32_e32 v23, s12
	v_div_scale_f32 v19, s[28:29], v20, v20, v18
	v_rcp_f32_e32 v21, v19
	v_cndmask_b32_e32 v22, v22, v23, vcc
	s_mov_b32 s7, 0x800000
	v_fma_f32 v23, -v19, v21, 1.0
	v_fmac_f32_e32 v21, v23, v21
	v_div_scale_f32 v23, vcc, v18, v20, v18
	v_mul_f32_e32 v24, v23, v21
	v_fma_f32 v25, -v19, v24, v23
	v_fmac_f32_e32 v24, v25, v21
	v_fma_f32 v19, -v19, v24, v23
	v_div_fmas_f32 v19, v19, v21, v24
	v_div_fixup_f32 v18, v19, v20, v18
	v_add_f32_e32 v18, v22, v18
	v_mul_f32_e32 v19, 0x4b800000, v18
	v_cmp_gt_f32_e32 vcc, s7, v18
	v_cndmask_b32_e32 v18, v18, v19, vcc
	v_rsq_f32_e32 v18, v18
	v_mul_f32_e32 v19, 0x45800000, v18
	v_cndmask_b32_e32 v22, v18, v19, vcc
	v_mov_b32_e32 v23, v22
	;;#ASMSTART
	v_pk_mul_f32 v[24:25], v[34:35], v[22:23]
	;;#ASMEND
	s_waitcnt vmcnt(3)
	v_cvt_f32_f16_sdwa v35, v14 dst_sel:DWORD dst_unused:UNUSED_PAD src0_sel:WORD_1
	v_cvt_f32_f16_e32 v34, v14
	;;#ASMSTART
	v_pk_mul_f32 v[26:27], v[64:65], v[22:23]
	;;#ASMEND
	;;#ASMSTART
	v_pk_mul_f32 v[28:29], v[60:61], v[22:23]
	;;#ASMEND
	;; [unrolled: 3-line block ×14, first 2 shown]
	v_cvt_f32_f16_sdwa v39, v15 dst_sel:DWORD dst_unused:UNUSED_PAD src0_sel:WORD_1
	v_cvt_f32_f16_e32 v38, v15
	;;#ASMSTART
	v_pk_mul_f32 v[14:15], v[36:37], v[22:23]
	;;#ASMEND
	v_pk_add_f32 v[22:23], v[34:35], 1.0 op_sel_hi:[1,0]
	;;#ASMSTART
	v_pk_mul_f32 v[34:35], v[24:25], v[22:23]
	;;#ASMEND
	v_cvt_f32_f16_sdwa v25, v16 dst_sel:DWORD dst_unused:UNUSED_PAD src0_sel:WORD_1
	v_cvt_f32_f16_e32 v24, v16
	v_cvt_f32_f16_sdwa v37, v17 dst_sel:DWORD dst_unused:UNUSED_PAD src0_sel:WORD_1
	v_cvt_f32_f16_e32 v36, v17
	v_pk_add_f32 v[22:23], v[38:39], 1.0 op_sel_hi:[1,0]
	;;#ASMSTART
	v_pk_mul_f32 v[64:65], v[26:27], v[22:23]
	;;#ASMEND
	s_waitcnt vmcnt(2)
	v_cvt_f32_f16_sdwa v23, v10 dst_sel:DWORD dst_unused:UNUSED_PAD src0_sel:WORD_1
	v_cvt_f32_f16_e32 v22, v10
	v_pk_add_f32 v[16:17], v[24:25], 1.0 op_sel_hi:[1,0]
	;;#ASMSTART
	v_pk_mul_f32 v[60:61], v[28:29], v[16:17]
	;;#ASMEND
	v_pk_add_f32 v[16:17], v[36:37], 1.0 op_sel_hi:[1,0]
	v_cvt_f32_f16_sdwa v25, v11 dst_sel:DWORD dst_unused:UNUSED_PAD src0_sel:WORD_1
	v_cvt_f32_f16_e32 v24, v11
	;;#ASMSTART
	v_pk_mul_f32 v[62:63], v[30:31], v[16:17]
	;;#ASMEND
	v_cvt_f32_f16_sdwa v17, v12 dst_sel:DWORD dst_unused:UNUSED_PAD src0_sel:WORD_1
	v_cvt_f32_f16_e32 v16, v12
	v_pk_add_f32 v[10:11], v[22:23], 1.0 op_sel_hi:[1,0]
	v_cvt_f32_f16_sdwa v23, v13 dst_sel:DWORD dst_unused:UNUSED_PAD src0_sel:WORD_1
	v_cvt_f32_f16_e32 v22, v13
	;;#ASMSTART
	v_pk_mul_f32 v[54:55], v[32:33], v[10:11]
	;;#ASMEND
	v_pk_add_f32 v[10:11], v[24:25], 1.0 op_sel_hi:[1,0]
	s_waitcnt vmcnt(1)
	v_cvt_f32_f16_sdwa v13, v6 dst_sel:DWORD dst_unused:UNUSED_PAD src0_sel:WORD_1
	v_cvt_f32_f16_e32 v12, v6
	;;#ASMSTART
	v_pk_mul_f32 v[58:59], v[58:59], v[10:11]
	;;#ASMEND
	v_pk_add_f32 v[10:11], v[16:17], 1.0 op_sel_hi:[1,0]
	;;#ASMSTART
	v_pk_mul_f32 v[52:53], v[52:53], v[10:11]
	;;#ASMEND
	v_pk_add_f32 v[10:11], v[22:23], 1.0 op_sel_hi:[1,0]
	v_cvt_f32_f16_sdwa v17, v7 dst_sel:DWORD dst_unused:UNUSED_PAD src0_sel:WORD_1
	v_cvt_f32_f16_e32 v16, v7
	;;#ASMSTART
	v_pk_mul_f32 v[56:57], v[56:57], v[10:11]
	;;#ASMEND
	v_cvt_f32_f16_sdwa v11, v8 dst_sel:DWORD dst_unused:UNUSED_PAD src0_sel:WORD_1
	v_cvt_f32_f16_e32 v10, v8
	v_pk_add_f32 v[6:7], v[12:13], 1.0 op_sel_hi:[1,0]
	v_cvt_f32_f16_sdwa v13, v9 dst_sel:DWORD dst_unused:UNUSED_PAD src0_sel:WORD_1
	v_cvt_f32_f16_e32 v12, v9
	;;#ASMSTART
	v_pk_mul_f32 v[46:47], v[46:47], v[6:7]
	;;#ASMEND
	v_pk_add_f32 v[6:7], v[16:17], 1.0 op_sel_hi:[1,0]
	s_waitcnt vmcnt(0)
	v_cvt_f32_f16_sdwa v9, v2 dst_sel:DWORD dst_unused:UNUSED_PAD src0_sel:WORD_1
	v_cvt_f32_f16_e32 v8, v2
	;;#ASMSTART
	v_pk_mul_f32 v[50:51], v[50:51], v[6:7]
	;;#ASMEND
	v_pk_add_f32 v[6:7], v[10:11], 1.0 op_sel_hi:[1,0]
	;;#ASMSTART
	v_pk_mul_f32 v[44:45], v[44:45], v[6:7]
	;;#ASMEND
	v_pk_add_f32 v[6:7], v[12:13], 1.0 op_sel_hi:[1,0]
	v_cvt_f32_f16_sdwa v11, v3 dst_sel:DWORD dst_unused:UNUSED_PAD src0_sel:WORD_1
	v_cvt_f32_f16_e32 v10, v3
	;;#ASMSTART
	v_pk_mul_f32 v[48:49], v[48:49], v[6:7]
	;;#ASMEND
	v_cvt_f32_f16_sdwa v7, v4 dst_sel:DWORD dst_unused:UNUSED_PAD src0_sel:WORD_1
	v_cvt_f32_f16_e32 v6, v4
	v_pk_add_f32 v[2:3], v[8:9], 1.0 op_sel_hi:[1,0]
	v_cvt_f32_f16_sdwa v9, v5 dst_sel:DWORD dst_unused:UNUSED_PAD src0_sel:WORD_1
	v_cvt_f32_f16_e32 v8, v5
	;;#ASMSTART
	v_pk_mul_f32 v[40:41], v[40:41], v[2:3]
	;;#ASMEND
	v_pk_add_f32 v[2:3], v[10:11], 1.0 op_sel_hi:[1,0]
	;;#ASMSTART
	v_pk_mul_f32 v[42:43], v[18:19], v[2:3]
	;;#ASMEND
	v_pk_add_f32 v[2:3], v[6:7], 1.0 op_sel_hi:[1,0]
	;; [unrolled: 4-line block ×3, first 2 shown]
	;;#ASMSTART
	v_pk_mul_f32 v[36:37], v[14:15], v[2:3]
	;;#ASMEND
.LBB93_9:
	s_or_b64 exec, exec, s[20:21]
	s_load_dword s7, s[4:5], 0x80
	s_mov_b64 s[20:21], -1
	s_and_b64 vcc, exec, s[10:11]
	s_cbranch_vccnz .LBB93_13
; %bb.10:
	s_andn2_b64 vcc, exec, s[20:21]
	s_cbranch_vccz .LBB93_16
.LBB93_11:
	s_cmp_lt_i32 s16, 1
	s_cbranch_scc0 .LBB93_25
.LBB93_12:
	s_endpgm
.LBB93_13:
	s_and_saveexec_b64 s[10:11], s[2:3]
	s_cbranch_execz .LBB93_15
; %bb.14:
	s_waitcnt lgkmcnt(0)
	s_mul_hi_i32 s21, s7, s6
	s_mul_i32 s20, s7, s6
	s_waitcnt vmcnt(0)
	v_cvt_f16_f32_e32 v2, v34
	v_cvt_f16_f32_e32 v3, v64
	;; [unrolled: 1-line block ×8, first 2 shown]
	s_lshl_b64 s[20:21], s[20:21], 1
	s_add_u32 s20, s24, s20
	s_addc_u32 s12, s25, s21
	s_and_b32 s21, s12, 0xffff
	s_mov_b32 s23, 0x20000
	v_pack_b32_f16 v5, v5, v6
	v_pack_b32_f16 v4, v4, v7
	;; [unrolled: 1-line block ×4, first 2 shown]
	v_lshlrev_b32_e32 v6, 1, v1
	buffer_store_dwordx4 v[2:5], v6, s[20:23], 0 offen
	v_cvt_f16_f32_e32 v7, v57
	v_cvt_f16_f32_e32 v2, v54
	v_cvt_f16_f32_e32 v3, v58
	v_cvt_f16_f32_e32 v4, v52
	v_cvt_f16_f32_e32 v5, v56
	v_cvt_f16_f32_e32 v8, v53
	v_cvt_f16_f32_e32 v9, v59
	v_cvt_f16_f32_e32 v10, v55
	v_pack_b32_f16 v5, v5, v7
	v_pack_b32_f16 v4, v4, v8
	v_pack_b32_f16 v3, v3, v9
	v_pack_b32_f16 v2, v2, v10
	s_movk_i32 s12, 0x400
	;;#ASMSTART
	s_nop 0
	;;#ASMEND
	buffer_store_dwordx4 v[2:5], v6, s[20:23], s12 offen
	v_cvt_f16_f32_e32 v2, v46
	v_cvt_f16_f32_e32 v3, v50
	v_cvt_f16_f32_e32 v4, v44
	v_cvt_f16_f32_e32 v5, v48
	v_cvt_f16_f32_e32 v7, v49
	v_cvt_f16_f32_e32 v8, v45
	v_cvt_f16_f32_e32 v9, v51
	v_cvt_f16_f32_e32 v10, v47
	v_pack_b32_f16 v5, v5, v7
	v_pack_b32_f16 v4, v4, v8
	v_pack_b32_f16 v3, v3, v9
	v_pack_b32_f16 v2, v2, v10
	s_movk_i32 s12, 0x800
	;;#ASMSTART
	s_nop 0
	;;#ASMEND
	;; [unrolled: 17-line block ×3, first 2 shown]
	buffer_store_dwordx4 v[2:5], v6, s[20:23], s12 offen
	;;#ASMSTART
	s_nop 0
	;;#ASMEND
.LBB93_15:
	s_or_b64 exec, exec, s[10:11]
	s_cbranch_execnz .LBB93_11
.LBB93_16:
	s_waitcnt vmcnt(0)
	v_mov_b32_e32 v2, 0
	s_and_saveexec_b64 s[10:11], s[2:3]
	s_cbranch_execz .LBB93_18
; %bb.17:
	v_and_b32_e32 v2, 0x7fffffff, v34
	v_and_b32_e32 v3, 0x7fffffff, v35
	v_mov_b32_e32 v4, 0x2edbe6ff
	;;#ASMSTART
	v_max3_f32 v2, v4, v2, v3

	;;#ASMEND
	v_and_b32_e32 v3, 0x7fffffff, v64
	v_and_b32_e32 v4, 0x7fffffff, v65
	;;#ASMSTART
	v_max3_f32 v2, v2, v3, v4

	;;#ASMEND
	v_and_b32_e32 v3, 0x7fffffff, v60
	v_and_b32_e32 v4, 0x7fffffff, v61
	;; [unrolled: 6-line block ×15, first 2 shown]
	;;#ASMSTART
	v_max3_f32 v2, v2, v3, v4

	;;#ASMEND
.LBB93_18:
	s_or_b64 exec, exec, s[10:11]
	s_nop 0
	v_mov_b32_dpp v3, v2 quad_perm:[1,0,3,2] row_mask:0xf bank_mask:0xf
	v_cmp_gt_f32_e32 vcc, v2, v3
	v_cndmask_b32_e32 v2, v3, v2, vcc
	s_nop 1
	v_mov_b32_dpp v3, v2 quad_perm:[2,3,0,1] row_mask:0xf bank_mask:0xf
	v_cmp_gt_f32_e32 vcc, v2, v3
	v_cndmask_b32_e32 v2, v3, v2, vcc
	s_nop 1
	v_mov_b32_dpp v3, v2 row_half_mirror row_mask:0xf bank_mask:0xf
	v_cmp_gt_f32_e32 vcc, v2, v3
	v_cndmask_b32_e32 v2, v3, v2, vcc
	s_nop 1
	v_mov_b32_dpp v3, v2 row_mirror row_mask:0xf bank_mask:0xf
	v_cmp_gt_f32_e32 vcc, v2, v3
	v_cndmask_b32_e32 v2, v3, v2, vcc
	s_nop 1
	v_mov_b32_dpp v3, v2 row_bcast:15 row_mask:0xf bank_mask:0xf
	v_cmp_gt_f32_e32 vcc, v2, v3
	v_cndmask_b32_e32 v2, v3, v2, vcc
	s_nop 1
	v_mov_b32_dpp v3, v2 row_bcast:31 row_mask:0xf bank_mask:0xf
	s_and_saveexec_b64 s[10:11], s[0:1]
	s_cbranch_execz .LBB93_20
; %bb.19:
	v_cmp_gt_f32_e32 vcc, v2, v3
	v_cndmask_b32_e32 v2, v3, v2, vcc
	v_lshrrev_b32_e32 v3, 4, v0
	v_and_b32_e32 v3, 60, v3
	ds_write_b32 v3, v2
.LBB93_20:
	s_or_b64 exec, exec, s[10:11]
	s_waitcnt lgkmcnt(0)
	s_barrier
	ds_read_b32 v2, v66
	s_load_dwordx2 s[20:21], s[4:5], 0x70
	s_waitcnt lgkmcnt(0)
	v_mov_b32_dpp v3, v2 quad_perm:[1,0,3,2] row_mask:0xf bank_mask:0xf
	v_cmp_gt_f32_e32 vcc, v2, v3
	v_cndmask_b32_e32 v2, v3, v2, vcc
	s_nop 1
	v_mov_b32_dpp v3, v2 quad_perm:[2,3,0,1] row_mask:0xf bank_mask:0xf
	v_cmp_gt_f32_e32 vcc, v2, v3
	v_cndmask_b32_e32 v2, v3, v2, vcc
	v_mul_f32_e32 v2, 0x3b124925, v2
	v_cmp_eq_u32_e32 vcc, 0, v0
	s_and_saveexec_b64 s[10:11], vcc
	s_cbranch_execz .LBB93_22
; %bb.21:
	s_load_dwordx2 s[22:23], s[4:5], 0x8
	s_mul_hi_i32 s29, s21, s6
	s_mul_i32 s28, s21, s6
	s_lshl_b64 s[28:29], s[28:29], 2
	v_mov_b32_e32 v3, 0
	s_waitcnt lgkmcnt(0)
	s_add_u32 s22, s22, s28
	s_addc_u32 s23, s23, s29
	global_store_dword v3, v2, s[22:23]
.LBB93_22:
	s_or_b64 exec, exec, s[10:11]
	;;#ASMSTART
	v_rcp_f32 v2, v2
	;;#ASMEND
	s_and_saveexec_b64 s[10:11], s[2:3]
	s_cbranch_execz .LBB93_24
; %bb.23:
	s_load_dwordx2 s[22:23], s[4:5], 0x0
	s_mul_i32 s12, s20, s6
	s_mul_hi_i32 s3, s20, s6
	v_mov_b32_e32 v3, v2
	;;#ASMSTART
	v_pk_mul_f32 v[4:5], v[34:35], v[2:3]
	;;#ASMEND
	s_waitcnt lgkmcnt(0)
	s_add_u32 s20, s22, s12
	s_addc_u32 s3, s23, s3
	s_add_i32 s12, s15, 3
	s_ashr_i32 s14, s12, 31
	v_mov_b32_e32 v8, 0xc3e00000
	v_mov_b32_e32 v9, 0x43e00000
	;;#ASMSTART
	v_med3_f32 v4, v4, v8, v9
v_med3_f32 v5, v5, v8, v9
v_cvt_pk_fp8_f32 v6, v4, v5
	;;#ASMEND
	s_lshr_b32 s14, s14, 30
	;;#ASMSTART
	v_pk_mul_f32 v[4:5], v[64:65], v[2:3]
	;;#ASMEND
	s_add_i32 s12, s12, s14
	s_and_b32 s21, s3, 0xffff
	;;#ASMSTART
	v_med3_f32 v4, v4, v8, v9
v_med3_f32 v5, v5, v8, v9
v_cvt_pk_fp8_f32 v7, v4, v5
	;;#ASMEND
	s_mov_b32 s3, 0x5040100
	s_and_b32 s22, s12, -4
	v_perm_b32 v5, v7, v6, s3
	s_movk_i32 s12, 0xff
	v_and_b32_e32 v4, 0xffffff00, v7
	v_and_b32_sdwa v6, v5, s12 dst_sel:DWORD dst_unused:UNUSED_PAD src0_sel:WORD_1 src1_sel:DWORD
	s_mov_b32 s2, 0xffff
	v_or_b32_sdwa v4, v6, v4 dst_sel:WORD_1 dst_unused:UNUSED_PAD src0_sel:DWORD src1_sel:DWORD
	v_and_or_b32 v4, v5, s2, v4
	;;#ASMSTART
	v_pk_mul_f32 v[6:7], v[60:61], v[2:3]
	;;#ASMEND
	v_mov_b32_e32 v5, v7
	;;#ASMSTART
	v_med3_f32 v6, v6, v8, v9
v_med3_f32 v5, v5, v8, v9
v_cvt_pk_fp8_f32 v10, v6, v5
	;;#ASMEND
	;;#ASMSTART
	v_pk_mul_f32 v[6:7], v[62:63], v[2:3]
	;;#ASMEND
	v_mov_b32_e32 v5, v7
	;;#ASMSTART
	v_med3_f32 v6, v6, v8, v9
v_med3_f32 v5, v5, v8, v9
v_cvt_pk_fp8_f32 v7, v6, v5
	;;#ASMEND
	v_lshlrev_b32_e32 v5, 16, v7
	s_mov_b32 s23, 0x20000
	v_and_or_b32 v5, v10, s2, v5
	buffer_store_dwordx2 v[4:5], v1, s[20:23], 0 offen
	;;#ASMSTART
	s_nop 0
	;;#ASMEND
	;;#ASMSTART
	v_pk_mul_f32 v[4:5], v[54:55], v[2:3]
	;;#ASMEND
	;;#ASMSTART
	v_med3_f32 v4, v4, v8, v9
v_med3_f32 v5, v5, v8, v9
v_cvt_pk_fp8_f32 v6, v4, v5
	;;#ASMEND
	;;#ASMSTART
	v_pk_mul_f32 v[4:5], v[58:59], v[2:3]
	;;#ASMEND
	;;#ASMSTART
	v_med3_f32 v4, v4, v8, v9
v_med3_f32 v5, v5, v8, v9
v_cvt_pk_fp8_f32 v7, v4, v5
	;;#ASMEND
	v_perm_b32 v5, v7, v6, s3
	v_and_b32_e32 v4, 0xffffff00, v7
	v_and_b32_sdwa v6, v5, s12 dst_sel:DWORD dst_unused:UNUSED_PAD src0_sel:WORD_1 src1_sel:DWORD
	v_or_b32_sdwa v4, v6, v4 dst_sel:WORD_1 dst_unused:UNUSED_PAD src0_sel:DWORD src1_sel:DWORD
	v_and_or_b32 v4, v5, s2, v4
	;;#ASMSTART
	v_pk_mul_f32 v[6:7], v[52:53], v[2:3]
	;;#ASMEND
	v_mov_b32_e32 v5, v7
	;;#ASMSTART
	v_med3_f32 v6, v6, v8, v9
v_med3_f32 v5, v5, v8, v9
v_cvt_pk_fp8_f32 v10, v6, v5
	;;#ASMEND
	;;#ASMSTART
	v_pk_mul_f32 v[6:7], v[56:57], v[2:3]
	;;#ASMEND
	v_mov_b32_e32 v5, v7
	;;#ASMSTART
	v_med3_f32 v6, v6, v8, v9
v_med3_f32 v5, v5, v8, v9
v_cvt_pk_fp8_f32 v7, v6, v5
	;;#ASMEND
	v_lshlrev_b32_e32 v5, 16, v7
	v_and_or_b32 v5, v10, s2, v5
	s_movk_i32 s14, 0x200
	buffer_store_dwordx2 v[4:5], v1, s[20:23], s14 offen
	;;#ASMSTART
	s_nop 0
	;;#ASMEND
	;;#ASMSTART
	v_pk_mul_f32 v[4:5], v[46:47], v[2:3]
	;;#ASMEND
	;;#ASMSTART
	v_med3_f32 v4, v4, v8, v9
v_med3_f32 v5, v5, v8, v9
v_cvt_pk_fp8_f32 v6, v4, v5
	;;#ASMEND
	;;#ASMSTART
	v_pk_mul_f32 v[4:5], v[50:51], v[2:3]
	;;#ASMEND
	;;#ASMSTART
	v_med3_f32 v4, v4, v8, v9
v_med3_f32 v5, v5, v8, v9
v_cvt_pk_fp8_f32 v7, v4, v5
	;;#ASMEND
	v_perm_b32 v5, v7, v6, s3
	v_and_b32_e32 v4, 0xffffff00, v7
	v_and_b32_sdwa v6, v5, s12 dst_sel:DWORD dst_unused:UNUSED_PAD src0_sel:WORD_1 src1_sel:DWORD
	v_or_b32_sdwa v4, v6, v4 dst_sel:WORD_1 dst_unused:UNUSED_PAD src0_sel:DWORD src1_sel:DWORD
	v_and_or_b32 v4, v5, s2, v4
	;;#ASMSTART
	v_pk_mul_f32 v[6:7], v[44:45], v[2:3]
	;;#ASMEND
	v_mov_b32_e32 v5, v7
	;;#ASMSTART
	v_med3_f32 v6, v6, v8, v9
v_med3_f32 v5, v5, v8, v9
v_cvt_pk_fp8_f32 v10, v6, v5
	;;#ASMEND
	;;#ASMSTART
	v_pk_mul_f32 v[6:7], v[48:49], v[2:3]
	;;#ASMEND
	v_mov_b32_e32 v5, v7
	;;#ASMSTART
	v_med3_f32 v6, v6, v8, v9
v_med3_f32 v5, v5, v8, v9
v_cvt_pk_fp8_f32 v7, v6, v5
	;;#ASMEND
	v_lshlrev_b32_e32 v5, 16, v7
	v_and_or_b32 v5, v10, s2, v5
	s_movk_i32 s14, 0x400
	buffer_store_dwordx2 v[4:5], v1, s[20:23], s14 offen
	;;#ASMSTART
	s_nop 0
	;;#ASMEND
	;;#ASMSTART
	v_pk_mul_f32 v[4:5], v[40:41], v[2:3]
	;;#ASMEND
	;;#ASMSTART
	v_med3_f32 v4, v4, v8, v9
v_med3_f32 v5, v5, v8, v9
v_cvt_pk_fp8_f32 v6, v4, v5
	;;#ASMEND
	;;#ASMSTART
	v_pk_mul_f32 v[4:5], v[42:43], v[2:3]
	;;#ASMEND
	;;#ASMSTART
	v_med3_f32 v4, v4, v8, v9
v_med3_f32 v5, v5, v8, v9
v_cvt_pk_fp8_f32 v7, v4, v5
	;;#ASMEND
	v_perm_b32 v5, v7, v6, s3
	v_and_b32_e32 v4, 0xffffff00, v7
	v_and_b32_sdwa v6, v5, s12 dst_sel:DWORD dst_unused:UNUSED_PAD src0_sel:WORD_1 src1_sel:DWORD
	v_or_b32_sdwa v4, v6, v4 dst_sel:WORD_1 dst_unused:UNUSED_PAD src0_sel:DWORD src1_sel:DWORD
	v_and_or_b32 v4, v5, s2, v4
	;;#ASMSTART
	v_pk_mul_f32 v[6:7], v[38:39], v[2:3]
	;;#ASMEND
	v_mov_b32_e32 v5, v7
	;;#ASMSTART
	v_med3_f32 v6, v6, v8, v9
v_med3_f32 v5, v5, v8, v9
v_cvt_pk_fp8_f32 v7, v6, v5
	;;#ASMEND
	;;#ASMSTART
	v_pk_mul_f32 v[2:3], v[36:37], v[2:3]
	;;#ASMEND
	;;#ASMSTART
	v_med3_f32 v2, v2, v8, v9
v_med3_f32 v3, v3, v8, v9
v_cvt_pk_fp8_f32 v5, v2, v3
	;;#ASMEND
	v_lshlrev_b32_e32 v2, 16, v5
	v_and_or_b32 v5, v7, s2, v2
	s_movk_i32 s2, 0x600
	buffer_store_dwordx2 v[4:5], v1, s[20:23], s2 offen
	;;#ASMSTART
	s_nop 0
	;;#ASMEND
.LBB93_24:
	s_or_b64 exec, exec, s[10:11]
	s_cmp_lt_i32 s16, 1
	s_cbranch_scc1 .LBB93_12
.LBB93_25:
	s_load_dword s2, s[4:5], 0x94
	s_waitcnt lgkmcnt(0)
	s_cmp_lg_u32 s2, 1
	s_cbranch_scc1 .LBB93_12
; %bb.26:
	s_lshl_b32 s2, s16, 1
	s_add_i32 s2, s2, 2
	v_cmp_gt_u32_e32 vcc, s16, v1
	s_and_b32 s10, s2, -4
	v_mov_b32_e32 v34, 0
	v_lshlrev_b32_e32 v67, 1, v1
	v_mov_b32_e32 v30, 0
	v_mov_b32_e32 v31, 0
	;; [unrolled: 1-line block ×16, first 2 shown]
	s_waitcnt vmcnt(3)
	v_mov_b32_e32 v14, 0
	v_mov_b32_e32 v15, 0
	v_mov_b32_e32 v16, 0
	v_mov_b32_e32 v17, 0
	s_waitcnt vmcnt(2)
	v_mov_b32_e32 v10, 0
	v_mov_b32_e32 v11, 0
	v_mov_b32_e32 v12, 0
	v_mov_b32_e32 v13, 0
	;; [unrolled: 5-line block ×4, first 2 shown]
	s_barrier
	s_and_saveexec_b64 s[2:3], vcc
	s_cbranch_execz .LBB93_28
; %bb.27:
	s_mul_hi_i32 s5, s18, s6
	s_mul_i32 s4, s18, s6
	s_and_b32 s9, s9, 0xffff
	s_lshl_b64 s[4:5], s[4:5], 1
	s_add_u32 s20, s26, s4
	s_mov_b32 s11, 0x20000
	s_addc_u32 s4, s27, s5
	s_and_b32 s21, s4, 0xffff
	s_mov_b32 s22, s10
	s_mov_b32 s23, s11
	s_movk_i32 s5, 0x800
	s_movk_i32 s4, 0x400
	buffer_load_dwordx4 v[30:33], v67, s[20:23], 0 offen glc slc
	buffer_load_dwordx4 v[22:25], v67, s[20:23], s4 offen glc slc
	s_movk_i32 s12, 0xc00
	buffer_load_dwordx4 v[26:29], v67, s[20:23], s5 offen glc slc
	buffer_load_dwordx4 v[18:21], v67, s[20:23], s12 offen glc slc
	buffer_load_dwordx4 v[14:17], v67, s[8:11], 0 offen
	buffer_load_dwordx4 v[10:13], v67, s[8:11], s4 offen
	buffer_load_dwordx4 v[6:9], v67, s[8:11], s5 offen
	buffer_load_dwordx4 v[2:5], v67, s[8:11], s12 offen
.LBB93_28:
	s_or_b64 exec, exec, s[2:3]
	v_mov_b32_e32 v35, 0
	v_mov_b32_e32 v64, 0
	;; [unrolled: 1-line block ×31, first 2 shown]
	s_and_saveexec_b64 s[2:3], vcc
	s_cbranch_execz .LBB93_30
; %bb.29:
	s_waitcnt vmcnt(7)
	v_cvt_f32_f16_sdwa v35, v30 dst_sel:DWORD dst_unused:UNUSED_PAD src0_sel:WORD_1
	v_cvt_f32_f16_e32 v34, v30
	v_cvt_f32_f16_sdwa v65, v31 dst_sel:DWORD dst_unused:UNUSED_PAD src0_sel:WORD_1
	v_cvt_f32_f16_e32 v64, v31
	v_cvt_f32_f16_sdwa v63, v32 dst_sel:DWORD dst_unused:UNUSED_PAD src0_sel:WORD_1
	v_cvt_f32_f16_e32 v62, v32
	v_cvt_f32_f16_sdwa v61, v33 dst_sel:DWORD dst_unused:UNUSED_PAD src0_sel:WORD_1
	v_cvt_f32_f16_e32 v60, v33
	s_waitcnt vmcnt(6)
	v_cvt_f32_f16_sdwa v59, v22 dst_sel:DWORD dst_unused:UNUSED_PAD src0_sel:WORD_1
	v_cvt_f32_f16_e32 v58, v22
	v_cvt_f32_f16_sdwa v57, v23 dst_sel:DWORD dst_unused:UNUSED_PAD src0_sel:WORD_1
	v_cvt_f32_f16_e32 v56, v23
	v_cvt_f32_f16_sdwa v55, v24 dst_sel:DWORD dst_unused:UNUSED_PAD src0_sel:WORD_1
	v_cvt_f32_f16_e32 v54, v24
	v_cvt_f32_f16_sdwa v53, v25 dst_sel:DWORD dst_unused:UNUSED_PAD src0_sel:WORD_1
	v_cvt_f32_f16_e32 v52, v25
	;; [unrolled: 9-line block ×4, first 2 shown]
.LBB93_30:
	s_or_b64 exec, exec, s[2:3]
	v_mul_f32_e32 v1, v35, v35
	v_fmac_f32_e32 v1, v34, v34
	v_fmac_f32_e32 v1, v64, v64
	;; [unrolled: 1-line block ×31, first 2 shown]
	s_waitcnt vmcnt(4)
	s_nop 0
	v_mov_b32_dpp v18, v1 quad_perm:[1,0,3,2] row_mask:0xf bank_mask:0xf
	v_add_f32_e32 v1, v1, v18
	s_nop 1
	v_mov_b32_dpp v18, v1 quad_perm:[2,3,0,1] row_mask:0xf bank_mask:0xf
	v_add_f32_e32 v1, v1, v18
	s_nop 1
	v_mov_b32_dpp v18, v1 row_half_mirror row_mask:0xf bank_mask:0xf
	v_add_f32_e32 v1, v1, v18
	s_nop 1
	v_mov_b32_dpp v18, v1 row_mirror row_mask:0xf bank_mask:0xf
	v_add_f32_e32 v1, v1, v18
	s_nop 1
	v_mov_b32_dpp v18, v1 row_bcast:15 row_mask:0xf bank_mask:0xf
	v_add_f32_e32 v1, v1, v18
	s_nop 1
	v_mov_b32_dpp v18, v1 row_bcast:31 row_mask:0xf bank_mask:0xf
	s_and_saveexec_b64 s[2:3], s[0:1]
	s_cbranch_execz .LBB93_32
; %bb.31:
	v_lshrrev_b32_e32 v0, 4, v0
	v_add_f32_e32 v1, v1, v18
	v_and_b32_e32 v0, 60, v0
	ds_write_b32 v0, v1 offset:16
.LBB93_32:
	s_or_b64 exec, exec, s[2:3]
	s_waitcnt lgkmcnt(0)
	s_barrier
	ds_read_b32 v0, v66 offset:16
	s_waitcnt lgkmcnt(0)
	s_nop 0
	v_mov_b32_dpp v1, v0 quad_perm:[1,0,3,2] row_mask:0xf bank_mask:0xf
	v_add_f32_e32 v0, v0, v1
	s_nop 1
	v_mov_b32_dpp v1, v0 quad_perm:[2,3,0,1] row_mask:0xf bank_mask:0xf
	s_and_saveexec_b64 s[0:1], vcc
	s_cbranch_execz .LBB93_12
; %bb.33:
	v_cvt_f32_u32_e32 v18, s16
	v_add_f32_e32 v0, v0, v1
	s_mov_b32 s11, 0x20000
	v_div_scale_f32 v1, s[0:1], v18, v18, v0
	v_rcp_f32_e32 v19, v1
	v_div_scale_f32 v20, vcc, v0, v18, v0
	s_mov_b32 s0, 0x800000
	v_fma_f32 v21, -v1, v19, 1.0
	v_fmac_f32_e32 v19, v21, v19
	v_mul_f32_e32 v21, v20, v19
	v_fma_f32 v22, -v1, v21, v20
	v_fmac_f32_e32 v21, v22, v19
	v_fma_f32 v1, -v1, v21, v20
	v_div_fmas_f32 v1, v1, v19, v21
	v_div_fixup_f32 v0, v1, v18, v0
	v_add_f32_e32 v0, s13, v0
	v_mul_f32_e32 v1, 0x4b800000, v0
	v_cmp_gt_f32_e32 vcc, s0, v0
	v_cndmask_b32_e32 v0, v0, v1, vcc
	v_rsq_f32_e32 v0, v0
	s_mul_hi_i32 s1, s7, s6
	s_mul_i32 s0, s7, s6
	s_lshl_b64 s[0:1], s[0:1], 1
	v_mul_f32_e32 v1, 0x45800000, v0
	v_cndmask_b32_e32 v0, v0, v1, vcc
	v_mov_b32_e32 v1, v0
	;;#ASMSTART
	v_pk_mul_f32 v[22:23], v[34:35], v[0:1]
	;;#ASMEND
	;;#ASMSTART
	v_pk_mul_f32 v[24:25], v[64:65], v[0:1]
	;;#ASMEND
	;;#ASMSTART
	v_pk_mul_f32 v[26:27], v[62:63], v[0:1]
	;;#ASMEND
	;;#ASMSTART
	v_pk_mul_f32 v[28:29], v[60:61], v[0:1]
	;;#ASMEND
	;;#ASMSTART
	v_pk_mul_f32 v[30:31], v[58:59], v[0:1]
	;;#ASMEND
	;;#ASMSTART
	v_pk_mul_f32 v[32:33], v[56:57], v[0:1]
	;;#ASMEND
	;;#ASMSTART
	v_pk_mul_f32 v[34:35], v[54:55], v[0:1]
	;;#ASMEND
	;;#ASMSTART
	v_pk_mul_f32 v[52:53], v[52:53], v[0:1]
	;;#ASMEND
	;;#ASMSTART
	v_pk_mul_f32 v[50:51], v[50:51], v[0:1]
	;;#ASMEND
	;;#ASMSTART
	v_pk_mul_f32 v[48:49], v[48:49], v[0:1]
	;;#ASMEND
	;;#ASMSTART
	v_pk_mul_f32 v[46:47], v[46:47], v[0:1]
	;;#ASMEND
	;;#ASMSTART
	v_pk_mul_f32 v[44:45], v[44:45], v[0:1]
	;;#ASMEND
	;;#ASMSTART
	v_pk_mul_f32 v[42:43], v[42:43], v[0:1]
	;;#ASMEND
	;;#ASMSTART
	v_pk_mul_f32 v[18:19], v[40:41], v[0:1]
	;;#ASMEND
	;;#ASMSTART
	v_pk_mul_f32 v[20:21], v[38:39], v[0:1]
	;;#ASMEND
	s_waitcnt vmcnt(3)
	v_cvt_f32_f16_sdwa v39, v14 dst_sel:DWORD dst_unused:UNUSED_PAD src0_sel:WORD_1
	v_cvt_f32_f16_e32 v38, v14
	v_cvt_f32_f16_sdwa v41, v15 dst_sel:DWORD dst_unused:UNUSED_PAD src0_sel:WORD_1
	v_cvt_f32_f16_e32 v40, v15
	;;#ASMSTART
	v_pk_mul_f32 v[14:15], v[36:37], v[0:1]
	;;#ASMEND
	v_cvt_f32_f16_sdwa v37, v16 dst_sel:DWORD dst_unused:UNUSED_PAD src0_sel:WORD_1
	v_cvt_f32_f16_e32 v36, v16
	v_pk_add_f32 v[0:1], v[38:39], 1.0 op_sel_hi:[1,0]
	;;#ASMSTART
	v_pk_mul_f32 v[0:1], v[22:23], v[0:1]
	;;#ASMEND
	v_pk_add_f32 v[22:23], v[40:41], 1.0 op_sel_hi:[1,0]
	v_cvt_f32_f16_sdwa v39, v17 dst_sel:DWORD dst_unused:UNUSED_PAD src0_sel:WORD_1
	v_cvt_f32_f16_e32 v38, v17
	;;#ASMSTART
	v_pk_mul_f32 v[16:17], v[24:25], v[22:23]
	;;#ASMEND
	v_pk_add_f32 v[22:23], v[36:37], 1.0 op_sel_hi:[1,0]
	;;#ASMSTART
	v_pk_mul_f32 v[22:23], v[26:27], v[22:23]
	;;#ASMEND
	s_waitcnt vmcnt(2)
	v_cvt_f32_f16_sdwa v27, v10 dst_sel:DWORD dst_unused:UNUSED_PAD src0_sel:WORD_1
	v_cvt_f32_f16_e32 v26, v10
	v_pk_add_f32 v[24:25], v[38:39], 1.0 op_sel_hi:[1,0]
	v_cvt_f32_f16_sdwa v37, v11 dst_sel:DWORD dst_unused:UNUSED_PAD src0_sel:WORD_1
	v_cvt_f32_f16_e32 v36, v11
	;;#ASMSTART
	v_pk_mul_f32 v[10:11], v[28:29], v[24:25]
	;;#ASMEND
	v_pk_add_f32 v[24:25], v[26:27], 1.0 op_sel_hi:[1,0]
	;;#ASMSTART
	v_pk_mul_f32 v[24:25], v[30:31], v[24:25]
	;;#ASMEND
	v_cvt_f32_f16_sdwa v29, v12 dst_sel:DWORD dst_unused:UNUSED_PAD src0_sel:WORD_1
	v_cvt_f32_f16_e32 v28, v12
	v_cvt_f32_f16_sdwa v31, v13 dst_sel:DWORD dst_unused:UNUSED_PAD src0_sel:WORD_1
	v_cvt_f32_f16_e32 v30, v13
	v_pk_add_f32 v[26:27], v[36:37], 1.0 op_sel_hi:[1,0]
	;;#ASMSTART
	v_pk_mul_f32 v[12:13], v[32:33], v[26:27]
	;;#ASMEND
	v_pk_add_f32 v[26:27], v[28:29], 1.0 op_sel_hi:[1,0]
	v_pk_add_f32 v[28:29], v[30:31], 1.0 op_sel_hi:[1,0]
	s_waitcnt vmcnt(1)
	v_cvt_f32_f16_sdwa v31, v6 dst_sel:DWORD dst_unused:UNUSED_PAD src0_sel:WORD_1
	v_cvt_f32_f16_e32 v30, v6
	v_cvt_f32_f16_sdwa v33, v7 dst_sel:DWORD dst_unused:UNUSED_PAD src0_sel:WORD_1
	v_cvt_f32_f16_e32 v32, v7
	;;#ASMSTART
	v_pk_mul_f32 v[26:27], v[34:35], v[26:27]
	;;#ASMEND
	;;#ASMSTART
	v_pk_mul_f32 v[6:7], v[52:53], v[28:29]
	;;#ASMEND
	v_pk_add_f32 v[28:29], v[30:31], 1.0 op_sel_hi:[1,0]
	v_pk_add_f32 v[30:31], v[32:33], 1.0 op_sel_hi:[1,0]
	v_cvt_f32_f16_sdwa v33, v8 dst_sel:DWORD dst_unused:UNUSED_PAD src0_sel:WORD_1
	v_cvt_f32_f16_e32 v32, v8
	v_cvt_f32_f16_sdwa v35, v9 dst_sel:DWORD dst_unused:UNUSED_PAD src0_sel:WORD_1
	v_cvt_f32_f16_e32 v34, v9
	;;#ASMSTART
	v_pk_mul_f32 v[28:29], v[50:51], v[28:29]
	;;#ASMEND
	;;#ASMSTART
	v_pk_mul_f32 v[8:9], v[48:49], v[30:31]
	;;#ASMEND
	v_pk_add_f32 v[30:31], v[32:33], 1.0 op_sel_hi:[1,0]
	v_pk_add_f32 v[32:33], v[34:35], 1.0 op_sel_hi:[1,0]
	s_waitcnt vmcnt(0)
	v_cvt_f32_f16_sdwa v35, v2 dst_sel:DWORD dst_unused:UNUSED_PAD src0_sel:WORD_1
	v_cvt_f32_f16_e32 v34, v2
	v_cvt_f32_f16_sdwa v37, v3 dst_sel:DWORD dst_unused:UNUSED_PAD src0_sel:WORD_1
	v_cvt_f32_f16_e32 v36, v3
	;;#ASMSTART
	v_pk_mul_f32 v[30:31], v[46:47], v[30:31]
	;;#ASMEND
	v_pk_add_f32 v[2:3], v[34:35], 1.0 op_sel_hi:[1,0]
	;;#ASMSTART
	v_pk_mul_f32 v[32:33], v[44:45], v[32:33]
	;;#ASMEND
	;;#ASMSTART
	v_pk_mul_f32 v[34:35], v[42:43], v[2:3]
	;;#ASMEND
	v_pk_add_f32 v[2:3], v[36:37], 1.0 op_sel_hi:[1,0]
	v_cvt_f32_f16_sdwa v37, v4 dst_sel:DWORD dst_unused:UNUSED_PAD src0_sel:WORD_1
	v_cvt_f32_f16_e32 v36, v4
	v_cvt_f32_f16_sdwa v39, v5 dst_sel:DWORD dst_unused:UNUSED_PAD src0_sel:WORD_1
	v_cvt_f32_f16_e32 v38, v5
	;;#ASMSTART
	v_pk_mul_f32 v[4:5], v[18:19], v[2:3]
	;;#ASMEND
	v_pk_add_f32 v[2:3], v[36:37], 1.0 op_sel_hi:[1,0]
	;;#ASMSTART
	v_pk_mul_f32 v[18:19], v[20:21], v[2:3]
	;;#ASMEND
	v_pk_add_f32 v[2:3], v[38:39], 1.0 op_sel_hi:[1,0]
	;;#ASMSTART
	v_pk_mul_f32 v[14:15], v[14:15], v[2:3]
	;;#ASMEND
	v_cvt_f16_f32_e32 v0, v0
	v_cvt_f16_f32_e32 v1, v1
	;; [unrolled: 1-line block ×8, first 2 shown]
	s_add_u32 s8, s24, s0
	s_addc_u32 s0, s25, s1
	s_and_b32 s9, s0, 0xffff
	v_pack_b32_f16 v0, v0, v1
	v_pack_b32_f16 v1, v2, v3
	;; [unrolled: 1-line block ×4, first 2 shown]
	buffer_store_dwordx4 v[0:3], v67, s[8:11], 0 offen
	v_cvt_f16_f32_e32 v10, v26
	v_cvt_f16_f32_e32 v0, v24
	v_cvt_f16_f32_e32 v1, v25
	v_cvt_f16_f32_e32 v2, v12
	v_cvt_f16_f32_e32 v3, v13
	v_cvt_f16_f32_e32 v11, v27
	v_cvt_f16_f32_e32 v6, v6
	v_cvt_f16_f32_e32 v7, v7
	v_pack_b32_f16 v0, v0, v1
	v_pack_b32_f16 v1, v2, v3
	v_pack_b32_f16 v2, v10, v11
	v_pack_b32_f16 v3, v6, v7
	s_movk_i32 s0, 0x400
	;;#ASMSTART
	s_nop 0
	;;#ASMEND
	buffer_store_dwordx4 v[0:3], v67, s[8:11], s0 offen
	v_cvt_f16_f32_e32 v0, v28
	v_cvt_f16_f32_e32 v1, v29
	v_cvt_f16_f32_e32 v2, v8
	v_cvt_f16_f32_e32 v3, v9
	v_cvt_f16_f32_e32 v6, v30
	v_cvt_f16_f32_e32 v7, v31
	v_cvt_f16_f32_e32 v8, v32
	v_cvt_f16_f32_e32 v9, v33
	v_pack_b32_f16 v0, v0, v1
	v_pack_b32_f16 v1, v2, v3
	v_pack_b32_f16 v2, v6, v7
	v_pack_b32_f16 v3, v8, v9
	s_movk_i32 s0, 0x800
	;;#ASMSTART
	s_nop 0
	;;#ASMEND
	;; [unrolled: 17-line block ×3, first 2 shown]
	buffer_store_dwordx4 v[0:3], v67, s[8:11], s0 offen
	;;#ASMSTART
	s_nop 0
	;;#ASMEND
	s_endpgm
	.section	.rodata,"a",@progbits
	.p2align	6, 0x0
	.amdhsa_kernel _ZN5aiter35fused_qk_rmsnorm_group_quant_kernelIDF16_DB8_Li256ELi32ELi1ELb0ELb0ELb1ELb0ELb1ELb1EEEvPT0_PvPT_S6_S6_PKS5_S8_S8_S8_S8_ffiiiiiiiiiiiii
		.amdhsa_group_segment_fixed_size 48
		.amdhsa_private_segment_fixed_size 0
		.amdhsa_kernarg_size 400
		.amdhsa_user_sgpr_count 6
		.amdhsa_user_sgpr_private_segment_buffer 1
		.amdhsa_user_sgpr_dispatch_ptr 0
		.amdhsa_user_sgpr_queue_ptr 0
		.amdhsa_user_sgpr_kernarg_segment_ptr 1
		.amdhsa_user_sgpr_dispatch_id 0
		.amdhsa_user_sgpr_flat_scratch_init 0
		.amdhsa_user_sgpr_kernarg_preload_length 0
		.amdhsa_user_sgpr_kernarg_preload_offset 0
		.amdhsa_user_sgpr_private_segment_size 0
		.amdhsa_uses_dynamic_stack 0
		.amdhsa_system_sgpr_private_segment_wavefront_offset 0
		.amdhsa_system_sgpr_workgroup_id_x 1
		.amdhsa_system_sgpr_workgroup_id_y 1
		.amdhsa_system_sgpr_workgroup_id_z 0
		.amdhsa_system_sgpr_workgroup_info 0
		.amdhsa_system_vgpr_workitem_id 0
		.amdhsa_next_free_vgpr 68
		.amdhsa_next_free_sgpr 32
		.amdhsa_accum_offset 68
		.amdhsa_reserve_vcc 1
		.amdhsa_reserve_flat_scratch 0
		.amdhsa_float_round_mode_32 0
		.amdhsa_float_round_mode_16_64 0
		.amdhsa_float_denorm_mode_32 3
		.amdhsa_float_denorm_mode_16_64 3
		.amdhsa_dx10_clamp 1
		.amdhsa_ieee_mode 1
		.amdhsa_fp16_overflow 0
		.amdhsa_tg_split 0
		.amdhsa_exception_fp_ieee_invalid_op 0
		.amdhsa_exception_fp_denorm_src 0
		.amdhsa_exception_fp_ieee_div_zero 0
		.amdhsa_exception_fp_ieee_overflow 0
		.amdhsa_exception_fp_ieee_underflow 0
		.amdhsa_exception_fp_ieee_inexact 0
		.amdhsa_exception_int_div_zero 0
	.end_amdhsa_kernel
	.section	.text._ZN5aiter35fused_qk_rmsnorm_group_quant_kernelIDF16_DB8_Li256ELi32ELi1ELb0ELb0ELb1ELb0ELb1ELb1EEEvPT0_PvPT_S6_S6_PKS5_S8_S8_S8_S8_ffiiiiiiiiiiiii,"axG",@progbits,_ZN5aiter35fused_qk_rmsnorm_group_quant_kernelIDF16_DB8_Li256ELi32ELi1ELb0ELb0ELb1ELb0ELb1ELb1EEEvPT0_PvPT_S6_S6_PKS5_S8_S8_S8_S8_ffiiiiiiiiiiiii,comdat
.Lfunc_end93:
	.size	_ZN5aiter35fused_qk_rmsnorm_group_quant_kernelIDF16_DB8_Li256ELi32ELi1ELb0ELb0ELb1ELb0ELb1ELb1EEEvPT0_PvPT_S6_S6_PKS5_S8_S8_S8_S8_ffiiiiiiiiiiiii, .Lfunc_end93-_ZN5aiter35fused_qk_rmsnorm_group_quant_kernelIDF16_DB8_Li256ELi32ELi1ELb0ELb0ELb1ELb0ELb1ELb1EEEvPT0_PvPT_S6_S6_PKS5_S8_S8_S8_S8_ffiiiiiiiiiiiii
                                        ; -- End function
	.section	.AMDGPU.csdata,"",@progbits
; Kernel info:
; codeLenInByte = 6028
; NumSgprs: 36
; NumVgprs: 68
; NumAgprs: 0
; TotalNumVgprs: 68
; ScratchSize: 0
; MemoryBound: 0
; FloatMode: 240
; IeeeMode: 1
; LDSByteSize: 48 bytes/workgroup (compile time only)
; SGPRBlocks: 4
; VGPRBlocks: 8
; NumSGPRsForWavesPerEU: 36
; NumVGPRsForWavesPerEU: 68
; AccumOffset: 68
; Occupancy: 7
; WaveLimiterHint : 0
; COMPUTE_PGM_RSRC2:SCRATCH_EN: 0
; COMPUTE_PGM_RSRC2:USER_SGPR: 6
; COMPUTE_PGM_RSRC2:TRAP_HANDLER: 0
; COMPUTE_PGM_RSRC2:TGID_X_EN: 1
; COMPUTE_PGM_RSRC2:TGID_Y_EN: 1
; COMPUTE_PGM_RSRC2:TGID_Z_EN: 0
; COMPUTE_PGM_RSRC2:TIDIG_COMP_CNT: 0
; COMPUTE_PGM_RSRC3_GFX90A:ACCUM_OFFSET: 16
; COMPUTE_PGM_RSRC3_GFX90A:TG_SPLIT: 0
	.section	.text._ZN5aiter35fused_qk_rmsnorm_group_quant_kernelItDB8_Li256ELi32ELi1ELb0ELb0ELb1ELb0ELb1ELb1EEEvPT0_PvPT_S6_S6_PKS5_S8_S8_S8_S8_ffiiiiiiiiiiiii,"axG",@progbits,_ZN5aiter35fused_qk_rmsnorm_group_quant_kernelItDB8_Li256ELi32ELi1ELb0ELb0ELb1ELb0ELb1ELb1EEEvPT0_PvPT_S6_S6_PKS5_S8_S8_S8_S8_ffiiiiiiiiiiiii,comdat
	.protected	_ZN5aiter35fused_qk_rmsnorm_group_quant_kernelItDB8_Li256ELi32ELi1ELb0ELb0ELb1ELb0ELb1ELb1EEEvPT0_PvPT_S6_S6_PKS5_S8_S8_S8_S8_ffiiiiiiiiiiiii ; -- Begin function _ZN5aiter35fused_qk_rmsnorm_group_quant_kernelItDB8_Li256ELi32ELi1ELb0ELb0ELb1ELb0ELb1ELb1EEEvPT0_PvPT_S6_S6_PKS5_S8_S8_S8_S8_ffiiiiiiiiiiiii
	.globl	_ZN5aiter35fused_qk_rmsnorm_group_quant_kernelItDB8_Li256ELi32ELi1ELb0ELb0ELb1ELb0ELb1ELb1EEEvPT0_PvPT_S6_S6_PKS5_S8_S8_S8_S8_ffiiiiiiiiiiiii
	.p2align	8
	.type	_ZN5aiter35fused_qk_rmsnorm_group_quant_kernelItDB8_Li256ELi32ELi1ELb0ELb0ELb1ELb0ELb1ELb1EEEvPT0_PvPT_S6_S6_PKS5_S8_S8_S8_S8_ffiiiiiiiiiiiii,@function
_ZN5aiter35fused_qk_rmsnorm_group_quant_kernelItDB8_Li256ELi32ELi1ELb0ELb0ELb1ELb0ELb1ELb1EEEvPT0_PvPT_S6_S6_PKS5_S8_S8_S8_S8_ffiiiiiiiiiiiii: ; @_ZN5aiter35fused_qk_rmsnorm_group_quant_kernelItDB8_Li256ELi32ELi1ELb0ELb0ELb1ELb0ELb1ELb1EEEvPT0_PvPT_S6_S6_PKS5_S8_S8_S8_S8_ffiiiiiiiiiiiii
; %bb.0:
	s_load_dwordx4 s[12:15], s[4:5], 0x50
	s_waitcnt lgkmcnt(0)
	s_cmp_ge_i32 s6, s14
	s_cbranch_scc1 .LBB94_12
; %bb.1:
	s_load_dwordx2 s[8:9], s[4:5], 0x48
	s_load_dwordx2 s[26:27], s[4:5], 0x30
	s_load_dwordx4 s[16:19], s[4:5], 0x60
	s_cmp_lg_u32 s7, 0
	s_cselect_b64 s[10:11], -1, 0
	s_cmp_eq_u32 s7, 0
	s_cselect_b64 vcc, -1, 0
	s_and_b64 s[0:1], vcc, exec
	s_waitcnt lgkmcnt(0)
	s_cselect_b32 s7, s15, s16
	s_add_i32 s0, s7, 1
	s_lshr_b32 s1, s0, 31
	s_add_i32 s0, s0, s1
	s_lshl_b32 s0, s0, 1
	v_lshlrev_b32_e32 v2, 5, v0
	s_and_b32 s22, s0, -4
	v_lshlrev_b32_e32 v1, 3, v0
	v_and_b32_e32 v2, 0x7800, v2
	s_movk_i32 s0, 0x1f8
	v_and_or_b32 v1, v1, s0, v2
	v_cmp_gt_i32_e64 s[2:3], s7, v1
	v_mov_b32_e32 v34, 0
	v_mov_b32_e32 v14, 0
	;; [unrolled: 1-line block ×33, first 2 shown]
	s_and_saveexec_b64 s[0:1], s[2:3]
	s_cbranch_execz .LBB94_3
; %bb.2:
	s_load_dwordx2 s[20:21], s[4:5], 0x28
	s_load_dwordx2 s[24:25], s[4:5], 0x40
	s_and_b64 s[28:29], vcc, exec
	s_cselect_b32 s14, s17, s18
	s_mov_b32 s23, 0x20000
	s_waitcnt lgkmcnt(0)
	s_cselect_b32 s17, s21, s27
	s_cselect_b32 s19, s20, s26
	s_mul_hi_i32 s21, s14, s6
	s_mul_i32 s20, s14, s6
	s_lshl_b64 s[20:21], s[20:21], 1
	s_add_u32 s28, s19, s20
	s_addc_u32 s14, s17, s21
	s_and_b64 s[20:21], vcc, exec
	s_cselect_b32 s17, s25, s9
	s_cselect_b32 s20, s24, s8
	s_and_b32 s21, s17, 0xffff
	s_and_b32 s29, s14, 0xffff
	s_mov_b32 s30, s22
	s_mov_b32 s31, s23
	v_lshlrev_b32_e32 v35, 1, v1
	s_movk_i32 s17, 0x800
	s_movk_i32 s14, 0x400
	buffer_load_dwordx4 v[30:33], v35, s[28:31], 0 offen glc slc
	buffer_load_dwordx4 v[22:25], v35, s[28:31], s14 offen glc slc
	s_movk_i32 s19, 0xc00
	buffer_load_dwordx4 v[26:29], v35, s[28:31], s17 offen glc slc
	buffer_load_dwordx4 v[18:21], v35, s[28:31], s19 offen glc slc
	buffer_load_dwordx4 v[14:17], v35, s[20:23], 0 offen
	buffer_load_dwordx4 v[10:13], v35, s[20:23], s14 offen
	;; [unrolled: 1-line block ×4, first 2 shown]
.LBB94_3:
	s_or_b64 exec, exec, s[0:1]
	v_mov_b32_e32 v35, 0
	v_mov_b32_e32 v64, 0
	;; [unrolled: 1-line block ×31, first 2 shown]
	s_and_saveexec_b64 s[0:1], s[2:3]
	s_cbranch_execz .LBB94_5
; %bb.4:
	s_waitcnt vmcnt(7)
	v_cvt_f32_u32_sdwa v34, v30 dst_sel:DWORD dst_unused:UNUSED_PAD src0_sel:WORD_0
	v_cvt_f32_u32_sdwa v35, v30 dst_sel:DWORD dst_unused:UNUSED_PAD src0_sel:WORD_1
	v_cvt_f32_u32_sdwa v64, v31 dst_sel:DWORD dst_unused:UNUSED_PAD src0_sel:WORD_0
	v_cvt_f32_u32_sdwa v65, v31 dst_sel:DWORD dst_unused:UNUSED_PAD src0_sel:WORD_1
	v_cvt_f32_u32_sdwa v60, v32 dst_sel:DWORD dst_unused:UNUSED_PAD src0_sel:WORD_0
	v_cvt_f32_u32_sdwa v61, v32 dst_sel:DWORD dst_unused:UNUSED_PAD src0_sel:WORD_1
	v_cvt_f32_u32_sdwa v62, v33 dst_sel:DWORD dst_unused:UNUSED_PAD src0_sel:WORD_0
	v_cvt_f32_u32_sdwa v63, v33 dst_sel:DWORD dst_unused:UNUSED_PAD src0_sel:WORD_1
	s_waitcnt vmcnt(6)
	v_cvt_f32_u32_sdwa v54, v22 dst_sel:DWORD dst_unused:UNUSED_PAD src0_sel:WORD_0
	v_cvt_f32_u32_sdwa v55, v22 dst_sel:DWORD dst_unused:UNUSED_PAD src0_sel:WORD_1
	v_cvt_f32_u32_sdwa v58, v23 dst_sel:DWORD dst_unused:UNUSED_PAD src0_sel:WORD_0
	v_cvt_f32_u32_sdwa v59, v23 dst_sel:DWORD dst_unused:UNUSED_PAD src0_sel:WORD_1
	v_cvt_f32_u32_sdwa v52, v24 dst_sel:DWORD dst_unused:UNUSED_PAD src0_sel:WORD_0
	v_cvt_f32_u32_sdwa v53, v24 dst_sel:DWORD dst_unused:UNUSED_PAD src0_sel:WORD_1
	v_cvt_f32_u32_sdwa v56, v25 dst_sel:DWORD dst_unused:UNUSED_PAD src0_sel:WORD_0
	v_cvt_f32_u32_sdwa v57, v25 dst_sel:DWORD dst_unused:UNUSED_PAD src0_sel:WORD_1
	;; [unrolled: 9-line block ×4, first 2 shown]
.LBB94_5:
	s_or_b64 exec, exec, s[0:1]
	s_waitcnt vmcnt(4)
	v_mul_f32_e32 v18, v35, v35
	v_fmac_f32_e32 v18, v34, v34
	v_fmac_f32_e32 v18, v64, v64
	;; [unrolled: 1-line block ×31, first 2 shown]
	v_and_b32_e32 v20, 63, v0
	v_cmp_eq_u32_e64 s[0:1], 63, v20
	v_mov_b32_dpp v19, v18 quad_perm:[1,0,3,2] row_mask:0xf bank_mask:0xf
	v_add_f32_e32 v18, v18, v19
	s_nop 1
	v_mov_b32_dpp v19, v18 quad_perm:[2,3,0,1] row_mask:0xf bank_mask:0xf
	v_add_f32_e32 v18, v18, v19
	s_nop 1
	v_mov_b32_dpp v19, v18 row_half_mirror row_mask:0xf bank_mask:0xf
	v_add_f32_e32 v18, v18, v19
	s_nop 1
	v_mov_b32_dpp v19, v18 row_mirror row_mask:0xf bank_mask:0xf
	v_add_f32_e32 v18, v18, v19
	s_nop 1
	v_mov_b32_dpp v19, v18 row_bcast:15 row_mask:0xf bank_mask:0xf
	v_add_f32_e32 v18, v18, v19
	s_nop 1
	v_mov_b32_dpp v19, v18 row_bcast:31 row_mask:0xf bank_mask:0xf
	s_and_saveexec_b64 s[20:21], s[0:1]
	s_cbranch_execz .LBB94_7
; %bb.6:
	v_add_f32_e32 v18, v18, v19
	v_lshrrev_b32_e32 v19, 4, v0
	v_and_b32_e32 v19, 60, v19
	ds_write_b32 v19, v18 offset:32
.LBB94_7:
	s_or_b64 exec, exec, s[20:21]
	v_and_b32_e32 v18, 3, v0
	v_lshlrev_b32_e32 v66, 2, v18
	s_waitcnt lgkmcnt(0)
	s_barrier
	ds_read_b32 v18, v66 offset:32
	s_load_dwordx2 s[24:25], s[4:5], 0x18
	s_waitcnt lgkmcnt(0)
	v_mov_b32_dpp v19, v18 quad_perm:[1,0,3,2] row_mask:0xf bank_mask:0xf
	v_add_f32_e32 v18, v18, v19
	s_nop 1
	v_mov_b32_dpp v19, v18 quad_perm:[2,3,0,1] row_mask:0xf bank_mask:0xf
	s_and_saveexec_b64 s[20:21], s[2:3]
	s_cbranch_execz .LBB94_9
; %bb.8:
	v_cvt_f32_u32_e32 v20, s7
	v_add_f32_e32 v18, v18, v19
	v_mov_b32_e32 v22, s13
	v_mov_b32_e32 v23, s12
	v_div_scale_f32 v19, s[28:29], v20, v20, v18
	v_rcp_f32_e32 v21, v19
	v_cndmask_b32_e32 v22, v22, v23, vcc
	s_mov_b32 s7, 0x800000
	v_fma_f32 v23, -v19, v21, 1.0
	v_fmac_f32_e32 v21, v23, v21
	v_div_scale_f32 v23, vcc, v18, v20, v18
	v_mul_f32_e32 v24, v23, v21
	v_fma_f32 v25, -v19, v24, v23
	v_fmac_f32_e32 v24, v25, v21
	v_fma_f32 v19, -v19, v24, v23
	v_div_fmas_f32 v19, v19, v21, v24
	v_div_fixup_f32 v18, v19, v20, v18
	v_add_f32_e32 v18, v22, v18
	v_mul_f32_e32 v19, 0x4b800000, v18
	v_cmp_gt_f32_e32 vcc, s7, v18
	v_cndmask_b32_e32 v18, v18, v19, vcc
	v_rsq_f32_e32 v18, v18
	v_mul_f32_e32 v19, 0x45800000, v18
	v_cndmask_b32_e32 v22, v18, v19, vcc
	v_mov_b32_e32 v23, v22
	;;#ASMSTART
	v_pk_mul_f32 v[24:25], v[34:35], v[22:23]
	;;#ASMEND
	s_waitcnt vmcnt(3)
	v_cvt_f32_u32_sdwa v35, v14 dst_sel:DWORD dst_unused:UNUSED_PAD src0_sel:WORD_1
	v_cvt_f32_u32_sdwa v34, v14 dst_sel:DWORD dst_unused:UNUSED_PAD src0_sel:WORD_0
	;;#ASMSTART
	v_pk_mul_f32 v[26:27], v[64:65], v[22:23]
	;;#ASMEND
	;;#ASMSTART
	v_pk_mul_f32 v[28:29], v[60:61], v[22:23]
	;;#ASMEND
	;; [unrolled: 3-line block ×14, first 2 shown]
	v_cvt_f32_u32_sdwa v39, v15 dst_sel:DWORD dst_unused:UNUSED_PAD src0_sel:WORD_1
	v_cvt_f32_u32_sdwa v38, v15 dst_sel:DWORD dst_unused:UNUSED_PAD src0_sel:WORD_0
	;;#ASMSTART
	v_pk_mul_f32 v[14:15], v[36:37], v[22:23]
	;;#ASMEND
	v_pk_add_f32 v[22:23], v[34:35], 1.0 op_sel_hi:[1,0]
	;;#ASMSTART
	v_pk_mul_f32 v[34:35], v[24:25], v[22:23]
	;;#ASMEND
	v_cvt_f32_u32_sdwa v25, v16 dst_sel:DWORD dst_unused:UNUSED_PAD src0_sel:WORD_1
	v_cvt_f32_u32_sdwa v24, v16 dst_sel:DWORD dst_unused:UNUSED_PAD src0_sel:WORD_0
	v_cvt_f32_u32_sdwa v37, v17 dst_sel:DWORD dst_unused:UNUSED_PAD src0_sel:WORD_1
	v_cvt_f32_u32_sdwa v36, v17 dst_sel:DWORD dst_unused:UNUSED_PAD src0_sel:WORD_0
	v_pk_add_f32 v[22:23], v[38:39], 1.0 op_sel_hi:[1,0]
	;;#ASMSTART
	v_pk_mul_f32 v[64:65], v[26:27], v[22:23]
	;;#ASMEND
	s_waitcnt vmcnt(2)
	v_cvt_f32_u32_sdwa v23, v10 dst_sel:DWORD dst_unused:UNUSED_PAD src0_sel:WORD_1
	v_cvt_f32_u32_sdwa v22, v10 dst_sel:DWORD dst_unused:UNUSED_PAD src0_sel:WORD_0
	v_pk_add_f32 v[16:17], v[24:25], 1.0 op_sel_hi:[1,0]
	;;#ASMSTART
	v_pk_mul_f32 v[60:61], v[28:29], v[16:17]
	;;#ASMEND
	v_pk_add_f32 v[16:17], v[36:37], 1.0 op_sel_hi:[1,0]
	v_cvt_f32_u32_sdwa v25, v11 dst_sel:DWORD dst_unused:UNUSED_PAD src0_sel:WORD_1
	v_cvt_f32_u32_sdwa v24, v11 dst_sel:DWORD dst_unused:UNUSED_PAD src0_sel:WORD_0
	;;#ASMSTART
	v_pk_mul_f32 v[62:63], v[30:31], v[16:17]
	;;#ASMEND
	v_cvt_f32_u32_sdwa v17, v12 dst_sel:DWORD dst_unused:UNUSED_PAD src0_sel:WORD_1
	v_cvt_f32_u32_sdwa v16, v12 dst_sel:DWORD dst_unused:UNUSED_PAD src0_sel:WORD_0
	v_pk_add_f32 v[10:11], v[22:23], 1.0 op_sel_hi:[1,0]
	v_cvt_f32_u32_sdwa v23, v13 dst_sel:DWORD dst_unused:UNUSED_PAD src0_sel:WORD_1
	v_cvt_f32_u32_sdwa v22, v13 dst_sel:DWORD dst_unused:UNUSED_PAD src0_sel:WORD_0
	;;#ASMSTART
	v_pk_mul_f32 v[54:55], v[32:33], v[10:11]
	;;#ASMEND
	v_pk_add_f32 v[10:11], v[24:25], 1.0 op_sel_hi:[1,0]
	s_waitcnt vmcnt(1)
	v_cvt_f32_u32_sdwa v13, v6 dst_sel:DWORD dst_unused:UNUSED_PAD src0_sel:WORD_1
	v_cvt_f32_u32_sdwa v12, v6 dst_sel:DWORD dst_unused:UNUSED_PAD src0_sel:WORD_0
	;;#ASMSTART
	v_pk_mul_f32 v[58:59], v[58:59], v[10:11]
	;;#ASMEND
	v_pk_add_f32 v[10:11], v[16:17], 1.0 op_sel_hi:[1,0]
	;;#ASMSTART
	v_pk_mul_f32 v[52:53], v[52:53], v[10:11]
	;;#ASMEND
	v_pk_add_f32 v[10:11], v[22:23], 1.0 op_sel_hi:[1,0]
	v_cvt_f32_u32_sdwa v17, v7 dst_sel:DWORD dst_unused:UNUSED_PAD src0_sel:WORD_1
	v_cvt_f32_u32_sdwa v16, v7 dst_sel:DWORD dst_unused:UNUSED_PAD src0_sel:WORD_0
	;;#ASMSTART
	v_pk_mul_f32 v[56:57], v[56:57], v[10:11]
	;;#ASMEND
	v_cvt_f32_u32_sdwa v11, v8 dst_sel:DWORD dst_unused:UNUSED_PAD src0_sel:WORD_1
	v_cvt_f32_u32_sdwa v10, v8 dst_sel:DWORD dst_unused:UNUSED_PAD src0_sel:WORD_0
	v_pk_add_f32 v[6:7], v[12:13], 1.0 op_sel_hi:[1,0]
	v_cvt_f32_u32_sdwa v13, v9 dst_sel:DWORD dst_unused:UNUSED_PAD src0_sel:WORD_1
	v_cvt_f32_u32_sdwa v12, v9 dst_sel:DWORD dst_unused:UNUSED_PAD src0_sel:WORD_0
	;;#ASMSTART
	v_pk_mul_f32 v[46:47], v[46:47], v[6:7]
	;;#ASMEND
	v_pk_add_f32 v[6:7], v[16:17], 1.0 op_sel_hi:[1,0]
	s_waitcnt vmcnt(0)
	v_cvt_f32_u32_sdwa v9, v2 dst_sel:DWORD dst_unused:UNUSED_PAD src0_sel:WORD_1
	v_cvt_f32_u32_sdwa v8, v2 dst_sel:DWORD dst_unused:UNUSED_PAD src0_sel:WORD_0
	;;#ASMSTART
	v_pk_mul_f32 v[50:51], v[50:51], v[6:7]
	;;#ASMEND
	v_pk_add_f32 v[6:7], v[10:11], 1.0 op_sel_hi:[1,0]
	;;#ASMSTART
	v_pk_mul_f32 v[44:45], v[44:45], v[6:7]
	;;#ASMEND
	v_pk_add_f32 v[6:7], v[12:13], 1.0 op_sel_hi:[1,0]
	v_cvt_f32_u32_sdwa v11, v3 dst_sel:DWORD dst_unused:UNUSED_PAD src0_sel:WORD_1
	v_cvt_f32_u32_sdwa v10, v3 dst_sel:DWORD dst_unused:UNUSED_PAD src0_sel:WORD_0
	;;#ASMSTART
	v_pk_mul_f32 v[48:49], v[48:49], v[6:7]
	;;#ASMEND
	v_cvt_f32_u32_sdwa v7, v4 dst_sel:DWORD dst_unused:UNUSED_PAD src0_sel:WORD_1
	v_cvt_f32_u32_sdwa v6, v4 dst_sel:DWORD dst_unused:UNUSED_PAD src0_sel:WORD_0
	v_pk_add_f32 v[2:3], v[8:9], 1.0 op_sel_hi:[1,0]
	v_cvt_f32_u32_sdwa v9, v5 dst_sel:DWORD dst_unused:UNUSED_PAD src0_sel:WORD_1
	v_cvt_f32_u32_sdwa v8, v5 dst_sel:DWORD dst_unused:UNUSED_PAD src0_sel:WORD_0
	;;#ASMSTART
	v_pk_mul_f32 v[40:41], v[40:41], v[2:3]
	;;#ASMEND
	v_pk_add_f32 v[2:3], v[10:11], 1.0 op_sel_hi:[1,0]
	;;#ASMSTART
	v_pk_mul_f32 v[42:43], v[18:19], v[2:3]
	;;#ASMEND
	v_pk_add_f32 v[2:3], v[6:7], 1.0 op_sel_hi:[1,0]
	;; [unrolled: 4-line block ×3, first 2 shown]
	;;#ASMSTART
	v_pk_mul_f32 v[36:37], v[14:15], v[2:3]
	;;#ASMEND
.LBB94_9:
	s_or_b64 exec, exec, s[20:21]
	s_load_dword s7, s[4:5], 0x80
	s_mov_b64 s[20:21], -1
	s_and_b64 vcc, exec, s[10:11]
	s_cbranch_vccnz .LBB94_13
; %bb.10:
	s_andn2_b64 vcc, exec, s[20:21]
	s_cbranch_vccz .LBB94_16
.LBB94_11:
	s_cmp_lt_i32 s16, 1
	s_cbranch_scc0 .LBB94_25
.LBB94_12:
	s_endpgm
.LBB94_13:
	s_and_saveexec_b64 s[10:11], s[2:3]
	s_cbranch_execz .LBB94_15
; %bb.14:
	s_waitcnt lgkmcnt(0)
	s_mul_hi_i32 s21, s7, s6
	s_mul_i32 s20, s7, s6
	s_lshl_b64 s[20:21], s[20:21], 1
	s_add_u32 s20, s24, s20
	s_addc_u32 s12, s25, s21
	s_and_b32 s21, s12, 0xffff
	s_mov_b32 s12, 0x7060302
	s_mov_b32 s23, 0x20000
	s_waitcnt vmcnt(0)
	v_perm_b32 v5, v63, v62, s12
	v_perm_b32 v4, v61, v60, s12
	;; [unrolled: 1-line block ×4, first 2 shown]
	v_lshlrev_b32_e32 v6, 1, v1
	buffer_store_dwordx4 v[2:5], v6, s[20:23], 0 offen
	s_movk_i32 s14, 0x400
	v_perm_b32 v5, v57, v56, s12
	v_perm_b32 v4, v53, v52, s12
	;; [unrolled: 1-line block ×4, first 2 shown]
	;;#ASMSTART
	s_nop 0
	;;#ASMEND
	buffer_store_dwordx4 v[2:5], v6, s[20:23], s14 offen
	v_perm_b32 v5, v49, v48, s12
	v_perm_b32 v4, v45, v44, s12
	v_perm_b32 v3, v51, v50, s12
	v_perm_b32 v2, v47, v46, s12
	s_movk_i32 s14, 0x800
	;;#ASMSTART
	s_nop 0
	;;#ASMEND
	buffer_store_dwordx4 v[2:5], v6, s[20:23], s14 offen
	v_perm_b32 v5, v37, v36, s12
	v_perm_b32 v4, v39, v38, s12
	;; [unrolled: 1-line block ×4, first 2 shown]
	s_movk_i32 s12, 0xc00
	;;#ASMSTART
	s_nop 0
	;;#ASMEND
	buffer_store_dwordx4 v[2:5], v6, s[20:23], s12 offen
	;;#ASMSTART
	s_nop 0
	;;#ASMEND
.LBB94_15:
	s_or_b64 exec, exec, s[10:11]
	s_cbranch_execnz .LBB94_11
.LBB94_16:
	s_waitcnt vmcnt(0)
	v_mov_b32_e32 v2, 0
	s_and_saveexec_b64 s[10:11], s[2:3]
	s_cbranch_execz .LBB94_18
; %bb.17:
	v_and_b32_e32 v2, 0x7fffffff, v34
	v_and_b32_e32 v3, 0x7fffffff, v35
	v_mov_b32_e32 v4, 0x2edbe6ff
	;;#ASMSTART
	v_max3_f32 v2, v4, v2, v3

	;;#ASMEND
	v_and_b32_e32 v3, 0x7fffffff, v64
	v_and_b32_e32 v4, 0x7fffffff, v65
	;;#ASMSTART
	v_max3_f32 v2, v2, v3, v4

	;;#ASMEND
	v_and_b32_e32 v3, 0x7fffffff, v60
	v_and_b32_e32 v4, 0x7fffffff, v61
	;; [unrolled: 6-line block ×15, first 2 shown]
	;;#ASMSTART
	v_max3_f32 v2, v2, v3, v4

	;;#ASMEND
.LBB94_18:
	s_or_b64 exec, exec, s[10:11]
	s_nop 0
	v_mov_b32_dpp v3, v2 quad_perm:[1,0,3,2] row_mask:0xf bank_mask:0xf
	v_cmp_gt_f32_e32 vcc, v2, v3
	v_cndmask_b32_e32 v2, v3, v2, vcc
	s_nop 1
	v_mov_b32_dpp v3, v2 quad_perm:[2,3,0,1] row_mask:0xf bank_mask:0xf
	v_cmp_gt_f32_e32 vcc, v2, v3
	v_cndmask_b32_e32 v2, v3, v2, vcc
	s_nop 1
	v_mov_b32_dpp v3, v2 row_half_mirror row_mask:0xf bank_mask:0xf
	v_cmp_gt_f32_e32 vcc, v2, v3
	v_cndmask_b32_e32 v2, v3, v2, vcc
	s_nop 1
	v_mov_b32_dpp v3, v2 row_mirror row_mask:0xf bank_mask:0xf
	v_cmp_gt_f32_e32 vcc, v2, v3
	v_cndmask_b32_e32 v2, v3, v2, vcc
	s_nop 1
	v_mov_b32_dpp v3, v2 row_bcast:15 row_mask:0xf bank_mask:0xf
	v_cmp_gt_f32_e32 vcc, v2, v3
	v_cndmask_b32_e32 v2, v3, v2, vcc
	s_nop 1
	v_mov_b32_dpp v3, v2 row_bcast:31 row_mask:0xf bank_mask:0xf
	s_and_saveexec_b64 s[10:11], s[0:1]
	s_cbranch_execz .LBB94_20
; %bb.19:
	v_cmp_gt_f32_e32 vcc, v2, v3
	v_cndmask_b32_e32 v2, v3, v2, vcc
	v_lshrrev_b32_e32 v3, 4, v0
	v_and_b32_e32 v3, 60, v3
	ds_write_b32 v3, v2
.LBB94_20:
	s_or_b64 exec, exec, s[10:11]
	s_waitcnt lgkmcnt(0)
	s_barrier
	ds_read_b32 v2, v66
	s_load_dwordx2 s[20:21], s[4:5], 0x70
	s_waitcnt lgkmcnt(0)
	v_mov_b32_dpp v3, v2 quad_perm:[1,0,3,2] row_mask:0xf bank_mask:0xf
	v_cmp_gt_f32_e32 vcc, v2, v3
	v_cndmask_b32_e32 v2, v3, v2, vcc
	s_nop 1
	v_mov_b32_dpp v3, v2 quad_perm:[2,3,0,1] row_mask:0xf bank_mask:0xf
	v_cmp_gt_f32_e32 vcc, v2, v3
	v_cndmask_b32_e32 v2, v3, v2, vcc
	v_mul_f32_e32 v2, 0x3b124925, v2
	v_cmp_eq_u32_e32 vcc, 0, v0
	s_and_saveexec_b64 s[10:11], vcc
	s_cbranch_execz .LBB94_22
; %bb.21:
	s_load_dwordx2 s[22:23], s[4:5], 0x8
	s_mul_hi_i32 s29, s21, s6
	s_mul_i32 s28, s21, s6
	s_lshl_b64 s[28:29], s[28:29], 2
	v_mov_b32_e32 v3, 0
	s_waitcnt lgkmcnt(0)
	s_add_u32 s22, s22, s28
	s_addc_u32 s23, s23, s29
	global_store_dword v3, v2, s[22:23]
.LBB94_22:
	s_or_b64 exec, exec, s[10:11]
	;;#ASMSTART
	v_rcp_f32 v2, v2
	;;#ASMEND
	s_and_saveexec_b64 s[10:11], s[2:3]
	s_cbranch_execz .LBB94_24
; %bb.23:
	s_load_dwordx2 s[22:23], s[4:5], 0x0
	s_mul_i32 s12, s20, s6
	s_mul_hi_i32 s3, s20, s6
	v_mov_b32_e32 v3, v2
	;;#ASMSTART
	v_pk_mul_f32 v[4:5], v[34:35], v[2:3]
	;;#ASMEND
	s_waitcnt lgkmcnt(0)
	s_add_u32 s20, s22, s12
	s_addc_u32 s3, s23, s3
	s_add_i32 s12, s15, 3
	s_ashr_i32 s14, s12, 31
	v_mov_b32_e32 v8, 0xc3e00000
	v_mov_b32_e32 v9, 0x43e00000
	;;#ASMSTART
	v_med3_f32 v4, v4, v8, v9
v_med3_f32 v5, v5, v8, v9
v_cvt_pk_fp8_f32 v6, v4, v5
	;;#ASMEND
	s_lshr_b32 s14, s14, 30
	;;#ASMSTART
	v_pk_mul_f32 v[4:5], v[64:65], v[2:3]
	;;#ASMEND
	s_add_i32 s12, s12, s14
	s_and_b32 s21, s3, 0xffff
	;;#ASMSTART
	v_med3_f32 v4, v4, v8, v9
v_med3_f32 v5, v5, v8, v9
v_cvt_pk_fp8_f32 v7, v4, v5
	;;#ASMEND
	s_mov_b32 s3, 0x5040100
	s_and_b32 s22, s12, -4
	v_perm_b32 v5, v7, v6, s3
	s_movk_i32 s12, 0xff
	v_and_b32_e32 v4, 0xffffff00, v7
	v_and_b32_sdwa v6, v5, s12 dst_sel:DWORD dst_unused:UNUSED_PAD src0_sel:WORD_1 src1_sel:DWORD
	s_mov_b32 s2, 0xffff
	v_or_b32_sdwa v4, v6, v4 dst_sel:WORD_1 dst_unused:UNUSED_PAD src0_sel:DWORD src1_sel:DWORD
	v_and_or_b32 v4, v5, s2, v4
	;;#ASMSTART
	v_pk_mul_f32 v[6:7], v[60:61], v[2:3]
	;;#ASMEND
	v_mov_b32_e32 v5, v6
	;;#ASMSTART
	v_med3_f32 v5, v5, v8, v9
v_med3_f32 v7, v7, v8, v9
v_cvt_pk_fp8_f32 v10, v5, v7
	;;#ASMEND
	;;#ASMSTART
	v_pk_mul_f32 v[6:7], v[62:63], v[2:3]
	;;#ASMEND
	v_mov_b32_e32 v5, v7
	;;#ASMSTART
	v_med3_f32 v6, v6, v8, v9
v_med3_f32 v5, v5, v8, v9
v_cvt_pk_fp8_f32 v7, v6, v5
	;;#ASMEND
	v_lshlrev_b32_e32 v5, 16, v7
	s_mov_b32 s23, 0x20000
	v_and_or_b32 v5, v10, s2, v5
	buffer_store_dwordx2 v[4:5], v1, s[20:23], 0 offen
	;;#ASMSTART
	s_nop 0
	;;#ASMEND
	;;#ASMSTART
	v_pk_mul_f32 v[4:5], v[54:55], v[2:3]
	;;#ASMEND
	;;#ASMSTART
	v_med3_f32 v4, v4, v8, v9
v_med3_f32 v5, v5, v8, v9
v_cvt_pk_fp8_f32 v6, v4, v5
	;;#ASMEND
	;;#ASMSTART
	v_pk_mul_f32 v[4:5], v[58:59], v[2:3]
	;;#ASMEND
	;;#ASMSTART
	v_med3_f32 v4, v4, v8, v9
v_med3_f32 v5, v5, v8, v9
v_cvt_pk_fp8_f32 v7, v4, v5
	;;#ASMEND
	v_perm_b32 v5, v7, v6, s3
	v_and_b32_e32 v4, 0xffffff00, v7
	v_and_b32_sdwa v6, v5, s12 dst_sel:DWORD dst_unused:UNUSED_PAD src0_sel:WORD_1 src1_sel:DWORD
	v_or_b32_sdwa v4, v6, v4 dst_sel:WORD_1 dst_unused:UNUSED_PAD src0_sel:DWORD src1_sel:DWORD
	v_and_or_b32 v4, v5, s2, v4
	;;#ASMSTART
	v_pk_mul_f32 v[6:7], v[52:53], v[2:3]
	;;#ASMEND
	v_mov_b32_e32 v5, v6
	;;#ASMSTART
	v_med3_f32 v5, v5, v8, v9
v_med3_f32 v7, v7, v8, v9
v_cvt_pk_fp8_f32 v10, v5, v7
	;;#ASMEND
	;;#ASMSTART
	v_pk_mul_f32 v[6:7], v[56:57], v[2:3]
	;;#ASMEND
	v_mov_b32_e32 v5, v7
	;;#ASMSTART
	v_med3_f32 v6, v6, v8, v9
v_med3_f32 v5, v5, v8, v9
v_cvt_pk_fp8_f32 v7, v6, v5
	;;#ASMEND
	v_lshlrev_b32_e32 v5, 16, v7
	v_and_or_b32 v5, v10, s2, v5
	s_movk_i32 s14, 0x200
	buffer_store_dwordx2 v[4:5], v1, s[20:23], s14 offen
	;;#ASMSTART
	s_nop 0
	;;#ASMEND
	;;#ASMSTART
	v_pk_mul_f32 v[4:5], v[46:47], v[2:3]
	;;#ASMEND
	;;#ASMSTART
	v_med3_f32 v4, v4, v8, v9
v_med3_f32 v5, v5, v8, v9
v_cvt_pk_fp8_f32 v6, v4, v5
	;;#ASMEND
	;;#ASMSTART
	v_pk_mul_f32 v[4:5], v[50:51], v[2:3]
	;;#ASMEND
	;;#ASMSTART
	v_med3_f32 v4, v4, v8, v9
v_med3_f32 v5, v5, v8, v9
v_cvt_pk_fp8_f32 v7, v4, v5
	;;#ASMEND
	v_perm_b32 v5, v7, v6, s3
	v_and_b32_e32 v4, 0xffffff00, v7
	v_and_b32_sdwa v6, v5, s12 dst_sel:DWORD dst_unused:UNUSED_PAD src0_sel:WORD_1 src1_sel:DWORD
	v_or_b32_sdwa v4, v6, v4 dst_sel:WORD_1 dst_unused:UNUSED_PAD src0_sel:DWORD src1_sel:DWORD
	v_and_or_b32 v4, v5, s2, v4
	;;#ASMSTART
	v_pk_mul_f32 v[6:7], v[44:45], v[2:3]
	;;#ASMEND
	v_mov_b32_e32 v5, v6
	;;#ASMSTART
	v_med3_f32 v5, v5, v8, v9
v_med3_f32 v7, v7, v8, v9
v_cvt_pk_fp8_f32 v10, v5, v7
	;;#ASMEND
	;;#ASMSTART
	v_pk_mul_f32 v[6:7], v[48:49], v[2:3]
	;;#ASMEND
	v_mov_b32_e32 v5, v7
	;;#ASMSTART
	v_med3_f32 v6, v6, v8, v9
v_med3_f32 v5, v5, v8, v9
v_cvt_pk_fp8_f32 v7, v6, v5
	;;#ASMEND
	v_lshlrev_b32_e32 v5, 16, v7
	v_and_or_b32 v5, v10, s2, v5
	s_movk_i32 s14, 0x400
	buffer_store_dwordx2 v[4:5], v1, s[20:23], s14 offen
	;;#ASMSTART
	s_nop 0
	;;#ASMEND
	;;#ASMSTART
	v_pk_mul_f32 v[4:5], v[40:41], v[2:3]
	;;#ASMEND
	;;#ASMSTART
	v_med3_f32 v4, v4, v8, v9
v_med3_f32 v5, v5, v8, v9
v_cvt_pk_fp8_f32 v6, v4, v5
	;;#ASMEND
	;;#ASMSTART
	v_pk_mul_f32 v[4:5], v[42:43], v[2:3]
	;;#ASMEND
	;;#ASMSTART
	v_med3_f32 v4, v4, v8, v9
v_med3_f32 v5, v5, v8, v9
v_cvt_pk_fp8_f32 v7, v4, v5
	;;#ASMEND
	v_perm_b32 v5, v7, v6, s3
	v_and_b32_e32 v4, 0xffffff00, v7
	v_and_b32_sdwa v6, v5, s12 dst_sel:DWORD dst_unused:UNUSED_PAD src0_sel:WORD_1 src1_sel:DWORD
	v_or_b32_sdwa v4, v6, v4 dst_sel:WORD_1 dst_unused:UNUSED_PAD src0_sel:DWORD src1_sel:DWORD
	v_and_or_b32 v4, v5, s2, v4
	;;#ASMSTART
	v_pk_mul_f32 v[6:7], v[38:39], v[2:3]
	;;#ASMEND
	v_mov_b32_e32 v5, v6
	;;#ASMSTART
	v_med3_f32 v5, v5, v8, v9
v_med3_f32 v7, v7, v8, v9
v_cvt_pk_fp8_f32 v6, v5, v7
	;;#ASMEND
	;;#ASMSTART
	v_pk_mul_f32 v[2:3], v[36:37], v[2:3]
	;;#ASMEND
	;;#ASMSTART
	v_med3_f32 v2, v2, v8, v9
v_med3_f32 v3, v3, v8, v9
v_cvt_pk_fp8_f32 v5, v2, v3
	;;#ASMEND
	v_lshlrev_b32_e32 v2, 16, v5
	v_and_or_b32 v5, v6, s2, v2
	s_movk_i32 s2, 0x600
	buffer_store_dwordx2 v[4:5], v1, s[20:23], s2 offen
	;;#ASMSTART
	s_nop 0
	;;#ASMEND
.LBB94_24:
	s_or_b64 exec, exec, s[10:11]
	s_cmp_lt_i32 s16, 1
	s_cbranch_scc1 .LBB94_12
.LBB94_25:
	s_load_dword s2, s[4:5], 0x94
	s_waitcnt lgkmcnt(0)
	s_cmp_lg_u32 s2, 1
	s_cbranch_scc1 .LBB94_12
; %bb.26:
	s_lshl_b32 s2, s16, 1
	s_add_i32 s2, s2, 2
	v_cmp_gt_u32_e32 vcc, s16, v1
	s_and_b32 s10, s2, -4
	v_mov_b32_e32 v34, 0
	v_lshlrev_b32_e32 v67, 1, v1
	v_mov_b32_e32 v30, 0
	v_mov_b32_e32 v31, 0
	;; [unrolled: 1-line block ×16, first 2 shown]
	s_waitcnt vmcnt(3)
	v_mov_b32_e32 v14, 0
	v_mov_b32_e32 v15, 0
	v_mov_b32_e32 v16, 0
	v_mov_b32_e32 v17, 0
	s_waitcnt vmcnt(2)
	v_mov_b32_e32 v10, 0
	v_mov_b32_e32 v11, 0
	v_mov_b32_e32 v12, 0
	v_mov_b32_e32 v13, 0
	;; [unrolled: 5-line block ×4, first 2 shown]
	s_barrier
	s_and_saveexec_b64 s[2:3], vcc
	s_cbranch_execz .LBB94_28
; %bb.27:
	s_mul_hi_i32 s5, s18, s6
	s_mul_i32 s4, s18, s6
	s_and_b32 s9, s9, 0xffff
	s_lshl_b64 s[4:5], s[4:5], 1
	s_add_u32 s20, s26, s4
	s_mov_b32 s11, 0x20000
	s_addc_u32 s4, s27, s5
	s_and_b32 s21, s4, 0xffff
	s_mov_b32 s22, s10
	s_mov_b32 s23, s11
	s_movk_i32 s5, 0x800
	s_movk_i32 s4, 0x400
	buffer_load_dwordx4 v[30:33], v67, s[20:23], 0 offen glc slc
	buffer_load_dwordx4 v[22:25], v67, s[20:23], s4 offen glc slc
	s_movk_i32 s12, 0xc00
	buffer_load_dwordx4 v[26:29], v67, s[20:23], s5 offen glc slc
	buffer_load_dwordx4 v[18:21], v67, s[20:23], s12 offen glc slc
	buffer_load_dwordx4 v[14:17], v67, s[8:11], 0 offen
	buffer_load_dwordx4 v[10:13], v67, s[8:11], s4 offen
	;; [unrolled: 1-line block ×4, first 2 shown]
.LBB94_28:
	s_or_b64 exec, exec, s[2:3]
	v_mov_b32_e32 v35, 0
	v_mov_b32_e32 v64, 0
	;; [unrolled: 1-line block ×31, first 2 shown]
	s_and_saveexec_b64 s[2:3], vcc
	s_cbranch_execz .LBB94_30
; %bb.29:
	s_waitcnt vmcnt(7)
	v_cvt_f32_u32_sdwa v34, v30 dst_sel:DWORD dst_unused:UNUSED_PAD src0_sel:WORD_0
	v_cvt_f32_u32_sdwa v35, v30 dst_sel:DWORD dst_unused:UNUSED_PAD src0_sel:WORD_1
	v_cvt_f32_u32_sdwa v64, v31 dst_sel:DWORD dst_unused:UNUSED_PAD src0_sel:WORD_0
	v_cvt_f32_u32_sdwa v65, v31 dst_sel:DWORD dst_unused:UNUSED_PAD src0_sel:WORD_1
	v_cvt_f32_u32_sdwa v62, v32 dst_sel:DWORD dst_unused:UNUSED_PAD src0_sel:WORD_0
	v_cvt_f32_u32_sdwa v63, v32 dst_sel:DWORD dst_unused:UNUSED_PAD src0_sel:WORD_1
	v_cvt_f32_u32_sdwa v60, v33 dst_sel:DWORD dst_unused:UNUSED_PAD src0_sel:WORD_0
	v_cvt_f32_u32_sdwa v61, v33 dst_sel:DWORD dst_unused:UNUSED_PAD src0_sel:WORD_1
	s_waitcnt vmcnt(6)
	v_cvt_f32_u32_sdwa v58, v22 dst_sel:DWORD dst_unused:UNUSED_PAD src0_sel:WORD_0
	v_cvt_f32_u32_sdwa v59, v22 dst_sel:DWORD dst_unused:UNUSED_PAD src0_sel:WORD_1
	v_cvt_f32_u32_sdwa v56, v23 dst_sel:DWORD dst_unused:UNUSED_PAD src0_sel:WORD_0
	v_cvt_f32_u32_sdwa v57, v23 dst_sel:DWORD dst_unused:UNUSED_PAD src0_sel:WORD_1
	v_cvt_f32_u32_sdwa v54, v24 dst_sel:DWORD dst_unused:UNUSED_PAD src0_sel:WORD_0
	v_cvt_f32_u32_sdwa v55, v24 dst_sel:DWORD dst_unused:UNUSED_PAD src0_sel:WORD_1
	v_cvt_f32_u32_sdwa v52, v25 dst_sel:DWORD dst_unused:UNUSED_PAD src0_sel:WORD_0
	v_cvt_f32_u32_sdwa v53, v25 dst_sel:DWORD dst_unused:UNUSED_PAD src0_sel:WORD_1
	;; [unrolled: 9-line block ×4, first 2 shown]
.LBB94_30:
	s_or_b64 exec, exec, s[2:3]
	v_mul_f32_e32 v1, v35, v35
	v_fmac_f32_e32 v1, v34, v34
	v_fmac_f32_e32 v1, v64, v64
	;; [unrolled: 1-line block ×31, first 2 shown]
	s_waitcnt vmcnt(4)
	s_nop 0
	v_mov_b32_dpp v18, v1 quad_perm:[1,0,3,2] row_mask:0xf bank_mask:0xf
	v_add_f32_e32 v1, v1, v18
	s_nop 1
	v_mov_b32_dpp v18, v1 quad_perm:[2,3,0,1] row_mask:0xf bank_mask:0xf
	v_add_f32_e32 v1, v1, v18
	s_nop 1
	v_mov_b32_dpp v18, v1 row_half_mirror row_mask:0xf bank_mask:0xf
	v_add_f32_e32 v1, v1, v18
	s_nop 1
	v_mov_b32_dpp v18, v1 row_mirror row_mask:0xf bank_mask:0xf
	v_add_f32_e32 v1, v1, v18
	s_nop 1
	v_mov_b32_dpp v18, v1 row_bcast:15 row_mask:0xf bank_mask:0xf
	v_add_f32_e32 v1, v1, v18
	s_nop 1
	v_mov_b32_dpp v18, v1 row_bcast:31 row_mask:0xf bank_mask:0xf
	s_and_saveexec_b64 s[2:3], s[0:1]
	s_cbranch_execz .LBB94_32
; %bb.31:
	v_lshrrev_b32_e32 v0, 4, v0
	v_add_f32_e32 v1, v1, v18
	v_and_b32_e32 v0, 60, v0
	ds_write_b32 v0, v1 offset:16
.LBB94_32:
	s_or_b64 exec, exec, s[2:3]
	s_waitcnt lgkmcnt(0)
	s_barrier
	ds_read_b32 v0, v66 offset:16
	s_waitcnt lgkmcnt(0)
	s_nop 0
	v_mov_b32_dpp v1, v0 quad_perm:[1,0,3,2] row_mask:0xf bank_mask:0xf
	v_add_f32_e32 v0, v0, v1
	s_nop 1
	v_mov_b32_dpp v1, v0 quad_perm:[2,3,0,1] row_mask:0xf bank_mask:0xf
	s_and_saveexec_b64 s[0:1], vcc
	s_cbranch_execz .LBB94_12
; %bb.33:
	v_cvt_f32_u32_e32 v18, s16
	v_add_f32_e32 v0, v0, v1
	s_mov_b32 s11, 0x20000
	v_div_scale_f32 v1, s[0:1], v18, v18, v0
	v_rcp_f32_e32 v19, v1
	v_div_scale_f32 v20, vcc, v0, v18, v0
	s_mov_b32 s0, 0x800000
	v_fma_f32 v21, -v1, v19, 1.0
	v_fmac_f32_e32 v19, v21, v19
	v_mul_f32_e32 v21, v20, v19
	v_fma_f32 v22, -v1, v21, v20
	v_fmac_f32_e32 v21, v22, v19
	v_fma_f32 v1, -v1, v21, v20
	v_div_fmas_f32 v1, v1, v19, v21
	v_div_fixup_f32 v0, v1, v18, v0
	v_add_f32_e32 v0, s13, v0
	v_mul_f32_e32 v1, 0x4b800000, v0
	v_cmp_gt_f32_e32 vcc, s0, v0
	v_cndmask_b32_e32 v0, v0, v1, vcc
	v_rsq_f32_e32 v0, v0
	s_mul_hi_i32 s1, s7, s6
	s_mul_i32 s0, s7, s6
	s_lshl_b64 s[0:1], s[0:1], 1
	v_mul_f32_e32 v1, 0x45800000, v0
	v_cndmask_b32_e32 v0, v0, v1, vcc
	v_mov_b32_e32 v1, v0
	;;#ASMSTART
	v_pk_mul_f32 v[22:23], v[34:35], v[0:1]
	;;#ASMEND
	;;#ASMSTART
	v_pk_mul_f32 v[24:25], v[64:65], v[0:1]
	;;#ASMEND
	;; [unrolled: 3-line block ×15, first 2 shown]
	s_waitcnt vmcnt(3)
	v_cvt_f32_u32_sdwa v39, v14 dst_sel:DWORD dst_unused:UNUSED_PAD src0_sel:WORD_1
	v_cvt_f32_u32_sdwa v38, v14 dst_sel:DWORD dst_unused:UNUSED_PAD src0_sel:WORD_0
	v_cvt_f32_u32_sdwa v41, v15 dst_sel:DWORD dst_unused:UNUSED_PAD src0_sel:WORD_1
	v_cvt_f32_u32_sdwa v40, v15 dst_sel:DWORD dst_unused:UNUSED_PAD src0_sel:WORD_0
	;;#ASMSTART
	v_pk_mul_f32 v[14:15], v[36:37], v[0:1]
	;;#ASMEND
	v_cvt_f32_u32_sdwa v37, v16 dst_sel:DWORD dst_unused:UNUSED_PAD src0_sel:WORD_1
	v_cvt_f32_u32_sdwa v36, v16 dst_sel:DWORD dst_unused:UNUSED_PAD src0_sel:WORD_0
	v_pk_add_f32 v[0:1], v[38:39], 1.0 op_sel_hi:[1,0]
	;;#ASMSTART
	v_pk_mul_f32 v[0:1], v[22:23], v[0:1]
	;;#ASMEND
	v_pk_add_f32 v[22:23], v[40:41], 1.0 op_sel_hi:[1,0]
	v_cvt_f32_u32_sdwa v39, v17 dst_sel:DWORD dst_unused:UNUSED_PAD src0_sel:WORD_1
	v_cvt_f32_u32_sdwa v38, v17 dst_sel:DWORD dst_unused:UNUSED_PAD src0_sel:WORD_0
	;;#ASMSTART
	v_pk_mul_f32 v[16:17], v[24:25], v[22:23]
	;;#ASMEND
	v_pk_add_f32 v[22:23], v[36:37], 1.0 op_sel_hi:[1,0]
	;;#ASMSTART
	v_pk_mul_f32 v[22:23], v[26:27], v[22:23]
	;;#ASMEND
	s_waitcnt vmcnt(2)
	v_cvt_f32_u32_sdwa v27, v10 dst_sel:DWORD dst_unused:UNUSED_PAD src0_sel:WORD_1
	v_cvt_f32_u32_sdwa v26, v10 dst_sel:DWORD dst_unused:UNUSED_PAD src0_sel:WORD_0
	v_pk_add_f32 v[24:25], v[38:39], 1.0 op_sel_hi:[1,0]
	v_cvt_f32_u32_sdwa v37, v11 dst_sel:DWORD dst_unused:UNUSED_PAD src0_sel:WORD_1
	v_cvt_f32_u32_sdwa v36, v11 dst_sel:DWORD dst_unused:UNUSED_PAD src0_sel:WORD_0
	;;#ASMSTART
	v_pk_mul_f32 v[10:11], v[28:29], v[24:25]
	;;#ASMEND
	v_pk_add_f32 v[24:25], v[26:27], 1.0 op_sel_hi:[1,0]
	;;#ASMSTART
	v_pk_mul_f32 v[24:25], v[30:31], v[24:25]
	;;#ASMEND
	v_cvt_f32_u32_sdwa v29, v12 dst_sel:DWORD dst_unused:UNUSED_PAD src0_sel:WORD_1
	v_cvt_f32_u32_sdwa v28, v12 dst_sel:DWORD dst_unused:UNUSED_PAD src0_sel:WORD_0
	v_cvt_f32_u32_sdwa v31, v13 dst_sel:DWORD dst_unused:UNUSED_PAD src0_sel:WORD_1
	v_cvt_f32_u32_sdwa v30, v13 dst_sel:DWORD dst_unused:UNUSED_PAD src0_sel:WORD_0
	v_pk_add_f32 v[26:27], v[36:37], 1.0 op_sel_hi:[1,0]
	;;#ASMSTART
	v_pk_mul_f32 v[12:13], v[32:33], v[26:27]
	;;#ASMEND
	v_pk_add_f32 v[26:27], v[28:29], 1.0 op_sel_hi:[1,0]
	v_pk_add_f32 v[28:29], v[30:31], 1.0 op_sel_hi:[1,0]
	s_waitcnt vmcnt(1)
	v_cvt_f32_u32_sdwa v31, v6 dst_sel:DWORD dst_unused:UNUSED_PAD src0_sel:WORD_1
	v_cvt_f32_u32_sdwa v30, v6 dst_sel:DWORD dst_unused:UNUSED_PAD src0_sel:WORD_0
	v_cvt_f32_u32_sdwa v33, v7 dst_sel:DWORD dst_unused:UNUSED_PAD src0_sel:WORD_1
	v_cvt_f32_u32_sdwa v32, v7 dst_sel:DWORD dst_unused:UNUSED_PAD src0_sel:WORD_0
	;;#ASMSTART
	v_pk_mul_f32 v[26:27], v[34:35], v[26:27]
	;;#ASMEND
	;;#ASMSTART
	v_pk_mul_f32 v[6:7], v[52:53], v[28:29]
	;;#ASMEND
	v_pk_add_f32 v[28:29], v[30:31], 1.0 op_sel_hi:[1,0]
	v_pk_add_f32 v[30:31], v[32:33], 1.0 op_sel_hi:[1,0]
	v_cvt_f32_u32_sdwa v33, v8 dst_sel:DWORD dst_unused:UNUSED_PAD src0_sel:WORD_1
	v_cvt_f32_u32_sdwa v32, v8 dst_sel:DWORD dst_unused:UNUSED_PAD src0_sel:WORD_0
	v_cvt_f32_u32_sdwa v35, v9 dst_sel:DWORD dst_unused:UNUSED_PAD src0_sel:WORD_1
	v_cvt_f32_u32_sdwa v34, v9 dst_sel:DWORD dst_unused:UNUSED_PAD src0_sel:WORD_0
	;;#ASMSTART
	v_pk_mul_f32 v[28:29], v[50:51], v[28:29]
	;;#ASMEND
	;;#ASMSTART
	v_pk_mul_f32 v[8:9], v[48:49], v[30:31]
	;;#ASMEND
	v_pk_add_f32 v[30:31], v[32:33], 1.0 op_sel_hi:[1,0]
	v_pk_add_f32 v[32:33], v[34:35], 1.0 op_sel_hi:[1,0]
	s_waitcnt vmcnt(0)
	v_cvt_f32_u32_sdwa v35, v2 dst_sel:DWORD dst_unused:UNUSED_PAD src0_sel:WORD_1
	v_cvt_f32_u32_sdwa v34, v2 dst_sel:DWORD dst_unused:UNUSED_PAD src0_sel:WORD_0
	v_cvt_f32_u32_sdwa v37, v3 dst_sel:DWORD dst_unused:UNUSED_PAD src0_sel:WORD_1
	v_cvt_f32_u32_sdwa v36, v3 dst_sel:DWORD dst_unused:UNUSED_PAD src0_sel:WORD_0
	;;#ASMSTART
	v_pk_mul_f32 v[30:31], v[46:47], v[30:31]
	;;#ASMEND
	v_pk_add_f32 v[2:3], v[34:35], 1.0 op_sel_hi:[1,0]
	;;#ASMSTART
	v_pk_mul_f32 v[32:33], v[44:45], v[32:33]
	;;#ASMEND
	;;#ASMSTART
	v_pk_mul_f32 v[34:35], v[42:43], v[2:3]
	;;#ASMEND
	v_pk_add_f32 v[2:3], v[36:37], 1.0 op_sel_hi:[1,0]
	v_cvt_f32_u32_sdwa v37, v4 dst_sel:DWORD dst_unused:UNUSED_PAD src0_sel:WORD_1
	v_cvt_f32_u32_sdwa v36, v4 dst_sel:DWORD dst_unused:UNUSED_PAD src0_sel:WORD_0
	v_cvt_f32_u32_sdwa v39, v5 dst_sel:DWORD dst_unused:UNUSED_PAD src0_sel:WORD_1
	v_cvt_f32_u32_sdwa v38, v5 dst_sel:DWORD dst_unused:UNUSED_PAD src0_sel:WORD_0
	s_add_u32 s8, s24, s0
	;;#ASMSTART
	v_pk_mul_f32 v[4:5], v[18:19], v[2:3]
	;;#ASMEND
	v_pk_add_f32 v[2:3], v[36:37], 1.0 op_sel_hi:[1,0]
	s_addc_u32 s0, s25, s1
	;;#ASMSTART
	v_pk_mul_f32 v[18:19], v[20:21], v[2:3]
	;;#ASMEND
	v_pk_add_f32 v[2:3], v[38:39], 1.0 op_sel_hi:[1,0]
	s_and_b32 s9, s0, 0xffff
	s_mov_b32 s0, 0x7060302
	;;#ASMSTART
	v_pk_mul_f32 v[14:15], v[14:15], v[2:3]
	;;#ASMEND
	v_perm_b32 v0, v1, v0, s0
	v_perm_b32 v1, v17, v16, s0
	;; [unrolled: 1-line block ×4, first 2 shown]
	buffer_store_dwordx4 v[0:3], v67, s[8:11], 0 offen
	s_movk_i32 s1, 0x400
	v_perm_b32 v0, v25, v24, s0
	v_perm_b32 v1, v13, v12, s0
	;; [unrolled: 1-line block ×4, first 2 shown]
	;;#ASMSTART
	s_nop 0
	;;#ASMEND
	buffer_store_dwordx4 v[0:3], v67, s[8:11], s1 offen
	v_perm_b32 v0, v29, v28, s0
	v_perm_b32 v1, v9, v8, s0
	;; [unrolled: 1-line block ×4, first 2 shown]
	s_movk_i32 s1, 0x800
	;;#ASMSTART
	s_nop 0
	;;#ASMEND
	buffer_store_dwordx4 v[0:3], v67, s[8:11], s1 offen
	v_perm_b32 v0, v35, v34, s0
	v_perm_b32 v1, v5, v4, s0
	;; [unrolled: 1-line block ×4, first 2 shown]
	s_movk_i32 s0, 0xc00
	;;#ASMSTART
	s_nop 0
	;;#ASMEND
	buffer_store_dwordx4 v[0:3], v67, s[8:11], s0 offen
	;;#ASMSTART
	s_nop 0
	;;#ASMEND
	s_endpgm
	.section	.rodata,"a",@progbits
	.p2align	6, 0x0
	.amdhsa_kernel _ZN5aiter35fused_qk_rmsnorm_group_quant_kernelItDB8_Li256ELi32ELi1ELb0ELb0ELb1ELb0ELb1ELb1EEEvPT0_PvPT_S6_S6_PKS5_S8_S8_S8_S8_ffiiiiiiiiiiiii
		.amdhsa_group_segment_fixed_size 48
		.amdhsa_private_segment_fixed_size 0
		.amdhsa_kernarg_size 400
		.amdhsa_user_sgpr_count 6
		.amdhsa_user_sgpr_private_segment_buffer 1
		.amdhsa_user_sgpr_dispatch_ptr 0
		.amdhsa_user_sgpr_queue_ptr 0
		.amdhsa_user_sgpr_kernarg_segment_ptr 1
		.amdhsa_user_sgpr_dispatch_id 0
		.amdhsa_user_sgpr_flat_scratch_init 0
		.amdhsa_user_sgpr_kernarg_preload_length 0
		.amdhsa_user_sgpr_kernarg_preload_offset 0
		.amdhsa_user_sgpr_private_segment_size 0
		.amdhsa_uses_dynamic_stack 0
		.amdhsa_system_sgpr_private_segment_wavefront_offset 0
		.amdhsa_system_sgpr_workgroup_id_x 1
		.amdhsa_system_sgpr_workgroup_id_y 1
		.amdhsa_system_sgpr_workgroup_id_z 0
		.amdhsa_system_sgpr_workgroup_info 0
		.amdhsa_system_vgpr_workitem_id 0
		.amdhsa_next_free_vgpr 68
		.amdhsa_next_free_sgpr 32
		.amdhsa_accum_offset 68
		.amdhsa_reserve_vcc 1
		.amdhsa_reserve_flat_scratch 0
		.amdhsa_float_round_mode_32 0
		.amdhsa_float_round_mode_16_64 0
		.amdhsa_float_denorm_mode_32 3
		.amdhsa_float_denorm_mode_16_64 3
		.amdhsa_dx10_clamp 1
		.amdhsa_ieee_mode 1
		.amdhsa_fp16_overflow 0
		.amdhsa_tg_split 0
		.amdhsa_exception_fp_ieee_invalid_op 0
		.amdhsa_exception_fp_denorm_src 0
		.amdhsa_exception_fp_ieee_div_zero 0
		.amdhsa_exception_fp_ieee_overflow 0
		.amdhsa_exception_fp_ieee_underflow 0
		.amdhsa_exception_fp_ieee_inexact 0
		.amdhsa_exception_int_div_zero 0
	.end_amdhsa_kernel
	.section	.text._ZN5aiter35fused_qk_rmsnorm_group_quant_kernelItDB8_Li256ELi32ELi1ELb0ELb0ELb1ELb0ELb1ELb1EEEvPT0_PvPT_S6_S6_PKS5_S8_S8_S8_S8_ffiiiiiiiiiiiii,"axG",@progbits,_ZN5aiter35fused_qk_rmsnorm_group_quant_kernelItDB8_Li256ELi32ELi1ELb0ELb0ELb1ELb0ELb1ELb1EEEvPT0_PvPT_S6_S6_PKS5_S8_S8_S8_S8_ffiiiiiiiiiiiii,comdat
.Lfunc_end94:
	.size	_ZN5aiter35fused_qk_rmsnorm_group_quant_kernelItDB8_Li256ELi32ELi1ELb0ELb0ELb1ELb0ELb1ELb1EEEvPT0_PvPT_S6_S6_PKS5_S8_S8_S8_S8_ffiiiiiiiiiiiii, .Lfunc_end94-_ZN5aiter35fused_qk_rmsnorm_group_quant_kernelItDB8_Li256ELi32ELi1ELb0ELb0ELb1ELb0ELb1ELb1EEEvPT0_PvPT_S6_S6_PKS5_S8_S8_S8_S8_ffiiiiiiiiiiiii
                                        ; -- End function
	.section	.AMDGPU.csdata,"",@progbits
; Kernel info:
; codeLenInByte = 6044
; NumSgprs: 36
; NumVgprs: 68
; NumAgprs: 0
; TotalNumVgprs: 68
; ScratchSize: 0
; MemoryBound: 0
; FloatMode: 240
; IeeeMode: 1
; LDSByteSize: 48 bytes/workgroup (compile time only)
; SGPRBlocks: 4
; VGPRBlocks: 8
; NumSGPRsForWavesPerEU: 36
; NumVGPRsForWavesPerEU: 68
; AccumOffset: 68
; Occupancy: 7
; WaveLimiterHint : 0
; COMPUTE_PGM_RSRC2:SCRATCH_EN: 0
; COMPUTE_PGM_RSRC2:USER_SGPR: 6
; COMPUTE_PGM_RSRC2:TRAP_HANDLER: 0
; COMPUTE_PGM_RSRC2:TGID_X_EN: 1
; COMPUTE_PGM_RSRC2:TGID_Y_EN: 1
; COMPUTE_PGM_RSRC2:TGID_Z_EN: 0
; COMPUTE_PGM_RSRC2:TIDIG_COMP_CNT: 0
; COMPUTE_PGM_RSRC3_GFX90A:ACCUM_OFFSET: 16
; COMPUTE_PGM_RSRC3_GFX90A:TG_SPLIT: 0
	.section	.text._ZN5aiter35fused_qk_rmsnorm_group_quant_kernelIDF16_DB8_Li256ELi32ELi1ELb0ELb0ELb0ELb0ELb1ELb1EEEvPT0_PvPT_S6_S6_PKS5_S8_S8_S8_S8_ffiiiiiiiiiiiii,"axG",@progbits,_ZN5aiter35fused_qk_rmsnorm_group_quant_kernelIDF16_DB8_Li256ELi32ELi1ELb0ELb0ELb0ELb0ELb1ELb1EEEvPT0_PvPT_S6_S6_PKS5_S8_S8_S8_S8_ffiiiiiiiiiiiii,comdat
	.protected	_ZN5aiter35fused_qk_rmsnorm_group_quant_kernelIDF16_DB8_Li256ELi32ELi1ELb0ELb0ELb0ELb0ELb1ELb1EEEvPT0_PvPT_S6_S6_PKS5_S8_S8_S8_S8_ffiiiiiiiiiiiii ; -- Begin function _ZN5aiter35fused_qk_rmsnorm_group_quant_kernelIDF16_DB8_Li256ELi32ELi1ELb0ELb0ELb0ELb0ELb1ELb1EEEvPT0_PvPT_S6_S6_PKS5_S8_S8_S8_S8_ffiiiiiiiiiiiii
	.globl	_ZN5aiter35fused_qk_rmsnorm_group_quant_kernelIDF16_DB8_Li256ELi32ELi1ELb0ELb0ELb0ELb0ELb1ELb1EEEvPT0_PvPT_S6_S6_PKS5_S8_S8_S8_S8_ffiiiiiiiiiiiii
	.p2align	8
	.type	_ZN5aiter35fused_qk_rmsnorm_group_quant_kernelIDF16_DB8_Li256ELi32ELi1ELb0ELb0ELb0ELb0ELb1ELb1EEEvPT0_PvPT_S6_S6_PKS5_S8_S8_S8_S8_ffiiiiiiiiiiiii,@function
_ZN5aiter35fused_qk_rmsnorm_group_quant_kernelIDF16_DB8_Li256ELi32ELi1ELb0ELb0ELb0ELb0ELb1ELb1EEEvPT0_PvPT_S6_S6_PKS5_S8_S8_S8_S8_ffiiiiiiiiiiiii: ; @_ZN5aiter35fused_qk_rmsnorm_group_quant_kernelIDF16_DB8_Li256ELi32ELi1ELb0ELb0ELb0ELb0ELb1ELb1EEEvPT0_PvPT_S6_S6_PKS5_S8_S8_S8_S8_ffiiiiiiiiiiiii
; %bb.0:
	s_load_dwordx4 s[12:15], s[4:5], 0x50
	s_waitcnt lgkmcnt(0)
	s_cmp_ge_i32 s6, s14
	s_cbranch_scc1 .LBB95_12
; %bb.1:
	s_load_dwordx2 s[8:9], s[4:5], 0x48
	s_load_dwordx2 s[26:27], s[4:5], 0x30
	s_load_dwordx4 s[16:19], s[4:5], 0x60
	s_cmp_lg_u32 s7, 0
	s_cselect_b64 s[10:11], -1, 0
	s_cmp_eq_u32 s7, 0
	s_cselect_b64 vcc, -1, 0
	s_and_b64 s[0:1], vcc, exec
	s_waitcnt lgkmcnt(0)
	s_cselect_b32 s7, s15, s16
	s_add_i32 s0, s7, 1
	s_lshr_b32 s1, s0, 31
	s_add_i32 s0, s0, s1
	s_lshl_b32 s0, s0, 1
	v_lshlrev_b32_e32 v2, 5, v0
	s_and_b32 s22, s0, -4
	v_lshlrev_b32_e32 v1, 3, v0
	v_and_b32_e32 v2, 0x7800, v2
	s_movk_i32 s0, 0x1f8
	v_and_or_b32 v1, v1, s0, v2
	v_cmp_gt_i32_e64 s[2:3], s7, v1
	v_mov_b32_e32 v34, 0
	v_mov_b32_e32 v14, 0
	v_mov_b32_e32 v15, 0
	v_mov_b32_e32 v16, 0
	v_mov_b32_e32 v17, 0
	v_mov_b32_e32 v10, 0
	v_mov_b32_e32 v11, 0
	v_mov_b32_e32 v12, 0
	v_mov_b32_e32 v13, 0
	v_mov_b32_e32 v6, 0
	v_mov_b32_e32 v7, 0
	v_mov_b32_e32 v8, 0
	v_mov_b32_e32 v9, 0
	v_mov_b32_e32 v2, 0
	v_mov_b32_e32 v3, 0
	v_mov_b32_e32 v4, 0
	v_mov_b32_e32 v5, 0
	v_mov_b32_e32 v30, 0
	v_mov_b32_e32 v31, 0
	v_mov_b32_e32 v32, 0
	v_mov_b32_e32 v33, 0
	v_mov_b32_e32 v22, 0
	v_mov_b32_e32 v23, 0
	v_mov_b32_e32 v24, 0
	v_mov_b32_e32 v25, 0
	v_mov_b32_e32 v26, 0
	v_mov_b32_e32 v27, 0
	v_mov_b32_e32 v28, 0
	v_mov_b32_e32 v29, 0
	v_mov_b32_e32 v18, 0
	v_mov_b32_e32 v19, 0
	v_mov_b32_e32 v20, 0
	v_mov_b32_e32 v21, 0
	s_and_saveexec_b64 s[0:1], s[2:3]
	s_cbranch_execz .LBB95_3
; %bb.2:
	s_load_dwordx2 s[20:21], s[4:5], 0x28
	s_load_dwordx2 s[24:25], s[4:5], 0x40
	s_and_b64 s[28:29], vcc, exec
	s_cselect_b32 s14, s17, s18
	s_mov_b32 s23, 0x20000
	s_waitcnt lgkmcnt(0)
	s_cselect_b32 s17, s21, s27
	s_cselect_b32 s19, s20, s26
	s_mul_hi_i32 s21, s14, s6
	s_mul_i32 s20, s14, s6
	s_lshl_b64 s[20:21], s[20:21], 1
	s_add_u32 s28, s19, s20
	s_addc_u32 s14, s17, s21
	s_and_b64 s[20:21], vcc, exec
	s_cselect_b32 s17, s25, s9
	s_cselect_b32 s20, s24, s8
	s_and_b32 s21, s17, 0xffff
	s_and_b32 s29, s14, 0xffff
	s_mov_b32 s30, s22
	s_mov_b32 s31, s23
	v_lshlrev_b32_e32 v35, 1, v1
	s_movk_i32 s17, 0x800
	s_movk_i32 s14, 0x400
	buffer_load_dwordx4 v[30:33], v35, s[28:31], 0 offen glc slc
	buffer_load_dwordx4 v[22:25], v35, s[28:31], s14 offen glc slc
	s_movk_i32 s19, 0xc00
	buffer_load_dwordx4 v[26:29], v35, s[28:31], s17 offen glc slc
	buffer_load_dwordx4 v[18:21], v35, s[28:31], s19 offen glc slc
	buffer_load_dwordx4 v[14:17], v35, s[20:23], 0 offen
	buffer_load_dwordx4 v[10:13], v35, s[20:23], s14 offen
	;; [unrolled: 1-line block ×4, first 2 shown]
.LBB95_3:
	s_or_b64 exec, exec, s[0:1]
	v_mov_b32_e32 v35, 0
	v_mov_b32_e32 v64, 0
	;; [unrolled: 1-line block ×31, first 2 shown]
	s_and_saveexec_b64 s[0:1], s[2:3]
	s_cbranch_execz .LBB95_5
; %bb.4:
	s_waitcnt vmcnt(7)
	v_cvt_f32_f16_sdwa v35, v30 dst_sel:DWORD dst_unused:UNUSED_PAD src0_sel:WORD_1
	v_cvt_f32_f16_e32 v34, v30
	v_cvt_f32_f16_sdwa v65, v31 dst_sel:DWORD dst_unused:UNUSED_PAD src0_sel:WORD_1
	v_cvt_f32_f16_e32 v64, v31
	v_cvt_f32_f16_sdwa v61, v32 dst_sel:DWORD dst_unused:UNUSED_PAD src0_sel:WORD_1
	v_cvt_f32_f16_e32 v60, v32
	v_cvt_f32_f16_sdwa v57, v33 dst_sel:DWORD dst_unused:UNUSED_PAD src0_sel:WORD_1
	v_cvt_f32_f16_e32 v56, v33
	s_waitcnt vmcnt(6)
	v_cvt_f32_f16_sdwa v63, v22 dst_sel:DWORD dst_unused:UNUSED_PAD src0_sel:WORD_1
	v_cvt_f32_f16_e32 v62, v22
	v_cvt_f32_f16_sdwa v59, v23 dst_sel:DWORD dst_unused:UNUSED_PAD src0_sel:WORD_1
	v_cvt_f32_f16_e32 v58, v23
	v_cvt_f32_f16_sdwa v53, v24 dst_sel:DWORD dst_unused:UNUSED_PAD src0_sel:WORD_1
	v_cvt_f32_f16_e32 v52, v24
	v_cvt_f32_f16_sdwa v49, v25 dst_sel:DWORD dst_unused:UNUSED_PAD src0_sel:WORD_1
	v_cvt_f32_f16_e32 v48, v25
	;; [unrolled: 9-line block ×4, first 2 shown]
.LBB95_5:
	s_or_b64 exec, exec, s[0:1]
	s_waitcnt vmcnt(4)
	v_mul_f32_e32 v18, v35, v35
	v_fmac_f32_e32 v18, v34, v34
	v_fmac_f32_e32 v18, v64, v64
	;; [unrolled: 1-line block ×31, first 2 shown]
	v_and_b32_e32 v20, 63, v0
	v_cmp_eq_u32_e64 s[0:1], 63, v20
	v_mov_b32_dpp v19, v18 quad_perm:[1,0,3,2] row_mask:0xf bank_mask:0xf
	v_add_f32_e32 v18, v18, v19
	s_nop 1
	v_mov_b32_dpp v19, v18 quad_perm:[2,3,0,1] row_mask:0xf bank_mask:0xf
	v_add_f32_e32 v18, v18, v19
	s_nop 1
	v_mov_b32_dpp v19, v18 row_half_mirror row_mask:0xf bank_mask:0xf
	v_add_f32_e32 v18, v18, v19
	s_nop 1
	v_mov_b32_dpp v19, v18 row_mirror row_mask:0xf bank_mask:0xf
	v_add_f32_e32 v18, v18, v19
	s_nop 1
	v_mov_b32_dpp v19, v18 row_bcast:15 row_mask:0xf bank_mask:0xf
	v_add_f32_e32 v18, v18, v19
	s_nop 1
	v_mov_b32_dpp v19, v18 row_bcast:31 row_mask:0xf bank_mask:0xf
	s_and_saveexec_b64 s[20:21], s[0:1]
	s_cbranch_execz .LBB95_7
; %bb.6:
	v_add_f32_e32 v18, v18, v19
	v_lshrrev_b32_e32 v19, 4, v0
	v_and_b32_e32 v19, 60, v19
	ds_write_b32 v19, v18 offset:32
.LBB95_7:
	s_or_b64 exec, exec, s[20:21]
	v_and_b32_e32 v18, 3, v0
	v_lshlrev_b32_e32 v66, 2, v18
	s_waitcnt lgkmcnt(0)
	s_barrier
	ds_read_b32 v18, v66 offset:32
	s_load_dwordx2 s[24:25], s[4:5], 0x18
	s_waitcnt lgkmcnt(0)
	v_mov_b32_dpp v19, v18 quad_perm:[1,0,3,2] row_mask:0xf bank_mask:0xf
	v_add_f32_e32 v18, v18, v19
	s_nop 1
	v_mov_b32_dpp v19, v18 quad_perm:[2,3,0,1] row_mask:0xf bank_mask:0xf
	s_and_saveexec_b64 s[20:21], s[2:3]
	s_cbranch_execz .LBB95_9
; %bb.8:
	v_cvt_f32_u32_e32 v20, s7
	v_add_f32_e32 v18, v18, v19
	v_mov_b32_e32 v22, s13
	v_mov_b32_e32 v23, s12
	v_div_scale_f32 v19, s[28:29], v20, v20, v18
	v_rcp_f32_e32 v21, v19
	v_cndmask_b32_e32 v22, v22, v23, vcc
	s_mov_b32 s7, 0x800000
	v_fma_f32 v23, -v19, v21, 1.0
	v_fmac_f32_e32 v21, v23, v21
	v_div_scale_f32 v23, vcc, v18, v20, v18
	v_mul_f32_e32 v24, v23, v21
	v_fma_f32 v25, -v19, v24, v23
	v_fmac_f32_e32 v24, v25, v21
	v_fma_f32 v19, -v19, v24, v23
	v_div_fmas_f32 v19, v19, v21, v24
	v_div_fixup_f32 v18, v19, v20, v18
	v_add_f32_e32 v18, v22, v18
	v_mul_f32_e32 v19, 0x4b800000, v18
	v_cmp_gt_f32_e32 vcc, s7, v18
	v_cndmask_b32_e32 v18, v18, v19, vcc
	v_rsq_f32_e32 v18, v18
	v_mul_f32_e32 v19, 0x45800000, v18
	v_cndmask_b32_e32 v20, v18, v19, vcc
	v_mov_b32_e32 v21, v20
	;;#ASMSTART
	v_pk_mul_f32 v[22:23], v[34:35], v[20:21]
	;;#ASMEND
	;;#ASMSTART
	v_pk_mul_f32 v[24:25], v[64:65], v[20:21]
	;;#ASMEND
	;; [unrolled: 3-line block ×16, first 2 shown]
	s_waitcnt vmcnt(3)
	v_cvt_f32_f16_sdwa v35, v14 dst_sel:DWORD dst_unused:UNUSED_PAD src0_sel:WORD_1
	v_cvt_f32_f16_e32 v34, v14
	v_cvt_f32_f16_sdwa v37, v15 dst_sel:DWORD dst_unused:UNUSED_PAD src0_sel:WORD_1
	v_cvt_f32_f16_e32 v36, v15
	;; [unrolled: 2-line block ×4, first 2 shown]
	;;#ASMSTART
	v_pk_mul_f32 v[34:35], v[22:23], v[34:35]
	;;#ASMEND
	;;#ASMSTART
	v_pk_mul_f32 v[64:65], v[24:25], v[36:37]
	;;#ASMEND
	;; [unrolled: 3-line block ×3, first 2 shown]
	s_waitcnt vmcnt(2)
	v_cvt_f32_f16_sdwa v15, v10 dst_sel:DWORD dst_unused:UNUSED_PAD src0_sel:WORD_1
	v_cvt_f32_f16_e32 v14, v10
	v_cvt_f32_f16_sdwa v17, v11 dst_sel:DWORD dst_unused:UNUSED_PAD src0_sel:WORD_1
	v_cvt_f32_f16_e32 v16, v11
	;; [unrolled: 2-line block ×3, first 2 shown]
	;;#ASMSTART
	v_pk_mul_f32 v[56:57], v[28:29], v[46:47]
	;;#ASMEND
	v_cvt_f32_f16_sdwa v23, v13 dst_sel:DWORD dst_unused:UNUSED_PAD src0_sel:WORD_1
	v_cvt_f32_f16_e32 v22, v13
	;;#ASMSTART
	v_pk_mul_f32 v[62:63], v[30:31], v[14:15]
	;;#ASMEND
	;;#ASMSTART
	v_pk_mul_f32 v[58:59], v[32:33], v[16:17]
	;;#ASMEND
	;; [unrolled: 3-line block ×3, first 2 shown]
	s_waitcnt vmcnt(1)
	v_cvt_f32_f16_sdwa v11, v6 dst_sel:DWORD dst_unused:UNUSED_PAD src0_sel:WORD_1
	v_cvt_f32_f16_e32 v10, v6
	v_cvt_f32_f16_sdwa v13, v7 dst_sel:DWORD dst_unused:UNUSED_PAD src0_sel:WORD_1
	v_cvt_f32_f16_e32 v12, v7
	;; [unrolled: 2-line block ×3, first 2 shown]
	;;#ASMSTART
	v_pk_mul_f32 v[48:49], v[48:49], v[22:23]
	;;#ASMEND
	v_cvt_f32_f16_sdwa v15, v9 dst_sel:DWORD dst_unused:UNUSED_PAD src0_sel:WORD_1
	v_cvt_f32_f16_e32 v14, v9
	;;#ASMSTART
	v_pk_mul_f32 v[54:55], v[54:55], v[10:11]
	;;#ASMEND
	;;#ASMSTART
	v_pk_mul_f32 v[50:51], v[50:51], v[12:13]
	;;#ASMEND
	;; [unrolled: 3-line block ×4, first 2 shown]
	s_waitcnt vmcnt(0)
	v_cvt_f32_f16_sdwa v7, v2 dst_sel:DWORD dst_unused:UNUSED_PAD src0_sel:WORD_1
	v_cvt_f32_f16_e32 v6, v2
	v_cvt_f32_f16_sdwa v9, v3 dst_sel:DWORD dst_unused:UNUSED_PAD src0_sel:WORD_1
	v_cvt_f32_f16_e32 v8, v3
	;; [unrolled: 2-line block ×4, first 2 shown]
	;;#ASMSTART
	v_pk_mul_f32 v[46:47], v[18:19], v[6:7]
	;;#ASMEND
	;;#ASMSTART
	v_pk_mul_f32 v[42:43], v[42:43], v[8:9]
	;;#ASMEND
	;;#ASMSTART
	v_pk_mul_f32 v[38:39], v[38:39], v[2:3]
	;;#ASMEND
	;;#ASMSTART
	v_pk_mul_f32 v[36:37], v[20:21], v[10:11]
	;;#ASMEND
.LBB95_9:
	s_or_b64 exec, exec, s[20:21]
	s_load_dword s7, s[4:5], 0x80
	s_mov_b64 s[20:21], -1
	s_and_b64 vcc, exec, s[10:11]
	s_cbranch_vccnz .LBB95_13
; %bb.10:
	s_andn2_b64 vcc, exec, s[20:21]
	s_cbranch_vccz .LBB95_16
.LBB95_11:
	s_cmp_lt_i32 s16, 1
	s_cbranch_scc0 .LBB95_25
.LBB95_12:
	s_endpgm
.LBB95_13:
	s_and_saveexec_b64 s[10:11], s[2:3]
	s_cbranch_execz .LBB95_15
; %bb.14:
	s_waitcnt lgkmcnt(0)
	s_mul_hi_i32 s21, s7, s6
	s_mul_i32 s20, s7, s6
	s_waitcnt vmcnt(0)
	v_cvt_f16_f32_e32 v2, v34
	v_cvt_f16_f32_e32 v3, v64
	;; [unrolled: 1-line block ×8, first 2 shown]
	s_lshl_b64 s[20:21], s[20:21], 1
	s_add_u32 s20, s24, s20
	s_addc_u32 s12, s25, s21
	s_and_b32 s21, s12, 0xffff
	s_mov_b32 s23, 0x20000
	v_pack_b32_f16 v5, v5, v6
	v_pack_b32_f16 v4, v4, v7
	;; [unrolled: 1-line block ×4, first 2 shown]
	v_lshlrev_b32_e32 v6, 1, v1
	buffer_store_dwordx4 v[2:5], v6, s[20:23], 0 offen
	v_cvt_f16_f32_e32 v7, v49
	v_cvt_f16_f32_e32 v2, v62
	v_cvt_f16_f32_e32 v3, v58
	v_cvt_f16_f32_e32 v4, v52
	v_cvt_f16_f32_e32 v5, v48
	v_cvt_f16_f32_e32 v8, v53
	v_cvt_f16_f32_e32 v9, v59
	v_cvt_f16_f32_e32 v10, v63
	v_pack_b32_f16 v5, v5, v7
	v_pack_b32_f16 v4, v4, v8
	v_pack_b32_f16 v3, v3, v9
	v_pack_b32_f16 v2, v2, v10
	s_movk_i32 s12, 0x400
	;;#ASMSTART
	s_nop 0
	;;#ASMEND
	buffer_store_dwordx4 v[2:5], v6, s[20:23], s12 offen
	v_cvt_f16_f32_e32 v2, v54
	v_cvt_f16_f32_e32 v3, v50
	v_cvt_f16_f32_e32 v4, v44
	v_cvt_f16_f32_e32 v5, v40
	v_cvt_f16_f32_e32 v7, v41
	v_cvt_f16_f32_e32 v8, v45
	v_cvt_f16_f32_e32 v9, v51
	v_cvt_f16_f32_e32 v10, v55
	v_pack_b32_f16 v5, v5, v7
	v_pack_b32_f16 v4, v4, v8
	v_pack_b32_f16 v3, v3, v9
	v_pack_b32_f16 v2, v2, v10
	s_movk_i32 s12, 0x800
	;;#ASMSTART
	s_nop 0
	;;#ASMEND
	;; [unrolled: 17-line block ×3, first 2 shown]
	buffer_store_dwordx4 v[2:5], v6, s[20:23], s12 offen
	;;#ASMSTART
	s_nop 0
	;;#ASMEND
.LBB95_15:
	s_or_b64 exec, exec, s[10:11]
	s_cbranch_execnz .LBB95_11
.LBB95_16:
	s_waitcnt vmcnt(0)
	v_mov_b32_e32 v2, 0
	s_and_saveexec_b64 s[10:11], s[2:3]
	s_cbranch_execz .LBB95_18
; %bb.17:
	v_and_b32_e32 v2, 0x7fffffff, v34
	v_and_b32_e32 v3, 0x7fffffff, v35
	v_mov_b32_e32 v4, 0x2edbe6ff
	;;#ASMSTART
	v_max3_f32 v2, v4, v2, v3

	;;#ASMEND
	v_and_b32_e32 v3, 0x7fffffff, v64
	v_and_b32_e32 v4, 0x7fffffff, v65
	;;#ASMSTART
	v_max3_f32 v2, v2, v3, v4

	;;#ASMEND
	v_and_b32_e32 v3, 0x7fffffff, v60
	v_and_b32_e32 v4, 0x7fffffff, v61
	;; [unrolled: 6-line block ×15, first 2 shown]
	;;#ASMSTART
	v_max3_f32 v2, v2, v3, v4

	;;#ASMEND
.LBB95_18:
	s_or_b64 exec, exec, s[10:11]
	s_nop 0
	v_mov_b32_dpp v3, v2 quad_perm:[1,0,3,2] row_mask:0xf bank_mask:0xf
	v_cmp_gt_f32_e32 vcc, v2, v3
	v_cndmask_b32_e32 v2, v3, v2, vcc
	s_nop 1
	v_mov_b32_dpp v3, v2 quad_perm:[2,3,0,1] row_mask:0xf bank_mask:0xf
	v_cmp_gt_f32_e32 vcc, v2, v3
	v_cndmask_b32_e32 v2, v3, v2, vcc
	s_nop 1
	v_mov_b32_dpp v3, v2 row_half_mirror row_mask:0xf bank_mask:0xf
	v_cmp_gt_f32_e32 vcc, v2, v3
	v_cndmask_b32_e32 v2, v3, v2, vcc
	s_nop 1
	v_mov_b32_dpp v3, v2 row_mirror row_mask:0xf bank_mask:0xf
	v_cmp_gt_f32_e32 vcc, v2, v3
	v_cndmask_b32_e32 v2, v3, v2, vcc
	s_nop 1
	v_mov_b32_dpp v3, v2 row_bcast:15 row_mask:0xf bank_mask:0xf
	v_cmp_gt_f32_e32 vcc, v2, v3
	v_cndmask_b32_e32 v2, v3, v2, vcc
	s_nop 1
	v_mov_b32_dpp v3, v2 row_bcast:31 row_mask:0xf bank_mask:0xf
	s_and_saveexec_b64 s[10:11], s[0:1]
	s_cbranch_execz .LBB95_20
; %bb.19:
	v_cmp_gt_f32_e32 vcc, v2, v3
	v_cndmask_b32_e32 v2, v3, v2, vcc
	v_lshrrev_b32_e32 v3, 4, v0
	v_and_b32_e32 v3, 60, v3
	ds_write_b32 v3, v2
.LBB95_20:
	s_or_b64 exec, exec, s[10:11]
	s_waitcnt lgkmcnt(0)
	s_barrier
	ds_read_b32 v2, v66
	s_load_dwordx2 s[20:21], s[4:5], 0x70
	s_waitcnt lgkmcnt(0)
	v_mov_b32_dpp v3, v2 quad_perm:[1,0,3,2] row_mask:0xf bank_mask:0xf
	v_cmp_gt_f32_e32 vcc, v2, v3
	v_cndmask_b32_e32 v2, v3, v2, vcc
	s_nop 1
	v_mov_b32_dpp v3, v2 quad_perm:[2,3,0,1] row_mask:0xf bank_mask:0xf
	v_cmp_gt_f32_e32 vcc, v2, v3
	v_cndmask_b32_e32 v2, v3, v2, vcc
	v_mul_f32_e32 v2, 0x3b124925, v2
	v_cmp_eq_u32_e32 vcc, 0, v0
	s_and_saveexec_b64 s[10:11], vcc
	s_cbranch_execz .LBB95_22
; %bb.21:
	s_load_dwordx2 s[22:23], s[4:5], 0x8
	s_mul_hi_i32 s29, s21, s6
	s_mul_i32 s28, s21, s6
	s_lshl_b64 s[28:29], s[28:29], 2
	v_mov_b32_e32 v3, 0
	s_waitcnt lgkmcnt(0)
	s_add_u32 s22, s22, s28
	s_addc_u32 s23, s23, s29
	global_store_dword v3, v2, s[22:23]
.LBB95_22:
	s_or_b64 exec, exec, s[10:11]
	;;#ASMSTART
	v_rcp_f32 v2, v2
	;;#ASMEND
	s_and_saveexec_b64 s[10:11], s[2:3]
	s_cbranch_execz .LBB95_24
; %bb.23:
	s_load_dwordx2 s[22:23], s[4:5], 0x0
	s_mul_i32 s12, s20, s6
	s_mul_hi_i32 s3, s20, s6
	v_mov_b32_e32 v3, v2
	;;#ASMSTART
	v_pk_mul_f32 v[4:5], v[34:35], v[2:3]
	;;#ASMEND
	s_waitcnt lgkmcnt(0)
	s_add_u32 s20, s22, s12
	s_addc_u32 s3, s23, s3
	s_add_i32 s12, s15, 3
	s_ashr_i32 s14, s12, 31
	v_mov_b32_e32 v8, 0xc3e00000
	v_mov_b32_e32 v9, 0x43e00000
	;;#ASMSTART
	v_med3_f32 v4, v4, v8, v9
v_med3_f32 v5, v5, v8, v9
v_cvt_pk_fp8_f32 v6, v4, v5
	;;#ASMEND
	s_lshr_b32 s14, s14, 30
	;;#ASMSTART
	v_pk_mul_f32 v[4:5], v[64:65], v[2:3]
	;;#ASMEND
	s_add_i32 s12, s12, s14
	s_and_b32 s21, s3, 0xffff
	;;#ASMSTART
	v_med3_f32 v4, v4, v8, v9
v_med3_f32 v5, v5, v8, v9
v_cvt_pk_fp8_f32 v7, v4, v5
	;;#ASMEND
	s_mov_b32 s3, 0x5040100
	s_and_b32 s22, s12, -4
	v_perm_b32 v5, v7, v6, s3
	s_movk_i32 s12, 0xff
	v_and_b32_e32 v4, 0xffffff00, v7
	v_and_b32_sdwa v6, v5, s12 dst_sel:DWORD dst_unused:UNUSED_PAD src0_sel:WORD_1 src1_sel:DWORD
	s_mov_b32 s2, 0xffff
	v_or_b32_sdwa v4, v6, v4 dst_sel:WORD_1 dst_unused:UNUSED_PAD src0_sel:DWORD src1_sel:DWORD
	v_and_or_b32 v4, v5, s2, v4
	;;#ASMSTART
	v_pk_mul_f32 v[6:7], v[60:61], v[2:3]
	;;#ASMEND
	v_mov_b32_e32 v5, v7
	;;#ASMSTART
	v_med3_f32 v6, v6, v8, v9
v_med3_f32 v5, v5, v8, v9
v_cvt_pk_fp8_f32 v10, v6, v5
	;;#ASMEND
	;;#ASMSTART
	v_pk_mul_f32 v[6:7], v[56:57], v[2:3]
	;;#ASMEND
	v_mov_b32_e32 v5, v7
	;;#ASMSTART
	v_med3_f32 v6, v6, v8, v9
v_med3_f32 v5, v5, v8, v9
v_cvt_pk_fp8_f32 v7, v6, v5
	;;#ASMEND
	v_lshlrev_b32_e32 v5, 16, v7
	s_mov_b32 s23, 0x20000
	v_and_or_b32 v5, v10, s2, v5
	buffer_store_dwordx2 v[4:5], v1, s[20:23], 0 offen
	;;#ASMSTART
	s_nop 0
	;;#ASMEND
	;;#ASMSTART
	v_pk_mul_f32 v[4:5], v[62:63], v[2:3]
	;;#ASMEND
	;;#ASMSTART
	v_med3_f32 v4, v4, v8, v9
v_med3_f32 v5, v5, v8, v9
v_cvt_pk_fp8_f32 v6, v4, v5
	;;#ASMEND
	;;#ASMSTART
	v_pk_mul_f32 v[4:5], v[58:59], v[2:3]
	;;#ASMEND
	;;#ASMSTART
	v_med3_f32 v4, v4, v8, v9
v_med3_f32 v5, v5, v8, v9
v_cvt_pk_fp8_f32 v7, v4, v5
	;;#ASMEND
	v_perm_b32 v5, v7, v6, s3
	v_and_b32_e32 v4, 0xffffff00, v7
	v_and_b32_sdwa v6, v5, s12 dst_sel:DWORD dst_unused:UNUSED_PAD src0_sel:WORD_1 src1_sel:DWORD
	v_or_b32_sdwa v4, v6, v4 dst_sel:WORD_1 dst_unused:UNUSED_PAD src0_sel:DWORD src1_sel:DWORD
	v_and_or_b32 v4, v5, s2, v4
	;;#ASMSTART
	v_pk_mul_f32 v[6:7], v[52:53], v[2:3]
	;;#ASMEND
	v_mov_b32_e32 v5, v7
	;;#ASMSTART
	v_med3_f32 v6, v6, v8, v9
v_med3_f32 v5, v5, v8, v9
v_cvt_pk_fp8_f32 v10, v6, v5
	;;#ASMEND
	;;#ASMSTART
	v_pk_mul_f32 v[6:7], v[48:49], v[2:3]
	;;#ASMEND
	v_mov_b32_e32 v5, v7
	;;#ASMSTART
	v_med3_f32 v6, v6, v8, v9
v_med3_f32 v5, v5, v8, v9
v_cvt_pk_fp8_f32 v7, v6, v5
	;;#ASMEND
	v_lshlrev_b32_e32 v5, 16, v7
	v_and_or_b32 v5, v10, s2, v5
	s_movk_i32 s14, 0x200
	buffer_store_dwordx2 v[4:5], v1, s[20:23], s14 offen
	;;#ASMSTART
	s_nop 0
	;;#ASMEND
	;;#ASMSTART
	v_pk_mul_f32 v[4:5], v[54:55], v[2:3]
	;;#ASMEND
	;;#ASMSTART
	v_med3_f32 v4, v4, v8, v9
v_med3_f32 v5, v5, v8, v9
v_cvt_pk_fp8_f32 v6, v4, v5
	;;#ASMEND
	;;#ASMSTART
	v_pk_mul_f32 v[4:5], v[50:51], v[2:3]
	;;#ASMEND
	;;#ASMSTART
	v_med3_f32 v4, v4, v8, v9
v_med3_f32 v5, v5, v8, v9
v_cvt_pk_fp8_f32 v7, v4, v5
	;;#ASMEND
	v_perm_b32 v5, v7, v6, s3
	v_and_b32_e32 v4, 0xffffff00, v7
	v_and_b32_sdwa v6, v5, s12 dst_sel:DWORD dst_unused:UNUSED_PAD src0_sel:WORD_1 src1_sel:DWORD
	v_or_b32_sdwa v4, v6, v4 dst_sel:WORD_1 dst_unused:UNUSED_PAD src0_sel:DWORD src1_sel:DWORD
	v_and_or_b32 v4, v5, s2, v4
	;;#ASMSTART
	v_pk_mul_f32 v[6:7], v[44:45], v[2:3]
	;;#ASMEND
	v_mov_b32_e32 v5, v7
	;;#ASMSTART
	v_med3_f32 v6, v6, v8, v9
v_med3_f32 v5, v5, v8, v9
v_cvt_pk_fp8_f32 v10, v6, v5
	;;#ASMEND
	;;#ASMSTART
	v_pk_mul_f32 v[6:7], v[40:41], v[2:3]
	;;#ASMEND
	v_mov_b32_e32 v5, v7
	;;#ASMSTART
	v_med3_f32 v6, v6, v8, v9
v_med3_f32 v5, v5, v8, v9
v_cvt_pk_fp8_f32 v7, v6, v5
	;;#ASMEND
	v_lshlrev_b32_e32 v5, 16, v7
	v_and_or_b32 v5, v10, s2, v5
	s_movk_i32 s14, 0x400
	buffer_store_dwordx2 v[4:5], v1, s[20:23], s14 offen
	;;#ASMSTART
	s_nop 0
	;;#ASMEND
	;;#ASMSTART
	v_pk_mul_f32 v[4:5], v[46:47], v[2:3]
	;;#ASMEND
	;;#ASMSTART
	v_med3_f32 v4, v4, v8, v9
v_med3_f32 v5, v5, v8, v9
v_cvt_pk_fp8_f32 v6, v4, v5
	;;#ASMEND
	;;#ASMSTART
	v_pk_mul_f32 v[4:5], v[42:43], v[2:3]
	;;#ASMEND
	;;#ASMSTART
	v_med3_f32 v4, v4, v8, v9
v_med3_f32 v5, v5, v8, v9
v_cvt_pk_fp8_f32 v7, v4, v5
	;;#ASMEND
	v_perm_b32 v5, v7, v6, s3
	v_and_b32_e32 v4, 0xffffff00, v7
	v_and_b32_sdwa v6, v5, s12 dst_sel:DWORD dst_unused:UNUSED_PAD src0_sel:WORD_1 src1_sel:DWORD
	v_or_b32_sdwa v4, v6, v4 dst_sel:WORD_1 dst_unused:UNUSED_PAD src0_sel:DWORD src1_sel:DWORD
	v_and_or_b32 v4, v5, s2, v4
	;;#ASMSTART
	v_pk_mul_f32 v[6:7], v[38:39], v[2:3]
	;;#ASMEND
	v_mov_b32_e32 v5, v7
	;;#ASMSTART
	v_med3_f32 v6, v6, v8, v9
v_med3_f32 v5, v5, v8, v9
v_cvt_pk_fp8_f32 v7, v6, v5
	;;#ASMEND
	;;#ASMSTART
	v_pk_mul_f32 v[2:3], v[36:37], v[2:3]
	;;#ASMEND
	;;#ASMSTART
	v_med3_f32 v2, v2, v8, v9
v_med3_f32 v3, v3, v8, v9
v_cvt_pk_fp8_f32 v5, v2, v3
	;;#ASMEND
	v_lshlrev_b32_e32 v2, 16, v5
	v_and_or_b32 v5, v7, s2, v2
	s_movk_i32 s2, 0x600
	buffer_store_dwordx2 v[4:5], v1, s[20:23], s2 offen
	;;#ASMSTART
	s_nop 0
	;;#ASMEND
.LBB95_24:
	s_or_b64 exec, exec, s[10:11]
	s_cmp_lt_i32 s16, 1
	s_cbranch_scc1 .LBB95_12
.LBB95_25:
	s_load_dword s2, s[4:5], 0x94
	s_waitcnt lgkmcnt(0)
	s_cmp_lg_u32 s2, 1
	s_cbranch_scc1 .LBB95_12
; %bb.26:
	s_lshl_b32 s2, s16, 1
	s_add_i32 s2, s2, 2
	v_cmp_gt_u32_e32 vcc, s16, v1
	s_and_b32 s10, s2, -4
	v_mov_b32_e32 v34, 0
	v_lshlrev_b32_e32 v67, 1, v1
	v_mov_b32_e32 v30, 0
	v_mov_b32_e32 v31, 0
	;; [unrolled: 1-line block ×16, first 2 shown]
	s_waitcnt vmcnt(3)
	v_mov_b32_e32 v14, 0
	v_mov_b32_e32 v15, 0
	v_mov_b32_e32 v16, 0
	v_mov_b32_e32 v17, 0
	s_waitcnt vmcnt(2)
	v_mov_b32_e32 v10, 0
	v_mov_b32_e32 v11, 0
	v_mov_b32_e32 v12, 0
	v_mov_b32_e32 v13, 0
	;; [unrolled: 5-line block ×4, first 2 shown]
	s_barrier
	s_and_saveexec_b64 s[2:3], vcc
	s_cbranch_execz .LBB95_28
; %bb.27:
	s_mul_hi_i32 s5, s18, s6
	s_mul_i32 s4, s18, s6
	s_and_b32 s9, s9, 0xffff
	s_lshl_b64 s[4:5], s[4:5], 1
	s_add_u32 s20, s26, s4
	s_mov_b32 s11, 0x20000
	s_addc_u32 s4, s27, s5
	s_and_b32 s21, s4, 0xffff
	s_mov_b32 s22, s10
	s_mov_b32 s23, s11
	s_movk_i32 s5, 0x800
	s_movk_i32 s4, 0x400
	buffer_load_dwordx4 v[30:33], v67, s[20:23], 0 offen glc slc
	buffer_load_dwordx4 v[22:25], v67, s[20:23], s4 offen glc slc
	s_movk_i32 s12, 0xc00
	buffer_load_dwordx4 v[26:29], v67, s[20:23], s5 offen glc slc
	buffer_load_dwordx4 v[18:21], v67, s[20:23], s12 offen glc slc
	buffer_load_dwordx4 v[14:17], v67, s[8:11], 0 offen
	buffer_load_dwordx4 v[10:13], v67, s[8:11], s4 offen
	;; [unrolled: 1-line block ×4, first 2 shown]
.LBB95_28:
	s_or_b64 exec, exec, s[2:3]
	v_mov_b32_e32 v35, 0
	v_mov_b32_e32 v64, 0
	;; [unrolled: 1-line block ×31, first 2 shown]
	s_and_saveexec_b64 s[2:3], vcc
	s_cbranch_execz .LBB95_30
; %bb.29:
	s_waitcnt vmcnt(7)
	v_cvt_f32_f16_sdwa v35, v30 dst_sel:DWORD dst_unused:UNUSED_PAD src0_sel:WORD_1
	v_cvt_f32_f16_e32 v34, v30
	v_cvt_f32_f16_sdwa v65, v31 dst_sel:DWORD dst_unused:UNUSED_PAD src0_sel:WORD_1
	v_cvt_f32_f16_e32 v64, v31
	v_cvt_f32_f16_sdwa v63, v32 dst_sel:DWORD dst_unused:UNUSED_PAD src0_sel:WORD_1
	v_cvt_f32_f16_e32 v62, v32
	v_cvt_f32_f16_sdwa v61, v33 dst_sel:DWORD dst_unused:UNUSED_PAD src0_sel:WORD_1
	v_cvt_f32_f16_e32 v60, v33
	s_waitcnt vmcnt(6)
	v_cvt_f32_f16_sdwa v59, v22 dst_sel:DWORD dst_unused:UNUSED_PAD src0_sel:WORD_1
	v_cvt_f32_f16_e32 v58, v22
	v_cvt_f32_f16_sdwa v57, v23 dst_sel:DWORD dst_unused:UNUSED_PAD src0_sel:WORD_1
	v_cvt_f32_f16_e32 v56, v23
	v_cvt_f32_f16_sdwa v55, v24 dst_sel:DWORD dst_unused:UNUSED_PAD src0_sel:WORD_1
	v_cvt_f32_f16_e32 v54, v24
	v_cvt_f32_f16_sdwa v53, v25 dst_sel:DWORD dst_unused:UNUSED_PAD src0_sel:WORD_1
	v_cvt_f32_f16_e32 v52, v25
	;; [unrolled: 9-line block ×4, first 2 shown]
.LBB95_30:
	s_or_b64 exec, exec, s[2:3]
	v_mul_f32_e32 v1, v35, v35
	v_fmac_f32_e32 v1, v34, v34
	v_fmac_f32_e32 v1, v64, v64
	;; [unrolled: 1-line block ×31, first 2 shown]
	s_waitcnt vmcnt(4)
	s_nop 0
	v_mov_b32_dpp v18, v1 quad_perm:[1,0,3,2] row_mask:0xf bank_mask:0xf
	v_add_f32_e32 v1, v1, v18
	s_nop 1
	v_mov_b32_dpp v18, v1 quad_perm:[2,3,0,1] row_mask:0xf bank_mask:0xf
	v_add_f32_e32 v1, v1, v18
	s_nop 1
	v_mov_b32_dpp v18, v1 row_half_mirror row_mask:0xf bank_mask:0xf
	v_add_f32_e32 v1, v1, v18
	s_nop 1
	v_mov_b32_dpp v18, v1 row_mirror row_mask:0xf bank_mask:0xf
	v_add_f32_e32 v1, v1, v18
	s_nop 1
	v_mov_b32_dpp v18, v1 row_bcast:15 row_mask:0xf bank_mask:0xf
	v_add_f32_e32 v1, v1, v18
	s_nop 1
	v_mov_b32_dpp v18, v1 row_bcast:31 row_mask:0xf bank_mask:0xf
	s_and_saveexec_b64 s[2:3], s[0:1]
	s_cbranch_execz .LBB95_32
; %bb.31:
	v_lshrrev_b32_e32 v0, 4, v0
	v_add_f32_e32 v1, v1, v18
	v_and_b32_e32 v0, 60, v0
	ds_write_b32 v0, v1 offset:16
.LBB95_32:
	s_or_b64 exec, exec, s[2:3]
	s_waitcnt lgkmcnt(0)
	s_barrier
	ds_read_b32 v0, v66 offset:16
	s_waitcnt lgkmcnt(0)
	s_nop 0
	v_mov_b32_dpp v1, v0 quad_perm:[1,0,3,2] row_mask:0xf bank_mask:0xf
	v_add_f32_e32 v0, v0, v1
	s_nop 1
	v_mov_b32_dpp v1, v0 quad_perm:[2,3,0,1] row_mask:0xf bank_mask:0xf
	s_and_saveexec_b64 s[0:1], vcc
	s_cbranch_execz .LBB95_12
; %bb.33:
	v_cvt_f32_u32_e32 v18, s16
	v_add_f32_e32 v0, v0, v1
	s_mov_b32 s11, 0x20000
	v_div_scale_f32 v1, s[0:1], v18, v18, v0
	v_rcp_f32_e32 v19, v1
	v_div_scale_f32 v20, vcc, v0, v18, v0
	s_mov_b32 s0, 0x800000
	v_fma_f32 v21, -v1, v19, 1.0
	v_fmac_f32_e32 v19, v21, v19
	v_mul_f32_e32 v21, v20, v19
	v_fma_f32 v22, -v1, v21, v20
	v_fmac_f32_e32 v21, v22, v19
	v_fma_f32 v1, -v1, v21, v20
	v_div_fmas_f32 v1, v1, v19, v21
	v_div_fixup_f32 v0, v1, v18, v0
	v_add_f32_e32 v0, s13, v0
	v_mul_f32_e32 v1, 0x4b800000, v0
	v_cmp_gt_f32_e32 vcc, s0, v0
	v_cndmask_b32_e32 v0, v0, v1, vcc
	v_rsq_f32_e32 v0, v0
	s_mul_hi_i32 s1, s7, s6
	s_mul_i32 s0, s7, s6
	s_lshl_b64 s[0:1], s[0:1], 1
	v_mul_f32_e32 v1, 0x45800000, v0
	v_cndmask_b32_e32 v18, v0, v1, vcc
	v_mov_b32_e32 v19, v18
	;;#ASMSTART
	v_pk_mul_f32 v[20:21], v[34:35], v[18:19]
	;;#ASMEND
	;;#ASMSTART
	v_pk_mul_f32 v[22:23], v[64:65], v[18:19]
	;;#ASMEND
	;; [unrolled: 3-line block ×16, first 2 shown]
	s_waitcnt vmcnt(3)
	v_cvt_f32_f16_sdwa v37, v14 dst_sel:DWORD dst_unused:UNUSED_PAD src0_sel:WORD_1
	v_cvt_f32_f16_e32 v36, v14
	v_cvt_f32_f16_sdwa v43, v15 dst_sel:DWORD dst_unused:UNUSED_PAD src0_sel:WORD_1
	v_cvt_f32_f16_e32 v42, v15
	;; [unrolled: 2-line block ×4, first 2 shown]
	;;#ASMSTART
	v_pk_mul_f32 v[16:17], v[20:21], v[36:37]
	;;#ASMEND
	;;#ASMSTART
	v_pk_mul_f32 v[20:21], v[22:23], v[42:43]
	;;#ASMEND
	;; [unrolled: 3-line block ×4, first 2 shown]
	s_waitcnt vmcnt(2)
	v_cvt_f32_f16_sdwa v25, v10 dst_sel:DWORD dst_unused:UNUSED_PAD src0_sel:WORD_1
	v_cvt_f32_f16_e32 v24, v10
	v_cvt_f32_f16_sdwa v27, v11 dst_sel:DWORD dst_unused:UNUSED_PAD src0_sel:WORD_1
	v_cvt_f32_f16_e32 v26, v11
	;; [unrolled: 2-line block ×4, first 2 shown]
	;;#ASMSTART
	v_pk_mul_f32 v[12:13], v[28:29], v[24:25]
	;;#ASMEND
	;;#ASMSTART
	v_pk_mul_f32 v[24:25], v[30:31], v[26:27]
	;;#ASMEND
	;; [unrolled: 3-line block ×3, first 2 shown]
	s_waitcnt vmcnt(1)
	v_cvt_f32_f16_sdwa v29, v6 dst_sel:DWORD dst_unused:UNUSED_PAD src0_sel:WORD_1
	v_cvt_f32_f16_e32 v28, v6
	v_cvt_f32_f16_sdwa v31, v7 dst_sel:DWORD dst_unused:UNUSED_PAD src0_sel:WORD_1
	v_cvt_f32_f16_e32 v30, v7
	;; [unrolled: 2-line block ×4, first 2 shown]
	;;#ASMSTART
	v_pk_mul_f32 v[26:27], v[34:35], v[36:37]
	;;#ASMEND
	;;#ASMSTART
	v_pk_mul_f32 v[8:9], v[50:51], v[28:29]
	;;#ASMEND
	;; [unrolled: 3-line block ×5, first 2 shown]
	s_waitcnt vmcnt(0)
	v_cvt_f32_f16_sdwa v33, v2 dst_sel:DWORD dst_unused:UNUSED_PAD src0_sel:WORD_1
	v_cvt_f32_f16_e32 v32, v2
	v_cvt_f32_f16_sdwa v35, v3 dst_sel:DWORD dst_unused:UNUSED_PAD src0_sel:WORD_1
	v_cvt_f32_f16_e32 v34, v3
	v_cvt_f32_f16_sdwa v3, v4 dst_sel:DWORD dst_unused:UNUSED_PAD src0_sel:WORD_1
	v_cvt_f32_f16_e32 v2, v4
	v_cvt_f32_f16_sdwa v37, v5 dst_sel:DWORD dst_unused:UNUSED_PAD src0_sel:WORD_1
	v_cvt_f32_f16_e32 v36, v5
	;;#ASMSTART
	v_pk_mul_f32 v[4:5], v[0:1], v[32:33]
	;;#ASMEND
	;;#ASMSTART
	v_pk_mul_f32 v[32:33], v[40:41], v[34:35]
	;;#ASMEND
	;;#ASMSTART
	v_pk_mul_f32 v[34:35], v[38:39], v[2:3]
	;;#ASMEND
	v_cvt_f16_f32_e32 v0, v16
	v_cvt_f16_f32_e32 v1, v17
	;; [unrolled: 1-line block ×8, first 2 shown]
	s_add_u32 s8, s24, s0
	s_addc_u32 s0, s25, s1
	s_and_b32 s9, s0, 0xffff
	v_pack_b32_f16 v0, v0, v1
	v_pack_b32_f16 v1, v2, v3
	;; [unrolled: 1-line block ×4, first 2 shown]
	;;#ASMSTART
	v_pk_mul_f32 v[18:19], v[18:19], v[36:37]
	;;#ASMEND
	buffer_store_dwordx4 v[0:3], v67, s[8:11], 0 offen
	v_cvt_f16_f32_e32 v10, v10
	v_cvt_f16_f32_e32 v0, v12
	v_cvt_f16_f32_e32 v1, v13
	v_cvt_f16_f32_e32 v2, v24
	v_cvt_f16_f32_e32 v3, v25
	v_cvt_f16_f32_e32 v11, v11
	v_cvt_f16_f32_e32 v12, v26
	v_cvt_f16_f32_e32 v13, v27
	v_pack_b32_f16 v0, v0, v1
	v_pack_b32_f16 v1, v2, v3
	v_pack_b32_f16 v2, v10, v11
	v_pack_b32_f16 v3, v12, v13
	s_movk_i32 s0, 0x400
	;;#ASMSTART
	s_nop 0
	;;#ASMEND
	buffer_store_dwordx4 v[0:3], v67, s[8:11], s0 offen
	v_cvt_f16_f32_e32 v0, v8
	v_cvt_f16_f32_e32 v1, v9
	v_cvt_f16_f32_e32 v2, v28
	v_cvt_f16_f32_e32 v3, v29
	v_cvt_f16_f32_e32 v6, v6
	v_cvt_f16_f32_e32 v7, v7
	v_cvt_f16_f32_e32 v8, v30
	v_cvt_f16_f32_e32 v9, v31
	v_pack_b32_f16 v0, v0, v1
	v_pack_b32_f16 v1, v2, v3
	v_pack_b32_f16 v2, v6, v7
	v_pack_b32_f16 v3, v8, v9
	s_movk_i32 s0, 0x800
	;;#ASMSTART
	s_nop 0
	;; [unrolled: 17-line block ×3, first 2 shown]
	;;#ASMEND
	buffer_store_dwordx4 v[0:3], v67, s[8:11], s0 offen
	;;#ASMSTART
	s_nop 0
	;;#ASMEND
	s_endpgm
	.section	.rodata,"a",@progbits
	.p2align	6, 0x0
	.amdhsa_kernel _ZN5aiter35fused_qk_rmsnorm_group_quant_kernelIDF16_DB8_Li256ELi32ELi1ELb0ELb0ELb0ELb0ELb1ELb1EEEvPT0_PvPT_S6_S6_PKS5_S8_S8_S8_S8_ffiiiiiiiiiiiii
		.amdhsa_group_segment_fixed_size 48
		.amdhsa_private_segment_fixed_size 0
		.amdhsa_kernarg_size 400
		.amdhsa_user_sgpr_count 6
		.amdhsa_user_sgpr_private_segment_buffer 1
		.amdhsa_user_sgpr_dispatch_ptr 0
		.amdhsa_user_sgpr_queue_ptr 0
		.amdhsa_user_sgpr_kernarg_segment_ptr 1
		.amdhsa_user_sgpr_dispatch_id 0
		.amdhsa_user_sgpr_flat_scratch_init 0
		.amdhsa_user_sgpr_kernarg_preload_length 0
		.amdhsa_user_sgpr_kernarg_preload_offset 0
		.amdhsa_user_sgpr_private_segment_size 0
		.amdhsa_uses_dynamic_stack 0
		.amdhsa_system_sgpr_private_segment_wavefront_offset 0
		.amdhsa_system_sgpr_workgroup_id_x 1
		.amdhsa_system_sgpr_workgroup_id_y 1
		.amdhsa_system_sgpr_workgroup_id_z 0
		.amdhsa_system_sgpr_workgroup_info 0
		.amdhsa_system_vgpr_workitem_id 0
		.amdhsa_next_free_vgpr 68
		.amdhsa_next_free_sgpr 32
		.amdhsa_accum_offset 68
		.amdhsa_reserve_vcc 1
		.amdhsa_reserve_flat_scratch 0
		.amdhsa_float_round_mode_32 0
		.amdhsa_float_round_mode_16_64 0
		.amdhsa_float_denorm_mode_32 3
		.amdhsa_float_denorm_mode_16_64 3
		.amdhsa_dx10_clamp 1
		.amdhsa_ieee_mode 1
		.amdhsa_fp16_overflow 0
		.amdhsa_tg_split 0
		.amdhsa_exception_fp_ieee_invalid_op 0
		.amdhsa_exception_fp_denorm_src 0
		.amdhsa_exception_fp_ieee_div_zero 0
		.amdhsa_exception_fp_ieee_overflow 0
		.amdhsa_exception_fp_ieee_underflow 0
		.amdhsa_exception_fp_ieee_inexact 0
		.amdhsa_exception_int_div_zero 0
	.end_amdhsa_kernel
	.section	.text._ZN5aiter35fused_qk_rmsnorm_group_quant_kernelIDF16_DB8_Li256ELi32ELi1ELb0ELb0ELb0ELb0ELb1ELb1EEEvPT0_PvPT_S6_S6_PKS5_S8_S8_S8_S8_ffiiiiiiiiiiiii,"axG",@progbits,_ZN5aiter35fused_qk_rmsnorm_group_quant_kernelIDF16_DB8_Li256ELi32ELi1ELb0ELb0ELb0ELb0ELb1ELb1EEEvPT0_PvPT_S6_S6_PKS5_S8_S8_S8_S8_ffiiiiiiiiiiiii,comdat
.Lfunc_end95:
	.size	_ZN5aiter35fused_qk_rmsnorm_group_quant_kernelIDF16_DB8_Li256ELi32ELi1ELb0ELb0ELb0ELb0ELb1ELb1EEEvPT0_PvPT_S6_S6_PKS5_S8_S8_S8_S8_ffiiiiiiiiiiiii, .Lfunc_end95-_ZN5aiter35fused_qk_rmsnorm_group_quant_kernelIDF16_DB8_Li256ELi32ELi1ELb0ELb0ELb0ELb0ELb1ELb1EEEvPT0_PvPT_S6_S6_PKS5_S8_S8_S8_S8_ffiiiiiiiiiiiii
                                        ; -- End function
	.section	.AMDGPU.csdata,"",@progbits
; Kernel info:
; codeLenInByte = 5772
; NumSgprs: 36
; NumVgprs: 68
; NumAgprs: 0
; TotalNumVgprs: 68
; ScratchSize: 0
; MemoryBound: 0
; FloatMode: 240
; IeeeMode: 1
; LDSByteSize: 48 bytes/workgroup (compile time only)
; SGPRBlocks: 4
; VGPRBlocks: 8
; NumSGPRsForWavesPerEU: 36
; NumVGPRsForWavesPerEU: 68
; AccumOffset: 68
; Occupancy: 7
; WaveLimiterHint : 0
; COMPUTE_PGM_RSRC2:SCRATCH_EN: 0
; COMPUTE_PGM_RSRC2:USER_SGPR: 6
; COMPUTE_PGM_RSRC2:TRAP_HANDLER: 0
; COMPUTE_PGM_RSRC2:TGID_X_EN: 1
; COMPUTE_PGM_RSRC2:TGID_Y_EN: 1
; COMPUTE_PGM_RSRC2:TGID_Z_EN: 0
; COMPUTE_PGM_RSRC2:TIDIG_COMP_CNT: 0
; COMPUTE_PGM_RSRC3_GFX90A:ACCUM_OFFSET: 16
; COMPUTE_PGM_RSRC3_GFX90A:TG_SPLIT: 0
	.section	.text._ZN5aiter35fused_qk_rmsnorm_group_quant_kernelItDB8_Li256ELi32ELi1ELb0ELb0ELb0ELb0ELb1ELb1EEEvPT0_PvPT_S6_S6_PKS5_S8_S8_S8_S8_ffiiiiiiiiiiiii,"axG",@progbits,_ZN5aiter35fused_qk_rmsnorm_group_quant_kernelItDB8_Li256ELi32ELi1ELb0ELb0ELb0ELb0ELb1ELb1EEEvPT0_PvPT_S6_S6_PKS5_S8_S8_S8_S8_ffiiiiiiiiiiiii,comdat
	.protected	_ZN5aiter35fused_qk_rmsnorm_group_quant_kernelItDB8_Li256ELi32ELi1ELb0ELb0ELb0ELb0ELb1ELb1EEEvPT0_PvPT_S6_S6_PKS5_S8_S8_S8_S8_ffiiiiiiiiiiiii ; -- Begin function _ZN5aiter35fused_qk_rmsnorm_group_quant_kernelItDB8_Li256ELi32ELi1ELb0ELb0ELb0ELb0ELb1ELb1EEEvPT0_PvPT_S6_S6_PKS5_S8_S8_S8_S8_ffiiiiiiiiiiiii
	.globl	_ZN5aiter35fused_qk_rmsnorm_group_quant_kernelItDB8_Li256ELi32ELi1ELb0ELb0ELb0ELb0ELb1ELb1EEEvPT0_PvPT_S6_S6_PKS5_S8_S8_S8_S8_ffiiiiiiiiiiiii
	.p2align	8
	.type	_ZN5aiter35fused_qk_rmsnorm_group_quant_kernelItDB8_Li256ELi32ELi1ELb0ELb0ELb0ELb0ELb1ELb1EEEvPT0_PvPT_S6_S6_PKS5_S8_S8_S8_S8_ffiiiiiiiiiiiii,@function
_ZN5aiter35fused_qk_rmsnorm_group_quant_kernelItDB8_Li256ELi32ELi1ELb0ELb0ELb0ELb0ELb1ELb1EEEvPT0_PvPT_S6_S6_PKS5_S8_S8_S8_S8_ffiiiiiiiiiiiii: ; @_ZN5aiter35fused_qk_rmsnorm_group_quant_kernelItDB8_Li256ELi32ELi1ELb0ELb0ELb0ELb0ELb1ELb1EEEvPT0_PvPT_S6_S6_PKS5_S8_S8_S8_S8_ffiiiiiiiiiiiii
; %bb.0:
	s_load_dwordx4 s[12:15], s[4:5], 0x50
	s_waitcnt lgkmcnt(0)
	s_cmp_ge_i32 s6, s14
	s_cbranch_scc1 .LBB96_12
; %bb.1:
	s_load_dwordx2 s[8:9], s[4:5], 0x48
	s_load_dwordx2 s[26:27], s[4:5], 0x30
	s_load_dwordx4 s[16:19], s[4:5], 0x60
	s_cmp_lg_u32 s7, 0
	s_cselect_b64 s[10:11], -1, 0
	s_cmp_eq_u32 s7, 0
	s_cselect_b64 vcc, -1, 0
	s_and_b64 s[0:1], vcc, exec
	s_waitcnt lgkmcnt(0)
	s_cselect_b32 s7, s15, s16
	s_add_i32 s0, s7, 1
	s_lshr_b32 s1, s0, 31
	s_add_i32 s0, s0, s1
	s_lshl_b32 s0, s0, 1
	v_lshlrev_b32_e32 v2, 5, v0
	s_and_b32 s22, s0, -4
	v_lshlrev_b32_e32 v1, 3, v0
	v_and_b32_e32 v2, 0x7800, v2
	s_movk_i32 s0, 0x1f8
	v_and_or_b32 v1, v1, s0, v2
	v_cmp_gt_i32_e64 s[2:3], s7, v1
	v_mov_b32_e32 v34, 0
	v_mov_b32_e32 v14, 0
	v_mov_b32_e32 v15, 0
	v_mov_b32_e32 v16, 0
	v_mov_b32_e32 v17, 0
	v_mov_b32_e32 v10, 0
	v_mov_b32_e32 v11, 0
	v_mov_b32_e32 v12, 0
	v_mov_b32_e32 v13, 0
	v_mov_b32_e32 v6, 0
	v_mov_b32_e32 v7, 0
	v_mov_b32_e32 v8, 0
	v_mov_b32_e32 v9, 0
	v_mov_b32_e32 v2, 0
	v_mov_b32_e32 v3, 0
	v_mov_b32_e32 v4, 0
	v_mov_b32_e32 v5, 0
	v_mov_b32_e32 v30, 0
	v_mov_b32_e32 v31, 0
	v_mov_b32_e32 v32, 0
	v_mov_b32_e32 v33, 0
	v_mov_b32_e32 v22, 0
	v_mov_b32_e32 v23, 0
	v_mov_b32_e32 v24, 0
	v_mov_b32_e32 v25, 0
	v_mov_b32_e32 v26, 0
	v_mov_b32_e32 v27, 0
	v_mov_b32_e32 v28, 0
	v_mov_b32_e32 v29, 0
	v_mov_b32_e32 v18, 0
	v_mov_b32_e32 v19, 0
	v_mov_b32_e32 v20, 0
	v_mov_b32_e32 v21, 0
	s_and_saveexec_b64 s[0:1], s[2:3]
	s_cbranch_execz .LBB96_3
; %bb.2:
	s_load_dwordx2 s[20:21], s[4:5], 0x28
	s_load_dwordx2 s[24:25], s[4:5], 0x40
	s_and_b64 s[28:29], vcc, exec
	s_cselect_b32 s14, s17, s18
	s_mov_b32 s23, 0x20000
	s_waitcnt lgkmcnt(0)
	s_cselect_b32 s17, s21, s27
	s_cselect_b32 s19, s20, s26
	s_mul_hi_i32 s21, s14, s6
	s_mul_i32 s20, s14, s6
	s_lshl_b64 s[20:21], s[20:21], 1
	s_add_u32 s28, s19, s20
	s_addc_u32 s14, s17, s21
	s_and_b64 s[20:21], vcc, exec
	s_cselect_b32 s17, s25, s9
	s_cselect_b32 s20, s24, s8
	s_and_b32 s21, s17, 0xffff
	s_and_b32 s29, s14, 0xffff
	s_mov_b32 s30, s22
	s_mov_b32 s31, s23
	v_lshlrev_b32_e32 v35, 1, v1
	s_movk_i32 s17, 0x800
	s_movk_i32 s14, 0x400
	buffer_load_dwordx4 v[30:33], v35, s[28:31], 0 offen glc slc
	buffer_load_dwordx4 v[22:25], v35, s[28:31], s14 offen glc slc
	s_movk_i32 s19, 0xc00
	buffer_load_dwordx4 v[26:29], v35, s[28:31], s17 offen glc slc
	buffer_load_dwordx4 v[18:21], v35, s[28:31], s19 offen glc slc
	buffer_load_dwordx4 v[14:17], v35, s[20:23], 0 offen
	buffer_load_dwordx4 v[10:13], v35, s[20:23], s14 offen
	;; [unrolled: 1-line block ×4, first 2 shown]
.LBB96_3:
	s_or_b64 exec, exec, s[0:1]
	v_mov_b32_e32 v35, 0
	v_mov_b32_e32 v64, 0
	;; [unrolled: 1-line block ×31, first 2 shown]
	s_and_saveexec_b64 s[0:1], s[2:3]
	s_cbranch_execz .LBB96_5
; %bb.4:
	s_waitcnt vmcnt(7)
	v_cvt_f32_u32_sdwa v34, v30 dst_sel:DWORD dst_unused:UNUSED_PAD src0_sel:WORD_0
	v_cvt_f32_u32_sdwa v35, v30 dst_sel:DWORD dst_unused:UNUSED_PAD src0_sel:WORD_1
	v_cvt_f32_u32_sdwa v64, v31 dst_sel:DWORD dst_unused:UNUSED_PAD src0_sel:WORD_0
	v_cvt_f32_u32_sdwa v65, v31 dst_sel:DWORD dst_unused:UNUSED_PAD src0_sel:WORD_1
	v_cvt_f32_u32_sdwa v60, v32 dst_sel:DWORD dst_unused:UNUSED_PAD src0_sel:WORD_0
	v_cvt_f32_u32_sdwa v61, v32 dst_sel:DWORD dst_unused:UNUSED_PAD src0_sel:WORD_1
	v_cvt_f32_u32_sdwa v56, v33 dst_sel:DWORD dst_unused:UNUSED_PAD src0_sel:WORD_0
	v_cvt_f32_u32_sdwa v57, v33 dst_sel:DWORD dst_unused:UNUSED_PAD src0_sel:WORD_1
	s_waitcnt vmcnt(6)
	v_cvt_f32_u32_sdwa v62, v22 dst_sel:DWORD dst_unused:UNUSED_PAD src0_sel:WORD_0
	v_cvt_f32_u32_sdwa v63, v22 dst_sel:DWORD dst_unused:UNUSED_PAD src0_sel:WORD_1
	v_cvt_f32_u32_sdwa v58, v23 dst_sel:DWORD dst_unused:UNUSED_PAD src0_sel:WORD_0
	v_cvt_f32_u32_sdwa v59, v23 dst_sel:DWORD dst_unused:UNUSED_PAD src0_sel:WORD_1
	v_cvt_f32_u32_sdwa v52, v24 dst_sel:DWORD dst_unused:UNUSED_PAD src0_sel:WORD_0
	v_cvt_f32_u32_sdwa v53, v24 dst_sel:DWORD dst_unused:UNUSED_PAD src0_sel:WORD_1
	v_cvt_f32_u32_sdwa v48, v25 dst_sel:DWORD dst_unused:UNUSED_PAD src0_sel:WORD_0
	v_cvt_f32_u32_sdwa v49, v25 dst_sel:DWORD dst_unused:UNUSED_PAD src0_sel:WORD_1
	;; [unrolled: 9-line block ×4, first 2 shown]
.LBB96_5:
	s_or_b64 exec, exec, s[0:1]
	s_waitcnt vmcnt(4)
	v_mul_f32_e32 v18, v35, v35
	v_fmac_f32_e32 v18, v34, v34
	v_fmac_f32_e32 v18, v64, v64
	;; [unrolled: 1-line block ×31, first 2 shown]
	v_and_b32_e32 v20, 63, v0
	v_cmp_eq_u32_e64 s[0:1], 63, v20
	v_mov_b32_dpp v19, v18 quad_perm:[1,0,3,2] row_mask:0xf bank_mask:0xf
	v_add_f32_e32 v18, v18, v19
	s_nop 1
	v_mov_b32_dpp v19, v18 quad_perm:[2,3,0,1] row_mask:0xf bank_mask:0xf
	v_add_f32_e32 v18, v18, v19
	s_nop 1
	v_mov_b32_dpp v19, v18 row_half_mirror row_mask:0xf bank_mask:0xf
	v_add_f32_e32 v18, v18, v19
	s_nop 1
	v_mov_b32_dpp v19, v18 row_mirror row_mask:0xf bank_mask:0xf
	v_add_f32_e32 v18, v18, v19
	s_nop 1
	v_mov_b32_dpp v19, v18 row_bcast:15 row_mask:0xf bank_mask:0xf
	v_add_f32_e32 v18, v18, v19
	s_nop 1
	v_mov_b32_dpp v19, v18 row_bcast:31 row_mask:0xf bank_mask:0xf
	s_and_saveexec_b64 s[20:21], s[0:1]
	s_cbranch_execz .LBB96_7
; %bb.6:
	v_add_f32_e32 v18, v18, v19
	v_lshrrev_b32_e32 v19, 4, v0
	v_and_b32_e32 v19, 60, v19
	ds_write_b32 v19, v18 offset:32
.LBB96_7:
	s_or_b64 exec, exec, s[20:21]
	v_and_b32_e32 v18, 3, v0
	v_lshlrev_b32_e32 v66, 2, v18
	s_waitcnt lgkmcnt(0)
	s_barrier
	ds_read_b32 v18, v66 offset:32
	s_load_dwordx2 s[24:25], s[4:5], 0x18
	s_waitcnt lgkmcnt(0)
	v_mov_b32_dpp v19, v18 quad_perm:[1,0,3,2] row_mask:0xf bank_mask:0xf
	v_add_f32_e32 v18, v18, v19
	s_nop 1
	v_mov_b32_dpp v19, v18 quad_perm:[2,3,0,1] row_mask:0xf bank_mask:0xf
	s_and_saveexec_b64 s[20:21], s[2:3]
	s_cbranch_execz .LBB96_9
; %bb.8:
	v_cvt_f32_u32_e32 v20, s7
	v_add_f32_e32 v18, v18, v19
	v_mov_b32_e32 v22, s13
	v_mov_b32_e32 v23, s12
	v_div_scale_f32 v19, s[28:29], v20, v20, v18
	v_rcp_f32_e32 v21, v19
	v_cndmask_b32_e32 v22, v22, v23, vcc
	s_mov_b32 s7, 0x800000
	v_fma_f32 v23, -v19, v21, 1.0
	v_fmac_f32_e32 v21, v23, v21
	v_div_scale_f32 v23, vcc, v18, v20, v18
	v_mul_f32_e32 v24, v23, v21
	v_fma_f32 v25, -v19, v24, v23
	v_fmac_f32_e32 v24, v25, v21
	v_fma_f32 v19, -v19, v24, v23
	v_div_fmas_f32 v19, v19, v21, v24
	v_div_fixup_f32 v18, v19, v20, v18
	v_add_f32_e32 v18, v22, v18
	v_mul_f32_e32 v19, 0x4b800000, v18
	v_cmp_gt_f32_e32 vcc, s7, v18
	v_cndmask_b32_e32 v18, v18, v19, vcc
	v_rsq_f32_e32 v18, v18
	v_mul_f32_e32 v19, 0x45800000, v18
	v_cndmask_b32_e32 v20, v18, v19, vcc
	v_mov_b32_e32 v21, v20
	;;#ASMSTART
	v_pk_mul_f32 v[22:23], v[34:35], v[20:21]
	;;#ASMEND
	;;#ASMSTART
	v_pk_mul_f32 v[24:25], v[64:65], v[20:21]
	;;#ASMEND
	;; [unrolled: 3-line block ×16, first 2 shown]
	s_waitcnt vmcnt(3)
	v_cvt_f32_u32_sdwa v35, v14 dst_sel:DWORD dst_unused:UNUSED_PAD src0_sel:WORD_1
	v_cvt_f32_u32_sdwa v34, v14 dst_sel:DWORD dst_unused:UNUSED_PAD src0_sel:WORD_0
	v_cvt_f32_u32_sdwa v37, v15 dst_sel:DWORD dst_unused:UNUSED_PAD src0_sel:WORD_1
	v_cvt_f32_u32_sdwa v36, v15 dst_sel:DWORD dst_unused:UNUSED_PAD src0_sel:WORD_0
	;; [unrolled: 2-line block ×4, first 2 shown]
	;;#ASMSTART
	v_pk_mul_f32 v[34:35], v[22:23], v[34:35]
	;;#ASMEND
	;;#ASMSTART
	v_pk_mul_f32 v[64:65], v[24:25], v[36:37]
	;;#ASMEND
	;; [unrolled: 3-line block ×3, first 2 shown]
	s_waitcnt vmcnt(2)
	v_cvt_f32_u32_sdwa v15, v10 dst_sel:DWORD dst_unused:UNUSED_PAD src0_sel:WORD_1
	v_cvt_f32_u32_sdwa v14, v10 dst_sel:DWORD dst_unused:UNUSED_PAD src0_sel:WORD_0
	v_cvt_f32_u32_sdwa v17, v11 dst_sel:DWORD dst_unused:UNUSED_PAD src0_sel:WORD_1
	v_cvt_f32_u32_sdwa v16, v11 dst_sel:DWORD dst_unused:UNUSED_PAD src0_sel:WORD_0
	;; [unrolled: 2-line block ×3, first 2 shown]
	;;#ASMSTART
	v_pk_mul_f32 v[56:57], v[28:29], v[46:47]
	;;#ASMEND
	v_cvt_f32_u32_sdwa v23, v13 dst_sel:DWORD dst_unused:UNUSED_PAD src0_sel:WORD_1
	v_cvt_f32_u32_sdwa v22, v13 dst_sel:DWORD dst_unused:UNUSED_PAD src0_sel:WORD_0
	;;#ASMSTART
	v_pk_mul_f32 v[62:63], v[30:31], v[14:15]
	;;#ASMEND
	;;#ASMSTART
	v_pk_mul_f32 v[58:59], v[32:33], v[16:17]
	;;#ASMEND
	;; [unrolled: 3-line block ×3, first 2 shown]
	s_waitcnt vmcnt(1)
	v_cvt_f32_u32_sdwa v11, v6 dst_sel:DWORD dst_unused:UNUSED_PAD src0_sel:WORD_1
	v_cvt_f32_u32_sdwa v10, v6 dst_sel:DWORD dst_unused:UNUSED_PAD src0_sel:WORD_0
	v_cvt_f32_u32_sdwa v13, v7 dst_sel:DWORD dst_unused:UNUSED_PAD src0_sel:WORD_1
	v_cvt_f32_u32_sdwa v12, v7 dst_sel:DWORD dst_unused:UNUSED_PAD src0_sel:WORD_0
	v_cvt_f32_u32_sdwa v7, v8 dst_sel:DWORD dst_unused:UNUSED_PAD src0_sel:WORD_1
	v_cvt_f32_u32_sdwa v6, v8 dst_sel:DWORD dst_unused:UNUSED_PAD src0_sel:WORD_0
	;;#ASMSTART
	v_pk_mul_f32 v[48:49], v[48:49], v[22:23]
	;;#ASMEND
	v_cvt_f32_u32_sdwa v15, v9 dst_sel:DWORD dst_unused:UNUSED_PAD src0_sel:WORD_1
	v_cvt_f32_u32_sdwa v14, v9 dst_sel:DWORD dst_unused:UNUSED_PAD src0_sel:WORD_0
	;;#ASMSTART
	v_pk_mul_f32 v[54:55], v[54:55], v[10:11]
	;;#ASMEND
	;;#ASMSTART
	v_pk_mul_f32 v[50:51], v[50:51], v[12:13]
	;;#ASMEND
	;; [unrolled: 3-line block ×4, first 2 shown]
	s_waitcnt vmcnt(0)
	v_cvt_f32_u32_sdwa v7, v2 dst_sel:DWORD dst_unused:UNUSED_PAD src0_sel:WORD_1
	v_cvt_f32_u32_sdwa v6, v2 dst_sel:DWORD dst_unused:UNUSED_PAD src0_sel:WORD_0
	v_cvt_f32_u32_sdwa v9, v3 dst_sel:DWORD dst_unused:UNUSED_PAD src0_sel:WORD_1
	v_cvt_f32_u32_sdwa v8, v3 dst_sel:DWORD dst_unused:UNUSED_PAD src0_sel:WORD_0
	v_cvt_f32_u32_sdwa v3, v4 dst_sel:DWORD dst_unused:UNUSED_PAD src0_sel:WORD_1
	v_cvt_f32_u32_sdwa v2, v4 dst_sel:DWORD dst_unused:UNUSED_PAD src0_sel:WORD_0
	v_cvt_f32_u32_sdwa v11, v5 dst_sel:DWORD dst_unused:UNUSED_PAD src0_sel:WORD_1
	v_cvt_f32_u32_sdwa v10, v5 dst_sel:DWORD dst_unused:UNUSED_PAD src0_sel:WORD_0
	;;#ASMSTART
	v_pk_mul_f32 v[46:47], v[18:19], v[6:7]
	;;#ASMEND
	;;#ASMSTART
	v_pk_mul_f32 v[42:43], v[42:43], v[8:9]
	;;#ASMEND
	;; [unrolled: 3-line block ×4, first 2 shown]
.LBB96_9:
	s_or_b64 exec, exec, s[20:21]
	s_load_dword s7, s[4:5], 0x80
	s_mov_b64 s[20:21], -1
	s_and_b64 vcc, exec, s[10:11]
	s_cbranch_vccnz .LBB96_13
; %bb.10:
	s_andn2_b64 vcc, exec, s[20:21]
	s_cbranch_vccz .LBB96_16
.LBB96_11:
	s_cmp_lt_i32 s16, 1
	s_cbranch_scc0 .LBB96_25
.LBB96_12:
	s_endpgm
.LBB96_13:
	s_and_saveexec_b64 s[10:11], s[2:3]
	s_cbranch_execz .LBB96_15
; %bb.14:
	s_waitcnt lgkmcnt(0)
	s_mul_hi_i32 s21, s7, s6
	s_mul_i32 s20, s7, s6
	s_lshl_b64 s[20:21], s[20:21], 1
	s_add_u32 s20, s24, s20
	s_addc_u32 s12, s25, s21
	s_and_b32 s21, s12, 0xffff
	s_mov_b32 s12, 0x7060302
	s_mov_b32 s23, 0x20000
	s_waitcnt vmcnt(0)
	v_perm_b32 v5, v57, v56, s12
	v_perm_b32 v4, v61, v60, s12
	;; [unrolled: 1-line block ×4, first 2 shown]
	v_lshlrev_b32_e32 v6, 1, v1
	buffer_store_dwordx4 v[2:5], v6, s[20:23], 0 offen
	s_movk_i32 s14, 0x400
	v_perm_b32 v5, v49, v48, s12
	v_perm_b32 v4, v53, v52, s12
	;; [unrolled: 1-line block ×4, first 2 shown]
	;;#ASMSTART
	s_nop 0
	;;#ASMEND
	buffer_store_dwordx4 v[2:5], v6, s[20:23], s14 offen
	v_perm_b32 v5, v41, v40, s12
	v_perm_b32 v4, v45, v44, s12
	;; [unrolled: 1-line block ×4, first 2 shown]
	s_movk_i32 s14, 0x800
	;;#ASMSTART
	s_nop 0
	;;#ASMEND
	buffer_store_dwordx4 v[2:5], v6, s[20:23], s14 offen
	v_perm_b32 v5, v37, v36, s12
	v_perm_b32 v4, v39, v38, s12
	;; [unrolled: 1-line block ×4, first 2 shown]
	s_movk_i32 s12, 0xc00
	;;#ASMSTART
	s_nop 0
	;;#ASMEND
	buffer_store_dwordx4 v[2:5], v6, s[20:23], s12 offen
	;;#ASMSTART
	s_nop 0
	;;#ASMEND
.LBB96_15:
	s_or_b64 exec, exec, s[10:11]
	s_cbranch_execnz .LBB96_11
.LBB96_16:
	s_waitcnt vmcnt(0)
	v_mov_b32_e32 v2, 0
	s_and_saveexec_b64 s[10:11], s[2:3]
	s_cbranch_execz .LBB96_18
; %bb.17:
	v_and_b32_e32 v2, 0x7fffffff, v34
	v_and_b32_e32 v3, 0x7fffffff, v35
	v_mov_b32_e32 v4, 0x2edbe6ff
	;;#ASMSTART
	v_max3_f32 v2, v4, v2, v3

	;;#ASMEND
	v_and_b32_e32 v3, 0x7fffffff, v64
	v_and_b32_e32 v4, 0x7fffffff, v65
	;;#ASMSTART
	v_max3_f32 v2, v2, v3, v4

	;;#ASMEND
	v_and_b32_e32 v3, 0x7fffffff, v60
	v_and_b32_e32 v4, 0x7fffffff, v61
	;; [unrolled: 6-line block ×15, first 2 shown]
	;;#ASMSTART
	v_max3_f32 v2, v2, v3, v4

	;;#ASMEND
.LBB96_18:
	s_or_b64 exec, exec, s[10:11]
	s_nop 0
	v_mov_b32_dpp v3, v2 quad_perm:[1,0,3,2] row_mask:0xf bank_mask:0xf
	v_cmp_gt_f32_e32 vcc, v2, v3
	v_cndmask_b32_e32 v2, v3, v2, vcc
	s_nop 1
	v_mov_b32_dpp v3, v2 quad_perm:[2,3,0,1] row_mask:0xf bank_mask:0xf
	v_cmp_gt_f32_e32 vcc, v2, v3
	v_cndmask_b32_e32 v2, v3, v2, vcc
	s_nop 1
	v_mov_b32_dpp v3, v2 row_half_mirror row_mask:0xf bank_mask:0xf
	v_cmp_gt_f32_e32 vcc, v2, v3
	v_cndmask_b32_e32 v2, v3, v2, vcc
	s_nop 1
	v_mov_b32_dpp v3, v2 row_mirror row_mask:0xf bank_mask:0xf
	v_cmp_gt_f32_e32 vcc, v2, v3
	v_cndmask_b32_e32 v2, v3, v2, vcc
	s_nop 1
	v_mov_b32_dpp v3, v2 row_bcast:15 row_mask:0xf bank_mask:0xf
	v_cmp_gt_f32_e32 vcc, v2, v3
	v_cndmask_b32_e32 v2, v3, v2, vcc
	s_nop 1
	v_mov_b32_dpp v3, v2 row_bcast:31 row_mask:0xf bank_mask:0xf
	s_and_saveexec_b64 s[10:11], s[0:1]
	s_cbranch_execz .LBB96_20
; %bb.19:
	v_cmp_gt_f32_e32 vcc, v2, v3
	v_cndmask_b32_e32 v2, v3, v2, vcc
	v_lshrrev_b32_e32 v3, 4, v0
	v_and_b32_e32 v3, 60, v3
	ds_write_b32 v3, v2
.LBB96_20:
	s_or_b64 exec, exec, s[10:11]
	s_waitcnt lgkmcnt(0)
	s_barrier
	ds_read_b32 v2, v66
	s_load_dwordx2 s[20:21], s[4:5], 0x70
	s_waitcnt lgkmcnt(0)
	v_mov_b32_dpp v3, v2 quad_perm:[1,0,3,2] row_mask:0xf bank_mask:0xf
	v_cmp_gt_f32_e32 vcc, v2, v3
	v_cndmask_b32_e32 v2, v3, v2, vcc
	s_nop 1
	v_mov_b32_dpp v3, v2 quad_perm:[2,3,0,1] row_mask:0xf bank_mask:0xf
	v_cmp_gt_f32_e32 vcc, v2, v3
	v_cndmask_b32_e32 v2, v3, v2, vcc
	v_mul_f32_e32 v2, 0x3b124925, v2
	v_cmp_eq_u32_e32 vcc, 0, v0
	s_and_saveexec_b64 s[10:11], vcc
	s_cbranch_execz .LBB96_22
; %bb.21:
	s_load_dwordx2 s[22:23], s[4:5], 0x8
	s_mul_hi_i32 s29, s21, s6
	s_mul_i32 s28, s21, s6
	s_lshl_b64 s[28:29], s[28:29], 2
	v_mov_b32_e32 v3, 0
	s_waitcnt lgkmcnt(0)
	s_add_u32 s22, s22, s28
	s_addc_u32 s23, s23, s29
	global_store_dword v3, v2, s[22:23]
.LBB96_22:
	s_or_b64 exec, exec, s[10:11]
	;;#ASMSTART
	v_rcp_f32 v2, v2
	;;#ASMEND
	s_and_saveexec_b64 s[10:11], s[2:3]
	s_cbranch_execz .LBB96_24
; %bb.23:
	s_load_dwordx2 s[22:23], s[4:5], 0x0
	s_mul_i32 s12, s20, s6
	s_mul_hi_i32 s3, s20, s6
	v_mov_b32_e32 v3, v2
	;;#ASMSTART
	v_pk_mul_f32 v[4:5], v[34:35], v[2:3]
	;;#ASMEND
	s_waitcnt lgkmcnt(0)
	s_add_u32 s20, s22, s12
	s_addc_u32 s3, s23, s3
	s_add_i32 s12, s15, 3
	s_ashr_i32 s14, s12, 31
	v_mov_b32_e32 v8, 0xc3e00000
	v_mov_b32_e32 v9, 0x43e00000
	;;#ASMSTART
	v_med3_f32 v4, v4, v8, v9
v_med3_f32 v5, v5, v8, v9
v_cvt_pk_fp8_f32 v6, v4, v5
	;;#ASMEND
	s_lshr_b32 s14, s14, 30
	;;#ASMSTART
	v_pk_mul_f32 v[4:5], v[64:65], v[2:3]
	;;#ASMEND
	s_add_i32 s12, s12, s14
	s_and_b32 s21, s3, 0xffff
	;;#ASMSTART
	v_med3_f32 v4, v4, v8, v9
v_med3_f32 v5, v5, v8, v9
v_cvt_pk_fp8_f32 v7, v4, v5
	;;#ASMEND
	s_mov_b32 s3, 0x5040100
	s_and_b32 s22, s12, -4
	v_perm_b32 v5, v7, v6, s3
	s_movk_i32 s12, 0xff
	v_and_b32_e32 v4, 0xffffff00, v7
	v_and_b32_sdwa v6, v5, s12 dst_sel:DWORD dst_unused:UNUSED_PAD src0_sel:WORD_1 src1_sel:DWORD
	s_mov_b32 s2, 0xffff
	v_or_b32_sdwa v4, v6, v4 dst_sel:WORD_1 dst_unused:UNUSED_PAD src0_sel:DWORD src1_sel:DWORD
	v_and_or_b32 v4, v5, s2, v4
	;;#ASMSTART
	v_pk_mul_f32 v[6:7], v[60:61], v[2:3]
	;;#ASMEND
	v_mov_b32_e32 v5, v6
	;;#ASMSTART
	v_med3_f32 v5, v5, v8, v9
v_med3_f32 v7, v7, v8, v9
v_cvt_pk_fp8_f32 v10, v5, v7
	;;#ASMEND
	;;#ASMSTART
	v_pk_mul_f32 v[6:7], v[56:57], v[2:3]
	;;#ASMEND
	v_mov_b32_e32 v5, v7
	;;#ASMSTART
	v_med3_f32 v6, v6, v8, v9
v_med3_f32 v5, v5, v8, v9
v_cvt_pk_fp8_f32 v7, v6, v5
	;;#ASMEND
	v_lshlrev_b32_e32 v5, 16, v7
	s_mov_b32 s23, 0x20000
	v_and_or_b32 v5, v10, s2, v5
	buffer_store_dwordx2 v[4:5], v1, s[20:23], 0 offen
	;;#ASMSTART
	s_nop 0
	;;#ASMEND
	;;#ASMSTART
	v_pk_mul_f32 v[4:5], v[62:63], v[2:3]
	;;#ASMEND
	;;#ASMSTART
	v_med3_f32 v4, v4, v8, v9
v_med3_f32 v5, v5, v8, v9
v_cvt_pk_fp8_f32 v6, v4, v5
	;;#ASMEND
	;;#ASMSTART
	v_pk_mul_f32 v[4:5], v[58:59], v[2:3]
	;;#ASMEND
	;;#ASMSTART
	v_med3_f32 v4, v4, v8, v9
v_med3_f32 v5, v5, v8, v9
v_cvt_pk_fp8_f32 v7, v4, v5
	;;#ASMEND
	v_perm_b32 v5, v7, v6, s3
	v_and_b32_e32 v4, 0xffffff00, v7
	v_and_b32_sdwa v6, v5, s12 dst_sel:DWORD dst_unused:UNUSED_PAD src0_sel:WORD_1 src1_sel:DWORD
	v_or_b32_sdwa v4, v6, v4 dst_sel:WORD_1 dst_unused:UNUSED_PAD src0_sel:DWORD src1_sel:DWORD
	v_and_or_b32 v4, v5, s2, v4
	;;#ASMSTART
	v_pk_mul_f32 v[6:7], v[52:53], v[2:3]
	;;#ASMEND
	v_mov_b32_e32 v5, v6
	;;#ASMSTART
	v_med3_f32 v5, v5, v8, v9
v_med3_f32 v7, v7, v8, v9
v_cvt_pk_fp8_f32 v10, v5, v7
	;;#ASMEND
	;;#ASMSTART
	v_pk_mul_f32 v[6:7], v[48:49], v[2:3]
	;;#ASMEND
	v_mov_b32_e32 v5, v7
	;;#ASMSTART
	v_med3_f32 v6, v6, v8, v9
v_med3_f32 v5, v5, v8, v9
v_cvt_pk_fp8_f32 v7, v6, v5
	;;#ASMEND
	v_lshlrev_b32_e32 v5, 16, v7
	v_and_or_b32 v5, v10, s2, v5
	s_movk_i32 s14, 0x200
	buffer_store_dwordx2 v[4:5], v1, s[20:23], s14 offen
	;;#ASMSTART
	s_nop 0
	;;#ASMEND
	;;#ASMSTART
	v_pk_mul_f32 v[4:5], v[54:55], v[2:3]
	;;#ASMEND
	;;#ASMSTART
	v_med3_f32 v4, v4, v8, v9
v_med3_f32 v5, v5, v8, v9
v_cvt_pk_fp8_f32 v6, v4, v5
	;;#ASMEND
	;;#ASMSTART
	v_pk_mul_f32 v[4:5], v[50:51], v[2:3]
	;;#ASMEND
	;;#ASMSTART
	v_med3_f32 v4, v4, v8, v9
v_med3_f32 v5, v5, v8, v9
v_cvt_pk_fp8_f32 v7, v4, v5
	;;#ASMEND
	v_perm_b32 v5, v7, v6, s3
	v_and_b32_e32 v4, 0xffffff00, v7
	v_and_b32_sdwa v6, v5, s12 dst_sel:DWORD dst_unused:UNUSED_PAD src0_sel:WORD_1 src1_sel:DWORD
	v_or_b32_sdwa v4, v6, v4 dst_sel:WORD_1 dst_unused:UNUSED_PAD src0_sel:DWORD src1_sel:DWORD
	v_and_or_b32 v4, v5, s2, v4
	;;#ASMSTART
	v_pk_mul_f32 v[6:7], v[44:45], v[2:3]
	;;#ASMEND
	v_mov_b32_e32 v5, v6
	;;#ASMSTART
	v_med3_f32 v5, v5, v8, v9
v_med3_f32 v7, v7, v8, v9
v_cvt_pk_fp8_f32 v10, v5, v7
	;;#ASMEND
	;;#ASMSTART
	v_pk_mul_f32 v[6:7], v[40:41], v[2:3]
	;;#ASMEND
	v_mov_b32_e32 v5, v7
	;;#ASMSTART
	v_med3_f32 v6, v6, v8, v9
v_med3_f32 v5, v5, v8, v9
v_cvt_pk_fp8_f32 v7, v6, v5
	;;#ASMEND
	v_lshlrev_b32_e32 v5, 16, v7
	v_and_or_b32 v5, v10, s2, v5
	s_movk_i32 s14, 0x400
	buffer_store_dwordx2 v[4:5], v1, s[20:23], s14 offen
	;;#ASMSTART
	s_nop 0
	;;#ASMEND
	;;#ASMSTART
	v_pk_mul_f32 v[4:5], v[46:47], v[2:3]
	;;#ASMEND
	;;#ASMSTART
	v_med3_f32 v4, v4, v8, v9
v_med3_f32 v5, v5, v8, v9
v_cvt_pk_fp8_f32 v6, v4, v5
	;;#ASMEND
	;;#ASMSTART
	v_pk_mul_f32 v[4:5], v[42:43], v[2:3]
	;;#ASMEND
	;;#ASMSTART
	v_med3_f32 v4, v4, v8, v9
v_med3_f32 v5, v5, v8, v9
v_cvt_pk_fp8_f32 v7, v4, v5
	;;#ASMEND
	v_perm_b32 v5, v7, v6, s3
	v_and_b32_e32 v4, 0xffffff00, v7
	v_and_b32_sdwa v6, v5, s12 dst_sel:DWORD dst_unused:UNUSED_PAD src0_sel:WORD_1 src1_sel:DWORD
	v_or_b32_sdwa v4, v6, v4 dst_sel:WORD_1 dst_unused:UNUSED_PAD src0_sel:DWORD src1_sel:DWORD
	v_and_or_b32 v4, v5, s2, v4
	;;#ASMSTART
	v_pk_mul_f32 v[6:7], v[38:39], v[2:3]
	;;#ASMEND
	v_mov_b32_e32 v5, v6
	;;#ASMSTART
	v_med3_f32 v5, v5, v8, v9
v_med3_f32 v7, v7, v8, v9
v_cvt_pk_fp8_f32 v6, v5, v7
	;;#ASMEND
	;;#ASMSTART
	v_pk_mul_f32 v[2:3], v[36:37], v[2:3]
	;;#ASMEND
	;;#ASMSTART
	v_med3_f32 v2, v2, v8, v9
v_med3_f32 v3, v3, v8, v9
v_cvt_pk_fp8_f32 v5, v2, v3
	;;#ASMEND
	v_lshlrev_b32_e32 v2, 16, v5
	v_and_or_b32 v5, v6, s2, v2
	s_movk_i32 s2, 0x600
	buffer_store_dwordx2 v[4:5], v1, s[20:23], s2 offen
	;;#ASMSTART
	s_nop 0
	;;#ASMEND
.LBB96_24:
	s_or_b64 exec, exec, s[10:11]
	s_cmp_lt_i32 s16, 1
	s_cbranch_scc1 .LBB96_12
.LBB96_25:
	s_load_dword s2, s[4:5], 0x94
	s_waitcnt lgkmcnt(0)
	s_cmp_lg_u32 s2, 1
	s_cbranch_scc1 .LBB96_12
; %bb.26:
	s_lshl_b32 s2, s16, 1
	s_add_i32 s2, s2, 2
	v_cmp_gt_u32_e32 vcc, s16, v1
	s_and_b32 s10, s2, -4
	v_mov_b32_e32 v34, 0
	v_lshlrev_b32_e32 v67, 1, v1
	v_mov_b32_e32 v30, 0
	v_mov_b32_e32 v31, 0
	;; [unrolled: 1-line block ×16, first 2 shown]
	s_waitcnt vmcnt(3)
	v_mov_b32_e32 v14, 0
	v_mov_b32_e32 v15, 0
	v_mov_b32_e32 v16, 0
	v_mov_b32_e32 v17, 0
	s_waitcnt vmcnt(2)
	v_mov_b32_e32 v10, 0
	v_mov_b32_e32 v11, 0
	v_mov_b32_e32 v12, 0
	v_mov_b32_e32 v13, 0
	;; [unrolled: 5-line block ×4, first 2 shown]
	s_barrier
	s_and_saveexec_b64 s[2:3], vcc
	s_cbranch_execz .LBB96_28
; %bb.27:
	s_mul_hi_i32 s5, s18, s6
	s_mul_i32 s4, s18, s6
	s_and_b32 s9, s9, 0xffff
	s_lshl_b64 s[4:5], s[4:5], 1
	s_add_u32 s20, s26, s4
	s_mov_b32 s11, 0x20000
	s_addc_u32 s4, s27, s5
	s_and_b32 s21, s4, 0xffff
	s_mov_b32 s22, s10
	s_mov_b32 s23, s11
	s_movk_i32 s5, 0x800
	s_movk_i32 s4, 0x400
	buffer_load_dwordx4 v[30:33], v67, s[20:23], 0 offen glc slc
	buffer_load_dwordx4 v[22:25], v67, s[20:23], s4 offen glc slc
	s_movk_i32 s12, 0xc00
	buffer_load_dwordx4 v[26:29], v67, s[20:23], s5 offen glc slc
	buffer_load_dwordx4 v[18:21], v67, s[20:23], s12 offen glc slc
	buffer_load_dwordx4 v[14:17], v67, s[8:11], 0 offen
	buffer_load_dwordx4 v[10:13], v67, s[8:11], s4 offen
	;; [unrolled: 1-line block ×4, first 2 shown]
.LBB96_28:
	s_or_b64 exec, exec, s[2:3]
	v_mov_b32_e32 v35, 0
	v_mov_b32_e32 v64, 0
	;; [unrolled: 1-line block ×31, first 2 shown]
	s_and_saveexec_b64 s[2:3], vcc
	s_cbranch_execz .LBB96_30
; %bb.29:
	s_waitcnt vmcnt(7)
	v_cvt_f32_u32_sdwa v34, v30 dst_sel:DWORD dst_unused:UNUSED_PAD src0_sel:WORD_0
	v_cvt_f32_u32_sdwa v35, v30 dst_sel:DWORD dst_unused:UNUSED_PAD src0_sel:WORD_1
	v_cvt_f32_u32_sdwa v64, v31 dst_sel:DWORD dst_unused:UNUSED_PAD src0_sel:WORD_0
	v_cvt_f32_u32_sdwa v65, v31 dst_sel:DWORD dst_unused:UNUSED_PAD src0_sel:WORD_1
	v_cvt_f32_u32_sdwa v62, v32 dst_sel:DWORD dst_unused:UNUSED_PAD src0_sel:WORD_0
	v_cvt_f32_u32_sdwa v63, v32 dst_sel:DWORD dst_unused:UNUSED_PAD src0_sel:WORD_1
	v_cvt_f32_u32_sdwa v60, v33 dst_sel:DWORD dst_unused:UNUSED_PAD src0_sel:WORD_0
	v_cvt_f32_u32_sdwa v61, v33 dst_sel:DWORD dst_unused:UNUSED_PAD src0_sel:WORD_1
	s_waitcnt vmcnt(6)
	v_cvt_f32_u32_sdwa v58, v22 dst_sel:DWORD dst_unused:UNUSED_PAD src0_sel:WORD_0
	v_cvt_f32_u32_sdwa v59, v22 dst_sel:DWORD dst_unused:UNUSED_PAD src0_sel:WORD_1
	v_cvt_f32_u32_sdwa v56, v23 dst_sel:DWORD dst_unused:UNUSED_PAD src0_sel:WORD_0
	v_cvt_f32_u32_sdwa v57, v23 dst_sel:DWORD dst_unused:UNUSED_PAD src0_sel:WORD_1
	v_cvt_f32_u32_sdwa v54, v24 dst_sel:DWORD dst_unused:UNUSED_PAD src0_sel:WORD_0
	v_cvt_f32_u32_sdwa v55, v24 dst_sel:DWORD dst_unused:UNUSED_PAD src0_sel:WORD_1
	v_cvt_f32_u32_sdwa v52, v25 dst_sel:DWORD dst_unused:UNUSED_PAD src0_sel:WORD_0
	v_cvt_f32_u32_sdwa v53, v25 dst_sel:DWORD dst_unused:UNUSED_PAD src0_sel:WORD_1
	;; [unrolled: 9-line block ×4, first 2 shown]
.LBB96_30:
	s_or_b64 exec, exec, s[2:3]
	v_mul_f32_e32 v1, v35, v35
	v_fmac_f32_e32 v1, v34, v34
	v_fmac_f32_e32 v1, v64, v64
	;; [unrolled: 1-line block ×31, first 2 shown]
	s_waitcnt vmcnt(4)
	s_nop 0
	v_mov_b32_dpp v18, v1 quad_perm:[1,0,3,2] row_mask:0xf bank_mask:0xf
	v_add_f32_e32 v1, v1, v18
	s_nop 1
	v_mov_b32_dpp v18, v1 quad_perm:[2,3,0,1] row_mask:0xf bank_mask:0xf
	v_add_f32_e32 v1, v1, v18
	s_nop 1
	v_mov_b32_dpp v18, v1 row_half_mirror row_mask:0xf bank_mask:0xf
	v_add_f32_e32 v1, v1, v18
	s_nop 1
	v_mov_b32_dpp v18, v1 row_mirror row_mask:0xf bank_mask:0xf
	v_add_f32_e32 v1, v1, v18
	s_nop 1
	v_mov_b32_dpp v18, v1 row_bcast:15 row_mask:0xf bank_mask:0xf
	v_add_f32_e32 v1, v1, v18
	s_nop 1
	v_mov_b32_dpp v18, v1 row_bcast:31 row_mask:0xf bank_mask:0xf
	s_and_saveexec_b64 s[2:3], s[0:1]
	s_cbranch_execz .LBB96_32
; %bb.31:
	v_lshrrev_b32_e32 v0, 4, v0
	v_add_f32_e32 v1, v1, v18
	v_and_b32_e32 v0, 60, v0
	ds_write_b32 v0, v1 offset:16
.LBB96_32:
	s_or_b64 exec, exec, s[2:3]
	s_waitcnt lgkmcnt(0)
	s_barrier
	ds_read_b32 v0, v66 offset:16
	s_waitcnt lgkmcnt(0)
	s_nop 0
	v_mov_b32_dpp v1, v0 quad_perm:[1,0,3,2] row_mask:0xf bank_mask:0xf
	v_add_f32_e32 v0, v0, v1
	s_nop 1
	v_mov_b32_dpp v1, v0 quad_perm:[2,3,0,1] row_mask:0xf bank_mask:0xf
	s_and_saveexec_b64 s[0:1], vcc
	s_cbranch_execz .LBB96_12
; %bb.33:
	v_cvt_f32_u32_e32 v18, s16
	v_add_f32_e32 v0, v0, v1
	s_mov_b32 s11, 0x20000
	v_div_scale_f32 v1, s[0:1], v18, v18, v0
	v_rcp_f32_e32 v19, v1
	v_div_scale_f32 v20, vcc, v0, v18, v0
	s_mov_b32 s0, 0x800000
	v_fma_f32 v21, -v1, v19, 1.0
	v_fmac_f32_e32 v19, v21, v19
	v_mul_f32_e32 v21, v20, v19
	v_fma_f32 v22, -v1, v21, v20
	v_fmac_f32_e32 v21, v22, v19
	v_fma_f32 v1, -v1, v21, v20
	v_div_fmas_f32 v1, v1, v19, v21
	v_div_fixup_f32 v0, v1, v18, v0
	v_add_f32_e32 v0, s13, v0
	v_mul_f32_e32 v1, 0x4b800000, v0
	v_cmp_gt_f32_e32 vcc, s0, v0
	v_cndmask_b32_e32 v0, v0, v1, vcc
	v_rsq_f32_e32 v0, v0
	s_mul_hi_i32 s1, s7, s6
	s_mul_i32 s0, s7, s6
	s_lshl_b64 s[0:1], s[0:1], 1
	v_mul_f32_e32 v1, 0x45800000, v0
	v_cndmask_b32_e32 v18, v0, v1, vcc
	v_mov_b32_e32 v19, v18
	;;#ASMSTART
	v_pk_mul_f32 v[20:21], v[34:35], v[18:19]
	;;#ASMEND
	;;#ASMSTART
	v_pk_mul_f32 v[22:23], v[64:65], v[18:19]
	;;#ASMEND
	;; [unrolled: 3-line block ×16, first 2 shown]
	s_waitcnt vmcnt(3)
	v_cvt_f32_u32_sdwa v37, v14 dst_sel:DWORD dst_unused:UNUSED_PAD src0_sel:WORD_1
	v_cvt_f32_u32_sdwa v36, v14 dst_sel:DWORD dst_unused:UNUSED_PAD src0_sel:WORD_0
	v_cvt_f32_u32_sdwa v43, v15 dst_sel:DWORD dst_unused:UNUSED_PAD src0_sel:WORD_1
	v_cvt_f32_u32_sdwa v42, v15 dst_sel:DWORD dst_unused:UNUSED_PAD src0_sel:WORD_0
	;; [unrolled: 2-line block ×4, first 2 shown]
	;;#ASMSTART
	v_pk_mul_f32 v[16:17], v[20:21], v[36:37]
	;;#ASMEND
	;;#ASMSTART
	v_pk_mul_f32 v[20:21], v[22:23], v[42:43]
	;;#ASMEND
	;; [unrolled: 3-line block ×4, first 2 shown]
	s_waitcnt vmcnt(2)
	v_cvt_f32_u32_sdwa v25, v10 dst_sel:DWORD dst_unused:UNUSED_PAD src0_sel:WORD_1
	v_cvt_f32_u32_sdwa v24, v10 dst_sel:DWORD dst_unused:UNUSED_PAD src0_sel:WORD_0
	v_cvt_f32_u32_sdwa v27, v11 dst_sel:DWORD dst_unused:UNUSED_PAD src0_sel:WORD_1
	v_cvt_f32_u32_sdwa v26, v11 dst_sel:DWORD dst_unused:UNUSED_PAD src0_sel:WORD_0
	;; [unrolled: 2-line block ×3, first 2 shown]
	s_add_u32 s8, s24, s0
	v_cvt_f32_u32_sdwa v37, v13 dst_sel:DWORD dst_unused:UNUSED_PAD src0_sel:WORD_1
	v_cvt_f32_u32_sdwa v36, v13 dst_sel:DWORD dst_unused:UNUSED_PAD src0_sel:WORD_0
	;;#ASMSTART
	v_pk_mul_f32 v[12:13], v[28:29], v[24:25]
	;;#ASMEND
	;;#ASMSTART
	v_pk_mul_f32 v[24:25], v[30:31], v[26:27]
	;;#ASMEND
	;; [unrolled: 3-line block ×3, first 2 shown]
	s_waitcnt vmcnt(1)
	v_cvt_f32_u32_sdwa v29, v6 dst_sel:DWORD dst_unused:UNUSED_PAD src0_sel:WORD_1
	v_cvt_f32_u32_sdwa v28, v6 dst_sel:DWORD dst_unused:UNUSED_PAD src0_sel:WORD_0
	v_cvt_f32_u32_sdwa v31, v7 dst_sel:DWORD dst_unused:UNUSED_PAD src0_sel:WORD_1
	v_cvt_f32_u32_sdwa v30, v7 dst_sel:DWORD dst_unused:UNUSED_PAD src0_sel:WORD_0
	;; [unrolled: 2-line block ×4, first 2 shown]
	s_addc_u32 s0, s25, s1
	;;#ASMSTART
	v_pk_mul_f32 v[26:27], v[34:35], v[36:37]
	;;#ASMEND
	;;#ASMSTART
	v_pk_mul_f32 v[8:9], v[50:51], v[28:29]
	;;#ASMEND
	;; [unrolled: 3-line block ×5, first 2 shown]
	s_waitcnt vmcnt(0)
	v_cvt_f32_u32_sdwa v33, v2 dst_sel:DWORD dst_unused:UNUSED_PAD src0_sel:WORD_1
	v_cvt_f32_u32_sdwa v32, v2 dst_sel:DWORD dst_unused:UNUSED_PAD src0_sel:WORD_0
	v_cvt_f32_u32_sdwa v35, v3 dst_sel:DWORD dst_unused:UNUSED_PAD src0_sel:WORD_1
	v_cvt_f32_u32_sdwa v34, v3 dst_sel:DWORD dst_unused:UNUSED_PAD src0_sel:WORD_0
	;; [unrolled: 2-line block ×3, first 2 shown]
	s_and_b32 s9, s0, 0xffff
	s_mov_b32 s0, 0x7060302
	v_cvt_f32_u32_sdwa v37, v5 dst_sel:DWORD dst_unused:UNUSED_PAD src0_sel:WORD_1
	v_cvt_f32_u32_sdwa v36, v5 dst_sel:DWORD dst_unused:UNUSED_PAD src0_sel:WORD_0
	;;#ASMSTART
	v_pk_mul_f32 v[4:5], v[0:1], v[32:33]
	;;#ASMEND
	;;#ASMSTART
	v_pk_mul_f32 v[32:33], v[40:41], v[34:35]
	;;#ASMEND
	;; [unrolled: 3-line block ×3, first 2 shown]
	v_perm_b32 v0, v17, v16, s0
	v_perm_b32 v1, v21, v20, s0
	;; [unrolled: 1-line block ×4, first 2 shown]
	;;#ASMSTART
	v_pk_mul_f32 v[18:19], v[18:19], v[36:37]
	;;#ASMEND
	buffer_store_dwordx4 v[0:3], v67, s[8:11], 0 offen
	s_movk_i32 s1, 0x400
	v_perm_b32 v0, v13, v12, s0
	v_perm_b32 v1, v25, v24, s0
	v_perm_b32 v2, v11, v10, s0
	v_perm_b32 v3, v27, v26, s0
	;;#ASMSTART
	s_nop 0
	;;#ASMEND
	buffer_store_dwordx4 v[0:3], v67, s[8:11], s1 offen
	v_perm_b32 v0, v9, v8, s0
	v_perm_b32 v1, v29, v28, s0
	v_perm_b32 v2, v7, v6, s0
	v_perm_b32 v3, v31, v30, s0
	s_movk_i32 s1, 0x800
	;;#ASMSTART
	s_nop 0
	;;#ASMEND
	buffer_store_dwordx4 v[0:3], v67, s[8:11], s1 offen
	v_perm_b32 v0, v5, v4, s0
	v_perm_b32 v1, v33, v32, s0
	v_perm_b32 v2, v35, v34, s0
	v_perm_b32 v3, v19, v18, s0
	s_movk_i32 s0, 0xc00
	;;#ASMSTART
	s_nop 0
	;;#ASMEND
	buffer_store_dwordx4 v[0:3], v67, s[8:11], s0 offen
	;;#ASMSTART
	s_nop 0
	;;#ASMEND
	s_endpgm
	.section	.rodata,"a",@progbits
	.p2align	6, 0x0
	.amdhsa_kernel _ZN5aiter35fused_qk_rmsnorm_group_quant_kernelItDB8_Li256ELi32ELi1ELb0ELb0ELb0ELb0ELb1ELb1EEEvPT0_PvPT_S6_S6_PKS5_S8_S8_S8_S8_ffiiiiiiiiiiiii
		.amdhsa_group_segment_fixed_size 48
		.amdhsa_private_segment_fixed_size 0
		.amdhsa_kernarg_size 400
		.amdhsa_user_sgpr_count 6
		.amdhsa_user_sgpr_private_segment_buffer 1
		.amdhsa_user_sgpr_dispatch_ptr 0
		.amdhsa_user_sgpr_queue_ptr 0
		.amdhsa_user_sgpr_kernarg_segment_ptr 1
		.amdhsa_user_sgpr_dispatch_id 0
		.amdhsa_user_sgpr_flat_scratch_init 0
		.amdhsa_user_sgpr_kernarg_preload_length 0
		.amdhsa_user_sgpr_kernarg_preload_offset 0
		.amdhsa_user_sgpr_private_segment_size 0
		.amdhsa_uses_dynamic_stack 0
		.amdhsa_system_sgpr_private_segment_wavefront_offset 0
		.amdhsa_system_sgpr_workgroup_id_x 1
		.amdhsa_system_sgpr_workgroup_id_y 1
		.amdhsa_system_sgpr_workgroup_id_z 0
		.amdhsa_system_sgpr_workgroup_info 0
		.amdhsa_system_vgpr_workitem_id 0
		.amdhsa_next_free_vgpr 68
		.amdhsa_next_free_sgpr 32
		.amdhsa_accum_offset 68
		.amdhsa_reserve_vcc 1
		.amdhsa_reserve_flat_scratch 0
		.amdhsa_float_round_mode_32 0
		.amdhsa_float_round_mode_16_64 0
		.amdhsa_float_denorm_mode_32 3
		.amdhsa_float_denorm_mode_16_64 3
		.amdhsa_dx10_clamp 1
		.amdhsa_ieee_mode 1
		.amdhsa_fp16_overflow 0
		.amdhsa_tg_split 0
		.amdhsa_exception_fp_ieee_invalid_op 0
		.amdhsa_exception_fp_denorm_src 0
		.amdhsa_exception_fp_ieee_div_zero 0
		.amdhsa_exception_fp_ieee_overflow 0
		.amdhsa_exception_fp_ieee_underflow 0
		.amdhsa_exception_fp_ieee_inexact 0
		.amdhsa_exception_int_div_zero 0
	.end_amdhsa_kernel
	.section	.text._ZN5aiter35fused_qk_rmsnorm_group_quant_kernelItDB8_Li256ELi32ELi1ELb0ELb0ELb0ELb0ELb1ELb1EEEvPT0_PvPT_S6_S6_PKS5_S8_S8_S8_S8_ffiiiiiiiiiiiii,"axG",@progbits,_ZN5aiter35fused_qk_rmsnorm_group_quant_kernelItDB8_Li256ELi32ELi1ELb0ELb0ELb0ELb0ELb1ELb1EEEvPT0_PvPT_S6_S6_PKS5_S8_S8_S8_S8_ffiiiiiiiiiiiii,comdat
.Lfunc_end96:
	.size	_ZN5aiter35fused_qk_rmsnorm_group_quant_kernelItDB8_Li256ELi32ELi1ELb0ELb0ELb0ELb0ELb1ELb1EEEvPT0_PvPT_S6_S6_PKS5_S8_S8_S8_S8_ffiiiiiiiiiiiii, .Lfunc_end96-_ZN5aiter35fused_qk_rmsnorm_group_quant_kernelItDB8_Li256ELi32ELi1ELb0ELb0ELb0ELb0ELb1ELb1EEEvPT0_PvPT_S6_S6_PKS5_S8_S8_S8_S8_ffiiiiiiiiiiiii
                                        ; -- End function
	.section	.AMDGPU.csdata,"",@progbits
; Kernel info:
; codeLenInByte = 5788
; NumSgprs: 36
; NumVgprs: 68
; NumAgprs: 0
; TotalNumVgprs: 68
; ScratchSize: 0
; MemoryBound: 0
; FloatMode: 240
; IeeeMode: 1
; LDSByteSize: 48 bytes/workgroup (compile time only)
; SGPRBlocks: 4
; VGPRBlocks: 8
; NumSGPRsForWavesPerEU: 36
; NumVGPRsForWavesPerEU: 68
; AccumOffset: 68
; Occupancy: 7
; WaveLimiterHint : 0
; COMPUTE_PGM_RSRC2:SCRATCH_EN: 0
; COMPUTE_PGM_RSRC2:USER_SGPR: 6
; COMPUTE_PGM_RSRC2:TRAP_HANDLER: 0
; COMPUTE_PGM_RSRC2:TGID_X_EN: 1
; COMPUTE_PGM_RSRC2:TGID_Y_EN: 1
; COMPUTE_PGM_RSRC2:TGID_Z_EN: 0
; COMPUTE_PGM_RSRC2:TIDIG_COMP_CNT: 0
; COMPUTE_PGM_RSRC3_GFX90A:ACCUM_OFFSET: 16
; COMPUTE_PGM_RSRC3_GFX90A:TG_SPLIT: 0
	.section	.text._ZN5aiter35fused_qk_rmsnorm_group_quant_kernelIDF16_DB8_Li64ELi8ELi16ELb1ELb1ELb1ELb1ELb0ELb0EEEvPT0_PvPT_S6_S6_PKS5_S8_S8_S8_S8_ffiiiiiiiiiiiii,"axG",@progbits,_ZN5aiter35fused_qk_rmsnorm_group_quant_kernelIDF16_DB8_Li64ELi8ELi16ELb1ELb1ELb1ELb1ELb0ELb0EEEvPT0_PvPT_S6_S6_PKS5_S8_S8_S8_S8_ffiiiiiiiiiiiii,comdat
	.protected	_ZN5aiter35fused_qk_rmsnorm_group_quant_kernelIDF16_DB8_Li64ELi8ELi16ELb1ELb1ELb1ELb1ELb0ELb0EEEvPT0_PvPT_S6_S6_PKS5_S8_S8_S8_S8_ffiiiiiiiiiiiii ; -- Begin function _ZN5aiter35fused_qk_rmsnorm_group_quant_kernelIDF16_DB8_Li64ELi8ELi16ELb1ELb1ELb1ELb1ELb0ELb0EEEvPT0_PvPT_S6_S6_PKS5_S8_S8_S8_S8_ffiiiiiiiiiiiii
	.globl	_ZN5aiter35fused_qk_rmsnorm_group_quant_kernelIDF16_DB8_Li64ELi8ELi16ELb1ELb1ELb1ELb1ELb0ELb0EEEvPT0_PvPT_S6_S6_PKS5_S8_S8_S8_S8_ffiiiiiiiiiiiii
	.p2align	8
	.type	_ZN5aiter35fused_qk_rmsnorm_group_quant_kernelIDF16_DB8_Li64ELi8ELi16ELb1ELb1ELb1ELb1ELb0ELb0EEEvPT0_PvPT_S6_S6_PKS5_S8_S8_S8_S8_ffiiiiiiiiiiiii,@function
_ZN5aiter35fused_qk_rmsnorm_group_quant_kernelIDF16_DB8_Li64ELi8ELi16ELb1ELb1ELb1ELb1ELb0ELb0EEEvPT0_PvPT_S6_S6_PKS5_S8_S8_S8_S8_ffiiiiiiiiiiiii: ; @_ZN5aiter35fused_qk_rmsnorm_group_quant_kernelIDF16_DB8_Li64ELi8ELi16ELb1ELb1ELb1ELb1ELb0ELb0EEEvPT0_PvPT_S6_S6_PKS5_S8_S8_S8_S8_ffiiiiiiiiiiiii
; %bb.0:
	s_load_dwordx8 s[8:15], s[4:5], 0x50
	s_waitcnt lgkmcnt(0)
	s_cmp_ge_i32 s6, s10
	s_cbranch_scc1 .LBB97_15
; %bb.1:
	s_cmp_lg_u32 s7, 0
	s_cselect_b64 s[18:19], -1, 0
	s_cmp_eq_u32 s7, 0
	s_cselect_b64 s[20:21], -1, 0
	s_and_b64 s[0:1], s[20:21], exec
	s_cselect_b32 s7, s11, s12
	s_load_dwordx2 s[2:3], s[4:5], 0x30
	s_load_dwordx2 s[16:17], s[4:5], 0x48
	s_add_i32 s0, s7, 1
	s_lshr_b32 s1, s0, 31
	s_add_i32 s0, s0, s1
	s_lshl_b32 s0, s0, 1
	v_lshlrev_b32_e32 v1, 3, v0
	s_and_b32 s26, s0, -4
	v_cmp_gt_i32_e64 s[0:1], s7, v1
	v_mov_b32_e32 v2, 0
	v_mov_b32_e32 v3, 0
	;; [unrolled: 1-line block ×8, first 2 shown]
	s_and_saveexec_b64 s[10:11], s[0:1]
	s_cbranch_execz .LBB97_3
; %bb.2:
	s_load_dwordx2 s[22:23], s[4:5], 0x28
	s_load_dwordx2 s[24:25], s[4:5], 0x40
	s_and_b64 s[28:29], s[20:21], exec
	s_cselect_b32 s13, s13, s14
	v_lshlrev_b32_e32 v10, 4, v0
	s_waitcnt lgkmcnt(0)
	s_cselect_b32 s27, s23, s3
	s_cselect_b32 s28, s22, s2
	s_mul_hi_i32 s23, s13, s6
	s_mul_i32 s22, s13, s6
	s_lshl_b64 s[22:23], s[22:23], 1
	s_add_u32 s28, s28, s22
	s_addc_u32 s13, s27, s23
	s_and_b64 s[20:21], s[20:21], exec
	s_mov_b32 s27, 0x20000
	s_cselect_b32 s24, s24, s16
	s_cselect_b32 s20, s25, s17
	s_and_b32 s29, s13, 0xffff
	s_mov_b32 s30, s26
	s_mov_b32 s31, s27
	s_and_b32 s25, s20, 0xffff
	buffer_load_dwordx4 v[6:9], v10, s[28:31], 0 offen glc slc
	buffer_load_dwordx4 v[2:5], v10, s[24:27], 0 offen
.LBB97_3:
	s_or_b64 exec, exec, s[10:11]
	s_load_dwordx4 s[20:23], s[4:5], 0x7c
	s_and_b64 vcc, exec, s[18:19]
	s_cbranch_vccz .LBB97_7
; %bb.4:
	v_mov_b32_e32 v13, 0
	v_mov_b32_e32 v12, 0
	;; [unrolled: 1-line block ×8, first 2 shown]
	s_and_saveexec_b64 s[10:11], s[0:1]
	s_cbranch_execz .LBB97_6
; %bb.5:
	s_waitcnt vmcnt(1)
	v_cvt_f32_f16_sdwa v11, v6 dst_sel:DWORD dst_unused:UNUSED_PAD src0_sel:WORD_1
	v_cvt_f32_f16_e32 v10, v6
	v_cvt_f32_f16_sdwa v17, v7 dst_sel:DWORD dst_unused:UNUSED_PAD src0_sel:WORD_1
	v_cvt_f32_f16_e32 v16, v7
	;; [unrolled: 2-line block ×4, first 2 shown]
.LBB97_6:
	s_or_b64 exec, exec, s[10:11]
	s_mov_b32 s13, s9
	s_cbranch_execz .LBB97_8
	s_branch .LBB97_11
.LBB97_7:
                                        ; implicit-def: $vgpr13
                                        ; implicit-def: $vgpr15
                                        ; implicit-def: $vgpr17
                                        ; implicit-def: $vgpr11
	s_mov_b32 s13, s9
.LBB97_8:
	v_mov_b32_e32 v13, 0
	v_mov_b32_e32 v12, 0
	;; [unrolled: 1-line block ×8, first 2 shown]
	s_and_saveexec_b64 s[10:11], s[0:1]
	s_cbranch_execz .LBB97_10
; %bb.9:
	s_load_dwordx2 s[24:25], s[4:5], 0x38
	s_mul_hi_i32 s29, s15, s6
	s_mul_i32 s28, s15, s6
	s_lshl_b64 s[28:29], s[28:29], 1
	s_mov_b32 s27, 0x20000
	s_waitcnt lgkmcnt(0)
	s_add_u32 s24, s24, s28
	s_addc_u32 s13, s25, s29
	s_and_b32 s25, s13, 0xffff
	v_lshlrev_b32_e32 v24, 4, v0
	buffer_load_dwordx4 v[10:13], v24, s[24:27], 0 offen glc slc
	s_waitcnt vmcnt(2)
	v_cvt_f32_f16_sdwa v15, v6 dst_sel:DWORD dst_unused:UNUSED_PAD src0_sel:WORD_1
	v_cvt_f32_f16_e32 v14, v6
	v_cvt_f32_f16_sdwa v17, v7 dst_sel:DWORD dst_unused:UNUSED_PAD src0_sel:WORD_1
	v_cvt_f32_f16_e32 v16, v7
	;; [unrolled: 2-line block ×4, first 2 shown]
	s_load_dwordx2 s[24:25], s[4:5], 0x20
	s_mul_hi_i32 s23, s22, s6
	s_mul_i32 s22, s22, s6
	s_lshl_b64 s[22:23], s[22:23], 1
	s_waitcnt lgkmcnt(0)
	s_add_u32 s24, s24, s22
	s_addc_u32 s13, s25, s23
	s_and_b32 s25, s13, 0xffff
	s_waitcnt vmcnt(0)
	v_cvt_f32_f16_e32 v8, v10
	v_cvt_f32_f16_sdwa v9, v10 dst_sel:DWORD dst_unused:UNUSED_PAD src0_sel:WORD_1
	v_cvt_f32_f16_e32 v20, v11
	v_cvt_f32_f16_sdwa v21, v11 dst_sel:DWORD dst_unused:UNUSED_PAD src0_sel:WORD_1
	;; [unrolled: 2-line block ×4, first 2 shown]
	v_pk_add_f32 v[10:11], v[14:15], v[8:9]
	v_pk_add_f32 v[16:17], v[16:17], v[20:21]
	;; [unrolled: 1-line block ×4, first 2 shown]
	v_cvt_f16_f32_e32 v6, v11
	v_cvt_f16_f32_e32 v7, v17
	;; [unrolled: 1-line block ×8, first 2 shown]
	v_pack_b32_f16 v9, v18, v9
	v_pack_b32_f16 v8, v19, v8
	;; [unrolled: 1-line block ×4, first 2 shown]
	buffer_store_dwordx4 v[6:9], v24, s[24:27], 0 offen glc slc
	;;#ASMSTART
	s_nop 0
	;;#ASMEND
.LBB97_10:
	s_or_b64 exec, exec, s[10:11]
	s_mov_b32 s13, s8
.LBB97_11:
	s_waitcnt vmcnt(1)
	v_mul_f32_e32 v6, v11, v11
	v_fmac_f32_e32 v6, v10, v10
	v_fmac_f32_e32 v6, v16, v16
	v_fmac_f32_e32 v6, v17, v17
	v_fmac_f32_e32 v6, v14, v14
	v_fmac_f32_e32 v6, v15, v15
	v_fmac_f32_e32 v6, v12, v12
	v_fmac_f32_e32 v6, v13, v13
	v_bfrev_b32_e32 v8, 0.5
	s_load_dwordx2 s[10:11], s[4:5], 0x18
	v_mov_b32_dpp v7, v6 quad_perm:[1,0,3,2] row_mask:0xf bank_mask:0xf
	v_add_f32_e32 v6, v6, v7
	s_nop 1
	v_mov_b32_dpp v7, v6 quad_perm:[2,3,0,1] row_mask:0xf bank_mask:0xf
	v_add_f32_e32 v6, v6, v7
	s_nop 1
	v_mov_b32_dpp v7, v6 row_half_mirror row_mask:0xf bank_mask:0xf
	v_add_f32_e32 v6, v6, v7
	s_nop 1
	v_mov_b32_dpp v7, v6 row_mirror row_mask:0xf bank_mask:0xf
	v_add_f32_e32 v6, v6, v7
	s_nop 1
	v_mov_b32_dpp v7, v6 row_bcast:15 row_mask:0xf bank_mask:0xf
	v_add_f32_e32 v6, v6, v7
	s_nop 1
	v_mov_b32_dpp v7, v6 row_bcast:31 row_mask:0xf bank_mask:0xf
	v_add_f32_e32 v6, v6, v7
	v_mbcnt_lo_u32_b32 v7, -1, 0
	v_mbcnt_hi_u32_b32 v7, -1, v7
	v_lshl_or_b32 v18, v7, 2, v8
	ds_bpermute_b32 v6, v18, v6
	s_waitcnt lgkmcnt(0)
	s_and_saveexec_b64 s[22:23], s[0:1]
	s_cbranch_execnz .LBB97_16
; %bb.12:
	s_or_b64 exec, exec, s[22:23]
	s_mov_b64 s[22:23], -1
	s_and_b64 vcc, exec, s[18:19]
	s_cbranch_vccnz .LBB97_17
.LBB97_13:
	s_andn2_b64 vcc, exec, s[22:23]
	s_cbranch_vccz .LBB97_20
.LBB97_14:
	s_cmp_lt_i32 s12, 1
	s_cbranch_scc0 .LBB97_23
.LBB97_15:
	s_endpgm
.LBB97_16:
	v_cvt_f32_u32_e32 v7, s7
	s_mov_b32 s7, 0x800000
	v_div_scale_f32 v8, s[24:25], v7, v7, v6
	v_rcp_f32_e32 v9, v8
	v_div_scale_f32 v19, vcc, v6, v7, v6
	v_fma_f32 v20, -v8, v9, 1.0
	v_fmac_f32_e32 v9, v20, v9
	v_mul_f32_e32 v20, v19, v9
	v_fma_f32 v21, -v8, v20, v19
	v_fmac_f32_e32 v20, v21, v9
	v_fma_f32 v8, -v8, v20, v19
	v_div_fmas_f32 v8, v8, v9, v20
	v_div_fixup_f32 v6, v8, v7, v6
	v_add_f32_e32 v6, s13, v6
	v_mul_f32_e32 v7, 0x4b800000, v6
	v_cmp_gt_f32_e32 vcc, s7, v6
	v_cndmask_b32_e32 v6, v6, v7, vcc
	v_rsq_f32_e32 v6, v6
	s_waitcnt vmcnt(0)
	v_cvt_f32_f16_sdwa v7, v2 dst_sel:DWORD dst_unused:UNUSED_PAD src0_sel:WORD_1
	v_cvt_f32_f16_sdwa v21, v3 dst_sel:DWORD dst_unused:UNUSED_PAD src0_sel:WORD_1
	v_cvt_f32_f16_e32 v20, v3
	v_mul_f32_e32 v8, 0x45800000, v6
	v_cndmask_b32_e32 v8, v6, v8, vcc
	v_mov_b32_e32 v9, v8
	;;#ASMSTART
	v_pk_mul_f32 v[10:11], v[10:11], v[8:9]
	;;#ASMEND
	;;#ASMSTART
	v_pk_mul_f32 v[16:17], v[16:17], v[8:9]
	;;#ASMEND
	;; [unrolled: 3-line block ×3, first 2 shown]
	v_cvt_f32_f16_e32 v6, v2
	;;#ASMSTART
	v_pk_mul_f32 v[2:3], v[12:13], v[8:9]
	;;#ASMEND
	v_cvt_f32_f16_sdwa v9, v4 dst_sel:DWORD dst_unused:UNUSED_PAD src0_sel:WORD_1
	v_cvt_f32_f16_e32 v8, v4
	v_cvt_f32_f16_sdwa v13, v5 dst_sel:DWORD dst_unused:UNUSED_PAD src0_sel:WORD_1
	v_cvt_f32_f16_e32 v12, v5
	v_pk_add_f32 v[6:7], v[6:7], 1.0 op_sel_hi:[1,0]
	v_pk_add_f32 v[4:5], v[8:9], 1.0 op_sel_hi:[1,0]
	;;#ASMSTART
	v_pk_mul_f32 v[10:11], v[10:11], v[6:7]
	;;#ASMEND
	v_pk_add_f32 v[6:7], v[20:21], 1.0 op_sel_hi:[1,0]
	;;#ASMSTART
	v_pk_mul_f32 v[16:17], v[16:17], v[6:7]
	;;#ASMEND
	;;#ASMSTART
	v_pk_mul_f32 v[14:15], v[14:15], v[4:5]
	;;#ASMEND
	v_pk_add_f32 v[4:5], v[12:13], 1.0 op_sel_hi:[1,0]
	;;#ASMSTART
	v_pk_mul_f32 v[12:13], v[2:3], v[4:5]
	;;#ASMEND
	s_or_b64 exec, exec, s[22:23]
	s_mov_b64 s[22:23], -1
	s_and_b64 vcc, exec, s[18:19]
	s_cbranch_vccz .LBB97_13
.LBB97_17:
	s_and_saveexec_b64 s[18:19], s[0:1]
	s_cbranch_execz .LBB97_19
; %bb.18:
	s_mul_hi_i32 s23, s21, s6
	s_mul_i32 s22, s21, s6
	s_waitcnt vmcnt(0)
	v_cvt_f16_f32_e32 v2, v10
	v_cvt_f16_f32_e32 v3, v16
	;; [unrolled: 1-line block ×8, first 2 shown]
	s_lshl_b64 s[22:23], s[22:23], 1
	s_add_u32 s24, s10, s22
	s_addc_u32 s7, s11, s23
	s_and_b32 s25, s7, 0xffff
	s_mov_b32 s27, 0x20000
	v_pack_b32_f16 v5, v5, v6
	v_pack_b32_f16 v4, v4, v7
	;; [unrolled: 1-line block ×4, first 2 shown]
	v_lshlrev_b32_e32 v6, 4, v0
	buffer_store_dwordx4 v[2:5], v6, s[24:27], 0 offen
	;;#ASMSTART
	s_nop 0
	;;#ASMEND
.LBB97_19:
	s_or_b64 exec, exec, s[18:19]
	s_cbranch_execnz .LBB97_14
.LBB97_20:
	s_and_saveexec_b64 s[18:19], s[0:1]
	s_cbranch_execz .LBB97_22
; %bb.21:
	s_load_dwordx2 s[0:1], s[4:5], 0x10
	s_mul_hi_i32 s23, s20, s6
	s_mul_i32 s22, s20, s6
	s_waitcnt vmcnt(0)
	v_cvt_f16_f32_e32 v2, v10
	v_cvt_f16_f32_e32 v3, v16
	;; [unrolled: 1-line block ×8, first 2 shown]
	s_lshl_b64 s[22:23], s[22:23], 1
	s_waitcnt lgkmcnt(0)
	s_add_u32 s24, s0, s22
	s_addc_u32 s0, s1, s23
	s_mov_b32 s27, 0x20000
	s_and_b32 s25, s0, 0xffff
	v_pack_b32_f16 v5, v5, v6
	v_pack_b32_f16 v4, v4, v7
	;; [unrolled: 1-line block ×4, first 2 shown]
	v_lshlrev_b32_e32 v6, 4, v0
	buffer_store_dwordx4 v[2:5], v6, s[24:27], 0 offen
	;;#ASMSTART
	s_nop 0
	;;#ASMEND
.LBB97_22:
	s_or_b64 exec, exec, s[18:19]
	s_cmp_lt_i32 s12, 1
	s_cbranch_scc1 .LBB97_15
.LBB97_23:
	s_load_dword s0, s[4:5], 0x94
	s_waitcnt lgkmcnt(0)
	s_cmp_lg_u32 s0, 1
	s_cbranch_scc1 .LBB97_15
; %bb.24:
	s_lshl_b32 s0, s12, 1
	s_add_i32 s0, s0, 2
	v_cmp_gt_u32_e32 vcc, s12, v1
	s_and_b32 s18, s0, -4
	v_mov_b32_e32 v8, 0
	v_lshlrev_b32_e32 v16, 4, v0
	s_waitcnt vmcnt(0)
	v_mov_b32_e32 v4, 0
	v_mov_b32_e32 v5, 0
	;; [unrolled: 1-line block ×8, first 2 shown]
	s_barrier
	s_and_saveexec_b64 s[0:1], vcc
	s_cbranch_execz .LBB97_26
; %bb.25:
	s_mul_hi_i32 s5, s14, s6
	s_mul_i32 s4, s14, s6
	s_and_b32 s17, s17, 0xffff
	s_lshl_b64 s[4:5], s[4:5], 1
	s_add_u32 s24, s2, s4
	s_mov_b32 s19, 0x20000
	s_addc_u32 s2, s3, s5
	s_and_b32 s25, s2, 0xffff
	s_mov_b32 s26, s18
	s_mov_b32 s27, s19
	buffer_load_dwordx4 v[4:7], v16, s[24:27], 0 offen glc slc
	buffer_load_dwordx4 v[0:3], v16, s[16:19], 0 offen
.LBB97_26:
	s_or_b64 exec, exec, s[0:1]
	v_mov_b32_e32 v9, 0
	v_mov_b32_e32 v12, 0
	;; [unrolled: 1-line block ×7, first 2 shown]
	s_and_saveexec_b64 s[0:1], vcc
	s_cbranch_execz .LBB97_28
; %bb.27:
	s_waitcnt vmcnt(1)
	v_cvt_f32_f16_sdwa v9, v4 dst_sel:DWORD dst_unused:UNUSED_PAD src0_sel:WORD_1
	v_cvt_f32_f16_e32 v8, v4
	v_cvt_f32_f16_sdwa v13, v5 dst_sel:DWORD dst_unused:UNUSED_PAD src0_sel:WORD_1
	v_cvt_f32_f16_e32 v12, v5
	;; [unrolled: 2-line block ×4, first 2 shown]
.LBB97_28:
	s_or_b64 exec, exec, s[0:1]
	s_waitcnt vmcnt(1)
	v_mul_f32_e32 v4, v9, v9
	v_fmac_f32_e32 v4, v8, v8
	v_fmac_f32_e32 v4, v12, v12
	;; [unrolled: 1-line block ×7, first 2 shown]
	s_nop 1
	v_mov_b32_dpp v5, v4 quad_perm:[1,0,3,2] row_mask:0xf bank_mask:0xf
	v_add_f32_e32 v4, v4, v5
	s_nop 1
	v_mov_b32_dpp v5, v4 quad_perm:[2,3,0,1] row_mask:0xf bank_mask:0xf
	v_add_f32_e32 v4, v4, v5
	s_nop 1
	v_mov_b32_dpp v5, v4 row_half_mirror row_mask:0xf bank_mask:0xf
	v_add_f32_e32 v4, v4, v5
	s_nop 1
	v_mov_b32_dpp v5, v4 row_mirror row_mask:0xf bank_mask:0xf
	v_add_f32_e32 v4, v4, v5
	s_nop 1
	v_mov_b32_dpp v5, v4 row_bcast:15 row_mask:0xf bank_mask:0xf
	v_add_f32_e32 v4, v4, v5
	s_nop 1
	v_mov_b32_dpp v5, v4 row_bcast:31 row_mask:0xf bank_mask:0xf
	v_add_f32_e32 v4, v4, v5
	ds_bpermute_b32 v4, v18, v4
	s_and_saveexec_b64 s[0:1], vcc
	s_cbranch_execz .LBB97_15
; %bb.29:
	v_cvt_f32_u32_e32 v5, s12
	s_mov_b32 s19, 0x20000
	s_waitcnt lgkmcnt(0)
	v_div_scale_f32 v6, s[0:1], v5, v5, v4
	v_rcp_f32_e32 v7, v6
	v_div_scale_f32 v17, vcc, v4, v5, v4
	s_mov_b32 s0, 0x800000
	v_fma_f32 v18, -v6, v7, 1.0
	v_fmac_f32_e32 v7, v18, v7
	v_mul_f32_e32 v18, v17, v7
	v_fma_f32 v19, -v6, v18, v17
	v_fmac_f32_e32 v18, v19, v7
	v_fma_f32 v6, -v6, v18, v17
	v_div_fmas_f32 v6, v6, v7, v18
	v_div_fixup_f32 v4, v6, v5, v4
	v_add_f32_e32 v4, s9, v4
	v_mul_f32_e32 v5, 0x4b800000, v4
	v_cmp_gt_f32_e32 vcc, s0, v4
	v_cndmask_b32_e32 v4, v4, v5, vcc
	v_rsq_f32_e32 v4, v4
	s_waitcnt vmcnt(0)
	v_cvt_f32_f16_sdwa v5, v0 dst_sel:DWORD dst_unused:UNUSED_PAD src0_sel:WORD_1
	v_cvt_f32_f16_sdwa v19, v1 dst_sel:DWORD dst_unused:UNUSED_PAD src0_sel:WORD_1
	v_cvt_f32_f16_e32 v18, v1
	v_mul_f32_e32 v6, 0x45800000, v4
	v_cndmask_b32_e32 v6, v4, v6, vcc
	v_cvt_f32_f16_e32 v4, v0
	v_mov_b32_e32 v7, v6
	;;#ASMSTART
	v_pk_mul_f32 v[8:9], v[8:9], v[6:7]
	;;#ASMEND
	;;#ASMSTART
	v_pk_mul_f32 v[12:13], v[12:13], v[6:7]
	;;#ASMEND
	v_pk_add_f32 v[4:5], v[4:5], 1.0 op_sel_hi:[1,0]
	;;#ASMSTART
	v_pk_mul_f32 v[14:15], v[14:15], v[6:7]
	;;#ASMEND
	;;#ASMSTART
	v_pk_mul_f32 v[0:1], v[10:11], v[6:7]
	;;#ASMEND
	;;#ASMSTART
	v_pk_mul_f32 v[4:5], v[8:9], v[4:5]
	;;#ASMEND
	v_cvt_f32_f16_sdwa v9, v2 dst_sel:DWORD dst_unused:UNUSED_PAD src0_sel:WORD_1
	v_cvt_f32_f16_e32 v8, v2
	v_cvt_f32_f16_sdwa v11, v3 dst_sel:DWORD dst_unused:UNUSED_PAD src0_sel:WORD_1
	v_cvt_f32_f16_e32 v10, v3
	v_pk_add_f32 v[6:7], v[18:19], 1.0 op_sel_hi:[1,0]
	;;#ASMSTART
	v_pk_mul_f32 v[2:3], v[12:13], v[6:7]
	;;#ASMEND
	v_pk_add_f32 v[6:7], v[8:9], 1.0 op_sel_hi:[1,0]
	;;#ASMSTART
	v_pk_mul_f32 v[6:7], v[14:15], v[6:7]
	;;#ASMEND
	;; [unrolled: 4-line block ×3, first 2 shown]
	s_mul_hi_i32 s1, s21, s6
	s_mul_i32 s0, s21, s6
	v_cvt_f16_f32_e32 v4, v4
	v_cvt_f16_f32_e32 v5, v5
	v_cvt_f16_f32_e32 v2, v2
	v_cvt_f16_f32_e32 v3, v3
	v_cvt_f16_f32_e32 v6, v6
	v_cvt_f16_f32_e32 v7, v7
	v_cvt_f16_f32_e32 v8, v0
	v_cvt_f16_f32_e32 v9, v1
	s_lshl_b64 s[0:1], s[0:1], 1
	s_add_u32 s16, s10, s0
	s_addc_u32 s0, s11, s1
	s_and_b32 s17, s0, 0xffff
	v_pack_b32_f16 v0, v4, v5
	v_pack_b32_f16 v1, v2, v3
	;; [unrolled: 1-line block ×4, first 2 shown]
	buffer_store_dwordx4 v[0:3], v16, s[16:19], 0 offen
	;;#ASMSTART
	s_nop 0
	;;#ASMEND
	s_endpgm
	.section	.rodata,"a",@progbits
	.p2align	6, 0x0
	.amdhsa_kernel _ZN5aiter35fused_qk_rmsnorm_group_quant_kernelIDF16_DB8_Li64ELi8ELi16ELb1ELb1ELb1ELb1ELb0ELb0EEEvPT0_PvPT_S6_S6_PKS5_S8_S8_S8_S8_ffiiiiiiiiiiiii
		.amdhsa_group_segment_fixed_size 0
		.amdhsa_private_segment_fixed_size 0
		.amdhsa_kernarg_size 400
		.amdhsa_user_sgpr_count 6
		.amdhsa_user_sgpr_private_segment_buffer 1
		.amdhsa_user_sgpr_dispatch_ptr 0
		.amdhsa_user_sgpr_queue_ptr 0
		.amdhsa_user_sgpr_kernarg_segment_ptr 1
		.amdhsa_user_sgpr_dispatch_id 0
		.amdhsa_user_sgpr_flat_scratch_init 0
		.amdhsa_user_sgpr_kernarg_preload_length 0
		.amdhsa_user_sgpr_kernarg_preload_offset 0
		.amdhsa_user_sgpr_private_segment_size 0
		.amdhsa_uses_dynamic_stack 0
		.amdhsa_system_sgpr_private_segment_wavefront_offset 0
		.amdhsa_system_sgpr_workgroup_id_x 1
		.amdhsa_system_sgpr_workgroup_id_y 1
		.amdhsa_system_sgpr_workgroup_id_z 0
		.amdhsa_system_sgpr_workgroup_info 0
		.amdhsa_system_vgpr_workitem_id 0
		.amdhsa_next_free_vgpr 25
		.amdhsa_next_free_sgpr 32
		.amdhsa_accum_offset 28
		.amdhsa_reserve_vcc 1
		.amdhsa_reserve_flat_scratch 0
		.amdhsa_float_round_mode_32 0
		.amdhsa_float_round_mode_16_64 0
		.amdhsa_float_denorm_mode_32 3
		.amdhsa_float_denorm_mode_16_64 3
		.amdhsa_dx10_clamp 1
		.amdhsa_ieee_mode 1
		.amdhsa_fp16_overflow 0
		.amdhsa_tg_split 0
		.amdhsa_exception_fp_ieee_invalid_op 0
		.amdhsa_exception_fp_denorm_src 0
		.amdhsa_exception_fp_ieee_div_zero 0
		.amdhsa_exception_fp_ieee_overflow 0
		.amdhsa_exception_fp_ieee_underflow 0
		.amdhsa_exception_fp_ieee_inexact 0
		.amdhsa_exception_int_div_zero 0
	.end_amdhsa_kernel
	.section	.text._ZN5aiter35fused_qk_rmsnorm_group_quant_kernelIDF16_DB8_Li64ELi8ELi16ELb1ELb1ELb1ELb1ELb0ELb0EEEvPT0_PvPT_S6_S6_PKS5_S8_S8_S8_S8_ffiiiiiiiiiiiii,"axG",@progbits,_ZN5aiter35fused_qk_rmsnorm_group_quant_kernelIDF16_DB8_Li64ELi8ELi16ELb1ELb1ELb1ELb1ELb0ELb0EEEvPT0_PvPT_S6_S6_PKS5_S8_S8_S8_S8_ffiiiiiiiiiiiii,comdat
.Lfunc_end97:
	.size	_ZN5aiter35fused_qk_rmsnorm_group_quant_kernelIDF16_DB8_Li64ELi8ELi16ELb1ELb1ELb1ELb1ELb0ELb0EEEvPT0_PvPT_S6_S6_PKS5_S8_S8_S8_S8_ffiiiiiiiiiiiii, .Lfunc_end97-_ZN5aiter35fused_qk_rmsnorm_group_quant_kernelIDF16_DB8_Li64ELi8ELi16ELb1ELb1ELb1ELb1ELb0ELb0EEEvPT0_PvPT_S6_S6_PKS5_S8_S8_S8_S8_ffiiiiiiiiiiiii
                                        ; -- End function
	.section	.AMDGPU.csdata,"",@progbits
; Kernel info:
; codeLenInByte = 2352
; NumSgprs: 36
; NumVgprs: 25
; NumAgprs: 0
; TotalNumVgprs: 25
; ScratchSize: 0
; MemoryBound: 0
; FloatMode: 240
; IeeeMode: 1
; LDSByteSize: 0 bytes/workgroup (compile time only)
; SGPRBlocks: 4
; VGPRBlocks: 3
; NumSGPRsForWavesPerEU: 36
; NumVGPRsForWavesPerEU: 25
; AccumOffset: 28
; Occupancy: 8
; WaveLimiterHint : 0
; COMPUTE_PGM_RSRC2:SCRATCH_EN: 0
; COMPUTE_PGM_RSRC2:USER_SGPR: 6
; COMPUTE_PGM_RSRC2:TRAP_HANDLER: 0
; COMPUTE_PGM_RSRC2:TGID_X_EN: 1
; COMPUTE_PGM_RSRC2:TGID_Y_EN: 1
; COMPUTE_PGM_RSRC2:TGID_Z_EN: 0
; COMPUTE_PGM_RSRC2:TIDIG_COMP_CNT: 0
; COMPUTE_PGM_RSRC3_GFX90A:ACCUM_OFFSET: 6
; COMPUTE_PGM_RSRC3_GFX90A:TG_SPLIT: 0
	.section	.text._ZN5aiter35fused_qk_rmsnorm_group_quant_kernelItDB8_Li64ELi8ELi16ELb1ELb1ELb1ELb1ELb0ELb0EEEvPT0_PvPT_S6_S6_PKS5_S8_S8_S8_S8_ffiiiiiiiiiiiii,"axG",@progbits,_ZN5aiter35fused_qk_rmsnorm_group_quant_kernelItDB8_Li64ELi8ELi16ELb1ELb1ELb1ELb1ELb0ELb0EEEvPT0_PvPT_S6_S6_PKS5_S8_S8_S8_S8_ffiiiiiiiiiiiii,comdat
	.protected	_ZN5aiter35fused_qk_rmsnorm_group_quant_kernelItDB8_Li64ELi8ELi16ELb1ELb1ELb1ELb1ELb0ELb0EEEvPT0_PvPT_S6_S6_PKS5_S8_S8_S8_S8_ffiiiiiiiiiiiii ; -- Begin function _ZN5aiter35fused_qk_rmsnorm_group_quant_kernelItDB8_Li64ELi8ELi16ELb1ELb1ELb1ELb1ELb0ELb0EEEvPT0_PvPT_S6_S6_PKS5_S8_S8_S8_S8_ffiiiiiiiiiiiii
	.globl	_ZN5aiter35fused_qk_rmsnorm_group_quant_kernelItDB8_Li64ELi8ELi16ELb1ELb1ELb1ELb1ELb0ELb0EEEvPT0_PvPT_S6_S6_PKS5_S8_S8_S8_S8_ffiiiiiiiiiiiii
	.p2align	8
	.type	_ZN5aiter35fused_qk_rmsnorm_group_quant_kernelItDB8_Li64ELi8ELi16ELb1ELb1ELb1ELb1ELb0ELb0EEEvPT0_PvPT_S6_S6_PKS5_S8_S8_S8_S8_ffiiiiiiiiiiiii,@function
_ZN5aiter35fused_qk_rmsnorm_group_quant_kernelItDB8_Li64ELi8ELi16ELb1ELb1ELb1ELb1ELb0ELb0EEEvPT0_PvPT_S6_S6_PKS5_S8_S8_S8_S8_ffiiiiiiiiiiiii: ; @_ZN5aiter35fused_qk_rmsnorm_group_quant_kernelItDB8_Li64ELi8ELi16ELb1ELb1ELb1ELb1ELb0ELb0EEEvPT0_PvPT_S6_S6_PKS5_S8_S8_S8_S8_ffiiiiiiiiiiiii
; %bb.0:
	s_load_dwordx8 s[8:15], s[4:5], 0x50
	s_waitcnt lgkmcnt(0)
	s_cmp_ge_i32 s6, s10
	s_cbranch_scc1 .LBB98_15
; %bb.1:
	s_cmp_lg_u32 s7, 0
	s_cselect_b64 s[18:19], -1, 0
	s_cmp_eq_u32 s7, 0
	s_cselect_b64 s[20:21], -1, 0
	s_and_b64 s[0:1], s[20:21], exec
	s_cselect_b32 s7, s11, s12
	s_load_dwordx2 s[2:3], s[4:5], 0x30
	s_load_dwordx2 s[16:17], s[4:5], 0x48
	s_add_i32 s0, s7, 1
	s_lshr_b32 s1, s0, 31
	s_add_i32 s0, s0, s1
	s_lshl_b32 s0, s0, 1
	v_lshlrev_b32_e32 v1, 3, v0
	s_and_b32 s26, s0, -4
	v_cmp_gt_i32_e64 s[0:1], s7, v1
	v_mov_b32_e32 v10, 0
	v_mov_b32_e32 v11, 0
	;; [unrolled: 1-line block ×8, first 2 shown]
	s_and_saveexec_b64 s[10:11], s[0:1]
	s_cbranch_execz .LBB98_3
; %bb.2:
	s_load_dwordx2 s[22:23], s[4:5], 0x28
	s_load_dwordx2 s[24:25], s[4:5], 0x40
	s_and_b64 s[28:29], s[20:21], exec
	s_cselect_b32 s13, s13, s14
	v_lshlrev_b32_e32 v2, 4, v0
	s_waitcnt lgkmcnt(0)
	s_cselect_b32 s27, s23, s3
	s_cselect_b32 s28, s22, s2
	s_mul_hi_i32 s23, s13, s6
	s_mul_i32 s22, s13, s6
	s_lshl_b64 s[22:23], s[22:23], 1
	s_add_u32 s28, s28, s22
	s_addc_u32 s13, s27, s23
	s_and_b64 s[20:21], s[20:21], exec
	s_mov_b32 s27, 0x20000
	s_cselect_b32 s24, s24, s16
	s_cselect_b32 s20, s25, s17
	s_and_b32 s29, s13, 0xffff
	s_mov_b32 s30, s26
	s_mov_b32 s31, s27
	s_and_b32 s25, s20, 0xffff
	buffer_load_dwordx4 v[14:17], v2, s[28:31], 0 offen glc slc
	buffer_load_dwordx4 v[10:13], v2, s[24:27], 0 offen
.LBB98_3:
	s_or_b64 exec, exec, s[10:11]
	s_load_dwordx4 s[20:23], s[4:5], 0x7c
	s_and_b64 vcc, exec, s[18:19]
	s_cbranch_vccz .LBB98_7
; %bb.4:
	s_mov_b32 s36, 0
	s_mov_b32 s37, s36
	;; [unrolled: 1-line block ×8, first 2 shown]
	v_pk_mov_b32 v[2:3], s[36:37], s[36:37] op_sel:[0,1]
	v_pk_mov_b32 v[4:5], s[38:39], s[38:39] op_sel:[0,1]
	;; [unrolled: 1-line block ×4, first 2 shown]
	s_and_saveexec_b64 s[10:11], s[0:1]
	s_cbranch_execz .LBB98_6
; %bb.5:
	s_waitcnt vmcnt(1)
	v_cvt_f32_u32_sdwa v3, v14 dst_sel:DWORD dst_unused:UNUSED_PAD src0_sel:WORD_1
	v_cvt_f32_u32_sdwa v2, v14 dst_sel:DWORD dst_unused:UNUSED_PAD src0_sel:WORD_0
	v_cvt_f32_u32_sdwa v5, v15 dst_sel:DWORD dst_unused:UNUSED_PAD src0_sel:WORD_1
	v_cvt_f32_u32_sdwa v4, v15 dst_sel:DWORD dst_unused:UNUSED_PAD src0_sel:WORD_0
	;; [unrolled: 2-line block ×4, first 2 shown]
.LBB98_6:
	s_or_b64 exec, exec, s[10:11]
	s_mov_b32 s13, s9
	s_cbranch_execz .LBB98_8
	s_branch .LBB98_11
.LBB98_7:
                                        ; implicit-def: $vgpr2_vgpr3_vgpr4_vgpr5_vgpr6_vgpr7_vgpr8_vgpr9
	s_mov_b32 s13, s9
.LBB98_8:
	s_mov_b32 s36, 0
	s_mov_b32 s37, s36
	;; [unrolled: 1-line block ×8, first 2 shown]
	v_pk_mov_b32 v[2:3], s[36:37], s[36:37] op_sel:[0,1]
	v_pk_mov_b32 v[4:5], s[38:39], s[38:39] op_sel:[0,1]
	v_pk_mov_b32 v[6:7], s[40:41], s[40:41] op_sel:[0,1]
	v_pk_mov_b32 v[8:9], s[42:43], s[42:43] op_sel:[0,1]
	s_and_saveexec_b64 s[10:11], s[0:1]
	s_cbranch_execz .LBB98_10
; %bb.9:
	s_load_dwordx2 s[24:25], s[4:5], 0x38
	s_mul_hi_i32 s29, s15, s6
	s_mul_i32 s28, s15, s6
	s_lshl_b64 s[28:29], s[28:29], 1
	s_mov_b32 s27, 0x20000
	s_waitcnt lgkmcnt(0)
	s_add_u32 s24, s24, s28
	s_addc_u32 s13, s25, s29
	s_and_b32 s25, s13, 0xffff
	v_lshlrev_b32_e32 v26, 4, v0
	buffer_load_dwordx4 v[2:5], v26, s[24:27], 0 offen glc slc
	s_load_dwordx2 s[24:25], s[4:5], 0x20
	s_waitcnt vmcnt(2)
	v_cvt_f32_u32_sdwa v7, v14 dst_sel:DWORD dst_unused:UNUSED_PAD src0_sel:WORD_1
	v_cvt_f32_u32_sdwa v6, v14 dst_sel:DWORD dst_unused:UNUSED_PAD src0_sel:WORD_0
	v_cvt_f32_u32_sdwa v9, v15 dst_sel:DWORD dst_unused:UNUSED_PAD src0_sel:WORD_1
	v_cvt_f32_u32_sdwa v8, v15 dst_sel:DWORD dst_unused:UNUSED_PAD src0_sel:WORD_0
	;; [unrolled: 2-line block ×4, first 2 shown]
	s_mul_hi_i32 s23, s22, s6
	s_mul_i32 s22, s22, s6
	s_lshl_b64 s[22:23], s[22:23], 1
	s_waitcnt lgkmcnt(0)
	s_add_u32 s24, s24, s22
	s_mov_b32 s13, 0x7060302
	s_addc_u32 s15, s25, s23
	s_and_b32 s25, s15, 0xffff
	s_waitcnt vmcnt(0)
	v_cvt_f32_u32_sdwa v17, v2 dst_sel:DWORD dst_unused:UNUSED_PAD src0_sel:WORD_1
	v_cvt_f32_u32_sdwa v16, v2 dst_sel:DWORD dst_unused:UNUSED_PAD src0_sel:WORD_0
	v_cvt_f32_u32_sdwa v21, v3 dst_sel:DWORD dst_unused:UNUSED_PAD src0_sel:WORD_1
	v_cvt_f32_u32_sdwa v20, v3 dst_sel:DWORD dst_unused:UNUSED_PAD src0_sel:WORD_0
	;; [unrolled: 2-line block ×4, first 2 shown]
	v_pk_add_f32 v[2:3], v[6:7], v[16:17]
	v_pk_add_f32 v[4:5], v[8:9], v[20:21]
	;; [unrolled: 1-line block ×4, first 2 shown]
	v_perm_b32 v17, v9, v8, s13
	v_perm_b32 v16, v7, v6, s13
	;; [unrolled: 1-line block ×4, first 2 shown]
	buffer_store_dwordx4 v[14:17], v26, s[24:27], 0 offen glc slc
	;;#ASMSTART
	s_nop 0
	;;#ASMEND
.LBB98_10:
	s_or_b64 exec, exec, s[10:11]
	s_mov_b32 s13, s8
.LBB98_11:
	s_waitcnt vmcnt(1)
	v_mul_f32_e32 v14, v3, v3
	v_fmac_f32_e32 v14, v2, v2
	v_fmac_f32_e32 v14, v4, v4
	;; [unrolled: 1-line block ×7, first 2 shown]
	v_bfrev_b32_e32 v16, 0.5
	s_load_dwordx2 s[10:11], s[4:5], 0x18
	v_mov_b32_dpp v15, v14 quad_perm:[1,0,3,2] row_mask:0xf bank_mask:0xf
	v_add_f32_e32 v14, v14, v15
	s_nop 1
	v_mov_b32_dpp v15, v14 quad_perm:[2,3,0,1] row_mask:0xf bank_mask:0xf
	v_add_f32_e32 v14, v14, v15
	s_nop 1
	v_mov_b32_dpp v15, v14 row_half_mirror row_mask:0xf bank_mask:0xf
	v_add_f32_e32 v14, v14, v15
	s_nop 1
	v_mov_b32_dpp v15, v14 row_mirror row_mask:0xf bank_mask:0xf
	v_add_f32_e32 v14, v14, v15
	s_nop 1
	v_mov_b32_dpp v15, v14 row_bcast:15 row_mask:0xf bank_mask:0xf
	v_add_f32_e32 v14, v14, v15
	s_nop 1
	v_mov_b32_dpp v15, v14 row_bcast:31 row_mask:0xf bank_mask:0xf
	v_add_f32_e32 v15, v14, v15
	v_mbcnt_lo_u32_b32 v14, -1, 0
	v_mbcnt_hi_u32_b32 v14, -1, v14
	v_lshl_or_b32 v14, v14, 2, v16
	ds_bpermute_b32 v15, v14, v15
	s_waitcnt lgkmcnt(0)
	s_and_saveexec_b64 s[22:23], s[0:1]
	s_cbranch_execnz .LBB98_16
; %bb.12:
	s_or_b64 exec, exec, s[22:23]
	s_mov_b64 s[22:23], -1
	s_and_b64 vcc, exec, s[18:19]
	s_cbranch_vccnz .LBB98_17
.LBB98_13:
	s_andn2_b64 vcc, exec, s[22:23]
	s_cbranch_vccz .LBB98_20
.LBB98_14:
	s_cmp_lt_i32 s12, 1
	s_cbranch_scc0 .LBB98_23
.LBB98_15:
	s_endpgm
.LBB98_16:
	v_cvt_f32_u32_e32 v16, s7
	s_mov_b32 s7, 0x800000
	v_div_scale_f32 v17, s[24:25], v16, v16, v15
	v_rcp_f32_e32 v18, v17
	v_div_scale_f32 v19, vcc, v15, v16, v15
	v_fma_f32 v20, -v17, v18, 1.0
	v_fmac_f32_e32 v18, v20, v18
	v_mul_f32_e32 v20, v19, v18
	v_fma_f32 v21, -v17, v20, v19
	v_fmac_f32_e32 v20, v21, v18
	v_fma_f32 v17, -v17, v20, v19
	v_div_fmas_f32 v17, v17, v18, v20
	v_div_fixup_f32 v15, v17, v16, v15
	v_add_f32_e32 v15, s13, v15
	v_mul_f32_e32 v16, 0x4b800000, v15
	v_cmp_gt_f32_e32 vcc, s7, v15
	v_cndmask_b32_e32 v15, v15, v16, vcc
	v_rsq_f32_e32 v15, v15
	s_waitcnt vmcnt(0)
	v_cvt_f32_u32_sdwa v17, v10 dst_sel:DWORD dst_unused:UNUSED_PAD src0_sel:WORD_1
	v_cvt_f32_u32_sdwa v21, v11 dst_sel:DWORD dst_unused:UNUSED_PAD src0_sel:WORD_1
	v_cvt_f32_u32_sdwa v20, v11 dst_sel:DWORD dst_unused:UNUSED_PAD src0_sel:WORD_0
	v_mul_f32_e32 v16, 0x45800000, v15
	v_cndmask_b32_e32 v18, v15, v16, vcc
	v_cvt_f32_u32_sdwa v16, v10 dst_sel:DWORD dst_unused:UNUSED_PAD src0_sel:WORD_0
	v_mov_b32_e32 v19, v18
	;;#ASMSTART
	v_pk_mul_f32 v[2:3], v[2:3], v[18:19]
	;;#ASMEND
	;;#ASMSTART
	v_pk_mul_f32 v[4:5], v[4:5], v[18:19]
	;;#ASMEND
	v_pk_add_f32 v[10:11], v[16:17], 1.0 op_sel_hi:[1,0]
	v_cvt_f32_u32_sdwa v17, v12 dst_sel:DWORD dst_unused:UNUSED_PAD src0_sel:WORD_1
	v_cvt_f32_u32_sdwa v16, v12 dst_sel:DWORD dst_unused:UNUSED_PAD src0_sel:WORD_0
	;;#ASMSTART
	v_pk_mul_f32 v[6:7], v[6:7], v[18:19]
	;;#ASMEND
	;;#ASMSTART
	v_pk_mul_f32 v[8:9], v[8:9], v[18:19]
	;;#ASMEND
	v_cvt_f32_u32_sdwa v19, v13 dst_sel:DWORD dst_unused:UNUSED_PAD src0_sel:WORD_1
	v_cvt_f32_u32_sdwa v18, v13 dst_sel:DWORD dst_unused:UNUSED_PAD src0_sel:WORD_0
	;;#ASMSTART
	v_pk_mul_f32 v[2:3], v[2:3], v[10:11]
	;;#ASMEND
	v_pk_add_f32 v[10:11], v[20:21], 1.0 op_sel_hi:[1,0]
	;;#ASMSTART
	v_pk_mul_f32 v[4:5], v[4:5], v[10:11]
	;;#ASMEND
	v_pk_add_f32 v[10:11], v[16:17], 1.0 op_sel_hi:[1,0]
	;; [unrolled: 4-line block ×3, first 2 shown]
	;;#ASMSTART
	v_pk_mul_f32 v[8:9], v[8:9], v[10:11]
	;;#ASMEND
	s_or_b64 exec, exec, s[22:23]
	s_mov_b64 s[22:23], -1
	s_and_b64 vcc, exec, s[18:19]
	s_cbranch_vccz .LBB98_13
.LBB98_17:
	s_and_saveexec_b64 s[18:19], s[0:1]
	s_cbranch_execz .LBB98_19
; %bb.18:
	s_mul_hi_i32 s23, s21, s6
	s_mul_i32 s22, s21, s6
	s_lshl_b64 s[22:23], s[22:23], 1
	s_add_u32 s24, s10, s22
	s_addc_u32 s7, s11, s23
	s_and_b32 s25, s7, 0xffff
	s_mov_b32 s7, 0x7060302
	s_mov_b32 s27, 0x20000
	s_waitcnt vmcnt(0)
	v_perm_b32 v10, v3, v2, s7
	v_perm_b32 v11, v5, v4, s7
	;; [unrolled: 1-line block ×4, first 2 shown]
	v_lshlrev_b32_e32 v15, 4, v0
	buffer_store_dwordx4 v[10:13], v15, s[24:27], 0 offen
	;;#ASMSTART
	s_nop 0
	;;#ASMEND
.LBB98_19:
	s_or_b64 exec, exec, s[18:19]
	s_cbranch_execnz .LBB98_14
.LBB98_20:
	s_and_saveexec_b64 s[18:19], s[0:1]
	s_cbranch_execz .LBB98_22
; %bb.21:
	s_load_dwordx2 s[0:1], s[4:5], 0x10
	s_mul_hi_i32 s23, s20, s6
	s_mul_i32 s22, s20, s6
	s_lshl_b64 s[22:23], s[22:23], 1
	s_mov_b32 s27, 0x20000
	s_waitcnt lgkmcnt(0)
	s_add_u32 s24, s0, s22
	s_addc_u32 s0, s1, s23
	s_and_b32 s25, s0, 0xffff
	s_mov_b32 s0, 0x7060302
	v_perm_b32 v2, v3, v2, s0
	v_perm_b32 v3, v5, v4, s0
	;; [unrolled: 1-line block ×4, first 2 shown]
	v_lshlrev_b32_e32 v6, 4, v0
	buffer_store_dwordx4 v[2:5], v6, s[24:27], 0 offen
	;;#ASMSTART
	s_nop 0
	;;#ASMEND
.LBB98_22:
	s_or_b64 exec, exec, s[18:19]
	s_cmp_lt_i32 s12, 1
	s_cbranch_scc1 .LBB98_15
.LBB98_23:
	s_load_dword s0, s[4:5], 0x94
	s_waitcnt lgkmcnt(0)
	s_cmp_lg_u32 s0, 1
	s_cbranch_scc1 .LBB98_15
; %bb.24:
	s_lshl_b32 s0, s12, 1
	s_add_i32 s0, s0, 2
	v_cmp_gt_u32_e32 vcc, s12, v1
	s_and_b32 s18, s0, -4
	v_mov_b32_e32 v4, 0
	s_waitcnt vmcnt(0)
	v_lshlrev_b32_e32 v12, 4, v0
	v_mov_b32_e32 v5, 0
	v_mov_b32_e32 v6, 0
	;; [unrolled: 1-line block ×7, first 2 shown]
	s_barrier
	s_and_saveexec_b64 s[0:1], vcc
	s_cbranch_execz .LBB98_26
; %bb.25:
	s_mul_hi_i32 s5, s14, s6
	s_mul_i32 s4, s14, s6
	s_and_b32 s17, s17, 0xffff
	s_lshl_b64 s[4:5], s[4:5], 1
	s_add_u32 s24, s2, s4
	s_mov_b32 s19, 0x20000
	s_addc_u32 s2, s3, s5
	s_and_b32 s25, s2, 0xffff
	s_mov_b32 s26, s18
	s_mov_b32 s27, s19
	buffer_load_dwordx4 v[4:7], v12, s[24:27], 0 offen glc slc
	buffer_load_dwordx4 v[0:3], v12, s[16:19], 0 offen
.LBB98_26:
	s_or_b64 exec, exec, s[0:1]
	s_waitcnt vmcnt(1)
	v_cvt_f32_u32_sdwa v11, v4 dst_sel:DWORD dst_unused:UNUSED_PAD src0_sel:WORD_1
	v_cvt_f32_u32_sdwa v10, v4 dst_sel:DWORD dst_unused:UNUSED_PAD src0_sel:WORD_0
	v_cvt_f32_u32_sdwa v4, v7 dst_sel:DWORD dst_unused:UNUSED_PAD src0_sel:WORD_1
	v_cvt_f32_u32_sdwa v7, v7 dst_sel:DWORD dst_unused:UNUSED_PAD src0_sel:WORD_0
	;; [unrolled: 2-line block ×4, first 2 shown]
	v_cndmask_b32_e32 v11, 0, v11, vcc
	v_cndmask_b32_e32 v5, 0, v4, vcc
	;; [unrolled: 1-line block ×5, first 2 shown]
	v_mul_f32_e32 v13, v11, v11
	v_cndmask_b32_e32 v8, 0, v8, vcc
	v_fmac_f32_e32 v13, v10, v10
	v_cndmask_b32_e32 v9, 0, v9, vcc
	v_fmac_f32_e32 v13, v8, v8
	;; [unrolled: 2-line block ×3, first 2 shown]
	v_fmac_f32_e32 v13, v6, v6
	v_fmac_f32_e32 v13, v7, v7
	;; [unrolled: 1-line block ×4, first 2 shown]
	s_nop 1
	v_mov_b32_dpp v15, v13 quad_perm:[1,0,3,2] row_mask:0xf bank_mask:0xf
	v_add_f32_e32 v13, v13, v15
	s_nop 1
	v_mov_b32_dpp v15, v13 quad_perm:[2,3,0,1] row_mask:0xf bank_mask:0xf
	v_add_f32_e32 v13, v13, v15
	s_nop 1
	v_mov_b32_dpp v15, v13 row_half_mirror row_mask:0xf bank_mask:0xf
	v_add_f32_e32 v13, v13, v15
	s_nop 1
	v_mov_b32_dpp v15, v13 row_mirror row_mask:0xf bank_mask:0xf
	v_add_f32_e32 v13, v13, v15
	s_nop 1
	v_mov_b32_dpp v15, v13 row_bcast:15 row_mask:0xf bank_mask:0xf
	v_add_f32_e32 v13, v13, v15
	s_nop 1
	v_mov_b32_dpp v15, v13 row_bcast:31 row_mask:0xf bank_mask:0xf
	v_add_f32_e32 v13, v13, v15
	ds_bpermute_b32 v13, v14, v13
	s_and_saveexec_b64 s[0:1], vcc
	s_cbranch_execz .LBB98_15
; %bb.27:
	v_cvt_f32_u32_e32 v14, s12
	s_mov_b32 s19, 0x20000
	s_waitcnt lgkmcnt(0)
	v_div_scale_f32 v15, s[0:1], v14, v14, v13
	v_rcp_f32_e32 v16, v15
	v_div_scale_f32 v17, vcc, v13, v14, v13
	s_mov_b32 s0, 0x800000
	v_fma_f32 v18, -v15, v16, 1.0
	v_fmac_f32_e32 v16, v18, v16
	v_mul_f32_e32 v18, v17, v16
	v_fma_f32 v19, -v15, v18, v17
	v_fmac_f32_e32 v18, v19, v16
	v_fma_f32 v15, -v15, v18, v17
	v_div_fmas_f32 v15, v15, v16, v18
	v_div_fixup_f32 v13, v15, v14, v13
	v_add_f32_e32 v13, s9, v13
	v_mul_f32_e32 v14, 0x4b800000, v13
	v_cmp_gt_f32_e32 vcc, s0, v13
	v_cndmask_b32_e32 v13, v13, v14, vcc
	v_rsq_f32_e32 v13, v13
	s_waitcnt vmcnt(0)
	v_cvt_f32_u32_sdwa v15, v0 dst_sel:DWORD dst_unused:UNUSED_PAD src0_sel:WORD_1
	v_cvt_f32_u32_sdwa v19, v1 dst_sel:DWORD dst_unused:UNUSED_PAD src0_sel:WORD_1
	v_cvt_f32_u32_sdwa v18, v1 dst_sel:DWORD dst_unused:UNUSED_PAD src0_sel:WORD_0
	v_mul_f32_e32 v14, 0x45800000, v13
	v_cndmask_b32_e32 v16, v13, v14, vcc
	v_cvt_f32_u32_sdwa v14, v0 dst_sel:DWORD dst_unused:UNUSED_PAD src0_sel:WORD_0
	v_mov_b32_e32 v17, v16
	;;#ASMSTART
	v_pk_mul_f32 v[10:11], v[10:11], v[16:17]
	;;#ASMEND
	;;#ASMSTART
	v_pk_mul_f32 v[8:9], v[8:9], v[16:17]
	;;#ASMEND
	;;#ASMSTART
	v_pk_mul_f32 v[6:7], v[6:7], v[16:17]
	;;#ASMEND
	;;#ASMSTART
	v_pk_mul_f32 v[0:1], v[4:5], v[16:17]
	;;#ASMEND
	v_pk_add_f32 v[4:5], v[14:15], 1.0 op_sel_hi:[1,0]
	v_cvt_f32_u32_sdwa v15, v2 dst_sel:DWORD dst_unused:UNUSED_PAD src0_sel:WORD_1
	v_cvt_f32_u32_sdwa v14, v2 dst_sel:DWORD dst_unused:UNUSED_PAD src0_sel:WORD_0
	v_cvt_f32_u32_sdwa v17, v3 dst_sel:DWORD dst_unused:UNUSED_PAD src0_sel:WORD_1
	v_cvt_f32_u32_sdwa v16, v3 dst_sel:DWORD dst_unused:UNUSED_PAD src0_sel:WORD_0
	s_mul_hi_i32 s1, s21, s6
	s_mul_i32 s0, s21, s6
	s_lshl_b64 s[0:1], s[0:1], 1
	s_add_u32 s16, s10, s0
	;;#ASMSTART
	v_pk_mul_f32 v[4:5], v[10:11], v[4:5]
	;;#ASMEND
	v_pk_add_f32 v[10:11], v[18:19], 1.0 op_sel_hi:[1,0]
	;;#ASMSTART
	v_pk_mul_f32 v[2:3], v[8:9], v[10:11]
	;;#ASMEND
	v_pk_add_f32 v[8:9], v[14:15], 1.0 op_sel_hi:[1,0]
	s_addc_u32 s0, s11, s1
	;;#ASMSTART
	v_pk_mul_f32 v[6:7], v[6:7], v[8:9]
	;;#ASMEND
	v_pk_add_f32 v[8:9], v[16:17], 1.0 op_sel_hi:[1,0]
	s_and_b32 s17, s0, 0xffff
	s_mov_b32 s0, 0x7060302
	;;#ASMSTART
	v_pk_mul_f32 v[8:9], v[0:1], v[8:9]
	;;#ASMEND
	v_perm_b32 v0, v5, v4, s0
	v_perm_b32 v1, v3, v2, s0
	;; [unrolled: 1-line block ×4, first 2 shown]
	buffer_store_dwordx4 v[0:3], v12, s[16:19], 0 offen
	;;#ASMSTART
	s_nop 0
	;;#ASMEND
	s_endpgm
	.section	.rodata,"a",@progbits
	.p2align	6, 0x0
	.amdhsa_kernel _ZN5aiter35fused_qk_rmsnorm_group_quant_kernelItDB8_Li64ELi8ELi16ELb1ELb1ELb1ELb1ELb0ELb0EEEvPT0_PvPT_S6_S6_PKS5_S8_S8_S8_S8_ffiiiiiiiiiiiii
		.amdhsa_group_segment_fixed_size 0
		.amdhsa_private_segment_fixed_size 0
		.amdhsa_kernarg_size 400
		.amdhsa_user_sgpr_count 6
		.amdhsa_user_sgpr_private_segment_buffer 1
		.amdhsa_user_sgpr_dispatch_ptr 0
		.amdhsa_user_sgpr_queue_ptr 0
		.amdhsa_user_sgpr_kernarg_segment_ptr 1
		.amdhsa_user_sgpr_dispatch_id 0
		.amdhsa_user_sgpr_flat_scratch_init 0
		.amdhsa_user_sgpr_kernarg_preload_length 0
		.amdhsa_user_sgpr_kernarg_preload_offset 0
		.amdhsa_user_sgpr_private_segment_size 0
		.amdhsa_uses_dynamic_stack 0
		.amdhsa_system_sgpr_private_segment_wavefront_offset 0
		.amdhsa_system_sgpr_workgroup_id_x 1
		.amdhsa_system_sgpr_workgroup_id_y 1
		.amdhsa_system_sgpr_workgroup_id_z 0
		.amdhsa_system_sgpr_workgroup_info 0
		.amdhsa_system_vgpr_workitem_id 0
		.amdhsa_next_free_vgpr 27
		.amdhsa_next_free_sgpr 44
		.amdhsa_accum_offset 28
		.amdhsa_reserve_vcc 1
		.amdhsa_reserve_flat_scratch 0
		.amdhsa_float_round_mode_32 0
		.amdhsa_float_round_mode_16_64 0
		.amdhsa_float_denorm_mode_32 3
		.amdhsa_float_denorm_mode_16_64 3
		.amdhsa_dx10_clamp 1
		.amdhsa_ieee_mode 1
		.amdhsa_fp16_overflow 0
		.amdhsa_tg_split 0
		.amdhsa_exception_fp_ieee_invalid_op 0
		.amdhsa_exception_fp_denorm_src 0
		.amdhsa_exception_fp_ieee_div_zero 0
		.amdhsa_exception_fp_ieee_overflow 0
		.amdhsa_exception_fp_ieee_underflow 0
		.amdhsa_exception_fp_ieee_inexact 0
		.amdhsa_exception_int_div_zero 0
	.end_amdhsa_kernel
	.section	.text._ZN5aiter35fused_qk_rmsnorm_group_quant_kernelItDB8_Li64ELi8ELi16ELb1ELb1ELb1ELb1ELb0ELb0EEEvPT0_PvPT_S6_S6_PKS5_S8_S8_S8_S8_ffiiiiiiiiiiiii,"axG",@progbits,_ZN5aiter35fused_qk_rmsnorm_group_quant_kernelItDB8_Li64ELi8ELi16ELb1ELb1ELb1ELb1ELb0ELb0EEEvPT0_PvPT_S6_S6_PKS5_S8_S8_S8_S8_ffiiiiiiiiiiiii,comdat
.Lfunc_end98:
	.size	_ZN5aiter35fused_qk_rmsnorm_group_quant_kernelItDB8_Li64ELi8ELi16ELb1ELb1ELb1ELb1ELb0ELb0EEEvPT0_PvPT_S6_S6_PKS5_S8_S8_S8_S8_ffiiiiiiiiiiiii, .Lfunc_end98-_ZN5aiter35fused_qk_rmsnorm_group_quant_kernelItDB8_Li64ELi8ELi16ELb1ELb1ELb1ELb1ELb0ELb0EEEvPT0_PvPT_S6_S6_PKS5_S8_S8_S8_S8_ffiiiiiiiiiiiii
                                        ; -- End function
	.section	.AMDGPU.csdata,"",@progbits
; Kernel info:
; codeLenInByte = 2396
; NumSgprs: 48
; NumVgprs: 27
; NumAgprs: 0
; TotalNumVgprs: 27
; ScratchSize: 0
; MemoryBound: 0
; FloatMode: 240
; IeeeMode: 1
; LDSByteSize: 0 bytes/workgroup (compile time only)
; SGPRBlocks: 5
; VGPRBlocks: 3
; NumSGPRsForWavesPerEU: 48
; NumVGPRsForWavesPerEU: 27
; AccumOffset: 28
; Occupancy: 8
; WaveLimiterHint : 0
; COMPUTE_PGM_RSRC2:SCRATCH_EN: 0
; COMPUTE_PGM_RSRC2:USER_SGPR: 6
; COMPUTE_PGM_RSRC2:TRAP_HANDLER: 0
; COMPUTE_PGM_RSRC2:TGID_X_EN: 1
; COMPUTE_PGM_RSRC2:TGID_Y_EN: 1
; COMPUTE_PGM_RSRC2:TGID_Z_EN: 0
; COMPUTE_PGM_RSRC2:TIDIG_COMP_CNT: 0
; COMPUTE_PGM_RSRC3_GFX90A:ACCUM_OFFSET: 6
; COMPUTE_PGM_RSRC3_GFX90A:TG_SPLIT: 0
	.section	.text._ZN5aiter35fused_qk_rmsnorm_group_quant_kernelIDF16_N4opus5fp4_tELi64ELi8ELi16ELb1ELb1ELb1ELb1ELb0ELb0EEEvPT0_PvPT_S7_S7_PKS6_S9_S9_S9_S9_ffiiiiiiiiiiiii,"axG",@progbits,_ZN5aiter35fused_qk_rmsnorm_group_quant_kernelIDF16_N4opus5fp4_tELi64ELi8ELi16ELb1ELb1ELb1ELb1ELb0ELb0EEEvPT0_PvPT_S7_S7_PKS6_S9_S9_S9_S9_ffiiiiiiiiiiiii,comdat
	.protected	_ZN5aiter35fused_qk_rmsnorm_group_quant_kernelIDF16_N4opus5fp4_tELi64ELi8ELi16ELb1ELb1ELb1ELb1ELb0ELb0EEEvPT0_PvPT_S7_S7_PKS6_S9_S9_S9_S9_ffiiiiiiiiiiiii ; -- Begin function _ZN5aiter35fused_qk_rmsnorm_group_quant_kernelIDF16_N4opus5fp4_tELi64ELi8ELi16ELb1ELb1ELb1ELb1ELb0ELb0EEEvPT0_PvPT_S7_S7_PKS6_S9_S9_S9_S9_ffiiiiiiiiiiiii
	.globl	_ZN5aiter35fused_qk_rmsnorm_group_quant_kernelIDF16_N4opus5fp4_tELi64ELi8ELi16ELb1ELb1ELb1ELb1ELb0ELb0EEEvPT0_PvPT_S7_S7_PKS6_S9_S9_S9_S9_ffiiiiiiiiiiiii
	.p2align	8
	.type	_ZN5aiter35fused_qk_rmsnorm_group_quant_kernelIDF16_N4opus5fp4_tELi64ELi8ELi16ELb1ELb1ELb1ELb1ELb0ELb0EEEvPT0_PvPT_S7_S7_PKS6_S9_S9_S9_S9_ffiiiiiiiiiiiii,@function
_ZN5aiter35fused_qk_rmsnorm_group_quant_kernelIDF16_N4opus5fp4_tELi64ELi8ELi16ELb1ELb1ELb1ELb1ELb0ELb0EEEvPT0_PvPT_S7_S7_PKS6_S9_S9_S9_S9_ffiiiiiiiiiiiii: ; @_ZN5aiter35fused_qk_rmsnorm_group_quant_kernelIDF16_N4opus5fp4_tELi64ELi8ELi16ELb1ELb1ELb1ELb1ELb0ELb0EEEvPT0_PvPT_S7_S7_PKS6_S9_S9_S9_S9_ffiiiiiiiiiiiii
; %bb.0:
	s_load_dwordx8 s[8:15], s[4:5], 0x50
	s_waitcnt lgkmcnt(0)
	s_cmp_ge_i32 s6, s10
	s_cbranch_scc1 .LBB99_15
; %bb.1:
	s_cmp_lg_u32 s7, 0
	s_cselect_b64 s[18:19], -1, 0
	s_cmp_eq_u32 s7, 0
	s_cselect_b64 s[20:21], -1, 0
	s_and_b64 s[0:1], s[20:21], exec
	s_cselect_b32 s7, s11, s12
	s_load_dwordx2 s[2:3], s[4:5], 0x30
	s_load_dwordx2 s[16:17], s[4:5], 0x48
	s_add_i32 s0, s7, 1
	s_lshr_b32 s1, s0, 31
	s_add_i32 s0, s0, s1
	s_lshl_b32 s0, s0, 1
	v_lshlrev_b32_e32 v1, 3, v0
	s_and_b32 s26, s0, -4
	v_cmp_gt_i32_e64 s[0:1], s7, v1
	v_mov_b32_e32 v2, 0
	v_mov_b32_e32 v3, 0
	;; [unrolled: 1-line block ×8, first 2 shown]
	s_and_saveexec_b64 s[10:11], s[0:1]
	s_cbranch_execz .LBB99_3
; %bb.2:
	s_load_dwordx2 s[22:23], s[4:5], 0x28
	s_load_dwordx2 s[24:25], s[4:5], 0x40
	s_and_b64 s[28:29], s[20:21], exec
	s_cselect_b32 s13, s13, s14
	v_lshlrev_b32_e32 v10, 4, v0
	s_waitcnt lgkmcnt(0)
	s_cselect_b32 s27, s23, s3
	s_cselect_b32 s28, s22, s2
	s_mul_hi_i32 s23, s13, s6
	s_mul_i32 s22, s13, s6
	s_lshl_b64 s[22:23], s[22:23], 1
	s_add_u32 s28, s28, s22
	s_addc_u32 s13, s27, s23
	s_and_b64 s[20:21], s[20:21], exec
	s_mov_b32 s27, 0x20000
	s_cselect_b32 s24, s24, s16
	s_cselect_b32 s20, s25, s17
	s_and_b32 s29, s13, 0xffff
	s_mov_b32 s30, s26
	s_mov_b32 s31, s27
	s_and_b32 s25, s20, 0xffff
	buffer_load_dwordx4 v[6:9], v10, s[28:31], 0 offen glc slc
	buffer_load_dwordx4 v[2:5], v10, s[24:27], 0 offen
.LBB99_3:
	s_or_b64 exec, exec, s[10:11]
	s_load_dwordx4 s[20:23], s[4:5], 0x7c
	s_and_b64 vcc, exec, s[18:19]
	s_cbranch_vccz .LBB99_7
; %bb.4:
	v_mov_b32_e32 v13, 0
	v_mov_b32_e32 v12, 0
	v_mov_b32_e32 v15, 0
	v_mov_b32_e32 v14, 0
	v_mov_b32_e32 v17, 0
	v_mov_b32_e32 v16, 0
	v_mov_b32_e32 v11, 0
	v_mov_b32_e32 v10, 0
	s_and_saveexec_b64 s[10:11], s[0:1]
	s_cbranch_execz .LBB99_6
; %bb.5:
	s_waitcnt vmcnt(1)
	v_cvt_f32_f16_sdwa v11, v6 dst_sel:DWORD dst_unused:UNUSED_PAD src0_sel:WORD_1
	v_cvt_f32_f16_e32 v10, v6
	v_cvt_f32_f16_sdwa v17, v7 dst_sel:DWORD dst_unused:UNUSED_PAD src0_sel:WORD_1
	v_cvt_f32_f16_e32 v16, v7
	;; [unrolled: 2-line block ×4, first 2 shown]
.LBB99_6:
	s_or_b64 exec, exec, s[10:11]
	s_mov_b32 s13, s9
	s_cbranch_execz .LBB99_8
	s_branch .LBB99_11
.LBB99_7:
                                        ; implicit-def: $vgpr13
                                        ; implicit-def: $vgpr15
                                        ; implicit-def: $vgpr17
                                        ; implicit-def: $vgpr11
	s_mov_b32 s13, s9
.LBB99_8:
	v_mov_b32_e32 v13, 0
	v_mov_b32_e32 v12, 0
	;; [unrolled: 1-line block ×8, first 2 shown]
	s_and_saveexec_b64 s[10:11], s[0:1]
	s_cbranch_execz .LBB99_10
; %bb.9:
	s_load_dwordx2 s[24:25], s[4:5], 0x38
	s_mul_hi_i32 s29, s15, s6
	s_mul_i32 s28, s15, s6
	s_lshl_b64 s[28:29], s[28:29], 1
	s_mov_b32 s27, 0x20000
	s_waitcnt lgkmcnt(0)
	s_add_u32 s24, s24, s28
	s_addc_u32 s13, s25, s29
	s_and_b32 s25, s13, 0xffff
	v_lshlrev_b32_e32 v24, 4, v0
	buffer_load_dwordx4 v[10:13], v24, s[24:27], 0 offen glc slc
	s_waitcnt vmcnt(2)
	v_cvt_f32_f16_sdwa v15, v6 dst_sel:DWORD dst_unused:UNUSED_PAD src0_sel:WORD_1
	v_cvt_f32_f16_e32 v14, v6
	v_cvt_f32_f16_sdwa v17, v7 dst_sel:DWORD dst_unused:UNUSED_PAD src0_sel:WORD_1
	v_cvt_f32_f16_e32 v16, v7
	;; [unrolled: 2-line block ×4, first 2 shown]
	s_load_dwordx2 s[24:25], s[4:5], 0x20
	s_mul_hi_i32 s23, s22, s6
	s_mul_i32 s22, s22, s6
	s_lshl_b64 s[22:23], s[22:23], 1
	s_waitcnt lgkmcnt(0)
	s_add_u32 s24, s24, s22
	s_addc_u32 s13, s25, s23
	s_and_b32 s25, s13, 0xffff
	s_waitcnt vmcnt(0)
	v_cvt_f32_f16_e32 v8, v10
	v_cvt_f32_f16_sdwa v9, v10 dst_sel:DWORD dst_unused:UNUSED_PAD src0_sel:WORD_1
	v_cvt_f32_f16_e32 v20, v11
	v_cvt_f32_f16_sdwa v21, v11 dst_sel:DWORD dst_unused:UNUSED_PAD src0_sel:WORD_1
	;; [unrolled: 2-line block ×4, first 2 shown]
	v_pk_add_f32 v[10:11], v[14:15], v[8:9]
	v_pk_add_f32 v[16:17], v[16:17], v[20:21]
	;; [unrolled: 1-line block ×4, first 2 shown]
	v_cvt_f16_f32_e32 v6, v11
	v_cvt_f16_f32_e32 v7, v17
	;; [unrolled: 1-line block ×8, first 2 shown]
	v_pack_b32_f16 v9, v18, v9
	v_pack_b32_f16 v8, v19, v8
	;; [unrolled: 1-line block ×4, first 2 shown]
	buffer_store_dwordx4 v[6:9], v24, s[24:27], 0 offen glc slc
	;;#ASMSTART
	s_nop 0
	;;#ASMEND
.LBB99_10:
	s_or_b64 exec, exec, s[10:11]
	s_mov_b32 s13, s8
.LBB99_11:
	s_waitcnt vmcnt(1)
	v_mul_f32_e32 v6, v11, v11
	v_fmac_f32_e32 v6, v10, v10
	v_fmac_f32_e32 v6, v16, v16
	;; [unrolled: 1-line block ×7, first 2 shown]
	v_bfrev_b32_e32 v8, 0.5
	s_load_dwordx2 s[10:11], s[4:5], 0x18
	v_mov_b32_dpp v7, v6 quad_perm:[1,0,3,2] row_mask:0xf bank_mask:0xf
	v_add_f32_e32 v6, v6, v7
	s_nop 1
	v_mov_b32_dpp v7, v6 quad_perm:[2,3,0,1] row_mask:0xf bank_mask:0xf
	v_add_f32_e32 v6, v6, v7
	s_nop 1
	v_mov_b32_dpp v7, v6 row_half_mirror row_mask:0xf bank_mask:0xf
	v_add_f32_e32 v6, v6, v7
	s_nop 1
	v_mov_b32_dpp v7, v6 row_mirror row_mask:0xf bank_mask:0xf
	v_add_f32_e32 v6, v6, v7
	s_nop 1
	v_mov_b32_dpp v7, v6 row_bcast:15 row_mask:0xf bank_mask:0xf
	v_add_f32_e32 v6, v6, v7
	s_nop 1
	v_mov_b32_dpp v7, v6 row_bcast:31 row_mask:0xf bank_mask:0xf
	v_add_f32_e32 v6, v6, v7
	v_mbcnt_lo_u32_b32 v7, -1, 0
	v_mbcnt_hi_u32_b32 v7, -1, v7
	v_lshl_or_b32 v18, v7, 2, v8
	ds_bpermute_b32 v6, v18, v6
	s_waitcnt lgkmcnt(0)
	s_and_saveexec_b64 s[22:23], s[0:1]
	s_cbranch_execnz .LBB99_16
; %bb.12:
	s_or_b64 exec, exec, s[22:23]
	s_mov_b64 s[22:23], -1
	s_and_b64 vcc, exec, s[18:19]
	s_cbranch_vccnz .LBB99_17
.LBB99_13:
	s_andn2_b64 vcc, exec, s[22:23]
	s_cbranch_vccz .LBB99_20
.LBB99_14:
	s_cmp_lt_i32 s12, 1
	s_cbranch_scc0 .LBB99_23
.LBB99_15:
	s_endpgm
.LBB99_16:
	v_cvt_f32_u32_e32 v7, s7
	s_mov_b32 s7, 0x800000
	v_div_scale_f32 v8, s[24:25], v7, v7, v6
	v_rcp_f32_e32 v9, v8
	v_div_scale_f32 v19, vcc, v6, v7, v6
	v_fma_f32 v20, -v8, v9, 1.0
	v_fmac_f32_e32 v9, v20, v9
	v_mul_f32_e32 v20, v19, v9
	v_fma_f32 v21, -v8, v20, v19
	v_fmac_f32_e32 v20, v21, v9
	v_fma_f32 v8, -v8, v20, v19
	v_div_fmas_f32 v8, v8, v9, v20
	v_div_fixup_f32 v6, v8, v7, v6
	v_add_f32_e32 v6, s13, v6
	v_mul_f32_e32 v7, 0x4b800000, v6
	v_cmp_gt_f32_e32 vcc, s7, v6
	v_cndmask_b32_e32 v6, v6, v7, vcc
	v_rsq_f32_e32 v6, v6
	s_waitcnt vmcnt(0)
	v_cvt_f32_f16_sdwa v7, v2 dst_sel:DWORD dst_unused:UNUSED_PAD src0_sel:WORD_1
	v_cvt_f32_f16_sdwa v21, v3 dst_sel:DWORD dst_unused:UNUSED_PAD src0_sel:WORD_1
	v_cvt_f32_f16_e32 v20, v3
	v_mul_f32_e32 v8, 0x45800000, v6
	v_cndmask_b32_e32 v8, v6, v8, vcc
	v_mov_b32_e32 v9, v8
	;;#ASMSTART
	v_pk_mul_f32 v[10:11], v[10:11], v[8:9]
	;;#ASMEND
	;;#ASMSTART
	v_pk_mul_f32 v[16:17], v[16:17], v[8:9]
	;;#ASMEND
	;; [unrolled: 3-line block ×3, first 2 shown]
	v_cvt_f32_f16_e32 v6, v2
	;;#ASMSTART
	v_pk_mul_f32 v[2:3], v[12:13], v[8:9]
	;;#ASMEND
	v_cvt_f32_f16_sdwa v9, v4 dst_sel:DWORD dst_unused:UNUSED_PAD src0_sel:WORD_1
	v_cvt_f32_f16_e32 v8, v4
	v_cvt_f32_f16_sdwa v13, v5 dst_sel:DWORD dst_unused:UNUSED_PAD src0_sel:WORD_1
	v_cvt_f32_f16_e32 v12, v5
	v_pk_add_f32 v[6:7], v[6:7], 1.0 op_sel_hi:[1,0]
	v_pk_add_f32 v[4:5], v[8:9], 1.0 op_sel_hi:[1,0]
	;;#ASMSTART
	v_pk_mul_f32 v[10:11], v[10:11], v[6:7]
	;;#ASMEND
	v_pk_add_f32 v[6:7], v[20:21], 1.0 op_sel_hi:[1,0]
	;;#ASMSTART
	v_pk_mul_f32 v[16:17], v[16:17], v[6:7]
	;;#ASMEND
	;;#ASMSTART
	v_pk_mul_f32 v[14:15], v[14:15], v[4:5]
	;;#ASMEND
	v_pk_add_f32 v[4:5], v[12:13], 1.0 op_sel_hi:[1,0]
	;;#ASMSTART
	v_pk_mul_f32 v[12:13], v[2:3], v[4:5]
	;;#ASMEND
	s_or_b64 exec, exec, s[22:23]
	s_mov_b64 s[22:23], -1
	s_and_b64 vcc, exec, s[18:19]
	s_cbranch_vccz .LBB99_13
.LBB99_17:
	s_and_saveexec_b64 s[18:19], s[0:1]
	s_cbranch_execz .LBB99_19
; %bb.18:
	s_mul_hi_i32 s23, s21, s6
	s_mul_i32 s22, s21, s6
	s_waitcnt vmcnt(0)
	v_cvt_f16_f32_e32 v2, v10
	v_cvt_f16_f32_e32 v3, v16
	;; [unrolled: 1-line block ×8, first 2 shown]
	s_lshl_b64 s[22:23], s[22:23], 1
	s_add_u32 s24, s10, s22
	s_addc_u32 s7, s11, s23
	s_and_b32 s25, s7, 0xffff
	s_mov_b32 s27, 0x20000
	v_pack_b32_f16 v5, v5, v6
	v_pack_b32_f16 v4, v4, v7
	;; [unrolled: 1-line block ×4, first 2 shown]
	v_lshlrev_b32_e32 v6, 4, v0
	buffer_store_dwordx4 v[2:5], v6, s[24:27], 0 offen
	;;#ASMSTART
	s_nop 0
	;;#ASMEND
.LBB99_19:
	s_or_b64 exec, exec, s[18:19]
	s_cbranch_execnz .LBB99_14
.LBB99_20:
	s_and_saveexec_b64 s[18:19], s[0:1]
	s_cbranch_execz .LBB99_22
; %bb.21:
	s_load_dwordx2 s[0:1], s[4:5], 0x10
	s_mul_hi_i32 s23, s20, s6
	s_mul_i32 s22, s20, s6
	s_waitcnt vmcnt(0)
	v_cvt_f16_f32_e32 v2, v10
	v_cvt_f16_f32_e32 v3, v16
	;; [unrolled: 1-line block ×8, first 2 shown]
	s_lshl_b64 s[22:23], s[22:23], 1
	s_waitcnt lgkmcnt(0)
	s_add_u32 s24, s0, s22
	s_addc_u32 s0, s1, s23
	s_mov_b32 s27, 0x20000
	s_and_b32 s25, s0, 0xffff
	v_pack_b32_f16 v5, v5, v6
	v_pack_b32_f16 v4, v4, v7
	;; [unrolled: 1-line block ×4, first 2 shown]
	v_lshlrev_b32_e32 v6, 4, v0
	buffer_store_dwordx4 v[2:5], v6, s[24:27], 0 offen
	;;#ASMSTART
	s_nop 0
	;;#ASMEND
.LBB99_22:
	s_or_b64 exec, exec, s[18:19]
	s_cmp_lt_i32 s12, 1
	s_cbranch_scc1 .LBB99_15
.LBB99_23:
	s_load_dword s0, s[4:5], 0x94
	s_waitcnt lgkmcnt(0)
	s_cmp_lg_u32 s0, 1
	s_cbranch_scc1 .LBB99_15
; %bb.24:
	s_lshl_b32 s0, s12, 1
	s_add_i32 s0, s0, 2
	v_cmp_gt_u32_e32 vcc, s12, v1
	s_and_b32 s18, s0, -4
	v_mov_b32_e32 v8, 0
	v_lshlrev_b32_e32 v16, 4, v0
	s_waitcnt vmcnt(0)
	v_mov_b32_e32 v4, 0
	v_mov_b32_e32 v5, 0
	;; [unrolled: 1-line block ×8, first 2 shown]
	s_barrier
	s_and_saveexec_b64 s[0:1], vcc
	s_cbranch_execz .LBB99_26
; %bb.25:
	s_mul_hi_i32 s5, s14, s6
	s_mul_i32 s4, s14, s6
	s_and_b32 s17, s17, 0xffff
	s_lshl_b64 s[4:5], s[4:5], 1
	s_add_u32 s24, s2, s4
	s_mov_b32 s19, 0x20000
	s_addc_u32 s2, s3, s5
	s_and_b32 s25, s2, 0xffff
	s_mov_b32 s26, s18
	s_mov_b32 s27, s19
	buffer_load_dwordx4 v[4:7], v16, s[24:27], 0 offen glc slc
	buffer_load_dwordx4 v[0:3], v16, s[16:19], 0 offen
.LBB99_26:
	s_or_b64 exec, exec, s[0:1]
	v_mov_b32_e32 v9, 0
	v_mov_b32_e32 v12, 0
	;; [unrolled: 1-line block ×7, first 2 shown]
	s_and_saveexec_b64 s[0:1], vcc
	s_cbranch_execz .LBB99_28
; %bb.27:
	s_waitcnt vmcnt(1)
	v_cvt_f32_f16_sdwa v9, v4 dst_sel:DWORD dst_unused:UNUSED_PAD src0_sel:WORD_1
	v_cvt_f32_f16_e32 v8, v4
	v_cvt_f32_f16_sdwa v13, v5 dst_sel:DWORD dst_unused:UNUSED_PAD src0_sel:WORD_1
	v_cvt_f32_f16_e32 v12, v5
	;; [unrolled: 2-line block ×4, first 2 shown]
.LBB99_28:
	s_or_b64 exec, exec, s[0:1]
	s_waitcnt vmcnt(1)
	v_mul_f32_e32 v4, v9, v9
	v_fmac_f32_e32 v4, v8, v8
	v_fmac_f32_e32 v4, v12, v12
	;; [unrolled: 1-line block ×7, first 2 shown]
	s_nop 1
	v_mov_b32_dpp v5, v4 quad_perm:[1,0,3,2] row_mask:0xf bank_mask:0xf
	v_add_f32_e32 v4, v4, v5
	s_nop 1
	v_mov_b32_dpp v5, v4 quad_perm:[2,3,0,1] row_mask:0xf bank_mask:0xf
	v_add_f32_e32 v4, v4, v5
	s_nop 1
	v_mov_b32_dpp v5, v4 row_half_mirror row_mask:0xf bank_mask:0xf
	v_add_f32_e32 v4, v4, v5
	s_nop 1
	v_mov_b32_dpp v5, v4 row_mirror row_mask:0xf bank_mask:0xf
	v_add_f32_e32 v4, v4, v5
	s_nop 1
	v_mov_b32_dpp v5, v4 row_bcast:15 row_mask:0xf bank_mask:0xf
	v_add_f32_e32 v4, v4, v5
	s_nop 1
	v_mov_b32_dpp v5, v4 row_bcast:31 row_mask:0xf bank_mask:0xf
	v_add_f32_e32 v4, v4, v5
	ds_bpermute_b32 v4, v18, v4
	s_and_saveexec_b64 s[0:1], vcc
	s_cbranch_execz .LBB99_15
; %bb.29:
	v_cvt_f32_u32_e32 v5, s12
	s_mov_b32 s19, 0x20000
	s_waitcnt lgkmcnt(0)
	v_div_scale_f32 v6, s[0:1], v5, v5, v4
	v_rcp_f32_e32 v7, v6
	v_div_scale_f32 v17, vcc, v4, v5, v4
	s_mov_b32 s0, 0x800000
	v_fma_f32 v18, -v6, v7, 1.0
	v_fmac_f32_e32 v7, v18, v7
	v_mul_f32_e32 v18, v17, v7
	v_fma_f32 v19, -v6, v18, v17
	v_fmac_f32_e32 v18, v19, v7
	v_fma_f32 v6, -v6, v18, v17
	v_div_fmas_f32 v6, v6, v7, v18
	v_div_fixup_f32 v4, v6, v5, v4
	v_add_f32_e32 v4, s9, v4
	v_mul_f32_e32 v5, 0x4b800000, v4
	v_cmp_gt_f32_e32 vcc, s0, v4
	v_cndmask_b32_e32 v4, v4, v5, vcc
	v_rsq_f32_e32 v4, v4
	s_waitcnt vmcnt(0)
	v_cvt_f32_f16_sdwa v5, v0 dst_sel:DWORD dst_unused:UNUSED_PAD src0_sel:WORD_1
	v_cvt_f32_f16_sdwa v19, v1 dst_sel:DWORD dst_unused:UNUSED_PAD src0_sel:WORD_1
	v_cvt_f32_f16_e32 v18, v1
	v_mul_f32_e32 v6, 0x45800000, v4
	v_cndmask_b32_e32 v6, v4, v6, vcc
	v_cvt_f32_f16_e32 v4, v0
	v_mov_b32_e32 v7, v6
	;;#ASMSTART
	v_pk_mul_f32 v[8:9], v[8:9], v[6:7]
	;;#ASMEND
	;;#ASMSTART
	v_pk_mul_f32 v[12:13], v[12:13], v[6:7]
	;;#ASMEND
	v_pk_add_f32 v[4:5], v[4:5], 1.0 op_sel_hi:[1,0]
	;;#ASMSTART
	v_pk_mul_f32 v[14:15], v[14:15], v[6:7]
	;;#ASMEND
	;;#ASMSTART
	v_pk_mul_f32 v[0:1], v[10:11], v[6:7]
	;;#ASMEND
	;;#ASMSTART
	v_pk_mul_f32 v[4:5], v[8:9], v[4:5]
	;;#ASMEND
	v_cvt_f32_f16_sdwa v9, v2 dst_sel:DWORD dst_unused:UNUSED_PAD src0_sel:WORD_1
	v_cvt_f32_f16_e32 v8, v2
	v_cvt_f32_f16_sdwa v11, v3 dst_sel:DWORD dst_unused:UNUSED_PAD src0_sel:WORD_1
	v_cvt_f32_f16_e32 v10, v3
	v_pk_add_f32 v[6:7], v[18:19], 1.0 op_sel_hi:[1,0]
	;;#ASMSTART
	v_pk_mul_f32 v[2:3], v[12:13], v[6:7]
	;;#ASMEND
	v_pk_add_f32 v[6:7], v[8:9], 1.0 op_sel_hi:[1,0]
	;;#ASMSTART
	v_pk_mul_f32 v[6:7], v[14:15], v[6:7]
	;;#ASMEND
	;; [unrolled: 4-line block ×3, first 2 shown]
	s_mul_hi_i32 s1, s21, s6
	s_mul_i32 s0, s21, s6
	v_cvt_f16_f32_e32 v4, v4
	v_cvt_f16_f32_e32 v5, v5
	;; [unrolled: 1-line block ×8, first 2 shown]
	s_lshl_b64 s[0:1], s[0:1], 1
	s_add_u32 s16, s10, s0
	s_addc_u32 s0, s11, s1
	s_and_b32 s17, s0, 0xffff
	v_pack_b32_f16 v0, v4, v5
	v_pack_b32_f16 v1, v2, v3
	;; [unrolled: 1-line block ×4, first 2 shown]
	buffer_store_dwordx4 v[0:3], v16, s[16:19], 0 offen
	;;#ASMSTART
	s_nop 0
	;;#ASMEND
	s_endpgm
	.section	.rodata,"a",@progbits
	.p2align	6, 0x0
	.amdhsa_kernel _ZN5aiter35fused_qk_rmsnorm_group_quant_kernelIDF16_N4opus5fp4_tELi64ELi8ELi16ELb1ELb1ELb1ELb1ELb0ELb0EEEvPT0_PvPT_S7_S7_PKS6_S9_S9_S9_S9_ffiiiiiiiiiiiii
		.amdhsa_group_segment_fixed_size 0
		.amdhsa_private_segment_fixed_size 0
		.amdhsa_kernarg_size 400
		.amdhsa_user_sgpr_count 6
		.amdhsa_user_sgpr_private_segment_buffer 1
		.amdhsa_user_sgpr_dispatch_ptr 0
		.amdhsa_user_sgpr_queue_ptr 0
		.amdhsa_user_sgpr_kernarg_segment_ptr 1
		.amdhsa_user_sgpr_dispatch_id 0
		.amdhsa_user_sgpr_flat_scratch_init 0
		.amdhsa_user_sgpr_kernarg_preload_length 0
		.amdhsa_user_sgpr_kernarg_preload_offset 0
		.amdhsa_user_sgpr_private_segment_size 0
		.amdhsa_uses_dynamic_stack 0
		.amdhsa_system_sgpr_private_segment_wavefront_offset 0
		.amdhsa_system_sgpr_workgroup_id_x 1
		.amdhsa_system_sgpr_workgroup_id_y 1
		.amdhsa_system_sgpr_workgroup_id_z 0
		.amdhsa_system_sgpr_workgroup_info 0
		.amdhsa_system_vgpr_workitem_id 0
		.amdhsa_next_free_vgpr 25
		.amdhsa_next_free_sgpr 32
		.amdhsa_accum_offset 28
		.amdhsa_reserve_vcc 1
		.amdhsa_reserve_flat_scratch 0
		.amdhsa_float_round_mode_32 0
		.amdhsa_float_round_mode_16_64 0
		.amdhsa_float_denorm_mode_32 3
		.amdhsa_float_denorm_mode_16_64 3
		.amdhsa_dx10_clamp 1
		.amdhsa_ieee_mode 1
		.amdhsa_fp16_overflow 0
		.amdhsa_tg_split 0
		.amdhsa_exception_fp_ieee_invalid_op 0
		.amdhsa_exception_fp_denorm_src 0
		.amdhsa_exception_fp_ieee_div_zero 0
		.amdhsa_exception_fp_ieee_overflow 0
		.amdhsa_exception_fp_ieee_underflow 0
		.amdhsa_exception_fp_ieee_inexact 0
		.amdhsa_exception_int_div_zero 0
	.end_amdhsa_kernel
	.section	.text._ZN5aiter35fused_qk_rmsnorm_group_quant_kernelIDF16_N4opus5fp4_tELi64ELi8ELi16ELb1ELb1ELb1ELb1ELb0ELb0EEEvPT0_PvPT_S7_S7_PKS6_S9_S9_S9_S9_ffiiiiiiiiiiiii,"axG",@progbits,_ZN5aiter35fused_qk_rmsnorm_group_quant_kernelIDF16_N4opus5fp4_tELi64ELi8ELi16ELb1ELb1ELb1ELb1ELb0ELb0EEEvPT0_PvPT_S7_S7_PKS6_S9_S9_S9_S9_ffiiiiiiiiiiiii,comdat
.Lfunc_end99:
	.size	_ZN5aiter35fused_qk_rmsnorm_group_quant_kernelIDF16_N4opus5fp4_tELi64ELi8ELi16ELb1ELb1ELb1ELb1ELb0ELb0EEEvPT0_PvPT_S7_S7_PKS6_S9_S9_S9_S9_ffiiiiiiiiiiiii, .Lfunc_end99-_ZN5aiter35fused_qk_rmsnorm_group_quant_kernelIDF16_N4opus5fp4_tELi64ELi8ELi16ELb1ELb1ELb1ELb1ELb0ELb0EEEvPT0_PvPT_S7_S7_PKS6_S9_S9_S9_S9_ffiiiiiiiiiiiii
                                        ; -- End function
	.section	.AMDGPU.csdata,"",@progbits
; Kernel info:
; codeLenInByte = 2352
; NumSgprs: 36
; NumVgprs: 25
; NumAgprs: 0
; TotalNumVgprs: 25
; ScratchSize: 0
; MemoryBound: 0
; FloatMode: 240
; IeeeMode: 1
; LDSByteSize: 0 bytes/workgroup (compile time only)
; SGPRBlocks: 4
; VGPRBlocks: 3
; NumSGPRsForWavesPerEU: 36
; NumVGPRsForWavesPerEU: 25
; AccumOffset: 28
; Occupancy: 8
; WaveLimiterHint : 0
; COMPUTE_PGM_RSRC2:SCRATCH_EN: 0
; COMPUTE_PGM_RSRC2:USER_SGPR: 6
; COMPUTE_PGM_RSRC2:TRAP_HANDLER: 0
; COMPUTE_PGM_RSRC2:TGID_X_EN: 1
; COMPUTE_PGM_RSRC2:TGID_Y_EN: 1
; COMPUTE_PGM_RSRC2:TGID_Z_EN: 0
; COMPUTE_PGM_RSRC2:TIDIG_COMP_CNT: 0
; COMPUTE_PGM_RSRC3_GFX90A:ACCUM_OFFSET: 6
; COMPUTE_PGM_RSRC3_GFX90A:TG_SPLIT: 0
	.section	.text._ZN5aiter35fused_qk_rmsnorm_group_quant_kernelItN4opus5fp4_tELi64ELi8ELi16ELb1ELb1ELb1ELb1ELb0ELb0EEEvPT0_PvPT_S7_S7_PKS6_S9_S9_S9_S9_ffiiiiiiiiiiiii,"axG",@progbits,_ZN5aiter35fused_qk_rmsnorm_group_quant_kernelItN4opus5fp4_tELi64ELi8ELi16ELb1ELb1ELb1ELb1ELb0ELb0EEEvPT0_PvPT_S7_S7_PKS6_S9_S9_S9_S9_ffiiiiiiiiiiiii,comdat
	.protected	_ZN5aiter35fused_qk_rmsnorm_group_quant_kernelItN4opus5fp4_tELi64ELi8ELi16ELb1ELb1ELb1ELb1ELb0ELb0EEEvPT0_PvPT_S7_S7_PKS6_S9_S9_S9_S9_ffiiiiiiiiiiiii ; -- Begin function _ZN5aiter35fused_qk_rmsnorm_group_quant_kernelItN4opus5fp4_tELi64ELi8ELi16ELb1ELb1ELb1ELb1ELb0ELb0EEEvPT0_PvPT_S7_S7_PKS6_S9_S9_S9_S9_ffiiiiiiiiiiiii
	.globl	_ZN5aiter35fused_qk_rmsnorm_group_quant_kernelItN4opus5fp4_tELi64ELi8ELi16ELb1ELb1ELb1ELb1ELb0ELb0EEEvPT0_PvPT_S7_S7_PKS6_S9_S9_S9_S9_ffiiiiiiiiiiiii
	.p2align	8
	.type	_ZN5aiter35fused_qk_rmsnorm_group_quant_kernelItN4opus5fp4_tELi64ELi8ELi16ELb1ELb1ELb1ELb1ELb0ELb0EEEvPT0_PvPT_S7_S7_PKS6_S9_S9_S9_S9_ffiiiiiiiiiiiii,@function
_ZN5aiter35fused_qk_rmsnorm_group_quant_kernelItN4opus5fp4_tELi64ELi8ELi16ELb1ELb1ELb1ELb1ELb0ELb0EEEvPT0_PvPT_S7_S7_PKS6_S9_S9_S9_S9_ffiiiiiiiiiiiii: ; @_ZN5aiter35fused_qk_rmsnorm_group_quant_kernelItN4opus5fp4_tELi64ELi8ELi16ELb1ELb1ELb1ELb1ELb0ELb0EEEvPT0_PvPT_S7_S7_PKS6_S9_S9_S9_S9_ffiiiiiiiiiiiii
; %bb.0:
	s_load_dwordx8 s[8:15], s[4:5], 0x50
	s_waitcnt lgkmcnt(0)
	s_cmp_ge_i32 s6, s10
	s_cbranch_scc1 .LBB100_15
; %bb.1:
	s_cmp_lg_u32 s7, 0
	s_cselect_b64 s[18:19], -1, 0
	s_cmp_eq_u32 s7, 0
	s_cselect_b64 s[20:21], -1, 0
	s_and_b64 s[0:1], s[20:21], exec
	s_cselect_b32 s7, s11, s12
	s_load_dwordx2 s[2:3], s[4:5], 0x30
	s_load_dwordx2 s[16:17], s[4:5], 0x48
	s_add_i32 s0, s7, 1
	s_lshr_b32 s1, s0, 31
	s_add_i32 s0, s0, s1
	s_lshl_b32 s0, s0, 1
	v_lshlrev_b32_e32 v1, 3, v0
	s_and_b32 s26, s0, -4
	v_cmp_gt_i32_e64 s[0:1], s7, v1
	v_mov_b32_e32 v10, 0
	v_mov_b32_e32 v11, 0
	;; [unrolled: 1-line block ×8, first 2 shown]
	s_and_saveexec_b64 s[10:11], s[0:1]
	s_cbranch_execz .LBB100_3
; %bb.2:
	s_load_dwordx2 s[22:23], s[4:5], 0x28
	s_load_dwordx2 s[24:25], s[4:5], 0x40
	s_and_b64 s[28:29], s[20:21], exec
	s_cselect_b32 s13, s13, s14
	v_lshlrev_b32_e32 v2, 4, v0
	s_waitcnt lgkmcnt(0)
	s_cselect_b32 s27, s23, s3
	s_cselect_b32 s28, s22, s2
	s_mul_hi_i32 s23, s13, s6
	s_mul_i32 s22, s13, s6
	s_lshl_b64 s[22:23], s[22:23], 1
	s_add_u32 s28, s28, s22
	s_addc_u32 s13, s27, s23
	s_and_b64 s[20:21], s[20:21], exec
	s_mov_b32 s27, 0x20000
	s_cselect_b32 s24, s24, s16
	s_cselect_b32 s20, s25, s17
	s_and_b32 s29, s13, 0xffff
	s_mov_b32 s30, s26
	s_mov_b32 s31, s27
	s_and_b32 s25, s20, 0xffff
	buffer_load_dwordx4 v[14:17], v2, s[28:31], 0 offen glc slc
	buffer_load_dwordx4 v[10:13], v2, s[24:27], 0 offen
.LBB100_3:
	s_or_b64 exec, exec, s[10:11]
	s_load_dwordx4 s[20:23], s[4:5], 0x7c
	s_and_b64 vcc, exec, s[18:19]
	s_cbranch_vccz .LBB100_7
; %bb.4:
	s_mov_b32 s36, 0
	s_mov_b32 s37, s36
	s_mov_b32 s38, s36
	s_mov_b32 s39, s36
	s_mov_b32 s40, s36
	s_mov_b32 s41, s36
	s_mov_b32 s42, s36
	s_mov_b32 s43, s36
	v_pk_mov_b32 v[2:3], s[36:37], s[36:37] op_sel:[0,1]
	v_pk_mov_b32 v[4:5], s[38:39], s[38:39] op_sel:[0,1]
	;; [unrolled: 1-line block ×4, first 2 shown]
	s_and_saveexec_b64 s[10:11], s[0:1]
	s_cbranch_execz .LBB100_6
; %bb.5:
	s_waitcnt vmcnt(1)
	v_cvt_f32_u32_sdwa v3, v14 dst_sel:DWORD dst_unused:UNUSED_PAD src0_sel:WORD_1
	v_cvt_f32_u32_sdwa v2, v14 dst_sel:DWORD dst_unused:UNUSED_PAD src0_sel:WORD_0
	v_cvt_f32_u32_sdwa v5, v15 dst_sel:DWORD dst_unused:UNUSED_PAD src0_sel:WORD_1
	v_cvt_f32_u32_sdwa v4, v15 dst_sel:DWORD dst_unused:UNUSED_PAD src0_sel:WORD_0
	;; [unrolled: 2-line block ×4, first 2 shown]
.LBB100_6:
	s_or_b64 exec, exec, s[10:11]
	s_mov_b32 s13, s9
	s_cbranch_execz .LBB100_8
	s_branch .LBB100_11
.LBB100_7:
                                        ; implicit-def: $vgpr2_vgpr3_vgpr4_vgpr5_vgpr6_vgpr7_vgpr8_vgpr9
	s_mov_b32 s13, s9
.LBB100_8:
	s_mov_b32 s36, 0
	s_mov_b32 s37, s36
	s_mov_b32 s38, s36
	s_mov_b32 s39, s36
	s_mov_b32 s40, s36
	s_mov_b32 s41, s36
	s_mov_b32 s42, s36
	s_mov_b32 s43, s36
	v_pk_mov_b32 v[2:3], s[36:37], s[36:37] op_sel:[0,1]
	v_pk_mov_b32 v[4:5], s[38:39], s[38:39] op_sel:[0,1]
	;; [unrolled: 1-line block ×4, first 2 shown]
	s_and_saveexec_b64 s[10:11], s[0:1]
	s_cbranch_execz .LBB100_10
; %bb.9:
	s_load_dwordx2 s[24:25], s[4:5], 0x38
	s_mul_hi_i32 s29, s15, s6
	s_mul_i32 s28, s15, s6
	s_lshl_b64 s[28:29], s[28:29], 1
	s_mov_b32 s27, 0x20000
	s_waitcnt lgkmcnt(0)
	s_add_u32 s24, s24, s28
	s_addc_u32 s13, s25, s29
	s_and_b32 s25, s13, 0xffff
	v_lshlrev_b32_e32 v26, 4, v0
	buffer_load_dwordx4 v[2:5], v26, s[24:27], 0 offen glc slc
	s_load_dwordx2 s[24:25], s[4:5], 0x20
	s_waitcnt vmcnt(2)
	v_cvt_f32_u32_sdwa v7, v14 dst_sel:DWORD dst_unused:UNUSED_PAD src0_sel:WORD_1
	v_cvt_f32_u32_sdwa v6, v14 dst_sel:DWORD dst_unused:UNUSED_PAD src0_sel:WORD_0
	v_cvt_f32_u32_sdwa v9, v15 dst_sel:DWORD dst_unused:UNUSED_PAD src0_sel:WORD_1
	v_cvt_f32_u32_sdwa v8, v15 dst_sel:DWORD dst_unused:UNUSED_PAD src0_sel:WORD_0
	v_cvt_f32_u32_sdwa v15, v16 dst_sel:DWORD dst_unused:UNUSED_PAD src0_sel:WORD_1
	v_cvt_f32_u32_sdwa v14, v16 dst_sel:DWORD dst_unused:UNUSED_PAD src0_sel:WORD_0
	v_cvt_f32_u32_sdwa v19, v17 dst_sel:DWORD dst_unused:UNUSED_PAD src0_sel:WORD_1
	v_cvt_f32_u32_sdwa v18, v17 dst_sel:DWORD dst_unused:UNUSED_PAD src0_sel:WORD_0
	s_mul_hi_i32 s23, s22, s6
	s_mul_i32 s22, s22, s6
	s_lshl_b64 s[22:23], s[22:23], 1
	s_waitcnt lgkmcnt(0)
	s_add_u32 s24, s24, s22
	s_mov_b32 s13, 0x7060302
	s_addc_u32 s15, s25, s23
	s_and_b32 s25, s15, 0xffff
	s_waitcnt vmcnt(0)
	v_cvt_f32_u32_sdwa v17, v2 dst_sel:DWORD dst_unused:UNUSED_PAD src0_sel:WORD_1
	v_cvt_f32_u32_sdwa v16, v2 dst_sel:DWORD dst_unused:UNUSED_PAD src0_sel:WORD_0
	v_cvt_f32_u32_sdwa v21, v3 dst_sel:DWORD dst_unused:UNUSED_PAD src0_sel:WORD_1
	v_cvt_f32_u32_sdwa v20, v3 dst_sel:DWORD dst_unused:UNUSED_PAD src0_sel:WORD_0
	;; [unrolled: 2-line block ×4, first 2 shown]
	v_pk_add_f32 v[2:3], v[6:7], v[16:17]
	v_pk_add_f32 v[4:5], v[8:9], v[20:21]
	;; [unrolled: 1-line block ×4, first 2 shown]
	v_perm_b32 v17, v9, v8, s13
	v_perm_b32 v16, v7, v6, s13
	;; [unrolled: 1-line block ×4, first 2 shown]
	buffer_store_dwordx4 v[14:17], v26, s[24:27], 0 offen glc slc
	;;#ASMSTART
	s_nop 0
	;;#ASMEND
.LBB100_10:
	s_or_b64 exec, exec, s[10:11]
	s_mov_b32 s13, s8
.LBB100_11:
	s_waitcnt vmcnt(1)
	v_mul_f32_e32 v14, v3, v3
	v_fmac_f32_e32 v14, v2, v2
	v_fmac_f32_e32 v14, v4, v4
	;; [unrolled: 1-line block ×7, first 2 shown]
	v_bfrev_b32_e32 v16, 0.5
	s_load_dwordx2 s[10:11], s[4:5], 0x18
	v_mov_b32_dpp v15, v14 quad_perm:[1,0,3,2] row_mask:0xf bank_mask:0xf
	v_add_f32_e32 v14, v14, v15
	s_nop 1
	v_mov_b32_dpp v15, v14 quad_perm:[2,3,0,1] row_mask:0xf bank_mask:0xf
	v_add_f32_e32 v14, v14, v15
	s_nop 1
	v_mov_b32_dpp v15, v14 row_half_mirror row_mask:0xf bank_mask:0xf
	v_add_f32_e32 v14, v14, v15
	s_nop 1
	v_mov_b32_dpp v15, v14 row_mirror row_mask:0xf bank_mask:0xf
	v_add_f32_e32 v14, v14, v15
	s_nop 1
	v_mov_b32_dpp v15, v14 row_bcast:15 row_mask:0xf bank_mask:0xf
	v_add_f32_e32 v14, v14, v15
	s_nop 1
	v_mov_b32_dpp v15, v14 row_bcast:31 row_mask:0xf bank_mask:0xf
	v_add_f32_e32 v15, v14, v15
	v_mbcnt_lo_u32_b32 v14, -1, 0
	v_mbcnt_hi_u32_b32 v14, -1, v14
	v_lshl_or_b32 v14, v14, 2, v16
	ds_bpermute_b32 v15, v14, v15
	s_waitcnt lgkmcnt(0)
	s_and_saveexec_b64 s[22:23], s[0:1]
	s_cbranch_execnz .LBB100_16
; %bb.12:
	s_or_b64 exec, exec, s[22:23]
	s_mov_b64 s[22:23], -1
	s_and_b64 vcc, exec, s[18:19]
	s_cbranch_vccnz .LBB100_17
.LBB100_13:
	s_andn2_b64 vcc, exec, s[22:23]
	s_cbranch_vccz .LBB100_20
.LBB100_14:
	s_cmp_lt_i32 s12, 1
	s_cbranch_scc0 .LBB100_23
.LBB100_15:
	s_endpgm
.LBB100_16:
	v_cvt_f32_u32_e32 v16, s7
	s_mov_b32 s7, 0x800000
	v_div_scale_f32 v17, s[24:25], v16, v16, v15
	v_rcp_f32_e32 v18, v17
	v_div_scale_f32 v19, vcc, v15, v16, v15
	v_fma_f32 v20, -v17, v18, 1.0
	v_fmac_f32_e32 v18, v20, v18
	v_mul_f32_e32 v20, v19, v18
	v_fma_f32 v21, -v17, v20, v19
	v_fmac_f32_e32 v20, v21, v18
	v_fma_f32 v17, -v17, v20, v19
	v_div_fmas_f32 v17, v17, v18, v20
	v_div_fixup_f32 v15, v17, v16, v15
	v_add_f32_e32 v15, s13, v15
	v_mul_f32_e32 v16, 0x4b800000, v15
	v_cmp_gt_f32_e32 vcc, s7, v15
	v_cndmask_b32_e32 v15, v15, v16, vcc
	v_rsq_f32_e32 v15, v15
	s_waitcnt vmcnt(0)
	v_cvt_f32_u32_sdwa v17, v10 dst_sel:DWORD dst_unused:UNUSED_PAD src0_sel:WORD_1
	v_cvt_f32_u32_sdwa v21, v11 dst_sel:DWORD dst_unused:UNUSED_PAD src0_sel:WORD_1
	v_cvt_f32_u32_sdwa v20, v11 dst_sel:DWORD dst_unused:UNUSED_PAD src0_sel:WORD_0
	v_mul_f32_e32 v16, 0x45800000, v15
	v_cndmask_b32_e32 v18, v15, v16, vcc
	v_cvt_f32_u32_sdwa v16, v10 dst_sel:DWORD dst_unused:UNUSED_PAD src0_sel:WORD_0
	v_mov_b32_e32 v19, v18
	;;#ASMSTART
	v_pk_mul_f32 v[2:3], v[2:3], v[18:19]
	;;#ASMEND
	;;#ASMSTART
	v_pk_mul_f32 v[4:5], v[4:5], v[18:19]
	;;#ASMEND
	v_pk_add_f32 v[10:11], v[16:17], 1.0 op_sel_hi:[1,0]
	v_cvt_f32_u32_sdwa v17, v12 dst_sel:DWORD dst_unused:UNUSED_PAD src0_sel:WORD_1
	v_cvt_f32_u32_sdwa v16, v12 dst_sel:DWORD dst_unused:UNUSED_PAD src0_sel:WORD_0
	;;#ASMSTART
	v_pk_mul_f32 v[6:7], v[6:7], v[18:19]
	;;#ASMEND
	;;#ASMSTART
	v_pk_mul_f32 v[8:9], v[8:9], v[18:19]
	;;#ASMEND
	v_cvt_f32_u32_sdwa v19, v13 dst_sel:DWORD dst_unused:UNUSED_PAD src0_sel:WORD_1
	v_cvt_f32_u32_sdwa v18, v13 dst_sel:DWORD dst_unused:UNUSED_PAD src0_sel:WORD_0
	;;#ASMSTART
	v_pk_mul_f32 v[2:3], v[2:3], v[10:11]
	;;#ASMEND
	v_pk_add_f32 v[10:11], v[20:21], 1.0 op_sel_hi:[1,0]
	;;#ASMSTART
	v_pk_mul_f32 v[4:5], v[4:5], v[10:11]
	;;#ASMEND
	v_pk_add_f32 v[10:11], v[16:17], 1.0 op_sel_hi:[1,0]
	;;#ASMSTART
	v_pk_mul_f32 v[6:7], v[6:7], v[10:11]
	;;#ASMEND
	v_pk_add_f32 v[10:11], v[18:19], 1.0 op_sel_hi:[1,0]
	;;#ASMSTART
	v_pk_mul_f32 v[8:9], v[8:9], v[10:11]
	;;#ASMEND
	s_or_b64 exec, exec, s[22:23]
	s_mov_b64 s[22:23], -1
	s_and_b64 vcc, exec, s[18:19]
	s_cbranch_vccz .LBB100_13
.LBB100_17:
	s_and_saveexec_b64 s[18:19], s[0:1]
	s_cbranch_execz .LBB100_19
; %bb.18:
	s_mul_hi_i32 s23, s21, s6
	s_mul_i32 s22, s21, s6
	s_lshl_b64 s[22:23], s[22:23], 1
	s_add_u32 s24, s10, s22
	s_addc_u32 s7, s11, s23
	s_and_b32 s25, s7, 0xffff
	s_mov_b32 s7, 0x7060302
	s_mov_b32 s27, 0x20000
	s_waitcnt vmcnt(0)
	v_perm_b32 v10, v3, v2, s7
	v_perm_b32 v11, v5, v4, s7
	;; [unrolled: 1-line block ×4, first 2 shown]
	v_lshlrev_b32_e32 v15, 4, v0
	buffer_store_dwordx4 v[10:13], v15, s[24:27], 0 offen
	;;#ASMSTART
	s_nop 0
	;;#ASMEND
.LBB100_19:
	s_or_b64 exec, exec, s[18:19]
	s_cbranch_execnz .LBB100_14
.LBB100_20:
	s_and_saveexec_b64 s[18:19], s[0:1]
	s_cbranch_execz .LBB100_22
; %bb.21:
	s_load_dwordx2 s[0:1], s[4:5], 0x10
	s_mul_hi_i32 s23, s20, s6
	s_mul_i32 s22, s20, s6
	s_lshl_b64 s[22:23], s[22:23], 1
	s_mov_b32 s27, 0x20000
	s_waitcnt lgkmcnt(0)
	s_add_u32 s24, s0, s22
	s_addc_u32 s0, s1, s23
	s_and_b32 s25, s0, 0xffff
	s_mov_b32 s0, 0x7060302
	v_perm_b32 v2, v3, v2, s0
	v_perm_b32 v3, v5, v4, s0
	v_perm_b32 v4, v7, v6, s0
	v_perm_b32 v5, v9, v8, s0
	v_lshlrev_b32_e32 v6, 4, v0
	buffer_store_dwordx4 v[2:5], v6, s[24:27], 0 offen
	;;#ASMSTART
	s_nop 0
	;;#ASMEND
.LBB100_22:
	s_or_b64 exec, exec, s[18:19]
	s_cmp_lt_i32 s12, 1
	s_cbranch_scc1 .LBB100_15
.LBB100_23:
	s_load_dword s0, s[4:5], 0x94
	s_waitcnt lgkmcnt(0)
	s_cmp_lg_u32 s0, 1
	s_cbranch_scc1 .LBB100_15
; %bb.24:
	s_lshl_b32 s0, s12, 1
	s_add_i32 s0, s0, 2
	v_cmp_gt_u32_e32 vcc, s12, v1
	s_and_b32 s18, s0, -4
	v_mov_b32_e32 v4, 0
	s_waitcnt vmcnt(0)
	v_lshlrev_b32_e32 v12, 4, v0
	v_mov_b32_e32 v5, 0
	v_mov_b32_e32 v6, 0
	;; [unrolled: 1-line block ×7, first 2 shown]
	s_barrier
	s_and_saveexec_b64 s[0:1], vcc
	s_cbranch_execz .LBB100_26
; %bb.25:
	s_mul_hi_i32 s5, s14, s6
	s_mul_i32 s4, s14, s6
	s_and_b32 s17, s17, 0xffff
	s_lshl_b64 s[4:5], s[4:5], 1
	s_add_u32 s24, s2, s4
	s_mov_b32 s19, 0x20000
	s_addc_u32 s2, s3, s5
	s_and_b32 s25, s2, 0xffff
	s_mov_b32 s26, s18
	s_mov_b32 s27, s19
	buffer_load_dwordx4 v[4:7], v12, s[24:27], 0 offen glc slc
	buffer_load_dwordx4 v[0:3], v12, s[16:19], 0 offen
.LBB100_26:
	s_or_b64 exec, exec, s[0:1]
	s_waitcnt vmcnt(1)
	v_cvt_f32_u32_sdwa v11, v4 dst_sel:DWORD dst_unused:UNUSED_PAD src0_sel:WORD_1
	v_cvt_f32_u32_sdwa v10, v4 dst_sel:DWORD dst_unused:UNUSED_PAD src0_sel:WORD_0
	v_cvt_f32_u32_sdwa v4, v7 dst_sel:DWORD dst_unused:UNUSED_PAD src0_sel:WORD_1
	v_cvt_f32_u32_sdwa v7, v7 dst_sel:DWORD dst_unused:UNUSED_PAD src0_sel:WORD_0
	;; [unrolled: 2-line block ×4, first 2 shown]
	v_cndmask_b32_e32 v11, 0, v11, vcc
	v_cndmask_b32_e32 v5, 0, v4, vcc
	;; [unrolled: 1-line block ×5, first 2 shown]
	v_mul_f32_e32 v13, v11, v11
	v_cndmask_b32_e32 v8, 0, v8, vcc
	v_fmac_f32_e32 v13, v10, v10
	v_cndmask_b32_e32 v9, 0, v9, vcc
	v_fmac_f32_e32 v13, v8, v8
	;; [unrolled: 2-line block ×3, first 2 shown]
	v_fmac_f32_e32 v13, v6, v6
	v_fmac_f32_e32 v13, v7, v7
	;; [unrolled: 1-line block ×4, first 2 shown]
	s_nop 1
	v_mov_b32_dpp v15, v13 quad_perm:[1,0,3,2] row_mask:0xf bank_mask:0xf
	v_add_f32_e32 v13, v13, v15
	s_nop 1
	v_mov_b32_dpp v15, v13 quad_perm:[2,3,0,1] row_mask:0xf bank_mask:0xf
	v_add_f32_e32 v13, v13, v15
	s_nop 1
	v_mov_b32_dpp v15, v13 row_half_mirror row_mask:0xf bank_mask:0xf
	v_add_f32_e32 v13, v13, v15
	s_nop 1
	v_mov_b32_dpp v15, v13 row_mirror row_mask:0xf bank_mask:0xf
	v_add_f32_e32 v13, v13, v15
	s_nop 1
	v_mov_b32_dpp v15, v13 row_bcast:15 row_mask:0xf bank_mask:0xf
	v_add_f32_e32 v13, v13, v15
	s_nop 1
	v_mov_b32_dpp v15, v13 row_bcast:31 row_mask:0xf bank_mask:0xf
	v_add_f32_e32 v13, v13, v15
	ds_bpermute_b32 v13, v14, v13
	s_and_saveexec_b64 s[0:1], vcc
	s_cbranch_execz .LBB100_15
; %bb.27:
	v_cvt_f32_u32_e32 v14, s12
	s_mov_b32 s19, 0x20000
	s_waitcnt lgkmcnt(0)
	v_div_scale_f32 v15, s[0:1], v14, v14, v13
	v_rcp_f32_e32 v16, v15
	v_div_scale_f32 v17, vcc, v13, v14, v13
	s_mov_b32 s0, 0x800000
	v_fma_f32 v18, -v15, v16, 1.0
	v_fmac_f32_e32 v16, v18, v16
	v_mul_f32_e32 v18, v17, v16
	v_fma_f32 v19, -v15, v18, v17
	v_fmac_f32_e32 v18, v19, v16
	v_fma_f32 v15, -v15, v18, v17
	v_div_fmas_f32 v15, v15, v16, v18
	v_div_fixup_f32 v13, v15, v14, v13
	v_add_f32_e32 v13, s9, v13
	v_mul_f32_e32 v14, 0x4b800000, v13
	v_cmp_gt_f32_e32 vcc, s0, v13
	v_cndmask_b32_e32 v13, v13, v14, vcc
	v_rsq_f32_e32 v13, v13
	s_waitcnt vmcnt(0)
	v_cvt_f32_u32_sdwa v15, v0 dst_sel:DWORD dst_unused:UNUSED_PAD src0_sel:WORD_1
	v_cvt_f32_u32_sdwa v19, v1 dst_sel:DWORD dst_unused:UNUSED_PAD src0_sel:WORD_1
	v_cvt_f32_u32_sdwa v18, v1 dst_sel:DWORD dst_unused:UNUSED_PAD src0_sel:WORD_0
	v_mul_f32_e32 v14, 0x45800000, v13
	v_cndmask_b32_e32 v16, v13, v14, vcc
	v_cvt_f32_u32_sdwa v14, v0 dst_sel:DWORD dst_unused:UNUSED_PAD src0_sel:WORD_0
	v_mov_b32_e32 v17, v16
	;;#ASMSTART
	v_pk_mul_f32 v[10:11], v[10:11], v[16:17]
	;;#ASMEND
	;;#ASMSTART
	v_pk_mul_f32 v[8:9], v[8:9], v[16:17]
	;;#ASMEND
	;; [unrolled: 3-line block ×4, first 2 shown]
	v_pk_add_f32 v[4:5], v[14:15], 1.0 op_sel_hi:[1,0]
	v_cvt_f32_u32_sdwa v15, v2 dst_sel:DWORD dst_unused:UNUSED_PAD src0_sel:WORD_1
	v_cvt_f32_u32_sdwa v14, v2 dst_sel:DWORD dst_unused:UNUSED_PAD src0_sel:WORD_0
	v_cvt_f32_u32_sdwa v17, v3 dst_sel:DWORD dst_unused:UNUSED_PAD src0_sel:WORD_1
	v_cvt_f32_u32_sdwa v16, v3 dst_sel:DWORD dst_unused:UNUSED_PAD src0_sel:WORD_0
	s_mul_hi_i32 s1, s21, s6
	s_mul_i32 s0, s21, s6
	s_lshl_b64 s[0:1], s[0:1], 1
	s_add_u32 s16, s10, s0
	;;#ASMSTART
	v_pk_mul_f32 v[4:5], v[10:11], v[4:5]
	;;#ASMEND
	v_pk_add_f32 v[10:11], v[18:19], 1.0 op_sel_hi:[1,0]
	;;#ASMSTART
	v_pk_mul_f32 v[2:3], v[8:9], v[10:11]
	;;#ASMEND
	v_pk_add_f32 v[8:9], v[14:15], 1.0 op_sel_hi:[1,0]
	s_addc_u32 s0, s11, s1
	;;#ASMSTART
	v_pk_mul_f32 v[6:7], v[6:7], v[8:9]
	;;#ASMEND
	v_pk_add_f32 v[8:9], v[16:17], 1.0 op_sel_hi:[1,0]
	s_and_b32 s17, s0, 0xffff
	s_mov_b32 s0, 0x7060302
	;;#ASMSTART
	v_pk_mul_f32 v[8:9], v[0:1], v[8:9]
	;;#ASMEND
	v_perm_b32 v0, v5, v4, s0
	v_perm_b32 v1, v3, v2, s0
	;; [unrolled: 1-line block ×4, first 2 shown]
	buffer_store_dwordx4 v[0:3], v12, s[16:19], 0 offen
	;;#ASMSTART
	s_nop 0
	;;#ASMEND
	s_endpgm
	.section	.rodata,"a",@progbits
	.p2align	6, 0x0
	.amdhsa_kernel _ZN5aiter35fused_qk_rmsnorm_group_quant_kernelItN4opus5fp4_tELi64ELi8ELi16ELb1ELb1ELb1ELb1ELb0ELb0EEEvPT0_PvPT_S7_S7_PKS6_S9_S9_S9_S9_ffiiiiiiiiiiiii
		.amdhsa_group_segment_fixed_size 0
		.amdhsa_private_segment_fixed_size 0
		.amdhsa_kernarg_size 400
		.amdhsa_user_sgpr_count 6
		.amdhsa_user_sgpr_private_segment_buffer 1
		.amdhsa_user_sgpr_dispatch_ptr 0
		.amdhsa_user_sgpr_queue_ptr 0
		.amdhsa_user_sgpr_kernarg_segment_ptr 1
		.amdhsa_user_sgpr_dispatch_id 0
		.amdhsa_user_sgpr_flat_scratch_init 0
		.amdhsa_user_sgpr_kernarg_preload_length 0
		.amdhsa_user_sgpr_kernarg_preload_offset 0
		.amdhsa_user_sgpr_private_segment_size 0
		.amdhsa_uses_dynamic_stack 0
		.amdhsa_system_sgpr_private_segment_wavefront_offset 0
		.amdhsa_system_sgpr_workgroup_id_x 1
		.amdhsa_system_sgpr_workgroup_id_y 1
		.amdhsa_system_sgpr_workgroup_id_z 0
		.amdhsa_system_sgpr_workgroup_info 0
		.amdhsa_system_vgpr_workitem_id 0
		.amdhsa_next_free_vgpr 27
		.amdhsa_next_free_sgpr 44
		.amdhsa_accum_offset 28
		.amdhsa_reserve_vcc 1
		.amdhsa_reserve_flat_scratch 0
		.amdhsa_float_round_mode_32 0
		.amdhsa_float_round_mode_16_64 0
		.amdhsa_float_denorm_mode_32 3
		.amdhsa_float_denorm_mode_16_64 3
		.amdhsa_dx10_clamp 1
		.amdhsa_ieee_mode 1
		.amdhsa_fp16_overflow 0
		.amdhsa_tg_split 0
		.amdhsa_exception_fp_ieee_invalid_op 0
		.amdhsa_exception_fp_denorm_src 0
		.amdhsa_exception_fp_ieee_div_zero 0
		.amdhsa_exception_fp_ieee_overflow 0
		.amdhsa_exception_fp_ieee_underflow 0
		.amdhsa_exception_fp_ieee_inexact 0
		.amdhsa_exception_int_div_zero 0
	.end_amdhsa_kernel
	.section	.text._ZN5aiter35fused_qk_rmsnorm_group_quant_kernelItN4opus5fp4_tELi64ELi8ELi16ELb1ELb1ELb1ELb1ELb0ELb0EEEvPT0_PvPT_S7_S7_PKS6_S9_S9_S9_S9_ffiiiiiiiiiiiii,"axG",@progbits,_ZN5aiter35fused_qk_rmsnorm_group_quant_kernelItN4opus5fp4_tELi64ELi8ELi16ELb1ELb1ELb1ELb1ELb0ELb0EEEvPT0_PvPT_S7_S7_PKS6_S9_S9_S9_S9_ffiiiiiiiiiiiii,comdat
.Lfunc_end100:
	.size	_ZN5aiter35fused_qk_rmsnorm_group_quant_kernelItN4opus5fp4_tELi64ELi8ELi16ELb1ELb1ELb1ELb1ELb0ELb0EEEvPT0_PvPT_S7_S7_PKS6_S9_S9_S9_S9_ffiiiiiiiiiiiii, .Lfunc_end100-_ZN5aiter35fused_qk_rmsnorm_group_quant_kernelItN4opus5fp4_tELi64ELi8ELi16ELb1ELb1ELb1ELb1ELb0ELb0EEEvPT0_PvPT_S7_S7_PKS6_S9_S9_S9_S9_ffiiiiiiiiiiiii
                                        ; -- End function
	.section	.AMDGPU.csdata,"",@progbits
; Kernel info:
; codeLenInByte = 2396
; NumSgprs: 48
; NumVgprs: 27
; NumAgprs: 0
; TotalNumVgprs: 27
; ScratchSize: 0
; MemoryBound: 0
; FloatMode: 240
; IeeeMode: 1
; LDSByteSize: 0 bytes/workgroup (compile time only)
; SGPRBlocks: 5
; VGPRBlocks: 3
; NumSGPRsForWavesPerEU: 48
; NumVGPRsForWavesPerEU: 27
; AccumOffset: 28
; Occupancy: 8
; WaveLimiterHint : 0
; COMPUTE_PGM_RSRC2:SCRATCH_EN: 0
; COMPUTE_PGM_RSRC2:USER_SGPR: 6
; COMPUTE_PGM_RSRC2:TRAP_HANDLER: 0
; COMPUTE_PGM_RSRC2:TGID_X_EN: 1
; COMPUTE_PGM_RSRC2:TGID_Y_EN: 1
; COMPUTE_PGM_RSRC2:TGID_Z_EN: 0
; COMPUTE_PGM_RSRC2:TIDIG_COMP_CNT: 0
; COMPUTE_PGM_RSRC3_GFX90A:ACCUM_OFFSET: 6
; COMPUTE_PGM_RSRC3_GFX90A:TG_SPLIT: 0
	.section	.text._ZN5aiter35fused_qk_rmsnorm_group_quant_kernelIDF16_DB8_Li64ELi8ELi16ELb1ELb1ELb0ELb1ELb0ELb0EEEvPT0_PvPT_S6_S6_PKS5_S8_S8_S8_S8_ffiiiiiiiiiiiii,"axG",@progbits,_ZN5aiter35fused_qk_rmsnorm_group_quant_kernelIDF16_DB8_Li64ELi8ELi16ELb1ELb1ELb0ELb1ELb0ELb0EEEvPT0_PvPT_S6_S6_PKS5_S8_S8_S8_S8_ffiiiiiiiiiiiii,comdat
	.protected	_ZN5aiter35fused_qk_rmsnorm_group_quant_kernelIDF16_DB8_Li64ELi8ELi16ELb1ELb1ELb0ELb1ELb0ELb0EEEvPT0_PvPT_S6_S6_PKS5_S8_S8_S8_S8_ffiiiiiiiiiiiii ; -- Begin function _ZN5aiter35fused_qk_rmsnorm_group_quant_kernelIDF16_DB8_Li64ELi8ELi16ELb1ELb1ELb0ELb1ELb0ELb0EEEvPT0_PvPT_S6_S6_PKS5_S8_S8_S8_S8_ffiiiiiiiiiiiii
	.globl	_ZN5aiter35fused_qk_rmsnorm_group_quant_kernelIDF16_DB8_Li64ELi8ELi16ELb1ELb1ELb0ELb1ELb0ELb0EEEvPT0_PvPT_S6_S6_PKS5_S8_S8_S8_S8_ffiiiiiiiiiiiii
	.p2align	8
	.type	_ZN5aiter35fused_qk_rmsnorm_group_quant_kernelIDF16_DB8_Li64ELi8ELi16ELb1ELb1ELb0ELb1ELb0ELb0EEEvPT0_PvPT_S6_S6_PKS5_S8_S8_S8_S8_ffiiiiiiiiiiiii,@function
_ZN5aiter35fused_qk_rmsnorm_group_quant_kernelIDF16_DB8_Li64ELi8ELi16ELb1ELb1ELb0ELb1ELb0ELb0EEEvPT0_PvPT_S6_S6_PKS5_S8_S8_S8_S8_ffiiiiiiiiiiiii: ; @_ZN5aiter35fused_qk_rmsnorm_group_quant_kernelIDF16_DB8_Li64ELi8ELi16ELb1ELb1ELb0ELb1ELb0ELb0EEEvPT0_PvPT_S6_S6_PKS5_S8_S8_S8_S8_ffiiiiiiiiiiiii
; %bb.0:
	s_load_dwordx8 s[8:15], s[4:5], 0x50
	s_waitcnt lgkmcnt(0)
	s_cmp_ge_i32 s6, s10
	s_cbranch_scc1 .LBB101_15
; %bb.1:
	s_cmp_lg_u32 s7, 0
	s_cselect_b64 s[18:19], -1, 0
	s_cmp_eq_u32 s7, 0
	s_cselect_b64 s[20:21], -1, 0
	s_and_b64 s[0:1], s[20:21], exec
	s_cselect_b32 s7, s11, s12
	s_load_dwordx2 s[2:3], s[4:5], 0x30
	s_load_dwordx2 s[16:17], s[4:5], 0x48
	s_add_i32 s0, s7, 1
	s_lshr_b32 s1, s0, 31
	s_add_i32 s0, s0, s1
	s_lshl_b32 s0, s0, 1
	v_lshlrev_b32_e32 v1, 3, v0
	s_and_b32 s26, s0, -4
	v_cmp_gt_i32_e64 s[0:1], s7, v1
	v_mov_b32_e32 v2, 0
	v_mov_b32_e32 v3, 0
	;; [unrolled: 1-line block ×8, first 2 shown]
	s_and_saveexec_b64 s[10:11], s[0:1]
	s_cbranch_execz .LBB101_3
; %bb.2:
	s_load_dwordx2 s[22:23], s[4:5], 0x28
	s_load_dwordx2 s[24:25], s[4:5], 0x40
	s_and_b64 s[28:29], s[20:21], exec
	s_cselect_b32 s13, s13, s14
	v_lshlrev_b32_e32 v10, 4, v0
	s_waitcnt lgkmcnt(0)
	s_cselect_b32 s27, s23, s3
	s_cselect_b32 s28, s22, s2
	s_mul_hi_i32 s23, s13, s6
	s_mul_i32 s22, s13, s6
	s_lshl_b64 s[22:23], s[22:23], 1
	s_add_u32 s28, s28, s22
	s_addc_u32 s13, s27, s23
	s_and_b64 s[20:21], s[20:21], exec
	s_mov_b32 s27, 0x20000
	s_cselect_b32 s24, s24, s16
	s_cselect_b32 s20, s25, s17
	s_and_b32 s29, s13, 0xffff
	s_mov_b32 s30, s26
	s_mov_b32 s31, s27
	s_and_b32 s25, s20, 0xffff
	buffer_load_dwordx4 v[6:9], v10, s[28:31], 0 offen glc slc
	buffer_load_dwordx4 v[2:5], v10, s[24:27], 0 offen
.LBB101_3:
	s_or_b64 exec, exec, s[10:11]
	s_load_dwordx4 s[20:23], s[4:5], 0x7c
	s_and_b64 vcc, exec, s[18:19]
	s_cbranch_vccz .LBB101_7
; %bb.4:
	v_mov_b32_e32 v11, 0
	v_mov_b32_e32 v10, 0
	;; [unrolled: 1-line block ×8, first 2 shown]
	s_and_saveexec_b64 s[10:11], s[0:1]
	s_cbranch_execz .LBB101_6
; %bb.5:
	s_waitcnt vmcnt(1)
	v_cvt_f32_f16_sdwa v17, v6 dst_sel:DWORD dst_unused:UNUSED_PAD src0_sel:WORD_1
	v_cvt_f32_f16_e32 v16, v6
	v_cvt_f32_f16_sdwa v15, v7 dst_sel:DWORD dst_unused:UNUSED_PAD src0_sel:WORD_1
	v_cvt_f32_f16_e32 v14, v7
	;; [unrolled: 2-line block ×4, first 2 shown]
.LBB101_6:
	s_or_b64 exec, exec, s[10:11]
	s_mov_b32 s13, s9
	s_cbranch_execz .LBB101_8
	s_branch .LBB101_11
.LBB101_7:
                                        ; implicit-def: $vgpr11
                                        ; implicit-def: $vgpr13
                                        ; implicit-def: $vgpr15
                                        ; implicit-def: $vgpr17
	s_mov_b32 s13, s9
.LBB101_8:
	v_mov_b32_e32 v11, 0
	v_mov_b32_e32 v10, 0
	;; [unrolled: 1-line block ×8, first 2 shown]
	s_and_saveexec_b64 s[10:11], s[0:1]
	s_cbranch_execz .LBB101_10
; %bb.9:
	s_load_dwordx2 s[24:25], s[4:5], 0x38
	s_mul_hi_i32 s29, s15, s6
	s_mul_i32 s28, s15, s6
	s_lshl_b64 s[28:29], s[28:29], 1
	s_mov_b32 s27, 0x20000
	s_waitcnt lgkmcnt(0)
	s_add_u32 s24, s24, s28
	s_addc_u32 s13, s25, s29
	s_and_b32 s25, s13, 0xffff
	v_lshlrev_b32_e32 v26, 4, v0
	buffer_load_dwordx4 v[10:13], v26, s[24:27], 0 offen glc slc
	s_waitcnt vmcnt(2)
	v_cvt_f32_f16_sdwa v15, v6 dst_sel:DWORD dst_unused:UNUSED_PAD src0_sel:WORD_1
	v_cvt_f32_f16_e32 v14, v6
	v_cvt_f32_f16_sdwa v19, v7 dst_sel:DWORD dst_unused:UNUSED_PAD src0_sel:WORD_1
	v_cvt_f32_f16_e32 v18, v7
	;; [unrolled: 2-line block ×4, first 2 shown]
	s_load_dwordx2 s[24:25], s[4:5], 0x20
	s_mul_hi_i32 s23, s22, s6
	s_mul_i32 s22, s22, s6
	s_lshl_b64 s[22:23], s[22:23], 1
	s_waitcnt lgkmcnt(0)
	s_add_u32 s24, s24, s22
	s_addc_u32 s13, s25, s23
	s_and_b32 s25, s13, 0xffff
	s_waitcnt vmcnt(0)
	v_cvt_f32_f16_e32 v8, v10
	v_cvt_f32_f16_sdwa v9, v10 dst_sel:DWORD dst_unused:UNUSED_PAD src0_sel:WORD_1
	v_cvt_f32_f16_e32 v10, v11
	v_cvt_f32_f16_sdwa v11, v11 dst_sel:DWORD dst_unused:UNUSED_PAD src0_sel:WORD_1
	;; [unrolled: 2-line block ×4, first 2 shown]
	v_pk_add_f32 v[16:17], v[14:15], v[8:9]
	v_pk_add_f32 v[14:15], v[18:19], v[10:11]
	;; [unrolled: 1-line block ×4, first 2 shown]
	v_cvt_f16_f32_e32 v6, v17
	v_cvt_f16_f32_e32 v7, v15
	;; [unrolled: 1-line block ×8, first 2 shown]
	v_pack_b32_f16 v9, v18, v9
	v_pack_b32_f16 v8, v19, v8
	;; [unrolled: 1-line block ×4, first 2 shown]
	buffer_store_dwordx4 v[6:9], v26, s[24:27], 0 offen glc slc
	;;#ASMSTART
	s_nop 0
	;;#ASMEND
.LBB101_10:
	s_or_b64 exec, exec, s[10:11]
	s_mov_b32 s13, s8
.LBB101_11:
	s_waitcnt vmcnt(1)
	v_mul_f32_e32 v6, v17, v17
	v_fmac_f32_e32 v6, v16, v16
	v_fmac_f32_e32 v6, v14, v14
	;; [unrolled: 1-line block ×7, first 2 shown]
	v_bfrev_b32_e32 v8, 0.5
	s_load_dwordx2 s[10:11], s[4:5], 0x18
	v_mov_b32_dpp v7, v6 quad_perm:[1,0,3,2] row_mask:0xf bank_mask:0xf
	v_add_f32_e32 v6, v6, v7
	s_nop 1
	v_mov_b32_dpp v7, v6 quad_perm:[2,3,0,1] row_mask:0xf bank_mask:0xf
	v_add_f32_e32 v6, v6, v7
	s_nop 1
	v_mov_b32_dpp v7, v6 row_half_mirror row_mask:0xf bank_mask:0xf
	v_add_f32_e32 v6, v6, v7
	s_nop 1
	v_mov_b32_dpp v7, v6 row_mirror row_mask:0xf bank_mask:0xf
	v_add_f32_e32 v6, v6, v7
	s_nop 1
	v_mov_b32_dpp v7, v6 row_bcast:15 row_mask:0xf bank_mask:0xf
	v_add_f32_e32 v6, v6, v7
	s_nop 1
	v_mov_b32_dpp v7, v6 row_bcast:31 row_mask:0xf bank_mask:0xf
	v_add_f32_e32 v6, v6, v7
	v_mbcnt_lo_u32_b32 v7, -1, 0
	v_mbcnt_hi_u32_b32 v7, -1, v7
	v_lshl_or_b32 v18, v7, 2, v8
	ds_bpermute_b32 v6, v18, v6
	s_waitcnt lgkmcnt(0)
	s_and_saveexec_b64 s[22:23], s[0:1]
	s_cbranch_execnz .LBB101_16
; %bb.12:
	s_or_b64 exec, exec, s[22:23]
	s_mov_b64 s[22:23], -1
	s_and_b64 vcc, exec, s[18:19]
	s_cbranch_vccnz .LBB101_17
.LBB101_13:
	s_andn2_b64 vcc, exec, s[22:23]
	s_cbranch_vccz .LBB101_20
.LBB101_14:
	s_cmp_lt_i32 s12, 1
	s_cbranch_scc0 .LBB101_23
.LBB101_15:
	s_endpgm
.LBB101_16:
	v_cvt_f32_u32_e32 v7, s7
	s_mov_b32 s7, 0x800000
	s_waitcnt vmcnt(0)
	v_cvt_f32_f16_sdwa v23, v5 dst_sel:DWORD dst_unused:UNUSED_PAD src0_sel:WORD_1
	v_cvt_f32_f16_e32 v22, v5
	v_div_scale_f32 v8, s[24:25], v7, v7, v6
	v_rcp_f32_e32 v9, v8
	v_div_scale_f32 v19, vcc, v6, v7, v6
	v_fma_f32 v20, -v8, v9, 1.0
	v_fmac_f32_e32 v9, v20, v9
	v_mul_f32_e32 v20, v19, v9
	v_fma_f32 v21, -v8, v20, v19
	v_fmac_f32_e32 v20, v21, v9
	v_fma_f32 v8, -v8, v20, v19
	v_div_fmas_f32 v8, v8, v9, v20
	v_div_fixup_f32 v6, v8, v7, v6
	v_add_f32_e32 v6, s13, v6
	v_mul_f32_e32 v7, 0x4b800000, v6
	v_cmp_gt_f32_e32 vcc, s7, v6
	v_cndmask_b32_e32 v6, v6, v7, vcc
	v_rsq_f32_e32 v6, v6
	v_cvt_f32_f16_sdwa v21, v3 dst_sel:DWORD dst_unused:UNUSED_PAD src0_sel:WORD_1
	v_cvt_f32_f16_e32 v20, v3
	v_cvt_f32_f16_sdwa v3, v4 dst_sel:DWORD dst_unused:UNUSED_PAD src0_sel:WORD_1
	v_mul_f32_e32 v7, 0x45800000, v6
	v_cndmask_b32_e32 v6, v6, v7, vcc
	v_mov_b32_e32 v7, v6
	;;#ASMSTART
	v_pk_mul_f32 v[8:9], v[16:17], v[6:7]
	;;#ASMEND
	;;#ASMSTART
	v_pk_mul_f32 v[14:15], v[14:15], v[6:7]
	;;#ASMEND
	;; [unrolled: 3-line block ×4, first 2 shown]
	v_cvt_f32_f16_sdwa v11, v2 dst_sel:DWORD dst_unused:UNUSED_PAD src0_sel:WORD_1
	v_cvt_f32_f16_e32 v10, v2
	v_cvt_f32_f16_e32 v2, v4
	;;#ASMSTART
	v_pk_mul_f32 v[16:17], v[8:9], v[10:11]
	;;#ASMEND
	;;#ASMSTART
	v_pk_mul_f32 v[14:15], v[14:15], v[20:21]
	;;#ASMEND
	;;#ASMSTART
	v_pk_mul_f32 v[12:13], v[12:13], v[2:3]
	;;#ASMEND
	;;#ASMSTART
	v_pk_mul_f32 v[10:11], v[6:7], v[22:23]
	;;#ASMEND
	s_or_b64 exec, exec, s[22:23]
	s_mov_b64 s[22:23], -1
	s_and_b64 vcc, exec, s[18:19]
	s_cbranch_vccz .LBB101_13
.LBB101_17:
	s_and_saveexec_b64 s[18:19], s[0:1]
	s_cbranch_execz .LBB101_19
; %bb.18:
	s_mul_hi_i32 s23, s21, s6
	s_mul_i32 s22, s21, s6
	s_waitcnt vmcnt(0)
	v_cvt_f16_f32_e32 v2, v16
	v_cvt_f16_f32_e32 v3, v14
	;; [unrolled: 1-line block ×8, first 2 shown]
	s_lshl_b64 s[22:23], s[22:23], 1
	s_add_u32 s24, s10, s22
	s_addc_u32 s7, s11, s23
	s_and_b32 s25, s7, 0xffff
	s_mov_b32 s27, 0x20000
	v_pack_b32_f16 v5, v5, v6
	v_pack_b32_f16 v4, v4, v7
	;; [unrolled: 1-line block ×4, first 2 shown]
	v_lshlrev_b32_e32 v6, 4, v0
	buffer_store_dwordx4 v[2:5], v6, s[24:27], 0 offen
	;;#ASMSTART
	s_nop 0
	;;#ASMEND
.LBB101_19:
	s_or_b64 exec, exec, s[18:19]
	s_cbranch_execnz .LBB101_14
.LBB101_20:
	s_and_saveexec_b64 s[18:19], s[0:1]
	s_cbranch_execz .LBB101_22
; %bb.21:
	s_load_dwordx2 s[0:1], s[4:5], 0x10
	s_mul_hi_i32 s23, s20, s6
	s_mul_i32 s22, s20, s6
	s_waitcnt vmcnt(0)
	v_cvt_f16_f32_e32 v2, v16
	v_cvt_f16_f32_e32 v3, v14
	;; [unrolled: 1-line block ×8, first 2 shown]
	s_lshl_b64 s[22:23], s[22:23], 1
	s_waitcnt lgkmcnt(0)
	s_add_u32 s24, s0, s22
	s_addc_u32 s0, s1, s23
	s_mov_b32 s27, 0x20000
	s_and_b32 s25, s0, 0xffff
	v_pack_b32_f16 v5, v5, v6
	v_pack_b32_f16 v4, v4, v7
	;; [unrolled: 1-line block ×4, first 2 shown]
	v_lshlrev_b32_e32 v6, 4, v0
	buffer_store_dwordx4 v[2:5], v6, s[24:27], 0 offen
	;;#ASMSTART
	s_nop 0
	;;#ASMEND
.LBB101_22:
	s_or_b64 exec, exec, s[18:19]
	s_cmp_lt_i32 s12, 1
	s_cbranch_scc1 .LBB101_15
.LBB101_23:
	s_load_dword s0, s[4:5], 0x94
	s_waitcnt lgkmcnt(0)
	s_cmp_lg_u32 s0, 1
	s_cbranch_scc1 .LBB101_15
; %bb.24:
	s_lshl_b32 s0, s12, 1
	s_add_i32 s0, s0, 2
	v_cmp_gt_u32_e32 vcc, s12, v1
	s_and_b32 s18, s0, -4
	v_mov_b32_e32 v8, 0
	v_lshlrev_b32_e32 v16, 4, v0
	s_waitcnt vmcnt(0)
	v_mov_b32_e32 v4, 0
	v_mov_b32_e32 v5, 0
	;; [unrolled: 1-line block ×8, first 2 shown]
	s_barrier
	s_and_saveexec_b64 s[0:1], vcc
	s_cbranch_execz .LBB101_26
; %bb.25:
	s_mul_hi_i32 s5, s14, s6
	s_mul_i32 s4, s14, s6
	s_and_b32 s17, s17, 0xffff
	s_lshl_b64 s[4:5], s[4:5], 1
	s_add_u32 s24, s2, s4
	s_mov_b32 s19, 0x20000
	s_addc_u32 s2, s3, s5
	s_and_b32 s25, s2, 0xffff
	s_mov_b32 s26, s18
	s_mov_b32 s27, s19
	buffer_load_dwordx4 v[4:7], v16, s[24:27], 0 offen glc slc
	buffer_load_dwordx4 v[0:3], v16, s[16:19], 0 offen
.LBB101_26:
	s_or_b64 exec, exec, s[0:1]
	v_mov_b32_e32 v9, 0
	v_mov_b32_e32 v14, 0
	;; [unrolled: 1-line block ×7, first 2 shown]
	s_and_saveexec_b64 s[0:1], vcc
	s_cbranch_execz .LBB101_28
; %bb.27:
	s_waitcnt vmcnt(1)
	v_cvt_f32_f16_sdwa v9, v4 dst_sel:DWORD dst_unused:UNUSED_PAD src0_sel:WORD_1
	v_cvt_f32_f16_e32 v8, v4
	v_cvt_f32_f16_sdwa v15, v5 dst_sel:DWORD dst_unused:UNUSED_PAD src0_sel:WORD_1
	v_cvt_f32_f16_e32 v14, v5
	;; [unrolled: 2-line block ×4, first 2 shown]
.LBB101_28:
	s_or_b64 exec, exec, s[0:1]
	s_waitcnt vmcnt(1)
	v_mul_f32_e32 v4, v9, v9
	v_fmac_f32_e32 v4, v8, v8
	v_fmac_f32_e32 v4, v14, v14
	;; [unrolled: 1-line block ×7, first 2 shown]
	s_nop 1
	v_mov_b32_dpp v5, v4 quad_perm:[1,0,3,2] row_mask:0xf bank_mask:0xf
	v_add_f32_e32 v4, v4, v5
	s_nop 1
	v_mov_b32_dpp v5, v4 quad_perm:[2,3,0,1] row_mask:0xf bank_mask:0xf
	v_add_f32_e32 v4, v4, v5
	s_nop 1
	v_mov_b32_dpp v5, v4 row_half_mirror row_mask:0xf bank_mask:0xf
	v_add_f32_e32 v4, v4, v5
	s_nop 1
	v_mov_b32_dpp v5, v4 row_mirror row_mask:0xf bank_mask:0xf
	v_add_f32_e32 v4, v4, v5
	s_nop 1
	v_mov_b32_dpp v5, v4 row_bcast:15 row_mask:0xf bank_mask:0xf
	v_add_f32_e32 v4, v4, v5
	s_nop 1
	v_mov_b32_dpp v5, v4 row_bcast:31 row_mask:0xf bank_mask:0xf
	v_add_f32_e32 v4, v4, v5
	ds_bpermute_b32 v4, v18, v4
	s_and_saveexec_b64 s[0:1], vcc
	s_cbranch_execz .LBB101_15
; %bb.29:
	v_cvt_f32_u32_e32 v5, s12
	s_mov_b32 s19, 0x20000
	s_waitcnt lgkmcnt(0)
	v_div_scale_f32 v6, s[0:1], v5, v5, v4
	v_rcp_f32_e32 v7, v6
	v_div_scale_f32 v17, vcc, v4, v5, v4
	s_mov_b32 s0, 0x800000
	v_fma_f32 v18, -v6, v7, 1.0
	v_fmac_f32_e32 v7, v18, v7
	v_mul_f32_e32 v18, v17, v7
	v_fma_f32 v19, -v6, v18, v17
	v_fmac_f32_e32 v18, v19, v7
	v_fma_f32 v6, -v6, v18, v17
	v_div_fmas_f32 v6, v6, v7, v18
	v_div_fixup_f32 v4, v6, v5, v4
	v_add_f32_e32 v4, s9, v4
	v_mul_f32_e32 v5, 0x4b800000, v4
	v_cmp_gt_f32_e32 vcc, s0, v4
	v_cndmask_b32_e32 v4, v4, v5, vcc
	v_rsq_f32_e32 v4, v4
	s_waitcnt vmcnt(0)
	v_cvt_f32_f16_sdwa v19, v3 dst_sel:DWORD dst_unused:UNUSED_PAD src0_sel:WORD_1
	v_cvt_f32_f16_e32 v18, v3
	s_mul_hi_i32 s1, s21, s6
	v_mul_f32_e32 v5, 0x45800000, v4
	v_cndmask_b32_e32 v4, v4, v5, vcc
	v_mov_b32_e32 v5, v4
	;;#ASMSTART
	v_pk_mul_f32 v[6:7], v[8:9], v[4:5]
	;;#ASMEND
	;;#ASMSTART
	v_pk_mul_f32 v[8:9], v[14:15], v[4:5]
	;;#ASMEND
	;; [unrolled: 3-line block ×4, first 2 shown]
	v_cvt_f32_f16_sdwa v11, v0 dst_sel:DWORD dst_unused:UNUSED_PAD src0_sel:WORD_1
	v_cvt_f32_f16_e32 v10, v0
	v_cvt_f32_f16_sdwa v15, v1 dst_sel:DWORD dst_unused:UNUSED_PAD src0_sel:WORD_1
	v_cvt_f32_f16_e32 v14, v1
	;; [unrolled: 2-line block ×3, first 2 shown]
	;;#ASMSTART
	v_pk_mul_f32 v[2:3], v[6:7], v[10:11]
	;;#ASMEND
	;;#ASMSTART
	v_pk_mul_f32 v[6:7], v[8:9], v[14:15]
	;;#ASMEND
	;; [unrolled: 3-line block ×4, first 2 shown]
	s_mul_i32 s0, s21, s6
	v_cvt_f16_f32_e32 v2, v2
	v_cvt_f16_f32_e32 v3, v3
	;; [unrolled: 1-line block ×8, first 2 shown]
	s_lshl_b64 s[0:1], s[0:1], 1
	s_add_u32 s16, s10, s0
	s_addc_u32 s0, s11, s1
	s_and_b32 s17, s0, 0xffff
	v_pack_b32_f16 v0, v2, v3
	v_pack_b32_f16 v1, v6, v7
	v_pack_b32_f16 v2, v8, v9
	v_pack_b32_f16 v3, v4, v5
	buffer_store_dwordx4 v[0:3], v16, s[16:19], 0 offen
	;;#ASMSTART
	s_nop 0
	;;#ASMEND
	s_endpgm
	.section	.rodata,"a",@progbits
	.p2align	6, 0x0
	.amdhsa_kernel _ZN5aiter35fused_qk_rmsnorm_group_quant_kernelIDF16_DB8_Li64ELi8ELi16ELb1ELb1ELb0ELb1ELb0ELb0EEEvPT0_PvPT_S6_S6_PKS5_S8_S8_S8_S8_ffiiiiiiiiiiiii
		.amdhsa_group_segment_fixed_size 0
		.amdhsa_private_segment_fixed_size 0
		.amdhsa_kernarg_size 400
		.amdhsa_user_sgpr_count 6
		.amdhsa_user_sgpr_private_segment_buffer 1
		.amdhsa_user_sgpr_dispatch_ptr 0
		.amdhsa_user_sgpr_queue_ptr 0
		.amdhsa_user_sgpr_kernarg_segment_ptr 1
		.amdhsa_user_sgpr_dispatch_id 0
		.amdhsa_user_sgpr_flat_scratch_init 0
		.amdhsa_user_sgpr_kernarg_preload_length 0
		.amdhsa_user_sgpr_kernarg_preload_offset 0
		.amdhsa_user_sgpr_private_segment_size 0
		.amdhsa_uses_dynamic_stack 0
		.amdhsa_system_sgpr_private_segment_wavefront_offset 0
		.amdhsa_system_sgpr_workgroup_id_x 1
		.amdhsa_system_sgpr_workgroup_id_y 1
		.amdhsa_system_sgpr_workgroup_id_z 0
		.amdhsa_system_sgpr_workgroup_info 0
		.amdhsa_system_vgpr_workitem_id 0
		.amdhsa_next_free_vgpr 27
		.amdhsa_next_free_sgpr 32
		.amdhsa_accum_offset 28
		.amdhsa_reserve_vcc 1
		.amdhsa_reserve_flat_scratch 0
		.amdhsa_float_round_mode_32 0
		.amdhsa_float_round_mode_16_64 0
		.amdhsa_float_denorm_mode_32 3
		.amdhsa_float_denorm_mode_16_64 3
		.amdhsa_dx10_clamp 1
		.amdhsa_ieee_mode 1
		.amdhsa_fp16_overflow 0
		.amdhsa_tg_split 0
		.amdhsa_exception_fp_ieee_invalid_op 0
		.amdhsa_exception_fp_denorm_src 0
		.amdhsa_exception_fp_ieee_div_zero 0
		.amdhsa_exception_fp_ieee_overflow 0
		.amdhsa_exception_fp_ieee_underflow 0
		.amdhsa_exception_fp_ieee_inexact 0
		.amdhsa_exception_int_div_zero 0
	.end_amdhsa_kernel
	.section	.text._ZN5aiter35fused_qk_rmsnorm_group_quant_kernelIDF16_DB8_Li64ELi8ELi16ELb1ELb1ELb0ELb1ELb0ELb0EEEvPT0_PvPT_S6_S6_PKS5_S8_S8_S8_S8_ffiiiiiiiiiiiii,"axG",@progbits,_ZN5aiter35fused_qk_rmsnorm_group_quant_kernelIDF16_DB8_Li64ELi8ELi16ELb1ELb1ELb0ELb1ELb0ELb0EEEvPT0_PvPT_S6_S6_PKS5_S8_S8_S8_S8_ffiiiiiiiiiiiii,comdat
.Lfunc_end101:
	.size	_ZN5aiter35fused_qk_rmsnorm_group_quant_kernelIDF16_DB8_Li64ELi8ELi16ELb1ELb1ELb0ELb1ELb0ELb0EEEvPT0_PvPT_S6_S6_PKS5_S8_S8_S8_S8_ffiiiiiiiiiiiii, .Lfunc_end101-_ZN5aiter35fused_qk_rmsnorm_group_quant_kernelIDF16_DB8_Li64ELi8ELi16ELb1ELb1ELb0ELb1ELb0ELb0EEEvPT0_PvPT_S6_S6_PKS5_S8_S8_S8_S8_ffiiiiiiiiiiiii
                                        ; -- End function
	.section	.AMDGPU.csdata,"",@progbits
; Kernel info:
; codeLenInByte = 2288
; NumSgprs: 36
; NumVgprs: 27
; NumAgprs: 0
; TotalNumVgprs: 27
; ScratchSize: 0
; MemoryBound: 0
; FloatMode: 240
; IeeeMode: 1
; LDSByteSize: 0 bytes/workgroup (compile time only)
; SGPRBlocks: 4
; VGPRBlocks: 3
; NumSGPRsForWavesPerEU: 36
; NumVGPRsForWavesPerEU: 27
; AccumOffset: 28
; Occupancy: 8
; WaveLimiterHint : 0
; COMPUTE_PGM_RSRC2:SCRATCH_EN: 0
; COMPUTE_PGM_RSRC2:USER_SGPR: 6
; COMPUTE_PGM_RSRC2:TRAP_HANDLER: 0
; COMPUTE_PGM_RSRC2:TGID_X_EN: 1
; COMPUTE_PGM_RSRC2:TGID_Y_EN: 1
; COMPUTE_PGM_RSRC2:TGID_Z_EN: 0
; COMPUTE_PGM_RSRC2:TIDIG_COMP_CNT: 0
; COMPUTE_PGM_RSRC3_GFX90A:ACCUM_OFFSET: 6
; COMPUTE_PGM_RSRC3_GFX90A:TG_SPLIT: 0
	.section	.text._ZN5aiter35fused_qk_rmsnorm_group_quant_kernelItDB8_Li64ELi8ELi16ELb1ELb1ELb0ELb1ELb0ELb0EEEvPT0_PvPT_S6_S6_PKS5_S8_S8_S8_S8_ffiiiiiiiiiiiii,"axG",@progbits,_ZN5aiter35fused_qk_rmsnorm_group_quant_kernelItDB8_Li64ELi8ELi16ELb1ELb1ELb0ELb1ELb0ELb0EEEvPT0_PvPT_S6_S6_PKS5_S8_S8_S8_S8_ffiiiiiiiiiiiii,comdat
	.protected	_ZN5aiter35fused_qk_rmsnorm_group_quant_kernelItDB8_Li64ELi8ELi16ELb1ELb1ELb0ELb1ELb0ELb0EEEvPT0_PvPT_S6_S6_PKS5_S8_S8_S8_S8_ffiiiiiiiiiiiii ; -- Begin function _ZN5aiter35fused_qk_rmsnorm_group_quant_kernelItDB8_Li64ELi8ELi16ELb1ELb1ELb0ELb1ELb0ELb0EEEvPT0_PvPT_S6_S6_PKS5_S8_S8_S8_S8_ffiiiiiiiiiiiii
	.globl	_ZN5aiter35fused_qk_rmsnorm_group_quant_kernelItDB8_Li64ELi8ELi16ELb1ELb1ELb0ELb1ELb0ELb0EEEvPT0_PvPT_S6_S6_PKS5_S8_S8_S8_S8_ffiiiiiiiiiiiii
	.p2align	8
	.type	_ZN5aiter35fused_qk_rmsnorm_group_quant_kernelItDB8_Li64ELi8ELi16ELb1ELb1ELb0ELb1ELb0ELb0EEEvPT0_PvPT_S6_S6_PKS5_S8_S8_S8_S8_ffiiiiiiiiiiiii,@function
_ZN5aiter35fused_qk_rmsnorm_group_quant_kernelItDB8_Li64ELi8ELi16ELb1ELb1ELb0ELb1ELb0ELb0EEEvPT0_PvPT_S6_S6_PKS5_S8_S8_S8_S8_ffiiiiiiiiiiiii: ; @_ZN5aiter35fused_qk_rmsnorm_group_quant_kernelItDB8_Li64ELi8ELi16ELb1ELb1ELb0ELb1ELb0ELb0EEEvPT0_PvPT_S6_S6_PKS5_S8_S8_S8_S8_ffiiiiiiiiiiiii
; %bb.0:
	s_load_dwordx8 s[8:15], s[4:5], 0x50
	s_waitcnt lgkmcnt(0)
	s_cmp_ge_i32 s6, s10
	s_cbranch_scc1 .LBB102_15
; %bb.1:
	s_cmp_lg_u32 s7, 0
	s_cselect_b64 s[18:19], -1, 0
	s_cmp_eq_u32 s7, 0
	s_cselect_b64 s[20:21], -1, 0
	s_and_b64 s[0:1], s[20:21], exec
	s_cselect_b32 s7, s11, s12
	s_load_dwordx2 s[2:3], s[4:5], 0x30
	s_load_dwordx2 s[16:17], s[4:5], 0x48
	s_add_i32 s0, s7, 1
	s_lshr_b32 s1, s0, 31
	s_add_i32 s0, s0, s1
	s_lshl_b32 s0, s0, 1
	v_lshlrev_b32_e32 v1, 3, v0
	s_and_b32 s26, s0, -4
	v_cmp_gt_i32_e64 s[0:1], s7, v1
	v_mov_b32_e32 v10, 0
	v_mov_b32_e32 v11, 0
	;; [unrolled: 1-line block ×8, first 2 shown]
	s_and_saveexec_b64 s[10:11], s[0:1]
	s_cbranch_execz .LBB102_3
; %bb.2:
	s_load_dwordx2 s[22:23], s[4:5], 0x28
	s_load_dwordx2 s[24:25], s[4:5], 0x40
	s_and_b64 s[28:29], s[20:21], exec
	s_cselect_b32 s13, s13, s14
	v_lshlrev_b32_e32 v2, 4, v0
	s_waitcnt lgkmcnt(0)
	s_cselect_b32 s27, s23, s3
	s_cselect_b32 s28, s22, s2
	s_mul_hi_i32 s23, s13, s6
	s_mul_i32 s22, s13, s6
	s_lshl_b64 s[22:23], s[22:23], 1
	s_add_u32 s28, s28, s22
	s_addc_u32 s13, s27, s23
	s_and_b64 s[20:21], s[20:21], exec
	s_mov_b32 s27, 0x20000
	s_cselect_b32 s24, s24, s16
	s_cselect_b32 s20, s25, s17
	s_and_b32 s29, s13, 0xffff
	s_mov_b32 s30, s26
	s_mov_b32 s31, s27
	s_and_b32 s25, s20, 0xffff
	buffer_load_dwordx4 v[14:17], v2, s[28:31], 0 offen glc slc
	buffer_load_dwordx4 v[10:13], v2, s[24:27], 0 offen
.LBB102_3:
	s_or_b64 exec, exec, s[10:11]
	s_load_dwordx4 s[20:23], s[4:5], 0x7c
	s_and_b64 vcc, exec, s[18:19]
	s_cbranch_vccz .LBB102_7
; %bb.4:
	s_mov_b32 s36, 0
	s_mov_b32 s37, s36
	s_mov_b32 s38, s36
	s_mov_b32 s39, s36
	s_mov_b32 s40, s36
	s_mov_b32 s41, s36
	s_mov_b32 s42, s36
	s_mov_b32 s43, s36
	v_pk_mov_b32 v[2:3], s[36:37], s[36:37] op_sel:[0,1]
	v_pk_mov_b32 v[4:5], s[38:39], s[38:39] op_sel:[0,1]
	;; [unrolled: 1-line block ×4, first 2 shown]
	s_and_saveexec_b64 s[10:11], s[0:1]
	s_cbranch_execz .LBB102_6
; %bb.5:
	s_waitcnt vmcnt(1)
	v_cvt_f32_u32_sdwa v3, v14 dst_sel:DWORD dst_unused:UNUSED_PAD src0_sel:WORD_1
	v_cvt_f32_u32_sdwa v2, v14 dst_sel:DWORD dst_unused:UNUSED_PAD src0_sel:WORD_0
	v_cvt_f32_u32_sdwa v5, v15 dst_sel:DWORD dst_unused:UNUSED_PAD src0_sel:WORD_1
	v_cvt_f32_u32_sdwa v4, v15 dst_sel:DWORD dst_unused:UNUSED_PAD src0_sel:WORD_0
	;; [unrolled: 2-line block ×4, first 2 shown]
.LBB102_6:
	s_or_b64 exec, exec, s[10:11]
	s_mov_b32 s13, s9
	s_cbranch_execz .LBB102_8
	s_branch .LBB102_11
.LBB102_7:
                                        ; implicit-def: $vgpr2_vgpr3_vgpr4_vgpr5_vgpr6_vgpr7_vgpr8_vgpr9
	s_mov_b32 s13, s9
.LBB102_8:
	s_mov_b32 s36, 0
	s_mov_b32 s37, s36
	;; [unrolled: 1-line block ×8, first 2 shown]
	v_pk_mov_b32 v[2:3], s[36:37], s[36:37] op_sel:[0,1]
	v_pk_mov_b32 v[4:5], s[38:39], s[38:39] op_sel:[0,1]
	;; [unrolled: 1-line block ×4, first 2 shown]
	s_and_saveexec_b64 s[10:11], s[0:1]
	s_cbranch_execz .LBB102_10
; %bb.9:
	s_load_dwordx2 s[24:25], s[4:5], 0x38
	s_mul_hi_i32 s29, s15, s6
	s_mul_i32 s28, s15, s6
	s_lshl_b64 s[28:29], s[28:29], 1
	s_mov_b32 s27, 0x20000
	s_waitcnt lgkmcnt(0)
	s_add_u32 s24, s24, s28
	s_addc_u32 s13, s25, s29
	s_and_b32 s25, s13, 0xffff
	v_lshlrev_b32_e32 v26, 4, v0
	buffer_load_dwordx4 v[2:5], v26, s[24:27], 0 offen glc slc
	s_load_dwordx2 s[24:25], s[4:5], 0x20
	s_waitcnt vmcnt(2)
	v_cvt_f32_u32_sdwa v7, v14 dst_sel:DWORD dst_unused:UNUSED_PAD src0_sel:WORD_1
	v_cvt_f32_u32_sdwa v6, v14 dst_sel:DWORD dst_unused:UNUSED_PAD src0_sel:WORD_0
	v_cvt_f32_u32_sdwa v9, v15 dst_sel:DWORD dst_unused:UNUSED_PAD src0_sel:WORD_1
	v_cvt_f32_u32_sdwa v8, v15 dst_sel:DWORD dst_unused:UNUSED_PAD src0_sel:WORD_0
	;; [unrolled: 2-line block ×4, first 2 shown]
	s_mul_hi_i32 s23, s22, s6
	s_mul_i32 s22, s22, s6
	s_lshl_b64 s[22:23], s[22:23], 1
	s_waitcnt lgkmcnt(0)
	s_add_u32 s24, s24, s22
	s_mov_b32 s13, 0x7060302
	s_addc_u32 s15, s25, s23
	s_and_b32 s25, s15, 0xffff
	s_waitcnt vmcnt(0)
	v_cvt_f32_u32_sdwa v17, v2 dst_sel:DWORD dst_unused:UNUSED_PAD src0_sel:WORD_1
	v_cvt_f32_u32_sdwa v16, v2 dst_sel:DWORD dst_unused:UNUSED_PAD src0_sel:WORD_0
	v_cvt_f32_u32_sdwa v21, v3 dst_sel:DWORD dst_unused:UNUSED_PAD src0_sel:WORD_1
	v_cvt_f32_u32_sdwa v20, v3 dst_sel:DWORD dst_unused:UNUSED_PAD src0_sel:WORD_0
	;; [unrolled: 2-line block ×4, first 2 shown]
	v_pk_add_f32 v[2:3], v[6:7], v[16:17]
	v_pk_add_f32 v[4:5], v[8:9], v[20:21]
	;; [unrolled: 1-line block ×4, first 2 shown]
	v_perm_b32 v17, v9, v8, s13
	v_perm_b32 v16, v7, v6, s13
	;; [unrolled: 1-line block ×4, first 2 shown]
	buffer_store_dwordx4 v[14:17], v26, s[24:27], 0 offen glc slc
	;;#ASMSTART
	s_nop 0
	;;#ASMEND
.LBB102_10:
	s_or_b64 exec, exec, s[10:11]
	s_mov_b32 s13, s8
.LBB102_11:
	s_waitcnt vmcnt(1)
	v_mul_f32_e32 v14, v3, v3
	v_fmac_f32_e32 v14, v2, v2
	v_fmac_f32_e32 v14, v4, v4
	;; [unrolled: 1-line block ×7, first 2 shown]
	v_bfrev_b32_e32 v16, 0.5
	s_load_dwordx2 s[10:11], s[4:5], 0x18
	v_mov_b32_dpp v15, v14 quad_perm:[1,0,3,2] row_mask:0xf bank_mask:0xf
	v_add_f32_e32 v14, v14, v15
	s_nop 1
	v_mov_b32_dpp v15, v14 quad_perm:[2,3,0,1] row_mask:0xf bank_mask:0xf
	v_add_f32_e32 v14, v14, v15
	s_nop 1
	v_mov_b32_dpp v15, v14 row_half_mirror row_mask:0xf bank_mask:0xf
	v_add_f32_e32 v14, v14, v15
	s_nop 1
	v_mov_b32_dpp v15, v14 row_mirror row_mask:0xf bank_mask:0xf
	v_add_f32_e32 v14, v14, v15
	s_nop 1
	v_mov_b32_dpp v15, v14 row_bcast:15 row_mask:0xf bank_mask:0xf
	v_add_f32_e32 v14, v14, v15
	s_nop 1
	v_mov_b32_dpp v15, v14 row_bcast:31 row_mask:0xf bank_mask:0xf
	v_add_f32_e32 v15, v14, v15
	v_mbcnt_lo_u32_b32 v14, -1, 0
	v_mbcnt_hi_u32_b32 v14, -1, v14
	v_lshl_or_b32 v14, v14, 2, v16
	ds_bpermute_b32 v15, v14, v15
	s_waitcnt lgkmcnt(0)
	s_and_saveexec_b64 s[22:23], s[0:1]
	s_cbranch_execnz .LBB102_16
; %bb.12:
	s_or_b64 exec, exec, s[22:23]
	s_mov_b64 s[22:23], -1
	s_and_b64 vcc, exec, s[18:19]
	s_cbranch_vccnz .LBB102_17
.LBB102_13:
	s_andn2_b64 vcc, exec, s[22:23]
	s_cbranch_vccz .LBB102_20
.LBB102_14:
	s_cmp_lt_i32 s12, 1
	s_cbranch_scc0 .LBB102_23
.LBB102_15:
	s_endpgm
.LBB102_16:
	v_cvt_f32_u32_e32 v16, s7
	s_mov_b32 s7, 0x800000
	v_div_scale_f32 v17, s[24:25], v16, v16, v15
	v_rcp_f32_e32 v18, v17
	v_div_scale_f32 v19, vcc, v15, v16, v15
	v_fma_f32 v20, -v17, v18, 1.0
	v_fmac_f32_e32 v18, v20, v18
	v_mul_f32_e32 v20, v19, v18
	v_fma_f32 v21, -v17, v20, v19
	v_fmac_f32_e32 v20, v21, v18
	v_fma_f32 v17, -v17, v20, v19
	v_div_fmas_f32 v17, v17, v18, v20
	v_div_fixup_f32 v15, v17, v16, v15
	v_add_f32_e32 v15, s13, v15
	v_mul_f32_e32 v16, 0x4b800000, v15
	v_cmp_gt_f32_e32 vcc, s7, v15
	v_cndmask_b32_e32 v15, v15, v16, vcc
	v_rsq_f32_e32 v15, v15
	s_waitcnt vmcnt(0)
	v_cvt_f32_u32_sdwa v19, v11 dst_sel:DWORD dst_unused:UNUSED_PAD src0_sel:WORD_1
	v_cvt_f32_u32_sdwa v18, v11 dst_sel:DWORD dst_unused:UNUSED_PAD src0_sel:WORD_0
	v_cvt_f32_u32_sdwa v11, v12 dst_sel:DWORD dst_unused:UNUSED_PAD src0_sel:WORD_1
	v_mul_f32_e32 v16, 0x45800000, v15
	v_cndmask_b32_e32 v16, v15, v16, vcc
	v_mov_b32_e32 v17, v16
	;;#ASMSTART
	v_pk_mul_f32 v[2:3], v[2:3], v[16:17]
	;;#ASMEND
	;;#ASMSTART
	v_pk_mul_f32 v[4:5], v[4:5], v[16:17]
	;;#ASMEND
	;; [unrolled: 3-line block ×4, first 2 shown]
	v_cvt_f32_u32_sdwa v17, v10 dst_sel:DWORD dst_unused:UNUSED_PAD src0_sel:WORD_1
	v_cvt_f32_u32_sdwa v16, v10 dst_sel:DWORD dst_unused:UNUSED_PAD src0_sel:WORD_0
	v_cvt_f32_u32_sdwa v10, v12 dst_sel:DWORD dst_unused:UNUSED_PAD src0_sel:WORD_0
	v_cvt_f32_u32_sdwa v21, v13 dst_sel:DWORD dst_unused:UNUSED_PAD src0_sel:WORD_1
	v_cvt_f32_u32_sdwa v20, v13 dst_sel:DWORD dst_unused:UNUSED_PAD src0_sel:WORD_0
	;;#ASMSTART
	v_pk_mul_f32 v[2:3], v[2:3], v[16:17]
	;;#ASMEND
	;;#ASMSTART
	v_pk_mul_f32 v[4:5], v[4:5], v[18:19]
	;;#ASMEND
	;; [unrolled: 3-line block ×4, first 2 shown]
	s_or_b64 exec, exec, s[22:23]
	s_mov_b64 s[22:23], -1
	s_and_b64 vcc, exec, s[18:19]
	s_cbranch_vccz .LBB102_13
.LBB102_17:
	s_and_saveexec_b64 s[18:19], s[0:1]
	s_cbranch_execz .LBB102_19
; %bb.18:
	s_mul_hi_i32 s23, s21, s6
	s_mul_i32 s22, s21, s6
	s_lshl_b64 s[22:23], s[22:23], 1
	s_add_u32 s24, s10, s22
	s_addc_u32 s7, s11, s23
	s_and_b32 s25, s7, 0xffff
	s_mov_b32 s7, 0x7060302
	s_mov_b32 s27, 0x20000
	s_waitcnt vmcnt(0)
	v_perm_b32 v10, v3, v2, s7
	v_perm_b32 v11, v5, v4, s7
	v_perm_b32 v12, v7, v6, s7
	v_perm_b32 v13, v9, v8, s7
	v_lshlrev_b32_e32 v15, 4, v0
	buffer_store_dwordx4 v[10:13], v15, s[24:27], 0 offen
	;;#ASMSTART
	s_nop 0
	;;#ASMEND
.LBB102_19:
	s_or_b64 exec, exec, s[18:19]
	s_cbranch_execnz .LBB102_14
.LBB102_20:
	s_and_saveexec_b64 s[18:19], s[0:1]
	s_cbranch_execz .LBB102_22
; %bb.21:
	s_load_dwordx2 s[0:1], s[4:5], 0x10
	s_mul_hi_i32 s23, s20, s6
	s_mul_i32 s22, s20, s6
	s_lshl_b64 s[22:23], s[22:23], 1
	s_mov_b32 s27, 0x20000
	s_waitcnt lgkmcnt(0)
	s_add_u32 s24, s0, s22
	s_addc_u32 s0, s1, s23
	s_and_b32 s25, s0, 0xffff
	s_mov_b32 s0, 0x7060302
	v_perm_b32 v2, v3, v2, s0
	v_perm_b32 v3, v5, v4, s0
	;; [unrolled: 1-line block ×4, first 2 shown]
	v_lshlrev_b32_e32 v6, 4, v0
	buffer_store_dwordx4 v[2:5], v6, s[24:27], 0 offen
	;;#ASMSTART
	s_nop 0
	;;#ASMEND
.LBB102_22:
	s_or_b64 exec, exec, s[18:19]
	s_cmp_lt_i32 s12, 1
	s_cbranch_scc1 .LBB102_15
.LBB102_23:
	s_load_dword s0, s[4:5], 0x94
	s_waitcnt lgkmcnt(0)
	s_cmp_lg_u32 s0, 1
	s_cbranch_scc1 .LBB102_15
; %bb.24:
	s_lshl_b32 s0, s12, 1
	s_add_i32 s0, s0, 2
	v_cmp_gt_u32_e32 vcc, s12, v1
	s_and_b32 s18, s0, -4
	v_mov_b32_e32 v4, 0
	s_waitcnt vmcnt(0)
	v_lshlrev_b32_e32 v12, 4, v0
	v_mov_b32_e32 v5, 0
	v_mov_b32_e32 v6, 0
	;; [unrolled: 1-line block ×7, first 2 shown]
	s_barrier
	s_and_saveexec_b64 s[0:1], vcc
	s_cbranch_execz .LBB102_26
; %bb.25:
	s_mul_hi_i32 s5, s14, s6
	s_mul_i32 s4, s14, s6
	s_and_b32 s17, s17, 0xffff
	s_lshl_b64 s[4:5], s[4:5], 1
	s_add_u32 s24, s2, s4
	s_mov_b32 s19, 0x20000
	s_addc_u32 s2, s3, s5
	s_and_b32 s25, s2, 0xffff
	s_mov_b32 s26, s18
	s_mov_b32 s27, s19
	buffer_load_dwordx4 v[4:7], v12, s[24:27], 0 offen glc slc
	buffer_load_dwordx4 v[0:3], v12, s[16:19], 0 offen
.LBB102_26:
	s_or_b64 exec, exec, s[0:1]
	s_waitcnt vmcnt(1)
	v_cvt_f32_u32_sdwa v11, v4 dst_sel:DWORD dst_unused:UNUSED_PAD src0_sel:WORD_1
	v_cvt_f32_u32_sdwa v10, v4 dst_sel:DWORD dst_unused:UNUSED_PAD src0_sel:WORD_0
	v_cvt_f32_u32_sdwa v4, v7 dst_sel:DWORD dst_unused:UNUSED_PAD src0_sel:WORD_1
	v_cvt_f32_u32_sdwa v7, v7 dst_sel:DWORD dst_unused:UNUSED_PAD src0_sel:WORD_0
	;; [unrolled: 2-line block ×4, first 2 shown]
	v_cndmask_b32_e32 v11, 0, v11, vcc
	v_cndmask_b32_e32 v5, 0, v4, vcc
	v_cndmask_b32_e32 v4, 0, v7, vcc
	v_cndmask_b32_e32 v7, 0, v13, vcc
	v_cndmask_b32_e32 v10, 0, v10, vcc
	v_mul_f32_e32 v13, v11, v11
	v_cndmask_b32_e32 v8, 0, v8, vcc
	v_fmac_f32_e32 v13, v10, v10
	v_cndmask_b32_e32 v9, 0, v9, vcc
	v_fmac_f32_e32 v13, v8, v8
	;; [unrolled: 2-line block ×3, first 2 shown]
	v_fmac_f32_e32 v13, v6, v6
	v_fmac_f32_e32 v13, v7, v7
	v_fmac_f32_e32 v13, v4, v4
	v_fmac_f32_e32 v13, v5, v5
	s_nop 1
	v_mov_b32_dpp v15, v13 quad_perm:[1,0,3,2] row_mask:0xf bank_mask:0xf
	v_add_f32_e32 v13, v13, v15
	s_nop 1
	v_mov_b32_dpp v15, v13 quad_perm:[2,3,0,1] row_mask:0xf bank_mask:0xf
	v_add_f32_e32 v13, v13, v15
	s_nop 1
	v_mov_b32_dpp v15, v13 row_half_mirror row_mask:0xf bank_mask:0xf
	v_add_f32_e32 v13, v13, v15
	s_nop 1
	v_mov_b32_dpp v15, v13 row_mirror row_mask:0xf bank_mask:0xf
	v_add_f32_e32 v13, v13, v15
	s_nop 1
	v_mov_b32_dpp v15, v13 row_bcast:15 row_mask:0xf bank_mask:0xf
	v_add_f32_e32 v13, v13, v15
	s_nop 1
	v_mov_b32_dpp v15, v13 row_bcast:31 row_mask:0xf bank_mask:0xf
	v_add_f32_e32 v13, v13, v15
	ds_bpermute_b32 v13, v14, v13
	s_and_saveexec_b64 s[0:1], vcc
	s_cbranch_execz .LBB102_15
; %bb.27:
	v_cvt_f32_u32_e32 v14, s12
	s_mov_b32 s19, 0x20000
	s_waitcnt lgkmcnt(0)
	v_div_scale_f32 v15, s[0:1], v14, v14, v13
	v_rcp_f32_e32 v16, v15
	v_div_scale_f32 v17, vcc, v13, v14, v13
	s_mov_b32 s0, 0x800000
	v_fma_f32 v18, -v15, v16, 1.0
	v_fmac_f32_e32 v16, v18, v16
	v_mul_f32_e32 v18, v17, v16
	v_fma_f32 v19, -v15, v18, v17
	v_fmac_f32_e32 v18, v19, v16
	v_fma_f32 v15, -v15, v18, v17
	v_div_fmas_f32 v15, v15, v16, v18
	v_div_fixup_f32 v13, v15, v14, v13
	v_add_f32_e32 v13, s9, v13
	v_mul_f32_e32 v14, 0x4b800000, v13
	v_cmp_gt_f32_e32 vcc, s0, v13
	v_cndmask_b32_e32 v13, v13, v14, vcc
	v_rsq_f32_e32 v13, v13
	s_mul_hi_i32 s1, s21, s6
	s_mul_i32 s0, s21, s6
	s_lshl_b64 s[0:1], s[0:1], 1
	v_mul_f32_e32 v14, 0x45800000, v13
	v_cndmask_b32_e32 v14, v13, v14, vcc
	s_add_u32 s16, s10, s0
	v_mov_b32_e32 v15, v14
	s_addc_u32 s0, s11, s1
	;;#ASMSTART
	v_pk_mul_f32 v[10:11], v[10:11], v[14:15]
	;;#ASMEND
	;;#ASMSTART
	v_pk_mul_f32 v[8:9], v[8:9], v[14:15]
	;;#ASMEND
	;; [unrolled: 3-line block ×4, first 2 shown]
	s_waitcnt vmcnt(0)
	v_cvt_f32_u32_sdwa v15, v0 dst_sel:DWORD dst_unused:UNUSED_PAD src0_sel:WORD_1
	v_cvt_f32_u32_sdwa v14, v0 dst_sel:DWORD dst_unused:UNUSED_PAD src0_sel:WORD_0
	v_cvt_f32_u32_sdwa v17, v1 dst_sel:DWORD dst_unused:UNUSED_PAD src0_sel:WORD_1
	v_cvt_f32_u32_sdwa v16, v1 dst_sel:DWORD dst_unused:UNUSED_PAD src0_sel:WORD_0
	;; [unrolled: 2-line block ×4, first 2 shown]
	;;#ASMSTART
	v_pk_mul_f32 v[2:3], v[10:11], v[14:15]
	;;#ASMEND
	s_and_b32 s17, s0, 0xffff
	s_mov_b32 s0, 0x7060302
	;;#ASMSTART
	v_pk_mul_f32 v[8:9], v[8:9], v[16:17]
	;;#ASMEND
	;;#ASMSTART
	v_pk_mul_f32 v[6:7], v[6:7], v[0:1]
	;;#ASMEND
	;; [unrolled: 3-line block ×3, first 2 shown]
	v_perm_b32 v0, v3, v2, s0
	v_perm_b32 v1, v9, v8, s0
	;; [unrolled: 1-line block ×4, first 2 shown]
	buffer_store_dwordx4 v[0:3], v12, s[16:19], 0 offen
	;;#ASMSTART
	s_nop 0
	;;#ASMEND
	s_endpgm
	.section	.rodata,"a",@progbits
	.p2align	6, 0x0
	.amdhsa_kernel _ZN5aiter35fused_qk_rmsnorm_group_quant_kernelItDB8_Li64ELi8ELi16ELb1ELb1ELb0ELb1ELb0ELb0EEEvPT0_PvPT_S6_S6_PKS5_S8_S8_S8_S8_ffiiiiiiiiiiiii
		.amdhsa_group_segment_fixed_size 0
		.amdhsa_private_segment_fixed_size 0
		.amdhsa_kernarg_size 400
		.amdhsa_user_sgpr_count 6
		.amdhsa_user_sgpr_private_segment_buffer 1
		.amdhsa_user_sgpr_dispatch_ptr 0
		.amdhsa_user_sgpr_queue_ptr 0
		.amdhsa_user_sgpr_kernarg_segment_ptr 1
		.amdhsa_user_sgpr_dispatch_id 0
		.amdhsa_user_sgpr_flat_scratch_init 0
		.amdhsa_user_sgpr_kernarg_preload_length 0
		.amdhsa_user_sgpr_kernarg_preload_offset 0
		.amdhsa_user_sgpr_private_segment_size 0
		.amdhsa_uses_dynamic_stack 0
		.amdhsa_system_sgpr_private_segment_wavefront_offset 0
		.amdhsa_system_sgpr_workgroup_id_x 1
		.amdhsa_system_sgpr_workgroup_id_y 1
		.amdhsa_system_sgpr_workgroup_id_z 0
		.amdhsa_system_sgpr_workgroup_info 0
		.amdhsa_system_vgpr_workitem_id 0
		.amdhsa_next_free_vgpr 27
		.amdhsa_next_free_sgpr 44
		.amdhsa_accum_offset 28
		.amdhsa_reserve_vcc 1
		.amdhsa_reserve_flat_scratch 0
		.amdhsa_float_round_mode_32 0
		.amdhsa_float_round_mode_16_64 0
		.amdhsa_float_denorm_mode_32 3
		.amdhsa_float_denorm_mode_16_64 3
		.amdhsa_dx10_clamp 1
		.amdhsa_ieee_mode 1
		.amdhsa_fp16_overflow 0
		.amdhsa_tg_split 0
		.amdhsa_exception_fp_ieee_invalid_op 0
		.amdhsa_exception_fp_denorm_src 0
		.amdhsa_exception_fp_ieee_div_zero 0
		.amdhsa_exception_fp_ieee_overflow 0
		.amdhsa_exception_fp_ieee_underflow 0
		.amdhsa_exception_fp_ieee_inexact 0
		.amdhsa_exception_int_div_zero 0
	.end_amdhsa_kernel
	.section	.text._ZN5aiter35fused_qk_rmsnorm_group_quant_kernelItDB8_Li64ELi8ELi16ELb1ELb1ELb0ELb1ELb0ELb0EEEvPT0_PvPT_S6_S6_PKS5_S8_S8_S8_S8_ffiiiiiiiiiiiii,"axG",@progbits,_ZN5aiter35fused_qk_rmsnorm_group_quant_kernelItDB8_Li64ELi8ELi16ELb1ELb1ELb0ELb1ELb0ELb0EEEvPT0_PvPT_S6_S6_PKS5_S8_S8_S8_S8_ffiiiiiiiiiiiii,comdat
.Lfunc_end102:
	.size	_ZN5aiter35fused_qk_rmsnorm_group_quant_kernelItDB8_Li64ELi8ELi16ELb1ELb1ELb0ELb1ELb0ELb0EEEvPT0_PvPT_S6_S6_PKS5_S8_S8_S8_S8_ffiiiiiiiiiiiii, .Lfunc_end102-_ZN5aiter35fused_qk_rmsnorm_group_quant_kernelItDB8_Li64ELi8ELi16ELb1ELb1ELb0ELb1ELb0ELb0EEEvPT0_PvPT_S6_S6_PKS5_S8_S8_S8_S8_ffiiiiiiiiiiiii
                                        ; -- End function
	.section	.AMDGPU.csdata,"",@progbits
; Kernel info:
; codeLenInByte = 2332
; NumSgprs: 48
; NumVgprs: 27
; NumAgprs: 0
; TotalNumVgprs: 27
; ScratchSize: 0
; MemoryBound: 0
; FloatMode: 240
; IeeeMode: 1
; LDSByteSize: 0 bytes/workgroup (compile time only)
; SGPRBlocks: 5
; VGPRBlocks: 3
; NumSGPRsForWavesPerEU: 48
; NumVGPRsForWavesPerEU: 27
; AccumOffset: 28
; Occupancy: 8
; WaveLimiterHint : 0
; COMPUTE_PGM_RSRC2:SCRATCH_EN: 0
; COMPUTE_PGM_RSRC2:USER_SGPR: 6
; COMPUTE_PGM_RSRC2:TRAP_HANDLER: 0
; COMPUTE_PGM_RSRC2:TGID_X_EN: 1
; COMPUTE_PGM_RSRC2:TGID_Y_EN: 1
; COMPUTE_PGM_RSRC2:TGID_Z_EN: 0
; COMPUTE_PGM_RSRC2:TIDIG_COMP_CNT: 0
; COMPUTE_PGM_RSRC3_GFX90A:ACCUM_OFFSET: 6
; COMPUTE_PGM_RSRC3_GFX90A:TG_SPLIT: 0
	.section	.text._ZN5aiter35fused_qk_rmsnorm_group_quant_kernelIDF16_N4opus5fp4_tELi64ELi8ELi16ELb1ELb1ELb0ELb1ELb0ELb0EEEvPT0_PvPT_S7_S7_PKS6_S9_S9_S9_S9_ffiiiiiiiiiiiii,"axG",@progbits,_ZN5aiter35fused_qk_rmsnorm_group_quant_kernelIDF16_N4opus5fp4_tELi64ELi8ELi16ELb1ELb1ELb0ELb1ELb0ELb0EEEvPT0_PvPT_S7_S7_PKS6_S9_S9_S9_S9_ffiiiiiiiiiiiii,comdat
	.protected	_ZN5aiter35fused_qk_rmsnorm_group_quant_kernelIDF16_N4opus5fp4_tELi64ELi8ELi16ELb1ELb1ELb0ELb1ELb0ELb0EEEvPT0_PvPT_S7_S7_PKS6_S9_S9_S9_S9_ffiiiiiiiiiiiii ; -- Begin function _ZN5aiter35fused_qk_rmsnorm_group_quant_kernelIDF16_N4opus5fp4_tELi64ELi8ELi16ELb1ELb1ELb0ELb1ELb0ELb0EEEvPT0_PvPT_S7_S7_PKS6_S9_S9_S9_S9_ffiiiiiiiiiiiii
	.globl	_ZN5aiter35fused_qk_rmsnorm_group_quant_kernelIDF16_N4opus5fp4_tELi64ELi8ELi16ELb1ELb1ELb0ELb1ELb0ELb0EEEvPT0_PvPT_S7_S7_PKS6_S9_S9_S9_S9_ffiiiiiiiiiiiii
	.p2align	8
	.type	_ZN5aiter35fused_qk_rmsnorm_group_quant_kernelIDF16_N4opus5fp4_tELi64ELi8ELi16ELb1ELb1ELb0ELb1ELb0ELb0EEEvPT0_PvPT_S7_S7_PKS6_S9_S9_S9_S9_ffiiiiiiiiiiiii,@function
_ZN5aiter35fused_qk_rmsnorm_group_quant_kernelIDF16_N4opus5fp4_tELi64ELi8ELi16ELb1ELb1ELb0ELb1ELb0ELb0EEEvPT0_PvPT_S7_S7_PKS6_S9_S9_S9_S9_ffiiiiiiiiiiiii: ; @_ZN5aiter35fused_qk_rmsnorm_group_quant_kernelIDF16_N4opus5fp4_tELi64ELi8ELi16ELb1ELb1ELb0ELb1ELb0ELb0EEEvPT0_PvPT_S7_S7_PKS6_S9_S9_S9_S9_ffiiiiiiiiiiiii
; %bb.0:
	s_load_dwordx8 s[8:15], s[4:5], 0x50
	s_waitcnt lgkmcnt(0)
	s_cmp_ge_i32 s6, s10
	s_cbranch_scc1 .LBB103_15
; %bb.1:
	s_cmp_lg_u32 s7, 0
	s_cselect_b64 s[18:19], -1, 0
	s_cmp_eq_u32 s7, 0
	s_cselect_b64 s[20:21], -1, 0
	s_and_b64 s[0:1], s[20:21], exec
	s_cselect_b32 s7, s11, s12
	s_load_dwordx2 s[2:3], s[4:5], 0x30
	s_load_dwordx2 s[16:17], s[4:5], 0x48
	s_add_i32 s0, s7, 1
	s_lshr_b32 s1, s0, 31
	s_add_i32 s0, s0, s1
	s_lshl_b32 s0, s0, 1
	v_lshlrev_b32_e32 v1, 3, v0
	s_and_b32 s26, s0, -4
	v_cmp_gt_i32_e64 s[0:1], s7, v1
	v_mov_b32_e32 v2, 0
	v_mov_b32_e32 v3, 0
	;; [unrolled: 1-line block ×8, first 2 shown]
	s_and_saveexec_b64 s[10:11], s[0:1]
	s_cbranch_execz .LBB103_3
; %bb.2:
	s_load_dwordx2 s[22:23], s[4:5], 0x28
	s_load_dwordx2 s[24:25], s[4:5], 0x40
	s_and_b64 s[28:29], s[20:21], exec
	s_cselect_b32 s13, s13, s14
	v_lshlrev_b32_e32 v10, 4, v0
	s_waitcnt lgkmcnt(0)
	s_cselect_b32 s27, s23, s3
	s_cselect_b32 s28, s22, s2
	s_mul_hi_i32 s23, s13, s6
	s_mul_i32 s22, s13, s6
	s_lshl_b64 s[22:23], s[22:23], 1
	s_add_u32 s28, s28, s22
	s_addc_u32 s13, s27, s23
	s_and_b64 s[20:21], s[20:21], exec
	s_mov_b32 s27, 0x20000
	s_cselect_b32 s24, s24, s16
	s_cselect_b32 s20, s25, s17
	s_and_b32 s29, s13, 0xffff
	s_mov_b32 s30, s26
	s_mov_b32 s31, s27
	s_and_b32 s25, s20, 0xffff
	buffer_load_dwordx4 v[6:9], v10, s[28:31], 0 offen glc slc
	buffer_load_dwordx4 v[2:5], v10, s[24:27], 0 offen
.LBB103_3:
	s_or_b64 exec, exec, s[10:11]
	s_load_dwordx4 s[20:23], s[4:5], 0x7c
	s_and_b64 vcc, exec, s[18:19]
	s_cbranch_vccz .LBB103_7
; %bb.4:
	v_mov_b32_e32 v11, 0
	v_mov_b32_e32 v10, 0
	;; [unrolled: 1-line block ×8, first 2 shown]
	s_and_saveexec_b64 s[10:11], s[0:1]
	s_cbranch_execz .LBB103_6
; %bb.5:
	s_waitcnt vmcnt(1)
	v_cvt_f32_f16_sdwa v17, v6 dst_sel:DWORD dst_unused:UNUSED_PAD src0_sel:WORD_1
	v_cvt_f32_f16_e32 v16, v6
	v_cvt_f32_f16_sdwa v15, v7 dst_sel:DWORD dst_unused:UNUSED_PAD src0_sel:WORD_1
	v_cvt_f32_f16_e32 v14, v7
	;; [unrolled: 2-line block ×4, first 2 shown]
.LBB103_6:
	s_or_b64 exec, exec, s[10:11]
	s_mov_b32 s13, s9
	s_cbranch_execz .LBB103_8
	s_branch .LBB103_11
.LBB103_7:
                                        ; implicit-def: $vgpr11
                                        ; implicit-def: $vgpr13
                                        ; implicit-def: $vgpr15
                                        ; implicit-def: $vgpr17
	s_mov_b32 s13, s9
.LBB103_8:
	v_mov_b32_e32 v11, 0
	v_mov_b32_e32 v10, 0
	;; [unrolled: 1-line block ×8, first 2 shown]
	s_and_saveexec_b64 s[10:11], s[0:1]
	s_cbranch_execz .LBB103_10
; %bb.9:
	s_load_dwordx2 s[24:25], s[4:5], 0x38
	s_mul_hi_i32 s29, s15, s6
	s_mul_i32 s28, s15, s6
	s_lshl_b64 s[28:29], s[28:29], 1
	s_mov_b32 s27, 0x20000
	s_waitcnt lgkmcnt(0)
	s_add_u32 s24, s24, s28
	s_addc_u32 s13, s25, s29
	s_and_b32 s25, s13, 0xffff
	v_lshlrev_b32_e32 v26, 4, v0
	buffer_load_dwordx4 v[10:13], v26, s[24:27], 0 offen glc slc
	s_waitcnt vmcnt(2)
	v_cvt_f32_f16_sdwa v15, v6 dst_sel:DWORD dst_unused:UNUSED_PAD src0_sel:WORD_1
	v_cvt_f32_f16_e32 v14, v6
	v_cvt_f32_f16_sdwa v19, v7 dst_sel:DWORD dst_unused:UNUSED_PAD src0_sel:WORD_1
	v_cvt_f32_f16_e32 v18, v7
	;; [unrolled: 2-line block ×4, first 2 shown]
	s_load_dwordx2 s[24:25], s[4:5], 0x20
	s_mul_hi_i32 s23, s22, s6
	s_mul_i32 s22, s22, s6
	s_lshl_b64 s[22:23], s[22:23], 1
	s_waitcnt lgkmcnt(0)
	s_add_u32 s24, s24, s22
	s_addc_u32 s13, s25, s23
	s_and_b32 s25, s13, 0xffff
	s_waitcnt vmcnt(0)
	v_cvt_f32_f16_e32 v8, v10
	v_cvt_f32_f16_sdwa v9, v10 dst_sel:DWORD dst_unused:UNUSED_PAD src0_sel:WORD_1
	v_cvt_f32_f16_e32 v10, v11
	v_cvt_f32_f16_sdwa v11, v11 dst_sel:DWORD dst_unused:UNUSED_PAD src0_sel:WORD_1
	;; [unrolled: 2-line block ×4, first 2 shown]
	v_pk_add_f32 v[16:17], v[14:15], v[8:9]
	v_pk_add_f32 v[14:15], v[18:19], v[10:11]
	;; [unrolled: 1-line block ×4, first 2 shown]
	v_cvt_f16_f32_e32 v6, v17
	v_cvt_f16_f32_e32 v7, v15
	;; [unrolled: 1-line block ×8, first 2 shown]
	v_pack_b32_f16 v9, v18, v9
	v_pack_b32_f16 v8, v19, v8
	;; [unrolled: 1-line block ×4, first 2 shown]
	buffer_store_dwordx4 v[6:9], v26, s[24:27], 0 offen glc slc
	;;#ASMSTART
	s_nop 0
	;;#ASMEND
.LBB103_10:
	s_or_b64 exec, exec, s[10:11]
	s_mov_b32 s13, s8
.LBB103_11:
	s_waitcnt vmcnt(1)
	v_mul_f32_e32 v6, v17, v17
	v_fmac_f32_e32 v6, v16, v16
	v_fmac_f32_e32 v6, v14, v14
	;; [unrolled: 1-line block ×7, first 2 shown]
	v_bfrev_b32_e32 v8, 0.5
	s_load_dwordx2 s[10:11], s[4:5], 0x18
	v_mov_b32_dpp v7, v6 quad_perm:[1,0,3,2] row_mask:0xf bank_mask:0xf
	v_add_f32_e32 v6, v6, v7
	s_nop 1
	v_mov_b32_dpp v7, v6 quad_perm:[2,3,0,1] row_mask:0xf bank_mask:0xf
	v_add_f32_e32 v6, v6, v7
	s_nop 1
	v_mov_b32_dpp v7, v6 row_half_mirror row_mask:0xf bank_mask:0xf
	v_add_f32_e32 v6, v6, v7
	s_nop 1
	v_mov_b32_dpp v7, v6 row_mirror row_mask:0xf bank_mask:0xf
	v_add_f32_e32 v6, v6, v7
	s_nop 1
	v_mov_b32_dpp v7, v6 row_bcast:15 row_mask:0xf bank_mask:0xf
	v_add_f32_e32 v6, v6, v7
	s_nop 1
	v_mov_b32_dpp v7, v6 row_bcast:31 row_mask:0xf bank_mask:0xf
	v_add_f32_e32 v6, v6, v7
	v_mbcnt_lo_u32_b32 v7, -1, 0
	v_mbcnt_hi_u32_b32 v7, -1, v7
	v_lshl_or_b32 v18, v7, 2, v8
	ds_bpermute_b32 v6, v18, v6
	s_waitcnt lgkmcnt(0)
	s_and_saveexec_b64 s[22:23], s[0:1]
	s_cbranch_execnz .LBB103_16
; %bb.12:
	s_or_b64 exec, exec, s[22:23]
	s_mov_b64 s[22:23], -1
	s_and_b64 vcc, exec, s[18:19]
	s_cbranch_vccnz .LBB103_17
.LBB103_13:
	s_andn2_b64 vcc, exec, s[22:23]
	s_cbranch_vccz .LBB103_20
.LBB103_14:
	s_cmp_lt_i32 s12, 1
	s_cbranch_scc0 .LBB103_23
.LBB103_15:
	s_endpgm
.LBB103_16:
	v_cvt_f32_u32_e32 v7, s7
	s_mov_b32 s7, 0x800000
	s_waitcnt vmcnt(0)
	v_cvt_f32_f16_sdwa v23, v5 dst_sel:DWORD dst_unused:UNUSED_PAD src0_sel:WORD_1
	v_cvt_f32_f16_e32 v22, v5
	v_div_scale_f32 v8, s[24:25], v7, v7, v6
	v_rcp_f32_e32 v9, v8
	v_div_scale_f32 v19, vcc, v6, v7, v6
	v_fma_f32 v20, -v8, v9, 1.0
	v_fmac_f32_e32 v9, v20, v9
	v_mul_f32_e32 v20, v19, v9
	v_fma_f32 v21, -v8, v20, v19
	v_fmac_f32_e32 v20, v21, v9
	v_fma_f32 v8, -v8, v20, v19
	v_div_fmas_f32 v8, v8, v9, v20
	v_div_fixup_f32 v6, v8, v7, v6
	v_add_f32_e32 v6, s13, v6
	v_mul_f32_e32 v7, 0x4b800000, v6
	v_cmp_gt_f32_e32 vcc, s7, v6
	v_cndmask_b32_e32 v6, v6, v7, vcc
	v_rsq_f32_e32 v6, v6
	v_cvt_f32_f16_sdwa v21, v3 dst_sel:DWORD dst_unused:UNUSED_PAD src0_sel:WORD_1
	v_cvt_f32_f16_e32 v20, v3
	v_cvt_f32_f16_sdwa v3, v4 dst_sel:DWORD dst_unused:UNUSED_PAD src0_sel:WORD_1
	v_mul_f32_e32 v7, 0x45800000, v6
	v_cndmask_b32_e32 v6, v6, v7, vcc
	v_mov_b32_e32 v7, v6
	;;#ASMSTART
	v_pk_mul_f32 v[8:9], v[16:17], v[6:7]
	;;#ASMEND
	;;#ASMSTART
	v_pk_mul_f32 v[14:15], v[14:15], v[6:7]
	;;#ASMEND
	;; [unrolled: 3-line block ×4, first 2 shown]
	v_cvt_f32_f16_sdwa v11, v2 dst_sel:DWORD dst_unused:UNUSED_PAD src0_sel:WORD_1
	v_cvt_f32_f16_e32 v10, v2
	v_cvt_f32_f16_e32 v2, v4
	;;#ASMSTART
	v_pk_mul_f32 v[16:17], v[8:9], v[10:11]
	;;#ASMEND
	;;#ASMSTART
	v_pk_mul_f32 v[14:15], v[14:15], v[20:21]
	;;#ASMEND
	;; [unrolled: 3-line block ×4, first 2 shown]
	s_or_b64 exec, exec, s[22:23]
	s_mov_b64 s[22:23], -1
	s_and_b64 vcc, exec, s[18:19]
	s_cbranch_vccz .LBB103_13
.LBB103_17:
	s_and_saveexec_b64 s[18:19], s[0:1]
	s_cbranch_execz .LBB103_19
; %bb.18:
	s_mul_hi_i32 s23, s21, s6
	s_mul_i32 s22, s21, s6
	s_waitcnt vmcnt(0)
	v_cvt_f16_f32_e32 v2, v16
	v_cvt_f16_f32_e32 v3, v14
	;; [unrolled: 1-line block ×8, first 2 shown]
	s_lshl_b64 s[22:23], s[22:23], 1
	s_add_u32 s24, s10, s22
	s_addc_u32 s7, s11, s23
	s_and_b32 s25, s7, 0xffff
	s_mov_b32 s27, 0x20000
	v_pack_b32_f16 v5, v5, v6
	v_pack_b32_f16 v4, v4, v7
	;; [unrolled: 1-line block ×4, first 2 shown]
	v_lshlrev_b32_e32 v6, 4, v0
	buffer_store_dwordx4 v[2:5], v6, s[24:27], 0 offen
	;;#ASMSTART
	s_nop 0
	;;#ASMEND
.LBB103_19:
	s_or_b64 exec, exec, s[18:19]
	s_cbranch_execnz .LBB103_14
.LBB103_20:
	s_and_saveexec_b64 s[18:19], s[0:1]
	s_cbranch_execz .LBB103_22
; %bb.21:
	s_load_dwordx2 s[0:1], s[4:5], 0x10
	s_mul_hi_i32 s23, s20, s6
	s_mul_i32 s22, s20, s6
	s_waitcnt vmcnt(0)
	v_cvt_f16_f32_e32 v2, v16
	v_cvt_f16_f32_e32 v3, v14
	;; [unrolled: 1-line block ×8, first 2 shown]
	s_lshl_b64 s[22:23], s[22:23], 1
	s_waitcnt lgkmcnt(0)
	s_add_u32 s24, s0, s22
	s_addc_u32 s0, s1, s23
	s_mov_b32 s27, 0x20000
	s_and_b32 s25, s0, 0xffff
	v_pack_b32_f16 v5, v5, v6
	v_pack_b32_f16 v4, v4, v7
	;; [unrolled: 1-line block ×4, first 2 shown]
	v_lshlrev_b32_e32 v6, 4, v0
	buffer_store_dwordx4 v[2:5], v6, s[24:27], 0 offen
	;;#ASMSTART
	s_nop 0
	;;#ASMEND
.LBB103_22:
	s_or_b64 exec, exec, s[18:19]
	s_cmp_lt_i32 s12, 1
	s_cbranch_scc1 .LBB103_15
.LBB103_23:
	s_load_dword s0, s[4:5], 0x94
	s_waitcnt lgkmcnt(0)
	s_cmp_lg_u32 s0, 1
	s_cbranch_scc1 .LBB103_15
; %bb.24:
	s_lshl_b32 s0, s12, 1
	s_add_i32 s0, s0, 2
	v_cmp_gt_u32_e32 vcc, s12, v1
	s_and_b32 s18, s0, -4
	v_mov_b32_e32 v8, 0
	v_lshlrev_b32_e32 v16, 4, v0
	s_waitcnt vmcnt(0)
	v_mov_b32_e32 v4, 0
	v_mov_b32_e32 v5, 0
	v_mov_b32_e32 v6, 0
	v_mov_b32_e32 v7, 0
	v_mov_b32_e32 v0, 0
	v_mov_b32_e32 v1, 0
	v_mov_b32_e32 v2, 0
	v_mov_b32_e32 v3, 0
	s_barrier
	s_and_saveexec_b64 s[0:1], vcc
	s_cbranch_execz .LBB103_26
; %bb.25:
	s_mul_hi_i32 s5, s14, s6
	s_mul_i32 s4, s14, s6
	s_and_b32 s17, s17, 0xffff
	s_lshl_b64 s[4:5], s[4:5], 1
	s_add_u32 s24, s2, s4
	s_mov_b32 s19, 0x20000
	s_addc_u32 s2, s3, s5
	s_and_b32 s25, s2, 0xffff
	s_mov_b32 s26, s18
	s_mov_b32 s27, s19
	buffer_load_dwordx4 v[4:7], v16, s[24:27], 0 offen glc slc
	buffer_load_dwordx4 v[0:3], v16, s[16:19], 0 offen
.LBB103_26:
	s_or_b64 exec, exec, s[0:1]
	v_mov_b32_e32 v9, 0
	v_mov_b32_e32 v14, 0
	;; [unrolled: 1-line block ×7, first 2 shown]
	s_and_saveexec_b64 s[0:1], vcc
	s_cbranch_execz .LBB103_28
; %bb.27:
	s_waitcnt vmcnt(1)
	v_cvt_f32_f16_sdwa v9, v4 dst_sel:DWORD dst_unused:UNUSED_PAD src0_sel:WORD_1
	v_cvt_f32_f16_e32 v8, v4
	v_cvt_f32_f16_sdwa v15, v5 dst_sel:DWORD dst_unused:UNUSED_PAD src0_sel:WORD_1
	v_cvt_f32_f16_e32 v14, v5
	;; [unrolled: 2-line block ×4, first 2 shown]
.LBB103_28:
	s_or_b64 exec, exec, s[0:1]
	s_waitcnt vmcnt(1)
	v_mul_f32_e32 v4, v9, v9
	v_fmac_f32_e32 v4, v8, v8
	v_fmac_f32_e32 v4, v14, v14
	;; [unrolled: 1-line block ×7, first 2 shown]
	s_nop 1
	v_mov_b32_dpp v5, v4 quad_perm:[1,0,3,2] row_mask:0xf bank_mask:0xf
	v_add_f32_e32 v4, v4, v5
	s_nop 1
	v_mov_b32_dpp v5, v4 quad_perm:[2,3,0,1] row_mask:0xf bank_mask:0xf
	v_add_f32_e32 v4, v4, v5
	s_nop 1
	v_mov_b32_dpp v5, v4 row_half_mirror row_mask:0xf bank_mask:0xf
	v_add_f32_e32 v4, v4, v5
	s_nop 1
	v_mov_b32_dpp v5, v4 row_mirror row_mask:0xf bank_mask:0xf
	v_add_f32_e32 v4, v4, v5
	s_nop 1
	v_mov_b32_dpp v5, v4 row_bcast:15 row_mask:0xf bank_mask:0xf
	v_add_f32_e32 v4, v4, v5
	s_nop 1
	v_mov_b32_dpp v5, v4 row_bcast:31 row_mask:0xf bank_mask:0xf
	v_add_f32_e32 v4, v4, v5
	ds_bpermute_b32 v4, v18, v4
	s_and_saveexec_b64 s[0:1], vcc
	s_cbranch_execz .LBB103_15
; %bb.29:
	v_cvt_f32_u32_e32 v5, s12
	s_mov_b32 s19, 0x20000
	s_waitcnt lgkmcnt(0)
	v_div_scale_f32 v6, s[0:1], v5, v5, v4
	v_rcp_f32_e32 v7, v6
	v_div_scale_f32 v17, vcc, v4, v5, v4
	s_mov_b32 s0, 0x800000
	v_fma_f32 v18, -v6, v7, 1.0
	v_fmac_f32_e32 v7, v18, v7
	v_mul_f32_e32 v18, v17, v7
	v_fma_f32 v19, -v6, v18, v17
	v_fmac_f32_e32 v18, v19, v7
	v_fma_f32 v6, -v6, v18, v17
	v_div_fmas_f32 v6, v6, v7, v18
	v_div_fixup_f32 v4, v6, v5, v4
	v_add_f32_e32 v4, s9, v4
	v_mul_f32_e32 v5, 0x4b800000, v4
	v_cmp_gt_f32_e32 vcc, s0, v4
	v_cndmask_b32_e32 v4, v4, v5, vcc
	v_rsq_f32_e32 v4, v4
	s_waitcnt vmcnt(0)
	v_cvt_f32_f16_sdwa v19, v3 dst_sel:DWORD dst_unused:UNUSED_PAD src0_sel:WORD_1
	v_cvt_f32_f16_e32 v18, v3
	s_mul_hi_i32 s1, s21, s6
	v_mul_f32_e32 v5, 0x45800000, v4
	v_cndmask_b32_e32 v4, v4, v5, vcc
	v_mov_b32_e32 v5, v4
	;;#ASMSTART
	v_pk_mul_f32 v[6:7], v[8:9], v[4:5]
	;;#ASMEND
	;;#ASMSTART
	v_pk_mul_f32 v[8:9], v[14:15], v[4:5]
	;;#ASMEND
	;; [unrolled: 3-line block ×4, first 2 shown]
	v_cvt_f32_f16_sdwa v11, v0 dst_sel:DWORD dst_unused:UNUSED_PAD src0_sel:WORD_1
	v_cvt_f32_f16_e32 v10, v0
	v_cvt_f32_f16_sdwa v15, v1 dst_sel:DWORD dst_unused:UNUSED_PAD src0_sel:WORD_1
	v_cvt_f32_f16_e32 v14, v1
	;; [unrolled: 2-line block ×3, first 2 shown]
	;;#ASMSTART
	v_pk_mul_f32 v[2:3], v[6:7], v[10:11]
	;;#ASMEND
	;;#ASMSTART
	v_pk_mul_f32 v[6:7], v[8:9], v[14:15]
	;;#ASMEND
	;; [unrolled: 3-line block ×4, first 2 shown]
	s_mul_i32 s0, s21, s6
	v_cvt_f16_f32_e32 v2, v2
	v_cvt_f16_f32_e32 v3, v3
	;; [unrolled: 1-line block ×8, first 2 shown]
	s_lshl_b64 s[0:1], s[0:1], 1
	s_add_u32 s16, s10, s0
	s_addc_u32 s0, s11, s1
	s_and_b32 s17, s0, 0xffff
	v_pack_b32_f16 v0, v2, v3
	v_pack_b32_f16 v1, v6, v7
	;; [unrolled: 1-line block ×4, first 2 shown]
	buffer_store_dwordx4 v[0:3], v16, s[16:19], 0 offen
	;;#ASMSTART
	s_nop 0
	;;#ASMEND
	s_endpgm
	.section	.rodata,"a",@progbits
	.p2align	6, 0x0
	.amdhsa_kernel _ZN5aiter35fused_qk_rmsnorm_group_quant_kernelIDF16_N4opus5fp4_tELi64ELi8ELi16ELb1ELb1ELb0ELb1ELb0ELb0EEEvPT0_PvPT_S7_S7_PKS6_S9_S9_S9_S9_ffiiiiiiiiiiiii
		.amdhsa_group_segment_fixed_size 0
		.amdhsa_private_segment_fixed_size 0
		.amdhsa_kernarg_size 400
		.amdhsa_user_sgpr_count 6
		.amdhsa_user_sgpr_private_segment_buffer 1
		.amdhsa_user_sgpr_dispatch_ptr 0
		.amdhsa_user_sgpr_queue_ptr 0
		.amdhsa_user_sgpr_kernarg_segment_ptr 1
		.amdhsa_user_sgpr_dispatch_id 0
		.amdhsa_user_sgpr_flat_scratch_init 0
		.amdhsa_user_sgpr_kernarg_preload_length 0
		.amdhsa_user_sgpr_kernarg_preload_offset 0
		.amdhsa_user_sgpr_private_segment_size 0
		.amdhsa_uses_dynamic_stack 0
		.amdhsa_system_sgpr_private_segment_wavefront_offset 0
		.amdhsa_system_sgpr_workgroup_id_x 1
		.amdhsa_system_sgpr_workgroup_id_y 1
		.amdhsa_system_sgpr_workgroup_id_z 0
		.amdhsa_system_sgpr_workgroup_info 0
		.amdhsa_system_vgpr_workitem_id 0
		.amdhsa_next_free_vgpr 27
		.amdhsa_next_free_sgpr 32
		.amdhsa_accum_offset 28
		.amdhsa_reserve_vcc 1
		.amdhsa_reserve_flat_scratch 0
		.amdhsa_float_round_mode_32 0
		.amdhsa_float_round_mode_16_64 0
		.amdhsa_float_denorm_mode_32 3
		.amdhsa_float_denorm_mode_16_64 3
		.amdhsa_dx10_clamp 1
		.amdhsa_ieee_mode 1
		.amdhsa_fp16_overflow 0
		.amdhsa_tg_split 0
		.amdhsa_exception_fp_ieee_invalid_op 0
		.amdhsa_exception_fp_denorm_src 0
		.amdhsa_exception_fp_ieee_div_zero 0
		.amdhsa_exception_fp_ieee_overflow 0
		.amdhsa_exception_fp_ieee_underflow 0
		.amdhsa_exception_fp_ieee_inexact 0
		.amdhsa_exception_int_div_zero 0
	.end_amdhsa_kernel
	.section	.text._ZN5aiter35fused_qk_rmsnorm_group_quant_kernelIDF16_N4opus5fp4_tELi64ELi8ELi16ELb1ELb1ELb0ELb1ELb0ELb0EEEvPT0_PvPT_S7_S7_PKS6_S9_S9_S9_S9_ffiiiiiiiiiiiii,"axG",@progbits,_ZN5aiter35fused_qk_rmsnorm_group_quant_kernelIDF16_N4opus5fp4_tELi64ELi8ELi16ELb1ELb1ELb0ELb1ELb0ELb0EEEvPT0_PvPT_S7_S7_PKS6_S9_S9_S9_S9_ffiiiiiiiiiiiii,comdat
.Lfunc_end103:
	.size	_ZN5aiter35fused_qk_rmsnorm_group_quant_kernelIDF16_N4opus5fp4_tELi64ELi8ELi16ELb1ELb1ELb0ELb1ELb0ELb0EEEvPT0_PvPT_S7_S7_PKS6_S9_S9_S9_S9_ffiiiiiiiiiiiii, .Lfunc_end103-_ZN5aiter35fused_qk_rmsnorm_group_quant_kernelIDF16_N4opus5fp4_tELi64ELi8ELi16ELb1ELb1ELb0ELb1ELb0ELb0EEEvPT0_PvPT_S7_S7_PKS6_S9_S9_S9_S9_ffiiiiiiiiiiiii
                                        ; -- End function
	.section	.AMDGPU.csdata,"",@progbits
; Kernel info:
; codeLenInByte = 2288
; NumSgprs: 36
; NumVgprs: 27
; NumAgprs: 0
; TotalNumVgprs: 27
; ScratchSize: 0
; MemoryBound: 0
; FloatMode: 240
; IeeeMode: 1
; LDSByteSize: 0 bytes/workgroup (compile time only)
; SGPRBlocks: 4
; VGPRBlocks: 3
; NumSGPRsForWavesPerEU: 36
; NumVGPRsForWavesPerEU: 27
; AccumOffset: 28
; Occupancy: 8
; WaveLimiterHint : 0
; COMPUTE_PGM_RSRC2:SCRATCH_EN: 0
; COMPUTE_PGM_RSRC2:USER_SGPR: 6
; COMPUTE_PGM_RSRC2:TRAP_HANDLER: 0
; COMPUTE_PGM_RSRC2:TGID_X_EN: 1
; COMPUTE_PGM_RSRC2:TGID_Y_EN: 1
; COMPUTE_PGM_RSRC2:TGID_Z_EN: 0
; COMPUTE_PGM_RSRC2:TIDIG_COMP_CNT: 0
; COMPUTE_PGM_RSRC3_GFX90A:ACCUM_OFFSET: 6
; COMPUTE_PGM_RSRC3_GFX90A:TG_SPLIT: 0
	.section	.text._ZN5aiter35fused_qk_rmsnorm_group_quant_kernelItN4opus5fp4_tELi64ELi8ELi16ELb1ELb1ELb0ELb1ELb0ELb0EEEvPT0_PvPT_S7_S7_PKS6_S9_S9_S9_S9_ffiiiiiiiiiiiii,"axG",@progbits,_ZN5aiter35fused_qk_rmsnorm_group_quant_kernelItN4opus5fp4_tELi64ELi8ELi16ELb1ELb1ELb0ELb1ELb0ELb0EEEvPT0_PvPT_S7_S7_PKS6_S9_S9_S9_S9_ffiiiiiiiiiiiii,comdat
	.protected	_ZN5aiter35fused_qk_rmsnorm_group_quant_kernelItN4opus5fp4_tELi64ELi8ELi16ELb1ELb1ELb0ELb1ELb0ELb0EEEvPT0_PvPT_S7_S7_PKS6_S9_S9_S9_S9_ffiiiiiiiiiiiii ; -- Begin function _ZN5aiter35fused_qk_rmsnorm_group_quant_kernelItN4opus5fp4_tELi64ELi8ELi16ELb1ELb1ELb0ELb1ELb0ELb0EEEvPT0_PvPT_S7_S7_PKS6_S9_S9_S9_S9_ffiiiiiiiiiiiii
	.globl	_ZN5aiter35fused_qk_rmsnorm_group_quant_kernelItN4opus5fp4_tELi64ELi8ELi16ELb1ELb1ELb0ELb1ELb0ELb0EEEvPT0_PvPT_S7_S7_PKS6_S9_S9_S9_S9_ffiiiiiiiiiiiii
	.p2align	8
	.type	_ZN5aiter35fused_qk_rmsnorm_group_quant_kernelItN4opus5fp4_tELi64ELi8ELi16ELb1ELb1ELb0ELb1ELb0ELb0EEEvPT0_PvPT_S7_S7_PKS6_S9_S9_S9_S9_ffiiiiiiiiiiiii,@function
_ZN5aiter35fused_qk_rmsnorm_group_quant_kernelItN4opus5fp4_tELi64ELi8ELi16ELb1ELb1ELb0ELb1ELb0ELb0EEEvPT0_PvPT_S7_S7_PKS6_S9_S9_S9_S9_ffiiiiiiiiiiiii: ; @_ZN5aiter35fused_qk_rmsnorm_group_quant_kernelItN4opus5fp4_tELi64ELi8ELi16ELb1ELb1ELb0ELb1ELb0ELb0EEEvPT0_PvPT_S7_S7_PKS6_S9_S9_S9_S9_ffiiiiiiiiiiiii
; %bb.0:
	s_load_dwordx8 s[8:15], s[4:5], 0x50
	s_waitcnt lgkmcnt(0)
	s_cmp_ge_i32 s6, s10
	s_cbranch_scc1 .LBB104_15
; %bb.1:
	s_cmp_lg_u32 s7, 0
	s_cselect_b64 s[18:19], -1, 0
	s_cmp_eq_u32 s7, 0
	s_cselect_b64 s[20:21], -1, 0
	s_and_b64 s[0:1], s[20:21], exec
	s_cselect_b32 s7, s11, s12
	s_load_dwordx2 s[2:3], s[4:5], 0x30
	s_load_dwordx2 s[16:17], s[4:5], 0x48
	s_add_i32 s0, s7, 1
	s_lshr_b32 s1, s0, 31
	s_add_i32 s0, s0, s1
	s_lshl_b32 s0, s0, 1
	v_lshlrev_b32_e32 v1, 3, v0
	s_and_b32 s26, s0, -4
	v_cmp_gt_i32_e64 s[0:1], s7, v1
	v_mov_b32_e32 v10, 0
	v_mov_b32_e32 v11, 0
	;; [unrolled: 1-line block ×8, first 2 shown]
	s_and_saveexec_b64 s[10:11], s[0:1]
	s_cbranch_execz .LBB104_3
; %bb.2:
	s_load_dwordx2 s[22:23], s[4:5], 0x28
	s_load_dwordx2 s[24:25], s[4:5], 0x40
	s_and_b64 s[28:29], s[20:21], exec
	s_cselect_b32 s13, s13, s14
	v_lshlrev_b32_e32 v2, 4, v0
	s_waitcnt lgkmcnt(0)
	s_cselect_b32 s27, s23, s3
	s_cselect_b32 s28, s22, s2
	s_mul_hi_i32 s23, s13, s6
	s_mul_i32 s22, s13, s6
	s_lshl_b64 s[22:23], s[22:23], 1
	s_add_u32 s28, s28, s22
	s_addc_u32 s13, s27, s23
	s_and_b64 s[20:21], s[20:21], exec
	s_mov_b32 s27, 0x20000
	s_cselect_b32 s24, s24, s16
	s_cselect_b32 s20, s25, s17
	s_and_b32 s29, s13, 0xffff
	s_mov_b32 s30, s26
	s_mov_b32 s31, s27
	s_and_b32 s25, s20, 0xffff
	buffer_load_dwordx4 v[14:17], v2, s[28:31], 0 offen glc slc
	buffer_load_dwordx4 v[10:13], v2, s[24:27], 0 offen
.LBB104_3:
	s_or_b64 exec, exec, s[10:11]
	s_load_dwordx4 s[20:23], s[4:5], 0x7c
	s_and_b64 vcc, exec, s[18:19]
	s_cbranch_vccz .LBB104_7
; %bb.4:
	s_mov_b32 s36, 0
	s_mov_b32 s37, s36
	;; [unrolled: 1-line block ×8, first 2 shown]
	v_pk_mov_b32 v[2:3], s[36:37], s[36:37] op_sel:[0,1]
	v_pk_mov_b32 v[4:5], s[38:39], s[38:39] op_sel:[0,1]
	;; [unrolled: 1-line block ×4, first 2 shown]
	s_and_saveexec_b64 s[10:11], s[0:1]
	s_cbranch_execz .LBB104_6
; %bb.5:
	s_waitcnt vmcnt(1)
	v_cvt_f32_u32_sdwa v3, v14 dst_sel:DWORD dst_unused:UNUSED_PAD src0_sel:WORD_1
	v_cvt_f32_u32_sdwa v2, v14 dst_sel:DWORD dst_unused:UNUSED_PAD src0_sel:WORD_0
	v_cvt_f32_u32_sdwa v5, v15 dst_sel:DWORD dst_unused:UNUSED_PAD src0_sel:WORD_1
	v_cvt_f32_u32_sdwa v4, v15 dst_sel:DWORD dst_unused:UNUSED_PAD src0_sel:WORD_0
	v_cvt_f32_u32_sdwa v7, v16 dst_sel:DWORD dst_unused:UNUSED_PAD src0_sel:WORD_1
	v_cvt_f32_u32_sdwa v6, v16 dst_sel:DWORD dst_unused:UNUSED_PAD src0_sel:WORD_0
	v_cvt_f32_u32_sdwa v9, v17 dst_sel:DWORD dst_unused:UNUSED_PAD src0_sel:WORD_1
	v_cvt_f32_u32_sdwa v8, v17 dst_sel:DWORD dst_unused:UNUSED_PAD src0_sel:WORD_0
.LBB104_6:
	s_or_b64 exec, exec, s[10:11]
	s_mov_b32 s13, s9
	s_cbranch_execz .LBB104_8
	s_branch .LBB104_11
.LBB104_7:
                                        ; implicit-def: $vgpr2_vgpr3_vgpr4_vgpr5_vgpr6_vgpr7_vgpr8_vgpr9
	s_mov_b32 s13, s9
.LBB104_8:
	s_mov_b32 s36, 0
	s_mov_b32 s37, s36
	;; [unrolled: 1-line block ×8, first 2 shown]
	v_pk_mov_b32 v[2:3], s[36:37], s[36:37] op_sel:[0,1]
	v_pk_mov_b32 v[4:5], s[38:39], s[38:39] op_sel:[0,1]
	;; [unrolled: 1-line block ×4, first 2 shown]
	s_and_saveexec_b64 s[10:11], s[0:1]
	s_cbranch_execz .LBB104_10
; %bb.9:
	s_load_dwordx2 s[24:25], s[4:5], 0x38
	s_mul_hi_i32 s29, s15, s6
	s_mul_i32 s28, s15, s6
	s_lshl_b64 s[28:29], s[28:29], 1
	s_mov_b32 s27, 0x20000
	s_waitcnt lgkmcnt(0)
	s_add_u32 s24, s24, s28
	s_addc_u32 s13, s25, s29
	s_and_b32 s25, s13, 0xffff
	v_lshlrev_b32_e32 v26, 4, v0
	buffer_load_dwordx4 v[2:5], v26, s[24:27], 0 offen glc slc
	s_load_dwordx2 s[24:25], s[4:5], 0x20
	s_waitcnt vmcnt(2)
	v_cvt_f32_u32_sdwa v7, v14 dst_sel:DWORD dst_unused:UNUSED_PAD src0_sel:WORD_1
	v_cvt_f32_u32_sdwa v6, v14 dst_sel:DWORD dst_unused:UNUSED_PAD src0_sel:WORD_0
	v_cvt_f32_u32_sdwa v9, v15 dst_sel:DWORD dst_unused:UNUSED_PAD src0_sel:WORD_1
	v_cvt_f32_u32_sdwa v8, v15 dst_sel:DWORD dst_unused:UNUSED_PAD src0_sel:WORD_0
	;; [unrolled: 2-line block ×4, first 2 shown]
	s_mul_hi_i32 s23, s22, s6
	s_mul_i32 s22, s22, s6
	s_lshl_b64 s[22:23], s[22:23], 1
	s_waitcnt lgkmcnt(0)
	s_add_u32 s24, s24, s22
	s_mov_b32 s13, 0x7060302
	s_addc_u32 s15, s25, s23
	s_and_b32 s25, s15, 0xffff
	s_waitcnt vmcnt(0)
	v_cvt_f32_u32_sdwa v17, v2 dst_sel:DWORD dst_unused:UNUSED_PAD src0_sel:WORD_1
	v_cvt_f32_u32_sdwa v16, v2 dst_sel:DWORD dst_unused:UNUSED_PAD src0_sel:WORD_0
	v_cvt_f32_u32_sdwa v21, v3 dst_sel:DWORD dst_unused:UNUSED_PAD src0_sel:WORD_1
	v_cvt_f32_u32_sdwa v20, v3 dst_sel:DWORD dst_unused:UNUSED_PAD src0_sel:WORD_0
	v_cvt_f32_u32_sdwa v23, v4 dst_sel:DWORD dst_unused:UNUSED_PAD src0_sel:WORD_1
	v_cvt_f32_u32_sdwa v22, v4 dst_sel:DWORD dst_unused:UNUSED_PAD src0_sel:WORD_0
	v_cvt_f32_u32_sdwa v25, v5 dst_sel:DWORD dst_unused:UNUSED_PAD src0_sel:WORD_1
	v_cvt_f32_u32_sdwa v24, v5 dst_sel:DWORD dst_unused:UNUSED_PAD src0_sel:WORD_0
	v_pk_add_f32 v[2:3], v[6:7], v[16:17]
	v_pk_add_f32 v[4:5], v[8:9], v[20:21]
	v_pk_add_f32 v[6:7], v[14:15], v[22:23]
	v_pk_add_f32 v[8:9], v[18:19], v[24:25]
	v_perm_b32 v17, v9, v8, s13
	v_perm_b32 v16, v7, v6, s13
	;; [unrolled: 1-line block ×4, first 2 shown]
	buffer_store_dwordx4 v[14:17], v26, s[24:27], 0 offen glc slc
	;;#ASMSTART
	s_nop 0
	;;#ASMEND
.LBB104_10:
	s_or_b64 exec, exec, s[10:11]
	s_mov_b32 s13, s8
.LBB104_11:
	s_waitcnt vmcnt(1)
	v_mul_f32_e32 v14, v3, v3
	v_fmac_f32_e32 v14, v2, v2
	v_fmac_f32_e32 v14, v4, v4
	;; [unrolled: 1-line block ×7, first 2 shown]
	v_bfrev_b32_e32 v16, 0.5
	s_load_dwordx2 s[10:11], s[4:5], 0x18
	v_mov_b32_dpp v15, v14 quad_perm:[1,0,3,2] row_mask:0xf bank_mask:0xf
	v_add_f32_e32 v14, v14, v15
	s_nop 1
	v_mov_b32_dpp v15, v14 quad_perm:[2,3,0,1] row_mask:0xf bank_mask:0xf
	v_add_f32_e32 v14, v14, v15
	s_nop 1
	v_mov_b32_dpp v15, v14 row_half_mirror row_mask:0xf bank_mask:0xf
	v_add_f32_e32 v14, v14, v15
	s_nop 1
	v_mov_b32_dpp v15, v14 row_mirror row_mask:0xf bank_mask:0xf
	v_add_f32_e32 v14, v14, v15
	s_nop 1
	v_mov_b32_dpp v15, v14 row_bcast:15 row_mask:0xf bank_mask:0xf
	v_add_f32_e32 v14, v14, v15
	s_nop 1
	v_mov_b32_dpp v15, v14 row_bcast:31 row_mask:0xf bank_mask:0xf
	v_add_f32_e32 v15, v14, v15
	v_mbcnt_lo_u32_b32 v14, -1, 0
	v_mbcnt_hi_u32_b32 v14, -1, v14
	v_lshl_or_b32 v14, v14, 2, v16
	ds_bpermute_b32 v15, v14, v15
	s_waitcnt lgkmcnt(0)
	s_and_saveexec_b64 s[22:23], s[0:1]
	s_cbranch_execnz .LBB104_16
; %bb.12:
	s_or_b64 exec, exec, s[22:23]
	s_mov_b64 s[22:23], -1
	s_and_b64 vcc, exec, s[18:19]
	s_cbranch_vccnz .LBB104_17
.LBB104_13:
	s_andn2_b64 vcc, exec, s[22:23]
	s_cbranch_vccz .LBB104_20
.LBB104_14:
	s_cmp_lt_i32 s12, 1
	s_cbranch_scc0 .LBB104_23
.LBB104_15:
	s_endpgm
.LBB104_16:
	v_cvt_f32_u32_e32 v16, s7
	s_mov_b32 s7, 0x800000
	v_div_scale_f32 v17, s[24:25], v16, v16, v15
	v_rcp_f32_e32 v18, v17
	v_div_scale_f32 v19, vcc, v15, v16, v15
	v_fma_f32 v20, -v17, v18, 1.0
	v_fmac_f32_e32 v18, v20, v18
	v_mul_f32_e32 v20, v19, v18
	v_fma_f32 v21, -v17, v20, v19
	v_fmac_f32_e32 v20, v21, v18
	v_fma_f32 v17, -v17, v20, v19
	v_div_fmas_f32 v17, v17, v18, v20
	v_div_fixup_f32 v15, v17, v16, v15
	v_add_f32_e32 v15, s13, v15
	v_mul_f32_e32 v16, 0x4b800000, v15
	v_cmp_gt_f32_e32 vcc, s7, v15
	v_cndmask_b32_e32 v15, v15, v16, vcc
	v_rsq_f32_e32 v15, v15
	s_waitcnt vmcnt(0)
	v_cvt_f32_u32_sdwa v19, v11 dst_sel:DWORD dst_unused:UNUSED_PAD src0_sel:WORD_1
	v_cvt_f32_u32_sdwa v18, v11 dst_sel:DWORD dst_unused:UNUSED_PAD src0_sel:WORD_0
	v_cvt_f32_u32_sdwa v11, v12 dst_sel:DWORD dst_unused:UNUSED_PAD src0_sel:WORD_1
	v_mul_f32_e32 v16, 0x45800000, v15
	v_cndmask_b32_e32 v16, v15, v16, vcc
	v_mov_b32_e32 v17, v16
	;;#ASMSTART
	v_pk_mul_f32 v[2:3], v[2:3], v[16:17]
	;;#ASMEND
	;;#ASMSTART
	v_pk_mul_f32 v[4:5], v[4:5], v[16:17]
	;;#ASMEND
	;;#ASMSTART
	v_pk_mul_f32 v[6:7], v[6:7], v[16:17]
	;;#ASMEND
	;;#ASMSTART
	v_pk_mul_f32 v[8:9], v[8:9], v[16:17]
	;;#ASMEND
	v_cvt_f32_u32_sdwa v17, v10 dst_sel:DWORD dst_unused:UNUSED_PAD src0_sel:WORD_1
	v_cvt_f32_u32_sdwa v16, v10 dst_sel:DWORD dst_unused:UNUSED_PAD src0_sel:WORD_0
	v_cvt_f32_u32_sdwa v10, v12 dst_sel:DWORD dst_unused:UNUSED_PAD src0_sel:WORD_0
	v_cvt_f32_u32_sdwa v21, v13 dst_sel:DWORD dst_unused:UNUSED_PAD src0_sel:WORD_1
	v_cvt_f32_u32_sdwa v20, v13 dst_sel:DWORD dst_unused:UNUSED_PAD src0_sel:WORD_0
	;;#ASMSTART
	v_pk_mul_f32 v[2:3], v[2:3], v[16:17]
	;;#ASMEND
	;;#ASMSTART
	v_pk_mul_f32 v[4:5], v[4:5], v[18:19]
	;;#ASMEND
	;;#ASMSTART
	v_pk_mul_f32 v[6:7], v[6:7], v[10:11]
	;;#ASMEND
	;;#ASMSTART
	v_pk_mul_f32 v[8:9], v[8:9], v[20:21]
	;;#ASMEND
	s_or_b64 exec, exec, s[22:23]
	s_mov_b64 s[22:23], -1
	s_and_b64 vcc, exec, s[18:19]
	s_cbranch_vccz .LBB104_13
.LBB104_17:
	s_and_saveexec_b64 s[18:19], s[0:1]
	s_cbranch_execz .LBB104_19
; %bb.18:
	s_mul_hi_i32 s23, s21, s6
	s_mul_i32 s22, s21, s6
	s_lshl_b64 s[22:23], s[22:23], 1
	s_add_u32 s24, s10, s22
	s_addc_u32 s7, s11, s23
	s_and_b32 s25, s7, 0xffff
	s_mov_b32 s7, 0x7060302
	s_mov_b32 s27, 0x20000
	s_waitcnt vmcnt(0)
	v_perm_b32 v10, v3, v2, s7
	v_perm_b32 v11, v5, v4, s7
	;; [unrolled: 1-line block ×4, first 2 shown]
	v_lshlrev_b32_e32 v15, 4, v0
	buffer_store_dwordx4 v[10:13], v15, s[24:27], 0 offen
	;;#ASMSTART
	s_nop 0
	;;#ASMEND
.LBB104_19:
	s_or_b64 exec, exec, s[18:19]
	s_cbranch_execnz .LBB104_14
.LBB104_20:
	s_and_saveexec_b64 s[18:19], s[0:1]
	s_cbranch_execz .LBB104_22
; %bb.21:
	s_load_dwordx2 s[0:1], s[4:5], 0x10
	s_mul_hi_i32 s23, s20, s6
	s_mul_i32 s22, s20, s6
	s_lshl_b64 s[22:23], s[22:23], 1
	s_mov_b32 s27, 0x20000
	s_waitcnt lgkmcnt(0)
	s_add_u32 s24, s0, s22
	s_addc_u32 s0, s1, s23
	s_and_b32 s25, s0, 0xffff
	s_mov_b32 s0, 0x7060302
	v_perm_b32 v2, v3, v2, s0
	v_perm_b32 v3, v5, v4, s0
	v_perm_b32 v4, v7, v6, s0
	v_perm_b32 v5, v9, v8, s0
	v_lshlrev_b32_e32 v6, 4, v0
	buffer_store_dwordx4 v[2:5], v6, s[24:27], 0 offen
	;;#ASMSTART
	s_nop 0
	;;#ASMEND
.LBB104_22:
	s_or_b64 exec, exec, s[18:19]
	s_cmp_lt_i32 s12, 1
	s_cbranch_scc1 .LBB104_15
.LBB104_23:
	s_load_dword s0, s[4:5], 0x94
	s_waitcnt lgkmcnt(0)
	s_cmp_lg_u32 s0, 1
	s_cbranch_scc1 .LBB104_15
; %bb.24:
	s_lshl_b32 s0, s12, 1
	s_add_i32 s0, s0, 2
	v_cmp_gt_u32_e32 vcc, s12, v1
	s_and_b32 s18, s0, -4
	v_mov_b32_e32 v4, 0
	s_waitcnt vmcnt(0)
	v_lshlrev_b32_e32 v12, 4, v0
	v_mov_b32_e32 v5, 0
	v_mov_b32_e32 v6, 0
	;; [unrolled: 1-line block ×7, first 2 shown]
	s_barrier
	s_and_saveexec_b64 s[0:1], vcc
	s_cbranch_execz .LBB104_26
; %bb.25:
	s_mul_hi_i32 s5, s14, s6
	s_mul_i32 s4, s14, s6
	s_and_b32 s17, s17, 0xffff
	s_lshl_b64 s[4:5], s[4:5], 1
	s_add_u32 s24, s2, s4
	s_mov_b32 s19, 0x20000
	s_addc_u32 s2, s3, s5
	s_and_b32 s25, s2, 0xffff
	s_mov_b32 s26, s18
	s_mov_b32 s27, s19
	buffer_load_dwordx4 v[4:7], v12, s[24:27], 0 offen glc slc
	buffer_load_dwordx4 v[0:3], v12, s[16:19], 0 offen
.LBB104_26:
	s_or_b64 exec, exec, s[0:1]
	s_waitcnt vmcnt(1)
	v_cvt_f32_u32_sdwa v11, v4 dst_sel:DWORD dst_unused:UNUSED_PAD src0_sel:WORD_1
	v_cvt_f32_u32_sdwa v10, v4 dst_sel:DWORD dst_unused:UNUSED_PAD src0_sel:WORD_0
	v_cvt_f32_u32_sdwa v4, v7 dst_sel:DWORD dst_unused:UNUSED_PAD src0_sel:WORD_1
	v_cvt_f32_u32_sdwa v7, v7 dst_sel:DWORD dst_unused:UNUSED_PAD src0_sel:WORD_0
	;; [unrolled: 2-line block ×4, first 2 shown]
	v_cndmask_b32_e32 v11, 0, v11, vcc
	v_cndmask_b32_e32 v5, 0, v4, vcc
	;; [unrolled: 1-line block ×5, first 2 shown]
	v_mul_f32_e32 v13, v11, v11
	v_cndmask_b32_e32 v8, 0, v8, vcc
	v_fmac_f32_e32 v13, v10, v10
	v_cndmask_b32_e32 v9, 0, v9, vcc
	v_fmac_f32_e32 v13, v8, v8
	;; [unrolled: 2-line block ×3, first 2 shown]
	v_fmac_f32_e32 v13, v6, v6
	v_fmac_f32_e32 v13, v7, v7
	;; [unrolled: 1-line block ×4, first 2 shown]
	s_nop 1
	v_mov_b32_dpp v15, v13 quad_perm:[1,0,3,2] row_mask:0xf bank_mask:0xf
	v_add_f32_e32 v13, v13, v15
	s_nop 1
	v_mov_b32_dpp v15, v13 quad_perm:[2,3,0,1] row_mask:0xf bank_mask:0xf
	v_add_f32_e32 v13, v13, v15
	s_nop 1
	v_mov_b32_dpp v15, v13 row_half_mirror row_mask:0xf bank_mask:0xf
	v_add_f32_e32 v13, v13, v15
	s_nop 1
	v_mov_b32_dpp v15, v13 row_mirror row_mask:0xf bank_mask:0xf
	v_add_f32_e32 v13, v13, v15
	s_nop 1
	v_mov_b32_dpp v15, v13 row_bcast:15 row_mask:0xf bank_mask:0xf
	v_add_f32_e32 v13, v13, v15
	s_nop 1
	v_mov_b32_dpp v15, v13 row_bcast:31 row_mask:0xf bank_mask:0xf
	v_add_f32_e32 v13, v13, v15
	ds_bpermute_b32 v13, v14, v13
	s_and_saveexec_b64 s[0:1], vcc
	s_cbranch_execz .LBB104_15
; %bb.27:
	v_cvt_f32_u32_e32 v14, s12
	s_mov_b32 s19, 0x20000
	s_waitcnt lgkmcnt(0)
	v_div_scale_f32 v15, s[0:1], v14, v14, v13
	v_rcp_f32_e32 v16, v15
	v_div_scale_f32 v17, vcc, v13, v14, v13
	s_mov_b32 s0, 0x800000
	v_fma_f32 v18, -v15, v16, 1.0
	v_fmac_f32_e32 v16, v18, v16
	v_mul_f32_e32 v18, v17, v16
	v_fma_f32 v19, -v15, v18, v17
	v_fmac_f32_e32 v18, v19, v16
	v_fma_f32 v15, -v15, v18, v17
	v_div_fmas_f32 v15, v15, v16, v18
	v_div_fixup_f32 v13, v15, v14, v13
	v_add_f32_e32 v13, s9, v13
	v_mul_f32_e32 v14, 0x4b800000, v13
	v_cmp_gt_f32_e32 vcc, s0, v13
	v_cndmask_b32_e32 v13, v13, v14, vcc
	v_rsq_f32_e32 v13, v13
	s_mul_hi_i32 s1, s21, s6
	s_mul_i32 s0, s21, s6
	s_lshl_b64 s[0:1], s[0:1], 1
	v_mul_f32_e32 v14, 0x45800000, v13
	v_cndmask_b32_e32 v14, v13, v14, vcc
	s_add_u32 s16, s10, s0
	v_mov_b32_e32 v15, v14
	s_addc_u32 s0, s11, s1
	;;#ASMSTART
	v_pk_mul_f32 v[10:11], v[10:11], v[14:15]
	;;#ASMEND
	;;#ASMSTART
	v_pk_mul_f32 v[8:9], v[8:9], v[14:15]
	;;#ASMEND
	;; [unrolled: 3-line block ×4, first 2 shown]
	s_waitcnt vmcnt(0)
	v_cvt_f32_u32_sdwa v15, v0 dst_sel:DWORD dst_unused:UNUSED_PAD src0_sel:WORD_1
	v_cvt_f32_u32_sdwa v14, v0 dst_sel:DWORD dst_unused:UNUSED_PAD src0_sel:WORD_0
	v_cvt_f32_u32_sdwa v17, v1 dst_sel:DWORD dst_unused:UNUSED_PAD src0_sel:WORD_1
	v_cvt_f32_u32_sdwa v16, v1 dst_sel:DWORD dst_unused:UNUSED_PAD src0_sel:WORD_0
	v_cvt_f32_u32_sdwa v1, v2 dst_sel:DWORD dst_unused:UNUSED_PAD src0_sel:WORD_1
	v_cvt_f32_u32_sdwa v0, v2 dst_sel:DWORD dst_unused:UNUSED_PAD src0_sel:WORD_0
	v_cvt_f32_u32_sdwa v19, v3 dst_sel:DWORD dst_unused:UNUSED_PAD src0_sel:WORD_1
	v_cvt_f32_u32_sdwa v18, v3 dst_sel:DWORD dst_unused:UNUSED_PAD src0_sel:WORD_0
	;;#ASMSTART
	v_pk_mul_f32 v[2:3], v[10:11], v[14:15]
	;;#ASMEND
	s_and_b32 s17, s0, 0xffff
	s_mov_b32 s0, 0x7060302
	;;#ASMSTART
	v_pk_mul_f32 v[8:9], v[8:9], v[16:17]
	;;#ASMEND
	;;#ASMSTART
	v_pk_mul_f32 v[6:7], v[6:7], v[0:1]
	;;#ASMEND
	;; [unrolled: 3-line block ×3, first 2 shown]
	v_perm_b32 v0, v3, v2, s0
	v_perm_b32 v1, v9, v8, s0
	;; [unrolled: 1-line block ×4, first 2 shown]
	buffer_store_dwordx4 v[0:3], v12, s[16:19], 0 offen
	;;#ASMSTART
	s_nop 0
	;;#ASMEND
	s_endpgm
	.section	.rodata,"a",@progbits
	.p2align	6, 0x0
	.amdhsa_kernel _ZN5aiter35fused_qk_rmsnorm_group_quant_kernelItN4opus5fp4_tELi64ELi8ELi16ELb1ELb1ELb0ELb1ELb0ELb0EEEvPT0_PvPT_S7_S7_PKS6_S9_S9_S9_S9_ffiiiiiiiiiiiii
		.amdhsa_group_segment_fixed_size 0
		.amdhsa_private_segment_fixed_size 0
		.amdhsa_kernarg_size 400
		.amdhsa_user_sgpr_count 6
		.amdhsa_user_sgpr_private_segment_buffer 1
		.amdhsa_user_sgpr_dispatch_ptr 0
		.amdhsa_user_sgpr_queue_ptr 0
		.amdhsa_user_sgpr_kernarg_segment_ptr 1
		.amdhsa_user_sgpr_dispatch_id 0
		.amdhsa_user_sgpr_flat_scratch_init 0
		.amdhsa_user_sgpr_kernarg_preload_length 0
		.amdhsa_user_sgpr_kernarg_preload_offset 0
		.amdhsa_user_sgpr_private_segment_size 0
		.amdhsa_uses_dynamic_stack 0
		.amdhsa_system_sgpr_private_segment_wavefront_offset 0
		.amdhsa_system_sgpr_workgroup_id_x 1
		.amdhsa_system_sgpr_workgroup_id_y 1
		.amdhsa_system_sgpr_workgroup_id_z 0
		.amdhsa_system_sgpr_workgroup_info 0
		.amdhsa_system_vgpr_workitem_id 0
		.amdhsa_next_free_vgpr 27
		.amdhsa_next_free_sgpr 44
		.amdhsa_accum_offset 28
		.amdhsa_reserve_vcc 1
		.amdhsa_reserve_flat_scratch 0
		.amdhsa_float_round_mode_32 0
		.amdhsa_float_round_mode_16_64 0
		.amdhsa_float_denorm_mode_32 3
		.amdhsa_float_denorm_mode_16_64 3
		.amdhsa_dx10_clamp 1
		.amdhsa_ieee_mode 1
		.amdhsa_fp16_overflow 0
		.amdhsa_tg_split 0
		.amdhsa_exception_fp_ieee_invalid_op 0
		.amdhsa_exception_fp_denorm_src 0
		.amdhsa_exception_fp_ieee_div_zero 0
		.amdhsa_exception_fp_ieee_overflow 0
		.amdhsa_exception_fp_ieee_underflow 0
		.amdhsa_exception_fp_ieee_inexact 0
		.amdhsa_exception_int_div_zero 0
	.end_amdhsa_kernel
	.section	.text._ZN5aiter35fused_qk_rmsnorm_group_quant_kernelItN4opus5fp4_tELi64ELi8ELi16ELb1ELb1ELb0ELb1ELb0ELb0EEEvPT0_PvPT_S7_S7_PKS6_S9_S9_S9_S9_ffiiiiiiiiiiiii,"axG",@progbits,_ZN5aiter35fused_qk_rmsnorm_group_quant_kernelItN4opus5fp4_tELi64ELi8ELi16ELb1ELb1ELb0ELb1ELb0ELb0EEEvPT0_PvPT_S7_S7_PKS6_S9_S9_S9_S9_ffiiiiiiiiiiiii,comdat
.Lfunc_end104:
	.size	_ZN5aiter35fused_qk_rmsnorm_group_quant_kernelItN4opus5fp4_tELi64ELi8ELi16ELb1ELb1ELb0ELb1ELb0ELb0EEEvPT0_PvPT_S7_S7_PKS6_S9_S9_S9_S9_ffiiiiiiiiiiiii, .Lfunc_end104-_ZN5aiter35fused_qk_rmsnorm_group_quant_kernelItN4opus5fp4_tELi64ELi8ELi16ELb1ELb1ELb0ELb1ELb0ELb0EEEvPT0_PvPT_S7_S7_PKS6_S9_S9_S9_S9_ffiiiiiiiiiiiii
                                        ; -- End function
	.section	.AMDGPU.csdata,"",@progbits
; Kernel info:
; codeLenInByte = 2332
; NumSgprs: 48
; NumVgprs: 27
; NumAgprs: 0
; TotalNumVgprs: 27
; ScratchSize: 0
; MemoryBound: 0
; FloatMode: 240
; IeeeMode: 1
; LDSByteSize: 0 bytes/workgroup (compile time only)
; SGPRBlocks: 5
; VGPRBlocks: 3
; NumSGPRsForWavesPerEU: 48
; NumVGPRsForWavesPerEU: 27
; AccumOffset: 28
; Occupancy: 8
; WaveLimiterHint : 0
; COMPUTE_PGM_RSRC2:SCRATCH_EN: 0
; COMPUTE_PGM_RSRC2:USER_SGPR: 6
; COMPUTE_PGM_RSRC2:TRAP_HANDLER: 0
; COMPUTE_PGM_RSRC2:TGID_X_EN: 1
; COMPUTE_PGM_RSRC2:TGID_Y_EN: 1
; COMPUTE_PGM_RSRC2:TGID_Z_EN: 0
; COMPUTE_PGM_RSRC2:TIDIG_COMP_CNT: 0
; COMPUTE_PGM_RSRC3_GFX90A:ACCUM_OFFSET: 6
; COMPUTE_PGM_RSRC3_GFX90A:TG_SPLIT: 0
	.section	.text._ZN5aiter35fused_qk_rmsnorm_group_quant_kernelIDF16_DB8_Li64ELi8ELi16ELb0ELb1ELb1ELb1ELb0ELb0EEEvPT0_PvPT_S6_S6_PKS5_S8_S8_S8_S8_ffiiiiiiiiiiiii,"axG",@progbits,_ZN5aiter35fused_qk_rmsnorm_group_quant_kernelIDF16_DB8_Li64ELi8ELi16ELb0ELb1ELb1ELb1ELb0ELb0EEEvPT0_PvPT_S6_S6_PKS5_S8_S8_S8_S8_ffiiiiiiiiiiiii,comdat
	.protected	_ZN5aiter35fused_qk_rmsnorm_group_quant_kernelIDF16_DB8_Li64ELi8ELi16ELb0ELb1ELb1ELb1ELb0ELb0EEEvPT0_PvPT_S6_S6_PKS5_S8_S8_S8_S8_ffiiiiiiiiiiiii ; -- Begin function _ZN5aiter35fused_qk_rmsnorm_group_quant_kernelIDF16_DB8_Li64ELi8ELi16ELb0ELb1ELb1ELb1ELb0ELb0EEEvPT0_PvPT_S6_S6_PKS5_S8_S8_S8_S8_ffiiiiiiiiiiiii
	.globl	_ZN5aiter35fused_qk_rmsnorm_group_quant_kernelIDF16_DB8_Li64ELi8ELi16ELb0ELb1ELb1ELb1ELb0ELb0EEEvPT0_PvPT_S6_S6_PKS5_S8_S8_S8_S8_ffiiiiiiiiiiiii
	.p2align	8
	.type	_ZN5aiter35fused_qk_rmsnorm_group_quant_kernelIDF16_DB8_Li64ELi8ELi16ELb0ELb1ELb1ELb1ELb0ELb0EEEvPT0_PvPT_S6_S6_PKS5_S8_S8_S8_S8_ffiiiiiiiiiiiii,@function
_ZN5aiter35fused_qk_rmsnorm_group_quant_kernelIDF16_DB8_Li64ELi8ELi16ELb0ELb1ELb1ELb1ELb0ELb0EEEvPT0_PvPT_S6_S6_PKS5_S8_S8_S8_S8_ffiiiiiiiiiiiii: ; @_ZN5aiter35fused_qk_rmsnorm_group_quant_kernelIDF16_DB8_Li64ELi8ELi16ELb0ELb1ELb1ELb1ELb0ELb0EEEvPT0_PvPT_S6_S6_PKS5_S8_S8_S8_S8_ffiiiiiiiiiiiii
; %bb.0:
	s_load_dwordx4 s[12:15], s[4:5], 0x50
	s_waitcnt lgkmcnt(0)
	s_cmp_ge_i32 s6, s14
	s_cbranch_scc1 .LBB105_10
; %bb.1:
	s_load_dwordx2 s[24:25], s[4:5], 0x30
	s_load_dwordx2 s[8:9], s[4:5], 0x48
	s_load_dwordx4 s[16:19], s[4:5], 0x60
	s_cmp_lg_u32 s7, 0
	s_cselect_b64 s[10:11], -1, 0
	s_cmp_eq_u32 s7, 0
	s_cselect_b64 vcc, -1, 0
	s_and_b64 s[0:1], vcc, exec
	s_waitcnt lgkmcnt(0)
	s_cselect_b32 s7, s15, s16
	s_add_i32 s0, s7, 1
	s_lshr_b32 s1, s0, 31
	s_add_i32 s0, s0, s1
	s_lshl_b32 s0, s0, 1
	v_lshlrev_b32_e32 v1, 3, v0
	s_and_b32 s22, s0, -4
	v_cmp_gt_i32_e64 s[0:1], s7, v1
	v_mov_b32_e32 v10, 0
	v_mov_b32_e32 v2, 0
	;; [unrolled: 1-line block ×9, first 2 shown]
	s_and_saveexec_b64 s[2:3], s[0:1]
	s_cbranch_execz .LBB105_3
; %bb.2:
	s_load_dwordx2 s[14:15], s[4:5], 0x28
	s_load_dwordx2 s[20:21], s[4:5], 0x40
	s_and_b64 s[26:27], vcc, exec
	s_cselect_b32 s17, s17, s18
	v_lshlrev_b32_e32 v11, 4, v0
	s_waitcnt lgkmcnt(0)
	s_cselect_b32 s19, s15, s25
	s_cselect_b32 s23, s14, s24
	s_mul_hi_i32 s15, s17, s6
	s_mul_i32 s14, s17, s6
	s_lshl_b64 s[14:15], s[14:15], 1
	s_add_u32 s28, s23, s14
	s_addc_u32 s17, s19, s15
	s_and_b64 s[14:15], vcc, exec
	s_mov_b32 s23, 0x20000
	s_cselect_b32 s20, s20, s8
	s_cselect_b32 s14, s21, s9
	s_and_b32 s29, s17, 0xffff
	s_mov_b32 s30, s22
	s_mov_b32 s31, s23
	s_and_b32 s21, s14, 0xffff
	buffer_load_dwordx4 v[6:9], v11, s[28:31], 0 offen glc slc
	buffer_load_dwordx4 v[2:5], v11, s[20:23], 0 offen
.LBB105_3:
	s_or_b64 exec, exec, s[2:3]
	v_mov_b32_e32 v11, 0
	v_mov_b32_e32 v14, 0
	;; [unrolled: 1-line block ×7, first 2 shown]
	s_and_saveexec_b64 s[2:3], s[0:1]
	s_cbranch_execz .LBB105_5
; %bb.4:
	s_waitcnt vmcnt(1)
	v_cvt_f32_f16_sdwa v11, v6 dst_sel:DWORD dst_unused:UNUSED_PAD src0_sel:WORD_1
	v_cvt_f32_f16_e32 v10, v6
	v_cvt_f32_f16_sdwa v15, v7 dst_sel:DWORD dst_unused:UNUSED_PAD src0_sel:WORD_1
	v_cvt_f32_f16_e32 v14, v7
	;; [unrolled: 2-line block ×4, first 2 shown]
.LBB105_5:
	s_or_b64 exec, exec, s[2:3]
	s_waitcnt vmcnt(1)
	v_mul_f32_e32 v6, v11, v11
	v_fmac_f32_e32 v6, v10, v10
	v_fmac_f32_e32 v6, v14, v14
	;; [unrolled: 1-line block ×7, first 2 shown]
	v_bfrev_b32_e32 v8, 0.5
	s_load_dwordx2 s[2:3], s[4:5], 0x18
	v_mov_b32_dpp v7, v6 quad_perm:[1,0,3,2] row_mask:0xf bank_mask:0xf
	v_add_f32_e32 v6, v6, v7
	s_nop 1
	v_mov_b32_dpp v7, v6 quad_perm:[2,3,0,1] row_mask:0xf bank_mask:0xf
	v_add_f32_e32 v6, v6, v7
	s_nop 1
	v_mov_b32_dpp v7, v6 row_half_mirror row_mask:0xf bank_mask:0xf
	v_add_f32_e32 v6, v6, v7
	s_nop 1
	v_mov_b32_dpp v7, v6 row_mirror row_mask:0xf bank_mask:0xf
	v_add_f32_e32 v6, v6, v7
	s_nop 1
	v_mov_b32_dpp v7, v6 row_bcast:15 row_mask:0xf bank_mask:0xf
	v_add_f32_e32 v6, v6, v7
	s_nop 1
	v_mov_b32_dpp v7, v6 row_bcast:31 row_mask:0xf bank_mask:0xf
	v_add_f32_e32 v6, v6, v7
	v_mbcnt_lo_u32_b32 v7, -1, 0
	v_mbcnt_hi_u32_b32 v7, -1, v7
	v_lshl_or_b32 v18, v7, 2, v8
	ds_bpermute_b32 v6, v18, v6
	s_and_saveexec_b64 s[14:15], s[0:1]
	s_cbranch_execz .LBB105_7
; %bb.6:
	v_cvt_f32_u32_e32 v7, s7
	v_mov_b32_e32 v8, s13
	v_mov_b32_e32 v9, s12
	v_cndmask_b32_e32 v8, v8, v9, vcc
	s_waitcnt lgkmcnt(0)
	v_div_scale_f32 v19, s[20:21], v7, v7, v6
	v_rcp_f32_e32 v20, v19
	v_div_scale_f32 v9, vcc, v6, v7, v6
	s_mov_b32 s7, 0x800000
	v_fma_f32 v21, -v19, v20, 1.0
	v_fmac_f32_e32 v20, v21, v20
	v_mul_f32_e32 v21, v9, v20
	v_fma_f32 v22, -v19, v21, v9
	v_fmac_f32_e32 v21, v22, v20
	v_fma_f32 v9, -v19, v21, v9
	v_div_fmas_f32 v9, v9, v20, v21
	v_div_fixup_f32 v6, v9, v7, v6
	v_add_f32_e32 v6, v8, v6
	v_mul_f32_e32 v7, 0x4b800000, v6
	v_cmp_gt_f32_e32 vcc, s7, v6
	v_cndmask_b32_e32 v6, v6, v7, vcc
	v_rsq_f32_e32 v6, v6
	s_waitcnt vmcnt(0)
	v_cvt_f32_f16_sdwa v21, v3 dst_sel:DWORD dst_unused:UNUSED_PAD src0_sel:WORD_1
	v_cvt_f32_f16_e32 v20, v3
	v_mul_f32_e32 v7, 0x45800000, v6
	v_cndmask_b32_e32 v6, v6, v7, vcc
	v_mov_b32_e32 v7, v6
	;;#ASMSTART
	v_pk_mul_f32 v[8:9], v[10:11], v[6:7]
	;;#ASMEND
	v_cvt_f32_f16_sdwa v11, v2 dst_sel:DWORD dst_unused:UNUSED_PAD src0_sel:WORD_1
	v_cvt_f32_f16_e32 v10, v2
	;;#ASMSTART
	v_pk_mul_f32 v[14:15], v[14:15], v[6:7]
	;;#ASMEND
	;;#ASMSTART
	v_pk_mul_f32 v[16:17], v[16:17], v[6:7]
	;;#ASMEND
	;; [unrolled: 3-line block ×3, first 2 shown]
	v_pk_add_f32 v[6:7], v[10:11], 1.0 op_sel_hi:[1,0]
	;;#ASMSTART
	v_pk_mul_f32 v[10:11], v[8:9], v[6:7]
	;;#ASMEND
	v_cvt_f32_f16_sdwa v9, v4 dst_sel:DWORD dst_unused:UNUSED_PAD src0_sel:WORD_1
	v_cvt_f32_f16_e32 v8, v4
	v_cvt_f32_f16_sdwa v13, v5 dst_sel:DWORD dst_unused:UNUSED_PAD src0_sel:WORD_1
	v_cvt_f32_f16_e32 v12, v5
	v_pk_add_f32 v[6:7], v[20:21], 1.0 op_sel_hi:[1,0]
	v_pk_add_f32 v[4:5], v[8:9], 1.0 op_sel_hi:[1,0]
	;;#ASMSTART
	v_pk_mul_f32 v[14:15], v[14:15], v[6:7]
	;;#ASMEND
	;;#ASMSTART
	v_pk_mul_f32 v[16:17], v[16:17], v[4:5]
	;;#ASMEND
	v_pk_add_f32 v[4:5], v[12:13], 1.0 op_sel_hi:[1,0]
	;;#ASMSTART
	v_pk_mul_f32 v[12:13], v[2:3], v[4:5]
	;;#ASMEND
.LBB105_7:
	s_or_b64 exec, exec, s[14:15]
	s_load_dwordx2 s[14:15], s[4:5], 0x7c
	s_mov_b64 s[20:21], -1
	s_and_b64 vcc, exec, s[10:11]
	s_cbranch_vccnz .LBB105_11
; %bb.8:
	s_andn2_b64 vcc, exec, s[20:21]
	s_cbranch_vccz .LBB105_14
.LBB105_9:
	s_cmp_lt_i32 s16, 1
	s_cbranch_scc0 .LBB105_17
.LBB105_10:
	s_endpgm
.LBB105_11:
	s_and_saveexec_b64 s[10:11], s[0:1]
	s_cbranch_execz .LBB105_13
; %bb.12:
	s_waitcnt lgkmcnt(0)
	s_mul_hi_i32 s21, s15, s6
	s_mul_i32 s20, s15, s6
	s_waitcnt vmcnt(0)
	v_cvt_f16_f32_e32 v2, v10
	v_cvt_f16_f32_e32 v3, v14
	;; [unrolled: 1-line block ×8, first 2 shown]
	s_lshl_b64 s[20:21], s[20:21], 1
	s_add_u32 s20, s2, s20
	s_addc_u32 s7, s3, s21
	s_and_b32 s21, s7, 0xffff
	s_mov_b32 s23, 0x20000
	v_pack_b32_f16 v5, v5, v6
	v_pack_b32_f16 v4, v4, v7
	;; [unrolled: 1-line block ×4, first 2 shown]
	v_lshlrev_b32_e32 v6, 4, v0
	buffer_store_dwordx4 v[2:5], v6, s[20:23], 0 offen
	;;#ASMSTART
	s_nop 0
	;;#ASMEND
.LBB105_13:
	s_or_b64 exec, exec, s[10:11]
	s_cbranch_execnz .LBB105_9
.LBB105_14:
	s_and_saveexec_b64 s[10:11], s[0:1]
	s_cbranch_execz .LBB105_16
; %bb.15:
	s_load_dwordx2 s[0:1], s[4:5], 0x10
	s_waitcnt lgkmcnt(0)
	s_mul_hi_i32 s21, s14, s6
	s_mul_i32 s20, s14, s6
	s_waitcnt vmcnt(0)
	v_cvt_f16_f32_e32 v2, v10
	v_cvt_f16_f32_e32 v3, v14
	;; [unrolled: 1-line block ×8, first 2 shown]
	s_lshl_b64 s[20:21], s[20:21], 1
	s_add_u32 s20, s0, s20
	s_addc_u32 s0, s1, s21
	s_mov_b32 s23, 0x20000
	s_and_b32 s21, s0, 0xffff
	v_pack_b32_f16 v5, v5, v6
	v_pack_b32_f16 v4, v4, v7
	;; [unrolled: 1-line block ×4, first 2 shown]
	v_lshlrev_b32_e32 v6, 4, v0
	buffer_store_dwordx4 v[2:5], v6, s[20:23], 0 offen
	;;#ASMSTART
	s_nop 0
	;;#ASMEND
.LBB105_16:
	s_or_b64 exec, exec, s[10:11]
	s_cmp_lt_i32 s16, 1
	s_cbranch_scc1 .LBB105_10
.LBB105_17:
	s_load_dword s0, s[4:5], 0x94
	s_waitcnt lgkmcnt(0)
	s_cmp_lg_u32 s0, 1
	s_cbranch_scc1 .LBB105_10
; %bb.18:
	s_lshl_b32 s0, s16, 1
	s_add_i32 s0, s0, 2
	v_cmp_gt_u32_e32 vcc, s16, v1
	s_and_b32 s10, s0, -4
	v_mov_b32_e32 v8, 0
	v_lshlrev_b32_e32 v16, 4, v0
	s_waitcnt vmcnt(0)
	v_mov_b32_e32 v4, 0
	v_mov_b32_e32 v5, 0
	;; [unrolled: 1-line block ×8, first 2 shown]
	s_barrier
	s_and_saveexec_b64 s[0:1], vcc
	s_cbranch_execz .LBB105_20
; %bb.19:
	s_mul_hi_i32 s5, s18, s6
	s_mul_i32 s4, s18, s6
	s_and_b32 s9, s9, 0xffff
	s_lshl_b64 s[4:5], s[4:5], 1
	s_add_u32 s20, s24, s4
	s_mov_b32 s11, 0x20000
	s_addc_u32 s4, s25, s5
	s_and_b32 s21, s4, 0xffff
	s_mov_b32 s22, s10
	s_mov_b32 s23, s11
	buffer_load_dwordx4 v[4:7], v16, s[20:23], 0 offen glc slc
	buffer_load_dwordx4 v[0:3], v16, s[8:11], 0 offen
.LBB105_20:
	s_or_b64 exec, exec, s[0:1]
	v_mov_b32_e32 v9, 0
	v_mov_b32_e32 v12, 0
	;; [unrolled: 1-line block ×7, first 2 shown]
	s_and_saveexec_b64 s[0:1], vcc
	s_cbranch_execz .LBB105_22
; %bb.21:
	s_waitcnt vmcnt(1)
	v_cvt_f32_f16_sdwa v9, v4 dst_sel:DWORD dst_unused:UNUSED_PAD src0_sel:WORD_1
	v_cvt_f32_f16_e32 v8, v4
	v_cvt_f32_f16_sdwa v13, v5 dst_sel:DWORD dst_unused:UNUSED_PAD src0_sel:WORD_1
	v_cvt_f32_f16_e32 v12, v5
	;; [unrolled: 2-line block ×4, first 2 shown]
.LBB105_22:
	s_or_b64 exec, exec, s[0:1]
	s_waitcnt vmcnt(1)
	v_mul_f32_e32 v4, v9, v9
	v_fmac_f32_e32 v4, v8, v8
	v_fmac_f32_e32 v4, v12, v12
	;; [unrolled: 1-line block ×7, first 2 shown]
	s_nop 1
	v_mov_b32_dpp v5, v4 quad_perm:[1,0,3,2] row_mask:0xf bank_mask:0xf
	v_add_f32_e32 v4, v4, v5
	s_nop 1
	v_mov_b32_dpp v5, v4 quad_perm:[2,3,0,1] row_mask:0xf bank_mask:0xf
	v_add_f32_e32 v4, v4, v5
	s_nop 1
	v_mov_b32_dpp v5, v4 row_half_mirror row_mask:0xf bank_mask:0xf
	v_add_f32_e32 v4, v4, v5
	s_nop 1
	v_mov_b32_dpp v5, v4 row_mirror row_mask:0xf bank_mask:0xf
	v_add_f32_e32 v4, v4, v5
	s_nop 1
	v_mov_b32_dpp v5, v4 row_bcast:15 row_mask:0xf bank_mask:0xf
	v_add_f32_e32 v4, v4, v5
	s_nop 1
	v_mov_b32_dpp v5, v4 row_bcast:31 row_mask:0xf bank_mask:0xf
	v_add_f32_e32 v4, v4, v5
	ds_bpermute_b32 v4, v18, v4
	s_and_saveexec_b64 s[0:1], vcc
	s_cbranch_execz .LBB105_10
; %bb.23:
	v_cvt_f32_u32_e32 v5, s16
	s_mov_b32 s11, 0x20000
	s_waitcnt lgkmcnt(0)
	v_div_scale_f32 v6, s[0:1], v5, v5, v4
	v_rcp_f32_e32 v7, v6
	v_div_scale_f32 v17, vcc, v4, v5, v4
	s_mov_b32 s0, 0x800000
	v_fma_f32 v18, -v6, v7, 1.0
	v_fmac_f32_e32 v7, v18, v7
	v_mul_f32_e32 v18, v17, v7
	v_fma_f32 v19, -v6, v18, v17
	v_fmac_f32_e32 v18, v19, v7
	v_fma_f32 v6, -v6, v18, v17
	v_div_fmas_f32 v6, v6, v7, v18
	v_div_fixup_f32 v4, v6, v5, v4
	v_add_f32_e32 v4, s13, v4
	v_mul_f32_e32 v5, 0x4b800000, v4
	v_cmp_gt_f32_e32 vcc, s0, v4
	v_cndmask_b32_e32 v4, v4, v5, vcc
	v_rsq_f32_e32 v4, v4
	s_waitcnt vmcnt(0)
	v_cvt_f32_f16_sdwa v5, v0 dst_sel:DWORD dst_unused:UNUSED_PAD src0_sel:WORD_1
	v_cvt_f32_f16_sdwa v19, v1 dst_sel:DWORD dst_unused:UNUSED_PAD src0_sel:WORD_1
	v_cvt_f32_f16_e32 v18, v1
	v_mul_f32_e32 v6, 0x45800000, v4
	v_cndmask_b32_e32 v6, v4, v6, vcc
	v_cvt_f32_f16_e32 v4, v0
	v_mov_b32_e32 v7, v6
	;;#ASMSTART
	v_pk_mul_f32 v[8:9], v[8:9], v[6:7]
	;;#ASMEND
	;;#ASMSTART
	v_pk_mul_f32 v[12:13], v[12:13], v[6:7]
	;;#ASMEND
	v_pk_add_f32 v[4:5], v[4:5], 1.0 op_sel_hi:[1,0]
	;;#ASMSTART
	v_pk_mul_f32 v[14:15], v[14:15], v[6:7]
	;;#ASMEND
	;;#ASMSTART
	v_pk_mul_f32 v[0:1], v[10:11], v[6:7]
	;;#ASMEND
	;; [unrolled: 3-line block ×3, first 2 shown]
	v_cvt_f32_f16_sdwa v9, v2 dst_sel:DWORD dst_unused:UNUSED_PAD src0_sel:WORD_1
	v_cvt_f32_f16_e32 v8, v2
	v_cvt_f32_f16_sdwa v11, v3 dst_sel:DWORD dst_unused:UNUSED_PAD src0_sel:WORD_1
	v_cvt_f32_f16_e32 v10, v3
	v_pk_add_f32 v[6:7], v[18:19], 1.0 op_sel_hi:[1,0]
	;;#ASMSTART
	v_pk_mul_f32 v[2:3], v[12:13], v[6:7]
	;;#ASMEND
	v_pk_add_f32 v[6:7], v[8:9], 1.0 op_sel_hi:[1,0]
	;;#ASMSTART
	v_pk_mul_f32 v[6:7], v[14:15], v[6:7]
	;;#ASMEND
	;; [unrolled: 4-line block ×3, first 2 shown]
	s_mul_hi_i32 s1, s15, s6
	s_mul_i32 s0, s15, s6
	v_cvt_f16_f32_e32 v4, v4
	v_cvt_f16_f32_e32 v5, v5
	;; [unrolled: 1-line block ×8, first 2 shown]
	s_lshl_b64 s[0:1], s[0:1], 1
	s_add_u32 s8, s2, s0
	s_addc_u32 s0, s3, s1
	s_and_b32 s9, s0, 0xffff
	v_pack_b32_f16 v0, v4, v5
	v_pack_b32_f16 v1, v2, v3
	;; [unrolled: 1-line block ×4, first 2 shown]
	buffer_store_dwordx4 v[0:3], v16, s[8:11], 0 offen
	;;#ASMSTART
	s_nop 0
	;;#ASMEND
	s_endpgm
	.section	.rodata,"a",@progbits
	.p2align	6, 0x0
	.amdhsa_kernel _ZN5aiter35fused_qk_rmsnorm_group_quant_kernelIDF16_DB8_Li64ELi8ELi16ELb0ELb1ELb1ELb1ELb0ELb0EEEvPT0_PvPT_S6_S6_PKS5_S8_S8_S8_S8_ffiiiiiiiiiiiii
		.amdhsa_group_segment_fixed_size 0
		.amdhsa_private_segment_fixed_size 0
		.amdhsa_kernarg_size 400
		.amdhsa_user_sgpr_count 6
		.amdhsa_user_sgpr_private_segment_buffer 1
		.amdhsa_user_sgpr_dispatch_ptr 0
		.amdhsa_user_sgpr_queue_ptr 0
		.amdhsa_user_sgpr_kernarg_segment_ptr 1
		.amdhsa_user_sgpr_dispatch_id 0
		.amdhsa_user_sgpr_flat_scratch_init 0
		.amdhsa_user_sgpr_kernarg_preload_length 0
		.amdhsa_user_sgpr_kernarg_preload_offset 0
		.amdhsa_user_sgpr_private_segment_size 0
		.amdhsa_uses_dynamic_stack 0
		.amdhsa_system_sgpr_private_segment_wavefront_offset 0
		.amdhsa_system_sgpr_workgroup_id_x 1
		.amdhsa_system_sgpr_workgroup_id_y 1
		.amdhsa_system_sgpr_workgroup_id_z 0
		.amdhsa_system_sgpr_workgroup_info 0
		.amdhsa_system_vgpr_workitem_id 0
		.amdhsa_next_free_vgpr 23
		.amdhsa_next_free_sgpr 32
		.amdhsa_accum_offset 24
		.amdhsa_reserve_vcc 1
		.amdhsa_reserve_flat_scratch 0
		.amdhsa_float_round_mode_32 0
		.amdhsa_float_round_mode_16_64 0
		.amdhsa_float_denorm_mode_32 3
		.amdhsa_float_denorm_mode_16_64 3
		.amdhsa_dx10_clamp 1
		.amdhsa_ieee_mode 1
		.amdhsa_fp16_overflow 0
		.amdhsa_tg_split 0
		.amdhsa_exception_fp_ieee_invalid_op 0
		.amdhsa_exception_fp_denorm_src 0
		.amdhsa_exception_fp_ieee_div_zero 0
		.amdhsa_exception_fp_ieee_overflow 0
		.amdhsa_exception_fp_ieee_underflow 0
		.amdhsa_exception_fp_ieee_inexact 0
		.amdhsa_exception_int_div_zero 0
	.end_amdhsa_kernel
	.section	.text._ZN5aiter35fused_qk_rmsnorm_group_quant_kernelIDF16_DB8_Li64ELi8ELi16ELb0ELb1ELb1ELb1ELb0ELb0EEEvPT0_PvPT_S6_S6_PKS5_S8_S8_S8_S8_ffiiiiiiiiiiiii,"axG",@progbits,_ZN5aiter35fused_qk_rmsnorm_group_quant_kernelIDF16_DB8_Li64ELi8ELi16ELb0ELb1ELb1ELb1ELb0ELb0EEEvPT0_PvPT_S6_S6_PKS5_S8_S8_S8_S8_ffiiiiiiiiiiiii,comdat
.Lfunc_end105:
	.size	_ZN5aiter35fused_qk_rmsnorm_group_quant_kernelIDF16_DB8_Li64ELi8ELi16ELb0ELb1ELb1ELb1ELb0ELb0EEEvPT0_PvPT_S6_S6_PKS5_S8_S8_S8_S8_ffiiiiiiiiiiiii, .Lfunc_end105-_ZN5aiter35fused_qk_rmsnorm_group_quant_kernelIDF16_DB8_Li64ELi8ELi16ELb0ELb1ELb1ELb1ELb0ELb0EEEvPT0_PvPT_S6_S6_PKS5_S8_S8_S8_S8_ffiiiiiiiiiiiii
                                        ; -- End function
	.section	.AMDGPU.csdata,"",@progbits
; Kernel info:
; codeLenInByte = 1976
; NumSgprs: 36
; NumVgprs: 23
; NumAgprs: 0
; TotalNumVgprs: 23
; ScratchSize: 0
; MemoryBound: 0
; FloatMode: 240
; IeeeMode: 1
; LDSByteSize: 0 bytes/workgroup (compile time only)
; SGPRBlocks: 4
; VGPRBlocks: 2
; NumSGPRsForWavesPerEU: 36
; NumVGPRsForWavesPerEU: 23
; AccumOffset: 24
; Occupancy: 8
; WaveLimiterHint : 0
; COMPUTE_PGM_RSRC2:SCRATCH_EN: 0
; COMPUTE_PGM_RSRC2:USER_SGPR: 6
; COMPUTE_PGM_RSRC2:TRAP_HANDLER: 0
; COMPUTE_PGM_RSRC2:TGID_X_EN: 1
; COMPUTE_PGM_RSRC2:TGID_Y_EN: 1
; COMPUTE_PGM_RSRC2:TGID_Z_EN: 0
; COMPUTE_PGM_RSRC2:TIDIG_COMP_CNT: 0
; COMPUTE_PGM_RSRC3_GFX90A:ACCUM_OFFSET: 5
; COMPUTE_PGM_RSRC3_GFX90A:TG_SPLIT: 0
	.section	.text._ZN5aiter35fused_qk_rmsnorm_group_quant_kernelItDB8_Li64ELi8ELi16ELb0ELb1ELb1ELb1ELb0ELb0EEEvPT0_PvPT_S6_S6_PKS5_S8_S8_S8_S8_ffiiiiiiiiiiiii,"axG",@progbits,_ZN5aiter35fused_qk_rmsnorm_group_quant_kernelItDB8_Li64ELi8ELi16ELb0ELb1ELb1ELb1ELb0ELb0EEEvPT0_PvPT_S6_S6_PKS5_S8_S8_S8_S8_ffiiiiiiiiiiiii,comdat
	.protected	_ZN5aiter35fused_qk_rmsnorm_group_quant_kernelItDB8_Li64ELi8ELi16ELb0ELb1ELb1ELb1ELb0ELb0EEEvPT0_PvPT_S6_S6_PKS5_S8_S8_S8_S8_ffiiiiiiiiiiiii ; -- Begin function _ZN5aiter35fused_qk_rmsnorm_group_quant_kernelItDB8_Li64ELi8ELi16ELb0ELb1ELb1ELb1ELb0ELb0EEEvPT0_PvPT_S6_S6_PKS5_S8_S8_S8_S8_ffiiiiiiiiiiiii
	.globl	_ZN5aiter35fused_qk_rmsnorm_group_quant_kernelItDB8_Li64ELi8ELi16ELb0ELb1ELb1ELb1ELb0ELb0EEEvPT0_PvPT_S6_S6_PKS5_S8_S8_S8_S8_ffiiiiiiiiiiiii
	.p2align	8
	.type	_ZN5aiter35fused_qk_rmsnorm_group_quant_kernelItDB8_Li64ELi8ELi16ELb0ELb1ELb1ELb1ELb0ELb0EEEvPT0_PvPT_S6_S6_PKS5_S8_S8_S8_S8_ffiiiiiiiiiiiii,@function
_ZN5aiter35fused_qk_rmsnorm_group_quant_kernelItDB8_Li64ELi8ELi16ELb0ELb1ELb1ELb1ELb0ELb0EEEvPT0_PvPT_S6_S6_PKS5_S8_S8_S8_S8_ffiiiiiiiiiiiii: ; @_ZN5aiter35fused_qk_rmsnorm_group_quant_kernelItDB8_Li64ELi8ELi16ELb0ELb1ELb1ELb1ELb0ELb0EEEvPT0_PvPT_S6_S6_PKS5_S8_S8_S8_S8_ffiiiiiiiiiiiii
; %bb.0:
	s_load_dwordx4 s[12:15], s[4:5], 0x50
	s_waitcnt lgkmcnt(0)
	s_cmp_ge_i32 s6, s14
	s_cbranch_scc1 .LBB106_8
; %bb.1:
	s_load_dwordx2 s[24:25], s[4:5], 0x30
	s_load_dwordx2 s[8:9], s[4:5], 0x48
	s_load_dwordx4 s[16:19], s[4:5], 0x60
	s_cmp_lg_u32 s7, 0
	s_cselect_b64 s[10:11], -1, 0
	s_cmp_eq_u32 s7, 0
	s_cselect_b64 vcc, -1, 0
	s_and_b64 s[0:1], vcc, exec
	s_waitcnt lgkmcnt(0)
	s_cselect_b32 s7, s15, s16
	s_add_i32 s0, s7, 1
	s_lshr_b32 s1, s0, 31
	s_add_i32 s0, s0, s1
	s_lshl_b32 s0, s0, 1
	v_lshlrev_b32_e32 v1, 3, v0
	s_and_b32 s22, s0, -4
	v_cmp_gt_i32_e64 s[0:1], s7, v1
	v_mov_b32_e32 v2, 0
	v_mov_b32_e32 v3, 0
	;; [unrolled: 1-line block ×8, first 2 shown]
	s_and_saveexec_b64 s[2:3], s[0:1]
	s_cbranch_execz .LBB106_3
; %bb.2:
	s_load_dwordx2 s[14:15], s[4:5], 0x28
	s_load_dwordx2 s[20:21], s[4:5], 0x40
	s_and_b64 s[26:27], vcc, exec
	s_cselect_b32 s17, s17, s18
	v_lshlrev_b32_e32 v10, 4, v0
	s_waitcnt lgkmcnt(0)
	s_cselect_b32 s19, s15, s25
	s_cselect_b32 s23, s14, s24
	s_mul_hi_i32 s15, s17, s6
	s_mul_i32 s14, s17, s6
	s_lshl_b64 s[14:15], s[14:15], 1
	s_add_u32 s28, s23, s14
	s_addc_u32 s17, s19, s15
	s_and_b64 s[14:15], vcc, exec
	s_mov_b32 s23, 0x20000
	s_cselect_b32 s20, s20, s8
	s_cselect_b32 s14, s21, s9
	s_and_b32 s29, s17, 0xffff
	s_mov_b32 s30, s22
	s_mov_b32 s31, s23
	s_and_b32 s21, s14, 0xffff
	buffer_load_dwordx4 v[6:9], v10, s[28:31], 0 offen glc slc
	buffer_load_dwordx4 v[2:5], v10, s[20:23], 0 offen
.LBB106_3:
	s_or_b64 exec, exec, s[2:3]
	s_waitcnt vmcnt(1)
	v_cvt_f32_u32_sdwa v14, v6 dst_sel:DWORD dst_unused:UNUSED_PAD src0_sel:WORD_0
	v_cvt_f32_u32_sdwa v15, v6 dst_sel:DWORD dst_unused:UNUSED_PAD src0_sel:WORD_1
	v_cvt_f32_u32_sdwa v6, v9 dst_sel:DWORD dst_unused:UNUSED_PAD src0_sel:WORD_1
	v_cvt_f32_u32_sdwa v9, v9 dst_sel:DWORD dst_unused:UNUSED_PAD src0_sel:WORD_0
	v_cvt_f32_u32_sdwa v10, v8 dst_sel:DWORD dst_unused:UNUSED_PAD src0_sel:WORD_1
	v_cvt_f32_u32_sdwa v8, v8 dst_sel:DWORD dst_unused:UNUSED_PAD src0_sel:WORD_0
	v_cvt_f32_u32_sdwa v12, v7 dst_sel:DWORD dst_unused:UNUSED_PAD src0_sel:WORD_0
	v_cvt_f32_u32_sdwa v13, v7 dst_sel:DWORD dst_unused:UNUSED_PAD src0_sel:WORD_1
	v_cndmask_b32_e64 v7, 0, v6, s[0:1]
	v_cndmask_b32_e64 v6, 0, v9, s[0:1]
	;; [unrolled: 1-line block ×6, first 2 shown]
	v_mul_f32_e32 v14, v9, v9
	v_cndmask_b32_e64 v12, 0, v12, s[0:1]
	v_fmac_f32_e32 v14, v8, v8
	v_cndmask_b32_e64 v13, 0, v13, s[0:1]
	v_fmac_f32_e32 v14, v12, v12
	v_fmac_f32_e32 v14, v13, v13
	;; [unrolled: 1-line block ×6, first 2 shown]
	v_bfrev_b32_e32 v16, 0.5
	s_load_dwordx2 s[2:3], s[4:5], 0x18
	v_mov_b32_dpp v15, v14 quad_perm:[1,0,3,2] row_mask:0xf bank_mask:0xf
	v_add_f32_e32 v14, v14, v15
	s_nop 1
	v_mov_b32_dpp v15, v14 quad_perm:[2,3,0,1] row_mask:0xf bank_mask:0xf
	v_add_f32_e32 v14, v14, v15
	s_nop 1
	v_mov_b32_dpp v15, v14 row_half_mirror row_mask:0xf bank_mask:0xf
	v_add_f32_e32 v14, v14, v15
	s_nop 1
	v_mov_b32_dpp v15, v14 row_mirror row_mask:0xf bank_mask:0xf
	v_add_f32_e32 v14, v14, v15
	s_nop 1
	v_mov_b32_dpp v15, v14 row_bcast:15 row_mask:0xf bank_mask:0xf
	v_add_f32_e32 v14, v14, v15
	s_nop 1
	v_mov_b32_dpp v15, v14 row_bcast:31 row_mask:0xf bank_mask:0xf
	v_add_f32_e32 v15, v14, v15
	v_mbcnt_lo_u32_b32 v14, -1, 0
	v_mbcnt_hi_u32_b32 v14, -1, v14
	v_lshl_or_b32 v14, v14, 2, v16
	ds_bpermute_b32 v15, v14, v15
	s_and_saveexec_b64 s[14:15], s[0:1]
	s_cbranch_execz .LBB106_5
; %bb.4:
	v_cvt_f32_u32_e32 v16, s7
	v_mov_b32_e32 v17, s13
	v_mov_b32_e32 v18, s12
	v_cndmask_b32_e32 v17, v17, v18, vcc
	s_waitcnt lgkmcnt(0)
	v_div_scale_f32 v19, s[20:21], v16, v16, v15
	v_rcp_f32_e32 v20, v19
	v_div_scale_f32 v18, vcc, v15, v16, v15
	s_mov_b32 s7, 0x800000
	v_fma_f32 v21, -v19, v20, 1.0
	v_fmac_f32_e32 v20, v21, v20
	v_mul_f32_e32 v21, v18, v20
	v_fma_f32 v22, -v19, v21, v18
	v_fmac_f32_e32 v21, v22, v20
	v_fma_f32 v18, -v19, v21, v18
	v_div_fmas_f32 v18, v18, v20, v21
	v_div_fixup_f32 v15, v18, v16, v15
	v_add_f32_e32 v15, v17, v15
	v_mul_f32_e32 v16, 0x4b800000, v15
	v_cmp_gt_f32_e32 vcc, s7, v15
	v_cndmask_b32_e32 v15, v15, v16, vcc
	v_rsq_f32_e32 v15, v15
	s_waitcnt vmcnt(0)
	v_cvt_f32_u32_sdwa v19, v2 dst_sel:DWORD dst_unused:UNUSED_PAD src0_sel:WORD_1
	v_cvt_f32_u32_sdwa v18, v2 dst_sel:DWORD dst_unused:UNUSED_PAD src0_sel:WORD_0
	v_cvt_f32_u32_sdwa v21, v3 dst_sel:DWORD dst_unused:UNUSED_PAD src0_sel:WORD_1
	v_mul_f32_e32 v16, 0x45800000, v15
	v_cndmask_b32_e32 v16, v15, v16, vcc
	v_mov_b32_e32 v17, v16
	;;#ASMSTART
	v_pk_mul_f32 v[8:9], v[8:9], v[16:17]
	;;#ASMEND
	;;#ASMSTART
	v_pk_mul_f32 v[12:13], v[12:13], v[16:17]
	;;#ASMEND
	;; [unrolled: 3-line block ×3, first 2 shown]
	v_cvt_f32_u32_sdwa v20, v3 dst_sel:DWORD dst_unused:UNUSED_PAD src0_sel:WORD_0
	;;#ASMSTART
	v_pk_mul_f32 v[2:3], v[6:7], v[16:17]
	;;#ASMEND
	v_cvt_f32_u32_sdwa v17, v4 dst_sel:DWORD dst_unused:UNUSED_PAD src0_sel:WORD_1
	v_cvt_f32_u32_sdwa v16, v4 dst_sel:DWORD dst_unused:UNUSED_PAD src0_sel:WORD_0
	v_pk_add_f32 v[6:7], v[18:19], 1.0 op_sel_hi:[1,0]
	v_cvt_f32_u32_sdwa v19, v5 dst_sel:DWORD dst_unused:UNUSED_PAD src0_sel:WORD_1
	v_cvt_f32_u32_sdwa v18, v5 dst_sel:DWORD dst_unused:UNUSED_PAD src0_sel:WORD_0
	;;#ASMSTART
	v_pk_mul_f32 v[8:9], v[8:9], v[6:7]
	;;#ASMEND
	v_pk_add_f32 v[6:7], v[20:21], 1.0 op_sel_hi:[1,0]
	v_pk_add_f32 v[4:5], v[16:17], 1.0 op_sel_hi:[1,0]
	;;#ASMSTART
	v_pk_mul_f32 v[12:13], v[12:13], v[6:7]
	;;#ASMEND
	;;#ASMSTART
	v_pk_mul_f32 v[10:11], v[10:11], v[4:5]
	;;#ASMEND
	v_pk_add_f32 v[4:5], v[18:19], 1.0 op_sel_hi:[1,0]
	;;#ASMSTART
	v_pk_mul_f32 v[6:7], v[2:3], v[4:5]
	;;#ASMEND
.LBB106_5:
	s_or_b64 exec, exec, s[14:15]
	s_load_dwordx2 s[14:15], s[4:5], 0x7c
	s_mov_b64 s[20:21], -1
	s_and_b64 vcc, exec, s[10:11]
	s_cbranch_vccnz .LBB106_9
; %bb.6:
	s_andn2_b64 vcc, exec, s[20:21]
	s_cbranch_vccz .LBB106_12
.LBB106_7:
	s_cmp_lt_i32 s16, 1
	s_cbranch_scc0 .LBB106_15
.LBB106_8:
	s_endpgm
.LBB106_9:
	s_and_saveexec_b64 s[10:11], s[0:1]
	s_cbranch_execz .LBB106_11
; %bb.10:
	s_waitcnt lgkmcnt(0)
	s_mul_hi_i32 s21, s15, s6
	s_mul_i32 s20, s15, s6
	s_lshl_b64 s[20:21], s[20:21], 1
	s_add_u32 s20, s2, s20
	s_addc_u32 s7, s3, s21
	s_and_b32 s21, s7, 0xffff
	s_mov_b32 s7, 0x7060302
	s_mov_b32 s23, 0x20000
	s_waitcnt vmcnt(0)
	v_perm_b32 v2, v9, v8, s7
	v_perm_b32 v3, v13, v12, s7
	;; [unrolled: 1-line block ×4, first 2 shown]
	v_lshlrev_b32_e32 v15, 4, v0
	buffer_store_dwordx4 v[2:5], v15, s[20:23], 0 offen
	;;#ASMSTART
	s_nop 0
	;;#ASMEND
.LBB106_11:
	s_or_b64 exec, exec, s[10:11]
	s_cbranch_execnz .LBB106_7
.LBB106_12:
	s_and_saveexec_b64 s[10:11], s[0:1]
	s_cbranch_execz .LBB106_14
; %bb.13:
	s_load_dwordx2 s[0:1], s[4:5], 0x10
	s_waitcnt lgkmcnt(0)
	s_mul_hi_i32 s21, s14, s6
	s_mul_i32 s20, s14, s6
	s_lshl_b64 s[20:21], s[20:21], 1
	s_mov_b32 s23, 0x20000
	s_add_u32 s20, s0, s20
	s_addc_u32 s0, s1, s21
	s_and_b32 s21, s0, 0xffff
	s_mov_b32 s0, 0x7060302
	s_waitcnt vmcnt(0)
	v_perm_b32 v2, v9, v8, s0
	v_perm_b32 v3, v13, v12, s0
	;; [unrolled: 1-line block ×4, first 2 shown]
	v_lshlrev_b32_e32 v6, 4, v0
	buffer_store_dwordx4 v[2:5], v6, s[20:23], 0 offen
	;;#ASMSTART
	s_nop 0
	;;#ASMEND
.LBB106_14:
	s_or_b64 exec, exec, s[10:11]
	s_cmp_lt_i32 s16, 1
	s_cbranch_scc1 .LBB106_8
.LBB106_15:
	s_load_dword s0, s[4:5], 0x94
	s_waitcnt lgkmcnt(0)
	s_cmp_lg_u32 s0, 1
	s_cbranch_scc1 .LBB106_8
; %bb.16:
	s_lshl_b32 s0, s16, 1
	s_add_i32 s0, s0, 2
	v_cmp_gt_u32_e32 vcc, s16, v1
	s_and_b32 s10, s0, -4
	s_waitcnt vmcnt(0)
	v_mov_b32_e32 v4, 0
	v_lshlrev_b32_e32 v12, 4, v0
	v_mov_b32_e32 v5, 0
	v_mov_b32_e32 v6, 0
	;; [unrolled: 1-line block ×7, first 2 shown]
	s_barrier
	s_and_saveexec_b64 s[0:1], vcc
	s_cbranch_execz .LBB106_18
; %bb.17:
	s_mul_hi_i32 s5, s18, s6
	s_mul_i32 s4, s18, s6
	s_and_b32 s9, s9, 0xffff
	s_lshl_b64 s[4:5], s[4:5], 1
	s_add_u32 s20, s24, s4
	s_mov_b32 s11, 0x20000
	s_addc_u32 s4, s25, s5
	s_and_b32 s21, s4, 0xffff
	s_mov_b32 s22, s10
	s_mov_b32 s23, s11
	buffer_load_dwordx4 v[4:7], v12, s[20:23], 0 offen glc slc
	buffer_load_dwordx4 v[0:3], v12, s[8:11], 0 offen
.LBB106_18:
	s_or_b64 exec, exec, s[0:1]
	s_waitcnt vmcnt(1)
	v_cvt_f32_u32_sdwa v11, v4 dst_sel:DWORD dst_unused:UNUSED_PAD src0_sel:WORD_1
	v_cvt_f32_u32_sdwa v10, v4 dst_sel:DWORD dst_unused:UNUSED_PAD src0_sel:WORD_0
	v_cvt_f32_u32_sdwa v4, v7 dst_sel:DWORD dst_unused:UNUSED_PAD src0_sel:WORD_1
	v_cvt_f32_u32_sdwa v7, v7 dst_sel:DWORD dst_unused:UNUSED_PAD src0_sel:WORD_0
	;; [unrolled: 2-line block ×4, first 2 shown]
	v_cndmask_b32_e32 v11, 0, v11, vcc
	v_cndmask_b32_e32 v5, 0, v4, vcc
	;; [unrolled: 1-line block ×5, first 2 shown]
	v_mul_f32_e32 v13, v11, v11
	v_cndmask_b32_e32 v8, 0, v8, vcc
	v_fmac_f32_e32 v13, v10, v10
	v_cndmask_b32_e32 v9, 0, v9, vcc
	v_fmac_f32_e32 v13, v8, v8
	;; [unrolled: 2-line block ×3, first 2 shown]
	v_fmac_f32_e32 v13, v6, v6
	v_fmac_f32_e32 v13, v7, v7
	;; [unrolled: 1-line block ×4, first 2 shown]
	s_nop 1
	v_mov_b32_dpp v15, v13 quad_perm:[1,0,3,2] row_mask:0xf bank_mask:0xf
	v_add_f32_e32 v13, v13, v15
	s_nop 1
	v_mov_b32_dpp v15, v13 quad_perm:[2,3,0,1] row_mask:0xf bank_mask:0xf
	v_add_f32_e32 v13, v13, v15
	s_nop 1
	v_mov_b32_dpp v15, v13 row_half_mirror row_mask:0xf bank_mask:0xf
	v_add_f32_e32 v13, v13, v15
	s_nop 1
	v_mov_b32_dpp v15, v13 row_mirror row_mask:0xf bank_mask:0xf
	v_add_f32_e32 v13, v13, v15
	s_nop 1
	v_mov_b32_dpp v15, v13 row_bcast:15 row_mask:0xf bank_mask:0xf
	v_add_f32_e32 v13, v13, v15
	s_nop 1
	v_mov_b32_dpp v15, v13 row_bcast:31 row_mask:0xf bank_mask:0xf
	v_add_f32_e32 v13, v13, v15
	ds_bpermute_b32 v13, v14, v13
	s_and_saveexec_b64 s[0:1], vcc
	s_cbranch_execz .LBB106_8
; %bb.19:
	v_cvt_f32_u32_e32 v14, s16
	s_mov_b32 s11, 0x20000
	s_waitcnt lgkmcnt(0)
	v_div_scale_f32 v15, s[0:1], v14, v14, v13
	v_rcp_f32_e32 v16, v15
	v_div_scale_f32 v17, vcc, v13, v14, v13
	s_mov_b32 s0, 0x800000
	v_fma_f32 v18, -v15, v16, 1.0
	v_fmac_f32_e32 v16, v18, v16
	v_mul_f32_e32 v18, v17, v16
	v_fma_f32 v19, -v15, v18, v17
	v_fmac_f32_e32 v18, v19, v16
	v_fma_f32 v15, -v15, v18, v17
	v_div_fmas_f32 v15, v15, v16, v18
	v_div_fixup_f32 v13, v15, v14, v13
	v_add_f32_e32 v13, s13, v13
	v_mul_f32_e32 v14, 0x4b800000, v13
	v_cmp_gt_f32_e32 vcc, s0, v13
	v_cndmask_b32_e32 v13, v13, v14, vcc
	v_rsq_f32_e32 v13, v13
	s_waitcnt vmcnt(0)
	v_cvt_f32_u32_sdwa v15, v0 dst_sel:DWORD dst_unused:UNUSED_PAD src0_sel:WORD_1
	v_cvt_f32_u32_sdwa v19, v1 dst_sel:DWORD dst_unused:UNUSED_PAD src0_sel:WORD_1
	v_cvt_f32_u32_sdwa v18, v1 dst_sel:DWORD dst_unused:UNUSED_PAD src0_sel:WORD_0
	v_mul_f32_e32 v14, 0x45800000, v13
	v_cndmask_b32_e32 v16, v13, v14, vcc
	v_cvt_f32_u32_sdwa v14, v0 dst_sel:DWORD dst_unused:UNUSED_PAD src0_sel:WORD_0
	v_mov_b32_e32 v17, v16
	;;#ASMSTART
	v_pk_mul_f32 v[10:11], v[10:11], v[16:17]
	;;#ASMEND
	;;#ASMSTART
	v_pk_mul_f32 v[8:9], v[8:9], v[16:17]
	;;#ASMEND
	;; [unrolled: 3-line block ×4, first 2 shown]
	v_pk_add_f32 v[4:5], v[14:15], 1.0 op_sel_hi:[1,0]
	v_cvt_f32_u32_sdwa v15, v2 dst_sel:DWORD dst_unused:UNUSED_PAD src0_sel:WORD_1
	v_cvt_f32_u32_sdwa v14, v2 dst_sel:DWORD dst_unused:UNUSED_PAD src0_sel:WORD_0
	v_cvt_f32_u32_sdwa v17, v3 dst_sel:DWORD dst_unused:UNUSED_PAD src0_sel:WORD_1
	v_cvt_f32_u32_sdwa v16, v3 dst_sel:DWORD dst_unused:UNUSED_PAD src0_sel:WORD_0
	s_mul_hi_i32 s1, s15, s6
	s_mul_i32 s0, s15, s6
	s_lshl_b64 s[0:1], s[0:1], 1
	s_add_u32 s8, s2, s0
	;;#ASMSTART
	v_pk_mul_f32 v[4:5], v[10:11], v[4:5]
	;;#ASMEND
	v_pk_add_f32 v[10:11], v[18:19], 1.0 op_sel_hi:[1,0]
	;;#ASMSTART
	v_pk_mul_f32 v[2:3], v[8:9], v[10:11]
	;;#ASMEND
	v_pk_add_f32 v[8:9], v[14:15], 1.0 op_sel_hi:[1,0]
	s_addc_u32 s0, s3, s1
	;;#ASMSTART
	v_pk_mul_f32 v[6:7], v[6:7], v[8:9]
	;;#ASMEND
	v_pk_add_f32 v[8:9], v[16:17], 1.0 op_sel_hi:[1,0]
	s_and_b32 s9, s0, 0xffff
	s_mov_b32 s0, 0x7060302
	;;#ASMSTART
	v_pk_mul_f32 v[8:9], v[0:1], v[8:9]
	;;#ASMEND
	v_perm_b32 v0, v5, v4, s0
	v_perm_b32 v1, v3, v2, s0
	;; [unrolled: 1-line block ×4, first 2 shown]
	buffer_store_dwordx4 v[0:3], v12, s[8:11], 0 offen
	;;#ASMSTART
	s_nop 0
	;;#ASMEND
	s_endpgm
	.section	.rodata,"a",@progbits
	.p2align	6, 0x0
	.amdhsa_kernel _ZN5aiter35fused_qk_rmsnorm_group_quant_kernelItDB8_Li64ELi8ELi16ELb0ELb1ELb1ELb1ELb0ELb0EEEvPT0_PvPT_S6_S6_PKS5_S8_S8_S8_S8_ffiiiiiiiiiiiii
		.amdhsa_group_segment_fixed_size 0
		.amdhsa_private_segment_fixed_size 0
		.amdhsa_kernarg_size 400
		.amdhsa_user_sgpr_count 6
		.amdhsa_user_sgpr_private_segment_buffer 1
		.amdhsa_user_sgpr_dispatch_ptr 0
		.amdhsa_user_sgpr_queue_ptr 0
		.amdhsa_user_sgpr_kernarg_segment_ptr 1
		.amdhsa_user_sgpr_dispatch_id 0
		.amdhsa_user_sgpr_flat_scratch_init 0
		.amdhsa_user_sgpr_kernarg_preload_length 0
		.amdhsa_user_sgpr_kernarg_preload_offset 0
		.amdhsa_user_sgpr_private_segment_size 0
		.amdhsa_uses_dynamic_stack 0
		.amdhsa_system_sgpr_private_segment_wavefront_offset 0
		.amdhsa_system_sgpr_workgroup_id_x 1
		.amdhsa_system_sgpr_workgroup_id_y 1
		.amdhsa_system_sgpr_workgroup_id_z 0
		.amdhsa_system_sgpr_workgroup_info 0
		.amdhsa_system_vgpr_workitem_id 0
		.amdhsa_next_free_vgpr 23
		.amdhsa_next_free_sgpr 32
		.amdhsa_accum_offset 24
		.amdhsa_reserve_vcc 1
		.amdhsa_reserve_flat_scratch 0
		.amdhsa_float_round_mode_32 0
		.amdhsa_float_round_mode_16_64 0
		.amdhsa_float_denorm_mode_32 3
		.amdhsa_float_denorm_mode_16_64 3
		.amdhsa_dx10_clamp 1
		.amdhsa_ieee_mode 1
		.amdhsa_fp16_overflow 0
		.amdhsa_tg_split 0
		.amdhsa_exception_fp_ieee_invalid_op 0
		.amdhsa_exception_fp_denorm_src 0
		.amdhsa_exception_fp_ieee_div_zero 0
		.amdhsa_exception_fp_ieee_overflow 0
		.amdhsa_exception_fp_ieee_underflow 0
		.amdhsa_exception_fp_ieee_inexact 0
		.amdhsa_exception_int_div_zero 0
	.end_amdhsa_kernel
	.section	.text._ZN5aiter35fused_qk_rmsnorm_group_quant_kernelItDB8_Li64ELi8ELi16ELb0ELb1ELb1ELb1ELb0ELb0EEEvPT0_PvPT_S6_S6_PKS5_S8_S8_S8_S8_ffiiiiiiiiiiiii,"axG",@progbits,_ZN5aiter35fused_qk_rmsnorm_group_quant_kernelItDB8_Li64ELi8ELi16ELb0ELb1ELb1ELb1ELb0ELb0EEEvPT0_PvPT_S6_S6_PKS5_S8_S8_S8_S8_ffiiiiiiiiiiiii,comdat
.Lfunc_end106:
	.size	_ZN5aiter35fused_qk_rmsnorm_group_quant_kernelItDB8_Li64ELi8ELi16ELb0ELb1ELb1ELb1ELb0ELb0EEEvPT0_PvPT_S6_S6_PKS5_S8_S8_S8_S8_ffiiiiiiiiiiiii, .Lfunc_end106-_ZN5aiter35fused_qk_rmsnorm_group_quant_kernelItDB8_Li64ELi8ELi16ELb0ELb1ELb1ELb1ELb0ELb0EEEvPT0_PvPT_S6_S6_PKS5_S8_S8_S8_S8_ffiiiiiiiiiiiii
                                        ; -- End function
	.section	.AMDGPU.csdata,"",@progbits
; Kernel info:
; codeLenInByte = 1968
; NumSgprs: 36
; NumVgprs: 23
; NumAgprs: 0
; TotalNumVgprs: 23
; ScratchSize: 0
; MemoryBound: 0
; FloatMode: 240
; IeeeMode: 1
; LDSByteSize: 0 bytes/workgroup (compile time only)
; SGPRBlocks: 4
; VGPRBlocks: 2
; NumSGPRsForWavesPerEU: 36
; NumVGPRsForWavesPerEU: 23
; AccumOffset: 24
; Occupancy: 8
; WaveLimiterHint : 0
; COMPUTE_PGM_RSRC2:SCRATCH_EN: 0
; COMPUTE_PGM_RSRC2:USER_SGPR: 6
; COMPUTE_PGM_RSRC2:TRAP_HANDLER: 0
; COMPUTE_PGM_RSRC2:TGID_X_EN: 1
; COMPUTE_PGM_RSRC2:TGID_Y_EN: 1
; COMPUTE_PGM_RSRC2:TGID_Z_EN: 0
; COMPUTE_PGM_RSRC2:TIDIG_COMP_CNT: 0
; COMPUTE_PGM_RSRC3_GFX90A:ACCUM_OFFSET: 5
; COMPUTE_PGM_RSRC3_GFX90A:TG_SPLIT: 0
	.section	.text._ZN5aiter35fused_qk_rmsnorm_group_quant_kernelIDF16_N4opus5fp4_tELi64ELi8ELi16ELb0ELb1ELb1ELb1ELb0ELb0EEEvPT0_PvPT_S7_S7_PKS6_S9_S9_S9_S9_ffiiiiiiiiiiiii,"axG",@progbits,_ZN5aiter35fused_qk_rmsnorm_group_quant_kernelIDF16_N4opus5fp4_tELi64ELi8ELi16ELb0ELb1ELb1ELb1ELb0ELb0EEEvPT0_PvPT_S7_S7_PKS6_S9_S9_S9_S9_ffiiiiiiiiiiiii,comdat
	.protected	_ZN5aiter35fused_qk_rmsnorm_group_quant_kernelIDF16_N4opus5fp4_tELi64ELi8ELi16ELb0ELb1ELb1ELb1ELb0ELb0EEEvPT0_PvPT_S7_S7_PKS6_S9_S9_S9_S9_ffiiiiiiiiiiiii ; -- Begin function _ZN5aiter35fused_qk_rmsnorm_group_quant_kernelIDF16_N4opus5fp4_tELi64ELi8ELi16ELb0ELb1ELb1ELb1ELb0ELb0EEEvPT0_PvPT_S7_S7_PKS6_S9_S9_S9_S9_ffiiiiiiiiiiiii
	.globl	_ZN5aiter35fused_qk_rmsnorm_group_quant_kernelIDF16_N4opus5fp4_tELi64ELi8ELi16ELb0ELb1ELb1ELb1ELb0ELb0EEEvPT0_PvPT_S7_S7_PKS6_S9_S9_S9_S9_ffiiiiiiiiiiiii
	.p2align	8
	.type	_ZN5aiter35fused_qk_rmsnorm_group_quant_kernelIDF16_N4opus5fp4_tELi64ELi8ELi16ELb0ELb1ELb1ELb1ELb0ELb0EEEvPT0_PvPT_S7_S7_PKS6_S9_S9_S9_S9_ffiiiiiiiiiiiii,@function
_ZN5aiter35fused_qk_rmsnorm_group_quant_kernelIDF16_N4opus5fp4_tELi64ELi8ELi16ELb0ELb1ELb1ELb1ELb0ELb0EEEvPT0_PvPT_S7_S7_PKS6_S9_S9_S9_S9_ffiiiiiiiiiiiii: ; @_ZN5aiter35fused_qk_rmsnorm_group_quant_kernelIDF16_N4opus5fp4_tELi64ELi8ELi16ELb0ELb1ELb1ELb1ELb0ELb0EEEvPT0_PvPT_S7_S7_PKS6_S9_S9_S9_S9_ffiiiiiiiiiiiii
; %bb.0:
	s_load_dwordx4 s[12:15], s[4:5], 0x50
	s_waitcnt lgkmcnt(0)
	s_cmp_ge_i32 s6, s14
	s_cbranch_scc1 .LBB107_10
; %bb.1:
	s_load_dwordx2 s[24:25], s[4:5], 0x30
	s_load_dwordx2 s[8:9], s[4:5], 0x48
	s_load_dwordx4 s[16:19], s[4:5], 0x60
	s_cmp_lg_u32 s7, 0
	s_cselect_b64 s[10:11], -1, 0
	s_cmp_eq_u32 s7, 0
	s_cselect_b64 vcc, -1, 0
	s_and_b64 s[0:1], vcc, exec
	s_waitcnt lgkmcnt(0)
	s_cselect_b32 s7, s15, s16
	s_add_i32 s0, s7, 1
	s_lshr_b32 s1, s0, 31
	s_add_i32 s0, s0, s1
	s_lshl_b32 s0, s0, 1
	v_lshlrev_b32_e32 v1, 3, v0
	s_and_b32 s22, s0, -4
	v_cmp_gt_i32_e64 s[0:1], s7, v1
	v_mov_b32_e32 v10, 0
	v_mov_b32_e32 v2, 0
	;; [unrolled: 1-line block ×9, first 2 shown]
	s_and_saveexec_b64 s[2:3], s[0:1]
	s_cbranch_execz .LBB107_3
; %bb.2:
	s_load_dwordx2 s[14:15], s[4:5], 0x28
	s_load_dwordx2 s[20:21], s[4:5], 0x40
	s_and_b64 s[26:27], vcc, exec
	s_cselect_b32 s17, s17, s18
	v_lshlrev_b32_e32 v11, 4, v0
	s_waitcnt lgkmcnt(0)
	s_cselect_b32 s19, s15, s25
	s_cselect_b32 s23, s14, s24
	s_mul_hi_i32 s15, s17, s6
	s_mul_i32 s14, s17, s6
	s_lshl_b64 s[14:15], s[14:15], 1
	s_add_u32 s28, s23, s14
	s_addc_u32 s17, s19, s15
	s_and_b64 s[14:15], vcc, exec
	s_mov_b32 s23, 0x20000
	s_cselect_b32 s20, s20, s8
	s_cselect_b32 s14, s21, s9
	s_and_b32 s29, s17, 0xffff
	s_mov_b32 s30, s22
	s_mov_b32 s31, s23
	s_and_b32 s21, s14, 0xffff
	buffer_load_dwordx4 v[6:9], v11, s[28:31], 0 offen glc slc
	buffer_load_dwordx4 v[2:5], v11, s[20:23], 0 offen
.LBB107_3:
	s_or_b64 exec, exec, s[2:3]
	v_mov_b32_e32 v11, 0
	v_mov_b32_e32 v14, 0
	;; [unrolled: 1-line block ×7, first 2 shown]
	s_and_saveexec_b64 s[2:3], s[0:1]
	s_cbranch_execz .LBB107_5
; %bb.4:
	s_waitcnt vmcnt(1)
	v_cvt_f32_f16_sdwa v11, v6 dst_sel:DWORD dst_unused:UNUSED_PAD src0_sel:WORD_1
	v_cvt_f32_f16_e32 v10, v6
	v_cvt_f32_f16_sdwa v15, v7 dst_sel:DWORD dst_unused:UNUSED_PAD src0_sel:WORD_1
	v_cvt_f32_f16_e32 v14, v7
	;; [unrolled: 2-line block ×4, first 2 shown]
.LBB107_5:
	s_or_b64 exec, exec, s[2:3]
	s_waitcnt vmcnt(1)
	v_mul_f32_e32 v6, v11, v11
	v_fmac_f32_e32 v6, v10, v10
	v_fmac_f32_e32 v6, v14, v14
	v_fmac_f32_e32 v6, v15, v15
	v_fmac_f32_e32 v6, v16, v16
	v_fmac_f32_e32 v6, v17, v17
	v_fmac_f32_e32 v6, v12, v12
	v_fmac_f32_e32 v6, v13, v13
	v_bfrev_b32_e32 v8, 0.5
	s_load_dwordx2 s[2:3], s[4:5], 0x18
	v_mov_b32_dpp v7, v6 quad_perm:[1,0,3,2] row_mask:0xf bank_mask:0xf
	v_add_f32_e32 v6, v6, v7
	s_nop 1
	v_mov_b32_dpp v7, v6 quad_perm:[2,3,0,1] row_mask:0xf bank_mask:0xf
	v_add_f32_e32 v6, v6, v7
	s_nop 1
	v_mov_b32_dpp v7, v6 row_half_mirror row_mask:0xf bank_mask:0xf
	v_add_f32_e32 v6, v6, v7
	s_nop 1
	v_mov_b32_dpp v7, v6 row_mirror row_mask:0xf bank_mask:0xf
	v_add_f32_e32 v6, v6, v7
	s_nop 1
	v_mov_b32_dpp v7, v6 row_bcast:15 row_mask:0xf bank_mask:0xf
	v_add_f32_e32 v6, v6, v7
	s_nop 1
	v_mov_b32_dpp v7, v6 row_bcast:31 row_mask:0xf bank_mask:0xf
	v_add_f32_e32 v6, v6, v7
	v_mbcnt_lo_u32_b32 v7, -1, 0
	v_mbcnt_hi_u32_b32 v7, -1, v7
	v_lshl_or_b32 v18, v7, 2, v8
	ds_bpermute_b32 v6, v18, v6
	s_and_saveexec_b64 s[14:15], s[0:1]
	s_cbranch_execz .LBB107_7
; %bb.6:
	v_cvt_f32_u32_e32 v7, s7
	v_mov_b32_e32 v8, s13
	v_mov_b32_e32 v9, s12
	v_cndmask_b32_e32 v8, v8, v9, vcc
	s_waitcnt lgkmcnt(0)
	v_div_scale_f32 v19, s[20:21], v7, v7, v6
	v_rcp_f32_e32 v20, v19
	v_div_scale_f32 v9, vcc, v6, v7, v6
	s_mov_b32 s7, 0x800000
	v_fma_f32 v21, -v19, v20, 1.0
	v_fmac_f32_e32 v20, v21, v20
	v_mul_f32_e32 v21, v9, v20
	v_fma_f32 v22, -v19, v21, v9
	v_fmac_f32_e32 v21, v22, v20
	v_fma_f32 v9, -v19, v21, v9
	v_div_fmas_f32 v9, v9, v20, v21
	v_div_fixup_f32 v6, v9, v7, v6
	v_add_f32_e32 v6, v8, v6
	v_mul_f32_e32 v7, 0x4b800000, v6
	v_cmp_gt_f32_e32 vcc, s7, v6
	v_cndmask_b32_e32 v6, v6, v7, vcc
	v_rsq_f32_e32 v6, v6
	s_waitcnt vmcnt(0)
	v_cvt_f32_f16_sdwa v21, v3 dst_sel:DWORD dst_unused:UNUSED_PAD src0_sel:WORD_1
	v_cvt_f32_f16_e32 v20, v3
	v_mul_f32_e32 v7, 0x45800000, v6
	v_cndmask_b32_e32 v6, v6, v7, vcc
	v_mov_b32_e32 v7, v6
	;;#ASMSTART
	v_pk_mul_f32 v[8:9], v[10:11], v[6:7]
	;;#ASMEND
	v_cvt_f32_f16_sdwa v11, v2 dst_sel:DWORD dst_unused:UNUSED_PAD src0_sel:WORD_1
	v_cvt_f32_f16_e32 v10, v2
	;;#ASMSTART
	v_pk_mul_f32 v[14:15], v[14:15], v[6:7]
	;;#ASMEND
	;;#ASMSTART
	v_pk_mul_f32 v[16:17], v[16:17], v[6:7]
	;;#ASMEND
	;; [unrolled: 3-line block ×3, first 2 shown]
	v_pk_add_f32 v[6:7], v[10:11], 1.0 op_sel_hi:[1,0]
	;;#ASMSTART
	v_pk_mul_f32 v[10:11], v[8:9], v[6:7]
	;;#ASMEND
	v_cvt_f32_f16_sdwa v9, v4 dst_sel:DWORD dst_unused:UNUSED_PAD src0_sel:WORD_1
	v_cvt_f32_f16_e32 v8, v4
	v_cvt_f32_f16_sdwa v13, v5 dst_sel:DWORD dst_unused:UNUSED_PAD src0_sel:WORD_1
	v_cvt_f32_f16_e32 v12, v5
	v_pk_add_f32 v[6:7], v[20:21], 1.0 op_sel_hi:[1,0]
	v_pk_add_f32 v[4:5], v[8:9], 1.0 op_sel_hi:[1,0]
	;;#ASMSTART
	v_pk_mul_f32 v[14:15], v[14:15], v[6:7]
	;;#ASMEND
	;;#ASMSTART
	v_pk_mul_f32 v[16:17], v[16:17], v[4:5]
	;;#ASMEND
	v_pk_add_f32 v[4:5], v[12:13], 1.0 op_sel_hi:[1,0]
	;;#ASMSTART
	v_pk_mul_f32 v[12:13], v[2:3], v[4:5]
	;;#ASMEND
.LBB107_7:
	s_or_b64 exec, exec, s[14:15]
	s_load_dwordx2 s[14:15], s[4:5], 0x7c
	s_mov_b64 s[20:21], -1
	s_and_b64 vcc, exec, s[10:11]
	s_cbranch_vccnz .LBB107_11
; %bb.8:
	s_andn2_b64 vcc, exec, s[20:21]
	s_cbranch_vccz .LBB107_14
.LBB107_9:
	s_cmp_lt_i32 s16, 1
	s_cbranch_scc0 .LBB107_17
.LBB107_10:
	s_endpgm
.LBB107_11:
	s_and_saveexec_b64 s[10:11], s[0:1]
	s_cbranch_execz .LBB107_13
; %bb.12:
	s_waitcnt lgkmcnt(0)
	s_mul_hi_i32 s21, s15, s6
	s_mul_i32 s20, s15, s6
	s_waitcnt vmcnt(0)
	v_cvt_f16_f32_e32 v2, v10
	v_cvt_f16_f32_e32 v3, v14
	v_cvt_f16_f32_e32 v4, v16
	v_cvt_f16_f32_e32 v5, v12
	v_cvt_f16_f32_e32 v6, v13
	v_cvt_f16_f32_e32 v7, v17
	v_cvt_f16_f32_e32 v8, v15
	v_cvt_f16_f32_e32 v9, v11
	s_lshl_b64 s[20:21], s[20:21], 1
	s_add_u32 s20, s2, s20
	s_addc_u32 s7, s3, s21
	s_and_b32 s21, s7, 0xffff
	s_mov_b32 s23, 0x20000
	v_pack_b32_f16 v5, v5, v6
	v_pack_b32_f16 v4, v4, v7
	;; [unrolled: 1-line block ×4, first 2 shown]
	v_lshlrev_b32_e32 v6, 4, v0
	buffer_store_dwordx4 v[2:5], v6, s[20:23], 0 offen
	;;#ASMSTART
	s_nop 0
	;;#ASMEND
.LBB107_13:
	s_or_b64 exec, exec, s[10:11]
	s_cbranch_execnz .LBB107_9
.LBB107_14:
	s_and_saveexec_b64 s[10:11], s[0:1]
	s_cbranch_execz .LBB107_16
; %bb.15:
	s_load_dwordx2 s[0:1], s[4:5], 0x10
	s_waitcnt lgkmcnt(0)
	s_mul_hi_i32 s21, s14, s6
	s_mul_i32 s20, s14, s6
	s_waitcnt vmcnt(0)
	v_cvt_f16_f32_e32 v2, v10
	v_cvt_f16_f32_e32 v3, v14
	;; [unrolled: 1-line block ×8, first 2 shown]
	s_lshl_b64 s[20:21], s[20:21], 1
	s_add_u32 s20, s0, s20
	s_addc_u32 s0, s1, s21
	s_mov_b32 s23, 0x20000
	s_and_b32 s21, s0, 0xffff
	v_pack_b32_f16 v5, v5, v6
	v_pack_b32_f16 v4, v4, v7
	;; [unrolled: 1-line block ×4, first 2 shown]
	v_lshlrev_b32_e32 v6, 4, v0
	buffer_store_dwordx4 v[2:5], v6, s[20:23], 0 offen
	;;#ASMSTART
	s_nop 0
	;;#ASMEND
.LBB107_16:
	s_or_b64 exec, exec, s[10:11]
	s_cmp_lt_i32 s16, 1
	s_cbranch_scc1 .LBB107_10
.LBB107_17:
	s_load_dword s0, s[4:5], 0x94
	s_waitcnt lgkmcnt(0)
	s_cmp_lg_u32 s0, 1
	s_cbranch_scc1 .LBB107_10
; %bb.18:
	s_lshl_b32 s0, s16, 1
	s_add_i32 s0, s0, 2
	v_cmp_gt_u32_e32 vcc, s16, v1
	s_and_b32 s10, s0, -4
	v_mov_b32_e32 v8, 0
	v_lshlrev_b32_e32 v16, 4, v0
	s_waitcnt vmcnt(0)
	v_mov_b32_e32 v4, 0
	v_mov_b32_e32 v5, 0
	;; [unrolled: 1-line block ×8, first 2 shown]
	s_barrier
	s_and_saveexec_b64 s[0:1], vcc
	s_cbranch_execz .LBB107_20
; %bb.19:
	s_mul_hi_i32 s5, s18, s6
	s_mul_i32 s4, s18, s6
	s_and_b32 s9, s9, 0xffff
	s_lshl_b64 s[4:5], s[4:5], 1
	s_add_u32 s20, s24, s4
	s_mov_b32 s11, 0x20000
	s_addc_u32 s4, s25, s5
	s_and_b32 s21, s4, 0xffff
	s_mov_b32 s22, s10
	s_mov_b32 s23, s11
	buffer_load_dwordx4 v[4:7], v16, s[20:23], 0 offen glc slc
	buffer_load_dwordx4 v[0:3], v16, s[8:11], 0 offen
.LBB107_20:
	s_or_b64 exec, exec, s[0:1]
	v_mov_b32_e32 v9, 0
	v_mov_b32_e32 v12, 0
	;; [unrolled: 1-line block ×7, first 2 shown]
	s_and_saveexec_b64 s[0:1], vcc
	s_cbranch_execz .LBB107_22
; %bb.21:
	s_waitcnt vmcnt(1)
	v_cvt_f32_f16_sdwa v9, v4 dst_sel:DWORD dst_unused:UNUSED_PAD src0_sel:WORD_1
	v_cvt_f32_f16_e32 v8, v4
	v_cvt_f32_f16_sdwa v13, v5 dst_sel:DWORD dst_unused:UNUSED_PAD src0_sel:WORD_1
	v_cvt_f32_f16_e32 v12, v5
	v_cvt_f32_f16_sdwa v15, v6 dst_sel:DWORD dst_unused:UNUSED_PAD src0_sel:WORD_1
	v_cvt_f32_f16_e32 v14, v6
	v_cvt_f32_f16_sdwa v11, v7 dst_sel:DWORD dst_unused:UNUSED_PAD src0_sel:WORD_1
	v_cvt_f32_f16_e32 v10, v7
.LBB107_22:
	s_or_b64 exec, exec, s[0:1]
	s_waitcnt vmcnt(1)
	v_mul_f32_e32 v4, v9, v9
	v_fmac_f32_e32 v4, v8, v8
	v_fmac_f32_e32 v4, v12, v12
	;; [unrolled: 1-line block ×7, first 2 shown]
	s_nop 1
	v_mov_b32_dpp v5, v4 quad_perm:[1,0,3,2] row_mask:0xf bank_mask:0xf
	v_add_f32_e32 v4, v4, v5
	s_nop 1
	v_mov_b32_dpp v5, v4 quad_perm:[2,3,0,1] row_mask:0xf bank_mask:0xf
	v_add_f32_e32 v4, v4, v5
	s_nop 1
	v_mov_b32_dpp v5, v4 row_half_mirror row_mask:0xf bank_mask:0xf
	v_add_f32_e32 v4, v4, v5
	s_nop 1
	v_mov_b32_dpp v5, v4 row_mirror row_mask:0xf bank_mask:0xf
	v_add_f32_e32 v4, v4, v5
	s_nop 1
	v_mov_b32_dpp v5, v4 row_bcast:15 row_mask:0xf bank_mask:0xf
	v_add_f32_e32 v4, v4, v5
	s_nop 1
	v_mov_b32_dpp v5, v4 row_bcast:31 row_mask:0xf bank_mask:0xf
	v_add_f32_e32 v4, v4, v5
	ds_bpermute_b32 v4, v18, v4
	s_and_saveexec_b64 s[0:1], vcc
	s_cbranch_execz .LBB107_10
; %bb.23:
	v_cvt_f32_u32_e32 v5, s16
	s_mov_b32 s11, 0x20000
	s_waitcnt lgkmcnt(0)
	v_div_scale_f32 v6, s[0:1], v5, v5, v4
	v_rcp_f32_e32 v7, v6
	v_div_scale_f32 v17, vcc, v4, v5, v4
	s_mov_b32 s0, 0x800000
	v_fma_f32 v18, -v6, v7, 1.0
	v_fmac_f32_e32 v7, v18, v7
	v_mul_f32_e32 v18, v17, v7
	v_fma_f32 v19, -v6, v18, v17
	v_fmac_f32_e32 v18, v19, v7
	v_fma_f32 v6, -v6, v18, v17
	v_div_fmas_f32 v6, v6, v7, v18
	v_div_fixup_f32 v4, v6, v5, v4
	v_add_f32_e32 v4, s13, v4
	v_mul_f32_e32 v5, 0x4b800000, v4
	v_cmp_gt_f32_e32 vcc, s0, v4
	v_cndmask_b32_e32 v4, v4, v5, vcc
	v_rsq_f32_e32 v4, v4
	s_waitcnt vmcnt(0)
	v_cvt_f32_f16_sdwa v5, v0 dst_sel:DWORD dst_unused:UNUSED_PAD src0_sel:WORD_1
	v_cvt_f32_f16_sdwa v19, v1 dst_sel:DWORD dst_unused:UNUSED_PAD src0_sel:WORD_1
	v_cvt_f32_f16_e32 v18, v1
	v_mul_f32_e32 v6, 0x45800000, v4
	v_cndmask_b32_e32 v6, v4, v6, vcc
	v_cvt_f32_f16_e32 v4, v0
	v_mov_b32_e32 v7, v6
	;;#ASMSTART
	v_pk_mul_f32 v[8:9], v[8:9], v[6:7]
	;;#ASMEND
	;;#ASMSTART
	v_pk_mul_f32 v[12:13], v[12:13], v[6:7]
	;;#ASMEND
	v_pk_add_f32 v[4:5], v[4:5], 1.0 op_sel_hi:[1,0]
	;;#ASMSTART
	v_pk_mul_f32 v[14:15], v[14:15], v[6:7]
	;;#ASMEND
	;;#ASMSTART
	v_pk_mul_f32 v[0:1], v[10:11], v[6:7]
	;;#ASMEND
	;; [unrolled: 3-line block ×3, first 2 shown]
	v_cvt_f32_f16_sdwa v9, v2 dst_sel:DWORD dst_unused:UNUSED_PAD src0_sel:WORD_1
	v_cvt_f32_f16_e32 v8, v2
	v_cvt_f32_f16_sdwa v11, v3 dst_sel:DWORD dst_unused:UNUSED_PAD src0_sel:WORD_1
	v_cvt_f32_f16_e32 v10, v3
	v_pk_add_f32 v[6:7], v[18:19], 1.0 op_sel_hi:[1,0]
	;;#ASMSTART
	v_pk_mul_f32 v[2:3], v[12:13], v[6:7]
	;;#ASMEND
	v_pk_add_f32 v[6:7], v[8:9], 1.0 op_sel_hi:[1,0]
	;;#ASMSTART
	v_pk_mul_f32 v[6:7], v[14:15], v[6:7]
	;;#ASMEND
	;; [unrolled: 4-line block ×3, first 2 shown]
	s_mul_hi_i32 s1, s15, s6
	s_mul_i32 s0, s15, s6
	v_cvt_f16_f32_e32 v4, v4
	v_cvt_f16_f32_e32 v5, v5
	;; [unrolled: 1-line block ×8, first 2 shown]
	s_lshl_b64 s[0:1], s[0:1], 1
	s_add_u32 s8, s2, s0
	s_addc_u32 s0, s3, s1
	s_and_b32 s9, s0, 0xffff
	v_pack_b32_f16 v0, v4, v5
	v_pack_b32_f16 v1, v2, v3
	;; [unrolled: 1-line block ×4, first 2 shown]
	buffer_store_dwordx4 v[0:3], v16, s[8:11], 0 offen
	;;#ASMSTART
	s_nop 0
	;;#ASMEND
	s_endpgm
	.section	.rodata,"a",@progbits
	.p2align	6, 0x0
	.amdhsa_kernel _ZN5aiter35fused_qk_rmsnorm_group_quant_kernelIDF16_N4opus5fp4_tELi64ELi8ELi16ELb0ELb1ELb1ELb1ELb0ELb0EEEvPT0_PvPT_S7_S7_PKS6_S9_S9_S9_S9_ffiiiiiiiiiiiii
		.amdhsa_group_segment_fixed_size 0
		.amdhsa_private_segment_fixed_size 0
		.amdhsa_kernarg_size 400
		.amdhsa_user_sgpr_count 6
		.amdhsa_user_sgpr_private_segment_buffer 1
		.amdhsa_user_sgpr_dispatch_ptr 0
		.amdhsa_user_sgpr_queue_ptr 0
		.amdhsa_user_sgpr_kernarg_segment_ptr 1
		.amdhsa_user_sgpr_dispatch_id 0
		.amdhsa_user_sgpr_flat_scratch_init 0
		.amdhsa_user_sgpr_kernarg_preload_length 0
		.amdhsa_user_sgpr_kernarg_preload_offset 0
		.amdhsa_user_sgpr_private_segment_size 0
		.amdhsa_uses_dynamic_stack 0
		.amdhsa_system_sgpr_private_segment_wavefront_offset 0
		.amdhsa_system_sgpr_workgroup_id_x 1
		.amdhsa_system_sgpr_workgroup_id_y 1
		.amdhsa_system_sgpr_workgroup_id_z 0
		.amdhsa_system_sgpr_workgroup_info 0
		.amdhsa_system_vgpr_workitem_id 0
		.amdhsa_next_free_vgpr 23
		.amdhsa_next_free_sgpr 32
		.amdhsa_accum_offset 24
		.amdhsa_reserve_vcc 1
		.amdhsa_reserve_flat_scratch 0
		.amdhsa_float_round_mode_32 0
		.amdhsa_float_round_mode_16_64 0
		.amdhsa_float_denorm_mode_32 3
		.amdhsa_float_denorm_mode_16_64 3
		.amdhsa_dx10_clamp 1
		.amdhsa_ieee_mode 1
		.amdhsa_fp16_overflow 0
		.amdhsa_tg_split 0
		.amdhsa_exception_fp_ieee_invalid_op 0
		.amdhsa_exception_fp_denorm_src 0
		.amdhsa_exception_fp_ieee_div_zero 0
		.amdhsa_exception_fp_ieee_overflow 0
		.amdhsa_exception_fp_ieee_underflow 0
		.amdhsa_exception_fp_ieee_inexact 0
		.amdhsa_exception_int_div_zero 0
	.end_amdhsa_kernel
	.section	.text._ZN5aiter35fused_qk_rmsnorm_group_quant_kernelIDF16_N4opus5fp4_tELi64ELi8ELi16ELb0ELb1ELb1ELb1ELb0ELb0EEEvPT0_PvPT_S7_S7_PKS6_S9_S9_S9_S9_ffiiiiiiiiiiiii,"axG",@progbits,_ZN5aiter35fused_qk_rmsnorm_group_quant_kernelIDF16_N4opus5fp4_tELi64ELi8ELi16ELb0ELb1ELb1ELb1ELb0ELb0EEEvPT0_PvPT_S7_S7_PKS6_S9_S9_S9_S9_ffiiiiiiiiiiiii,comdat
.Lfunc_end107:
	.size	_ZN5aiter35fused_qk_rmsnorm_group_quant_kernelIDF16_N4opus5fp4_tELi64ELi8ELi16ELb0ELb1ELb1ELb1ELb0ELb0EEEvPT0_PvPT_S7_S7_PKS6_S9_S9_S9_S9_ffiiiiiiiiiiiii, .Lfunc_end107-_ZN5aiter35fused_qk_rmsnorm_group_quant_kernelIDF16_N4opus5fp4_tELi64ELi8ELi16ELb0ELb1ELb1ELb1ELb0ELb0EEEvPT0_PvPT_S7_S7_PKS6_S9_S9_S9_S9_ffiiiiiiiiiiiii
                                        ; -- End function
	.section	.AMDGPU.csdata,"",@progbits
; Kernel info:
; codeLenInByte = 1976
; NumSgprs: 36
; NumVgprs: 23
; NumAgprs: 0
; TotalNumVgprs: 23
; ScratchSize: 0
; MemoryBound: 0
; FloatMode: 240
; IeeeMode: 1
; LDSByteSize: 0 bytes/workgroup (compile time only)
; SGPRBlocks: 4
; VGPRBlocks: 2
; NumSGPRsForWavesPerEU: 36
; NumVGPRsForWavesPerEU: 23
; AccumOffset: 24
; Occupancy: 8
; WaveLimiterHint : 0
; COMPUTE_PGM_RSRC2:SCRATCH_EN: 0
; COMPUTE_PGM_RSRC2:USER_SGPR: 6
; COMPUTE_PGM_RSRC2:TRAP_HANDLER: 0
; COMPUTE_PGM_RSRC2:TGID_X_EN: 1
; COMPUTE_PGM_RSRC2:TGID_Y_EN: 1
; COMPUTE_PGM_RSRC2:TGID_Z_EN: 0
; COMPUTE_PGM_RSRC2:TIDIG_COMP_CNT: 0
; COMPUTE_PGM_RSRC3_GFX90A:ACCUM_OFFSET: 5
; COMPUTE_PGM_RSRC3_GFX90A:TG_SPLIT: 0
	.section	.text._ZN5aiter35fused_qk_rmsnorm_group_quant_kernelItN4opus5fp4_tELi64ELi8ELi16ELb0ELb1ELb1ELb1ELb0ELb0EEEvPT0_PvPT_S7_S7_PKS6_S9_S9_S9_S9_ffiiiiiiiiiiiii,"axG",@progbits,_ZN5aiter35fused_qk_rmsnorm_group_quant_kernelItN4opus5fp4_tELi64ELi8ELi16ELb0ELb1ELb1ELb1ELb0ELb0EEEvPT0_PvPT_S7_S7_PKS6_S9_S9_S9_S9_ffiiiiiiiiiiiii,comdat
	.protected	_ZN5aiter35fused_qk_rmsnorm_group_quant_kernelItN4opus5fp4_tELi64ELi8ELi16ELb0ELb1ELb1ELb1ELb0ELb0EEEvPT0_PvPT_S7_S7_PKS6_S9_S9_S9_S9_ffiiiiiiiiiiiii ; -- Begin function _ZN5aiter35fused_qk_rmsnorm_group_quant_kernelItN4opus5fp4_tELi64ELi8ELi16ELb0ELb1ELb1ELb1ELb0ELb0EEEvPT0_PvPT_S7_S7_PKS6_S9_S9_S9_S9_ffiiiiiiiiiiiii
	.globl	_ZN5aiter35fused_qk_rmsnorm_group_quant_kernelItN4opus5fp4_tELi64ELi8ELi16ELb0ELb1ELb1ELb1ELb0ELb0EEEvPT0_PvPT_S7_S7_PKS6_S9_S9_S9_S9_ffiiiiiiiiiiiii
	.p2align	8
	.type	_ZN5aiter35fused_qk_rmsnorm_group_quant_kernelItN4opus5fp4_tELi64ELi8ELi16ELb0ELb1ELb1ELb1ELb0ELb0EEEvPT0_PvPT_S7_S7_PKS6_S9_S9_S9_S9_ffiiiiiiiiiiiii,@function
_ZN5aiter35fused_qk_rmsnorm_group_quant_kernelItN4opus5fp4_tELi64ELi8ELi16ELb0ELb1ELb1ELb1ELb0ELb0EEEvPT0_PvPT_S7_S7_PKS6_S9_S9_S9_S9_ffiiiiiiiiiiiii: ; @_ZN5aiter35fused_qk_rmsnorm_group_quant_kernelItN4opus5fp4_tELi64ELi8ELi16ELb0ELb1ELb1ELb1ELb0ELb0EEEvPT0_PvPT_S7_S7_PKS6_S9_S9_S9_S9_ffiiiiiiiiiiiii
; %bb.0:
	s_load_dwordx4 s[12:15], s[4:5], 0x50
	s_waitcnt lgkmcnt(0)
	s_cmp_ge_i32 s6, s14
	s_cbranch_scc1 .LBB108_8
; %bb.1:
	s_load_dwordx2 s[24:25], s[4:5], 0x30
	s_load_dwordx2 s[8:9], s[4:5], 0x48
	s_load_dwordx4 s[16:19], s[4:5], 0x60
	s_cmp_lg_u32 s7, 0
	s_cselect_b64 s[10:11], -1, 0
	s_cmp_eq_u32 s7, 0
	s_cselect_b64 vcc, -1, 0
	s_and_b64 s[0:1], vcc, exec
	s_waitcnt lgkmcnt(0)
	s_cselect_b32 s7, s15, s16
	s_add_i32 s0, s7, 1
	s_lshr_b32 s1, s0, 31
	s_add_i32 s0, s0, s1
	s_lshl_b32 s0, s0, 1
	v_lshlrev_b32_e32 v1, 3, v0
	s_and_b32 s22, s0, -4
	v_cmp_gt_i32_e64 s[0:1], s7, v1
	v_mov_b32_e32 v2, 0
	v_mov_b32_e32 v3, 0
	;; [unrolled: 1-line block ×8, first 2 shown]
	s_and_saveexec_b64 s[2:3], s[0:1]
	s_cbranch_execz .LBB108_3
; %bb.2:
	s_load_dwordx2 s[14:15], s[4:5], 0x28
	s_load_dwordx2 s[20:21], s[4:5], 0x40
	s_and_b64 s[26:27], vcc, exec
	s_cselect_b32 s17, s17, s18
	v_lshlrev_b32_e32 v10, 4, v0
	s_waitcnt lgkmcnt(0)
	s_cselect_b32 s19, s15, s25
	s_cselect_b32 s23, s14, s24
	s_mul_hi_i32 s15, s17, s6
	s_mul_i32 s14, s17, s6
	s_lshl_b64 s[14:15], s[14:15], 1
	s_add_u32 s28, s23, s14
	s_addc_u32 s17, s19, s15
	s_and_b64 s[14:15], vcc, exec
	s_mov_b32 s23, 0x20000
	s_cselect_b32 s20, s20, s8
	s_cselect_b32 s14, s21, s9
	s_and_b32 s29, s17, 0xffff
	s_mov_b32 s30, s22
	s_mov_b32 s31, s23
	s_and_b32 s21, s14, 0xffff
	buffer_load_dwordx4 v[6:9], v10, s[28:31], 0 offen glc slc
	buffer_load_dwordx4 v[2:5], v10, s[20:23], 0 offen
.LBB108_3:
	s_or_b64 exec, exec, s[2:3]
	s_waitcnt vmcnt(1)
	v_cvt_f32_u32_sdwa v14, v6 dst_sel:DWORD dst_unused:UNUSED_PAD src0_sel:WORD_0
	v_cvt_f32_u32_sdwa v15, v6 dst_sel:DWORD dst_unused:UNUSED_PAD src0_sel:WORD_1
	v_cvt_f32_u32_sdwa v6, v9 dst_sel:DWORD dst_unused:UNUSED_PAD src0_sel:WORD_1
	v_cvt_f32_u32_sdwa v9, v9 dst_sel:DWORD dst_unused:UNUSED_PAD src0_sel:WORD_0
	v_cvt_f32_u32_sdwa v10, v8 dst_sel:DWORD dst_unused:UNUSED_PAD src0_sel:WORD_1
	v_cvt_f32_u32_sdwa v8, v8 dst_sel:DWORD dst_unused:UNUSED_PAD src0_sel:WORD_0
	v_cvt_f32_u32_sdwa v12, v7 dst_sel:DWORD dst_unused:UNUSED_PAD src0_sel:WORD_0
	v_cvt_f32_u32_sdwa v13, v7 dst_sel:DWORD dst_unused:UNUSED_PAD src0_sel:WORD_1
	v_cndmask_b32_e64 v7, 0, v6, s[0:1]
	v_cndmask_b32_e64 v6, 0, v9, s[0:1]
	;; [unrolled: 1-line block ×6, first 2 shown]
	v_mul_f32_e32 v14, v9, v9
	v_cndmask_b32_e64 v12, 0, v12, s[0:1]
	v_fmac_f32_e32 v14, v8, v8
	v_cndmask_b32_e64 v13, 0, v13, s[0:1]
	v_fmac_f32_e32 v14, v12, v12
	v_fmac_f32_e32 v14, v13, v13
	;; [unrolled: 1-line block ×6, first 2 shown]
	v_bfrev_b32_e32 v16, 0.5
	s_load_dwordx2 s[2:3], s[4:5], 0x18
	v_mov_b32_dpp v15, v14 quad_perm:[1,0,3,2] row_mask:0xf bank_mask:0xf
	v_add_f32_e32 v14, v14, v15
	s_nop 1
	v_mov_b32_dpp v15, v14 quad_perm:[2,3,0,1] row_mask:0xf bank_mask:0xf
	v_add_f32_e32 v14, v14, v15
	s_nop 1
	v_mov_b32_dpp v15, v14 row_half_mirror row_mask:0xf bank_mask:0xf
	v_add_f32_e32 v14, v14, v15
	s_nop 1
	v_mov_b32_dpp v15, v14 row_mirror row_mask:0xf bank_mask:0xf
	v_add_f32_e32 v14, v14, v15
	s_nop 1
	v_mov_b32_dpp v15, v14 row_bcast:15 row_mask:0xf bank_mask:0xf
	v_add_f32_e32 v14, v14, v15
	s_nop 1
	v_mov_b32_dpp v15, v14 row_bcast:31 row_mask:0xf bank_mask:0xf
	v_add_f32_e32 v15, v14, v15
	v_mbcnt_lo_u32_b32 v14, -1, 0
	v_mbcnt_hi_u32_b32 v14, -1, v14
	v_lshl_or_b32 v14, v14, 2, v16
	ds_bpermute_b32 v15, v14, v15
	s_and_saveexec_b64 s[14:15], s[0:1]
	s_cbranch_execz .LBB108_5
; %bb.4:
	v_cvt_f32_u32_e32 v16, s7
	v_mov_b32_e32 v17, s13
	v_mov_b32_e32 v18, s12
	v_cndmask_b32_e32 v17, v17, v18, vcc
	s_waitcnt lgkmcnt(0)
	v_div_scale_f32 v19, s[20:21], v16, v16, v15
	v_rcp_f32_e32 v20, v19
	v_div_scale_f32 v18, vcc, v15, v16, v15
	s_mov_b32 s7, 0x800000
	v_fma_f32 v21, -v19, v20, 1.0
	v_fmac_f32_e32 v20, v21, v20
	v_mul_f32_e32 v21, v18, v20
	v_fma_f32 v22, -v19, v21, v18
	v_fmac_f32_e32 v21, v22, v20
	v_fma_f32 v18, -v19, v21, v18
	v_div_fmas_f32 v18, v18, v20, v21
	v_div_fixup_f32 v15, v18, v16, v15
	v_add_f32_e32 v15, v17, v15
	v_mul_f32_e32 v16, 0x4b800000, v15
	v_cmp_gt_f32_e32 vcc, s7, v15
	v_cndmask_b32_e32 v15, v15, v16, vcc
	v_rsq_f32_e32 v15, v15
	s_waitcnt vmcnt(0)
	v_cvt_f32_u32_sdwa v19, v2 dst_sel:DWORD dst_unused:UNUSED_PAD src0_sel:WORD_1
	v_cvt_f32_u32_sdwa v18, v2 dst_sel:DWORD dst_unused:UNUSED_PAD src0_sel:WORD_0
	v_cvt_f32_u32_sdwa v21, v3 dst_sel:DWORD dst_unused:UNUSED_PAD src0_sel:WORD_1
	v_mul_f32_e32 v16, 0x45800000, v15
	v_cndmask_b32_e32 v16, v15, v16, vcc
	v_mov_b32_e32 v17, v16
	;;#ASMSTART
	v_pk_mul_f32 v[8:9], v[8:9], v[16:17]
	;;#ASMEND
	;;#ASMSTART
	v_pk_mul_f32 v[12:13], v[12:13], v[16:17]
	;;#ASMEND
	;; [unrolled: 3-line block ×3, first 2 shown]
	v_cvt_f32_u32_sdwa v20, v3 dst_sel:DWORD dst_unused:UNUSED_PAD src0_sel:WORD_0
	;;#ASMSTART
	v_pk_mul_f32 v[2:3], v[6:7], v[16:17]
	;;#ASMEND
	v_cvt_f32_u32_sdwa v17, v4 dst_sel:DWORD dst_unused:UNUSED_PAD src0_sel:WORD_1
	v_cvt_f32_u32_sdwa v16, v4 dst_sel:DWORD dst_unused:UNUSED_PAD src0_sel:WORD_0
	v_pk_add_f32 v[6:7], v[18:19], 1.0 op_sel_hi:[1,0]
	v_cvt_f32_u32_sdwa v19, v5 dst_sel:DWORD dst_unused:UNUSED_PAD src0_sel:WORD_1
	v_cvt_f32_u32_sdwa v18, v5 dst_sel:DWORD dst_unused:UNUSED_PAD src0_sel:WORD_0
	;;#ASMSTART
	v_pk_mul_f32 v[8:9], v[8:9], v[6:7]
	;;#ASMEND
	v_pk_add_f32 v[6:7], v[20:21], 1.0 op_sel_hi:[1,0]
	v_pk_add_f32 v[4:5], v[16:17], 1.0 op_sel_hi:[1,0]
	;;#ASMSTART
	v_pk_mul_f32 v[12:13], v[12:13], v[6:7]
	;;#ASMEND
	;;#ASMSTART
	v_pk_mul_f32 v[10:11], v[10:11], v[4:5]
	;;#ASMEND
	v_pk_add_f32 v[4:5], v[18:19], 1.0 op_sel_hi:[1,0]
	;;#ASMSTART
	v_pk_mul_f32 v[6:7], v[2:3], v[4:5]
	;;#ASMEND
.LBB108_5:
	s_or_b64 exec, exec, s[14:15]
	s_load_dwordx2 s[14:15], s[4:5], 0x7c
	s_mov_b64 s[20:21], -1
	s_and_b64 vcc, exec, s[10:11]
	s_cbranch_vccnz .LBB108_9
; %bb.6:
	s_andn2_b64 vcc, exec, s[20:21]
	s_cbranch_vccz .LBB108_12
.LBB108_7:
	s_cmp_lt_i32 s16, 1
	s_cbranch_scc0 .LBB108_15
.LBB108_8:
	s_endpgm
.LBB108_9:
	s_and_saveexec_b64 s[10:11], s[0:1]
	s_cbranch_execz .LBB108_11
; %bb.10:
	s_waitcnt lgkmcnt(0)
	s_mul_hi_i32 s21, s15, s6
	s_mul_i32 s20, s15, s6
	s_lshl_b64 s[20:21], s[20:21], 1
	s_add_u32 s20, s2, s20
	s_addc_u32 s7, s3, s21
	s_and_b32 s21, s7, 0xffff
	s_mov_b32 s7, 0x7060302
	s_mov_b32 s23, 0x20000
	s_waitcnt vmcnt(0)
	v_perm_b32 v2, v9, v8, s7
	v_perm_b32 v3, v13, v12, s7
	;; [unrolled: 1-line block ×4, first 2 shown]
	v_lshlrev_b32_e32 v15, 4, v0
	buffer_store_dwordx4 v[2:5], v15, s[20:23], 0 offen
	;;#ASMSTART
	s_nop 0
	;;#ASMEND
.LBB108_11:
	s_or_b64 exec, exec, s[10:11]
	s_cbranch_execnz .LBB108_7
.LBB108_12:
	s_and_saveexec_b64 s[10:11], s[0:1]
	s_cbranch_execz .LBB108_14
; %bb.13:
	s_load_dwordx2 s[0:1], s[4:5], 0x10
	s_waitcnt lgkmcnt(0)
	s_mul_hi_i32 s21, s14, s6
	s_mul_i32 s20, s14, s6
	s_lshl_b64 s[20:21], s[20:21], 1
	s_mov_b32 s23, 0x20000
	s_add_u32 s20, s0, s20
	s_addc_u32 s0, s1, s21
	s_and_b32 s21, s0, 0xffff
	s_mov_b32 s0, 0x7060302
	s_waitcnt vmcnt(0)
	v_perm_b32 v2, v9, v8, s0
	v_perm_b32 v3, v13, v12, s0
	;; [unrolled: 1-line block ×4, first 2 shown]
	v_lshlrev_b32_e32 v6, 4, v0
	buffer_store_dwordx4 v[2:5], v6, s[20:23], 0 offen
	;;#ASMSTART
	s_nop 0
	;;#ASMEND
.LBB108_14:
	s_or_b64 exec, exec, s[10:11]
	s_cmp_lt_i32 s16, 1
	s_cbranch_scc1 .LBB108_8
.LBB108_15:
	s_load_dword s0, s[4:5], 0x94
	s_waitcnt lgkmcnt(0)
	s_cmp_lg_u32 s0, 1
	s_cbranch_scc1 .LBB108_8
; %bb.16:
	s_lshl_b32 s0, s16, 1
	s_add_i32 s0, s0, 2
	v_cmp_gt_u32_e32 vcc, s16, v1
	s_and_b32 s10, s0, -4
	s_waitcnt vmcnt(0)
	v_mov_b32_e32 v4, 0
	v_lshlrev_b32_e32 v12, 4, v0
	v_mov_b32_e32 v5, 0
	v_mov_b32_e32 v6, 0
	;; [unrolled: 1-line block ×7, first 2 shown]
	s_barrier
	s_and_saveexec_b64 s[0:1], vcc
	s_cbranch_execz .LBB108_18
; %bb.17:
	s_mul_hi_i32 s5, s18, s6
	s_mul_i32 s4, s18, s6
	s_and_b32 s9, s9, 0xffff
	s_lshl_b64 s[4:5], s[4:5], 1
	s_add_u32 s20, s24, s4
	s_mov_b32 s11, 0x20000
	s_addc_u32 s4, s25, s5
	s_and_b32 s21, s4, 0xffff
	s_mov_b32 s22, s10
	s_mov_b32 s23, s11
	buffer_load_dwordx4 v[4:7], v12, s[20:23], 0 offen glc slc
	buffer_load_dwordx4 v[0:3], v12, s[8:11], 0 offen
.LBB108_18:
	s_or_b64 exec, exec, s[0:1]
	s_waitcnt vmcnt(1)
	v_cvt_f32_u32_sdwa v11, v4 dst_sel:DWORD dst_unused:UNUSED_PAD src0_sel:WORD_1
	v_cvt_f32_u32_sdwa v10, v4 dst_sel:DWORD dst_unused:UNUSED_PAD src0_sel:WORD_0
	v_cvt_f32_u32_sdwa v4, v7 dst_sel:DWORD dst_unused:UNUSED_PAD src0_sel:WORD_1
	v_cvt_f32_u32_sdwa v7, v7 dst_sel:DWORD dst_unused:UNUSED_PAD src0_sel:WORD_0
	;; [unrolled: 2-line block ×4, first 2 shown]
	v_cndmask_b32_e32 v11, 0, v11, vcc
	v_cndmask_b32_e32 v5, 0, v4, vcc
	v_cndmask_b32_e32 v4, 0, v7, vcc
	v_cndmask_b32_e32 v7, 0, v13, vcc
	v_cndmask_b32_e32 v10, 0, v10, vcc
	v_mul_f32_e32 v13, v11, v11
	v_cndmask_b32_e32 v8, 0, v8, vcc
	v_fmac_f32_e32 v13, v10, v10
	v_cndmask_b32_e32 v9, 0, v9, vcc
	v_fmac_f32_e32 v13, v8, v8
	;; [unrolled: 2-line block ×3, first 2 shown]
	v_fmac_f32_e32 v13, v6, v6
	v_fmac_f32_e32 v13, v7, v7
	;; [unrolled: 1-line block ×4, first 2 shown]
	s_nop 1
	v_mov_b32_dpp v15, v13 quad_perm:[1,0,3,2] row_mask:0xf bank_mask:0xf
	v_add_f32_e32 v13, v13, v15
	s_nop 1
	v_mov_b32_dpp v15, v13 quad_perm:[2,3,0,1] row_mask:0xf bank_mask:0xf
	v_add_f32_e32 v13, v13, v15
	s_nop 1
	v_mov_b32_dpp v15, v13 row_half_mirror row_mask:0xf bank_mask:0xf
	v_add_f32_e32 v13, v13, v15
	s_nop 1
	v_mov_b32_dpp v15, v13 row_mirror row_mask:0xf bank_mask:0xf
	v_add_f32_e32 v13, v13, v15
	s_nop 1
	v_mov_b32_dpp v15, v13 row_bcast:15 row_mask:0xf bank_mask:0xf
	v_add_f32_e32 v13, v13, v15
	s_nop 1
	v_mov_b32_dpp v15, v13 row_bcast:31 row_mask:0xf bank_mask:0xf
	v_add_f32_e32 v13, v13, v15
	ds_bpermute_b32 v13, v14, v13
	s_and_saveexec_b64 s[0:1], vcc
	s_cbranch_execz .LBB108_8
; %bb.19:
	v_cvt_f32_u32_e32 v14, s16
	s_mov_b32 s11, 0x20000
	s_waitcnt lgkmcnt(0)
	v_div_scale_f32 v15, s[0:1], v14, v14, v13
	v_rcp_f32_e32 v16, v15
	v_div_scale_f32 v17, vcc, v13, v14, v13
	s_mov_b32 s0, 0x800000
	v_fma_f32 v18, -v15, v16, 1.0
	v_fmac_f32_e32 v16, v18, v16
	v_mul_f32_e32 v18, v17, v16
	v_fma_f32 v19, -v15, v18, v17
	v_fmac_f32_e32 v18, v19, v16
	v_fma_f32 v15, -v15, v18, v17
	v_div_fmas_f32 v15, v15, v16, v18
	v_div_fixup_f32 v13, v15, v14, v13
	v_add_f32_e32 v13, s13, v13
	v_mul_f32_e32 v14, 0x4b800000, v13
	v_cmp_gt_f32_e32 vcc, s0, v13
	v_cndmask_b32_e32 v13, v13, v14, vcc
	v_rsq_f32_e32 v13, v13
	s_waitcnt vmcnt(0)
	v_cvt_f32_u32_sdwa v15, v0 dst_sel:DWORD dst_unused:UNUSED_PAD src0_sel:WORD_1
	v_cvt_f32_u32_sdwa v19, v1 dst_sel:DWORD dst_unused:UNUSED_PAD src0_sel:WORD_1
	v_cvt_f32_u32_sdwa v18, v1 dst_sel:DWORD dst_unused:UNUSED_PAD src0_sel:WORD_0
	v_mul_f32_e32 v14, 0x45800000, v13
	v_cndmask_b32_e32 v16, v13, v14, vcc
	v_cvt_f32_u32_sdwa v14, v0 dst_sel:DWORD dst_unused:UNUSED_PAD src0_sel:WORD_0
	v_mov_b32_e32 v17, v16
	;;#ASMSTART
	v_pk_mul_f32 v[10:11], v[10:11], v[16:17]
	;;#ASMEND
	;;#ASMSTART
	v_pk_mul_f32 v[8:9], v[8:9], v[16:17]
	;;#ASMEND
	;; [unrolled: 3-line block ×4, first 2 shown]
	v_pk_add_f32 v[4:5], v[14:15], 1.0 op_sel_hi:[1,0]
	v_cvt_f32_u32_sdwa v15, v2 dst_sel:DWORD dst_unused:UNUSED_PAD src0_sel:WORD_1
	v_cvt_f32_u32_sdwa v14, v2 dst_sel:DWORD dst_unused:UNUSED_PAD src0_sel:WORD_0
	v_cvt_f32_u32_sdwa v17, v3 dst_sel:DWORD dst_unused:UNUSED_PAD src0_sel:WORD_1
	v_cvt_f32_u32_sdwa v16, v3 dst_sel:DWORD dst_unused:UNUSED_PAD src0_sel:WORD_0
	s_mul_hi_i32 s1, s15, s6
	s_mul_i32 s0, s15, s6
	s_lshl_b64 s[0:1], s[0:1], 1
	s_add_u32 s8, s2, s0
	;;#ASMSTART
	v_pk_mul_f32 v[4:5], v[10:11], v[4:5]
	;;#ASMEND
	v_pk_add_f32 v[10:11], v[18:19], 1.0 op_sel_hi:[1,0]
	;;#ASMSTART
	v_pk_mul_f32 v[2:3], v[8:9], v[10:11]
	;;#ASMEND
	v_pk_add_f32 v[8:9], v[14:15], 1.0 op_sel_hi:[1,0]
	s_addc_u32 s0, s3, s1
	;;#ASMSTART
	v_pk_mul_f32 v[6:7], v[6:7], v[8:9]
	;;#ASMEND
	v_pk_add_f32 v[8:9], v[16:17], 1.0 op_sel_hi:[1,0]
	s_and_b32 s9, s0, 0xffff
	s_mov_b32 s0, 0x7060302
	;;#ASMSTART
	v_pk_mul_f32 v[8:9], v[0:1], v[8:9]
	;;#ASMEND
	v_perm_b32 v0, v5, v4, s0
	v_perm_b32 v1, v3, v2, s0
	;; [unrolled: 1-line block ×4, first 2 shown]
	buffer_store_dwordx4 v[0:3], v12, s[8:11], 0 offen
	;;#ASMSTART
	s_nop 0
	;;#ASMEND
	s_endpgm
	.section	.rodata,"a",@progbits
	.p2align	6, 0x0
	.amdhsa_kernel _ZN5aiter35fused_qk_rmsnorm_group_quant_kernelItN4opus5fp4_tELi64ELi8ELi16ELb0ELb1ELb1ELb1ELb0ELb0EEEvPT0_PvPT_S7_S7_PKS6_S9_S9_S9_S9_ffiiiiiiiiiiiii
		.amdhsa_group_segment_fixed_size 0
		.amdhsa_private_segment_fixed_size 0
		.amdhsa_kernarg_size 400
		.amdhsa_user_sgpr_count 6
		.amdhsa_user_sgpr_private_segment_buffer 1
		.amdhsa_user_sgpr_dispatch_ptr 0
		.amdhsa_user_sgpr_queue_ptr 0
		.amdhsa_user_sgpr_kernarg_segment_ptr 1
		.amdhsa_user_sgpr_dispatch_id 0
		.amdhsa_user_sgpr_flat_scratch_init 0
		.amdhsa_user_sgpr_kernarg_preload_length 0
		.amdhsa_user_sgpr_kernarg_preload_offset 0
		.amdhsa_user_sgpr_private_segment_size 0
		.amdhsa_uses_dynamic_stack 0
		.amdhsa_system_sgpr_private_segment_wavefront_offset 0
		.amdhsa_system_sgpr_workgroup_id_x 1
		.amdhsa_system_sgpr_workgroup_id_y 1
		.amdhsa_system_sgpr_workgroup_id_z 0
		.amdhsa_system_sgpr_workgroup_info 0
		.amdhsa_system_vgpr_workitem_id 0
		.amdhsa_next_free_vgpr 23
		.amdhsa_next_free_sgpr 32
		.amdhsa_accum_offset 24
		.amdhsa_reserve_vcc 1
		.amdhsa_reserve_flat_scratch 0
		.amdhsa_float_round_mode_32 0
		.amdhsa_float_round_mode_16_64 0
		.amdhsa_float_denorm_mode_32 3
		.amdhsa_float_denorm_mode_16_64 3
		.amdhsa_dx10_clamp 1
		.amdhsa_ieee_mode 1
		.amdhsa_fp16_overflow 0
		.amdhsa_tg_split 0
		.amdhsa_exception_fp_ieee_invalid_op 0
		.amdhsa_exception_fp_denorm_src 0
		.amdhsa_exception_fp_ieee_div_zero 0
		.amdhsa_exception_fp_ieee_overflow 0
		.amdhsa_exception_fp_ieee_underflow 0
		.amdhsa_exception_fp_ieee_inexact 0
		.amdhsa_exception_int_div_zero 0
	.end_amdhsa_kernel
	.section	.text._ZN5aiter35fused_qk_rmsnorm_group_quant_kernelItN4opus5fp4_tELi64ELi8ELi16ELb0ELb1ELb1ELb1ELb0ELb0EEEvPT0_PvPT_S7_S7_PKS6_S9_S9_S9_S9_ffiiiiiiiiiiiii,"axG",@progbits,_ZN5aiter35fused_qk_rmsnorm_group_quant_kernelItN4opus5fp4_tELi64ELi8ELi16ELb0ELb1ELb1ELb1ELb0ELb0EEEvPT0_PvPT_S7_S7_PKS6_S9_S9_S9_S9_ffiiiiiiiiiiiii,comdat
.Lfunc_end108:
	.size	_ZN5aiter35fused_qk_rmsnorm_group_quant_kernelItN4opus5fp4_tELi64ELi8ELi16ELb0ELb1ELb1ELb1ELb0ELb0EEEvPT0_PvPT_S7_S7_PKS6_S9_S9_S9_S9_ffiiiiiiiiiiiii, .Lfunc_end108-_ZN5aiter35fused_qk_rmsnorm_group_quant_kernelItN4opus5fp4_tELi64ELi8ELi16ELb0ELb1ELb1ELb1ELb0ELb0EEEvPT0_PvPT_S7_S7_PKS6_S9_S9_S9_S9_ffiiiiiiiiiiiii
                                        ; -- End function
	.section	.AMDGPU.csdata,"",@progbits
; Kernel info:
; codeLenInByte = 1968
; NumSgprs: 36
; NumVgprs: 23
; NumAgprs: 0
; TotalNumVgprs: 23
; ScratchSize: 0
; MemoryBound: 0
; FloatMode: 240
; IeeeMode: 1
; LDSByteSize: 0 bytes/workgroup (compile time only)
; SGPRBlocks: 4
; VGPRBlocks: 2
; NumSGPRsForWavesPerEU: 36
; NumVGPRsForWavesPerEU: 23
; AccumOffset: 24
; Occupancy: 8
; WaveLimiterHint : 0
; COMPUTE_PGM_RSRC2:SCRATCH_EN: 0
; COMPUTE_PGM_RSRC2:USER_SGPR: 6
; COMPUTE_PGM_RSRC2:TRAP_HANDLER: 0
; COMPUTE_PGM_RSRC2:TGID_X_EN: 1
; COMPUTE_PGM_RSRC2:TGID_Y_EN: 1
; COMPUTE_PGM_RSRC2:TGID_Z_EN: 0
; COMPUTE_PGM_RSRC2:TIDIG_COMP_CNT: 0
; COMPUTE_PGM_RSRC3_GFX90A:ACCUM_OFFSET: 5
; COMPUTE_PGM_RSRC3_GFX90A:TG_SPLIT: 0
	.section	.text._ZN5aiter35fused_qk_rmsnorm_group_quant_kernelIDF16_DB8_Li64ELi8ELi16ELb0ELb1ELb0ELb1ELb0ELb0EEEvPT0_PvPT_S6_S6_PKS5_S8_S8_S8_S8_ffiiiiiiiiiiiii,"axG",@progbits,_ZN5aiter35fused_qk_rmsnorm_group_quant_kernelIDF16_DB8_Li64ELi8ELi16ELb0ELb1ELb0ELb1ELb0ELb0EEEvPT0_PvPT_S6_S6_PKS5_S8_S8_S8_S8_ffiiiiiiiiiiiii,comdat
	.protected	_ZN5aiter35fused_qk_rmsnorm_group_quant_kernelIDF16_DB8_Li64ELi8ELi16ELb0ELb1ELb0ELb1ELb0ELb0EEEvPT0_PvPT_S6_S6_PKS5_S8_S8_S8_S8_ffiiiiiiiiiiiii ; -- Begin function _ZN5aiter35fused_qk_rmsnorm_group_quant_kernelIDF16_DB8_Li64ELi8ELi16ELb0ELb1ELb0ELb1ELb0ELb0EEEvPT0_PvPT_S6_S6_PKS5_S8_S8_S8_S8_ffiiiiiiiiiiiii
	.globl	_ZN5aiter35fused_qk_rmsnorm_group_quant_kernelIDF16_DB8_Li64ELi8ELi16ELb0ELb1ELb0ELb1ELb0ELb0EEEvPT0_PvPT_S6_S6_PKS5_S8_S8_S8_S8_ffiiiiiiiiiiiii
	.p2align	8
	.type	_ZN5aiter35fused_qk_rmsnorm_group_quant_kernelIDF16_DB8_Li64ELi8ELi16ELb0ELb1ELb0ELb1ELb0ELb0EEEvPT0_PvPT_S6_S6_PKS5_S8_S8_S8_S8_ffiiiiiiiiiiiii,@function
_ZN5aiter35fused_qk_rmsnorm_group_quant_kernelIDF16_DB8_Li64ELi8ELi16ELb0ELb1ELb0ELb1ELb0ELb0EEEvPT0_PvPT_S6_S6_PKS5_S8_S8_S8_S8_ffiiiiiiiiiiiii: ; @_ZN5aiter35fused_qk_rmsnorm_group_quant_kernelIDF16_DB8_Li64ELi8ELi16ELb0ELb1ELb0ELb1ELb0ELb0EEEvPT0_PvPT_S6_S6_PKS5_S8_S8_S8_S8_ffiiiiiiiiiiiii
; %bb.0:
	s_load_dwordx4 s[12:15], s[4:5], 0x50
	s_waitcnt lgkmcnt(0)
	s_cmp_ge_i32 s6, s14
	s_cbranch_scc1 .LBB109_10
; %bb.1:
	s_load_dwordx2 s[24:25], s[4:5], 0x30
	s_load_dwordx2 s[8:9], s[4:5], 0x48
	s_load_dwordx4 s[16:19], s[4:5], 0x60
	s_cmp_lg_u32 s7, 0
	s_cselect_b64 s[10:11], -1, 0
	s_cmp_eq_u32 s7, 0
	s_cselect_b64 vcc, -1, 0
	s_and_b64 s[0:1], vcc, exec
	s_waitcnt lgkmcnt(0)
	s_cselect_b32 s7, s15, s16
	s_add_i32 s0, s7, 1
	s_lshr_b32 s1, s0, 31
	s_add_i32 s0, s0, s1
	s_lshl_b32 s0, s0, 1
	v_lshlrev_b32_e32 v1, 3, v0
	s_and_b32 s22, s0, -4
	v_cmp_gt_i32_e64 s[0:1], s7, v1
	v_mov_b32_e32 v10, 0
	v_mov_b32_e32 v2, 0
	;; [unrolled: 1-line block ×9, first 2 shown]
	s_and_saveexec_b64 s[2:3], s[0:1]
	s_cbranch_execz .LBB109_3
; %bb.2:
	s_load_dwordx2 s[14:15], s[4:5], 0x28
	s_load_dwordx2 s[20:21], s[4:5], 0x40
	s_and_b64 s[26:27], vcc, exec
	s_cselect_b32 s17, s17, s18
	v_lshlrev_b32_e32 v11, 4, v0
	s_waitcnt lgkmcnt(0)
	s_cselect_b32 s19, s15, s25
	s_cselect_b32 s23, s14, s24
	s_mul_hi_i32 s15, s17, s6
	s_mul_i32 s14, s17, s6
	s_lshl_b64 s[14:15], s[14:15], 1
	s_add_u32 s28, s23, s14
	s_addc_u32 s17, s19, s15
	s_and_b64 s[14:15], vcc, exec
	s_mov_b32 s23, 0x20000
	s_cselect_b32 s20, s20, s8
	s_cselect_b32 s14, s21, s9
	s_and_b32 s29, s17, 0xffff
	s_mov_b32 s30, s22
	s_mov_b32 s31, s23
	s_and_b32 s21, s14, 0xffff
	buffer_load_dwordx4 v[6:9], v11, s[28:31], 0 offen glc slc
	buffer_load_dwordx4 v[2:5], v11, s[20:23], 0 offen
.LBB109_3:
	s_or_b64 exec, exec, s[2:3]
	v_mov_b32_e32 v11, 0
	v_mov_b32_e32 v12, 0
	;; [unrolled: 1-line block ×7, first 2 shown]
	s_and_saveexec_b64 s[2:3], s[0:1]
	s_cbranch_execz .LBB109_5
; %bb.4:
	s_waitcnt vmcnt(1)
	v_cvt_f32_f16_sdwa v11, v6 dst_sel:DWORD dst_unused:UNUSED_PAD src0_sel:WORD_1
	v_cvt_f32_f16_e32 v10, v6
	v_cvt_f32_f16_sdwa v13, v7 dst_sel:DWORD dst_unused:UNUSED_PAD src0_sel:WORD_1
	v_cvt_f32_f16_e32 v12, v7
	;; [unrolled: 2-line block ×4, first 2 shown]
.LBB109_5:
	s_or_b64 exec, exec, s[2:3]
	s_waitcnt vmcnt(1)
	v_mul_f32_e32 v6, v11, v11
	v_fmac_f32_e32 v6, v10, v10
	v_fmac_f32_e32 v6, v12, v12
	;; [unrolled: 1-line block ×7, first 2 shown]
	v_bfrev_b32_e32 v8, 0.5
	s_load_dwordx2 s[2:3], s[4:5], 0x18
	v_mov_b32_dpp v7, v6 quad_perm:[1,0,3,2] row_mask:0xf bank_mask:0xf
	v_add_f32_e32 v6, v6, v7
	s_nop 1
	v_mov_b32_dpp v7, v6 quad_perm:[2,3,0,1] row_mask:0xf bank_mask:0xf
	v_add_f32_e32 v6, v6, v7
	s_nop 1
	v_mov_b32_dpp v7, v6 row_half_mirror row_mask:0xf bank_mask:0xf
	v_add_f32_e32 v6, v6, v7
	s_nop 1
	v_mov_b32_dpp v7, v6 row_mirror row_mask:0xf bank_mask:0xf
	v_add_f32_e32 v6, v6, v7
	s_nop 1
	v_mov_b32_dpp v7, v6 row_bcast:15 row_mask:0xf bank_mask:0xf
	v_add_f32_e32 v6, v6, v7
	s_nop 1
	v_mov_b32_dpp v7, v6 row_bcast:31 row_mask:0xf bank_mask:0xf
	v_add_f32_e32 v6, v6, v7
	v_mbcnt_lo_u32_b32 v7, -1, 0
	v_mbcnt_hi_u32_b32 v7, -1, v7
	v_lshl_or_b32 v18, v7, 2, v8
	ds_bpermute_b32 v6, v18, v6
	s_and_saveexec_b64 s[14:15], s[0:1]
	s_cbranch_execz .LBB109_7
; %bb.6:
	v_cvt_f32_u32_e32 v7, s7
	v_mov_b32_e32 v8, s13
	v_mov_b32_e32 v9, s12
	v_cndmask_b32_e32 v8, v8, v9, vcc
	s_waitcnt lgkmcnt(0)
	v_div_scale_f32 v19, s[20:21], v7, v7, v6
	v_rcp_f32_e32 v20, v19
	v_div_scale_f32 v9, vcc, v6, v7, v6
	s_mov_b32 s7, 0x800000
	v_fma_f32 v21, -v19, v20, 1.0
	v_fmac_f32_e32 v20, v21, v20
	v_mul_f32_e32 v21, v9, v20
	v_fma_f32 v22, -v19, v21, v9
	v_fmac_f32_e32 v21, v22, v20
	v_fma_f32 v9, -v19, v21, v9
	v_div_fmas_f32 v9, v9, v20, v21
	v_div_fixup_f32 v6, v9, v7, v6
	v_add_f32_e32 v6, v8, v6
	v_mul_f32_e32 v7, 0x4b800000, v6
	v_cmp_gt_f32_e32 vcc, s7, v6
	v_cndmask_b32_e32 v6, v6, v7, vcc
	v_rsq_f32_e32 v6, v6
	s_waitcnt vmcnt(0)
	v_cvt_f32_f16_sdwa v21, v5 dst_sel:DWORD dst_unused:UNUSED_PAD src0_sel:WORD_1
	v_cvt_f32_f16_e32 v20, v5
	v_mul_f32_e32 v7, 0x45800000, v6
	v_cndmask_b32_e32 v6, v6, v7, vcc
	v_mov_b32_e32 v7, v6
	;;#ASMSTART
	v_pk_mul_f32 v[8:9], v[10:11], v[6:7]
	;;#ASMEND
	;;#ASMSTART
	v_pk_mul_f32 v[12:13], v[12:13], v[6:7]
	;;#ASMEND
	;; [unrolled: 3-line block ×4, first 2 shown]
	v_cvt_f32_f16_sdwa v11, v2 dst_sel:DWORD dst_unused:UNUSED_PAD src0_sel:WORD_1
	v_cvt_f32_f16_e32 v10, v2
	v_cvt_f32_f16_sdwa v17, v3 dst_sel:DWORD dst_unused:UNUSED_PAD src0_sel:WORD_1
	v_cvt_f32_f16_e32 v16, v3
	;; [unrolled: 2-line block ×3, first 2 shown]
	;;#ASMSTART
	v_pk_mul_f32 v[10:11], v[8:9], v[10:11]
	;;#ASMEND
	;;#ASMSTART
	v_pk_mul_f32 v[12:13], v[12:13], v[16:17]
	;;#ASMEND
	;; [unrolled: 3-line block ×4, first 2 shown]
.LBB109_7:
	s_or_b64 exec, exec, s[14:15]
	s_load_dwordx2 s[14:15], s[4:5], 0x7c
	s_mov_b64 s[20:21], -1
	s_and_b64 vcc, exec, s[10:11]
	s_cbranch_vccnz .LBB109_11
; %bb.8:
	s_andn2_b64 vcc, exec, s[20:21]
	s_cbranch_vccz .LBB109_14
.LBB109_9:
	s_cmp_lt_i32 s16, 1
	s_cbranch_scc0 .LBB109_17
.LBB109_10:
	s_endpgm
.LBB109_11:
	s_and_saveexec_b64 s[10:11], s[0:1]
	s_cbranch_execz .LBB109_13
; %bb.12:
	s_waitcnt lgkmcnt(0)
	s_mul_hi_i32 s21, s15, s6
	s_mul_i32 s20, s15, s6
	s_waitcnt vmcnt(0)
	v_cvt_f16_f32_e32 v2, v10
	v_cvt_f16_f32_e32 v3, v12
	;; [unrolled: 1-line block ×8, first 2 shown]
	s_lshl_b64 s[20:21], s[20:21], 1
	s_add_u32 s20, s2, s20
	s_addc_u32 s7, s3, s21
	s_and_b32 s21, s7, 0xffff
	s_mov_b32 s23, 0x20000
	v_pack_b32_f16 v5, v5, v6
	v_pack_b32_f16 v4, v4, v7
	;; [unrolled: 1-line block ×4, first 2 shown]
	v_lshlrev_b32_e32 v6, 4, v0
	buffer_store_dwordx4 v[2:5], v6, s[20:23], 0 offen
	;;#ASMSTART
	s_nop 0
	;;#ASMEND
.LBB109_13:
	s_or_b64 exec, exec, s[10:11]
	s_cbranch_execnz .LBB109_9
.LBB109_14:
	s_and_saveexec_b64 s[10:11], s[0:1]
	s_cbranch_execz .LBB109_16
; %bb.15:
	s_load_dwordx2 s[0:1], s[4:5], 0x10
	s_waitcnt lgkmcnt(0)
	s_mul_hi_i32 s21, s14, s6
	s_mul_i32 s20, s14, s6
	s_waitcnt vmcnt(0)
	v_cvt_f16_f32_e32 v2, v10
	v_cvt_f16_f32_e32 v3, v12
	;; [unrolled: 1-line block ×8, first 2 shown]
	s_lshl_b64 s[20:21], s[20:21], 1
	s_add_u32 s20, s0, s20
	s_addc_u32 s0, s1, s21
	s_mov_b32 s23, 0x20000
	s_and_b32 s21, s0, 0xffff
	v_pack_b32_f16 v5, v5, v6
	v_pack_b32_f16 v4, v4, v7
	;; [unrolled: 1-line block ×4, first 2 shown]
	v_lshlrev_b32_e32 v6, 4, v0
	buffer_store_dwordx4 v[2:5], v6, s[20:23], 0 offen
	;;#ASMSTART
	s_nop 0
	;;#ASMEND
.LBB109_16:
	s_or_b64 exec, exec, s[10:11]
	s_cmp_lt_i32 s16, 1
	s_cbranch_scc1 .LBB109_10
.LBB109_17:
	s_load_dword s0, s[4:5], 0x94
	s_waitcnt lgkmcnt(0)
	s_cmp_lg_u32 s0, 1
	s_cbranch_scc1 .LBB109_10
; %bb.18:
	s_lshl_b32 s0, s16, 1
	s_add_i32 s0, s0, 2
	v_cmp_gt_u32_e32 vcc, s16, v1
	s_and_b32 s10, s0, -4
	v_mov_b32_e32 v8, 0
	v_lshlrev_b32_e32 v16, 4, v0
	s_waitcnt vmcnt(0)
	v_mov_b32_e32 v4, 0
	v_mov_b32_e32 v5, 0
	;; [unrolled: 1-line block ×8, first 2 shown]
	s_barrier
	s_and_saveexec_b64 s[0:1], vcc
	s_cbranch_execz .LBB109_20
; %bb.19:
	s_mul_hi_i32 s5, s18, s6
	s_mul_i32 s4, s18, s6
	s_and_b32 s9, s9, 0xffff
	s_lshl_b64 s[4:5], s[4:5], 1
	s_add_u32 s20, s24, s4
	s_mov_b32 s11, 0x20000
	s_addc_u32 s4, s25, s5
	s_and_b32 s21, s4, 0xffff
	s_mov_b32 s22, s10
	s_mov_b32 s23, s11
	buffer_load_dwordx4 v[4:7], v16, s[20:23], 0 offen glc slc
	buffer_load_dwordx4 v[0:3], v16, s[8:11], 0 offen
.LBB109_20:
	s_or_b64 exec, exec, s[0:1]
	v_mov_b32_e32 v9, 0
	v_mov_b32_e32 v14, 0
	;; [unrolled: 1-line block ×7, first 2 shown]
	s_and_saveexec_b64 s[0:1], vcc
	s_cbranch_execz .LBB109_22
; %bb.21:
	s_waitcnt vmcnt(1)
	v_cvt_f32_f16_sdwa v9, v4 dst_sel:DWORD dst_unused:UNUSED_PAD src0_sel:WORD_1
	v_cvt_f32_f16_e32 v8, v4
	v_cvt_f32_f16_sdwa v15, v5 dst_sel:DWORD dst_unused:UNUSED_PAD src0_sel:WORD_1
	v_cvt_f32_f16_e32 v14, v5
	;; [unrolled: 2-line block ×4, first 2 shown]
.LBB109_22:
	s_or_b64 exec, exec, s[0:1]
	s_waitcnt vmcnt(1)
	v_mul_f32_e32 v4, v9, v9
	v_fmac_f32_e32 v4, v8, v8
	v_fmac_f32_e32 v4, v14, v14
	v_fmac_f32_e32 v4, v15, v15
	v_fmac_f32_e32 v4, v12, v12
	v_fmac_f32_e32 v4, v13, v13
	v_fmac_f32_e32 v4, v10, v10
	v_fmac_f32_e32 v4, v11, v11
	s_nop 1
	v_mov_b32_dpp v5, v4 quad_perm:[1,0,3,2] row_mask:0xf bank_mask:0xf
	v_add_f32_e32 v4, v4, v5
	s_nop 1
	v_mov_b32_dpp v5, v4 quad_perm:[2,3,0,1] row_mask:0xf bank_mask:0xf
	v_add_f32_e32 v4, v4, v5
	s_nop 1
	v_mov_b32_dpp v5, v4 row_half_mirror row_mask:0xf bank_mask:0xf
	v_add_f32_e32 v4, v4, v5
	s_nop 1
	v_mov_b32_dpp v5, v4 row_mirror row_mask:0xf bank_mask:0xf
	v_add_f32_e32 v4, v4, v5
	s_nop 1
	v_mov_b32_dpp v5, v4 row_bcast:15 row_mask:0xf bank_mask:0xf
	v_add_f32_e32 v4, v4, v5
	s_nop 1
	v_mov_b32_dpp v5, v4 row_bcast:31 row_mask:0xf bank_mask:0xf
	v_add_f32_e32 v4, v4, v5
	ds_bpermute_b32 v4, v18, v4
	s_and_saveexec_b64 s[0:1], vcc
	s_cbranch_execz .LBB109_10
; %bb.23:
	v_cvt_f32_u32_e32 v5, s16
	s_mov_b32 s11, 0x20000
	s_waitcnt lgkmcnt(0)
	v_div_scale_f32 v6, s[0:1], v5, v5, v4
	v_rcp_f32_e32 v7, v6
	v_div_scale_f32 v17, vcc, v4, v5, v4
	s_mov_b32 s0, 0x800000
	v_fma_f32 v18, -v6, v7, 1.0
	v_fmac_f32_e32 v7, v18, v7
	v_mul_f32_e32 v18, v17, v7
	v_fma_f32 v19, -v6, v18, v17
	v_fmac_f32_e32 v18, v19, v7
	v_fma_f32 v6, -v6, v18, v17
	v_div_fmas_f32 v6, v6, v7, v18
	v_div_fixup_f32 v4, v6, v5, v4
	v_add_f32_e32 v4, s13, v4
	v_mul_f32_e32 v5, 0x4b800000, v4
	v_cmp_gt_f32_e32 vcc, s0, v4
	v_cndmask_b32_e32 v4, v4, v5, vcc
	v_rsq_f32_e32 v4, v4
	s_waitcnt vmcnt(0)
	v_cvt_f32_f16_sdwa v19, v3 dst_sel:DWORD dst_unused:UNUSED_PAD src0_sel:WORD_1
	v_cvt_f32_f16_e32 v18, v3
	s_mul_hi_i32 s1, s15, s6
	v_mul_f32_e32 v5, 0x45800000, v4
	v_cndmask_b32_e32 v4, v4, v5, vcc
	v_mov_b32_e32 v5, v4
	;;#ASMSTART
	v_pk_mul_f32 v[6:7], v[8:9], v[4:5]
	;;#ASMEND
	;;#ASMSTART
	v_pk_mul_f32 v[8:9], v[14:15], v[4:5]
	;;#ASMEND
	;; [unrolled: 3-line block ×4, first 2 shown]
	v_cvt_f32_f16_sdwa v11, v0 dst_sel:DWORD dst_unused:UNUSED_PAD src0_sel:WORD_1
	v_cvt_f32_f16_e32 v10, v0
	v_cvt_f32_f16_sdwa v15, v1 dst_sel:DWORD dst_unused:UNUSED_PAD src0_sel:WORD_1
	v_cvt_f32_f16_e32 v14, v1
	;; [unrolled: 2-line block ×3, first 2 shown]
	;;#ASMSTART
	v_pk_mul_f32 v[2:3], v[6:7], v[10:11]
	;;#ASMEND
	;;#ASMSTART
	v_pk_mul_f32 v[6:7], v[8:9], v[14:15]
	;;#ASMEND
	;; [unrolled: 3-line block ×4, first 2 shown]
	s_mul_i32 s0, s15, s6
	v_cvt_f16_f32_e32 v2, v2
	v_cvt_f16_f32_e32 v3, v3
	;; [unrolled: 1-line block ×8, first 2 shown]
	s_lshl_b64 s[0:1], s[0:1], 1
	s_add_u32 s8, s2, s0
	s_addc_u32 s0, s3, s1
	s_and_b32 s9, s0, 0xffff
	v_pack_b32_f16 v0, v2, v3
	v_pack_b32_f16 v1, v6, v7
	;; [unrolled: 1-line block ×4, first 2 shown]
	buffer_store_dwordx4 v[0:3], v16, s[8:11], 0 offen
	;;#ASMSTART
	s_nop 0
	;;#ASMEND
	s_endpgm
	.section	.rodata,"a",@progbits
	.p2align	6, 0x0
	.amdhsa_kernel _ZN5aiter35fused_qk_rmsnorm_group_quant_kernelIDF16_DB8_Li64ELi8ELi16ELb0ELb1ELb0ELb1ELb0ELb0EEEvPT0_PvPT_S6_S6_PKS5_S8_S8_S8_S8_ffiiiiiiiiiiiii
		.amdhsa_group_segment_fixed_size 0
		.amdhsa_private_segment_fixed_size 0
		.amdhsa_kernarg_size 400
		.amdhsa_user_sgpr_count 6
		.amdhsa_user_sgpr_private_segment_buffer 1
		.amdhsa_user_sgpr_dispatch_ptr 0
		.amdhsa_user_sgpr_queue_ptr 0
		.amdhsa_user_sgpr_kernarg_segment_ptr 1
		.amdhsa_user_sgpr_dispatch_id 0
		.amdhsa_user_sgpr_flat_scratch_init 0
		.amdhsa_user_sgpr_kernarg_preload_length 0
		.amdhsa_user_sgpr_kernarg_preload_offset 0
		.amdhsa_user_sgpr_private_segment_size 0
		.amdhsa_uses_dynamic_stack 0
		.amdhsa_system_sgpr_private_segment_wavefront_offset 0
		.amdhsa_system_sgpr_workgroup_id_x 1
		.amdhsa_system_sgpr_workgroup_id_y 1
		.amdhsa_system_sgpr_workgroup_id_z 0
		.amdhsa_system_sgpr_workgroup_info 0
		.amdhsa_system_vgpr_workitem_id 0
		.amdhsa_next_free_vgpr 23
		.amdhsa_next_free_sgpr 32
		.amdhsa_accum_offset 24
		.amdhsa_reserve_vcc 1
		.amdhsa_reserve_flat_scratch 0
		.amdhsa_float_round_mode_32 0
		.amdhsa_float_round_mode_16_64 0
		.amdhsa_float_denorm_mode_32 3
		.amdhsa_float_denorm_mode_16_64 3
		.amdhsa_dx10_clamp 1
		.amdhsa_ieee_mode 1
		.amdhsa_fp16_overflow 0
		.amdhsa_tg_split 0
		.amdhsa_exception_fp_ieee_invalid_op 0
		.amdhsa_exception_fp_denorm_src 0
		.amdhsa_exception_fp_ieee_div_zero 0
		.amdhsa_exception_fp_ieee_overflow 0
		.amdhsa_exception_fp_ieee_underflow 0
		.amdhsa_exception_fp_ieee_inexact 0
		.amdhsa_exception_int_div_zero 0
	.end_amdhsa_kernel
	.section	.text._ZN5aiter35fused_qk_rmsnorm_group_quant_kernelIDF16_DB8_Li64ELi8ELi16ELb0ELb1ELb0ELb1ELb0ELb0EEEvPT0_PvPT_S6_S6_PKS5_S8_S8_S8_S8_ffiiiiiiiiiiiii,"axG",@progbits,_ZN5aiter35fused_qk_rmsnorm_group_quant_kernelIDF16_DB8_Li64ELi8ELi16ELb0ELb1ELb0ELb1ELb0ELb0EEEvPT0_PvPT_S6_S6_PKS5_S8_S8_S8_S8_ffiiiiiiiiiiiii,comdat
.Lfunc_end109:
	.size	_ZN5aiter35fused_qk_rmsnorm_group_quant_kernelIDF16_DB8_Li64ELi8ELi16ELb0ELb1ELb0ELb1ELb0ELb0EEEvPT0_PvPT_S6_S6_PKS5_S8_S8_S8_S8_ffiiiiiiiiiiiii, .Lfunc_end109-_ZN5aiter35fused_qk_rmsnorm_group_quant_kernelIDF16_DB8_Li64ELi8ELi16ELb0ELb1ELb0ELb1ELb0ELb0EEEvPT0_PvPT_S6_S6_PKS5_S8_S8_S8_S8_ffiiiiiiiiiiiii
                                        ; -- End function
	.section	.AMDGPU.csdata,"",@progbits
; Kernel info:
; codeLenInByte = 1912
; NumSgprs: 36
; NumVgprs: 23
; NumAgprs: 0
; TotalNumVgprs: 23
; ScratchSize: 0
; MemoryBound: 0
; FloatMode: 240
; IeeeMode: 1
; LDSByteSize: 0 bytes/workgroup (compile time only)
; SGPRBlocks: 4
; VGPRBlocks: 2
; NumSGPRsForWavesPerEU: 36
; NumVGPRsForWavesPerEU: 23
; AccumOffset: 24
; Occupancy: 8
; WaveLimiterHint : 0
; COMPUTE_PGM_RSRC2:SCRATCH_EN: 0
; COMPUTE_PGM_RSRC2:USER_SGPR: 6
; COMPUTE_PGM_RSRC2:TRAP_HANDLER: 0
; COMPUTE_PGM_RSRC2:TGID_X_EN: 1
; COMPUTE_PGM_RSRC2:TGID_Y_EN: 1
; COMPUTE_PGM_RSRC2:TGID_Z_EN: 0
; COMPUTE_PGM_RSRC2:TIDIG_COMP_CNT: 0
; COMPUTE_PGM_RSRC3_GFX90A:ACCUM_OFFSET: 5
; COMPUTE_PGM_RSRC3_GFX90A:TG_SPLIT: 0
	.section	.text._ZN5aiter35fused_qk_rmsnorm_group_quant_kernelItDB8_Li64ELi8ELi16ELb0ELb1ELb0ELb1ELb0ELb0EEEvPT0_PvPT_S6_S6_PKS5_S8_S8_S8_S8_ffiiiiiiiiiiiii,"axG",@progbits,_ZN5aiter35fused_qk_rmsnorm_group_quant_kernelItDB8_Li64ELi8ELi16ELb0ELb1ELb0ELb1ELb0ELb0EEEvPT0_PvPT_S6_S6_PKS5_S8_S8_S8_S8_ffiiiiiiiiiiiii,comdat
	.protected	_ZN5aiter35fused_qk_rmsnorm_group_quant_kernelItDB8_Li64ELi8ELi16ELb0ELb1ELb0ELb1ELb0ELb0EEEvPT0_PvPT_S6_S6_PKS5_S8_S8_S8_S8_ffiiiiiiiiiiiii ; -- Begin function _ZN5aiter35fused_qk_rmsnorm_group_quant_kernelItDB8_Li64ELi8ELi16ELb0ELb1ELb0ELb1ELb0ELb0EEEvPT0_PvPT_S6_S6_PKS5_S8_S8_S8_S8_ffiiiiiiiiiiiii
	.globl	_ZN5aiter35fused_qk_rmsnorm_group_quant_kernelItDB8_Li64ELi8ELi16ELb0ELb1ELb0ELb1ELb0ELb0EEEvPT0_PvPT_S6_S6_PKS5_S8_S8_S8_S8_ffiiiiiiiiiiiii
	.p2align	8
	.type	_ZN5aiter35fused_qk_rmsnorm_group_quant_kernelItDB8_Li64ELi8ELi16ELb0ELb1ELb0ELb1ELb0ELb0EEEvPT0_PvPT_S6_S6_PKS5_S8_S8_S8_S8_ffiiiiiiiiiiiii,@function
_ZN5aiter35fused_qk_rmsnorm_group_quant_kernelItDB8_Li64ELi8ELi16ELb0ELb1ELb0ELb1ELb0ELb0EEEvPT0_PvPT_S6_S6_PKS5_S8_S8_S8_S8_ffiiiiiiiiiiiii: ; @_ZN5aiter35fused_qk_rmsnorm_group_quant_kernelItDB8_Li64ELi8ELi16ELb0ELb1ELb0ELb1ELb0ELb0EEEvPT0_PvPT_S6_S6_PKS5_S8_S8_S8_S8_ffiiiiiiiiiiiii
; %bb.0:
	s_load_dwordx4 s[12:15], s[4:5], 0x50
	s_waitcnt lgkmcnt(0)
	s_cmp_ge_i32 s6, s14
	s_cbranch_scc1 .LBB110_8
; %bb.1:
	s_load_dwordx2 s[24:25], s[4:5], 0x30
	s_load_dwordx2 s[8:9], s[4:5], 0x48
	s_load_dwordx4 s[16:19], s[4:5], 0x60
	s_cmp_lg_u32 s7, 0
	s_cselect_b64 s[10:11], -1, 0
	s_cmp_eq_u32 s7, 0
	s_cselect_b64 vcc, -1, 0
	s_and_b64 s[0:1], vcc, exec
	s_waitcnt lgkmcnt(0)
	s_cselect_b32 s7, s15, s16
	s_add_i32 s0, s7, 1
	s_lshr_b32 s1, s0, 31
	s_add_i32 s0, s0, s1
	s_lshl_b32 s0, s0, 1
	v_lshlrev_b32_e32 v1, 3, v0
	s_and_b32 s22, s0, -4
	v_cmp_gt_i32_e64 s[0:1], s7, v1
	v_mov_b32_e32 v2, 0
	v_mov_b32_e32 v3, 0
	;; [unrolled: 1-line block ×8, first 2 shown]
	s_and_saveexec_b64 s[2:3], s[0:1]
	s_cbranch_execz .LBB110_3
; %bb.2:
	s_load_dwordx2 s[14:15], s[4:5], 0x28
	s_load_dwordx2 s[20:21], s[4:5], 0x40
	s_and_b64 s[26:27], vcc, exec
	s_cselect_b32 s17, s17, s18
	v_lshlrev_b32_e32 v10, 4, v0
	s_waitcnt lgkmcnt(0)
	s_cselect_b32 s19, s15, s25
	s_cselect_b32 s23, s14, s24
	s_mul_hi_i32 s15, s17, s6
	s_mul_i32 s14, s17, s6
	s_lshl_b64 s[14:15], s[14:15], 1
	s_add_u32 s28, s23, s14
	s_addc_u32 s17, s19, s15
	s_and_b64 s[14:15], vcc, exec
	s_mov_b32 s23, 0x20000
	s_cselect_b32 s20, s20, s8
	s_cselect_b32 s14, s21, s9
	s_and_b32 s29, s17, 0xffff
	s_mov_b32 s30, s22
	s_mov_b32 s31, s23
	s_and_b32 s21, s14, 0xffff
	buffer_load_dwordx4 v[6:9], v10, s[28:31], 0 offen glc slc
	buffer_load_dwordx4 v[2:5], v10, s[20:23], 0 offen
.LBB110_3:
	s_or_b64 exec, exec, s[2:3]
	s_waitcnt vmcnt(1)
	v_cvt_f32_u32_sdwa v13, v6 dst_sel:DWORD dst_unused:UNUSED_PAD src0_sel:WORD_1
	v_cvt_f32_u32_sdwa v12, v6 dst_sel:DWORD dst_unused:UNUSED_PAD src0_sel:WORD_0
	v_cvt_f32_u32_sdwa v6, v9 dst_sel:DWORD dst_unused:UNUSED_PAD src0_sel:WORD_1
	v_cvt_f32_u32_sdwa v9, v9 dst_sel:DWORD dst_unused:UNUSED_PAD src0_sel:WORD_0
	;; [unrolled: 2-line block ×4, first 2 shown]
	v_cndmask_b32_e64 v13, 0, v13, s[0:1]
	v_cndmask_b32_e64 v7, 0, v6, s[0:1]
	v_cndmask_b32_e64 v6, 0, v9, s[0:1]
	v_cndmask_b32_e64 v9, 0, v14, s[0:1]
	v_cndmask_b32_e64 v12, 0, v12, s[0:1]
	v_mul_f32_e32 v14, v13, v13
	v_cndmask_b32_e64 v10, 0, v10, s[0:1]
	v_fmac_f32_e32 v14, v12, v12
	v_cndmask_b32_e64 v11, 0, v11, s[0:1]
	v_fmac_f32_e32 v14, v10, v10
	;; [unrolled: 2-line block ×3, first 2 shown]
	v_fmac_f32_e32 v14, v8, v8
	v_fmac_f32_e32 v14, v9, v9
	;; [unrolled: 1-line block ×4, first 2 shown]
	v_bfrev_b32_e32 v16, 0.5
	s_load_dwordx2 s[2:3], s[4:5], 0x18
	v_mov_b32_dpp v15, v14 quad_perm:[1,0,3,2] row_mask:0xf bank_mask:0xf
	v_add_f32_e32 v14, v14, v15
	s_nop 1
	v_mov_b32_dpp v15, v14 quad_perm:[2,3,0,1] row_mask:0xf bank_mask:0xf
	v_add_f32_e32 v14, v14, v15
	s_nop 1
	v_mov_b32_dpp v15, v14 row_half_mirror row_mask:0xf bank_mask:0xf
	v_add_f32_e32 v14, v14, v15
	s_nop 1
	v_mov_b32_dpp v15, v14 row_mirror row_mask:0xf bank_mask:0xf
	v_add_f32_e32 v14, v14, v15
	s_nop 1
	v_mov_b32_dpp v15, v14 row_bcast:15 row_mask:0xf bank_mask:0xf
	v_add_f32_e32 v14, v14, v15
	s_nop 1
	v_mov_b32_dpp v15, v14 row_bcast:31 row_mask:0xf bank_mask:0xf
	v_add_f32_e32 v15, v14, v15
	v_mbcnt_lo_u32_b32 v14, -1, 0
	v_mbcnt_hi_u32_b32 v14, -1, v14
	v_lshl_or_b32 v14, v14, 2, v16
	ds_bpermute_b32 v15, v14, v15
	s_and_saveexec_b64 s[14:15], s[0:1]
	s_cbranch_execz .LBB110_5
; %bb.4:
	v_cvt_f32_u32_e32 v16, s7
	v_mov_b32_e32 v17, s13
	v_mov_b32_e32 v18, s12
	v_cndmask_b32_e32 v17, v17, v18, vcc
	s_waitcnt lgkmcnt(0)
	v_div_scale_f32 v19, s[20:21], v16, v16, v15
	v_rcp_f32_e32 v20, v19
	v_div_scale_f32 v18, vcc, v15, v16, v15
	s_mov_b32 s7, 0x800000
	v_fma_f32 v21, -v19, v20, 1.0
	v_fmac_f32_e32 v20, v21, v20
	v_mul_f32_e32 v21, v18, v20
	v_fma_f32 v22, -v19, v21, v18
	v_fmac_f32_e32 v21, v22, v20
	v_fma_f32 v18, -v19, v21, v18
	v_div_fmas_f32 v18, v18, v20, v21
	v_div_fixup_f32 v15, v18, v16, v15
	v_add_f32_e32 v15, v17, v15
	v_mul_f32_e32 v16, 0x4b800000, v15
	v_cmp_gt_f32_e32 vcc, s7, v15
	v_cndmask_b32_e32 v15, v15, v16, vcc
	v_rsq_f32_e32 v15, v15
	s_waitcnt vmcnt(0)
	v_cvt_f32_u32_sdwa v19, v3 dst_sel:DWORD dst_unused:UNUSED_PAD src0_sel:WORD_1
	v_cvt_f32_u32_sdwa v18, v3 dst_sel:DWORD dst_unused:UNUSED_PAD src0_sel:WORD_0
	v_cvt_f32_u32_sdwa v3, v4 dst_sel:DWORD dst_unused:UNUSED_PAD src0_sel:WORD_1
	v_mul_f32_e32 v16, 0x45800000, v15
	v_cndmask_b32_e32 v16, v15, v16, vcc
	v_mov_b32_e32 v17, v16
	;;#ASMSTART
	v_pk_mul_f32 v[12:13], v[12:13], v[16:17]
	;;#ASMEND
	;;#ASMSTART
	v_pk_mul_f32 v[10:11], v[10:11], v[16:17]
	;;#ASMEND
	;; [unrolled: 3-line block ×4, first 2 shown]
	v_cvt_f32_u32_sdwa v17, v2 dst_sel:DWORD dst_unused:UNUSED_PAD src0_sel:WORD_1
	v_cvt_f32_u32_sdwa v16, v2 dst_sel:DWORD dst_unused:UNUSED_PAD src0_sel:WORD_0
	v_cvt_f32_u32_sdwa v2, v4 dst_sel:DWORD dst_unused:UNUSED_PAD src0_sel:WORD_0
	v_cvt_f32_u32_sdwa v21, v5 dst_sel:DWORD dst_unused:UNUSED_PAD src0_sel:WORD_1
	v_cvt_f32_u32_sdwa v20, v5 dst_sel:DWORD dst_unused:UNUSED_PAD src0_sel:WORD_0
	;;#ASMSTART
	v_pk_mul_f32 v[12:13], v[12:13], v[16:17]
	;;#ASMEND
	;;#ASMSTART
	v_pk_mul_f32 v[10:11], v[10:11], v[18:19]
	;;#ASMEND
	;; [unrolled: 3-line block ×4, first 2 shown]
.LBB110_5:
	s_or_b64 exec, exec, s[14:15]
	s_load_dwordx2 s[14:15], s[4:5], 0x7c
	s_mov_b64 s[20:21], -1
	s_and_b64 vcc, exec, s[10:11]
	s_cbranch_vccnz .LBB110_9
; %bb.6:
	s_andn2_b64 vcc, exec, s[20:21]
	s_cbranch_vccz .LBB110_12
.LBB110_7:
	s_cmp_lt_i32 s16, 1
	s_cbranch_scc0 .LBB110_15
.LBB110_8:
	s_endpgm
.LBB110_9:
	s_and_saveexec_b64 s[10:11], s[0:1]
	s_cbranch_execz .LBB110_11
; %bb.10:
	s_waitcnt lgkmcnt(0)
	s_mul_hi_i32 s21, s15, s6
	s_mul_i32 s20, s15, s6
	s_lshl_b64 s[20:21], s[20:21], 1
	s_add_u32 s20, s2, s20
	s_addc_u32 s7, s3, s21
	s_and_b32 s21, s7, 0xffff
	s_mov_b32 s7, 0x7060302
	s_mov_b32 s23, 0x20000
	s_waitcnt vmcnt(0)
	v_perm_b32 v2, v13, v12, s7
	v_perm_b32 v3, v11, v10, s7
	;; [unrolled: 1-line block ×4, first 2 shown]
	v_lshlrev_b32_e32 v15, 4, v0
	buffer_store_dwordx4 v[2:5], v15, s[20:23], 0 offen
	;;#ASMSTART
	s_nop 0
	;;#ASMEND
.LBB110_11:
	s_or_b64 exec, exec, s[10:11]
	s_cbranch_execnz .LBB110_7
.LBB110_12:
	s_and_saveexec_b64 s[10:11], s[0:1]
	s_cbranch_execz .LBB110_14
; %bb.13:
	s_load_dwordx2 s[0:1], s[4:5], 0x10
	s_waitcnt lgkmcnt(0)
	s_mul_hi_i32 s21, s14, s6
	s_mul_i32 s20, s14, s6
	s_lshl_b64 s[20:21], s[20:21], 1
	s_mov_b32 s23, 0x20000
	s_add_u32 s20, s0, s20
	s_addc_u32 s0, s1, s21
	s_and_b32 s21, s0, 0xffff
	s_mov_b32 s0, 0x7060302
	s_waitcnt vmcnt(0)
	v_perm_b32 v2, v13, v12, s0
	v_perm_b32 v3, v11, v10, s0
	;; [unrolled: 1-line block ×4, first 2 shown]
	v_lshlrev_b32_e32 v6, 4, v0
	buffer_store_dwordx4 v[2:5], v6, s[20:23], 0 offen
	;;#ASMSTART
	s_nop 0
	;;#ASMEND
.LBB110_14:
	s_or_b64 exec, exec, s[10:11]
	s_cmp_lt_i32 s16, 1
	s_cbranch_scc1 .LBB110_8
.LBB110_15:
	s_load_dword s0, s[4:5], 0x94
	s_waitcnt lgkmcnt(0)
	s_cmp_lg_u32 s0, 1
	s_cbranch_scc1 .LBB110_8
; %bb.16:
	s_lshl_b32 s0, s16, 1
	s_add_i32 s0, s0, 2
	v_cmp_gt_u32_e32 vcc, s16, v1
	s_and_b32 s10, s0, -4
	s_waitcnt vmcnt(0)
	v_mov_b32_e32 v4, 0
	v_lshlrev_b32_e32 v12, 4, v0
	v_mov_b32_e32 v5, 0
	v_mov_b32_e32 v6, 0
	;; [unrolled: 1-line block ×7, first 2 shown]
	s_barrier
	s_and_saveexec_b64 s[0:1], vcc
	s_cbranch_execz .LBB110_18
; %bb.17:
	s_mul_hi_i32 s5, s18, s6
	s_mul_i32 s4, s18, s6
	s_and_b32 s9, s9, 0xffff
	s_lshl_b64 s[4:5], s[4:5], 1
	s_add_u32 s20, s24, s4
	s_mov_b32 s11, 0x20000
	s_addc_u32 s4, s25, s5
	s_and_b32 s21, s4, 0xffff
	s_mov_b32 s22, s10
	s_mov_b32 s23, s11
	buffer_load_dwordx4 v[4:7], v12, s[20:23], 0 offen glc slc
	buffer_load_dwordx4 v[0:3], v12, s[8:11], 0 offen
.LBB110_18:
	s_or_b64 exec, exec, s[0:1]
	s_waitcnt vmcnt(1)
	v_cvt_f32_u32_sdwa v11, v4 dst_sel:DWORD dst_unused:UNUSED_PAD src0_sel:WORD_1
	v_cvt_f32_u32_sdwa v10, v4 dst_sel:DWORD dst_unused:UNUSED_PAD src0_sel:WORD_0
	v_cvt_f32_u32_sdwa v4, v7 dst_sel:DWORD dst_unused:UNUSED_PAD src0_sel:WORD_1
	v_cvt_f32_u32_sdwa v7, v7 dst_sel:DWORD dst_unused:UNUSED_PAD src0_sel:WORD_0
	;; [unrolled: 2-line block ×4, first 2 shown]
	v_cndmask_b32_e32 v11, 0, v11, vcc
	v_cndmask_b32_e32 v5, 0, v4, vcc
	;; [unrolled: 1-line block ×5, first 2 shown]
	v_mul_f32_e32 v13, v11, v11
	v_cndmask_b32_e32 v8, 0, v8, vcc
	v_fmac_f32_e32 v13, v10, v10
	v_cndmask_b32_e32 v9, 0, v9, vcc
	v_fmac_f32_e32 v13, v8, v8
	;; [unrolled: 2-line block ×3, first 2 shown]
	v_fmac_f32_e32 v13, v6, v6
	v_fmac_f32_e32 v13, v7, v7
	;; [unrolled: 1-line block ×4, first 2 shown]
	s_nop 1
	v_mov_b32_dpp v15, v13 quad_perm:[1,0,3,2] row_mask:0xf bank_mask:0xf
	v_add_f32_e32 v13, v13, v15
	s_nop 1
	v_mov_b32_dpp v15, v13 quad_perm:[2,3,0,1] row_mask:0xf bank_mask:0xf
	v_add_f32_e32 v13, v13, v15
	s_nop 1
	v_mov_b32_dpp v15, v13 row_half_mirror row_mask:0xf bank_mask:0xf
	v_add_f32_e32 v13, v13, v15
	s_nop 1
	v_mov_b32_dpp v15, v13 row_mirror row_mask:0xf bank_mask:0xf
	v_add_f32_e32 v13, v13, v15
	s_nop 1
	v_mov_b32_dpp v15, v13 row_bcast:15 row_mask:0xf bank_mask:0xf
	v_add_f32_e32 v13, v13, v15
	s_nop 1
	v_mov_b32_dpp v15, v13 row_bcast:31 row_mask:0xf bank_mask:0xf
	v_add_f32_e32 v13, v13, v15
	ds_bpermute_b32 v13, v14, v13
	s_and_saveexec_b64 s[0:1], vcc
	s_cbranch_execz .LBB110_8
; %bb.19:
	v_cvt_f32_u32_e32 v14, s16
	s_mov_b32 s11, 0x20000
	s_waitcnt lgkmcnt(0)
	v_div_scale_f32 v15, s[0:1], v14, v14, v13
	v_rcp_f32_e32 v16, v15
	v_div_scale_f32 v17, vcc, v13, v14, v13
	s_mov_b32 s0, 0x800000
	v_fma_f32 v18, -v15, v16, 1.0
	v_fmac_f32_e32 v16, v18, v16
	v_mul_f32_e32 v18, v17, v16
	v_fma_f32 v19, -v15, v18, v17
	v_fmac_f32_e32 v18, v19, v16
	v_fma_f32 v15, -v15, v18, v17
	v_div_fmas_f32 v15, v15, v16, v18
	v_div_fixup_f32 v13, v15, v14, v13
	v_add_f32_e32 v13, s13, v13
	v_mul_f32_e32 v14, 0x4b800000, v13
	v_cmp_gt_f32_e32 vcc, s0, v13
	v_cndmask_b32_e32 v13, v13, v14, vcc
	v_rsq_f32_e32 v13, v13
	s_mul_hi_i32 s1, s15, s6
	s_mul_i32 s0, s15, s6
	s_lshl_b64 s[0:1], s[0:1], 1
	v_mul_f32_e32 v14, 0x45800000, v13
	v_cndmask_b32_e32 v14, v13, v14, vcc
	s_add_u32 s8, s2, s0
	v_mov_b32_e32 v15, v14
	s_addc_u32 s0, s3, s1
	;;#ASMSTART
	v_pk_mul_f32 v[10:11], v[10:11], v[14:15]
	;;#ASMEND
	;;#ASMSTART
	v_pk_mul_f32 v[8:9], v[8:9], v[14:15]
	;;#ASMEND
	;; [unrolled: 3-line block ×4, first 2 shown]
	s_waitcnt vmcnt(0)
	v_cvt_f32_u32_sdwa v15, v0 dst_sel:DWORD dst_unused:UNUSED_PAD src0_sel:WORD_1
	v_cvt_f32_u32_sdwa v14, v0 dst_sel:DWORD dst_unused:UNUSED_PAD src0_sel:WORD_0
	v_cvt_f32_u32_sdwa v17, v1 dst_sel:DWORD dst_unused:UNUSED_PAD src0_sel:WORD_1
	v_cvt_f32_u32_sdwa v16, v1 dst_sel:DWORD dst_unused:UNUSED_PAD src0_sel:WORD_0
	;; [unrolled: 2-line block ×4, first 2 shown]
	;;#ASMSTART
	v_pk_mul_f32 v[2:3], v[10:11], v[14:15]
	;;#ASMEND
	s_and_b32 s9, s0, 0xffff
	s_mov_b32 s0, 0x7060302
	;;#ASMSTART
	v_pk_mul_f32 v[8:9], v[8:9], v[16:17]
	;;#ASMEND
	;;#ASMSTART
	v_pk_mul_f32 v[6:7], v[6:7], v[0:1]
	;;#ASMEND
	;; [unrolled: 3-line block ×3, first 2 shown]
	v_perm_b32 v0, v3, v2, s0
	v_perm_b32 v1, v9, v8, s0
	;; [unrolled: 1-line block ×4, first 2 shown]
	buffer_store_dwordx4 v[0:3], v12, s[8:11], 0 offen
	;;#ASMSTART
	s_nop 0
	;;#ASMEND
	s_endpgm
	.section	.rodata,"a",@progbits
	.p2align	6, 0x0
	.amdhsa_kernel _ZN5aiter35fused_qk_rmsnorm_group_quant_kernelItDB8_Li64ELi8ELi16ELb0ELb1ELb0ELb1ELb0ELb0EEEvPT0_PvPT_S6_S6_PKS5_S8_S8_S8_S8_ffiiiiiiiiiiiii
		.amdhsa_group_segment_fixed_size 0
		.amdhsa_private_segment_fixed_size 0
		.amdhsa_kernarg_size 400
		.amdhsa_user_sgpr_count 6
		.amdhsa_user_sgpr_private_segment_buffer 1
		.amdhsa_user_sgpr_dispatch_ptr 0
		.amdhsa_user_sgpr_queue_ptr 0
		.amdhsa_user_sgpr_kernarg_segment_ptr 1
		.amdhsa_user_sgpr_dispatch_id 0
		.amdhsa_user_sgpr_flat_scratch_init 0
		.amdhsa_user_sgpr_kernarg_preload_length 0
		.amdhsa_user_sgpr_kernarg_preload_offset 0
		.amdhsa_user_sgpr_private_segment_size 0
		.amdhsa_uses_dynamic_stack 0
		.amdhsa_system_sgpr_private_segment_wavefront_offset 0
		.amdhsa_system_sgpr_workgroup_id_x 1
		.amdhsa_system_sgpr_workgroup_id_y 1
		.amdhsa_system_sgpr_workgroup_id_z 0
		.amdhsa_system_sgpr_workgroup_info 0
		.amdhsa_system_vgpr_workitem_id 0
		.amdhsa_next_free_vgpr 23
		.amdhsa_next_free_sgpr 32
		.amdhsa_accum_offset 24
		.amdhsa_reserve_vcc 1
		.amdhsa_reserve_flat_scratch 0
		.amdhsa_float_round_mode_32 0
		.amdhsa_float_round_mode_16_64 0
		.amdhsa_float_denorm_mode_32 3
		.amdhsa_float_denorm_mode_16_64 3
		.amdhsa_dx10_clamp 1
		.amdhsa_ieee_mode 1
		.amdhsa_fp16_overflow 0
		.amdhsa_tg_split 0
		.amdhsa_exception_fp_ieee_invalid_op 0
		.amdhsa_exception_fp_denorm_src 0
		.amdhsa_exception_fp_ieee_div_zero 0
		.amdhsa_exception_fp_ieee_overflow 0
		.amdhsa_exception_fp_ieee_underflow 0
		.amdhsa_exception_fp_ieee_inexact 0
		.amdhsa_exception_int_div_zero 0
	.end_amdhsa_kernel
	.section	.text._ZN5aiter35fused_qk_rmsnorm_group_quant_kernelItDB8_Li64ELi8ELi16ELb0ELb1ELb0ELb1ELb0ELb0EEEvPT0_PvPT_S6_S6_PKS5_S8_S8_S8_S8_ffiiiiiiiiiiiii,"axG",@progbits,_ZN5aiter35fused_qk_rmsnorm_group_quant_kernelItDB8_Li64ELi8ELi16ELb0ELb1ELb0ELb1ELb0ELb0EEEvPT0_PvPT_S6_S6_PKS5_S8_S8_S8_S8_ffiiiiiiiiiiiii,comdat
.Lfunc_end110:
	.size	_ZN5aiter35fused_qk_rmsnorm_group_quant_kernelItDB8_Li64ELi8ELi16ELb0ELb1ELb0ELb1ELb0ELb0EEEvPT0_PvPT_S6_S6_PKS5_S8_S8_S8_S8_ffiiiiiiiiiiiii, .Lfunc_end110-_ZN5aiter35fused_qk_rmsnorm_group_quant_kernelItDB8_Li64ELi8ELi16ELb0ELb1ELb0ELb1ELb0ELb0EEEvPT0_PvPT_S6_S6_PKS5_S8_S8_S8_S8_ffiiiiiiiiiiiii
                                        ; -- End function
	.section	.AMDGPU.csdata,"",@progbits
; Kernel info:
; codeLenInByte = 1904
; NumSgprs: 36
; NumVgprs: 23
; NumAgprs: 0
; TotalNumVgprs: 23
; ScratchSize: 0
; MemoryBound: 0
; FloatMode: 240
; IeeeMode: 1
; LDSByteSize: 0 bytes/workgroup (compile time only)
; SGPRBlocks: 4
; VGPRBlocks: 2
; NumSGPRsForWavesPerEU: 36
; NumVGPRsForWavesPerEU: 23
; AccumOffset: 24
; Occupancy: 8
; WaveLimiterHint : 0
; COMPUTE_PGM_RSRC2:SCRATCH_EN: 0
; COMPUTE_PGM_RSRC2:USER_SGPR: 6
; COMPUTE_PGM_RSRC2:TRAP_HANDLER: 0
; COMPUTE_PGM_RSRC2:TGID_X_EN: 1
; COMPUTE_PGM_RSRC2:TGID_Y_EN: 1
; COMPUTE_PGM_RSRC2:TGID_Z_EN: 0
; COMPUTE_PGM_RSRC2:TIDIG_COMP_CNT: 0
; COMPUTE_PGM_RSRC3_GFX90A:ACCUM_OFFSET: 5
; COMPUTE_PGM_RSRC3_GFX90A:TG_SPLIT: 0
	.section	.text._ZN5aiter35fused_qk_rmsnorm_group_quant_kernelIDF16_N4opus5fp4_tELi64ELi8ELi16ELb0ELb1ELb0ELb1ELb0ELb0EEEvPT0_PvPT_S7_S7_PKS6_S9_S9_S9_S9_ffiiiiiiiiiiiii,"axG",@progbits,_ZN5aiter35fused_qk_rmsnorm_group_quant_kernelIDF16_N4opus5fp4_tELi64ELi8ELi16ELb0ELb1ELb0ELb1ELb0ELb0EEEvPT0_PvPT_S7_S7_PKS6_S9_S9_S9_S9_ffiiiiiiiiiiiii,comdat
	.protected	_ZN5aiter35fused_qk_rmsnorm_group_quant_kernelIDF16_N4opus5fp4_tELi64ELi8ELi16ELb0ELb1ELb0ELb1ELb0ELb0EEEvPT0_PvPT_S7_S7_PKS6_S9_S9_S9_S9_ffiiiiiiiiiiiii ; -- Begin function _ZN5aiter35fused_qk_rmsnorm_group_quant_kernelIDF16_N4opus5fp4_tELi64ELi8ELi16ELb0ELb1ELb0ELb1ELb0ELb0EEEvPT0_PvPT_S7_S7_PKS6_S9_S9_S9_S9_ffiiiiiiiiiiiii
	.globl	_ZN5aiter35fused_qk_rmsnorm_group_quant_kernelIDF16_N4opus5fp4_tELi64ELi8ELi16ELb0ELb1ELb0ELb1ELb0ELb0EEEvPT0_PvPT_S7_S7_PKS6_S9_S9_S9_S9_ffiiiiiiiiiiiii
	.p2align	8
	.type	_ZN5aiter35fused_qk_rmsnorm_group_quant_kernelIDF16_N4opus5fp4_tELi64ELi8ELi16ELb0ELb1ELb0ELb1ELb0ELb0EEEvPT0_PvPT_S7_S7_PKS6_S9_S9_S9_S9_ffiiiiiiiiiiiii,@function
_ZN5aiter35fused_qk_rmsnorm_group_quant_kernelIDF16_N4opus5fp4_tELi64ELi8ELi16ELb0ELb1ELb0ELb1ELb0ELb0EEEvPT0_PvPT_S7_S7_PKS6_S9_S9_S9_S9_ffiiiiiiiiiiiii: ; @_ZN5aiter35fused_qk_rmsnorm_group_quant_kernelIDF16_N4opus5fp4_tELi64ELi8ELi16ELb0ELb1ELb0ELb1ELb0ELb0EEEvPT0_PvPT_S7_S7_PKS6_S9_S9_S9_S9_ffiiiiiiiiiiiii
; %bb.0:
	s_load_dwordx4 s[12:15], s[4:5], 0x50
	s_waitcnt lgkmcnt(0)
	s_cmp_ge_i32 s6, s14
	s_cbranch_scc1 .LBB111_10
; %bb.1:
	s_load_dwordx2 s[24:25], s[4:5], 0x30
	s_load_dwordx2 s[8:9], s[4:5], 0x48
	s_load_dwordx4 s[16:19], s[4:5], 0x60
	s_cmp_lg_u32 s7, 0
	s_cselect_b64 s[10:11], -1, 0
	s_cmp_eq_u32 s7, 0
	s_cselect_b64 vcc, -1, 0
	s_and_b64 s[0:1], vcc, exec
	s_waitcnt lgkmcnt(0)
	s_cselect_b32 s7, s15, s16
	s_add_i32 s0, s7, 1
	s_lshr_b32 s1, s0, 31
	s_add_i32 s0, s0, s1
	s_lshl_b32 s0, s0, 1
	v_lshlrev_b32_e32 v1, 3, v0
	s_and_b32 s22, s0, -4
	v_cmp_gt_i32_e64 s[0:1], s7, v1
	v_mov_b32_e32 v10, 0
	v_mov_b32_e32 v2, 0
	;; [unrolled: 1-line block ×9, first 2 shown]
	s_and_saveexec_b64 s[2:3], s[0:1]
	s_cbranch_execz .LBB111_3
; %bb.2:
	s_load_dwordx2 s[14:15], s[4:5], 0x28
	s_load_dwordx2 s[20:21], s[4:5], 0x40
	s_and_b64 s[26:27], vcc, exec
	s_cselect_b32 s17, s17, s18
	v_lshlrev_b32_e32 v11, 4, v0
	s_waitcnt lgkmcnt(0)
	s_cselect_b32 s19, s15, s25
	s_cselect_b32 s23, s14, s24
	s_mul_hi_i32 s15, s17, s6
	s_mul_i32 s14, s17, s6
	s_lshl_b64 s[14:15], s[14:15], 1
	s_add_u32 s28, s23, s14
	s_addc_u32 s17, s19, s15
	s_and_b64 s[14:15], vcc, exec
	s_mov_b32 s23, 0x20000
	s_cselect_b32 s20, s20, s8
	s_cselect_b32 s14, s21, s9
	s_and_b32 s29, s17, 0xffff
	s_mov_b32 s30, s22
	s_mov_b32 s31, s23
	s_and_b32 s21, s14, 0xffff
	buffer_load_dwordx4 v[6:9], v11, s[28:31], 0 offen glc slc
	buffer_load_dwordx4 v[2:5], v11, s[20:23], 0 offen
.LBB111_3:
	s_or_b64 exec, exec, s[2:3]
	v_mov_b32_e32 v11, 0
	v_mov_b32_e32 v12, 0
	;; [unrolled: 1-line block ×7, first 2 shown]
	s_and_saveexec_b64 s[2:3], s[0:1]
	s_cbranch_execz .LBB111_5
; %bb.4:
	s_waitcnt vmcnt(1)
	v_cvt_f32_f16_sdwa v11, v6 dst_sel:DWORD dst_unused:UNUSED_PAD src0_sel:WORD_1
	v_cvt_f32_f16_e32 v10, v6
	v_cvt_f32_f16_sdwa v13, v7 dst_sel:DWORD dst_unused:UNUSED_PAD src0_sel:WORD_1
	v_cvt_f32_f16_e32 v12, v7
	;; [unrolled: 2-line block ×4, first 2 shown]
.LBB111_5:
	s_or_b64 exec, exec, s[2:3]
	s_waitcnt vmcnt(1)
	v_mul_f32_e32 v6, v11, v11
	v_fmac_f32_e32 v6, v10, v10
	v_fmac_f32_e32 v6, v12, v12
	v_fmac_f32_e32 v6, v13, v13
	v_fmac_f32_e32 v6, v14, v14
	v_fmac_f32_e32 v6, v15, v15
	v_fmac_f32_e32 v6, v16, v16
	v_fmac_f32_e32 v6, v17, v17
	v_bfrev_b32_e32 v8, 0.5
	s_load_dwordx2 s[2:3], s[4:5], 0x18
	v_mov_b32_dpp v7, v6 quad_perm:[1,0,3,2] row_mask:0xf bank_mask:0xf
	v_add_f32_e32 v6, v6, v7
	s_nop 1
	v_mov_b32_dpp v7, v6 quad_perm:[2,3,0,1] row_mask:0xf bank_mask:0xf
	v_add_f32_e32 v6, v6, v7
	s_nop 1
	v_mov_b32_dpp v7, v6 row_half_mirror row_mask:0xf bank_mask:0xf
	v_add_f32_e32 v6, v6, v7
	s_nop 1
	v_mov_b32_dpp v7, v6 row_mirror row_mask:0xf bank_mask:0xf
	v_add_f32_e32 v6, v6, v7
	s_nop 1
	v_mov_b32_dpp v7, v6 row_bcast:15 row_mask:0xf bank_mask:0xf
	v_add_f32_e32 v6, v6, v7
	s_nop 1
	v_mov_b32_dpp v7, v6 row_bcast:31 row_mask:0xf bank_mask:0xf
	v_add_f32_e32 v6, v6, v7
	v_mbcnt_lo_u32_b32 v7, -1, 0
	v_mbcnt_hi_u32_b32 v7, -1, v7
	v_lshl_or_b32 v18, v7, 2, v8
	ds_bpermute_b32 v6, v18, v6
	s_and_saveexec_b64 s[14:15], s[0:1]
	s_cbranch_execz .LBB111_7
; %bb.6:
	v_cvt_f32_u32_e32 v7, s7
	v_mov_b32_e32 v8, s13
	v_mov_b32_e32 v9, s12
	v_cndmask_b32_e32 v8, v8, v9, vcc
	s_waitcnt lgkmcnt(0)
	v_div_scale_f32 v19, s[20:21], v7, v7, v6
	v_rcp_f32_e32 v20, v19
	v_div_scale_f32 v9, vcc, v6, v7, v6
	s_mov_b32 s7, 0x800000
	v_fma_f32 v21, -v19, v20, 1.0
	v_fmac_f32_e32 v20, v21, v20
	v_mul_f32_e32 v21, v9, v20
	v_fma_f32 v22, -v19, v21, v9
	v_fmac_f32_e32 v21, v22, v20
	v_fma_f32 v9, -v19, v21, v9
	v_div_fmas_f32 v9, v9, v20, v21
	v_div_fixup_f32 v6, v9, v7, v6
	v_add_f32_e32 v6, v8, v6
	v_mul_f32_e32 v7, 0x4b800000, v6
	v_cmp_gt_f32_e32 vcc, s7, v6
	v_cndmask_b32_e32 v6, v6, v7, vcc
	v_rsq_f32_e32 v6, v6
	s_waitcnt vmcnt(0)
	v_cvt_f32_f16_sdwa v21, v5 dst_sel:DWORD dst_unused:UNUSED_PAD src0_sel:WORD_1
	v_cvt_f32_f16_e32 v20, v5
	v_mul_f32_e32 v7, 0x45800000, v6
	v_cndmask_b32_e32 v6, v6, v7, vcc
	v_mov_b32_e32 v7, v6
	;;#ASMSTART
	v_pk_mul_f32 v[8:9], v[10:11], v[6:7]
	;;#ASMEND
	;;#ASMSTART
	v_pk_mul_f32 v[12:13], v[12:13], v[6:7]
	;;#ASMEND
	;; [unrolled: 3-line block ×4, first 2 shown]
	v_cvt_f32_f16_sdwa v11, v2 dst_sel:DWORD dst_unused:UNUSED_PAD src0_sel:WORD_1
	v_cvt_f32_f16_e32 v10, v2
	v_cvt_f32_f16_sdwa v17, v3 dst_sel:DWORD dst_unused:UNUSED_PAD src0_sel:WORD_1
	v_cvt_f32_f16_e32 v16, v3
	;; [unrolled: 2-line block ×3, first 2 shown]
	;;#ASMSTART
	v_pk_mul_f32 v[10:11], v[8:9], v[10:11]
	;;#ASMEND
	;;#ASMSTART
	v_pk_mul_f32 v[12:13], v[12:13], v[16:17]
	;;#ASMEND
	;; [unrolled: 3-line block ×4, first 2 shown]
.LBB111_7:
	s_or_b64 exec, exec, s[14:15]
	s_load_dwordx2 s[14:15], s[4:5], 0x7c
	s_mov_b64 s[20:21], -1
	s_and_b64 vcc, exec, s[10:11]
	s_cbranch_vccnz .LBB111_11
; %bb.8:
	s_andn2_b64 vcc, exec, s[20:21]
	s_cbranch_vccz .LBB111_14
.LBB111_9:
	s_cmp_lt_i32 s16, 1
	s_cbranch_scc0 .LBB111_17
.LBB111_10:
	s_endpgm
.LBB111_11:
	s_and_saveexec_b64 s[10:11], s[0:1]
	s_cbranch_execz .LBB111_13
; %bb.12:
	s_waitcnt lgkmcnt(0)
	s_mul_hi_i32 s21, s15, s6
	s_mul_i32 s20, s15, s6
	s_waitcnt vmcnt(0)
	v_cvt_f16_f32_e32 v2, v10
	v_cvt_f16_f32_e32 v3, v12
	;; [unrolled: 1-line block ×8, first 2 shown]
	s_lshl_b64 s[20:21], s[20:21], 1
	s_add_u32 s20, s2, s20
	s_addc_u32 s7, s3, s21
	s_and_b32 s21, s7, 0xffff
	s_mov_b32 s23, 0x20000
	v_pack_b32_f16 v5, v5, v6
	v_pack_b32_f16 v4, v4, v7
	;; [unrolled: 1-line block ×4, first 2 shown]
	v_lshlrev_b32_e32 v6, 4, v0
	buffer_store_dwordx4 v[2:5], v6, s[20:23], 0 offen
	;;#ASMSTART
	s_nop 0
	;;#ASMEND
.LBB111_13:
	s_or_b64 exec, exec, s[10:11]
	s_cbranch_execnz .LBB111_9
.LBB111_14:
	s_and_saveexec_b64 s[10:11], s[0:1]
	s_cbranch_execz .LBB111_16
; %bb.15:
	s_load_dwordx2 s[0:1], s[4:5], 0x10
	s_waitcnt lgkmcnt(0)
	s_mul_hi_i32 s21, s14, s6
	s_mul_i32 s20, s14, s6
	s_waitcnt vmcnt(0)
	v_cvt_f16_f32_e32 v2, v10
	v_cvt_f16_f32_e32 v3, v12
	;; [unrolled: 1-line block ×8, first 2 shown]
	s_lshl_b64 s[20:21], s[20:21], 1
	s_add_u32 s20, s0, s20
	s_addc_u32 s0, s1, s21
	s_mov_b32 s23, 0x20000
	s_and_b32 s21, s0, 0xffff
	v_pack_b32_f16 v5, v5, v6
	v_pack_b32_f16 v4, v4, v7
	;; [unrolled: 1-line block ×4, first 2 shown]
	v_lshlrev_b32_e32 v6, 4, v0
	buffer_store_dwordx4 v[2:5], v6, s[20:23], 0 offen
	;;#ASMSTART
	s_nop 0
	;;#ASMEND
.LBB111_16:
	s_or_b64 exec, exec, s[10:11]
	s_cmp_lt_i32 s16, 1
	s_cbranch_scc1 .LBB111_10
.LBB111_17:
	s_load_dword s0, s[4:5], 0x94
	s_waitcnt lgkmcnt(0)
	s_cmp_lg_u32 s0, 1
	s_cbranch_scc1 .LBB111_10
; %bb.18:
	s_lshl_b32 s0, s16, 1
	s_add_i32 s0, s0, 2
	v_cmp_gt_u32_e32 vcc, s16, v1
	s_and_b32 s10, s0, -4
	v_mov_b32_e32 v8, 0
	v_lshlrev_b32_e32 v16, 4, v0
	s_waitcnt vmcnt(0)
	v_mov_b32_e32 v4, 0
	v_mov_b32_e32 v5, 0
	;; [unrolled: 1-line block ×8, first 2 shown]
	s_barrier
	s_and_saveexec_b64 s[0:1], vcc
	s_cbranch_execz .LBB111_20
; %bb.19:
	s_mul_hi_i32 s5, s18, s6
	s_mul_i32 s4, s18, s6
	s_and_b32 s9, s9, 0xffff
	s_lshl_b64 s[4:5], s[4:5], 1
	s_add_u32 s20, s24, s4
	s_mov_b32 s11, 0x20000
	s_addc_u32 s4, s25, s5
	s_and_b32 s21, s4, 0xffff
	s_mov_b32 s22, s10
	s_mov_b32 s23, s11
	buffer_load_dwordx4 v[4:7], v16, s[20:23], 0 offen glc slc
	buffer_load_dwordx4 v[0:3], v16, s[8:11], 0 offen
.LBB111_20:
	s_or_b64 exec, exec, s[0:1]
	v_mov_b32_e32 v9, 0
	v_mov_b32_e32 v14, 0
	;; [unrolled: 1-line block ×7, first 2 shown]
	s_and_saveexec_b64 s[0:1], vcc
	s_cbranch_execz .LBB111_22
; %bb.21:
	s_waitcnt vmcnt(1)
	v_cvt_f32_f16_sdwa v9, v4 dst_sel:DWORD dst_unused:UNUSED_PAD src0_sel:WORD_1
	v_cvt_f32_f16_e32 v8, v4
	v_cvt_f32_f16_sdwa v15, v5 dst_sel:DWORD dst_unused:UNUSED_PAD src0_sel:WORD_1
	v_cvt_f32_f16_e32 v14, v5
	;; [unrolled: 2-line block ×4, first 2 shown]
.LBB111_22:
	s_or_b64 exec, exec, s[0:1]
	s_waitcnt vmcnt(1)
	v_mul_f32_e32 v4, v9, v9
	v_fmac_f32_e32 v4, v8, v8
	v_fmac_f32_e32 v4, v14, v14
	;; [unrolled: 1-line block ×7, first 2 shown]
	s_nop 1
	v_mov_b32_dpp v5, v4 quad_perm:[1,0,3,2] row_mask:0xf bank_mask:0xf
	v_add_f32_e32 v4, v4, v5
	s_nop 1
	v_mov_b32_dpp v5, v4 quad_perm:[2,3,0,1] row_mask:0xf bank_mask:0xf
	v_add_f32_e32 v4, v4, v5
	s_nop 1
	v_mov_b32_dpp v5, v4 row_half_mirror row_mask:0xf bank_mask:0xf
	v_add_f32_e32 v4, v4, v5
	s_nop 1
	v_mov_b32_dpp v5, v4 row_mirror row_mask:0xf bank_mask:0xf
	v_add_f32_e32 v4, v4, v5
	s_nop 1
	v_mov_b32_dpp v5, v4 row_bcast:15 row_mask:0xf bank_mask:0xf
	v_add_f32_e32 v4, v4, v5
	s_nop 1
	v_mov_b32_dpp v5, v4 row_bcast:31 row_mask:0xf bank_mask:0xf
	v_add_f32_e32 v4, v4, v5
	ds_bpermute_b32 v4, v18, v4
	s_and_saveexec_b64 s[0:1], vcc
	s_cbranch_execz .LBB111_10
; %bb.23:
	v_cvt_f32_u32_e32 v5, s16
	s_mov_b32 s11, 0x20000
	s_waitcnt lgkmcnt(0)
	v_div_scale_f32 v6, s[0:1], v5, v5, v4
	v_rcp_f32_e32 v7, v6
	v_div_scale_f32 v17, vcc, v4, v5, v4
	s_mov_b32 s0, 0x800000
	v_fma_f32 v18, -v6, v7, 1.0
	v_fmac_f32_e32 v7, v18, v7
	v_mul_f32_e32 v18, v17, v7
	v_fma_f32 v19, -v6, v18, v17
	v_fmac_f32_e32 v18, v19, v7
	v_fma_f32 v6, -v6, v18, v17
	v_div_fmas_f32 v6, v6, v7, v18
	v_div_fixup_f32 v4, v6, v5, v4
	v_add_f32_e32 v4, s13, v4
	v_mul_f32_e32 v5, 0x4b800000, v4
	v_cmp_gt_f32_e32 vcc, s0, v4
	v_cndmask_b32_e32 v4, v4, v5, vcc
	v_rsq_f32_e32 v4, v4
	s_waitcnt vmcnt(0)
	v_cvt_f32_f16_sdwa v19, v3 dst_sel:DWORD dst_unused:UNUSED_PAD src0_sel:WORD_1
	v_cvt_f32_f16_e32 v18, v3
	s_mul_hi_i32 s1, s15, s6
	v_mul_f32_e32 v5, 0x45800000, v4
	v_cndmask_b32_e32 v4, v4, v5, vcc
	v_mov_b32_e32 v5, v4
	;;#ASMSTART
	v_pk_mul_f32 v[6:7], v[8:9], v[4:5]
	;;#ASMEND
	;;#ASMSTART
	v_pk_mul_f32 v[8:9], v[14:15], v[4:5]
	;;#ASMEND
	;; [unrolled: 3-line block ×4, first 2 shown]
	v_cvt_f32_f16_sdwa v11, v0 dst_sel:DWORD dst_unused:UNUSED_PAD src0_sel:WORD_1
	v_cvt_f32_f16_e32 v10, v0
	v_cvt_f32_f16_sdwa v15, v1 dst_sel:DWORD dst_unused:UNUSED_PAD src0_sel:WORD_1
	v_cvt_f32_f16_e32 v14, v1
	;; [unrolled: 2-line block ×3, first 2 shown]
	;;#ASMSTART
	v_pk_mul_f32 v[2:3], v[6:7], v[10:11]
	;;#ASMEND
	;;#ASMSTART
	v_pk_mul_f32 v[6:7], v[8:9], v[14:15]
	;;#ASMEND
	;;#ASMSTART
	v_pk_mul_f32 v[0:1], v[12:13], v[0:1]
	;;#ASMEND
	;;#ASMSTART
	v_pk_mul_f32 v[4:5], v[4:5], v[18:19]
	;;#ASMEND
	s_mul_i32 s0, s15, s6
	v_cvt_f16_f32_e32 v2, v2
	v_cvt_f16_f32_e32 v3, v3
	;; [unrolled: 1-line block ×8, first 2 shown]
	s_lshl_b64 s[0:1], s[0:1], 1
	s_add_u32 s8, s2, s0
	s_addc_u32 s0, s3, s1
	s_and_b32 s9, s0, 0xffff
	v_pack_b32_f16 v0, v2, v3
	v_pack_b32_f16 v1, v6, v7
	;; [unrolled: 1-line block ×4, first 2 shown]
	buffer_store_dwordx4 v[0:3], v16, s[8:11], 0 offen
	;;#ASMSTART
	s_nop 0
	;;#ASMEND
	s_endpgm
	.section	.rodata,"a",@progbits
	.p2align	6, 0x0
	.amdhsa_kernel _ZN5aiter35fused_qk_rmsnorm_group_quant_kernelIDF16_N4opus5fp4_tELi64ELi8ELi16ELb0ELb1ELb0ELb1ELb0ELb0EEEvPT0_PvPT_S7_S7_PKS6_S9_S9_S9_S9_ffiiiiiiiiiiiii
		.amdhsa_group_segment_fixed_size 0
		.amdhsa_private_segment_fixed_size 0
		.amdhsa_kernarg_size 400
		.amdhsa_user_sgpr_count 6
		.amdhsa_user_sgpr_private_segment_buffer 1
		.amdhsa_user_sgpr_dispatch_ptr 0
		.amdhsa_user_sgpr_queue_ptr 0
		.amdhsa_user_sgpr_kernarg_segment_ptr 1
		.amdhsa_user_sgpr_dispatch_id 0
		.amdhsa_user_sgpr_flat_scratch_init 0
		.amdhsa_user_sgpr_kernarg_preload_length 0
		.amdhsa_user_sgpr_kernarg_preload_offset 0
		.amdhsa_user_sgpr_private_segment_size 0
		.amdhsa_uses_dynamic_stack 0
		.amdhsa_system_sgpr_private_segment_wavefront_offset 0
		.amdhsa_system_sgpr_workgroup_id_x 1
		.amdhsa_system_sgpr_workgroup_id_y 1
		.amdhsa_system_sgpr_workgroup_id_z 0
		.amdhsa_system_sgpr_workgroup_info 0
		.amdhsa_system_vgpr_workitem_id 0
		.amdhsa_next_free_vgpr 23
		.amdhsa_next_free_sgpr 32
		.amdhsa_accum_offset 24
		.amdhsa_reserve_vcc 1
		.amdhsa_reserve_flat_scratch 0
		.amdhsa_float_round_mode_32 0
		.amdhsa_float_round_mode_16_64 0
		.amdhsa_float_denorm_mode_32 3
		.amdhsa_float_denorm_mode_16_64 3
		.amdhsa_dx10_clamp 1
		.amdhsa_ieee_mode 1
		.amdhsa_fp16_overflow 0
		.amdhsa_tg_split 0
		.amdhsa_exception_fp_ieee_invalid_op 0
		.amdhsa_exception_fp_denorm_src 0
		.amdhsa_exception_fp_ieee_div_zero 0
		.amdhsa_exception_fp_ieee_overflow 0
		.amdhsa_exception_fp_ieee_underflow 0
		.amdhsa_exception_fp_ieee_inexact 0
		.amdhsa_exception_int_div_zero 0
	.end_amdhsa_kernel
	.section	.text._ZN5aiter35fused_qk_rmsnorm_group_quant_kernelIDF16_N4opus5fp4_tELi64ELi8ELi16ELb0ELb1ELb0ELb1ELb0ELb0EEEvPT0_PvPT_S7_S7_PKS6_S9_S9_S9_S9_ffiiiiiiiiiiiii,"axG",@progbits,_ZN5aiter35fused_qk_rmsnorm_group_quant_kernelIDF16_N4opus5fp4_tELi64ELi8ELi16ELb0ELb1ELb0ELb1ELb0ELb0EEEvPT0_PvPT_S7_S7_PKS6_S9_S9_S9_S9_ffiiiiiiiiiiiii,comdat
.Lfunc_end111:
	.size	_ZN5aiter35fused_qk_rmsnorm_group_quant_kernelIDF16_N4opus5fp4_tELi64ELi8ELi16ELb0ELb1ELb0ELb1ELb0ELb0EEEvPT0_PvPT_S7_S7_PKS6_S9_S9_S9_S9_ffiiiiiiiiiiiii, .Lfunc_end111-_ZN5aiter35fused_qk_rmsnorm_group_quant_kernelIDF16_N4opus5fp4_tELi64ELi8ELi16ELb0ELb1ELb0ELb1ELb0ELb0EEEvPT0_PvPT_S7_S7_PKS6_S9_S9_S9_S9_ffiiiiiiiiiiiii
                                        ; -- End function
	.section	.AMDGPU.csdata,"",@progbits
; Kernel info:
; codeLenInByte = 1912
; NumSgprs: 36
; NumVgprs: 23
; NumAgprs: 0
; TotalNumVgprs: 23
; ScratchSize: 0
; MemoryBound: 0
; FloatMode: 240
; IeeeMode: 1
; LDSByteSize: 0 bytes/workgroup (compile time only)
; SGPRBlocks: 4
; VGPRBlocks: 2
; NumSGPRsForWavesPerEU: 36
; NumVGPRsForWavesPerEU: 23
; AccumOffset: 24
; Occupancy: 8
; WaveLimiterHint : 0
; COMPUTE_PGM_RSRC2:SCRATCH_EN: 0
; COMPUTE_PGM_RSRC2:USER_SGPR: 6
; COMPUTE_PGM_RSRC2:TRAP_HANDLER: 0
; COMPUTE_PGM_RSRC2:TGID_X_EN: 1
; COMPUTE_PGM_RSRC2:TGID_Y_EN: 1
; COMPUTE_PGM_RSRC2:TGID_Z_EN: 0
; COMPUTE_PGM_RSRC2:TIDIG_COMP_CNT: 0
; COMPUTE_PGM_RSRC3_GFX90A:ACCUM_OFFSET: 5
; COMPUTE_PGM_RSRC3_GFX90A:TG_SPLIT: 0
	.section	.text._ZN5aiter35fused_qk_rmsnorm_group_quant_kernelItN4opus5fp4_tELi64ELi8ELi16ELb0ELb1ELb0ELb1ELb0ELb0EEEvPT0_PvPT_S7_S7_PKS6_S9_S9_S9_S9_ffiiiiiiiiiiiii,"axG",@progbits,_ZN5aiter35fused_qk_rmsnorm_group_quant_kernelItN4opus5fp4_tELi64ELi8ELi16ELb0ELb1ELb0ELb1ELb0ELb0EEEvPT0_PvPT_S7_S7_PKS6_S9_S9_S9_S9_ffiiiiiiiiiiiii,comdat
	.protected	_ZN5aiter35fused_qk_rmsnorm_group_quant_kernelItN4opus5fp4_tELi64ELi8ELi16ELb0ELb1ELb0ELb1ELb0ELb0EEEvPT0_PvPT_S7_S7_PKS6_S9_S9_S9_S9_ffiiiiiiiiiiiii ; -- Begin function _ZN5aiter35fused_qk_rmsnorm_group_quant_kernelItN4opus5fp4_tELi64ELi8ELi16ELb0ELb1ELb0ELb1ELb0ELb0EEEvPT0_PvPT_S7_S7_PKS6_S9_S9_S9_S9_ffiiiiiiiiiiiii
	.globl	_ZN5aiter35fused_qk_rmsnorm_group_quant_kernelItN4opus5fp4_tELi64ELi8ELi16ELb0ELb1ELb0ELb1ELb0ELb0EEEvPT0_PvPT_S7_S7_PKS6_S9_S9_S9_S9_ffiiiiiiiiiiiii
	.p2align	8
	.type	_ZN5aiter35fused_qk_rmsnorm_group_quant_kernelItN4opus5fp4_tELi64ELi8ELi16ELb0ELb1ELb0ELb1ELb0ELb0EEEvPT0_PvPT_S7_S7_PKS6_S9_S9_S9_S9_ffiiiiiiiiiiiii,@function
_ZN5aiter35fused_qk_rmsnorm_group_quant_kernelItN4opus5fp4_tELi64ELi8ELi16ELb0ELb1ELb0ELb1ELb0ELb0EEEvPT0_PvPT_S7_S7_PKS6_S9_S9_S9_S9_ffiiiiiiiiiiiii: ; @_ZN5aiter35fused_qk_rmsnorm_group_quant_kernelItN4opus5fp4_tELi64ELi8ELi16ELb0ELb1ELb0ELb1ELb0ELb0EEEvPT0_PvPT_S7_S7_PKS6_S9_S9_S9_S9_ffiiiiiiiiiiiii
; %bb.0:
	s_load_dwordx4 s[12:15], s[4:5], 0x50
	s_waitcnt lgkmcnt(0)
	s_cmp_ge_i32 s6, s14
	s_cbranch_scc1 .LBB112_8
; %bb.1:
	s_load_dwordx2 s[24:25], s[4:5], 0x30
	s_load_dwordx2 s[8:9], s[4:5], 0x48
	s_load_dwordx4 s[16:19], s[4:5], 0x60
	s_cmp_lg_u32 s7, 0
	s_cselect_b64 s[10:11], -1, 0
	s_cmp_eq_u32 s7, 0
	s_cselect_b64 vcc, -1, 0
	s_and_b64 s[0:1], vcc, exec
	s_waitcnt lgkmcnt(0)
	s_cselect_b32 s7, s15, s16
	s_add_i32 s0, s7, 1
	s_lshr_b32 s1, s0, 31
	s_add_i32 s0, s0, s1
	s_lshl_b32 s0, s0, 1
	v_lshlrev_b32_e32 v1, 3, v0
	s_and_b32 s22, s0, -4
	v_cmp_gt_i32_e64 s[0:1], s7, v1
	v_mov_b32_e32 v2, 0
	v_mov_b32_e32 v3, 0
	;; [unrolled: 1-line block ×8, first 2 shown]
	s_and_saveexec_b64 s[2:3], s[0:1]
	s_cbranch_execz .LBB112_3
; %bb.2:
	s_load_dwordx2 s[14:15], s[4:5], 0x28
	s_load_dwordx2 s[20:21], s[4:5], 0x40
	s_and_b64 s[26:27], vcc, exec
	s_cselect_b32 s17, s17, s18
	v_lshlrev_b32_e32 v10, 4, v0
	s_waitcnt lgkmcnt(0)
	s_cselect_b32 s19, s15, s25
	s_cselect_b32 s23, s14, s24
	s_mul_hi_i32 s15, s17, s6
	s_mul_i32 s14, s17, s6
	s_lshl_b64 s[14:15], s[14:15], 1
	s_add_u32 s28, s23, s14
	s_addc_u32 s17, s19, s15
	s_and_b64 s[14:15], vcc, exec
	s_mov_b32 s23, 0x20000
	s_cselect_b32 s20, s20, s8
	s_cselect_b32 s14, s21, s9
	s_and_b32 s29, s17, 0xffff
	s_mov_b32 s30, s22
	s_mov_b32 s31, s23
	s_and_b32 s21, s14, 0xffff
	buffer_load_dwordx4 v[6:9], v10, s[28:31], 0 offen glc slc
	buffer_load_dwordx4 v[2:5], v10, s[20:23], 0 offen
.LBB112_3:
	s_or_b64 exec, exec, s[2:3]
	s_waitcnt vmcnt(1)
	v_cvt_f32_u32_sdwa v13, v6 dst_sel:DWORD dst_unused:UNUSED_PAD src0_sel:WORD_1
	v_cvt_f32_u32_sdwa v12, v6 dst_sel:DWORD dst_unused:UNUSED_PAD src0_sel:WORD_0
	v_cvt_f32_u32_sdwa v6, v9 dst_sel:DWORD dst_unused:UNUSED_PAD src0_sel:WORD_1
	v_cvt_f32_u32_sdwa v9, v9 dst_sel:DWORD dst_unused:UNUSED_PAD src0_sel:WORD_0
	;; [unrolled: 2-line block ×4, first 2 shown]
	v_cndmask_b32_e64 v13, 0, v13, s[0:1]
	v_cndmask_b32_e64 v7, 0, v6, s[0:1]
	;; [unrolled: 1-line block ×5, first 2 shown]
	v_mul_f32_e32 v14, v13, v13
	v_cndmask_b32_e64 v10, 0, v10, s[0:1]
	v_fmac_f32_e32 v14, v12, v12
	v_cndmask_b32_e64 v11, 0, v11, s[0:1]
	v_fmac_f32_e32 v14, v10, v10
	;; [unrolled: 2-line block ×3, first 2 shown]
	v_fmac_f32_e32 v14, v8, v8
	v_fmac_f32_e32 v14, v9, v9
	v_fmac_f32_e32 v14, v6, v6
	v_fmac_f32_e32 v14, v7, v7
	v_bfrev_b32_e32 v16, 0.5
	s_load_dwordx2 s[2:3], s[4:5], 0x18
	v_mov_b32_dpp v15, v14 quad_perm:[1,0,3,2] row_mask:0xf bank_mask:0xf
	v_add_f32_e32 v14, v14, v15
	s_nop 1
	v_mov_b32_dpp v15, v14 quad_perm:[2,3,0,1] row_mask:0xf bank_mask:0xf
	v_add_f32_e32 v14, v14, v15
	s_nop 1
	v_mov_b32_dpp v15, v14 row_half_mirror row_mask:0xf bank_mask:0xf
	v_add_f32_e32 v14, v14, v15
	s_nop 1
	v_mov_b32_dpp v15, v14 row_mirror row_mask:0xf bank_mask:0xf
	v_add_f32_e32 v14, v14, v15
	s_nop 1
	v_mov_b32_dpp v15, v14 row_bcast:15 row_mask:0xf bank_mask:0xf
	v_add_f32_e32 v14, v14, v15
	s_nop 1
	v_mov_b32_dpp v15, v14 row_bcast:31 row_mask:0xf bank_mask:0xf
	v_add_f32_e32 v15, v14, v15
	v_mbcnt_lo_u32_b32 v14, -1, 0
	v_mbcnt_hi_u32_b32 v14, -1, v14
	v_lshl_or_b32 v14, v14, 2, v16
	ds_bpermute_b32 v15, v14, v15
	s_and_saveexec_b64 s[14:15], s[0:1]
	s_cbranch_execz .LBB112_5
; %bb.4:
	v_cvt_f32_u32_e32 v16, s7
	v_mov_b32_e32 v17, s13
	v_mov_b32_e32 v18, s12
	v_cndmask_b32_e32 v17, v17, v18, vcc
	s_waitcnt lgkmcnt(0)
	v_div_scale_f32 v19, s[20:21], v16, v16, v15
	v_rcp_f32_e32 v20, v19
	v_div_scale_f32 v18, vcc, v15, v16, v15
	s_mov_b32 s7, 0x800000
	v_fma_f32 v21, -v19, v20, 1.0
	v_fmac_f32_e32 v20, v21, v20
	v_mul_f32_e32 v21, v18, v20
	v_fma_f32 v22, -v19, v21, v18
	v_fmac_f32_e32 v21, v22, v20
	v_fma_f32 v18, -v19, v21, v18
	v_div_fmas_f32 v18, v18, v20, v21
	v_div_fixup_f32 v15, v18, v16, v15
	v_add_f32_e32 v15, v17, v15
	v_mul_f32_e32 v16, 0x4b800000, v15
	v_cmp_gt_f32_e32 vcc, s7, v15
	v_cndmask_b32_e32 v15, v15, v16, vcc
	v_rsq_f32_e32 v15, v15
	s_waitcnt vmcnt(0)
	v_cvt_f32_u32_sdwa v19, v3 dst_sel:DWORD dst_unused:UNUSED_PAD src0_sel:WORD_1
	v_cvt_f32_u32_sdwa v18, v3 dst_sel:DWORD dst_unused:UNUSED_PAD src0_sel:WORD_0
	v_cvt_f32_u32_sdwa v3, v4 dst_sel:DWORD dst_unused:UNUSED_PAD src0_sel:WORD_1
	v_mul_f32_e32 v16, 0x45800000, v15
	v_cndmask_b32_e32 v16, v15, v16, vcc
	v_mov_b32_e32 v17, v16
	;;#ASMSTART
	v_pk_mul_f32 v[12:13], v[12:13], v[16:17]
	;;#ASMEND
	;;#ASMSTART
	v_pk_mul_f32 v[10:11], v[10:11], v[16:17]
	;;#ASMEND
	;; [unrolled: 3-line block ×4, first 2 shown]
	v_cvt_f32_u32_sdwa v17, v2 dst_sel:DWORD dst_unused:UNUSED_PAD src0_sel:WORD_1
	v_cvt_f32_u32_sdwa v16, v2 dst_sel:DWORD dst_unused:UNUSED_PAD src0_sel:WORD_0
	v_cvt_f32_u32_sdwa v2, v4 dst_sel:DWORD dst_unused:UNUSED_PAD src0_sel:WORD_0
	v_cvt_f32_u32_sdwa v21, v5 dst_sel:DWORD dst_unused:UNUSED_PAD src0_sel:WORD_1
	v_cvt_f32_u32_sdwa v20, v5 dst_sel:DWORD dst_unused:UNUSED_PAD src0_sel:WORD_0
	;;#ASMSTART
	v_pk_mul_f32 v[12:13], v[12:13], v[16:17]
	;;#ASMEND
	;;#ASMSTART
	v_pk_mul_f32 v[10:11], v[10:11], v[18:19]
	;;#ASMEND
	;; [unrolled: 3-line block ×4, first 2 shown]
.LBB112_5:
	s_or_b64 exec, exec, s[14:15]
	s_load_dwordx2 s[14:15], s[4:5], 0x7c
	s_mov_b64 s[20:21], -1
	s_and_b64 vcc, exec, s[10:11]
	s_cbranch_vccnz .LBB112_9
; %bb.6:
	s_andn2_b64 vcc, exec, s[20:21]
	s_cbranch_vccz .LBB112_12
.LBB112_7:
	s_cmp_lt_i32 s16, 1
	s_cbranch_scc0 .LBB112_15
.LBB112_8:
	s_endpgm
.LBB112_9:
	s_and_saveexec_b64 s[10:11], s[0:1]
	s_cbranch_execz .LBB112_11
; %bb.10:
	s_waitcnt lgkmcnt(0)
	s_mul_hi_i32 s21, s15, s6
	s_mul_i32 s20, s15, s6
	s_lshl_b64 s[20:21], s[20:21], 1
	s_add_u32 s20, s2, s20
	s_addc_u32 s7, s3, s21
	s_and_b32 s21, s7, 0xffff
	s_mov_b32 s7, 0x7060302
	s_mov_b32 s23, 0x20000
	s_waitcnt vmcnt(0)
	v_perm_b32 v2, v13, v12, s7
	v_perm_b32 v3, v11, v10, s7
	;; [unrolled: 1-line block ×4, first 2 shown]
	v_lshlrev_b32_e32 v15, 4, v0
	buffer_store_dwordx4 v[2:5], v15, s[20:23], 0 offen
	;;#ASMSTART
	s_nop 0
	;;#ASMEND
.LBB112_11:
	s_or_b64 exec, exec, s[10:11]
	s_cbranch_execnz .LBB112_7
.LBB112_12:
	s_and_saveexec_b64 s[10:11], s[0:1]
	s_cbranch_execz .LBB112_14
; %bb.13:
	s_load_dwordx2 s[0:1], s[4:5], 0x10
	s_waitcnt lgkmcnt(0)
	s_mul_hi_i32 s21, s14, s6
	s_mul_i32 s20, s14, s6
	s_lshl_b64 s[20:21], s[20:21], 1
	s_mov_b32 s23, 0x20000
	s_add_u32 s20, s0, s20
	s_addc_u32 s0, s1, s21
	s_and_b32 s21, s0, 0xffff
	s_mov_b32 s0, 0x7060302
	s_waitcnt vmcnt(0)
	v_perm_b32 v2, v13, v12, s0
	v_perm_b32 v3, v11, v10, s0
	;; [unrolled: 1-line block ×4, first 2 shown]
	v_lshlrev_b32_e32 v6, 4, v0
	buffer_store_dwordx4 v[2:5], v6, s[20:23], 0 offen
	;;#ASMSTART
	s_nop 0
	;;#ASMEND
.LBB112_14:
	s_or_b64 exec, exec, s[10:11]
	s_cmp_lt_i32 s16, 1
	s_cbranch_scc1 .LBB112_8
.LBB112_15:
	s_load_dword s0, s[4:5], 0x94
	s_waitcnt lgkmcnt(0)
	s_cmp_lg_u32 s0, 1
	s_cbranch_scc1 .LBB112_8
; %bb.16:
	s_lshl_b32 s0, s16, 1
	s_add_i32 s0, s0, 2
	v_cmp_gt_u32_e32 vcc, s16, v1
	s_and_b32 s10, s0, -4
	s_waitcnt vmcnt(0)
	v_mov_b32_e32 v4, 0
	v_lshlrev_b32_e32 v12, 4, v0
	v_mov_b32_e32 v5, 0
	v_mov_b32_e32 v6, 0
	;; [unrolled: 1-line block ×7, first 2 shown]
	s_barrier
	s_and_saveexec_b64 s[0:1], vcc
	s_cbranch_execz .LBB112_18
; %bb.17:
	s_mul_hi_i32 s5, s18, s6
	s_mul_i32 s4, s18, s6
	s_and_b32 s9, s9, 0xffff
	s_lshl_b64 s[4:5], s[4:5], 1
	s_add_u32 s20, s24, s4
	s_mov_b32 s11, 0x20000
	s_addc_u32 s4, s25, s5
	s_and_b32 s21, s4, 0xffff
	s_mov_b32 s22, s10
	s_mov_b32 s23, s11
	buffer_load_dwordx4 v[4:7], v12, s[20:23], 0 offen glc slc
	buffer_load_dwordx4 v[0:3], v12, s[8:11], 0 offen
.LBB112_18:
	s_or_b64 exec, exec, s[0:1]
	s_waitcnt vmcnt(1)
	v_cvt_f32_u32_sdwa v11, v4 dst_sel:DWORD dst_unused:UNUSED_PAD src0_sel:WORD_1
	v_cvt_f32_u32_sdwa v10, v4 dst_sel:DWORD dst_unused:UNUSED_PAD src0_sel:WORD_0
	v_cvt_f32_u32_sdwa v4, v7 dst_sel:DWORD dst_unused:UNUSED_PAD src0_sel:WORD_1
	v_cvt_f32_u32_sdwa v7, v7 dst_sel:DWORD dst_unused:UNUSED_PAD src0_sel:WORD_0
	;; [unrolled: 2-line block ×4, first 2 shown]
	v_cndmask_b32_e32 v11, 0, v11, vcc
	v_cndmask_b32_e32 v5, 0, v4, vcc
	;; [unrolled: 1-line block ×5, first 2 shown]
	v_mul_f32_e32 v13, v11, v11
	v_cndmask_b32_e32 v8, 0, v8, vcc
	v_fmac_f32_e32 v13, v10, v10
	v_cndmask_b32_e32 v9, 0, v9, vcc
	v_fmac_f32_e32 v13, v8, v8
	;; [unrolled: 2-line block ×3, first 2 shown]
	v_fmac_f32_e32 v13, v6, v6
	v_fmac_f32_e32 v13, v7, v7
	;; [unrolled: 1-line block ×4, first 2 shown]
	s_nop 1
	v_mov_b32_dpp v15, v13 quad_perm:[1,0,3,2] row_mask:0xf bank_mask:0xf
	v_add_f32_e32 v13, v13, v15
	s_nop 1
	v_mov_b32_dpp v15, v13 quad_perm:[2,3,0,1] row_mask:0xf bank_mask:0xf
	v_add_f32_e32 v13, v13, v15
	s_nop 1
	v_mov_b32_dpp v15, v13 row_half_mirror row_mask:0xf bank_mask:0xf
	v_add_f32_e32 v13, v13, v15
	s_nop 1
	v_mov_b32_dpp v15, v13 row_mirror row_mask:0xf bank_mask:0xf
	v_add_f32_e32 v13, v13, v15
	s_nop 1
	v_mov_b32_dpp v15, v13 row_bcast:15 row_mask:0xf bank_mask:0xf
	v_add_f32_e32 v13, v13, v15
	s_nop 1
	v_mov_b32_dpp v15, v13 row_bcast:31 row_mask:0xf bank_mask:0xf
	v_add_f32_e32 v13, v13, v15
	ds_bpermute_b32 v13, v14, v13
	s_and_saveexec_b64 s[0:1], vcc
	s_cbranch_execz .LBB112_8
; %bb.19:
	v_cvt_f32_u32_e32 v14, s16
	s_mov_b32 s11, 0x20000
	s_waitcnt lgkmcnt(0)
	v_div_scale_f32 v15, s[0:1], v14, v14, v13
	v_rcp_f32_e32 v16, v15
	v_div_scale_f32 v17, vcc, v13, v14, v13
	s_mov_b32 s0, 0x800000
	v_fma_f32 v18, -v15, v16, 1.0
	v_fmac_f32_e32 v16, v18, v16
	v_mul_f32_e32 v18, v17, v16
	v_fma_f32 v19, -v15, v18, v17
	v_fmac_f32_e32 v18, v19, v16
	v_fma_f32 v15, -v15, v18, v17
	v_div_fmas_f32 v15, v15, v16, v18
	v_div_fixup_f32 v13, v15, v14, v13
	v_add_f32_e32 v13, s13, v13
	v_mul_f32_e32 v14, 0x4b800000, v13
	v_cmp_gt_f32_e32 vcc, s0, v13
	v_cndmask_b32_e32 v13, v13, v14, vcc
	v_rsq_f32_e32 v13, v13
	s_mul_hi_i32 s1, s15, s6
	s_mul_i32 s0, s15, s6
	s_lshl_b64 s[0:1], s[0:1], 1
	v_mul_f32_e32 v14, 0x45800000, v13
	v_cndmask_b32_e32 v14, v13, v14, vcc
	s_add_u32 s8, s2, s0
	v_mov_b32_e32 v15, v14
	s_addc_u32 s0, s3, s1
	;;#ASMSTART
	v_pk_mul_f32 v[10:11], v[10:11], v[14:15]
	;;#ASMEND
	;;#ASMSTART
	v_pk_mul_f32 v[8:9], v[8:9], v[14:15]
	;;#ASMEND
	;; [unrolled: 3-line block ×4, first 2 shown]
	s_waitcnt vmcnt(0)
	v_cvt_f32_u32_sdwa v15, v0 dst_sel:DWORD dst_unused:UNUSED_PAD src0_sel:WORD_1
	v_cvt_f32_u32_sdwa v14, v0 dst_sel:DWORD dst_unused:UNUSED_PAD src0_sel:WORD_0
	v_cvt_f32_u32_sdwa v17, v1 dst_sel:DWORD dst_unused:UNUSED_PAD src0_sel:WORD_1
	v_cvt_f32_u32_sdwa v16, v1 dst_sel:DWORD dst_unused:UNUSED_PAD src0_sel:WORD_0
	v_cvt_f32_u32_sdwa v1, v2 dst_sel:DWORD dst_unused:UNUSED_PAD src0_sel:WORD_1
	v_cvt_f32_u32_sdwa v0, v2 dst_sel:DWORD dst_unused:UNUSED_PAD src0_sel:WORD_0
	v_cvt_f32_u32_sdwa v19, v3 dst_sel:DWORD dst_unused:UNUSED_PAD src0_sel:WORD_1
	v_cvt_f32_u32_sdwa v18, v3 dst_sel:DWORD dst_unused:UNUSED_PAD src0_sel:WORD_0
	;;#ASMSTART
	v_pk_mul_f32 v[2:3], v[10:11], v[14:15]
	;;#ASMEND
	s_and_b32 s9, s0, 0xffff
	s_mov_b32 s0, 0x7060302
	;;#ASMSTART
	v_pk_mul_f32 v[8:9], v[8:9], v[16:17]
	;;#ASMEND
	;;#ASMSTART
	v_pk_mul_f32 v[6:7], v[6:7], v[0:1]
	;;#ASMEND
	;; [unrolled: 3-line block ×3, first 2 shown]
	v_perm_b32 v0, v3, v2, s0
	v_perm_b32 v1, v9, v8, s0
	;; [unrolled: 1-line block ×4, first 2 shown]
	buffer_store_dwordx4 v[0:3], v12, s[8:11], 0 offen
	;;#ASMSTART
	s_nop 0
	;;#ASMEND
	s_endpgm
	.section	.rodata,"a",@progbits
	.p2align	6, 0x0
	.amdhsa_kernel _ZN5aiter35fused_qk_rmsnorm_group_quant_kernelItN4opus5fp4_tELi64ELi8ELi16ELb0ELb1ELb0ELb1ELb0ELb0EEEvPT0_PvPT_S7_S7_PKS6_S9_S9_S9_S9_ffiiiiiiiiiiiii
		.amdhsa_group_segment_fixed_size 0
		.amdhsa_private_segment_fixed_size 0
		.amdhsa_kernarg_size 400
		.amdhsa_user_sgpr_count 6
		.amdhsa_user_sgpr_private_segment_buffer 1
		.amdhsa_user_sgpr_dispatch_ptr 0
		.amdhsa_user_sgpr_queue_ptr 0
		.amdhsa_user_sgpr_kernarg_segment_ptr 1
		.amdhsa_user_sgpr_dispatch_id 0
		.amdhsa_user_sgpr_flat_scratch_init 0
		.amdhsa_user_sgpr_kernarg_preload_length 0
		.amdhsa_user_sgpr_kernarg_preload_offset 0
		.amdhsa_user_sgpr_private_segment_size 0
		.amdhsa_uses_dynamic_stack 0
		.amdhsa_system_sgpr_private_segment_wavefront_offset 0
		.amdhsa_system_sgpr_workgroup_id_x 1
		.amdhsa_system_sgpr_workgroup_id_y 1
		.amdhsa_system_sgpr_workgroup_id_z 0
		.amdhsa_system_sgpr_workgroup_info 0
		.amdhsa_system_vgpr_workitem_id 0
		.amdhsa_next_free_vgpr 23
		.amdhsa_next_free_sgpr 32
		.amdhsa_accum_offset 24
		.amdhsa_reserve_vcc 1
		.amdhsa_reserve_flat_scratch 0
		.amdhsa_float_round_mode_32 0
		.amdhsa_float_round_mode_16_64 0
		.amdhsa_float_denorm_mode_32 3
		.amdhsa_float_denorm_mode_16_64 3
		.amdhsa_dx10_clamp 1
		.amdhsa_ieee_mode 1
		.amdhsa_fp16_overflow 0
		.amdhsa_tg_split 0
		.amdhsa_exception_fp_ieee_invalid_op 0
		.amdhsa_exception_fp_denorm_src 0
		.amdhsa_exception_fp_ieee_div_zero 0
		.amdhsa_exception_fp_ieee_overflow 0
		.amdhsa_exception_fp_ieee_underflow 0
		.amdhsa_exception_fp_ieee_inexact 0
		.amdhsa_exception_int_div_zero 0
	.end_amdhsa_kernel
	.section	.text._ZN5aiter35fused_qk_rmsnorm_group_quant_kernelItN4opus5fp4_tELi64ELi8ELi16ELb0ELb1ELb0ELb1ELb0ELb0EEEvPT0_PvPT_S7_S7_PKS6_S9_S9_S9_S9_ffiiiiiiiiiiiii,"axG",@progbits,_ZN5aiter35fused_qk_rmsnorm_group_quant_kernelItN4opus5fp4_tELi64ELi8ELi16ELb0ELb1ELb0ELb1ELb0ELb0EEEvPT0_PvPT_S7_S7_PKS6_S9_S9_S9_S9_ffiiiiiiiiiiiii,comdat
.Lfunc_end112:
	.size	_ZN5aiter35fused_qk_rmsnorm_group_quant_kernelItN4opus5fp4_tELi64ELi8ELi16ELb0ELb1ELb0ELb1ELb0ELb0EEEvPT0_PvPT_S7_S7_PKS6_S9_S9_S9_S9_ffiiiiiiiiiiiii, .Lfunc_end112-_ZN5aiter35fused_qk_rmsnorm_group_quant_kernelItN4opus5fp4_tELi64ELi8ELi16ELb0ELb1ELb0ELb1ELb0ELb0EEEvPT0_PvPT_S7_S7_PKS6_S9_S9_S9_S9_ffiiiiiiiiiiiii
                                        ; -- End function
	.section	.AMDGPU.csdata,"",@progbits
; Kernel info:
; codeLenInByte = 1904
; NumSgprs: 36
; NumVgprs: 23
; NumAgprs: 0
; TotalNumVgprs: 23
; ScratchSize: 0
; MemoryBound: 0
; FloatMode: 240
; IeeeMode: 1
; LDSByteSize: 0 bytes/workgroup (compile time only)
; SGPRBlocks: 4
; VGPRBlocks: 2
; NumSGPRsForWavesPerEU: 36
; NumVGPRsForWavesPerEU: 23
; AccumOffset: 24
; Occupancy: 8
; WaveLimiterHint : 0
; COMPUTE_PGM_RSRC2:SCRATCH_EN: 0
; COMPUTE_PGM_RSRC2:USER_SGPR: 6
; COMPUTE_PGM_RSRC2:TRAP_HANDLER: 0
; COMPUTE_PGM_RSRC2:TGID_X_EN: 1
; COMPUTE_PGM_RSRC2:TGID_Y_EN: 1
; COMPUTE_PGM_RSRC2:TGID_Z_EN: 0
; COMPUTE_PGM_RSRC2:TIDIG_COMP_CNT: 0
; COMPUTE_PGM_RSRC3_GFX90A:ACCUM_OFFSET: 5
; COMPUTE_PGM_RSRC3_GFX90A:TG_SPLIT: 0
	.section	.text._ZN5aiter35fused_qk_rmsnorm_group_quant_kernelIDF16_DB8_Li64ELi8ELi16ELb1ELb1ELb1ELb0ELb0ELb0EEEvPT0_PvPT_S6_S6_PKS5_S8_S8_S8_S8_ffiiiiiiiiiiiii,"axG",@progbits,_ZN5aiter35fused_qk_rmsnorm_group_quant_kernelIDF16_DB8_Li64ELi8ELi16ELb1ELb1ELb1ELb0ELb0ELb0EEEvPT0_PvPT_S6_S6_PKS5_S8_S8_S8_S8_ffiiiiiiiiiiiii,comdat
	.protected	_ZN5aiter35fused_qk_rmsnorm_group_quant_kernelIDF16_DB8_Li64ELi8ELi16ELb1ELb1ELb1ELb0ELb0ELb0EEEvPT0_PvPT_S6_S6_PKS5_S8_S8_S8_S8_ffiiiiiiiiiiiii ; -- Begin function _ZN5aiter35fused_qk_rmsnorm_group_quant_kernelIDF16_DB8_Li64ELi8ELi16ELb1ELb1ELb1ELb0ELb0ELb0EEEvPT0_PvPT_S6_S6_PKS5_S8_S8_S8_S8_ffiiiiiiiiiiiii
	.globl	_ZN5aiter35fused_qk_rmsnorm_group_quant_kernelIDF16_DB8_Li64ELi8ELi16ELb1ELb1ELb1ELb0ELb0ELb0EEEvPT0_PvPT_S6_S6_PKS5_S8_S8_S8_S8_ffiiiiiiiiiiiii
	.p2align	8
	.type	_ZN5aiter35fused_qk_rmsnorm_group_quant_kernelIDF16_DB8_Li64ELi8ELi16ELb1ELb1ELb1ELb0ELb0ELb0EEEvPT0_PvPT_S6_S6_PKS5_S8_S8_S8_S8_ffiiiiiiiiiiiii,@function
_ZN5aiter35fused_qk_rmsnorm_group_quant_kernelIDF16_DB8_Li64ELi8ELi16ELb1ELb1ELb1ELb0ELb0ELb0EEEvPT0_PvPT_S6_S6_PKS5_S8_S8_S8_S8_ffiiiiiiiiiiiii: ; @_ZN5aiter35fused_qk_rmsnorm_group_quant_kernelIDF16_DB8_Li64ELi8ELi16ELb1ELb1ELb1ELb0ELb0ELb0EEEvPT0_PvPT_S6_S6_PKS5_S8_S8_S8_S8_ffiiiiiiiiiiiii
; %bb.0:
	s_load_dwordx8 s[16:23], s[4:5], 0x50
	s_waitcnt lgkmcnt(0)
	s_cmp_ge_i32 s6, s18
	s_cbranch_scc1 .LBB113_15
; %bb.1:
	s_cmp_lg_u32 s7, 0
	s_cselect_b64 s[2:3], -1, 0
	s_cmp_eq_u32 s7, 0
	s_cselect_b64 s[26:27], -1, 0
	s_and_b64 s[0:1], s[26:27], exec
	s_load_dwordx2 s[24:25], s[4:5], 0x48
	s_load_dwordx2 s[34:35], s[4:5], 0x30
	s_load_dwordx8 s[8:15], s[4:5], 0x70
	s_cselect_b32 s7, s19, s20
	s_add_i32 s0, s7, 1
	s_lshr_b32 s1, s0, 31
	s_add_i32 s0, s0, s1
	s_lshl_b32 s0, s0, 1
	v_lshlrev_b32_e32 v1, 3, v0
	s_and_b32 s30, s0, -4
	v_cmp_gt_i32_e64 s[0:1], s7, v1
	v_mov_b32_e32 v20, 0
	v_mov_b32_e32 v21, 0
	;; [unrolled: 1-line block ×8, first 2 shown]
	s_waitcnt lgkmcnt(0)
	s_and_saveexec_b64 s[14:15], s[0:1]
	s_cbranch_execz .LBB113_3
; %bb.2:
	s_load_dwordx2 s[28:29], s[4:5], 0x28
	s_load_dwordx2 s[38:39], s[4:5], 0x40
	s_and_b64 s[36:37], s[26:27], exec
	s_cselect_b32 s18, s21, s22
	v_lshlrev_b32_e32 v2, 4, v0
	s_waitcnt lgkmcnt(0)
	s_cselect_b32 s21, s29, s35
	s_cselect_b32 s31, s28, s34
	s_mul_hi_i32 s29, s18, s6
	s_mul_i32 s28, s18, s6
	s_lshl_b64 s[28:29], s[28:29], 1
	s_add_u32 s36, s31, s28
	s_addc_u32 s18, s21, s29
	s_and_b64 s[26:27], s[26:27], exec
	s_mov_b32 s31, 0x20000
	s_cselect_b32 s28, s38, s24
	s_cselect_b32 s21, s39, s25
	s_and_b32 s37, s18, 0xffff
	s_mov_b32 s38, s30
	s_mov_b32 s39, s31
	s_and_b32 s29, s21, 0xffff
	buffer_load_dwordx4 v[24:27], v2, s[36:39], 0 offen glc slc
	buffer_load_dwordx4 v[20:23], v2, s[28:31], 0 offen
.LBB113_3:
	s_or_b64 exec, exec, s[14:15]
	s_and_b64 vcc, exec, s[2:3]
	s_cbranch_vccz .LBB113_7
; %bb.4:
	v_mov_b32_e32 v29, 0
	v_mov_b32_e32 v28, 0
	;; [unrolled: 1-line block ×8, first 2 shown]
	s_and_saveexec_b64 s[14:15], s[0:1]
	s_cbranch_execz .LBB113_6
; %bb.5:
	s_waitcnt vmcnt(1)
	v_cvt_f32_f16_sdwa v11, v24 dst_sel:DWORD dst_unused:UNUSED_PAD src0_sel:WORD_1
	v_cvt_f32_f16_e32 v10, v24
	v_cvt_f32_f16_sdwa v15, v25 dst_sel:DWORD dst_unused:UNUSED_PAD src0_sel:WORD_1
	v_cvt_f32_f16_e32 v14, v25
	;; [unrolled: 2-line block ×4, first 2 shown]
.LBB113_6:
	s_or_b64 exec, exec, s[14:15]
	s_mov_b32 s18, s17
	s_cbranch_execz .LBB113_8
	s_branch .LBB113_11
.LBB113_7:
                                        ; implicit-def: $vgpr10_vgpr11_vgpr12_vgpr13_vgpr14_vgpr15_vgpr16_vgpr17
                                        ; implicit-def: $vgpr29
                                        ; implicit-def: $vgpr12_vgpr13_vgpr14_vgpr15_vgpr16_vgpr17_vgpr18_vgpr19
                                        ; implicit-def: $vgpr2_vgpr3_vgpr4_vgpr5_vgpr6_vgpr7_vgpr8_vgpr9
	s_mov_b32 s18, s17
.LBB113_8:
	v_mov_b32_e32 v29, 0
	v_mov_b32_e32 v28, 0
	;; [unrolled: 1-line block ×8, first 2 shown]
	s_and_saveexec_b64 s[14:15], s[0:1]
	s_cbranch_execz .LBB113_10
; %bb.9:
	s_load_dwordx2 s[26:27], s[4:5], 0x38
	s_mul_hi_i32 s29, s23, s6
	s_mul_i32 s28, s23, s6
	s_lshl_b64 s[28:29], s[28:29], 1
	s_mov_b32 s31, 0x20000
	s_waitcnt lgkmcnt(0)
	s_add_u32 s28, s26, s28
	s_addc_u32 s18, s27, s29
	s_and_b32 s29, s18, 0xffff
	v_lshlrev_b32_e32 v30, 4, v0
	buffer_load_dwordx4 v[2:5], v30, s[28:31], 0 offen glc slc
	s_waitcnt vmcnt(2)
	v_cvt_f32_f16_sdwa v7, v24 dst_sel:DWORD dst_unused:UNUSED_PAD src0_sel:WORD_1
	v_cvt_f32_f16_e32 v6, v24
	v_cvt_f32_f16_sdwa v9, v25 dst_sel:DWORD dst_unused:UNUSED_PAD src0_sel:WORD_1
	v_cvt_f32_f16_e32 v8, v25
	;; [unrolled: 2-line block ×4, first 2 shown]
	s_load_dwordx2 s[26:27], s[4:5], 0x20
	s_mul_hi_i32 s29, s13, s6
	s_mul_i32 s28, s13, s6
	s_lshl_b64 s[28:29], s[28:29], 1
	s_waitcnt lgkmcnt(0)
	s_add_u32 s28, s26, s28
	s_addc_u32 s13, s27, s29
	s_and_b32 s29, s13, 0xffff
	s_waitcnt vmcnt(0)
	v_cvt_f32_f16_e32 v10, v2
	v_cvt_f32_f16_sdwa v11, v2 dst_sel:DWORD dst_unused:UNUSED_PAD src0_sel:WORD_1
	v_cvt_f32_f16_e32 v2, v3
	v_cvt_f32_f16_sdwa v3, v3 dst_sel:DWORD dst_unused:UNUSED_PAD src0_sel:WORD_1
	;; [unrolled: 2-line block ×4, first 2 shown]
	v_pk_add_f32 v[10:11], v[6:7], v[10:11]
	v_pk_add_f32 v[14:15], v[8:9], v[2:3]
	;; [unrolled: 1-line block ×4, first 2 shown]
	v_cvt_f16_f32_e32 v2, v11
	v_cvt_f16_f32_e32 v3, v15
	;; [unrolled: 1-line block ×8, first 2 shown]
	v_pack_b32_f16 v5, v8, v5
	v_pack_b32_f16 v4, v9, v4
	;; [unrolled: 1-line block ×4, first 2 shown]
	buffer_store_dwordx4 v[2:5], v30, s[28:31], 0 offen glc slc
	;;#ASMSTART
	s_nop 0
	;;#ASMEND
.LBB113_10:
	s_or_b64 exec, exec, s[14:15]
	s_mov_b32 s18, s16
.LBB113_11:
	v_mul_f32_e32 v2, v11, v11
	v_fmac_f32_e32 v2, v10, v10
	v_fmac_f32_e32 v2, v14, v14
	;; [unrolled: 1-line block ×7, first 2 shown]
	v_bfrev_b32_e32 v4, 0.5
	s_load_dwordx2 s[14:15], s[4:5], 0x18
	v_mov_b32_dpp v3, v2 quad_perm:[1,0,3,2] row_mask:0xf bank_mask:0xf
	v_add_f32_e32 v2, v2, v3
	s_nop 1
	v_mov_b32_dpp v3, v2 quad_perm:[2,3,0,1] row_mask:0xf bank_mask:0xf
	v_add_f32_e32 v2, v2, v3
	s_nop 1
	v_mov_b32_dpp v3, v2 row_half_mirror row_mask:0xf bank_mask:0xf
	v_add_f32_e32 v2, v2, v3
	s_nop 1
	v_mov_b32_dpp v3, v2 row_mirror row_mask:0xf bank_mask:0xf
	v_add_f32_e32 v2, v2, v3
	s_nop 1
	v_mov_b32_dpp v3, v2 row_bcast:15 row_mask:0xf bank_mask:0xf
	v_add_f32_e32 v2, v2, v3
	s_nop 1
	v_mov_b32_dpp v3, v2 row_bcast:31 row_mask:0xf bank_mask:0xf
	v_add_f32_e32 v2, v2, v3
	v_mbcnt_lo_u32_b32 v3, -1, 0
	v_mbcnt_hi_u32_b32 v3, -1, v3
	v_lshl_or_b32 v16, v3, 2, v4
	ds_bpermute_b32 v2, v16, v2
	s_and_saveexec_b64 s[26:27], s[0:1]
	s_cbranch_execnz .LBB113_16
; %bb.12:
	s_or_b64 exec, exec, s[26:27]
	s_mov_b64 s[26:27], -1
	s_and_b64 vcc, exec, s[2:3]
	s_cbranch_vccnz .LBB113_17
.LBB113_13:
	s_andn2_b64 vcc, exec, s[26:27]
	s_cbranch_vccz .LBB113_20
.LBB113_14:
	s_cmp_lt_i32 s20, 1
	s_cbranch_scc0 .LBB113_29
.LBB113_15:
	s_endpgm
.LBB113_16:
	v_cvt_f32_u32_e32 v3, s7
	s_mov_b32 s7, 0x800000
	s_waitcnt vmcnt(0)
	v_cvt_f32_f16_sdwa v19, v23 dst_sel:DWORD dst_unused:UNUSED_PAD src0_sel:WORD_1
	v_cvt_f32_f16_e32 v18, v23
	s_waitcnt lgkmcnt(0)
	v_div_scale_f32 v4, s[28:29], v3, v3, v2
	v_rcp_f32_e32 v5, v4
	v_div_scale_f32 v8, vcc, v2, v3, v2
	v_fma_f32 v9, -v4, v5, 1.0
	v_fmac_f32_e32 v5, v9, v5
	v_mul_f32_e32 v9, v8, v5
	v_fma_f32 v12, -v4, v9, v8
	v_fmac_f32_e32 v9, v12, v5
	v_fma_f32 v4, -v4, v9, v8
	v_div_fmas_f32 v4, v4, v5, v9
	v_div_fixup_f32 v2, v4, v3, v2
	v_add_f32_e32 v2, s18, v2
	v_mul_f32_e32 v3, 0x4b800000, v2
	v_cmp_gt_f32_e32 vcc, s7, v2
	v_cndmask_b32_e32 v2, v2, v3, vcc
	v_rsq_f32_e32 v2, v2
	v_cvt_f32_f16_sdwa v3, v20 dst_sel:DWORD dst_unused:UNUSED_PAD src0_sel:WORD_1
	v_mul_f32_e32 v4, 0x45800000, v2
	v_cndmask_b32_e32 v4, v2, v4, vcc
	v_cvt_f32_f16_e32 v2, v20
	v_mov_b32_e32 v5, v4
	;;#ASMSTART
	v_pk_mul_f32 v[8:9], v[10:11], v[4:5]
	;;#ASMEND
	;;#ASMSTART
	v_pk_mul_f32 v[12:13], v[14:15], v[4:5]
	;;#ASMEND
	v_cvt_f32_f16_sdwa v15, v21 dst_sel:DWORD dst_unused:UNUSED_PAD src0_sel:WORD_1
	v_cvt_f32_f16_e32 v14, v21
	;;#ASMSTART
	v_pk_mul_f32 v[6:7], v[6:7], v[4:5]
	;;#ASMEND
	;;#ASMSTART
	v_pk_mul_f32 v[4:5], v[28:29], v[4:5]
	;;#ASMEND
	v_pk_add_f32 v[2:3], v[2:3], 1.0 op_sel_hi:[1,0]
	;;#ASMSTART
	v_pk_mul_f32 v[10:11], v[8:9], v[2:3]
	;;#ASMEND
	v_cvt_f32_f16_sdwa v9, v22 dst_sel:DWORD dst_unused:UNUSED_PAD src0_sel:WORD_1
	v_cvt_f32_f16_e32 v8, v22
	v_pk_add_f32 v[2:3], v[14:15], 1.0 op_sel_hi:[1,0]
	;;#ASMSTART
	v_pk_mul_f32 v[14:15], v[12:13], v[2:3]
	;;#ASMEND
	v_pk_add_f32 v[2:3], v[8:9], 1.0 op_sel_hi:[1,0]
	;;#ASMSTART
	v_pk_mul_f32 v[6:7], v[6:7], v[2:3]
	;;#ASMEND
	;; [unrolled: 4-line block ×3, first 2 shown]
	s_or_b64 exec, exec, s[26:27]
	s_mov_b64 s[26:27], -1
	s_and_b64 vcc, exec, s[2:3]
	s_cbranch_vccz .LBB113_13
.LBB113_17:
	s_and_saveexec_b64 s[2:3], s[0:1]
	s_cbranch_execz .LBB113_19
; %bb.18:
	s_mul_hi_i32 s27, s12, s6
	s_mul_i32 s26, s12, s6
	s_waitcnt lgkmcnt(0)
	v_cvt_f16_f32_e32 v2, v10
	v_cvt_f16_f32_e32 v3, v14
	;; [unrolled: 1-line block ×8, first 2 shown]
	s_lshl_b64 s[26:27], s[26:27], 1
	s_add_u32 s28, s14, s26
	s_addc_u32 s7, s15, s27
	s_and_b32 s29, s7, 0xffff
	s_mov_b32 s31, 0x20000
	v_pack_b32_f16 v5, v5, v8
	v_pack_b32_f16 v4, v4, v9
	;; [unrolled: 1-line block ×4, first 2 shown]
	v_lshlrev_b32_e32 v8, 4, v0
	buffer_store_dwordx4 v[2:5], v8, s[28:31], 0 offen
	;;#ASMSTART
	s_nop 0
	;;#ASMEND
.LBB113_19:
	s_or_b64 exec, exec, s[2:3]
	s_cbranch_execnz .LBB113_14
.LBB113_20:
	s_waitcnt lgkmcnt(0)
	v_mov_b32_e32 v2, 0
	s_and_saveexec_b64 s[2:3], s[0:1]
	s_cbranch_execz .LBB113_22
; %bb.21:
	s_load_dwordx2 s[26:27], s[4:5], 0x10
	s_mul_hi_i32 s29, s11, s6
	s_mul_i32 s28, s11, s6
	v_cvt_f16_f32_e32 v2, v10
	v_cvt_f16_f32_e32 v3, v14
	;; [unrolled: 1-line block ×8, first 2 shown]
	s_lshl_b64 s[28:29], s[28:29], 1
	s_waitcnt lgkmcnt(0)
	s_add_u32 s28, s26, s28
	s_addc_u32 s7, s27, s29
	s_mov_b32 s31, 0x20000
	s_and_b32 s29, s7, 0xffff
	v_pack_b32_f16 v5, v5, v8
	v_pack_b32_f16 v4, v4, v9
	;; [unrolled: 1-line block ×4, first 2 shown]
	v_lshlrev_b32_e32 v8, 4, v0
	buffer_store_dwordx4 v[2:5], v8, s[28:31], 0 offen
	;;#ASMSTART
	s_nop 0
	;;#ASMEND
	s_nop 0
	v_mov_b32_e32 v2, 0x2edbe6ff
.LBB113_22:
	s_or_b64 exec, exec, s[2:3]
	s_and_saveexec_b64 s[2:3], s[0:1]
	s_cbranch_execz .LBB113_24
; %bb.23:
	v_and_b32_e32 v3, 0x7fffffff, v10
	v_and_b32_e32 v4, 0x7fffffff, v11
	;;#ASMSTART
	v_max3_f32 v2, v2, v3, v4

	;;#ASMEND
	v_and_b32_e32 v3, 0x7fffffff, v14
	v_and_b32_e32 v4, 0x7fffffff, v15
	;;#ASMSTART
	v_max3_f32 v2, v2, v3, v4

	;;#ASMEND
	;; [unrolled: 6-line block ×4, first 2 shown]
.LBB113_24:
	s_or_b64 exec, exec, s[2:3]
	;;#ASMSTART
	v_max_f32 v3, v2, v2 quad_perm:[1,0,3,2] row_mask:0xf bank_mask:0xf bound_ctrl:1
	;;#ASMEND
	;;#ASMSTART
	v_max_f32 v2, v3, v3 quad_perm:[2,3,0,1] row_mask:0xf bank_mask:0xf bound_ctrl:1
	;;#ASMEND
	;;#ASMSTART
	v_max_f32 v3, v2, v2 row_half_mirror row_mask:0xf bank_mask:0xf bound_ctrl:1
	;;#ASMEND
	;;#ASMSTART
	v_max_f32 v2, v3, v3 row_mirror row_mask:0xf bank_mask:0xf bound_ctrl:1
	;;#ASMEND
	v_and_b32_e32 v3, 15, v0
	v_cmp_eq_u32_e32 vcc, 0, v3
	v_cmp_gt_i32_e64 s[2:3], s19, v1
	v_mul_f32_e32 v2, 0x3b124925, v2
	s_and_b64 s[26:27], vcc, s[2:3]
	s_and_saveexec_b64 s[2:3], s[26:27]
	s_cbranch_execz .LBB113_26
; %bb.25:
	s_load_dwordx2 s[26:27], s[4:5], 0x8
	v_lshrrev_b32_e32 v3, 4, v0
	s_mul_hi_i32 s29, s9, s6
	s_mul_i32 s28, s9, s6
	v_mad_i64_i32 v[4:5], s[10:11], s10, v3, 0
	s_lshl_b64 s[10:11], s[28:29], 2
	s_waitcnt lgkmcnt(0)
	s_add_u32 s7, s26, s10
	s_addc_u32 s9, s27, s11
	v_lshlrev_b64 v[4:5], 2, v[4:5]
	v_mov_b32_e32 v3, s9
	v_add_co_u32_e32 v4, vcc, s7, v4
	v_addc_co_u32_e32 v5, vcc, v3, v5, vcc
	global_store_dword v[4:5], v2, off
.LBB113_26:
	s_or_b64 exec, exec, s[2:3]
	;;#ASMSTART
	v_rcp_f32 v2, v2
	;;#ASMEND
	s_and_saveexec_b64 s[10:11], s[0:1]
	s_cbranch_execz .LBB113_28
; %bb.27:
	v_mov_b32_e32 v3, v2
	;;#ASMSTART
	v_pk_mul_f32 v[4:5], v[10:11], v[2:3]
	;;#ASMEND
	s_load_dwordx2 s[0:1], s[4:5], 0x0
	v_mov_b32_e32 v8, 0xc3e00000
	v_mov_b32_e32 v9, 0x43e00000
	;;#ASMSTART
	v_med3_f32 v4, v4, v8, v9
v_med3_f32 v5, v5, v8, v9
v_cvt_pk_fp8_f32 v10, v4, v5
	;;#ASMEND
	;;#ASMSTART
	v_pk_mul_f32 v[4:5], v[14:15], v[2:3]
	;;#ASMEND
	s_mul_hi_i32 s2, s8, s6
	s_mul_i32 s3, s8, s6
	;;#ASMSTART
	v_med3_f32 v4, v4, v8, v9
v_med3_f32 v5, v5, v8, v9
v_cvt_pk_fp8_f32 v11, v4, v5
	;;#ASMEND
	s_mov_b32 s8, 0x5040100
	v_perm_b32 v5, v11, v10, s8
	s_movk_i32 s8, 0xff
	v_and_b32_e32 v4, 0xffffff00, v11
	v_and_b32_sdwa v10, v5, s8 dst_sel:DWORD dst_unused:UNUSED_PAD src0_sel:WORD_1 src1_sel:DWORD
	s_mov_b32 s7, 0xffff
	s_waitcnt lgkmcnt(0)
	s_add_u32 s0, s0, s3
	v_or_b32_sdwa v4, v10, v4 dst_sel:WORD_1 dst_unused:UNUSED_PAD src0_sel:DWORD src1_sel:DWORD
	s_addc_u32 s1, s1, s2
	s_add_i32 s2, s19, 3
	v_and_or_b32 v4, v5, s7, v4
	;;#ASMSTART
	v_pk_mul_f32 v[6:7], v[6:7], v[2:3]
	;;#ASMEND
	v_mov_b32_e32 v5, v7
	s_ashr_i32 s3, s2, 31
	;;#ASMSTART
	v_med3_f32 v6, v6, v8, v9
v_med3_f32 v5, v5, v8, v9
v_cvt_pk_fp8_f32 v7, v6, v5
	;;#ASMEND
	;;#ASMSTART
	v_pk_mul_f32 v[2:3], v[28:29], v[2:3]
	;;#ASMEND
	s_lshr_b32 s3, s3, 30
	;;#ASMSTART
	v_med3_f32 v2, v2, v8, v9
v_med3_f32 v3, v3, v8, v9
v_cvt_pk_fp8_f32 v5, v2, v3
	;;#ASMEND
	s_add_i32 s2, s2, s3
	v_lshlrev_b32_e32 v2, 16, v5
	s_and_b32 s2, s2, -4
	s_and_b32 s1, s1, 0xffff
	s_mov_b32 s3, 0x20000
	v_and_or_b32 v5, v7, s7, v2
	buffer_store_dwordx2 v[4:5], v1, s[0:3], 0 offen
	;;#ASMSTART
	s_nop 0
	;;#ASMEND
.LBB113_28:
	s_or_b64 exec, exec, s[10:11]
	s_cmp_lt_i32 s20, 1
	s_cbranch_scc1 .LBB113_15
.LBB113_29:
	s_load_dword s0, s[4:5], 0x94
	s_waitcnt lgkmcnt(0)
	s_cmp_lg_u32 s0, 1
	s_cbranch_scc1 .LBB113_15
; %bb.30:
	s_lshl_b32 s0, s20, 1
	s_add_i32 s0, s0, 2
	v_cmp_gt_u32_e32 vcc, s20, v1
	s_and_b32 s26, s0, -4
	v_mov_b32_e32 v8, 0
	v_lshlrev_b32_e32 v17, 4, v0
	v_mov_b32_e32 v4, 0
	v_mov_b32_e32 v5, 0
	v_mov_b32_e32 v6, 0
	v_mov_b32_e32 v7, 0
	v_mov_b32_e32 v0, 0
	v_mov_b32_e32 v1, 0
	v_mov_b32_e32 v2, 0
	v_mov_b32_e32 v3, 0
	s_barrier
	s_and_saveexec_b64 s[0:1], vcc
	s_cbranch_execz .LBB113_32
; %bb.31:
	s_mul_hi_i32 s3, s22, s6
	s_mul_i32 s2, s22, s6
	s_and_b32 s25, s25, 0xffff
	s_lshl_b64 s[2:3], s[2:3], 1
	s_add_u32 s8, s34, s2
	s_mov_b32 s27, 0x20000
	s_addc_u32 s2, s35, s3
	s_and_b32 s9, s2, 0xffff
	s_mov_b32 s10, s26
	s_mov_b32 s11, s27
	buffer_load_dwordx4 v[4:7], v17, s[8:11], 0 offen glc slc
	buffer_load_dwordx4 v[0:3], v17, s[24:27], 0 offen
.LBB113_32:
	s_or_b64 exec, exec, s[0:1]
	v_mov_b32_e32 v9, 0
	v_mov_b32_e32 v12, 0
	;; [unrolled: 1-line block ×7, first 2 shown]
	s_and_saveexec_b64 s[0:1], vcc
	s_cbranch_execz .LBB113_34
; %bb.33:
	s_waitcnt vmcnt(1)
	v_cvt_f32_f16_sdwa v9, v4 dst_sel:DWORD dst_unused:UNUSED_PAD src0_sel:WORD_1
	v_cvt_f32_f16_e32 v8, v4
	v_cvt_f32_f16_sdwa v13, v5 dst_sel:DWORD dst_unused:UNUSED_PAD src0_sel:WORD_1
	v_cvt_f32_f16_e32 v12, v5
	;; [unrolled: 2-line block ×4, first 2 shown]
.LBB113_34:
	s_or_b64 exec, exec, s[0:1]
	s_waitcnt vmcnt(1)
	v_mul_f32_e32 v4, v9, v9
	v_fmac_f32_e32 v4, v8, v8
	v_fmac_f32_e32 v4, v12, v12
	;; [unrolled: 1-line block ×7, first 2 shown]
	s_nop 1
	v_mov_b32_dpp v5, v4 quad_perm:[1,0,3,2] row_mask:0xf bank_mask:0xf
	v_add_f32_e32 v4, v4, v5
	s_nop 1
	v_mov_b32_dpp v5, v4 quad_perm:[2,3,0,1] row_mask:0xf bank_mask:0xf
	v_add_f32_e32 v4, v4, v5
	s_nop 1
	v_mov_b32_dpp v5, v4 row_half_mirror row_mask:0xf bank_mask:0xf
	v_add_f32_e32 v4, v4, v5
	s_nop 1
	v_mov_b32_dpp v5, v4 row_mirror row_mask:0xf bank_mask:0xf
	v_add_f32_e32 v4, v4, v5
	s_nop 1
	v_mov_b32_dpp v5, v4 row_bcast:15 row_mask:0xf bank_mask:0xf
	v_add_f32_e32 v4, v4, v5
	s_nop 1
	v_mov_b32_dpp v5, v4 row_bcast:31 row_mask:0xf bank_mask:0xf
	v_add_f32_e32 v4, v4, v5
	ds_bpermute_b32 v4, v16, v4
	s_and_saveexec_b64 s[0:1], vcc
	s_cbranch_execz .LBB113_15
; %bb.35:
	v_cvt_f32_u32_e32 v5, s20
	s_mov_b32 s27, 0x20000
	s_waitcnt lgkmcnt(0)
	v_div_scale_f32 v6, s[0:1], v5, v5, v4
	v_rcp_f32_e32 v7, v6
	v_div_scale_f32 v16, vcc, v4, v5, v4
	s_mov_b32 s0, 0x800000
	v_fma_f32 v18, -v6, v7, 1.0
	v_fmac_f32_e32 v7, v18, v7
	v_mul_f32_e32 v18, v16, v7
	v_fma_f32 v19, -v6, v18, v16
	v_fmac_f32_e32 v18, v19, v7
	v_fma_f32 v6, -v6, v18, v16
	v_div_fmas_f32 v6, v6, v7, v18
	v_div_fixup_f32 v4, v6, v5, v4
	v_add_f32_e32 v4, s17, v4
	v_mul_f32_e32 v5, 0x4b800000, v4
	v_cmp_gt_f32_e32 vcc, s0, v4
	v_cndmask_b32_e32 v4, v4, v5, vcc
	v_rsq_f32_e32 v4, v4
	s_waitcnt vmcnt(0)
	v_cvt_f32_f16_sdwa v5, v0 dst_sel:DWORD dst_unused:UNUSED_PAD src0_sel:WORD_1
	v_cvt_f32_f16_sdwa v19, v1 dst_sel:DWORD dst_unused:UNUSED_PAD src0_sel:WORD_1
	v_cvt_f32_f16_e32 v18, v1
	v_mul_f32_e32 v6, 0x45800000, v4
	v_cndmask_b32_e32 v6, v4, v6, vcc
	v_cvt_f32_f16_e32 v4, v0
	v_mov_b32_e32 v7, v6
	;;#ASMSTART
	v_pk_mul_f32 v[8:9], v[8:9], v[6:7]
	;;#ASMEND
	;;#ASMSTART
	v_pk_mul_f32 v[12:13], v[12:13], v[6:7]
	;;#ASMEND
	v_pk_add_f32 v[4:5], v[4:5], 1.0 op_sel_hi:[1,0]
	;;#ASMSTART
	v_pk_mul_f32 v[14:15], v[14:15], v[6:7]
	;;#ASMEND
	;;#ASMSTART
	v_pk_mul_f32 v[0:1], v[10:11], v[6:7]
	;;#ASMEND
	;; [unrolled: 3-line block ×3, first 2 shown]
	v_cvt_f32_f16_sdwa v9, v2 dst_sel:DWORD dst_unused:UNUSED_PAD src0_sel:WORD_1
	v_cvt_f32_f16_e32 v8, v2
	v_cvt_f32_f16_sdwa v11, v3 dst_sel:DWORD dst_unused:UNUSED_PAD src0_sel:WORD_1
	v_cvt_f32_f16_e32 v10, v3
	v_pk_add_f32 v[6:7], v[18:19], 1.0 op_sel_hi:[1,0]
	;;#ASMSTART
	v_pk_mul_f32 v[2:3], v[12:13], v[6:7]
	;;#ASMEND
	v_pk_add_f32 v[6:7], v[8:9], 1.0 op_sel_hi:[1,0]
	;;#ASMSTART
	v_pk_mul_f32 v[6:7], v[14:15], v[6:7]
	;;#ASMEND
	;; [unrolled: 4-line block ×3, first 2 shown]
	s_mul_hi_i32 s1, s12, s6
	s_mul_i32 s0, s12, s6
	v_cvt_f16_f32_e32 v4, v4
	v_cvt_f16_f32_e32 v5, v5
	;; [unrolled: 1-line block ×8, first 2 shown]
	s_lshl_b64 s[0:1], s[0:1], 1
	s_add_u32 s24, s14, s0
	s_addc_u32 s0, s15, s1
	s_and_b32 s25, s0, 0xffff
	v_pack_b32_f16 v0, v4, v5
	v_pack_b32_f16 v1, v2, v3
	;; [unrolled: 1-line block ×4, first 2 shown]
	buffer_store_dwordx4 v[0:3], v17, s[24:27], 0 offen
	;;#ASMSTART
	s_nop 0
	;;#ASMEND
	s_endpgm
	.section	.rodata,"a",@progbits
	.p2align	6, 0x0
	.amdhsa_kernel _ZN5aiter35fused_qk_rmsnorm_group_quant_kernelIDF16_DB8_Li64ELi8ELi16ELb1ELb1ELb1ELb0ELb0ELb0EEEvPT0_PvPT_S6_S6_PKS5_S8_S8_S8_S8_ffiiiiiiiiiiiii
		.amdhsa_group_segment_fixed_size 0
		.amdhsa_private_segment_fixed_size 0
		.amdhsa_kernarg_size 400
		.amdhsa_user_sgpr_count 6
		.amdhsa_user_sgpr_private_segment_buffer 1
		.amdhsa_user_sgpr_dispatch_ptr 0
		.amdhsa_user_sgpr_queue_ptr 0
		.amdhsa_user_sgpr_kernarg_segment_ptr 1
		.amdhsa_user_sgpr_dispatch_id 0
		.amdhsa_user_sgpr_flat_scratch_init 0
		.amdhsa_user_sgpr_kernarg_preload_length 0
		.amdhsa_user_sgpr_kernarg_preload_offset 0
		.amdhsa_user_sgpr_private_segment_size 0
		.amdhsa_uses_dynamic_stack 0
		.amdhsa_system_sgpr_private_segment_wavefront_offset 0
		.amdhsa_system_sgpr_workgroup_id_x 1
		.amdhsa_system_sgpr_workgroup_id_y 1
		.amdhsa_system_sgpr_workgroup_id_z 0
		.amdhsa_system_sgpr_workgroup_info 0
		.amdhsa_system_vgpr_workitem_id 0
		.amdhsa_next_free_vgpr 31
		.amdhsa_next_free_sgpr 40
		.amdhsa_accum_offset 32
		.amdhsa_reserve_vcc 1
		.amdhsa_reserve_flat_scratch 0
		.amdhsa_float_round_mode_32 0
		.amdhsa_float_round_mode_16_64 0
		.amdhsa_float_denorm_mode_32 3
		.amdhsa_float_denorm_mode_16_64 3
		.amdhsa_dx10_clamp 1
		.amdhsa_ieee_mode 1
		.amdhsa_fp16_overflow 0
		.amdhsa_tg_split 0
		.amdhsa_exception_fp_ieee_invalid_op 0
		.amdhsa_exception_fp_denorm_src 0
		.amdhsa_exception_fp_ieee_div_zero 0
		.amdhsa_exception_fp_ieee_overflow 0
		.amdhsa_exception_fp_ieee_underflow 0
		.amdhsa_exception_fp_ieee_inexact 0
		.amdhsa_exception_int_div_zero 0
	.end_amdhsa_kernel
	.section	.text._ZN5aiter35fused_qk_rmsnorm_group_quant_kernelIDF16_DB8_Li64ELi8ELi16ELb1ELb1ELb1ELb0ELb0ELb0EEEvPT0_PvPT_S6_S6_PKS5_S8_S8_S8_S8_ffiiiiiiiiiiiii,"axG",@progbits,_ZN5aiter35fused_qk_rmsnorm_group_quant_kernelIDF16_DB8_Li64ELi8ELi16ELb1ELb1ELb1ELb0ELb0ELb0EEEvPT0_PvPT_S6_S6_PKS5_S8_S8_S8_S8_ffiiiiiiiiiiiii,comdat
.Lfunc_end113:
	.size	_ZN5aiter35fused_qk_rmsnorm_group_quant_kernelIDF16_DB8_Li64ELi8ELi16ELb1ELb1ELb1ELb0ELb0ELb0EEEvPT0_PvPT_S6_S6_PKS5_S8_S8_S8_S8_ffiiiiiiiiiiiii, .Lfunc_end113-_ZN5aiter35fused_qk_rmsnorm_group_quant_kernelIDF16_DB8_Li64ELi8ELi16ELb1ELb1ELb1ELb0ELb0ELb0EEEvPT0_PvPT_S6_S6_PKS5_S8_S8_S8_S8_ffiiiiiiiiiiiii
                                        ; -- End function
	.section	.AMDGPU.csdata,"",@progbits
; Kernel info:
; codeLenInByte = 2940
; NumSgprs: 44
; NumVgprs: 31
; NumAgprs: 0
; TotalNumVgprs: 31
; ScratchSize: 0
; MemoryBound: 0
; FloatMode: 240
; IeeeMode: 1
; LDSByteSize: 0 bytes/workgroup (compile time only)
; SGPRBlocks: 5
; VGPRBlocks: 3
; NumSGPRsForWavesPerEU: 44
; NumVGPRsForWavesPerEU: 31
; AccumOffset: 32
; Occupancy: 8
; WaveLimiterHint : 0
; COMPUTE_PGM_RSRC2:SCRATCH_EN: 0
; COMPUTE_PGM_RSRC2:USER_SGPR: 6
; COMPUTE_PGM_RSRC2:TRAP_HANDLER: 0
; COMPUTE_PGM_RSRC2:TGID_X_EN: 1
; COMPUTE_PGM_RSRC2:TGID_Y_EN: 1
; COMPUTE_PGM_RSRC2:TGID_Z_EN: 0
; COMPUTE_PGM_RSRC2:TIDIG_COMP_CNT: 0
; COMPUTE_PGM_RSRC3_GFX90A:ACCUM_OFFSET: 7
; COMPUTE_PGM_RSRC3_GFX90A:TG_SPLIT: 0
	.section	.text._ZN5aiter35fused_qk_rmsnorm_group_quant_kernelItDB8_Li64ELi8ELi16ELb1ELb1ELb1ELb0ELb0ELb0EEEvPT0_PvPT_S6_S6_PKS5_S8_S8_S8_S8_ffiiiiiiiiiiiii,"axG",@progbits,_ZN5aiter35fused_qk_rmsnorm_group_quant_kernelItDB8_Li64ELi8ELi16ELb1ELb1ELb1ELb0ELb0ELb0EEEvPT0_PvPT_S6_S6_PKS5_S8_S8_S8_S8_ffiiiiiiiiiiiii,comdat
	.protected	_ZN5aiter35fused_qk_rmsnorm_group_quant_kernelItDB8_Li64ELi8ELi16ELb1ELb1ELb1ELb0ELb0ELb0EEEvPT0_PvPT_S6_S6_PKS5_S8_S8_S8_S8_ffiiiiiiiiiiiii ; -- Begin function _ZN5aiter35fused_qk_rmsnorm_group_quant_kernelItDB8_Li64ELi8ELi16ELb1ELb1ELb1ELb0ELb0ELb0EEEvPT0_PvPT_S6_S6_PKS5_S8_S8_S8_S8_ffiiiiiiiiiiiii
	.globl	_ZN5aiter35fused_qk_rmsnorm_group_quant_kernelItDB8_Li64ELi8ELi16ELb1ELb1ELb1ELb0ELb0ELb0EEEvPT0_PvPT_S6_S6_PKS5_S8_S8_S8_S8_ffiiiiiiiiiiiii
	.p2align	8
	.type	_ZN5aiter35fused_qk_rmsnorm_group_quant_kernelItDB8_Li64ELi8ELi16ELb1ELb1ELb1ELb0ELb0ELb0EEEvPT0_PvPT_S6_S6_PKS5_S8_S8_S8_S8_ffiiiiiiiiiiiii,@function
_ZN5aiter35fused_qk_rmsnorm_group_quant_kernelItDB8_Li64ELi8ELi16ELb1ELb1ELb1ELb0ELb0ELb0EEEvPT0_PvPT_S6_S6_PKS5_S8_S8_S8_S8_ffiiiiiiiiiiiii: ; @_ZN5aiter35fused_qk_rmsnorm_group_quant_kernelItDB8_Li64ELi8ELi16ELb1ELb1ELb1ELb0ELb0ELb0EEEvPT0_PvPT_S6_S6_PKS5_S8_S8_S8_S8_ffiiiiiiiiiiiii
; %bb.0:
	s_load_dwordx8 s[16:23], s[4:5], 0x50
	s_waitcnt lgkmcnt(0)
	s_cmp_ge_i32 s6, s18
	s_cbranch_scc1 .LBB114_15
; %bb.1:
	s_cmp_lg_u32 s7, 0
	s_cselect_b64 s[2:3], -1, 0
	s_cmp_eq_u32 s7, 0
	s_cselect_b64 s[26:27], -1, 0
	s_and_b64 s[0:1], s[26:27], exec
	s_load_dwordx2 s[24:25], s[4:5], 0x48
	s_load_dwordx2 s[34:35], s[4:5], 0x30
	s_load_dwordx8 s[8:15], s[4:5], 0x70
	s_cselect_b32 s7, s19, s20
	s_add_i32 s0, s7, 1
	s_lshr_b32 s1, s0, 31
	s_add_i32 s0, s0, s1
	s_lshl_b32 s0, s0, 1
	v_lshlrev_b32_e32 v1, 3, v0
	s_and_b32 s30, s0, -4
	v_cmp_gt_i32_e64 s[0:1], s7, v1
	v_mov_b32_e32 v10, 0
	v_mov_b32_e32 v11, 0
	;; [unrolled: 1-line block ×8, first 2 shown]
	s_waitcnt lgkmcnt(0)
	s_and_saveexec_b64 s[14:15], s[0:1]
	s_cbranch_execz .LBB114_3
; %bb.2:
	s_load_dwordx2 s[28:29], s[4:5], 0x28
	s_load_dwordx2 s[38:39], s[4:5], 0x40
	s_and_b64 s[36:37], s[26:27], exec
	s_cselect_b32 s18, s21, s22
	v_lshlrev_b32_e32 v2, 4, v0
	s_waitcnt lgkmcnt(0)
	s_cselect_b32 s21, s29, s35
	s_cselect_b32 s31, s28, s34
	s_mul_hi_i32 s29, s18, s6
	s_mul_i32 s28, s18, s6
	s_lshl_b64 s[28:29], s[28:29], 1
	s_add_u32 s36, s31, s28
	s_addc_u32 s18, s21, s29
	s_and_b64 s[26:27], s[26:27], exec
	s_mov_b32 s31, 0x20000
	s_cselect_b32 s28, s38, s24
	s_cselect_b32 s21, s39, s25
	s_and_b32 s37, s18, 0xffff
	s_mov_b32 s38, s30
	s_mov_b32 s39, s31
	s_and_b32 s29, s21, 0xffff
	buffer_load_dwordx4 v[14:17], v2, s[36:39], 0 offen glc slc
	buffer_load_dwordx4 v[10:13], v2, s[28:31], 0 offen
.LBB114_3:
	s_or_b64 exec, exec, s[14:15]
	s_and_b64 vcc, exec, s[2:3]
	s_cbranch_vccz .LBB114_7
; %bb.4:
	s_mov_b32 s36, 0
	s_mov_b32 s37, s36
	;; [unrolled: 1-line block ×8, first 2 shown]
	v_pk_mov_b32 v[2:3], s[36:37], s[36:37] op_sel:[0,1]
	v_pk_mov_b32 v[4:5], s[38:39], s[38:39] op_sel:[0,1]
	;; [unrolled: 1-line block ×4, first 2 shown]
	s_and_saveexec_b64 s[14:15], s[0:1]
	s_cbranch_execz .LBB114_6
; %bb.5:
	s_waitcnt vmcnt(1)
	v_cvt_f32_u32_sdwa v3, v14 dst_sel:DWORD dst_unused:UNUSED_PAD src0_sel:WORD_1
	v_cvt_f32_u32_sdwa v2, v14 dst_sel:DWORD dst_unused:UNUSED_PAD src0_sel:WORD_0
	v_cvt_f32_u32_sdwa v5, v15 dst_sel:DWORD dst_unused:UNUSED_PAD src0_sel:WORD_1
	v_cvt_f32_u32_sdwa v4, v15 dst_sel:DWORD dst_unused:UNUSED_PAD src0_sel:WORD_0
	v_cvt_f32_u32_sdwa v7, v16 dst_sel:DWORD dst_unused:UNUSED_PAD src0_sel:WORD_1
	v_cvt_f32_u32_sdwa v6, v16 dst_sel:DWORD dst_unused:UNUSED_PAD src0_sel:WORD_0
	v_cvt_f32_u32_sdwa v9, v17 dst_sel:DWORD dst_unused:UNUSED_PAD src0_sel:WORD_1
	v_cvt_f32_u32_sdwa v8, v17 dst_sel:DWORD dst_unused:UNUSED_PAD src0_sel:WORD_0
.LBB114_6:
	s_or_b64 exec, exec, s[14:15]
	s_mov_b32 s18, s17
	s_cbranch_execz .LBB114_8
	s_branch .LBB114_11
.LBB114_7:
                                        ; implicit-def: $vgpr2_vgpr3_vgpr4_vgpr5_vgpr6_vgpr7_vgpr8_vgpr9
	s_mov_b32 s18, s17
.LBB114_8:
	s_mov_b32 s36, 0
	s_mov_b32 s37, s36
	;; [unrolled: 1-line block ×8, first 2 shown]
	v_pk_mov_b32 v[2:3], s[36:37], s[36:37] op_sel:[0,1]
	v_pk_mov_b32 v[4:5], s[38:39], s[38:39] op_sel:[0,1]
	;; [unrolled: 1-line block ×4, first 2 shown]
	s_and_saveexec_b64 s[14:15], s[0:1]
	s_cbranch_execz .LBB114_10
; %bb.9:
	s_load_dwordx2 s[26:27], s[4:5], 0x38
	s_mul_hi_i32 s29, s23, s6
	s_mul_i32 s28, s23, s6
	s_lshl_b64 s[28:29], s[28:29], 1
	s_mov_b32 s31, 0x20000
	s_waitcnt lgkmcnt(0)
	s_add_u32 s28, s26, s28
	s_addc_u32 s18, s27, s29
	s_and_b32 s29, s18, 0xffff
	v_lshlrev_b32_e32 v26, 4, v0
	buffer_load_dwordx4 v[2:5], v26, s[28:31], 0 offen glc slc
	s_load_dwordx2 s[26:27], s[4:5], 0x20
	s_waitcnt vmcnt(2)
	v_cvt_f32_u32_sdwa v7, v14 dst_sel:DWORD dst_unused:UNUSED_PAD src0_sel:WORD_1
	v_cvt_f32_u32_sdwa v6, v14 dst_sel:DWORD dst_unused:UNUSED_PAD src0_sel:WORD_0
	v_cvt_f32_u32_sdwa v9, v15 dst_sel:DWORD dst_unused:UNUSED_PAD src0_sel:WORD_1
	v_cvt_f32_u32_sdwa v8, v15 dst_sel:DWORD dst_unused:UNUSED_PAD src0_sel:WORD_0
	;; [unrolled: 2-line block ×4, first 2 shown]
	s_mul_hi_i32 s29, s13, s6
	s_mul_i32 s28, s13, s6
	s_lshl_b64 s[28:29], s[28:29], 1
	s_waitcnt lgkmcnt(0)
	s_add_u32 s28, s26, s28
	s_mov_b32 s13, 0x7060302
	s_addc_u32 s18, s27, s29
	s_and_b32 s29, s18, 0xffff
	s_waitcnt vmcnt(0)
	v_cvt_f32_u32_sdwa v17, v2 dst_sel:DWORD dst_unused:UNUSED_PAD src0_sel:WORD_1
	v_cvt_f32_u32_sdwa v16, v2 dst_sel:DWORD dst_unused:UNUSED_PAD src0_sel:WORD_0
	v_cvt_f32_u32_sdwa v21, v3 dst_sel:DWORD dst_unused:UNUSED_PAD src0_sel:WORD_1
	v_cvt_f32_u32_sdwa v20, v3 dst_sel:DWORD dst_unused:UNUSED_PAD src0_sel:WORD_0
	;; [unrolled: 2-line block ×4, first 2 shown]
	v_pk_add_f32 v[2:3], v[6:7], v[16:17]
	v_pk_add_f32 v[4:5], v[8:9], v[20:21]
	;; [unrolled: 1-line block ×4, first 2 shown]
	v_perm_b32 v17, v9, v8, s13
	v_perm_b32 v16, v7, v6, s13
	v_perm_b32 v15, v5, v4, s13
	v_perm_b32 v14, v3, v2, s13
	buffer_store_dwordx4 v[14:17], v26, s[28:31], 0 offen glc slc
	;;#ASMSTART
	s_nop 0
	;;#ASMEND
.LBB114_10:
	s_or_b64 exec, exec, s[14:15]
	s_mov_b32 s18, s16
.LBB114_11:
	s_waitcnt vmcnt(1)
	v_mul_f32_e32 v14, v3, v3
	v_fmac_f32_e32 v14, v2, v2
	v_fmac_f32_e32 v14, v4, v4
	;; [unrolled: 1-line block ×7, first 2 shown]
	v_bfrev_b32_e32 v16, 0.5
	s_load_dwordx2 s[14:15], s[4:5], 0x18
	v_mov_b32_dpp v15, v14 quad_perm:[1,0,3,2] row_mask:0xf bank_mask:0xf
	v_add_f32_e32 v14, v14, v15
	s_nop 1
	v_mov_b32_dpp v15, v14 quad_perm:[2,3,0,1] row_mask:0xf bank_mask:0xf
	v_add_f32_e32 v14, v14, v15
	s_nop 1
	v_mov_b32_dpp v15, v14 row_half_mirror row_mask:0xf bank_mask:0xf
	v_add_f32_e32 v14, v14, v15
	s_nop 1
	v_mov_b32_dpp v15, v14 row_mirror row_mask:0xf bank_mask:0xf
	v_add_f32_e32 v14, v14, v15
	s_nop 1
	v_mov_b32_dpp v15, v14 row_bcast:15 row_mask:0xf bank_mask:0xf
	v_add_f32_e32 v14, v14, v15
	s_nop 1
	v_mov_b32_dpp v15, v14 row_bcast:31 row_mask:0xf bank_mask:0xf
	v_add_f32_e32 v15, v14, v15
	v_mbcnt_lo_u32_b32 v14, -1, 0
	v_mbcnt_hi_u32_b32 v14, -1, v14
	v_lshl_or_b32 v14, v14, 2, v16
	ds_bpermute_b32 v15, v14, v15
	s_and_saveexec_b64 s[26:27], s[0:1]
	s_cbranch_execnz .LBB114_16
; %bb.12:
	s_or_b64 exec, exec, s[26:27]
	s_mov_b64 s[26:27], -1
	s_and_b64 vcc, exec, s[2:3]
	s_cbranch_vccnz .LBB114_17
.LBB114_13:
	s_andn2_b64 vcc, exec, s[26:27]
	s_cbranch_vccz .LBB114_20
.LBB114_14:
	s_cmp_lt_i32 s20, 1
	s_cbranch_scc0 .LBB114_29
.LBB114_15:
	s_endpgm
.LBB114_16:
	v_cvt_f32_u32_e32 v16, s7
	s_mov_b32 s7, 0x800000
	s_waitcnt lgkmcnt(0)
	v_div_scale_f32 v17, s[28:29], v16, v16, v15
	v_rcp_f32_e32 v18, v17
	v_div_scale_f32 v19, vcc, v15, v16, v15
	v_fma_f32 v20, -v17, v18, 1.0
	v_fmac_f32_e32 v18, v20, v18
	v_mul_f32_e32 v20, v19, v18
	v_fma_f32 v21, -v17, v20, v19
	v_fmac_f32_e32 v20, v21, v18
	v_fma_f32 v17, -v17, v20, v19
	v_div_fmas_f32 v17, v17, v18, v20
	v_div_fixup_f32 v15, v17, v16, v15
	v_add_f32_e32 v15, s18, v15
	v_mul_f32_e32 v16, 0x4b800000, v15
	v_cmp_gt_f32_e32 vcc, s7, v15
	v_cndmask_b32_e32 v15, v15, v16, vcc
	v_rsq_f32_e32 v15, v15
	s_waitcnt vmcnt(0)
	v_cvt_f32_u32_sdwa v17, v10 dst_sel:DWORD dst_unused:UNUSED_PAD src0_sel:WORD_1
	v_cvt_f32_u32_sdwa v21, v11 dst_sel:DWORD dst_unused:UNUSED_PAD src0_sel:WORD_1
	v_cvt_f32_u32_sdwa v20, v11 dst_sel:DWORD dst_unused:UNUSED_PAD src0_sel:WORD_0
	v_mul_f32_e32 v16, 0x45800000, v15
	v_cndmask_b32_e32 v18, v15, v16, vcc
	v_cvt_f32_u32_sdwa v16, v10 dst_sel:DWORD dst_unused:UNUSED_PAD src0_sel:WORD_0
	v_mov_b32_e32 v19, v18
	;;#ASMSTART
	v_pk_mul_f32 v[2:3], v[2:3], v[18:19]
	;;#ASMEND
	;;#ASMSTART
	v_pk_mul_f32 v[4:5], v[4:5], v[18:19]
	;;#ASMEND
	v_pk_add_f32 v[10:11], v[16:17], 1.0 op_sel_hi:[1,0]
	v_cvt_f32_u32_sdwa v17, v12 dst_sel:DWORD dst_unused:UNUSED_PAD src0_sel:WORD_1
	v_cvt_f32_u32_sdwa v16, v12 dst_sel:DWORD dst_unused:UNUSED_PAD src0_sel:WORD_0
	;;#ASMSTART
	v_pk_mul_f32 v[6:7], v[6:7], v[18:19]
	;;#ASMEND
	;;#ASMSTART
	v_pk_mul_f32 v[8:9], v[8:9], v[18:19]
	;;#ASMEND
	v_cvt_f32_u32_sdwa v19, v13 dst_sel:DWORD dst_unused:UNUSED_PAD src0_sel:WORD_1
	v_cvt_f32_u32_sdwa v18, v13 dst_sel:DWORD dst_unused:UNUSED_PAD src0_sel:WORD_0
	;;#ASMSTART
	v_pk_mul_f32 v[2:3], v[2:3], v[10:11]
	;;#ASMEND
	v_pk_add_f32 v[10:11], v[20:21], 1.0 op_sel_hi:[1,0]
	;;#ASMSTART
	v_pk_mul_f32 v[4:5], v[4:5], v[10:11]
	;;#ASMEND
	v_pk_add_f32 v[10:11], v[16:17], 1.0 op_sel_hi:[1,0]
	;; [unrolled: 4-line block ×3, first 2 shown]
	;;#ASMSTART
	v_pk_mul_f32 v[8:9], v[8:9], v[10:11]
	;;#ASMEND
	s_or_b64 exec, exec, s[26:27]
	s_mov_b64 s[26:27], -1
	s_and_b64 vcc, exec, s[2:3]
	s_cbranch_vccz .LBB114_13
.LBB114_17:
	s_and_saveexec_b64 s[2:3], s[0:1]
	s_cbranch_execz .LBB114_19
; %bb.18:
	s_mul_hi_i32 s27, s12, s6
	s_mul_i32 s26, s12, s6
	s_lshl_b64 s[26:27], s[26:27], 1
	s_waitcnt lgkmcnt(0)
	s_add_u32 s28, s14, s26
	s_addc_u32 s7, s15, s27
	s_and_b32 s29, s7, 0xffff
	s_mov_b32 s7, 0x7060302
	s_mov_b32 s31, 0x20000
	s_waitcnt vmcnt(0)
	v_perm_b32 v10, v3, v2, s7
	v_perm_b32 v11, v5, v4, s7
	v_perm_b32 v12, v7, v6, s7
	v_perm_b32 v13, v9, v8, s7
	v_lshlrev_b32_e32 v15, 4, v0
	buffer_store_dwordx4 v[10:13], v15, s[28:31], 0 offen
	;;#ASMSTART
	s_nop 0
	;;#ASMEND
.LBB114_19:
	s_or_b64 exec, exec, s[2:3]
	s_cbranch_execnz .LBB114_14
.LBB114_20:
	s_waitcnt vmcnt(0)
	v_mov_b32_e32 v10, 0
	s_and_saveexec_b64 s[2:3], s[0:1]
	s_cbranch_execz .LBB114_22
; %bb.21:
	s_load_dwordx2 s[26:27], s[4:5], 0x10
	s_mul_hi_i32 s29, s11, s6
	s_mul_i32 s28, s11, s6
	s_lshl_b64 s[28:29], s[28:29], 1
	s_mov_b32 s31, 0x20000
	s_waitcnt lgkmcnt(0)
	s_add_u32 s28, s26, s28
	s_addc_u32 s7, s27, s29
	s_and_b32 s29, s7, 0xffff
	s_mov_b32 s7, 0x7060302
	v_perm_b32 v10, v3, v2, s7
	v_perm_b32 v11, v5, v4, s7
	;; [unrolled: 1-line block ×4, first 2 shown]
	v_lshlrev_b32_e32 v15, 4, v0
	buffer_store_dwordx4 v[10:13], v15, s[28:31], 0 offen
	;;#ASMSTART
	s_nop 0
	;;#ASMEND
	s_nop 0
	v_mov_b32_e32 v10, 0x2edbe6ff
.LBB114_22:
	s_or_b64 exec, exec, s[2:3]
	s_and_saveexec_b64 s[2:3], s[0:1]
	s_cbranch_execz .LBB114_24
; %bb.23:
	v_and_b32_e32 v11, 0x7fffffff, v2
	v_and_b32_e32 v12, 0x7fffffff, v3
	;;#ASMSTART
	v_max3_f32 v10, v10, v11, v12

	;;#ASMEND
	v_and_b32_e32 v11, 0x7fffffff, v4
	v_and_b32_e32 v12, 0x7fffffff, v5
	;;#ASMSTART
	v_max3_f32 v10, v10, v11, v12

	;;#ASMEND
	;; [unrolled: 6-line block ×4, first 2 shown]
.LBB114_24:
	s_or_b64 exec, exec, s[2:3]
	;;#ASMSTART
	v_max_f32 v11, v10, v10 quad_perm:[1,0,3,2] row_mask:0xf bank_mask:0xf bound_ctrl:1
	;;#ASMEND
	;;#ASMSTART
	v_max_f32 v10, v11, v11 quad_perm:[2,3,0,1] row_mask:0xf bank_mask:0xf bound_ctrl:1
	;;#ASMEND
	;;#ASMSTART
	v_max_f32 v11, v10, v10 row_half_mirror row_mask:0xf bank_mask:0xf bound_ctrl:1
	;;#ASMEND
	;;#ASMSTART
	v_max_f32 v10, v11, v11 row_mirror row_mask:0xf bank_mask:0xf bound_ctrl:1
	;;#ASMEND
	v_and_b32_e32 v11, 15, v0
	v_cmp_eq_u32_e32 vcc, 0, v11
	v_cmp_gt_i32_e64 s[2:3], s19, v1
	v_mul_f32_e32 v10, 0x3b124925, v10
	s_and_b64 s[26:27], vcc, s[2:3]
	s_and_saveexec_b64 s[2:3], s[26:27]
	s_cbranch_execz .LBB114_26
; %bb.25:
	s_load_dwordx2 s[26:27], s[4:5], 0x8
	v_lshrrev_b32_e32 v11, 4, v0
	s_mul_hi_i32 s29, s9, s6
	s_mul_i32 s28, s9, s6
	v_mad_i64_i32 v[12:13], s[10:11], s10, v11, 0
	s_lshl_b64 s[10:11], s[28:29], 2
	s_waitcnt lgkmcnt(0)
	s_add_u32 s7, s26, s10
	s_addc_u32 s9, s27, s11
	v_lshlrev_b64 v[12:13], 2, v[12:13]
	v_mov_b32_e32 v11, s9
	v_add_co_u32_e32 v12, vcc, s7, v12
	v_addc_co_u32_e32 v13, vcc, v11, v13, vcc
	global_store_dword v[12:13], v10, off
.LBB114_26:
	s_or_b64 exec, exec, s[2:3]
	;;#ASMSTART
	v_rcp_f32 v10, v10
	;;#ASMEND
	s_and_saveexec_b64 s[10:11], s[0:1]
	s_cbranch_execz .LBB114_28
; %bb.27:
	v_mov_b32_e32 v11, v10
	;;#ASMSTART
	v_pk_mul_f32 v[2:3], v[2:3], v[10:11]
	;;#ASMEND
	v_mov_b32_e32 v12, 0xc3e00000
	v_mov_b32_e32 v13, 0x43e00000
	s_waitcnt lgkmcnt(0)
	;;#ASMSTART
	v_med3_f32 v2, v2, v12, v13
v_med3_f32 v3, v3, v12, v13
v_cvt_pk_fp8_f32 v15, v2, v3
	;;#ASMEND
	s_load_dwordx2 s[0:1], s[4:5], 0x0
	;;#ASMSTART
	v_pk_mul_f32 v[2:3], v[4:5], v[10:11]
	;;#ASMEND
	s_mul_hi_i32 s2, s8, s6
	s_mul_i32 s3, s8, s6
	;;#ASMSTART
	v_med3_f32 v2, v2, v12, v13
v_med3_f32 v3, v3, v12, v13
v_cvt_pk_fp8_f32 v4, v2, v3
	;;#ASMEND
	s_mov_b32 s8, 0x5040100
	v_perm_b32 v3, v4, v15, s8
	s_movk_i32 s8, 0xff
	v_and_b32_e32 v2, 0xffffff00, v4
	v_and_b32_sdwa v4, v3, s8 dst_sel:DWORD dst_unused:UNUSED_PAD src0_sel:WORD_1 src1_sel:DWORD
	s_mov_b32 s7, 0xffff
	v_or_b32_sdwa v2, v4, v2 dst_sel:WORD_1 dst_unused:UNUSED_PAD src0_sel:DWORD src1_sel:DWORD
	s_waitcnt lgkmcnt(0)
	s_add_u32 s0, s0, s3
	v_and_or_b32 v2, v3, s7, v2
	;;#ASMSTART
	v_pk_mul_f32 v[4:5], v[6:7], v[10:11]
	;;#ASMEND
	v_mov_b32_e32 v3, v5
	s_addc_u32 s1, s1, s2
	s_add_i32 s2, s19, 3
	;;#ASMSTART
	v_med3_f32 v4, v4, v12, v13
v_med3_f32 v3, v3, v12, v13
v_cvt_pk_fp8_f32 v6, v4, v3
	;;#ASMEND
	s_ashr_i32 s3, s2, 31
	;;#ASMSTART
	v_pk_mul_f32 v[4:5], v[8:9], v[10:11]
	;;#ASMEND
	v_mov_b32_e32 v3, v5
	s_lshr_b32 s3, s3, 30
	;;#ASMSTART
	v_med3_f32 v4, v4, v12, v13
v_med3_f32 v3, v3, v12, v13
v_cvt_pk_fp8_f32 v5, v4, v3
	;;#ASMEND
	s_add_i32 s2, s2, s3
	v_lshlrev_b32_e32 v3, 16, v5
	s_and_b32 s2, s2, -4
	s_and_b32 s1, s1, 0xffff
	s_mov_b32 s3, 0x20000
	v_and_or_b32 v3, v6, s7, v3
	buffer_store_dwordx2 v[2:3], v1, s[0:3], 0 offen
	;;#ASMSTART
	s_nop 0
	;;#ASMEND
.LBB114_28:
	s_or_b64 exec, exec, s[10:11]
	s_cmp_lt_i32 s20, 1
	s_cbranch_scc1 .LBB114_15
.LBB114_29:
	s_load_dword s0, s[4:5], 0x94
	s_waitcnt lgkmcnt(0)
	s_cmp_lg_u32 s0, 1
	s_cbranch_scc1 .LBB114_15
; %bb.30:
	s_lshl_b32 s0, s20, 1
	s_add_i32 s0, s0, 2
	v_cmp_gt_u32_e32 vcc, s20, v1
	s_and_b32 s26, s0, -4
	v_mov_b32_e32 v4, 0
	s_waitcnt vmcnt(0)
	v_lshlrev_b32_e32 v12, 4, v0
	v_mov_b32_e32 v5, 0
	v_mov_b32_e32 v6, 0
	;; [unrolled: 1-line block ×7, first 2 shown]
	s_barrier
	s_and_saveexec_b64 s[0:1], vcc
	s_cbranch_execz .LBB114_32
; %bb.31:
	s_mul_hi_i32 s3, s22, s6
	s_mul_i32 s2, s22, s6
	s_and_b32 s25, s25, 0xffff
	s_lshl_b64 s[2:3], s[2:3], 1
	s_add_u32 s8, s34, s2
	s_mov_b32 s27, 0x20000
	s_addc_u32 s2, s35, s3
	s_and_b32 s9, s2, 0xffff
	s_mov_b32 s10, s26
	s_mov_b32 s11, s27
	buffer_load_dwordx4 v[4:7], v12, s[8:11], 0 offen glc slc
	buffer_load_dwordx4 v[0:3], v12, s[24:27], 0 offen
.LBB114_32:
	s_or_b64 exec, exec, s[0:1]
	s_waitcnt vmcnt(1)
	v_cvt_f32_u32_sdwa v11, v4 dst_sel:DWORD dst_unused:UNUSED_PAD src0_sel:WORD_1
	v_cvt_f32_u32_sdwa v10, v4 dst_sel:DWORD dst_unused:UNUSED_PAD src0_sel:WORD_0
	v_cvt_f32_u32_sdwa v4, v7 dst_sel:DWORD dst_unused:UNUSED_PAD src0_sel:WORD_1
	v_cvt_f32_u32_sdwa v7, v7 dst_sel:DWORD dst_unused:UNUSED_PAD src0_sel:WORD_0
	;; [unrolled: 2-line block ×4, first 2 shown]
	v_cndmask_b32_e32 v11, 0, v11, vcc
	v_cndmask_b32_e32 v5, 0, v4, vcc
	;; [unrolled: 1-line block ×5, first 2 shown]
	v_mul_f32_e32 v13, v11, v11
	v_cndmask_b32_e32 v8, 0, v8, vcc
	v_fmac_f32_e32 v13, v10, v10
	v_cndmask_b32_e32 v9, 0, v9, vcc
	v_fmac_f32_e32 v13, v8, v8
	;; [unrolled: 2-line block ×3, first 2 shown]
	v_fmac_f32_e32 v13, v6, v6
	v_fmac_f32_e32 v13, v7, v7
	;; [unrolled: 1-line block ×4, first 2 shown]
	s_nop 1
	v_mov_b32_dpp v15, v13 quad_perm:[1,0,3,2] row_mask:0xf bank_mask:0xf
	v_add_f32_e32 v13, v13, v15
	s_nop 1
	v_mov_b32_dpp v15, v13 quad_perm:[2,3,0,1] row_mask:0xf bank_mask:0xf
	v_add_f32_e32 v13, v13, v15
	s_nop 1
	v_mov_b32_dpp v15, v13 row_half_mirror row_mask:0xf bank_mask:0xf
	v_add_f32_e32 v13, v13, v15
	s_nop 1
	v_mov_b32_dpp v15, v13 row_mirror row_mask:0xf bank_mask:0xf
	v_add_f32_e32 v13, v13, v15
	s_nop 1
	v_mov_b32_dpp v15, v13 row_bcast:15 row_mask:0xf bank_mask:0xf
	v_add_f32_e32 v13, v13, v15
	s_nop 1
	v_mov_b32_dpp v15, v13 row_bcast:31 row_mask:0xf bank_mask:0xf
	v_add_f32_e32 v13, v13, v15
	ds_bpermute_b32 v13, v14, v13
	s_and_saveexec_b64 s[0:1], vcc
	s_cbranch_execz .LBB114_15
; %bb.33:
	v_cvt_f32_u32_e32 v14, s20
	s_mov_b32 s27, 0x20000
	s_waitcnt lgkmcnt(0)
	v_div_scale_f32 v15, s[0:1], v14, v14, v13
	v_rcp_f32_e32 v16, v15
	v_div_scale_f32 v17, vcc, v13, v14, v13
	s_mov_b32 s0, 0x800000
	v_fma_f32 v18, -v15, v16, 1.0
	v_fmac_f32_e32 v16, v18, v16
	v_mul_f32_e32 v18, v17, v16
	v_fma_f32 v19, -v15, v18, v17
	v_fmac_f32_e32 v18, v19, v16
	v_fma_f32 v15, -v15, v18, v17
	v_div_fmas_f32 v15, v15, v16, v18
	v_div_fixup_f32 v13, v15, v14, v13
	v_add_f32_e32 v13, s17, v13
	v_mul_f32_e32 v14, 0x4b800000, v13
	v_cmp_gt_f32_e32 vcc, s0, v13
	v_cndmask_b32_e32 v13, v13, v14, vcc
	v_rsq_f32_e32 v13, v13
	s_waitcnt vmcnt(0)
	v_cvt_f32_u32_sdwa v15, v0 dst_sel:DWORD dst_unused:UNUSED_PAD src0_sel:WORD_1
	v_cvt_f32_u32_sdwa v19, v1 dst_sel:DWORD dst_unused:UNUSED_PAD src0_sel:WORD_1
	v_cvt_f32_u32_sdwa v18, v1 dst_sel:DWORD dst_unused:UNUSED_PAD src0_sel:WORD_0
	v_mul_f32_e32 v14, 0x45800000, v13
	v_cndmask_b32_e32 v16, v13, v14, vcc
	v_cvt_f32_u32_sdwa v14, v0 dst_sel:DWORD dst_unused:UNUSED_PAD src0_sel:WORD_0
	v_mov_b32_e32 v17, v16
	;;#ASMSTART
	v_pk_mul_f32 v[10:11], v[10:11], v[16:17]
	;;#ASMEND
	;;#ASMSTART
	v_pk_mul_f32 v[8:9], v[8:9], v[16:17]
	;;#ASMEND
	;; [unrolled: 3-line block ×4, first 2 shown]
	v_pk_add_f32 v[4:5], v[14:15], 1.0 op_sel_hi:[1,0]
	v_cvt_f32_u32_sdwa v15, v2 dst_sel:DWORD dst_unused:UNUSED_PAD src0_sel:WORD_1
	v_cvt_f32_u32_sdwa v14, v2 dst_sel:DWORD dst_unused:UNUSED_PAD src0_sel:WORD_0
	v_cvt_f32_u32_sdwa v17, v3 dst_sel:DWORD dst_unused:UNUSED_PAD src0_sel:WORD_1
	v_cvt_f32_u32_sdwa v16, v3 dst_sel:DWORD dst_unused:UNUSED_PAD src0_sel:WORD_0
	s_mul_hi_i32 s1, s12, s6
	s_mul_i32 s0, s12, s6
	s_lshl_b64 s[0:1], s[0:1], 1
	s_add_u32 s24, s14, s0
	;;#ASMSTART
	v_pk_mul_f32 v[4:5], v[10:11], v[4:5]
	;;#ASMEND
	v_pk_add_f32 v[10:11], v[18:19], 1.0 op_sel_hi:[1,0]
	;;#ASMSTART
	v_pk_mul_f32 v[2:3], v[8:9], v[10:11]
	;;#ASMEND
	v_pk_add_f32 v[8:9], v[14:15], 1.0 op_sel_hi:[1,0]
	s_addc_u32 s0, s15, s1
	;;#ASMSTART
	v_pk_mul_f32 v[6:7], v[6:7], v[8:9]
	;;#ASMEND
	v_pk_add_f32 v[8:9], v[16:17], 1.0 op_sel_hi:[1,0]
	s_and_b32 s25, s0, 0xffff
	s_mov_b32 s0, 0x7060302
	;;#ASMSTART
	v_pk_mul_f32 v[8:9], v[0:1], v[8:9]
	;;#ASMEND
	v_perm_b32 v0, v5, v4, s0
	v_perm_b32 v1, v3, v2, s0
	;; [unrolled: 1-line block ×4, first 2 shown]
	buffer_store_dwordx4 v[0:3], v12, s[24:27], 0 offen
	;;#ASMSTART
	s_nop 0
	;;#ASMEND
	s_endpgm
	.section	.rodata,"a",@progbits
	.p2align	6, 0x0
	.amdhsa_kernel _ZN5aiter35fused_qk_rmsnorm_group_quant_kernelItDB8_Li64ELi8ELi16ELb1ELb1ELb1ELb0ELb0ELb0EEEvPT0_PvPT_S6_S6_PKS5_S8_S8_S8_S8_ffiiiiiiiiiiiii
		.amdhsa_group_segment_fixed_size 0
		.amdhsa_private_segment_fixed_size 0
		.amdhsa_kernarg_size 400
		.amdhsa_user_sgpr_count 6
		.amdhsa_user_sgpr_private_segment_buffer 1
		.amdhsa_user_sgpr_dispatch_ptr 0
		.amdhsa_user_sgpr_queue_ptr 0
		.amdhsa_user_sgpr_kernarg_segment_ptr 1
		.amdhsa_user_sgpr_dispatch_id 0
		.amdhsa_user_sgpr_flat_scratch_init 0
		.amdhsa_user_sgpr_kernarg_preload_length 0
		.amdhsa_user_sgpr_kernarg_preload_offset 0
		.amdhsa_user_sgpr_private_segment_size 0
		.amdhsa_uses_dynamic_stack 0
		.amdhsa_system_sgpr_private_segment_wavefront_offset 0
		.amdhsa_system_sgpr_workgroup_id_x 1
		.amdhsa_system_sgpr_workgroup_id_y 1
		.amdhsa_system_sgpr_workgroup_id_z 0
		.amdhsa_system_sgpr_workgroup_info 0
		.amdhsa_system_vgpr_workitem_id 0
		.amdhsa_next_free_vgpr 27
		.amdhsa_next_free_sgpr 44
		.amdhsa_accum_offset 28
		.amdhsa_reserve_vcc 1
		.amdhsa_reserve_flat_scratch 0
		.amdhsa_float_round_mode_32 0
		.amdhsa_float_round_mode_16_64 0
		.amdhsa_float_denorm_mode_32 3
		.amdhsa_float_denorm_mode_16_64 3
		.amdhsa_dx10_clamp 1
		.amdhsa_ieee_mode 1
		.amdhsa_fp16_overflow 0
		.amdhsa_tg_split 0
		.amdhsa_exception_fp_ieee_invalid_op 0
		.amdhsa_exception_fp_denorm_src 0
		.amdhsa_exception_fp_ieee_div_zero 0
		.amdhsa_exception_fp_ieee_overflow 0
		.amdhsa_exception_fp_ieee_underflow 0
		.amdhsa_exception_fp_ieee_inexact 0
		.amdhsa_exception_int_div_zero 0
	.end_amdhsa_kernel
	.section	.text._ZN5aiter35fused_qk_rmsnorm_group_quant_kernelItDB8_Li64ELi8ELi16ELb1ELb1ELb1ELb0ELb0ELb0EEEvPT0_PvPT_S6_S6_PKS5_S8_S8_S8_S8_ffiiiiiiiiiiiii,"axG",@progbits,_ZN5aiter35fused_qk_rmsnorm_group_quant_kernelItDB8_Li64ELi8ELi16ELb1ELb1ELb1ELb0ELb0ELb0EEEvPT0_PvPT_S6_S6_PKS5_S8_S8_S8_S8_ffiiiiiiiiiiiii,comdat
.Lfunc_end114:
	.size	_ZN5aiter35fused_qk_rmsnorm_group_quant_kernelItDB8_Li64ELi8ELi16ELb1ELb1ELb1ELb0ELb0ELb0EEEvPT0_PvPT_S6_S6_PKS5_S8_S8_S8_S8_ffiiiiiiiiiiiii, .Lfunc_end114-_ZN5aiter35fused_qk_rmsnorm_group_quant_kernelItDB8_Li64ELi8ELi16ELb1ELb1ELb1ELb0ELb0ELb0EEEvPT0_PvPT_S6_S6_PKS5_S8_S8_S8_S8_ffiiiiiiiiiiiii
                                        ; -- End function
	.section	.AMDGPU.csdata,"",@progbits
; Kernel info:
; codeLenInByte = 3008
; NumSgprs: 48
; NumVgprs: 27
; NumAgprs: 0
; TotalNumVgprs: 27
; ScratchSize: 0
; MemoryBound: 0
; FloatMode: 240
; IeeeMode: 1
; LDSByteSize: 0 bytes/workgroup (compile time only)
; SGPRBlocks: 5
; VGPRBlocks: 3
; NumSGPRsForWavesPerEU: 48
; NumVGPRsForWavesPerEU: 27
; AccumOffset: 28
; Occupancy: 8
; WaveLimiterHint : 0
; COMPUTE_PGM_RSRC2:SCRATCH_EN: 0
; COMPUTE_PGM_RSRC2:USER_SGPR: 6
; COMPUTE_PGM_RSRC2:TRAP_HANDLER: 0
; COMPUTE_PGM_RSRC2:TGID_X_EN: 1
; COMPUTE_PGM_RSRC2:TGID_Y_EN: 1
; COMPUTE_PGM_RSRC2:TGID_Z_EN: 0
; COMPUTE_PGM_RSRC2:TIDIG_COMP_CNT: 0
; COMPUTE_PGM_RSRC3_GFX90A:ACCUM_OFFSET: 6
; COMPUTE_PGM_RSRC3_GFX90A:TG_SPLIT: 0
	.section	.text._ZN5aiter35fused_qk_rmsnorm_group_quant_kernelIDF16_N4opus5fp4_tELi64ELi8ELi16ELb1ELb1ELb1ELb0ELb0ELb0EEEvPT0_PvPT_S7_S7_PKS6_S9_S9_S9_S9_ffiiiiiiiiiiiii,"axG",@progbits,_ZN5aiter35fused_qk_rmsnorm_group_quant_kernelIDF16_N4opus5fp4_tELi64ELi8ELi16ELb1ELb1ELb1ELb0ELb0ELb0EEEvPT0_PvPT_S7_S7_PKS6_S9_S9_S9_S9_ffiiiiiiiiiiiii,comdat
	.protected	_ZN5aiter35fused_qk_rmsnorm_group_quant_kernelIDF16_N4opus5fp4_tELi64ELi8ELi16ELb1ELb1ELb1ELb0ELb0ELb0EEEvPT0_PvPT_S7_S7_PKS6_S9_S9_S9_S9_ffiiiiiiiiiiiii ; -- Begin function _ZN5aiter35fused_qk_rmsnorm_group_quant_kernelIDF16_N4opus5fp4_tELi64ELi8ELi16ELb1ELb1ELb1ELb0ELb0ELb0EEEvPT0_PvPT_S7_S7_PKS6_S9_S9_S9_S9_ffiiiiiiiiiiiii
	.globl	_ZN5aiter35fused_qk_rmsnorm_group_quant_kernelIDF16_N4opus5fp4_tELi64ELi8ELi16ELb1ELb1ELb1ELb0ELb0ELb0EEEvPT0_PvPT_S7_S7_PKS6_S9_S9_S9_S9_ffiiiiiiiiiiiii
	.p2align	8
	.type	_ZN5aiter35fused_qk_rmsnorm_group_quant_kernelIDF16_N4opus5fp4_tELi64ELi8ELi16ELb1ELb1ELb1ELb0ELb0ELb0EEEvPT0_PvPT_S7_S7_PKS6_S9_S9_S9_S9_ffiiiiiiiiiiiii,@function
_ZN5aiter35fused_qk_rmsnorm_group_quant_kernelIDF16_N4opus5fp4_tELi64ELi8ELi16ELb1ELb1ELb1ELb0ELb0ELb0EEEvPT0_PvPT_S7_S7_PKS6_S9_S9_S9_S9_ffiiiiiiiiiiiii: ; @_ZN5aiter35fused_qk_rmsnorm_group_quant_kernelIDF16_N4opus5fp4_tELi64ELi8ELi16ELb1ELb1ELb1ELb0ELb0ELb0EEEvPT0_PvPT_S7_S7_PKS6_S9_S9_S9_S9_ffiiiiiiiiiiiii
; %bb.0:
	s_load_dwordx8 s[16:23], s[4:5], 0x50
	s_waitcnt lgkmcnt(0)
	s_cmp_ge_i32 s6, s18
	s_cbranch_scc1 .LBB115_15
; %bb.1:
	s_cmp_lg_u32 s7, 0
	s_cselect_b64 s[2:3], -1, 0
	s_cmp_eq_u32 s7, 0
	s_cselect_b64 s[26:27], -1, 0
	s_and_b64 s[0:1], s[26:27], exec
	s_load_dwordx2 s[24:25], s[4:5], 0x48
	s_load_dwordx2 s[34:35], s[4:5], 0x30
	s_load_dwordx8 s[8:15], s[4:5], 0x70
	s_cselect_b32 s7, s19, s20
	s_add_i32 s0, s7, 1
	s_lshr_b32 s1, s0, 31
	s_add_i32 s0, s0, s1
	s_lshl_b32 s0, s0, 1
	v_lshlrev_b32_e32 v1, 3, v0
	s_and_b32 s30, s0, -4
	v_cmp_gt_i32_e64 s[0:1], s7, v1
	v_mov_b32_e32 v2, 0
	v_mov_b32_e32 v3, 0
	;; [unrolled: 1-line block ×8, first 2 shown]
	s_waitcnt lgkmcnt(0)
	s_and_saveexec_b64 s[14:15], s[0:1]
	s_cbranch_execz .LBB115_3
; %bb.2:
	s_load_dwordx2 s[28:29], s[4:5], 0x28
	s_load_dwordx2 s[38:39], s[4:5], 0x40
	s_and_b64 s[36:37], s[26:27], exec
	s_cselect_b32 s18, s21, s22
	v_lshlrev_b32_e32 v10, 4, v0
	s_waitcnt lgkmcnt(0)
	s_cselect_b32 s21, s29, s35
	s_cselect_b32 s31, s28, s34
	s_mul_hi_i32 s29, s18, s6
	s_mul_i32 s28, s18, s6
	s_lshl_b64 s[28:29], s[28:29], 1
	s_add_u32 s36, s31, s28
	s_addc_u32 s18, s21, s29
	s_and_b64 s[26:27], s[26:27], exec
	s_mov_b32 s31, 0x20000
	s_cselect_b32 s28, s38, s24
	s_cselect_b32 s21, s39, s25
	s_and_b32 s37, s18, 0xffff
	s_mov_b32 s38, s30
	s_mov_b32 s39, s31
	s_and_b32 s29, s21, 0xffff
	buffer_load_dwordx4 v[6:9], v10, s[36:39], 0 offen glc slc
	buffer_load_dwordx4 v[2:5], v10, s[28:31], 0 offen
.LBB115_3:
	s_or_b64 exec, exec, s[14:15]
	s_and_b64 vcc, exec, s[2:3]
	s_cbranch_vccz .LBB115_7
; %bb.4:
	v_mov_b32_e32 v11, 0
	v_mov_b32_e32 v10, 0
	;; [unrolled: 1-line block ×8, first 2 shown]
	s_and_saveexec_b64 s[14:15], s[0:1]
	s_cbranch_execz .LBB115_6
; %bb.5:
	s_waitcnt vmcnt(1)
	v_cvt_f32_f16_sdwa v13, v6 dst_sel:DWORD dst_unused:UNUSED_PAD src0_sel:WORD_1
	v_cvt_f32_f16_e32 v12, v6
	v_cvt_f32_f16_sdwa v17, v7 dst_sel:DWORD dst_unused:UNUSED_PAD src0_sel:WORD_1
	v_cvt_f32_f16_e32 v16, v7
	;; [unrolled: 2-line block ×4, first 2 shown]
.LBB115_6:
	s_or_b64 exec, exec, s[14:15]
	s_mov_b32 s18, s17
	s_cbranch_execz .LBB115_8
	s_branch .LBB115_11
.LBB115_7:
                                        ; implicit-def: $vgpr11
                                        ; implicit-def: $vgpr15
                                        ; implicit-def: $vgpr17
                                        ; implicit-def: $vgpr13
	s_mov_b32 s18, s17
.LBB115_8:
	v_mov_b32_e32 v11, 0
	v_mov_b32_e32 v10, 0
	;; [unrolled: 1-line block ×8, first 2 shown]
	s_and_saveexec_b64 s[14:15], s[0:1]
	s_cbranch_execz .LBB115_10
; %bb.9:
	s_load_dwordx2 s[26:27], s[4:5], 0x38
	s_mul_hi_i32 s29, s23, s6
	s_mul_i32 s28, s23, s6
	s_lshl_b64 s[28:29], s[28:29], 1
	s_mov_b32 s31, 0x20000
	s_waitcnt lgkmcnt(0)
	s_add_u32 s28, s26, s28
	s_addc_u32 s18, s27, s29
	s_and_b32 s29, s18, 0xffff
	v_lshlrev_b32_e32 v24, 4, v0
	buffer_load_dwordx4 v[10:13], v24, s[28:31], 0 offen glc slc
	s_waitcnt vmcnt(2)
	v_cvt_f32_f16_sdwa v15, v6 dst_sel:DWORD dst_unused:UNUSED_PAD src0_sel:WORD_1
	v_cvt_f32_f16_e32 v14, v6
	v_cvt_f32_f16_sdwa v17, v7 dst_sel:DWORD dst_unused:UNUSED_PAD src0_sel:WORD_1
	v_cvt_f32_f16_e32 v16, v7
	;; [unrolled: 2-line block ×4, first 2 shown]
	s_load_dwordx2 s[26:27], s[4:5], 0x20
	s_mul_hi_i32 s29, s13, s6
	s_mul_i32 s28, s13, s6
	s_lshl_b64 s[28:29], s[28:29], 1
	s_waitcnt lgkmcnt(0)
	s_add_u32 s28, s26, s28
	s_addc_u32 s13, s27, s29
	s_and_b32 s29, s13, 0xffff
	s_waitcnt vmcnt(0)
	v_cvt_f32_f16_e32 v8, v10
	v_cvt_f32_f16_sdwa v9, v10 dst_sel:DWORD dst_unused:UNUSED_PAD src0_sel:WORD_1
	v_cvt_f32_f16_e32 v10, v11
	v_cvt_f32_f16_sdwa v11, v11 dst_sel:DWORD dst_unused:UNUSED_PAD src0_sel:WORD_1
	;; [unrolled: 2-line block ×4, first 2 shown]
	v_pk_add_f32 v[12:13], v[14:15], v[8:9]
	v_pk_add_f32 v[16:17], v[16:17], v[10:11]
	;; [unrolled: 1-line block ×4, first 2 shown]
	v_cvt_f16_f32_e32 v6, v13
	v_cvt_f16_f32_e32 v7, v17
	v_cvt_f16_f32_e32 v8, v15
	v_cvt_f16_f32_e32 v9, v11
	v_cvt_f16_f32_e32 v18, v10
	v_cvt_f16_f32_e32 v19, v14
	v_cvt_f16_f32_e32 v20, v16
	v_cvt_f16_f32_e32 v21, v12
	v_pack_b32_f16 v9, v18, v9
	v_pack_b32_f16 v8, v19, v8
	v_pack_b32_f16 v7, v20, v7
	v_pack_b32_f16 v6, v21, v6
	buffer_store_dwordx4 v[6:9], v24, s[28:31], 0 offen glc slc
	;;#ASMSTART
	s_nop 0
	;;#ASMEND
.LBB115_10:
	s_or_b64 exec, exec, s[14:15]
	s_mov_b32 s18, s16
.LBB115_11:
	s_waitcnt vmcnt(1)
	v_mul_f32_e32 v6, v13, v13
	v_fmac_f32_e32 v6, v12, v12
	v_fmac_f32_e32 v6, v16, v16
	;; [unrolled: 1-line block ×7, first 2 shown]
	v_bfrev_b32_e32 v8, 0.5
	s_load_dwordx2 s[14:15], s[4:5], 0x18
	v_mov_b32_dpp v7, v6 quad_perm:[1,0,3,2] row_mask:0xf bank_mask:0xf
	v_add_f32_e32 v6, v6, v7
	s_nop 1
	v_mov_b32_dpp v7, v6 quad_perm:[2,3,0,1] row_mask:0xf bank_mask:0xf
	v_add_f32_e32 v6, v6, v7
	s_nop 1
	v_mov_b32_dpp v7, v6 row_half_mirror row_mask:0xf bank_mask:0xf
	v_add_f32_e32 v6, v6, v7
	s_nop 1
	v_mov_b32_dpp v7, v6 row_mirror row_mask:0xf bank_mask:0xf
	v_add_f32_e32 v6, v6, v7
	s_nop 1
	v_mov_b32_dpp v7, v6 row_bcast:15 row_mask:0xf bank_mask:0xf
	v_add_f32_e32 v6, v6, v7
	s_nop 1
	v_mov_b32_dpp v7, v6 row_bcast:31 row_mask:0xf bank_mask:0xf
	v_add_f32_e32 v6, v6, v7
	v_mbcnt_lo_u32_b32 v7, -1, 0
	v_mbcnt_hi_u32_b32 v7, -1, v7
	v_lshl_or_b32 v18, v7, 2, v8
	ds_bpermute_b32 v6, v18, v6
	s_and_saveexec_b64 s[26:27], s[0:1]
	s_cbranch_execnz .LBB115_16
; %bb.12:
	s_or_b64 exec, exec, s[26:27]
	s_mov_b64 s[26:27], -1
	s_and_b64 vcc, exec, s[2:3]
	s_cbranch_vccnz .LBB115_17
.LBB115_13:
	s_andn2_b64 vcc, exec, s[26:27]
	s_cbranch_vccz .LBB115_20
.LBB115_14:
	s_cmp_lt_i32 s20, 1
	s_cbranch_scc0 .LBB115_29
.LBB115_15:
	s_endpgm
.LBB115_16:
	v_cvt_f32_u32_e32 v7, s7
	s_mov_b32 s7, 0x800000
	s_waitcnt lgkmcnt(0)
	v_div_scale_f32 v8, s[28:29], v7, v7, v6
	v_rcp_f32_e32 v9, v8
	v_div_scale_f32 v19, vcc, v6, v7, v6
	v_fma_f32 v20, -v8, v9, 1.0
	v_fmac_f32_e32 v9, v20, v9
	v_mul_f32_e32 v20, v19, v9
	v_fma_f32 v21, -v8, v20, v19
	v_fmac_f32_e32 v20, v21, v9
	v_fma_f32 v8, -v8, v20, v19
	v_div_fmas_f32 v8, v8, v9, v20
	v_div_fixup_f32 v6, v8, v7, v6
	v_add_f32_e32 v6, s18, v6
	v_mul_f32_e32 v7, 0x4b800000, v6
	v_cmp_gt_f32_e32 vcc, s7, v6
	v_cndmask_b32_e32 v6, v6, v7, vcc
	v_rsq_f32_e32 v6, v6
	s_waitcnt vmcnt(0)
	v_cvt_f32_f16_sdwa v7, v2 dst_sel:DWORD dst_unused:UNUSED_PAD src0_sel:WORD_1
	v_cvt_f32_f16_sdwa v21, v3 dst_sel:DWORD dst_unused:UNUSED_PAD src0_sel:WORD_1
	v_cvt_f32_f16_e32 v20, v3
	v_mul_f32_e32 v8, 0x45800000, v6
	v_cndmask_b32_e32 v8, v6, v8, vcc
	v_mov_b32_e32 v9, v8
	;;#ASMSTART
	v_pk_mul_f32 v[12:13], v[12:13], v[8:9]
	;;#ASMEND
	;;#ASMSTART
	v_pk_mul_f32 v[16:17], v[16:17], v[8:9]
	;;#ASMEND
	;;#ASMSTART
	v_pk_mul_f32 v[14:15], v[14:15], v[8:9]
	;;#ASMEND
	v_cvt_f32_f16_e32 v6, v2
	;;#ASMSTART
	v_pk_mul_f32 v[2:3], v[10:11], v[8:9]
	;;#ASMEND
	v_cvt_f32_f16_sdwa v9, v4 dst_sel:DWORD dst_unused:UNUSED_PAD src0_sel:WORD_1
	v_cvt_f32_f16_e32 v8, v4
	v_cvt_f32_f16_sdwa v11, v5 dst_sel:DWORD dst_unused:UNUSED_PAD src0_sel:WORD_1
	v_cvt_f32_f16_e32 v10, v5
	v_pk_add_f32 v[6:7], v[6:7], 1.0 op_sel_hi:[1,0]
	v_pk_add_f32 v[4:5], v[8:9], 1.0 op_sel_hi:[1,0]
	;;#ASMSTART
	v_pk_mul_f32 v[12:13], v[12:13], v[6:7]
	;;#ASMEND
	v_pk_add_f32 v[6:7], v[20:21], 1.0 op_sel_hi:[1,0]
	;;#ASMSTART
	v_pk_mul_f32 v[16:17], v[16:17], v[6:7]
	;;#ASMEND
	;;#ASMSTART
	v_pk_mul_f32 v[14:15], v[14:15], v[4:5]
	;;#ASMEND
	v_pk_add_f32 v[4:5], v[10:11], 1.0 op_sel_hi:[1,0]
	;;#ASMSTART
	v_pk_mul_f32 v[10:11], v[2:3], v[4:5]
	;;#ASMEND
	s_or_b64 exec, exec, s[26:27]
	s_mov_b64 s[26:27], -1
	s_and_b64 vcc, exec, s[2:3]
	s_cbranch_vccz .LBB115_13
.LBB115_17:
	s_and_saveexec_b64 s[2:3], s[0:1]
	s_cbranch_execz .LBB115_19
; %bb.18:
	s_mul_hi_i32 s27, s12, s6
	s_mul_i32 s26, s12, s6
	s_waitcnt vmcnt(0)
	v_cvt_f16_f32_e32 v2, v12
	v_cvt_f16_f32_e32 v3, v16
	;; [unrolled: 1-line block ×4, first 2 shown]
	s_waitcnt lgkmcnt(0)
	v_cvt_f16_f32_e32 v6, v11
	v_cvt_f16_f32_e32 v7, v15
	v_cvt_f16_f32_e32 v8, v17
	v_cvt_f16_f32_e32 v9, v13
	s_lshl_b64 s[26:27], s[26:27], 1
	s_add_u32 s28, s14, s26
	s_addc_u32 s7, s15, s27
	s_and_b32 s29, s7, 0xffff
	s_mov_b32 s31, 0x20000
	v_pack_b32_f16 v5, v5, v6
	v_pack_b32_f16 v4, v4, v7
	;; [unrolled: 1-line block ×4, first 2 shown]
	v_lshlrev_b32_e32 v6, 4, v0
	buffer_store_dwordx4 v[2:5], v6, s[28:31], 0 offen
	;;#ASMSTART
	s_nop 0
	;;#ASMEND
.LBB115_19:
	s_or_b64 exec, exec, s[2:3]
	s_cbranch_execnz .LBB115_14
.LBB115_20:
	s_waitcnt vmcnt(0)
	v_mov_b32_e32 v2, 0
	s_and_saveexec_b64 s[2:3], s[0:1]
	s_cbranch_execz .LBB115_22
; %bb.21:
	s_load_dwordx2 s[26:27], s[4:5], 0x10
	s_mul_hi_i32 s29, s11, s6
	s_mul_i32 s28, s11, s6
	v_cvt_f16_f32_e32 v2, v12
	v_cvt_f16_f32_e32 v3, v16
	;; [unrolled: 1-line block ×4, first 2 shown]
	s_waitcnt lgkmcnt(0)
	v_cvt_f16_f32_e32 v6, v11
	v_cvt_f16_f32_e32 v7, v15
	;; [unrolled: 1-line block ×4, first 2 shown]
	s_lshl_b64 s[28:29], s[28:29], 1
	s_add_u32 s28, s26, s28
	s_addc_u32 s7, s27, s29
	s_mov_b32 s31, 0x20000
	s_and_b32 s29, s7, 0xffff
	v_pack_b32_f16 v5, v5, v6
	v_pack_b32_f16 v4, v4, v7
	;; [unrolled: 1-line block ×4, first 2 shown]
	v_lshlrev_b32_e32 v6, 4, v0
	buffer_store_dwordx4 v[2:5], v6, s[28:31], 0 offen
	;;#ASMSTART
	s_nop 0
	;;#ASMEND
	s_nop 0
	v_mov_b32_e32 v2, 0x2edbe6ff
.LBB115_22:
	s_or_b64 exec, exec, s[2:3]
	s_and_saveexec_b64 s[2:3], s[0:1]
	s_cbranch_execz .LBB115_24
; %bb.23:
	v_and_b32_e32 v3, 0x7fffffff, v12
	v_and_b32_e32 v4, 0x7fffffff, v13
	;;#ASMSTART
	v_max3_f32 v2, v2, v3, v4

	;;#ASMEND
	v_and_b32_e32 v3, 0x7fffffff, v16
	v_and_b32_e32 v4, 0x7fffffff, v17
	;;#ASMSTART
	v_max3_f32 v2, v2, v3, v4

	;;#ASMEND
	;; [unrolled: 6-line block ×4, first 2 shown]
.LBB115_24:
	s_or_b64 exec, exec, s[2:3]
	;;#ASMSTART
	v_max_f32 v3, v2, v2 quad_perm:[1,0,3,2] row_mask:0xf bank_mask:0xf bound_ctrl:1
	;;#ASMEND
	;;#ASMSTART
	v_max_f32 v2, v3, v3 quad_perm:[2,3,0,1] row_mask:0xf bank_mask:0xf bound_ctrl:1
	;;#ASMEND
	;;#ASMSTART
	v_max_f32 v3, v2, v2 row_half_mirror row_mask:0xf bank_mask:0xf bound_ctrl:1
	;;#ASMEND
	;;#ASMSTART
	v_max_f32 v2, v3, v3 row_mirror row_mask:0xf bank_mask:0xf bound_ctrl:1
	;;#ASMEND
	v_and_b32_e32 v3, 15, v0
	v_cmp_eq_u32_e32 vcc, 0, v3
	v_cmp_gt_i32_e64 s[2:3], s19, v1
	s_and_b64 s[26:27], vcc, s[2:3]
	s_and_saveexec_b64 s[2:3], s[26:27]
	s_cbranch_execz .LBB115_26
; %bb.25:
	s_load_dwordx2 s[26:27], s[4:5], 0x8
	v_mul_f32_e32 v2, 0x3e2aaaab, v2
	v_lshrrev_b32_e32 v3, 23, v2
	v_and_b32_e32 v4, 0x7f800000, v2
	v_and_b32_e32 v2, 0x7fffff, v2
	v_cmp_ne_u32_e32 vcc, 0, v2
	s_mul_hi_i32 s11, s9, s6
	s_mul_i32 s9, s9, s6
	s_mov_b32 s7, 0x7f800000
	v_addc_co_u32_e32 v2, vcc, 0, v3, vcc
	s_waitcnt lgkmcnt(0)
	s_add_u32 s26, s26, s9
	v_cmp_ne_u32_e32 vcc, s7, v4
	s_addc_u32 s27, s27, s11
	v_lshrrev_b32_e32 v5, 4, v0
	v_cndmask_b32_e32 v4, -1, v2, vcc
	v_pk_mov_b32 v[2:3], s[26:27], s[26:27] op_sel:[0,1]
	v_mad_i64_i32 v[2:3], s[10:11], s10, v5, v[2:3]
	global_store_byte v[2:3], v4, off
.LBB115_26:
	s_or_b64 exec, exec, s[2:3]
	s_and_saveexec_b64 s[2:3], s[0:1]
	s_cbranch_execz .LBB115_28
; %bb.27:
	s_load_dwordx2 s[0:1], s[4:5], 0x0
	s_mul_hi_i32 s7, s8, s6
	s_mul_i32 s8, s8, s6
	v_lshlrev_b32_e32 v2, 2, v0
	s_mov_b32 s11, 0x20000
	s_waitcnt lgkmcnt(0)
	s_add_u32 s8, s0, s8
	s_addc_u32 s0, s1, s7
	s_lshr_b32 s1, s19, 31
	s_add_i32 s1, s19, s1
	s_ashr_i32 s1, s1, 1
	s_add_i32 s1, s1, 3
	s_ashr_i32 s7, s1, 31
	s_lshr_b32 s7, s7, 30
	s_add_i32 s1, s1, s7
	s_and_b32 s10, s1, -4
	s_and_b32 s9, s0, 0xffff
	v_mov_b32_e32 v3, 0
	buffer_store_dword v3, v2, s[8:11], 0 offen
	;;#ASMSTART
	s_nop 0
	;;#ASMEND
.LBB115_28:
	s_or_b64 exec, exec, s[2:3]
	s_cmp_lt_i32 s20, 1
	s_cbranch_scc1 .LBB115_15
.LBB115_29:
	s_load_dword s0, s[4:5], 0x94
	s_waitcnt lgkmcnt(0)
	s_cmp_lg_u32 s0, 1
	s_cbranch_scc1 .LBB115_15
; %bb.30:
	s_lshl_b32 s0, s20, 1
	s_add_i32 s0, s0, 2
	v_cmp_gt_u32_e32 vcc, s20, v1
	s_and_b32 s26, s0, -4
	v_mov_b32_e32 v8, 0
	v_lshlrev_b32_e32 v16, 4, v0
	s_waitcnt vmcnt(0)
	v_mov_b32_e32 v4, 0
	v_mov_b32_e32 v5, 0
	;; [unrolled: 1-line block ×8, first 2 shown]
	s_barrier
	s_and_saveexec_b64 s[0:1], vcc
	s_cbranch_execz .LBB115_32
; %bb.31:
	s_mul_hi_i32 s3, s22, s6
	s_mul_i32 s2, s22, s6
	s_and_b32 s25, s25, 0xffff
	s_lshl_b64 s[2:3], s[2:3], 1
	s_add_u32 s8, s34, s2
	s_mov_b32 s27, 0x20000
	s_addc_u32 s2, s35, s3
	s_and_b32 s9, s2, 0xffff
	s_mov_b32 s10, s26
	s_mov_b32 s11, s27
	buffer_load_dwordx4 v[4:7], v16, s[8:11], 0 offen glc slc
	buffer_load_dwordx4 v[0:3], v16, s[24:27], 0 offen
.LBB115_32:
	s_or_b64 exec, exec, s[0:1]
	v_mov_b32_e32 v9, 0
	v_mov_b32_e32 v12, 0
	;; [unrolled: 1-line block ×7, first 2 shown]
	s_and_saveexec_b64 s[0:1], vcc
	s_cbranch_execz .LBB115_34
; %bb.33:
	s_waitcnt vmcnt(1)
	v_cvt_f32_f16_sdwa v9, v4 dst_sel:DWORD dst_unused:UNUSED_PAD src0_sel:WORD_1
	v_cvt_f32_f16_e32 v8, v4
	v_cvt_f32_f16_sdwa v13, v5 dst_sel:DWORD dst_unused:UNUSED_PAD src0_sel:WORD_1
	v_cvt_f32_f16_e32 v12, v5
	;; [unrolled: 2-line block ×4, first 2 shown]
.LBB115_34:
	s_or_b64 exec, exec, s[0:1]
	s_waitcnt vmcnt(1)
	v_mul_f32_e32 v4, v9, v9
	v_fmac_f32_e32 v4, v8, v8
	v_fmac_f32_e32 v4, v12, v12
	;; [unrolled: 1-line block ×7, first 2 shown]
	s_nop 1
	v_mov_b32_dpp v5, v4 quad_perm:[1,0,3,2] row_mask:0xf bank_mask:0xf
	v_add_f32_e32 v4, v4, v5
	s_nop 1
	v_mov_b32_dpp v5, v4 quad_perm:[2,3,0,1] row_mask:0xf bank_mask:0xf
	v_add_f32_e32 v4, v4, v5
	s_nop 1
	v_mov_b32_dpp v5, v4 row_half_mirror row_mask:0xf bank_mask:0xf
	v_add_f32_e32 v4, v4, v5
	s_nop 1
	v_mov_b32_dpp v5, v4 row_mirror row_mask:0xf bank_mask:0xf
	v_add_f32_e32 v4, v4, v5
	s_nop 1
	v_mov_b32_dpp v5, v4 row_bcast:15 row_mask:0xf bank_mask:0xf
	v_add_f32_e32 v4, v4, v5
	s_nop 1
	v_mov_b32_dpp v5, v4 row_bcast:31 row_mask:0xf bank_mask:0xf
	v_add_f32_e32 v4, v4, v5
	ds_bpermute_b32 v4, v18, v4
	s_and_saveexec_b64 s[0:1], vcc
	s_cbranch_execz .LBB115_15
; %bb.35:
	v_cvt_f32_u32_e32 v5, s20
	s_mov_b32 s27, 0x20000
	s_waitcnt lgkmcnt(0)
	v_div_scale_f32 v6, s[0:1], v5, v5, v4
	v_rcp_f32_e32 v7, v6
	v_div_scale_f32 v17, vcc, v4, v5, v4
	s_mov_b32 s0, 0x800000
	v_fma_f32 v18, -v6, v7, 1.0
	v_fmac_f32_e32 v7, v18, v7
	v_mul_f32_e32 v18, v17, v7
	v_fma_f32 v19, -v6, v18, v17
	v_fmac_f32_e32 v18, v19, v7
	v_fma_f32 v6, -v6, v18, v17
	v_div_fmas_f32 v6, v6, v7, v18
	v_div_fixup_f32 v4, v6, v5, v4
	v_add_f32_e32 v4, s17, v4
	v_mul_f32_e32 v5, 0x4b800000, v4
	v_cmp_gt_f32_e32 vcc, s0, v4
	v_cndmask_b32_e32 v4, v4, v5, vcc
	v_rsq_f32_e32 v4, v4
	s_waitcnt vmcnt(0)
	v_cvt_f32_f16_sdwa v5, v0 dst_sel:DWORD dst_unused:UNUSED_PAD src0_sel:WORD_1
	v_cvt_f32_f16_sdwa v19, v1 dst_sel:DWORD dst_unused:UNUSED_PAD src0_sel:WORD_1
	v_cvt_f32_f16_e32 v18, v1
	v_mul_f32_e32 v6, 0x45800000, v4
	v_cndmask_b32_e32 v6, v4, v6, vcc
	v_cvt_f32_f16_e32 v4, v0
	v_mov_b32_e32 v7, v6
	;;#ASMSTART
	v_pk_mul_f32 v[8:9], v[8:9], v[6:7]
	;;#ASMEND
	;;#ASMSTART
	v_pk_mul_f32 v[12:13], v[12:13], v[6:7]
	;;#ASMEND
	v_pk_add_f32 v[4:5], v[4:5], 1.0 op_sel_hi:[1,0]
	;;#ASMSTART
	v_pk_mul_f32 v[14:15], v[14:15], v[6:7]
	;;#ASMEND
	;;#ASMSTART
	v_pk_mul_f32 v[0:1], v[10:11], v[6:7]
	;;#ASMEND
	;; [unrolled: 3-line block ×3, first 2 shown]
	v_cvt_f32_f16_sdwa v9, v2 dst_sel:DWORD dst_unused:UNUSED_PAD src0_sel:WORD_1
	v_cvt_f32_f16_e32 v8, v2
	v_cvt_f32_f16_sdwa v11, v3 dst_sel:DWORD dst_unused:UNUSED_PAD src0_sel:WORD_1
	v_cvt_f32_f16_e32 v10, v3
	v_pk_add_f32 v[6:7], v[18:19], 1.0 op_sel_hi:[1,0]
	;;#ASMSTART
	v_pk_mul_f32 v[2:3], v[12:13], v[6:7]
	;;#ASMEND
	v_pk_add_f32 v[6:7], v[8:9], 1.0 op_sel_hi:[1,0]
	;;#ASMSTART
	v_pk_mul_f32 v[6:7], v[14:15], v[6:7]
	;;#ASMEND
	;; [unrolled: 4-line block ×3, first 2 shown]
	s_mul_hi_i32 s1, s12, s6
	s_mul_i32 s0, s12, s6
	v_cvt_f16_f32_e32 v4, v4
	v_cvt_f16_f32_e32 v5, v5
	;; [unrolled: 1-line block ×8, first 2 shown]
	s_lshl_b64 s[0:1], s[0:1], 1
	s_add_u32 s24, s14, s0
	s_addc_u32 s0, s15, s1
	s_and_b32 s25, s0, 0xffff
	v_pack_b32_f16 v0, v4, v5
	v_pack_b32_f16 v1, v2, v3
	;; [unrolled: 1-line block ×4, first 2 shown]
	buffer_store_dwordx4 v[0:3], v16, s[24:27], 0 offen
	;;#ASMSTART
	s_nop 0
	;;#ASMEND
	s_endpgm
	.section	.rodata,"a",@progbits
	.p2align	6, 0x0
	.amdhsa_kernel _ZN5aiter35fused_qk_rmsnorm_group_quant_kernelIDF16_N4opus5fp4_tELi64ELi8ELi16ELb1ELb1ELb1ELb0ELb0ELb0EEEvPT0_PvPT_S7_S7_PKS6_S9_S9_S9_S9_ffiiiiiiiiiiiii
		.amdhsa_group_segment_fixed_size 0
		.amdhsa_private_segment_fixed_size 0
		.amdhsa_kernarg_size 400
		.amdhsa_user_sgpr_count 6
		.amdhsa_user_sgpr_private_segment_buffer 1
		.amdhsa_user_sgpr_dispatch_ptr 0
		.amdhsa_user_sgpr_queue_ptr 0
		.amdhsa_user_sgpr_kernarg_segment_ptr 1
		.amdhsa_user_sgpr_dispatch_id 0
		.amdhsa_user_sgpr_flat_scratch_init 0
		.amdhsa_user_sgpr_kernarg_preload_length 0
		.amdhsa_user_sgpr_kernarg_preload_offset 0
		.amdhsa_user_sgpr_private_segment_size 0
		.amdhsa_uses_dynamic_stack 0
		.amdhsa_system_sgpr_private_segment_wavefront_offset 0
		.amdhsa_system_sgpr_workgroup_id_x 1
		.amdhsa_system_sgpr_workgroup_id_y 1
		.amdhsa_system_sgpr_workgroup_id_z 0
		.amdhsa_system_sgpr_workgroup_info 0
		.amdhsa_system_vgpr_workitem_id 0
		.amdhsa_next_free_vgpr 25
		.amdhsa_next_free_sgpr 40
		.amdhsa_accum_offset 28
		.amdhsa_reserve_vcc 1
		.amdhsa_reserve_flat_scratch 0
		.amdhsa_float_round_mode_32 0
		.amdhsa_float_round_mode_16_64 0
		.amdhsa_float_denorm_mode_32 3
		.amdhsa_float_denorm_mode_16_64 3
		.amdhsa_dx10_clamp 1
		.amdhsa_ieee_mode 1
		.amdhsa_fp16_overflow 0
		.amdhsa_tg_split 0
		.amdhsa_exception_fp_ieee_invalid_op 0
		.amdhsa_exception_fp_denorm_src 0
		.amdhsa_exception_fp_ieee_div_zero 0
		.amdhsa_exception_fp_ieee_overflow 0
		.amdhsa_exception_fp_ieee_underflow 0
		.amdhsa_exception_fp_ieee_inexact 0
		.amdhsa_exception_int_div_zero 0
	.end_amdhsa_kernel
	.section	.text._ZN5aiter35fused_qk_rmsnorm_group_quant_kernelIDF16_N4opus5fp4_tELi64ELi8ELi16ELb1ELb1ELb1ELb0ELb0ELb0EEEvPT0_PvPT_S7_S7_PKS6_S9_S9_S9_S9_ffiiiiiiiiiiiii,"axG",@progbits,_ZN5aiter35fused_qk_rmsnorm_group_quant_kernelIDF16_N4opus5fp4_tELi64ELi8ELi16ELb1ELb1ELb1ELb0ELb0ELb0EEEvPT0_PvPT_S7_S7_PKS6_S9_S9_S9_S9_ffiiiiiiiiiiiii,comdat
.Lfunc_end115:
	.size	_ZN5aiter35fused_qk_rmsnorm_group_quant_kernelIDF16_N4opus5fp4_tELi64ELi8ELi16ELb1ELb1ELb1ELb0ELb0ELb0EEEvPT0_PvPT_S7_S7_PKS6_S9_S9_S9_S9_ffiiiiiiiiiiiii, .Lfunc_end115-_ZN5aiter35fused_qk_rmsnorm_group_quant_kernelIDF16_N4opus5fp4_tELi64ELi8ELi16ELb1ELb1ELb1ELb0ELb0ELb0EEEvPT0_PvPT_S7_S7_PKS6_S9_S9_S9_S9_ffiiiiiiiiiiiii
                                        ; -- End function
	.section	.AMDGPU.csdata,"",@progbits
; Kernel info:
; codeLenInByte = 2768
; NumSgprs: 44
; NumVgprs: 25
; NumAgprs: 0
; TotalNumVgprs: 25
; ScratchSize: 0
; MemoryBound: 0
; FloatMode: 240
; IeeeMode: 1
; LDSByteSize: 0 bytes/workgroup (compile time only)
; SGPRBlocks: 5
; VGPRBlocks: 3
; NumSGPRsForWavesPerEU: 44
; NumVGPRsForWavesPerEU: 25
; AccumOffset: 28
; Occupancy: 8
; WaveLimiterHint : 0
; COMPUTE_PGM_RSRC2:SCRATCH_EN: 0
; COMPUTE_PGM_RSRC2:USER_SGPR: 6
; COMPUTE_PGM_RSRC2:TRAP_HANDLER: 0
; COMPUTE_PGM_RSRC2:TGID_X_EN: 1
; COMPUTE_PGM_RSRC2:TGID_Y_EN: 1
; COMPUTE_PGM_RSRC2:TGID_Z_EN: 0
; COMPUTE_PGM_RSRC2:TIDIG_COMP_CNT: 0
; COMPUTE_PGM_RSRC3_GFX90A:ACCUM_OFFSET: 6
; COMPUTE_PGM_RSRC3_GFX90A:TG_SPLIT: 0
	.section	.text._ZN5aiter35fused_qk_rmsnorm_group_quant_kernelItN4opus5fp4_tELi64ELi8ELi16ELb1ELb1ELb1ELb0ELb0ELb0EEEvPT0_PvPT_S7_S7_PKS6_S9_S9_S9_S9_ffiiiiiiiiiiiii,"axG",@progbits,_ZN5aiter35fused_qk_rmsnorm_group_quant_kernelItN4opus5fp4_tELi64ELi8ELi16ELb1ELb1ELb1ELb0ELb0ELb0EEEvPT0_PvPT_S7_S7_PKS6_S9_S9_S9_S9_ffiiiiiiiiiiiii,comdat
	.protected	_ZN5aiter35fused_qk_rmsnorm_group_quant_kernelItN4opus5fp4_tELi64ELi8ELi16ELb1ELb1ELb1ELb0ELb0ELb0EEEvPT0_PvPT_S7_S7_PKS6_S9_S9_S9_S9_ffiiiiiiiiiiiii ; -- Begin function _ZN5aiter35fused_qk_rmsnorm_group_quant_kernelItN4opus5fp4_tELi64ELi8ELi16ELb1ELb1ELb1ELb0ELb0ELb0EEEvPT0_PvPT_S7_S7_PKS6_S9_S9_S9_S9_ffiiiiiiiiiiiii
	.globl	_ZN5aiter35fused_qk_rmsnorm_group_quant_kernelItN4opus5fp4_tELi64ELi8ELi16ELb1ELb1ELb1ELb0ELb0ELb0EEEvPT0_PvPT_S7_S7_PKS6_S9_S9_S9_S9_ffiiiiiiiiiiiii
	.p2align	8
	.type	_ZN5aiter35fused_qk_rmsnorm_group_quant_kernelItN4opus5fp4_tELi64ELi8ELi16ELb1ELb1ELb1ELb0ELb0ELb0EEEvPT0_PvPT_S7_S7_PKS6_S9_S9_S9_S9_ffiiiiiiiiiiiii,@function
_ZN5aiter35fused_qk_rmsnorm_group_quant_kernelItN4opus5fp4_tELi64ELi8ELi16ELb1ELb1ELb1ELb0ELb0ELb0EEEvPT0_PvPT_S7_S7_PKS6_S9_S9_S9_S9_ffiiiiiiiiiiiii: ; @_ZN5aiter35fused_qk_rmsnorm_group_quant_kernelItN4opus5fp4_tELi64ELi8ELi16ELb1ELb1ELb1ELb0ELb0ELb0EEEvPT0_PvPT_S7_S7_PKS6_S9_S9_S9_S9_ffiiiiiiiiiiiii
; %bb.0:
	s_load_dwordx8 s[16:23], s[4:5], 0x50
	s_waitcnt lgkmcnt(0)
	s_cmp_ge_i32 s6, s18
	s_cbranch_scc1 .LBB116_15
; %bb.1:
	s_cmp_lg_u32 s7, 0
	s_cselect_b64 s[2:3], -1, 0
	s_cmp_eq_u32 s7, 0
	s_cselect_b64 s[26:27], -1, 0
	s_and_b64 s[0:1], s[26:27], exec
	s_load_dwordx2 s[24:25], s[4:5], 0x48
	s_load_dwordx2 s[34:35], s[4:5], 0x30
	s_load_dwordx8 s[8:15], s[4:5], 0x70
	s_cselect_b32 s7, s19, s20
	s_add_i32 s0, s7, 1
	s_lshr_b32 s1, s0, 31
	s_add_i32 s0, s0, s1
	s_lshl_b32 s0, s0, 1
	v_lshlrev_b32_e32 v1, 3, v0
	s_and_b32 s30, s0, -4
	v_cmp_gt_i32_e64 s[0:1], s7, v1
	v_mov_b32_e32 v10, 0
	v_mov_b32_e32 v11, 0
	;; [unrolled: 1-line block ×8, first 2 shown]
	s_waitcnt lgkmcnt(0)
	s_and_saveexec_b64 s[14:15], s[0:1]
	s_cbranch_execz .LBB116_3
; %bb.2:
	s_load_dwordx2 s[28:29], s[4:5], 0x28
	s_load_dwordx2 s[38:39], s[4:5], 0x40
	s_and_b64 s[36:37], s[26:27], exec
	s_cselect_b32 s18, s21, s22
	v_lshlrev_b32_e32 v2, 4, v0
	s_waitcnt lgkmcnt(0)
	s_cselect_b32 s21, s29, s35
	s_cselect_b32 s31, s28, s34
	s_mul_hi_i32 s29, s18, s6
	s_mul_i32 s28, s18, s6
	s_lshl_b64 s[28:29], s[28:29], 1
	s_add_u32 s36, s31, s28
	s_addc_u32 s18, s21, s29
	s_and_b64 s[26:27], s[26:27], exec
	s_mov_b32 s31, 0x20000
	s_cselect_b32 s28, s38, s24
	s_cselect_b32 s21, s39, s25
	s_and_b32 s37, s18, 0xffff
	s_mov_b32 s38, s30
	s_mov_b32 s39, s31
	s_and_b32 s29, s21, 0xffff
	buffer_load_dwordx4 v[14:17], v2, s[36:39], 0 offen glc slc
	buffer_load_dwordx4 v[10:13], v2, s[28:31], 0 offen
.LBB116_3:
	s_or_b64 exec, exec, s[14:15]
	s_and_b64 vcc, exec, s[2:3]
	s_cbranch_vccz .LBB116_7
; %bb.4:
	s_mov_b32 s36, 0
	s_mov_b32 s37, s36
	;; [unrolled: 1-line block ×8, first 2 shown]
	v_pk_mov_b32 v[2:3], s[36:37], s[36:37] op_sel:[0,1]
	v_pk_mov_b32 v[4:5], s[38:39], s[38:39] op_sel:[0,1]
	;; [unrolled: 1-line block ×4, first 2 shown]
	s_and_saveexec_b64 s[14:15], s[0:1]
	s_cbranch_execz .LBB116_6
; %bb.5:
	s_waitcnt vmcnt(1)
	v_cvt_f32_u32_sdwa v3, v14 dst_sel:DWORD dst_unused:UNUSED_PAD src0_sel:WORD_1
	v_cvt_f32_u32_sdwa v2, v14 dst_sel:DWORD dst_unused:UNUSED_PAD src0_sel:WORD_0
	v_cvt_f32_u32_sdwa v5, v15 dst_sel:DWORD dst_unused:UNUSED_PAD src0_sel:WORD_1
	v_cvt_f32_u32_sdwa v4, v15 dst_sel:DWORD dst_unused:UNUSED_PAD src0_sel:WORD_0
	;; [unrolled: 2-line block ×4, first 2 shown]
.LBB116_6:
	s_or_b64 exec, exec, s[14:15]
	s_mov_b32 s18, s17
	s_cbranch_execz .LBB116_8
	s_branch .LBB116_11
.LBB116_7:
                                        ; implicit-def: $vgpr2_vgpr3_vgpr4_vgpr5_vgpr6_vgpr7_vgpr8_vgpr9
	s_mov_b32 s18, s17
.LBB116_8:
	s_mov_b32 s36, 0
	s_mov_b32 s37, s36
	;; [unrolled: 1-line block ×8, first 2 shown]
	v_pk_mov_b32 v[2:3], s[36:37], s[36:37] op_sel:[0,1]
	v_pk_mov_b32 v[4:5], s[38:39], s[38:39] op_sel:[0,1]
	;; [unrolled: 1-line block ×4, first 2 shown]
	s_and_saveexec_b64 s[14:15], s[0:1]
	s_cbranch_execz .LBB116_10
; %bb.9:
	s_load_dwordx2 s[26:27], s[4:5], 0x38
	s_mul_hi_i32 s29, s23, s6
	s_mul_i32 s28, s23, s6
	s_lshl_b64 s[28:29], s[28:29], 1
	s_mov_b32 s31, 0x20000
	s_waitcnt lgkmcnt(0)
	s_add_u32 s28, s26, s28
	s_addc_u32 s18, s27, s29
	s_and_b32 s29, s18, 0xffff
	v_lshlrev_b32_e32 v26, 4, v0
	buffer_load_dwordx4 v[2:5], v26, s[28:31], 0 offen glc slc
	s_load_dwordx2 s[26:27], s[4:5], 0x20
	s_waitcnt vmcnt(2)
	v_cvt_f32_u32_sdwa v7, v14 dst_sel:DWORD dst_unused:UNUSED_PAD src0_sel:WORD_1
	v_cvt_f32_u32_sdwa v6, v14 dst_sel:DWORD dst_unused:UNUSED_PAD src0_sel:WORD_0
	v_cvt_f32_u32_sdwa v9, v15 dst_sel:DWORD dst_unused:UNUSED_PAD src0_sel:WORD_1
	v_cvt_f32_u32_sdwa v8, v15 dst_sel:DWORD dst_unused:UNUSED_PAD src0_sel:WORD_0
	v_cvt_f32_u32_sdwa v15, v16 dst_sel:DWORD dst_unused:UNUSED_PAD src0_sel:WORD_1
	v_cvt_f32_u32_sdwa v14, v16 dst_sel:DWORD dst_unused:UNUSED_PAD src0_sel:WORD_0
	v_cvt_f32_u32_sdwa v19, v17 dst_sel:DWORD dst_unused:UNUSED_PAD src0_sel:WORD_1
	v_cvt_f32_u32_sdwa v18, v17 dst_sel:DWORD dst_unused:UNUSED_PAD src0_sel:WORD_0
	s_mul_hi_i32 s29, s13, s6
	s_mul_i32 s28, s13, s6
	s_lshl_b64 s[28:29], s[28:29], 1
	s_waitcnt lgkmcnt(0)
	s_add_u32 s28, s26, s28
	s_mov_b32 s13, 0x7060302
	s_addc_u32 s18, s27, s29
	s_and_b32 s29, s18, 0xffff
	s_waitcnt vmcnt(0)
	v_cvt_f32_u32_sdwa v17, v2 dst_sel:DWORD dst_unused:UNUSED_PAD src0_sel:WORD_1
	v_cvt_f32_u32_sdwa v16, v2 dst_sel:DWORD dst_unused:UNUSED_PAD src0_sel:WORD_0
	v_cvt_f32_u32_sdwa v21, v3 dst_sel:DWORD dst_unused:UNUSED_PAD src0_sel:WORD_1
	v_cvt_f32_u32_sdwa v20, v3 dst_sel:DWORD dst_unused:UNUSED_PAD src0_sel:WORD_0
	;; [unrolled: 2-line block ×4, first 2 shown]
	v_pk_add_f32 v[2:3], v[6:7], v[16:17]
	v_pk_add_f32 v[4:5], v[8:9], v[20:21]
	;; [unrolled: 1-line block ×4, first 2 shown]
	v_perm_b32 v17, v9, v8, s13
	v_perm_b32 v16, v7, v6, s13
	;; [unrolled: 1-line block ×4, first 2 shown]
	buffer_store_dwordx4 v[14:17], v26, s[28:31], 0 offen glc slc
	;;#ASMSTART
	s_nop 0
	;;#ASMEND
.LBB116_10:
	s_or_b64 exec, exec, s[14:15]
	s_mov_b32 s18, s16
.LBB116_11:
	s_waitcnt vmcnt(1)
	v_mul_f32_e32 v14, v3, v3
	v_fmac_f32_e32 v14, v2, v2
	v_fmac_f32_e32 v14, v4, v4
	;; [unrolled: 1-line block ×7, first 2 shown]
	v_bfrev_b32_e32 v16, 0.5
	s_load_dwordx2 s[14:15], s[4:5], 0x18
	v_mov_b32_dpp v15, v14 quad_perm:[1,0,3,2] row_mask:0xf bank_mask:0xf
	v_add_f32_e32 v14, v14, v15
	s_nop 1
	v_mov_b32_dpp v15, v14 quad_perm:[2,3,0,1] row_mask:0xf bank_mask:0xf
	v_add_f32_e32 v14, v14, v15
	s_nop 1
	v_mov_b32_dpp v15, v14 row_half_mirror row_mask:0xf bank_mask:0xf
	v_add_f32_e32 v14, v14, v15
	s_nop 1
	v_mov_b32_dpp v15, v14 row_mirror row_mask:0xf bank_mask:0xf
	v_add_f32_e32 v14, v14, v15
	s_nop 1
	v_mov_b32_dpp v15, v14 row_bcast:15 row_mask:0xf bank_mask:0xf
	v_add_f32_e32 v14, v14, v15
	s_nop 1
	v_mov_b32_dpp v15, v14 row_bcast:31 row_mask:0xf bank_mask:0xf
	v_add_f32_e32 v15, v14, v15
	v_mbcnt_lo_u32_b32 v14, -1, 0
	v_mbcnt_hi_u32_b32 v14, -1, v14
	v_lshl_or_b32 v14, v14, 2, v16
	ds_bpermute_b32 v15, v14, v15
	s_and_saveexec_b64 s[26:27], s[0:1]
	s_cbranch_execnz .LBB116_16
; %bb.12:
	s_or_b64 exec, exec, s[26:27]
	s_mov_b64 s[26:27], -1
	s_and_b64 vcc, exec, s[2:3]
	s_cbranch_vccnz .LBB116_17
.LBB116_13:
	s_andn2_b64 vcc, exec, s[26:27]
	s_cbranch_vccz .LBB116_20
.LBB116_14:
	s_cmp_lt_i32 s20, 1
	s_cbranch_scc0 .LBB116_29
.LBB116_15:
	s_endpgm
.LBB116_16:
	v_cvt_f32_u32_e32 v16, s7
	s_mov_b32 s7, 0x800000
	s_waitcnt lgkmcnt(0)
	v_div_scale_f32 v17, s[28:29], v16, v16, v15
	v_rcp_f32_e32 v18, v17
	v_div_scale_f32 v19, vcc, v15, v16, v15
	v_fma_f32 v20, -v17, v18, 1.0
	v_fmac_f32_e32 v18, v20, v18
	v_mul_f32_e32 v20, v19, v18
	v_fma_f32 v21, -v17, v20, v19
	v_fmac_f32_e32 v20, v21, v18
	v_fma_f32 v17, -v17, v20, v19
	v_div_fmas_f32 v17, v17, v18, v20
	v_div_fixup_f32 v15, v17, v16, v15
	v_add_f32_e32 v15, s18, v15
	v_mul_f32_e32 v16, 0x4b800000, v15
	v_cmp_gt_f32_e32 vcc, s7, v15
	v_cndmask_b32_e32 v15, v15, v16, vcc
	v_rsq_f32_e32 v15, v15
	s_waitcnt vmcnt(0)
	v_cvt_f32_u32_sdwa v17, v10 dst_sel:DWORD dst_unused:UNUSED_PAD src0_sel:WORD_1
	v_cvt_f32_u32_sdwa v21, v11 dst_sel:DWORD dst_unused:UNUSED_PAD src0_sel:WORD_1
	v_cvt_f32_u32_sdwa v20, v11 dst_sel:DWORD dst_unused:UNUSED_PAD src0_sel:WORD_0
	v_mul_f32_e32 v16, 0x45800000, v15
	v_cndmask_b32_e32 v18, v15, v16, vcc
	v_cvt_f32_u32_sdwa v16, v10 dst_sel:DWORD dst_unused:UNUSED_PAD src0_sel:WORD_0
	v_mov_b32_e32 v19, v18
	;;#ASMSTART
	v_pk_mul_f32 v[2:3], v[2:3], v[18:19]
	;;#ASMEND
	;;#ASMSTART
	v_pk_mul_f32 v[4:5], v[4:5], v[18:19]
	;;#ASMEND
	v_pk_add_f32 v[10:11], v[16:17], 1.0 op_sel_hi:[1,0]
	v_cvt_f32_u32_sdwa v17, v12 dst_sel:DWORD dst_unused:UNUSED_PAD src0_sel:WORD_1
	v_cvt_f32_u32_sdwa v16, v12 dst_sel:DWORD dst_unused:UNUSED_PAD src0_sel:WORD_0
	;;#ASMSTART
	v_pk_mul_f32 v[6:7], v[6:7], v[18:19]
	;;#ASMEND
	;;#ASMSTART
	v_pk_mul_f32 v[8:9], v[8:9], v[18:19]
	;;#ASMEND
	v_cvt_f32_u32_sdwa v19, v13 dst_sel:DWORD dst_unused:UNUSED_PAD src0_sel:WORD_1
	v_cvt_f32_u32_sdwa v18, v13 dst_sel:DWORD dst_unused:UNUSED_PAD src0_sel:WORD_0
	;;#ASMSTART
	v_pk_mul_f32 v[2:3], v[2:3], v[10:11]
	;;#ASMEND
	v_pk_add_f32 v[10:11], v[20:21], 1.0 op_sel_hi:[1,0]
	;;#ASMSTART
	v_pk_mul_f32 v[4:5], v[4:5], v[10:11]
	;;#ASMEND
	v_pk_add_f32 v[10:11], v[16:17], 1.0 op_sel_hi:[1,0]
	;; [unrolled: 4-line block ×3, first 2 shown]
	;;#ASMSTART
	v_pk_mul_f32 v[8:9], v[8:9], v[10:11]
	;;#ASMEND
	s_or_b64 exec, exec, s[26:27]
	s_mov_b64 s[26:27], -1
	s_and_b64 vcc, exec, s[2:3]
	s_cbranch_vccz .LBB116_13
.LBB116_17:
	s_and_saveexec_b64 s[2:3], s[0:1]
	s_cbranch_execz .LBB116_19
; %bb.18:
	s_mul_hi_i32 s27, s12, s6
	s_mul_i32 s26, s12, s6
	s_lshl_b64 s[26:27], s[26:27], 1
	s_waitcnt lgkmcnt(0)
	s_add_u32 s28, s14, s26
	s_addc_u32 s7, s15, s27
	s_and_b32 s29, s7, 0xffff
	s_mov_b32 s7, 0x7060302
	s_mov_b32 s31, 0x20000
	s_waitcnt vmcnt(0)
	v_perm_b32 v10, v3, v2, s7
	v_perm_b32 v11, v5, v4, s7
	;; [unrolled: 1-line block ×4, first 2 shown]
	v_lshlrev_b32_e32 v15, 4, v0
	buffer_store_dwordx4 v[10:13], v15, s[28:31], 0 offen
	;;#ASMSTART
	s_nop 0
	;;#ASMEND
.LBB116_19:
	s_or_b64 exec, exec, s[2:3]
	s_cbranch_execnz .LBB116_14
.LBB116_20:
	s_waitcnt vmcnt(0)
	v_mov_b32_e32 v10, 0
	s_and_saveexec_b64 s[2:3], s[0:1]
	s_cbranch_execz .LBB116_22
; %bb.21:
	s_load_dwordx2 s[26:27], s[4:5], 0x10
	s_mul_hi_i32 s29, s11, s6
	s_mul_i32 s28, s11, s6
	s_lshl_b64 s[28:29], s[28:29], 1
	s_mov_b32 s31, 0x20000
	s_waitcnt lgkmcnt(0)
	s_add_u32 s28, s26, s28
	s_addc_u32 s7, s27, s29
	s_and_b32 s29, s7, 0xffff
	s_mov_b32 s7, 0x7060302
	v_perm_b32 v10, v3, v2, s7
	v_perm_b32 v11, v5, v4, s7
	;; [unrolled: 1-line block ×4, first 2 shown]
	v_lshlrev_b32_e32 v15, 4, v0
	buffer_store_dwordx4 v[10:13], v15, s[28:31], 0 offen
	;;#ASMSTART
	s_nop 0
	;;#ASMEND
	s_nop 0
	v_mov_b32_e32 v10, 0x2edbe6ff
.LBB116_22:
	s_or_b64 exec, exec, s[2:3]
	s_and_saveexec_b64 s[2:3], s[0:1]
	s_cbranch_execz .LBB116_24
; %bb.23:
	v_and_b32_e32 v2, 0x7fffffff, v2
	v_and_b32_e32 v3, 0x7fffffff, v3
	;;#ASMSTART
	v_max3_f32 v2, v10, v2, v3

	;;#ASMEND
	v_and_b32_e32 v3, 0x7fffffff, v4
	v_and_b32_e32 v4, 0x7fffffff, v5
	;;#ASMSTART
	v_max3_f32 v2, v2, v3, v4

	;;#ASMEND
	;; [unrolled: 6-line block ×4, first 2 shown]
.LBB116_24:
	s_or_b64 exec, exec, s[2:3]
	;;#ASMSTART
	v_max_f32 v2, v10, v10 quad_perm:[1,0,3,2] row_mask:0xf bank_mask:0xf bound_ctrl:1
	;;#ASMEND
	;;#ASMSTART
	v_max_f32 v3, v2, v2 quad_perm:[2,3,0,1] row_mask:0xf bank_mask:0xf bound_ctrl:1
	;;#ASMEND
	;;#ASMSTART
	v_max_f32 v4, v3, v3 row_half_mirror row_mask:0xf bank_mask:0xf bound_ctrl:1
	;;#ASMEND
	v_and_b32_e32 v3, 15, v0
	v_cmp_eq_u32_e32 vcc, 0, v3
	v_cmp_gt_i32_e64 s[2:3], s19, v1
	s_and_b64 s[26:27], vcc, s[2:3]
	;;#ASMSTART
	v_max_f32 v2, v4, v4 row_mirror row_mask:0xf bank_mask:0xf bound_ctrl:1
	;;#ASMEND
	s_and_saveexec_b64 s[2:3], s[26:27]
	s_cbranch_execz .LBB116_26
; %bb.25:
	s_load_dwordx2 s[26:27], s[4:5], 0x8
	v_mul_f32_e32 v2, 0x3e2aaaab, v2
	v_lshrrev_b32_e32 v3, 23, v2
	v_and_b32_e32 v4, 0x7f800000, v2
	v_and_b32_e32 v2, 0x7fffff, v2
	v_cmp_ne_u32_e32 vcc, 0, v2
	s_mul_hi_i32 s11, s9, s6
	s_mul_i32 s9, s9, s6
	s_mov_b32 s7, 0x7f800000
	v_addc_co_u32_e32 v2, vcc, 0, v3, vcc
	s_waitcnt lgkmcnt(0)
	s_add_u32 s26, s26, s9
	v_cmp_ne_u32_e32 vcc, s7, v4
	s_addc_u32 s27, s27, s11
	v_lshrrev_b32_e32 v5, 4, v0
	v_cndmask_b32_e32 v4, -1, v2, vcc
	v_pk_mov_b32 v[2:3], s[26:27], s[26:27] op_sel:[0,1]
	v_mad_i64_i32 v[2:3], s[10:11], s10, v5, v[2:3]
	global_store_byte v[2:3], v4, off
.LBB116_26:
	s_or_b64 exec, exec, s[2:3]
	s_and_saveexec_b64 s[2:3], s[0:1]
	s_cbranch_execz .LBB116_28
; %bb.27:
	s_load_dwordx2 s[0:1], s[4:5], 0x0
	s_mul_hi_i32 s7, s8, s6
	s_mul_i32 s8, s8, s6
	v_lshlrev_b32_e32 v2, 2, v0
	s_mov_b32 s11, 0x20000
	s_waitcnt lgkmcnt(0)
	s_add_u32 s8, s0, s8
	s_addc_u32 s0, s1, s7
	s_lshr_b32 s1, s19, 31
	s_add_i32 s1, s19, s1
	s_ashr_i32 s1, s1, 1
	s_add_i32 s1, s1, 3
	s_ashr_i32 s7, s1, 31
	s_lshr_b32 s7, s7, 30
	s_add_i32 s1, s1, s7
	s_and_b32 s10, s1, -4
	s_and_b32 s9, s0, 0xffff
	v_mov_b32_e32 v3, 0
	buffer_store_dword v3, v2, s[8:11], 0 offen
	;;#ASMSTART
	s_nop 0
	;;#ASMEND
.LBB116_28:
	s_or_b64 exec, exec, s[2:3]
	s_cmp_lt_i32 s20, 1
	s_cbranch_scc1 .LBB116_15
.LBB116_29:
	s_load_dword s0, s[4:5], 0x94
	s_waitcnt lgkmcnt(0)
	s_cmp_lg_u32 s0, 1
	s_cbranch_scc1 .LBB116_15
; %bb.30:
	s_lshl_b32 s0, s20, 1
	s_add_i32 s0, s0, 2
	v_cmp_gt_u32_e32 vcc, s20, v1
	s_and_b32 s26, s0, -4
	v_mov_b32_e32 v4, 0
	s_waitcnt vmcnt(0)
	v_lshlrev_b32_e32 v12, 4, v0
	v_mov_b32_e32 v5, 0
	v_mov_b32_e32 v6, 0
	;; [unrolled: 1-line block ×7, first 2 shown]
	s_barrier
	s_and_saveexec_b64 s[0:1], vcc
	s_cbranch_execz .LBB116_32
; %bb.31:
	s_mul_hi_i32 s3, s22, s6
	s_mul_i32 s2, s22, s6
	s_and_b32 s25, s25, 0xffff
	s_lshl_b64 s[2:3], s[2:3], 1
	s_add_u32 s8, s34, s2
	s_mov_b32 s27, 0x20000
	s_addc_u32 s2, s35, s3
	s_and_b32 s9, s2, 0xffff
	s_mov_b32 s10, s26
	s_mov_b32 s11, s27
	buffer_load_dwordx4 v[4:7], v12, s[8:11], 0 offen glc slc
	buffer_load_dwordx4 v[0:3], v12, s[24:27], 0 offen
.LBB116_32:
	s_or_b64 exec, exec, s[0:1]
	s_waitcnt vmcnt(1)
	v_cvt_f32_u32_sdwa v11, v4 dst_sel:DWORD dst_unused:UNUSED_PAD src0_sel:WORD_1
	v_cvt_f32_u32_sdwa v10, v4 dst_sel:DWORD dst_unused:UNUSED_PAD src0_sel:WORD_0
	v_cvt_f32_u32_sdwa v4, v7 dst_sel:DWORD dst_unused:UNUSED_PAD src0_sel:WORD_1
	v_cvt_f32_u32_sdwa v7, v7 dst_sel:DWORD dst_unused:UNUSED_PAD src0_sel:WORD_0
	;; [unrolled: 2-line block ×4, first 2 shown]
	v_cndmask_b32_e32 v11, 0, v11, vcc
	v_cndmask_b32_e32 v5, 0, v4, vcc
	;; [unrolled: 1-line block ×5, first 2 shown]
	v_mul_f32_e32 v13, v11, v11
	v_cndmask_b32_e32 v8, 0, v8, vcc
	v_fmac_f32_e32 v13, v10, v10
	v_cndmask_b32_e32 v9, 0, v9, vcc
	v_fmac_f32_e32 v13, v8, v8
	;; [unrolled: 2-line block ×3, first 2 shown]
	v_fmac_f32_e32 v13, v6, v6
	v_fmac_f32_e32 v13, v7, v7
	;; [unrolled: 1-line block ×4, first 2 shown]
	s_nop 1
	v_mov_b32_dpp v15, v13 quad_perm:[1,0,3,2] row_mask:0xf bank_mask:0xf
	v_add_f32_e32 v13, v13, v15
	s_nop 1
	v_mov_b32_dpp v15, v13 quad_perm:[2,3,0,1] row_mask:0xf bank_mask:0xf
	v_add_f32_e32 v13, v13, v15
	s_nop 1
	v_mov_b32_dpp v15, v13 row_half_mirror row_mask:0xf bank_mask:0xf
	v_add_f32_e32 v13, v13, v15
	s_nop 1
	v_mov_b32_dpp v15, v13 row_mirror row_mask:0xf bank_mask:0xf
	v_add_f32_e32 v13, v13, v15
	s_nop 1
	v_mov_b32_dpp v15, v13 row_bcast:15 row_mask:0xf bank_mask:0xf
	v_add_f32_e32 v13, v13, v15
	s_nop 1
	v_mov_b32_dpp v15, v13 row_bcast:31 row_mask:0xf bank_mask:0xf
	v_add_f32_e32 v13, v13, v15
	ds_bpermute_b32 v13, v14, v13
	s_and_saveexec_b64 s[0:1], vcc
	s_cbranch_execz .LBB116_15
; %bb.33:
	v_cvt_f32_u32_e32 v14, s20
	s_mov_b32 s27, 0x20000
	s_waitcnt lgkmcnt(0)
	v_div_scale_f32 v15, s[0:1], v14, v14, v13
	v_rcp_f32_e32 v16, v15
	v_div_scale_f32 v17, vcc, v13, v14, v13
	s_mov_b32 s0, 0x800000
	v_fma_f32 v18, -v15, v16, 1.0
	v_fmac_f32_e32 v16, v18, v16
	v_mul_f32_e32 v18, v17, v16
	v_fma_f32 v19, -v15, v18, v17
	v_fmac_f32_e32 v18, v19, v16
	v_fma_f32 v15, -v15, v18, v17
	v_div_fmas_f32 v15, v15, v16, v18
	v_div_fixup_f32 v13, v15, v14, v13
	v_add_f32_e32 v13, s17, v13
	v_mul_f32_e32 v14, 0x4b800000, v13
	v_cmp_gt_f32_e32 vcc, s0, v13
	v_cndmask_b32_e32 v13, v13, v14, vcc
	v_rsq_f32_e32 v13, v13
	s_waitcnt vmcnt(0)
	v_cvt_f32_u32_sdwa v15, v0 dst_sel:DWORD dst_unused:UNUSED_PAD src0_sel:WORD_1
	v_cvt_f32_u32_sdwa v19, v1 dst_sel:DWORD dst_unused:UNUSED_PAD src0_sel:WORD_1
	v_cvt_f32_u32_sdwa v18, v1 dst_sel:DWORD dst_unused:UNUSED_PAD src0_sel:WORD_0
	v_mul_f32_e32 v14, 0x45800000, v13
	v_cndmask_b32_e32 v16, v13, v14, vcc
	v_cvt_f32_u32_sdwa v14, v0 dst_sel:DWORD dst_unused:UNUSED_PAD src0_sel:WORD_0
	v_mov_b32_e32 v17, v16
	;;#ASMSTART
	v_pk_mul_f32 v[10:11], v[10:11], v[16:17]
	;;#ASMEND
	;;#ASMSTART
	v_pk_mul_f32 v[8:9], v[8:9], v[16:17]
	;;#ASMEND
	;; [unrolled: 3-line block ×4, first 2 shown]
	v_pk_add_f32 v[4:5], v[14:15], 1.0 op_sel_hi:[1,0]
	v_cvt_f32_u32_sdwa v15, v2 dst_sel:DWORD dst_unused:UNUSED_PAD src0_sel:WORD_1
	v_cvt_f32_u32_sdwa v14, v2 dst_sel:DWORD dst_unused:UNUSED_PAD src0_sel:WORD_0
	v_cvt_f32_u32_sdwa v17, v3 dst_sel:DWORD dst_unused:UNUSED_PAD src0_sel:WORD_1
	v_cvt_f32_u32_sdwa v16, v3 dst_sel:DWORD dst_unused:UNUSED_PAD src0_sel:WORD_0
	s_mul_hi_i32 s1, s12, s6
	s_mul_i32 s0, s12, s6
	s_lshl_b64 s[0:1], s[0:1], 1
	s_add_u32 s24, s14, s0
	;;#ASMSTART
	v_pk_mul_f32 v[4:5], v[10:11], v[4:5]
	;;#ASMEND
	v_pk_add_f32 v[10:11], v[18:19], 1.0 op_sel_hi:[1,0]
	;;#ASMSTART
	v_pk_mul_f32 v[2:3], v[8:9], v[10:11]
	;;#ASMEND
	v_pk_add_f32 v[8:9], v[14:15], 1.0 op_sel_hi:[1,0]
	s_addc_u32 s0, s15, s1
	;;#ASMSTART
	v_pk_mul_f32 v[6:7], v[6:7], v[8:9]
	;;#ASMEND
	v_pk_add_f32 v[8:9], v[16:17], 1.0 op_sel_hi:[1,0]
	s_and_b32 s25, s0, 0xffff
	s_mov_b32 s0, 0x7060302
	;;#ASMSTART
	v_pk_mul_f32 v[8:9], v[0:1], v[8:9]
	;;#ASMEND
	v_perm_b32 v0, v5, v4, s0
	v_perm_b32 v1, v3, v2, s0
	;; [unrolled: 1-line block ×4, first 2 shown]
	buffer_store_dwordx4 v[0:3], v12, s[24:27], 0 offen
	;;#ASMSTART
	s_nop 0
	;;#ASMEND
	s_endpgm
	.section	.rodata,"a",@progbits
	.p2align	6, 0x0
	.amdhsa_kernel _ZN5aiter35fused_qk_rmsnorm_group_quant_kernelItN4opus5fp4_tELi64ELi8ELi16ELb1ELb1ELb1ELb0ELb0ELb0EEEvPT0_PvPT_S7_S7_PKS6_S9_S9_S9_S9_ffiiiiiiiiiiiii
		.amdhsa_group_segment_fixed_size 0
		.amdhsa_private_segment_fixed_size 0
		.amdhsa_kernarg_size 400
		.amdhsa_user_sgpr_count 6
		.amdhsa_user_sgpr_private_segment_buffer 1
		.amdhsa_user_sgpr_dispatch_ptr 0
		.amdhsa_user_sgpr_queue_ptr 0
		.amdhsa_user_sgpr_kernarg_segment_ptr 1
		.amdhsa_user_sgpr_dispatch_id 0
		.amdhsa_user_sgpr_flat_scratch_init 0
		.amdhsa_user_sgpr_kernarg_preload_length 0
		.amdhsa_user_sgpr_kernarg_preload_offset 0
		.amdhsa_user_sgpr_private_segment_size 0
		.amdhsa_uses_dynamic_stack 0
		.amdhsa_system_sgpr_private_segment_wavefront_offset 0
		.amdhsa_system_sgpr_workgroup_id_x 1
		.amdhsa_system_sgpr_workgroup_id_y 1
		.amdhsa_system_sgpr_workgroup_id_z 0
		.amdhsa_system_sgpr_workgroup_info 0
		.amdhsa_system_vgpr_workitem_id 0
		.amdhsa_next_free_vgpr 27
		.amdhsa_next_free_sgpr 44
		.amdhsa_accum_offset 28
		.amdhsa_reserve_vcc 1
		.amdhsa_reserve_flat_scratch 0
		.amdhsa_float_round_mode_32 0
		.amdhsa_float_round_mode_16_64 0
		.amdhsa_float_denorm_mode_32 3
		.amdhsa_float_denorm_mode_16_64 3
		.amdhsa_dx10_clamp 1
		.amdhsa_ieee_mode 1
		.amdhsa_fp16_overflow 0
		.amdhsa_tg_split 0
		.amdhsa_exception_fp_ieee_invalid_op 0
		.amdhsa_exception_fp_denorm_src 0
		.amdhsa_exception_fp_ieee_div_zero 0
		.amdhsa_exception_fp_ieee_overflow 0
		.amdhsa_exception_fp_ieee_underflow 0
		.amdhsa_exception_fp_ieee_inexact 0
		.amdhsa_exception_int_div_zero 0
	.end_amdhsa_kernel
	.section	.text._ZN5aiter35fused_qk_rmsnorm_group_quant_kernelItN4opus5fp4_tELi64ELi8ELi16ELb1ELb1ELb1ELb0ELb0ELb0EEEvPT0_PvPT_S7_S7_PKS6_S9_S9_S9_S9_ffiiiiiiiiiiiii,"axG",@progbits,_ZN5aiter35fused_qk_rmsnorm_group_quant_kernelItN4opus5fp4_tELi64ELi8ELi16ELb1ELb1ELb1ELb0ELb0ELb0EEEvPT0_PvPT_S7_S7_PKS6_S9_S9_S9_S9_ffiiiiiiiiiiiii,comdat
.Lfunc_end116:
	.size	_ZN5aiter35fused_qk_rmsnorm_group_quant_kernelItN4opus5fp4_tELi64ELi8ELi16ELb1ELb1ELb1ELb0ELb0ELb0EEEvPT0_PvPT_S7_S7_PKS6_S9_S9_S9_S9_ffiiiiiiiiiiiii, .Lfunc_end116-_ZN5aiter35fused_qk_rmsnorm_group_quant_kernelItN4opus5fp4_tELi64ELi8ELi16ELb1ELb1ELb1ELb0ELb0ELb0EEEvPT0_PvPT_S7_S7_PKS6_S9_S9_S9_S9_ffiiiiiiiiiiiii
                                        ; -- End function
	.section	.AMDGPU.csdata,"",@progbits
; Kernel info:
; codeLenInByte = 2816
; NumSgprs: 48
; NumVgprs: 27
; NumAgprs: 0
; TotalNumVgprs: 27
; ScratchSize: 0
; MemoryBound: 0
; FloatMode: 240
; IeeeMode: 1
; LDSByteSize: 0 bytes/workgroup (compile time only)
; SGPRBlocks: 5
; VGPRBlocks: 3
; NumSGPRsForWavesPerEU: 48
; NumVGPRsForWavesPerEU: 27
; AccumOffset: 28
; Occupancy: 8
; WaveLimiterHint : 0
; COMPUTE_PGM_RSRC2:SCRATCH_EN: 0
; COMPUTE_PGM_RSRC2:USER_SGPR: 6
; COMPUTE_PGM_RSRC2:TRAP_HANDLER: 0
; COMPUTE_PGM_RSRC2:TGID_X_EN: 1
; COMPUTE_PGM_RSRC2:TGID_Y_EN: 1
; COMPUTE_PGM_RSRC2:TGID_Z_EN: 0
; COMPUTE_PGM_RSRC2:TIDIG_COMP_CNT: 0
; COMPUTE_PGM_RSRC3_GFX90A:ACCUM_OFFSET: 6
; COMPUTE_PGM_RSRC3_GFX90A:TG_SPLIT: 0
	.section	.text._ZN5aiter35fused_qk_rmsnorm_group_quant_kernelIDF16_DB8_Li64ELi8ELi16ELb1ELb1ELb0ELb0ELb0ELb0EEEvPT0_PvPT_S6_S6_PKS5_S8_S8_S8_S8_ffiiiiiiiiiiiii,"axG",@progbits,_ZN5aiter35fused_qk_rmsnorm_group_quant_kernelIDF16_DB8_Li64ELi8ELi16ELb1ELb1ELb0ELb0ELb0ELb0EEEvPT0_PvPT_S6_S6_PKS5_S8_S8_S8_S8_ffiiiiiiiiiiiii,comdat
	.protected	_ZN5aiter35fused_qk_rmsnorm_group_quant_kernelIDF16_DB8_Li64ELi8ELi16ELb1ELb1ELb0ELb0ELb0ELb0EEEvPT0_PvPT_S6_S6_PKS5_S8_S8_S8_S8_ffiiiiiiiiiiiii ; -- Begin function _ZN5aiter35fused_qk_rmsnorm_group_quant_kernelIDF16_DB8_Li64ELi8ELi16ELb1ELb1ELb0ELb0ELb0ELb0EEEvPT0_PvPT_S6_S6_PKS5_S8_S8_S8_S8_ffiiiiiiiiiiiii
	.globl	_ZN5aiter35fused_qk_rmsnorm_group_quant_kernelIDF16_DB8_Li64ELi8ELi16ELb1ELb1ELb0ELb0ELb0ELb0EEEvPT0_PvPT_S6_S6_PKS5_S8_S8_S8_S8_ffiiiiiiiiiiiii
	.p2align	8
	.type	_ZN5aiter35fused_qk_rmsnorm_group_quant_kernelIDF16_DB8_Li64ELi8ELi16ELb1ELb1ELb0ELb0ELb0ELb0EEEvPT0_PvPT_S6_S6_PKS5_S8_S8_S8_S8_ffiiiiiiiiiiiii,@function
_ZN5aiter35fused_qk_rmsnorm_group_quant_kernelIDF16_DB8_Li64ELi8ELi16ELb1ELb1ELb0ELb0ELb0ELb0EEEvPT0_PvPT_S6_S6_PKS5_S8_S8_S8_S8_ffiiiiiiiiiiiii: ; @_ZN5aiter35fused_qk_rmsnorm_group_quant_kernelIDF16_DB8_Li64ELi8ELi16ELb1ELb1ELb0ELb0ELb0ELb0EEEvPT0_PvPT_S6_S6_PKS5_S8_S8_S8_S8_ffiiiiiiiiiiiii
; %bb.0:
	s_load_dwordx8 s[16:23], s[4:5], 0x50
	s_waitcnt lgkmcnt(0)
	s_cmp_ge_i32 s6, s18
	s_cbranch_scc1 .LBB117_15
; %bb.1:
	s_cmp_lg_u32 s7, 0
	s_cselect_b64 s[2:3], -1, 0
	s_cmp_eq_u32 s7, 0
	s_cselect_b64 s[26:27], -1, 0
	s_and_b64 s[0:1], s[26:27], exec
	s_load_dwordx2 s[24:25], s[4:5], 0x48
	s_load_dwordx2 s[34:35], s[4:5], 0x30
	s_load_dwordx8 s[8:15], s[4:5], 0x70
	s_cselect_b32 s7, s19, s20
	s_add_i32 s0, s7, 1
	s_lshr_b32 s1, s0, 31
	s_add_i32 s0, s0, s1
	s_lshl_b32 s0, s0, 1
	v_lshlrev_b32_e32 v1, 3, v0
	s_and_b32 s30, s0, -4
	v_cmp_gt_i32_e64 s[0:1], s7, v1
	v_mov_b32_e32 v24, 0
	v_mov_b32_e32 v25, 0
	;; [unrolled: 1-line block ×8, first 2 shown]
	s_waitcnt lgkmcnt(0)
	s_and_saveexec_b64 s[14:15], s[0:1]
	s_cbranch_execz .LBB117_3
; %bb.2:
	s_load_dwordx2 s[28:29], s[4:5], 0x28
	s_load_dwordx2 s[38:39], s[4:5], 0x40
	s_and_b64 s[36:37], s[26:27], exec
	s_cselect_b32 s18, s21, s22
	v_lshlrev_b32_e32 v2, 4, v0
	s_waitcnt lgkmcnt(0)
	s_cselect_b32 s21, s29, s35
	s_cselect_b32 s31, s28, s34
	s_mul_hi_i32 s29, s18, s6
	s_mul_i32 s28, s18, s6
	s_lshl_b64 s[28:29], s[28:29], 1
	s_add_u32 s36, s31, s28
	s_addc_u32 s18, s21, s29
	s_and_b64 s[26:27], s[26:27], exec
	s_mov_b32 s31, 0x20000
	s_cselect_b32 s28, s38, s24
	s_cselect_b32 s21, s39, s25
	s_and_b32 s37, s18, 0xffff
	s_mov_b32 s38, s30
	s_mov_b32 s39, s31
	s_and_b32 s29, s21, 0xffff
	buffer_load_dwordx4 v[28:31], v2, s[36:39], 0 offen glc slc
	buffer_load_dwordx4 v[24:27], v2, s[28:31], 0 offen
.LBB117_3:
	s_or_b64 exec, exec, s[14:15]
	s_and_b64 vcc, exec, s[2:3]
	s_cbranch_vccz .LBB117_7
; %bb.4:
	v_mov_b32_e32 v33, 0
	v_mov_b32_e32 v32, 0
	;; [unrolled: 1-line block ×8, first 2 shown]
	s_and_saveexec_b64 s[14:15], s[0:1]
	s_cbranch_execz .LBB117_6
; %bb.5:
	s_waitcnt vmcnt(1)
	v_cvt_f32_f16_sdwa v17, v28 dst_sel:DWORD dst_unused:UNUSED_PAD src0_sel:WORD_1
	v_cvt_f32_f16_e32 v16, v28
	v_cvt_f32_f16_sdwa v11, v29 dst_sel:DWORD dst_unused:UNUSED_PAD src0_sel:WORD_1
	v_cvt_f32_f16_e32 v10, v29
	;; [unrolled: 2-line block ×4, first 2 shown]
.LBB117_6:
	s_or_b64 exec, exec, s[14:15]
	s_mov_b32 s18, s17
	s_cbranch_execz .LBB117_8
	s_branch .LBB117_11
.LBB117_7:
                                        ; implicit-def: $vgpr8_vgpr9_vgpr10_vgpr11_vgpr12_vgpr13_vgpr14_vgpr15
                                        ; implicit-def: $vgpr33
                                        ; implicit-def: $vgpr16_vgpr17_vgpr18_vgpr19_vgpr20_vgpr21_vgpr22_vgpr23
                                        ; implicit-def: $vgpr2_vgpr3_vgpr4_vgpr5_vgpr6_vgpr7_vgpr8_vgpr9
	s_mov_b32 s18, s17
.LBB117_8:
	v_mov_b32_e32 v33, 0
	v_mov_b32_e32 v32, 0
	;; [unrolled: 1-line block ×8, first 2 shown]
	s_and_saveexec_b64 s[14:15], s[0:1]
	s_cbranch_execz .LBB117_10
; %bb.9:
	s_load_dwordx2 s[26:27], s[4:5], 0x38
	s_mul_hi_i32 s29, s23, s6
	s_mul_i32 s28, s23, s6
	s_lshl_b64 s[28:29], s[28:29], 1
	s_mov_b32 s31, 0x20000
	s_waitcnt lgkmcnt(0)
	s_add_u32 s28, s26, s28
	s_addc_u32 s18, s27, s29
	s_and_b32 s29, s18, 0xffff
	v_lshlrev_b32_e32 v20, 4, v0
	buffer_load_dwordx4 v[2:5], v20, s[28:31], 0 offen glc slc
	s_waitcnt vmcnt(2)
	v_cvt_f32_f16_sdwa v7, v28 dst_sel:DWORD dst_unused:UNUSED_PAD src0_sel:WORD_1
	v_cvt_f32_f16_e32 v6, v28
	v_cvt_f32_f16_sdwa v9, v29 dst_sel:DWORD dst_unused:UNUSED_PAD src0_sel:WORD_1
	v_cvt_f32_f16_e32 v8, v29
	;; [unrolled: 2-line block ×4, first 2 shown]
	s_load_dwordx2 s[26:27], s[4:5], 0x20
	s_mul_hi_i32 s29, s13, s6
	s_mul_i32 s28, s13, s6
	s_lshl_b64 s[28:29], s[28:29], 1
	s_waitcnt lgkmcnt(0)
	s_add_u32 s28, s26, s28
	s_addc_u32 s13, s27, s29
	s_and_b32 s29, s13, 0xffff
	s_waitcnt vmcnt(0)
	v_cvt_f32_f16_e32 v10, v2
	v_cvt_f32_f16_sdwa v11, v2 dst_sel:DWORD dst_unused:UNUSED_PAD src0_sel:WORD_1
	v_cvt_f32_f16_e32 v2, v3
	v_cvt_f32_f16_sdwa v3, v3 dst_sel:DWORD dst_unused:UNUSED_PAD src0_sel:WORD_1
	;; [unrolled: 2-line block ×4, first 2 shown]
	v_pk_add_f32 v[16:17], v[6:7], v[10:11]
	v_pk_add_f32 v[10:11], v[8:9], v[2:3]
	;; [unrolled: 1-line block ×4, first 2 shown]
	v_cvt_f16_f32_e32 v2, v17
	v_cvt_f16_f32_e32 v3, v11
	;; [unrolled: 1-line block ×8, first 2 shown]
	v_pack_b32_f16 v5, v8, v5
	v_pack_b32_f16 v4, v9, v4
	;; [unrolled: 1-line block ×4, first 2 shown]
	buffer_store_dwordx4 v[2:5], v20, s[28:31], 0 offen glc slc
	;;#ASMSTART
	s_nop 0
	;;#ASMEND
.LBB117_10:
	s_or_b64 exec, exec, s[14:15]
	s_mov_b32 s18, s16
.LBB117_11:
	v_mul_f32_e32 v2, v17, v17
	v_fmac_f32_e32 v2, v16, v16
	v_fmac_f32_e32 v2, v10, v10
	;; [unrolled: 1-line block ×7, first 2 shown]
	v_bfrev_b32_e32 v4, 0.5
	s_load_dwordx2 s[14:15], s[4:5], 0x18
	v_mov_b32_dpp v3, v2 quad_perm:[1,0,3,2] row_mask:0xf bank_mask:0xf
	v_add_f32_e32 v2, v2, v3
	s_nop 1
	v_mov_b32_dpp v3, v2 quad_perm:[2,3,0,1] row_mask:0xf bank_mask:0xf
	v_add_f32_e32 v2, v2, v3
	s_nop 1
	v_mov_b32_dpp v3, v2 row_half_mirror row_mask:0xf bank_mask:0xf
	v_add_f32_e32 v2, v2, v3
	s_nop 1
	v_mov_b32_dpp v3, v2 row_mirror row_mask:0xf bank_mask:0xf
	v_add_f32_e32 v2, v2, v3
	s_nop 1
	v_mov_b32_dpp v3, v2 row_bcast:15 row_mask:0xf bank_mask:0xf
	v_add_f32_e32 v2, v2, v3
	s_nop 1
	v_mov_b32_dpp v3, v2 row_bcast:31 row_mask:0xf bank_mask:0xf
	v_add_f32_e32 v2, v2, v3
	v_mbcnt_lo_u32_b32 v3, -1, 0
	v_mbcnt_hi_u32_b32 v3, -1, v3
	v_lshl_or_b32 v18, v3, 2, v4
	ds_bpermute_b32 v2, v18, v2
	s_and_saveexec_b64 s[26:27], s[0:1]
	s_cbranch_execnz .LBB117_16
; %bb.12:
	s_or_b64 exec, exec, s[26:27]
	s_mov_b64 s[26:27], -1
	s_and_b64 vcc, exec, s[2:3]
	s_cbranch_vccnz .LBB117_17
.LBB117_13:
	s_andn2_b64 vcc, exec, s[26:27]
	s_cbranch_vccz .LBB117_20
.LBB117_14:
	s_cmp_lt_i32 s20, 1
	s_cbranch_scc0 .LBB117_29
.LBB117_15:
	s_endpgm
.LBB117_16:
	v_cvt_f32_u32_e32 v3, s7
	s_mov_b32 s7, 0x800000
	s_waitcnt vmcnt(0)
	v_cvt_f32_f16_sdwa v13, v25 dst_sel:DWORD dst_unused:UNUSED_PAD src0_sel:WORD_1
	v_cvt_f32_f16_sdwa v15, v26 dst_sel:DWORD dst_unused:UNUSED_PAD src0_sel:WORD_1
	s_waitcnt lgkmcnt(0)
	v_div_scale_f32 v4, s[28:29], v3, v3, v2
	v_rcp_f32_e32 v5, v4
	v_div_scale_f32 v8, vcc, v2, v3, v2
	v_cvt_f32_f16_e32 v14, v26
	v_fma_f32 v9, -v4, v5, 1.0
	v_fmac_f32_e32 v5, v9, v5
	v_mul_f32_e32 v9, v8, v5
	v_fma_f32 v12, -v4, v9, v8
	v_fmac_f32_e32 v9, v12, v5
	v_fma_f32 v4, -v4, v9, v8
	v_div_fmas_f32 v4, v4, v5, v9
	v_div_fixup_f32 v2, v4, v3, v2
	v_add_f32_e32 v2, s18, v2
	v_mul_f32_e32 v3, 0x4b800000, v2
	v_cmp_gt_f32_e32 vcc, s7, v2
	v_cndmask_b32_e32 v2, v2, v3, vcc
	v_rsq_f32_e32 v2, v2
	v_cvt_f32_f16_e32 v12, v25
	v_cvt_f32_f16_sdwa v21, v27 dst_sel:DWORD dst_unused:UNUSED_PAD src0_sel:WORD_1
	v_cvt_f32_f16_e32 v20, v27
	v_mul_f32_e32 v3, 0x45800000, v2
	v_cndmask_b32_e32 v2, v2, v3, vcc
	v_mov_b32_e32 v3, v2
	;;#ASMSTART
	v_pk_mul_f32 v[4:5], v[16:17], v[2:3]
	;;#ASMEND
	;;#ASMSTART
	v_pk_mul_f32 v[8:9], v[10:11], v[2:3]
	;;#ASMEND
	;; [unrolled: 3-line block ×3, first 2 shown]
	v_cvt_f32_f16_sdwa v11, v24 dst_sel:DWORD dst_unused:UNUSED_PAD src0_sel:WORD_1
	v_cvt_f32_f16_e32 v10, v24
	;;#ASMSTART
	v_pk_mul_f32 v[2:3], v[32:33], v[2:3]
	;;#ASMEND
	;;#ASMSTART
	v_pk_mul_f32 v[16:17], v[4:5], v[10:11]
	;;#ASMEND
	;; [unrolled: 3-line block ×5, first 2 shown]
	s_or_b64 exec, exec, s[26:27]
	s_mov_b64 s[26:27], -1
	s_and_b64 vcc, exec, s[2:3]
	s_cbranch_vccz .LBB117_13
.LBB117_17:
	s_and_saveexec_b64 s[2:3], s[0:1]
	s_cbranch_execz .LBB117_19
; %bb.18:
	s_mul_hi_i32 s27, s12, s6
	s_mul_i32 s26, s12, s6
	s_waitcnt lgkmcnt(0)
	v_cvt_f16_f32_e32 v2, v16
	v_cvt_f16_f32_e32 v3, v10
	;; [unrolled: 1-line block ×8, first 2 shown]
	s_lshl_b64 s[26:27], s[26:27], 1
	s_add_u32 s28, s14, s26
	s_addc_u32 s7, s15, s27
	s_and_b32 s29, s7, 0xffff
	s_mov_b32 s31, 0x20000
	v_pack_b32_f16 v5, v5, v8
	v_pack_b32_f16 v4, v4, v9
	;; [unrolled: 1-line block ×4, first 2 shown]
	v_lshlrev_b32_e32 v8, 4, v0
	buffer_store_dwordx4 v[2:5], v8, s[28:31], 0 offen
	;;#ASMSTART
	s_nop 0
	;;#ASMEND
.LBB117_19:
	s_or_b64 exec, exec, s[2:3]
	s_cbranch_execnz .LBB117_14
.LBB117_20:
	s_waitcnt lgkmcnt(0)
	v_mov_b32_e32 v2, 0
	s_and_saveexec_b64 s[2:3], s[0:1]
	s_cbranch_execz .LBB117_22
; %bb.21:
	s_load_dwordx2 s[26:27], s[4:5], 0x10
	s_mul_hi_i32 s29, s11, s6
	s_mul_i32 s28, s11, s6
	v_cvt_f16_f32_e32 v2, v16
	v_cvt_f16_f32_e32 v3, v10
	;; [unrolled: 1-line block ×8, first 2 shown]
	s_lshl_b64 s[28:29], s[28:29], 1
	s_waitcnt lgkmcnt(0)
	s_add_u32 s28, s26, s28
	s_addc_u32 s7, s27, s29
	s_mov_b32 s31, 0x20000
	s_and_b32 s29, s7, 0xffff
	v_pack_b32_f16 v5, v5, v8
	v_pack_b32_f16 v4, v4, v9
	;; [unrolled: 1-line block ×4, first 2 shown]
	v_lshlrev_b32_e32 v8, 4, v0
	buffer_store_dwordx4 v[2:5], v8, s[28:31], 0 offen
	;;#ASMSTART
	s_nop 0
	;;#ASMEND
	s_nop 0
	v_mov_b32_e32 v2, 0x2edbe6ff
.LBB117_22:
	s_or_b64 exec, exec, s[2:3]
	s_and_saveexec_b64 s[2:3], s[0:1]
	s_cbranch_execz .LBB117_24
; %bb.23:
	v_and_b32_e32 v3, 0x7fffffff, v16
	v_and_b32_e32 v4, 0x7fffffff, v17
	;;#ASMSTART
	v_max3_f32 v2, v2, v3, v4

	;;#ASMEND
	v_and_b32_e32 v3, 0x7fffffff, v10
	v_and_b32_e32 v4, 0x7fffffff, v11
	;;#ASMSTART
	v_max3_f32 v2, v2, v3, v4

	;;#ASMEND
	;; [unrolled: 6-line block ×4, first 2 shown]
.LBB117_24:
	s_or_b64 exec, exec, s[2:3]
	;;#ASMSTART
	v_max_f32 v3, v2, v2 quad_perm:[1,0,3,2] row_mask:0xf bank_mask:0xf bound_ctrl:1
	;;#ASMEND
	;;#ASMSTART
	v_max_f32 v2, v3, v3 quad_perm:[2,3,0,1] row_mask:0xf bank_mask:0xf bound_ctrl:1
	;;#ASMEND
	;;#ASMSTART
	v_max_f32 v3, v2, v2 row_half_mirror row_mask:0xf bank_mask:0xf bound_ctrl:1
	;;#ASMEND
	;;#ASMSTART
	v_max_f32 v2, v3, v3 row_mirror row_mask:0xf bank_mask:0xf bound_ctrl:1
	;;#ASMEND
	v_and_b32_e32 v3, 15, v0
	v_cmp_eq_u32_e32 vcc, 0, v3
	v_cmp_gt_i32_e64 s[2:3], s19, v1
	v_mul_f32_e32 v2, 0x3b124925, v2
	s_and_b64 s[26:27], vcc, s[2:3]
	s_and_saveexec_b64 s[2:3], s[26:27]
	s_cbranch_execz .LBB117_26
; %bb.25:
	s_load_dwordx2 s[26:27], s[4:5], 0x8
	v_lshrrev_b32_e32 v3, 4, v0
	s_mul_hi_i32 s29, s9, s6
	s_mul_i32 s28, s9, s6
	v_mad_i64_i32 v[4:5], s[10:11], s10, v3, 0
	s_lshl_b64 s[10:11], s[28:29], 2
	s_waitcnt lgkmcnt(0)
	s_add_u32 s7, s26, s10
	s_addc_u32 s9, s27, s11
	v_lshlrev_b64 v[4:5], 2, v[4:5]
	v_mov_b32_e32 v3, s9
	v_add_co_u32_e32 v4, vcc, s7, v4
	v_addc_co_u32_e32 v5, vcc, v3, v5, vcc
	global_store_dword v[4:5], v2, off
.LBB117_26:
	s_or_b64 exec, exec, s[2:3]
	;;#ASMSTART
	v_rcp_f32 v2, v2
	;;#ASMEND
	s_and_saveexec_b64 s[10:11], s[0:1]
	s_cbranch_execz .LBB117_28
; %bb.27:
	v_mov_b32_e32 v3, v2
	;;#ASMSTART
	v_pk_mul_f32 v[4:5], v[16:17], v[2:3]
	;;#ASMEND
	s_load_dwordx2 s[0:1], s[4:5], 0x0
	v_mov_b32_e32 v8, 0xc3e00000
	v_mov_b32_e32 v9, 0x43e00000
	;;#ASMSTART
	v_med3_f32 v4, v4, v8, v9
v_med3_f32 v5, v5, v8, v9
v_cvt_pk_fp8_f32 v12, v4, v5
	;;#ASMEND
	;;#ASMSTART
	v_pk_mul_f32 v[4:5], v[10:11], v[2:3]
	;;#ASMEND
	s_mul_hi_i32 s2, s8, s6
	s_mul_i32 s3, s8, s6
	;;#ASMSTART
	v_med3_f32 v4, v4, v8, v9
v_med3_f32 v5, v5, v8, v9
v_cvt_pk_fp8_f32 v10, v4, v5
	;;#ASMEND
	s_mov_b32 s8, 0x5040100
	v_perm_b32 v5, v10, v12, s8
	s_movk_i32 s8, 0xff
	v_and_b32_e32 v4, 0xffffff00, v10
	v_and_b32_sdwa v10, v5, s8 dst_sel:DWORD dst_unused:UNUSED_PAD src0_sel:WORD_1 src1_sel:DWORD
	s_mov_b32 s7, 0xffff
	s_waitcnt lgkmcnt(0)
	s_add_u32 s0, s0, s3
	v_or_b32_sdwa v4, v10, v4 dst_sel:WORD_1 dst_unused:UNUSED_PAD src0_sel:DWORD src1_sel:DWORD
	s_addc_u32 s1, s1, s2
	s_add_i32 s2, s19, 3
	v_and_or_b32 v4, v5, s7, v4
	;;#ASMSTART
	v_pk_mul_f32 v[6:7], v[6:7], v[2:3]
	;;#ASMEND
	v_mov_b32_e32 v5, v7
	s_ashr_i32 s3, s2, 31
	;;#ASMSTART
	v_med3_f32 v6, v6, v8, v9
v_med3_f32 v5, v5, v8, v9
v_cvt_pk_fp8_f32 v7, v6, v5
	;;#ASMEND
	;;#ASMSTART
	v_pk_mul_f32 v[2:3], v[32:33], v[2:3]
	;;#ASMEND
	s_lshr_b32 s3, s3, 30
	;;#ASMSTART
	v_med3_f32 v2, v2, v8, v9
v_med3_f32 v3, v3, v8, v9
v_cvt_pk_fp8_f32 v5, v2, v3
	;;#ASMEND
	s_add_i32 s2, s2, s3
	v_lshlrev_b32_e32 v2, 16, v5
	s_and_b32 s2, s2, -4
	s_and_b32 s1, s1, 0xffff
	s_mov_b32 s3, 0x20000
	v_and_or_b32 v5, v7, s7, v2
	buffer_store_dwordx2 v[4:5], v1, s[0:3], 0 offen
	;;#ASMSTART
	s_nop 0
	;;#ASMEND
.LBB117_28:
	s_or_b64 exec, exec, s[10:11]
	s_cmp_lt_i32 s20, 1
	s_cbranch_scc1 .LBB117_15
.LBB117_29:
	s_load_dword s0, s[4:5], 0x94
	s_waitcnt lgkmcnt(0)
	s_cmp_lg_u32 s0, 1
	s_cbranch_scc1 .LBB117_15
; %bb.30:
	s_lshl_b32 s0, s20, 1
	s_add_i32 s0, s0, 2
	v_cmp_gt_u32_e32 vcc, s20, v1
	s_and_b32 s26, s0, -4
	v_mov_b32_e32 v8, 0
	v_lshlrev_b32_e32 v16, 4, v0
	v_mov_b32_e32 v4, 0
	v_mov_b32_e32 v5, 0
	v_mov_b32_e32 v6, 0
	v_mov_b32_e32 v7, 0
	v_mov_b32_e32 v0, 0
	v_mov_b32_e32 v1, 0
	v_mov_b32_e32 v2, 0
	v_mov_b32_e32 v3, 0
	s_barrier
	s_and_saveexec_b64 s[0:1], vcc
	s_cbranch_execz .LBB117_32
; %bb.31:
	s_mul_hi_i32 s3, s22, s6
	s_mul_i32 s2, s22, s6
	s_and_b32 s25, s25, 0xffff
	s_lshl_b64 s[2:3], s[2:3], 1
	s_add_u32 s8, s34, s2
	s_mov_b32 s27, 0x20000
	s_addc_u32 s2, s35, s3
	s_and_b32 s9, s2, 0xffff
	s_mov_b32 s10, s26
	s_mov_b32 s11, s27
	buffer_load_dwordx4 v[4:7], v16, s[8:11], 0 offen glc slc
	buffer_load_dwordx4 v[0:3], v16, s[24:27], 0 offen
.LBB117_32:
	s_or_b64 exec, exec, s[0:1]
	v_mov_b32_e32 v9, 0
	v_mov_b32_e32 v14, 0
	;; [unrolled: 1-line block ×7, first 2 shown]
	s_and_saveexec_b64 s[0:1], vcc
	s_cbranch_execz .LBB117_34
; %bb.33:
	s_waitcnt vmcnt(1)
	v_cvt_f32_f16_sdwa v9, v4 dst_sel:DWORD dst_unused:UNUSED_PAD src0_sel:WORD_1
	v_cvt_f32_f16_e32 v8, v4
	v_cvt_f32_f16_sdwa v15, v5 dst_sel:DWORD dst_unused:UNUSED_PAD src0_sel:WORD_1
	v_cvt_f32_f16_e32 v14, v5
	;; [unrolled: 2-line block ×4, first 2 shown]
.LBB117_34:
	s_or_b64 exec, exec, s[0:1]
	s_waitcnt vmcnt(1)
	v_mul_f32_e32 v4, v9, v9
	v_fmac_f32_e32 v4, v8, v8
	v_fmac_f32_e32 v4, v14, v14
	v_fmac_f32_e32 v4, v15, v15
	v_fmac_f32_e32 v4, v12, v12
	v_fmac_f32_e32 v4, v13, v13
	v_fmac_f32_e32 v4, v10, v10
	v_fmac_f32_e32 v4, v11, v11
	s_nop 1
	v_mov_b32_dpp v5, v4 quad_perm:[1,0,3,2] row_mask:0xf bank_mask:0xf
	v_add_f32_e32 v4, v4, v5
	s_nop 1
	v_mov_b32_dpp v5, v4 quad_perm:[2,3,0,1] row_mask:0xf bank_mask:0xf
	v_add_f32_e32 v4, v4, v5
	s_nop 1
	v_mov_b32_dpp v5, v4 row_half_mirror row_mask:0xf bank_mask:0xf
	v_add_f32_e32 v4, v4, v5
	s_nop 1
	v_mov_b32_dpp v5, v4 row_mirror row_mask:0xf bank_mask:0xf
	v_add_f32_e32 v4, v4, v5
	s_nop 1
	v_mov_b32_dpp v5, v4 row_bcast:15 row_mask:0xf bank_mask:0xf
	v_add_f32_e32 v4, v4, v5
	s_nop 1
	v_mov_b32_dpp v5, v4 row_bcast:31 row_mask:0xf bank_mask:0xf
	v_add_f32_e32 v4, v4, v5
	ds_bpermute_b32 v4, v18, v4
	s_and_saveexec_b64 s[0:1], vcc
	s_cbranch_execz .LBB117_15
; %bb.35:
	v_cvt_f32_u32_e32 v5, s20
	s_mov_b32 s27, 0x20000
	s_waitcnt lgkmcnt(0)
	v_div_scale_f32 v6, s[0:1], v5, v5, v4
	v_rcp_f32_e32 v7, v6
	v_div_scale_f32 v17, vcc, v4, v5, v4
	s_mov_b32 s0, 0x800000
	v_fma_f32 v18, -v6, v7, 1.0
	v_fmac_f32_e32 v7, v18, v7
	v_mul_f32_e32 v18, v17, v7
	v_fma_f32 v19, -v6, v18, v17
	v_fmac_f32_e32 v18, v19, v7
	v_fma_f32 v6, -v6, v18, v17
	v_div_fmas_f32 v6, v6, v7, v18
	v_div_fixup_f32 v4, v6, v5, v4
	v_add_f32_e32 v4, s17, v4
	v_mul_f32_e32 v5, 0x4b800000, v4
	v_cmp_gt_f32_e32 vcc, s0, v4
	v_cndmask_b32_e32 v4, v4, v5, vcc
	v_rsq_f32_e32 v4, v4
	s_waitcnt vmcnt(0)
	v_cvt_f32_f16_sdwa v19, v3 dst_sel:DWORD dst_unused:UNUSED_PAD src0_sel:WORD_1
	v_cvt_f32_f16_e32 v18, v3
	s_mul_hi_i32 s1, s12, s6
	v_mul_f32_e32 v5, 0x45800000, v4
	v_cndmask_b32_e32 v4, v4, v5, vcc
	v_mov_b32_e32 v5, v4
	;;#ASMSTART
	v_pk_mul_f32 v[6:7], v[8:9], v[4:5]
	;;#ASMEND
	;;#ASMSTART
	v_pk_mul_f32 v[8:9], v[14:15], v[4:5]
	;;#ASMEND
	;; [unrolled: 3-line block ×4, first 2 shown]
	v_cvt_f32_f16_sdwa v11, v0 dst_sel:DWORD dst_unused:UNUSED_PAD src0_sel:WORD_1
	v_cvt_f32_f16_e32 v10, v0
	v_cvt_f32_f16_sdwa v15, v1 dst_sel:DWORD dst_unused:UNUSED_PAD src0_sel:WORD_1
	v_cvt_f32_f16_e32 v14, v1
	v_cvt_f32_f16_sdwa v1, v2 dst_sel:DWORD dst_unused:UNUSED_PAD src0_sel:WORD_1
	v_cvt_f32_f16_e32 v0, v2
	;;#ASMSTART
	v_pk_mul_f32 v[2:3], v[6:7], v[10:11]
	;;#ASMEND
	;;#ASMSTART
	v_pk_mul_f32 v[6:7], v[8:9], v[14:15]
	;;#ASMEND
	;; [unrolled: 3-line block ×4, first 2 shown]
	s_mul_i32 s0, s12, s6
	v_cvt_f16_f32_e32 v2, v2
	v_cvt_f16_f32_e32 v3, v3
	;; [unrolled: 1-line block ×8, first 2 shown]
	s_lshl_b64 s[0:1], s[0:1], 1
	s_add_u32 s24, s14, s0
	s_addc_u32 s0, s15, s1
	s_and_b32 s25, s0, 0xffff
	v_pack_b32_f16 v0, v2, v3
	v_pack_b32_f16 v1, v6, v7
	;; [unrolled: 1-line block ×4, first 2 shown]
	buffer_store_dwordx4 v[0:3], v16, s[24:27], 0 offen
	;;#ASMSTART
	s_nop 0
	;;#ASMEND
	s_endpgm
	.section	.rodata,"a",@progbits
	.p2align	6, 0x0
	.amdhsa_kernel _ZN5aiter35fused_qk_rmsnorm_group_quant_kernelIDF16_DB8_Li64ELi8ELi16ELb1ELb1ELb0ELb0ELb0ELb0EEEvPT0_PvPT_S6_S6_PKS5_S8_S8_S8_S8_ffiiiiiiiiiiiii
		.amdhsa_group_segment_fixed_size 0
		.amdhsa_private_segment_fixed_size 0
		.amdhsa_kernarg_size 400
		.amdhsa_user_sgpr_count 6
		.amdhsa_user_sgpr_private_segment_buffer 1
		.amdhsa_user_sgpr_dispatch_ptr 0
		.amdhsa_user_sgpr_queue_ptr 0
		.amdhsa_user_sgpr_kernarg_segment_ptr 1
		.amdhsa_user_sgpr_dispatch_id 0
		.amdhsa_user_sgpr_flat_scratch_init 0
		.amdhsa_user_sgpr_kernarg_preload_length 0
		.amdhsa_user_sgpr_kernarg_preload_offset 0
		.amdhsa_user_sgpr_private_segment_size 0
		.amdhsa_uses_dynamic_stack 0
		.amdhsa_system_sgpr_private_segment_wavefront_offset 0
		.amdhsa_system_sgpr_workgroup_id_x 1
		.amdhsa_system_sgpr_workgroup_id_y 1
		.amdhsa_system_sgpr_workgroup_id_z 0
		.amdhsa_system_sgpr_workgroup_info 0
		.amdhsa_system_vgpr_workitem_id 0
		.amdhsa_next_free_vgpr 34
		.amdhsa_next_free_sgpr 40
		.amdhsa_accum_offset 36
		.amdhsa_reserve_vcc 1
		.amdhsa_reserve_flat_scratch 0
		.amdhsa_float_round_mode_32 0
		.amdhsa_float_round_mode_16_64 0
		.amdhsa_float_denorm_mode_32 3
		.amdhsa_float_denorm_mode_16_64 3
		.amdhsa_dx10_clamp 1
		.amdhsa_ieee_mode 1
		.amdhsa_fp16_overflow 0
		.amdhsa_tg_split 0
		.amdhsa_exception_fp_ieee_invalid_op 0
		.amdhsa_exception_fp_denorm_src 0
		.amdhsa_exception_fp_ieee_div_zero 0
		.amdhsa_exception_fp_ieee_overflow 0
		.amdhsa_exception_fp_ieee_underflow 0
		.amdhsa_exception_fp_ieee_inexact 0
		.amdhsa_exception_int_div_zero 0
	.end_amdhsa_kernel
	.section	.text._ZN5aiter35fused_qk_rmsnorm_group_quant_kernelIDF16_DB8_Li64ELi8ELi16ELb1ELb1ELb0ELb0ELb0ELb0EEEvPT0_PvPT_S6_S6_PKS5_S8_S8_S8_S8_ffiiiiiiiiiiiii,"axG",@progbits,_ZN5aiter35fused_qk_rmsnorm_group_quant_kernelIDF16_DB8_Li64ELi8ELi16ELb1ELb1ELb0ELb0ELb0ELb0EEEvPT0_PvPT_S6_S6_PKS5_S8_S8_S8_S8_ffiiiiiiiiiiiii,comdat
.Lfunc_end117:
	.size	_ZN5aiter35fused_qk_rmsnorm_group_quant_kernelIDF16_DB8_Li64ELi8ELi16ELb1ELb1ELb0ELb0ELb0ELb0EEEvPT0_PvPT_S6_S6_PKS5_S8_S8_S8_S8_ffiiiiiiiiiiiii, .Lfunc_end117-_ZN5aiter35fused_qk_rmsnorm_group_quant_kernelIDF16_DB8_Li64ELi8ELi16ELb1ELb1ELb0ELb0ELb0ELb0EEEvPT0_PvPT_S6_S6_PKS5_S8_S8_S8_S8_ffiiiiiiiiiiiii
                                        ; -- End function
	.section	.AMDGPU.csdata,"",@progbits
; Kernel info:
; codeLenInByte = 2876
; NumSgprs: 44
; NumVgprs: 34
; NumAgprs: 0
; TotalNumVgprs: 34
; ScratchSize: 0
; MemoryBound: 0
; FloatMode: 240
; IeeeMode: 1
; LDSByteSize: 0 bytes/workgroup (compile time only)
; SGPRBlocks: 5
; VGPRBlocks: 4
; NumSGPRsForWavesPerEU: 44
; NumVGPRsForWavesPerEU: 34
; AccumOffset: 36
; Occupancy: 8
; WaveLimiterHint : 0
; COMPUTE_PGM_RSRC2:SCRATCH_EN: 0
; COMPUTE_PGM_RSRC2:USER_SGPR: 6
; COMPUTE_PGM_RSRC2:TRAP_HANDLER: 0
; COMPUTE_PGM_RSRC2:TGID_X_EN: 1
; COMPUTE_PGM_RSRC2:TGID_Y_EN: 1
; COMPUTE_PGM_RSRC2:TGID_Z_EN: 0
; COMPUTE_PGM_RSRC2:TIDIG_COMP_CNT: 0
; COMPUTE_PGM_RSRC3_GFX90A:ACCUM_OFFSET: 8
; COMPUTE_PGM_RSRC3_GFX90A:TG_SPLIT: 0
	.section	.text._ZN5aiter35fused_qk_rmsnorm_group_quant_kernelItDB8_Li64ELi8ELi16ELb1ELb1ELb0ELb0ELb0ELb0EEEvPT0_PvPT_S6_S6_PKS5_S8_S8_S8_S8_ffiiiiiiiiiiiii,"axG",@progbits,_ZN5aiter35fused_qk_rmsnorm_group_quant_kernelItDB8_Li64ELi8ELi16ELb1ELb1ELb0ELb0ELb0ELb0EEEvPT0_PvPT_S6_S6_PKS5_S8_S8_S8_S8_ffiiiiiiiiiiiii,comdat
	.protected	_ZN5aiter35fused_qk_rmsnorm_group_quant_kernelItDB8_Li64ELi8ELi16ELb1ELb1ELb0ELb0ELb0ELb0EEEvPT0_PvPT_S6_S6_PKS5_S8_S8_S8_S8_ffiiiiiiiiiiiii ; -- Begin function _ZN5aiter35fused_qk_rmsnorm_group_quant_kernelItDB8_Li64ELi8ELi16ELb1ELb1ELb0ELb0ELb0ELb0EEEvPT0_PvPT_S6_S6_PKS5_S8_S8_S8_S8_ffiiiiiiiiiiiii
	.globl	_ZN5aiter35fused_qk_rmsnorm_group_quant_kernelItDB8_Li64ELi8ELi16ELb1ELb1ELb0ELb0ELb0ELb0EEEvPT0_PvPT_S6_S6_PKS5_S8_S8_S8_S8_ffiiiiiiiiiiiii
	.p2align	8
	.type	_ZN5aiter35fused_qk_rmsnorm_group_quant_kernelItDB8_Li64ELi8ELi16ELb1ELb1ELb0ELb0ELb0ELb0EEEvPT0_PvPT_S6_S6_PKS5_S8_S8_S8_S8_ffiiiiiiiiiiiii,@function
_ZN5aiter35fused_qk_rmsnorm_group_quant_kernelItDB8_Li64ELi8ELi16ELb1ELb1ELb0ELb0ELb0ELb0EEEvPT0_PvPT_S6_S6_PKS5_S8_S8_S8_S8_ffiiiiiiiiiiiii: ; @_ZN5aiter35fused_qk_rmsnorm_group_quant_kernelItDB8_Li64ELi8ELi16ELb1ELb1ELb0ELb0ELb0ELb0EEEvPT0_PvPT_S6_S6_PKS5_S8_S8_S8_S8_ffiiiiiiiiiiiii
; %bb.0:
	s_load_dwordx8 s[16:23], s[4:5], 0x50
	s_waitcnt lgkmcnt(0)
	s_cmp_ge_i32 s6, s18
	s_cbranch_scc1 .LBB118_15
; %bb.1:
	s_cmp_lg_u32 s7, 0
	s_cselect_b64 s[2:3], -1, 0
	s_cmp_eq_u32 s7, 0
	s_cselect_b64 s[26:27], -1, 0
	s_and_b64 s[0:1], s[26:27], exec
	s_load_dwordx2 s[24:25], s[4:5], 0x48
	s_load_dwordx2 s[34:35], s[4:5], 0x30
	s_load_dwordx8 s[8:15], s[4:5], 0x70
	s_cselect_b32 s7, s19, s20
	s_add_i32 s0, s7, 1
	s_lshr_b32 s1, s0, 31
	s_add_i32 s0, s0, s1
	s_lshl_b32 s0, s0, 1
	v_lshlrev_b32_e32 v1, 3, v0
	s_and_b32 s30, s0, -4
	v_cmp_gt_i32_e64 s[0:1], s7, v1
	v_mov_b32_e32 v10, 0
	v_mov_b32_e32 v11, 0
	;; [unrolled: 1-line block ×8, first 2 shown]
	s_waitcnt lgkmcnt(0)
	s_and_saveexec_b64 s[14:15], s[0:1]
	s_cbranch_execz .LBB118_3
; %bb.2:
	s_load_dwordx2 s[28:29], s[4:5], 0x28
	s_load_dwordx2 s[38:39], s[4:5], 0x40
	s_and_b64 s[36:37], s[26:27], exec
	s_cselect_b32 s18, s21, s22
	v_lshlrev_b32_e32 v2, 4, v0
	s_waitcnt lgkmcnt(0)
	s_cselect_b32 s21, s29, s35
	s_cselect_b32 s31, s28, s34
	s_mul_hi_i32 s29, s18, s6
	s_mul_i32 s28, s18, s6
	s_lshl_b64 s[28:29], s[28:29], 1
	s_add_u32 s36, s31, s28
	s_addc_u32 s18, s21, s29
	s_and_b64 s[26:27], s[26:27], exec
	s_mov_b32 s31, 0x20000
	s_cselect_b32 s28, s38, s24
	s_cselect_b32 s21, s39, s25
	s_and_b32 s37, s18, 0xffff
	s_mov_b32 s38, s30
	s_mov_b32 s39, s31
	s_and_b32 s29, s21, 0xffff
	buffer_load_dwordx4 v[14:17], v2, s[36:39], 0 offen glc slc
	buffer_load_dwordx4 v[10:13], v2, s[28:31], 0 offen
.LBB118_3:
	s_or_b64 exec, exec, s[14:15]
	s_and_b64 vcc, exec, s[2:3]
	s_cbranch_vccz .LBB118_7
; %bb.4:
	s_mov_b32 s36, 0
	s_mov_b32 s37, s36
	;; [unrolled: 1-line block ×8, first 2 shown]
	v_pk_mov_b32 v[2:3], s[36:37], s[36:37] op_sel:[0,1]
	v_pk_mov_b32 v[4:5], s[38:39], s[38:39] op_sel:[0,1]
	;; [unrolled: 1-line block ×4, first 2 shown]
	s_and_saveexec_b64 s[14:15], s[0:1]
	s_cbranch_execz .LBB118_6
; %bb.5:
	s_waitcnt vmcnt(1)
	v_cvt_f32_u32_sdwa v3, v14 dst_sel:DWORD dst_unused:UNUSED_PAD src0_sel:WORD_1
	v_cvt_f32_u32_sdwa v2, v14 dst_sel:DWORD dst_unused:UNUSED_PAD src0_sel:WORD_0
	v_cvt_f32_u32_sdwa v5, v15 dst_sel:DWORD dst_unused:UNUSED_PAD src0_sel:WORD_1
	v_cvt_f32_u32_sdwa v4, v15 dst_sel:DWORD dst_unused:UNUSED_PAD src0_sel:WORD_0
	;; [unrolled: 2-line block ×4, first 2 shown]
.LBB118_6:
	s_or_b64 exec, exec, s[14:15]
	s_mov_b32 s18, s17
	s_cbranch_execz .LBB118_8
	s_branch .LBB118_11
.LBB118_7:
                                        ; implicit-def: $vgpr2_vgpr3_vgpr4_vgpr5_vgpr6_vgpr7_vgpr8_vgpr9
	s_mov_b32 s18, s17
.LBB118_8:
	s_mov_b32 s36, 0
	s_mov_b32 s37, s36
	;; [unrolled: 1-line block ×8, first 2 shown]
	v_pk_mov_b32 v[2:3], s[36:37], s[36:37] op_sel:[0,1]
	v_pk_mov_b32 v[4:5], s[38:39], s[38:39] op_sel:[0,1]
	v_pk_mov_b32 v[6:7], s[40:41], s[40:41] op_sel:[0,1]
	v_pk_mov_b32 v[8:9], s[42:43], s[42:43] op_sel:[0,1]
	s_and_saveexec_b64 s[14:15], s[0:1]
	s_cbranch_execz .LBB118_10
; %bb.9:
	s_load_dwordx2 s[26:27], s[4:5], 0x38
	s_mul_hi_i32 s29, s23, s6
	s_mul_i32 s28, s23, s6
	s_lshl_b64 s[28:29], s[28:29], 1
	s_mov_b32 s31, 0x20000
	s_waitcnt lgkmcnt(0)
	s_add_u32 s28, s26, s28
	s_addc_u32 s18, s27, s29
	s_and_b32 s29, s18, 0xffff
	v_lshlrev_b32_e32 v26, 4, v0
	buffer_load_dwordx4 v[2:5], v26, s[28:31], 0 offen glc slc
	s_load_dwordx2 s[26:27], s[4:5], 0x20
	s_waitcnt vmcnt(2)
	v_cvt_f32_u32_sdwa v7, v14 dst_sel:DWORD dst_unused:UNUSED_PAD src0_sel:WORD_1
	v_cvt_f32_u32_sdwa v6, v14 dst_sel:DWORD dst_unused:UNUSED_PAD src0_sel:WORD_0
	v_cvt_f32_u32_sdwa v9, v15 dst_sel:DWORD dst_unused:UNUSED_PAD src0_sel:WORD_1
	v_cvt_f32_u32_sdwa v8, v15 dst_sel:DWORD dst_unused:UNUSED_PAD src0_sel:WORD_0
	;; [unrolled: 2-line block ×4, first 2 shown]
	s_mul_hi_i32 s29, s13, s6
	s_mul_i32 s28, s13, s6
	s_lshl_b64 s[28:29], s[28:29], 1
	s_waitcnt lgkmcnt(0)
	s_add_u32 s28, s26, s28
	s_mov_b32 s13, 0x7060302
	s_addc_u32 s18, s27, s29
	s_and_b32 s29, s18, 0xffff
	s_waitcnt vmcnt(0)
	v_cvt_f32_u32_sdwa v17, v2 dst_sel:DWORD dst_unused:UNUSED_PAD src0_sel:WORD_1
	v_cvt_f32_u32_sdwa v16, v2 dst_sel:DWORD dst_unused:UNUSED_PAD src0_sel:WORD_0
	v_cvt_f32_u32_sdwa v21, v3 dst_sel:DWORD dst_unused:UNUSED_PAD src0_sel:WORD_1
	v_cvt_f32_u32_sdwa v20, v3 dst_sel:DWORD dst_unused:UNUSED_PAD src0_sel:WORD_0
	;; [unrolled: 2-line block ×4, first 2 shown]
	v_pk_add_f32 v[2:3], v[6:7], v[16:17]
	v_pk_add_f32 v[4:5], v[8:9], v[20:21]
	;; [unrolled: 1-line block ×4, first 2 shown]
	v_perm_b32 v17, v9, v8, s13
	v_perm_b32 v16, v7, v6, s13
	;; [unrolled: 1-line block ×4, first 2 shown]
	buffer_store_dwordx4 v[14:17], v26, s[28:31], 0 offen glc slc
	;;#ASMSTART
	s_nop 0
	;;#ASMEND
.LBB118_10:
	s_or_b64 exec, exec, s[14:15]
	s_mov_b32 s18, s16
.LBB118_11:
	s_waitcnt vmcnt(1)
	v_mul_f32_e32 v14, v3, v3
	v_fmac_f32_e32 v14, v2, v2
	v_fmac_f32_e32 v14, v4, v4
	;; [unrolled: 1-line block ×7, first 2 shown]
	v_bfrev_b32_e32 v16, 0.5
	s_load_dwordx2 s[14:15], s[4:5], 0x18
	v_mov_b32_dpp v15, v14 quad_perm:[1,0,3,2] row_mask:0xf bank_mask:0xf
	v_add_f32_e32 v14, v14, v15
	s_nop 1
	v_mov_b32_dpp v15, v14 quad_perm:[2,3,0,1] row_mask:0xf bank_mask:0xf
	v_add_f32_e32 v14, v14, v15
	s_nop 1
	v_mov_b32_dpp v15, v14 row_half_mirror row_mask:0xf bank_mask:0xf
	v_add_f32_e32 v14, v14, v15
	s_nop 1
	v_mov_b32_dpp v15, v14 row_mirror row_mask:0xf bank_mask:0xf
	v_add_f32_e32 v14, v14, v15
	s_nop 1
	v_mov_b32_dpp v15, v14 row_bcast:15 row_mask:0xf bank_mask:0xf
	v_add_f32_e32 v14, v14, v15
	s_nop 1
	v_mov_b32_dpp v15, v14 row_bcast:31 row_mask:0xf bank_mask:0xf
	v_add_f32_e32 v15, v14, v15
	v_mbcnt_lo_u32_b32 v14, -1, 0
	v_mbcnt_hi_u32_b32 v14, -1, v14
	v_lshl_or_b32 v14, v14, 2, v16
	ds_bpermute_b32 v15, v14, v15
	s_and_saveexec_b64 s[26:27], s[0:1]
	s_cbranch_execnz .LBB118_16
; %bb.12:
	s_or_b64 exec, exec, s[26:27]
	s_mov_b64 s[26:27], -1
	s_and_b64 vcc, exec, s[2:3]
	s_cbranch_vccnz .LBB118_17
.LBB118_13:
	s_andn2_b64 vcc, exec, s[26:27]
	s_cbranch_vccz .LBB118_20
.LBB118_14:
	s_cmp_lt_i32 s20, 1
	s_cbranch_scc0 .LBB118_29
.LBB118_15:
	s_endpgm
.LBB118_16:
	v_cvt_f32_u32_e32 v16, s7
	s_mov_b32 s7, 0x800000
	s_waitcnt lgkmcnt(0)
	v_div_scale_f32 v17, s[28:29], v16, v16, v15
	v_rcp_f32_e32 v18, v17
	v_div_scale_f32 v19, vcc, v15, v16, v15
	v_fma_f32 v20, -v17, v18, 1.0
	v_fmac_f32_e32 v18, v20, v18
	v_mul_f32_e32 v20, v19, v18
	v_fma_f32 v21, -v17, v20, v19
	v_fmac_f32_e32 v20, v21, v18
	v_fma_f32 v17, -v17, v20, v19
	v_div_fmas_f32 v17, v17, v18, v20
	v_div_fixup_f32 v15, v17, v16, v15
	v_add_f32_e32 v15, s18, v15
	v_mul_f32_e32 v16, 0x4b800000, v15
	v_cmp_gt_f32_e32 vcc, s7, v15
	v_cndmask_b32_e32 v15, v15, v16, vcc
	v_rsq_f32_e32 v15, v15
	s_waitcnt vmcnt(0)
	v_cvt_f32_u32_sdwa v19, v11 dst_sel:DWORD dst_unused:UNUSED_PAD src0_sel:WORD_1
	v_cvt_f32_u32_sdwa v18, v11 dst_sel:DWORD dst_unused:UNUSED_PAD src0_sel:WORD_0
	v_cvt_f32_u32_sdwa v11, v12 dst_sel:DWORD dst_unused:UNUSED_PAD src0_sel:WORD_1
	v_mul_f32_e32 v16, 0x45800000, v15
	v_cndmask_b32_e32 v16, v15, v16, vcc
	v_mov_b32_e32 v17, v16
	;;#ASMSTART
	v_pk_mul_f32 v[2:3], v[2:3], v[16:17]
	;;#ASMEND
	;;#ASMSTART
	v_pk_mul_f32 v[4:5], v[4:5], v[16:17]
	;;#ASMEND
	;; [unrolled: 3-line block ×4, first 2 shown]
	v_cvt_f32_u32_sdwa v17, v10 dst_sel:DWORD dst_unused:UNUSED_PAD src0_sel:WORD_1
	v_cvt_f32_u32_sdwa v16, v10 dst_sel:DWORD dst_unused:UNUSED_PAD src0_sel:WORD_0
	v_cvt_f32_u32_sdwa v10, v12 dst_sel:DWORD dst_unused:UNUSED_PAD src0_sel:WORD_0
	v_cvt_f32_u32_sdwa v21, v13 dst_sel:DWORD dst_unused:UNUSED_PAD src0_sel:WORD_1
	v_cvt_f32_u32_sdwa v20, v13 dst_sel:DWORD dst_unused:UNUSED_PAD src0_sel:WORD_0
	;;#ASMSTART
	v_pk_mul_f32 v[2:3], v[2:3], v[16:17]
	;;#ASMEND
	;;#ASMSTART
	v_pk_mul_f32 v[4:5], v[4:5], v[18:19]
	;;#ASMEND
	;; [unrolled: 3-line block ×4, first 2 shown]
	s_or_b64 exec, exec, s[26:27]
	s_mov_b64 s[26:27], -1
	s_and_b64 vcc, exec, s[2:3]
	s_cbranch_vccz .LBB118_13
.LBB118_17:
	s_and_saveexec_b64 s[2:3], s[0:1]
	s_cbranch_execz .LBB118_19
; %bb.18:
	s_mul_hi_i32 s27, s12, s6
	s_mul_i32 s26, s12, s6
	s_lshl_b64 s[26:27], s[26:27], 1
	s_waitcnt lgkmcnt(0)
	s_add_u32 s28, s14, s26
	s_addc_u32 s7, s15, s27
	s_and_b32 s29, s7, 0xffff
	s_mov_b32 s7, 0x7060302
	s_mov_b32 s31, 0x20000
	s_waitcnt vmcnt(0)
	v_perm_b32 v10, v3, v2, s7
	v_perm_b32 v11, v5, v4, s7
	;; [unrolled: 1-line block ×4, first 2 shown]
	v_lshlrev_b32_e32 v15, 4, v0
	buffer_store_dwordx4 v[10:13], v15, s[28:31], 0 offen
	;;#ASMSTART
	s_nop 0
	;;#ASMEND
.LBB118_19:
	s_or_b64 exec, exec, s[2:3]
	s_cbranch_execnz .LBB118_14
.LBB118_20:
	s_waitcnt vmcnt(0)
	v_mov_b32_e32 v10, 0
	s_and_saveexec_b64 s[2:3], s[0:1]
	s_cbranch_execz .LBB118_22
; %bb.21:
	s_load_dwordx2 s[26:27], s[4:5], 0x10
	s_mul_hi_i32 s29, s11, s6
	s_mul_i32 s28, s11, s6
	s_lshl_b64 s[28:29], s[28:29], 1
	s_mov_b32 s31, 0x20000
	s_waitcnt lgkmcnt(0)
	s_add_u32 s28, s26, s28
	s_addc_u32 s7, s27, s29
	s_and_b32 s29, s7, 0xffff
	s_mov_b32 s7, 0x7060302
	v_perm_b32 v10, v3, v2, s7
	v_perm_b32 v11, v5, v4, s7
	;; [unrolled: 1-line block ×4, first 2 shown]
	v_lshlrev_b32_e32 v15, 4, v0
	buffer_store_dwordx4 v[10:13], v15, s[28:31], 0 offen
	;;#ASMSTART
	s_nop 0
	;;#ASMEND
	s_nop 0
	v_mov_b32_e32 v10, 0x2edbe6ff
.LBB118_22:
	s_or_b64 exec, exec, s[2:3]
	s_and_saveexec_b64 s[2:3], s[0:1]
	s_cbranch_execz .LBB118_24
; %bb.23:
	v_and_b32_e32 v11, 0x7fffffff, v2
	v_and_b32_e32 v12, 0x7fffffff, v3
	;;#ASMSTART
	v_max3_f32 v10, v10, v11, v12

	;;#ASMEND
	v_and_b32_e32 v11, 0x7fffffff, v4
	v_and_b32_e32 v12, 0x7fffffff, v5
	;;#ASMSTART
	v_max3_f32 v10, v10, v11, v12

	;;#ASMEND
	;; [unrolled: 6-line block ×4, first 2 shown]
.LBB118_24:
	s_or_b64 exec, exec, s[2:3]
	;;#ASMSTART
	v_max_f32 v11, v10, v10 quad_perm:[1,0,3,2] row_mask:0xf bank_mask:0xf bound_ctrl:1
	;;#ASMEND
	;;#ASMSTART
	v_max_f32 v10, v11, v11 quad_perm:[2,3,0,1] row_mask:0xf bank_mask:0xf bound_ctrl:1
	;;#ASMEND
	;;#ASMSTART
	v_max_f32 v11, v10, v10 row_half_mirror row_mask:0xf bank_mask:0xf bound_ctrl:1
	;;#ASMEND
	;;#ASMSTART
	v_max_f32 v10, v11, v11 row_mirror row_mask:0xf bank_mask:0xf bound_ctrl:1
	;;#ASMEND
	v_and_b32_e32 v11, 15, v0
	v_cmp_eq_u32_e32 vcc, 0, v11
	v_cmp_gt_i32_e64 s[2:3], s19, v1
	v_mul_f32_e32 v10, 0x3b124925, v10
	s_and_b64 s[26:27], vcc, s[2:3]
	s_and_saveexec_b64 s[2:3], s[26:27]
	s_cbranch_execz .LBB118_26
; %bb.25:
	s_load_dwordx2 s[26:27], s[4:5], 0x8
	v_lshrrev_b32_e32 v11, 4, v0
	s_mul_hi_i32 s29, s9, s6
	s_mul_i32 s28, s9, s6
	v_mad_i64_i32 v[12:13], s[10:11], s10, v11, 0
	s_lshl_b64 s[10:11], s[28:29], 2
	s_waitcnt lgkmcnt(0)
	s_add_u32 s7, s26, s10
	s_addc_u32 s9, s27, s11
	v_lshlrev_b64 v[12:13], 2, v[12:13]
	v_mov_b32_e32 v11, s9
	v_add_co_u32_e32 v12, vcc, s7, v12
	v_addc_co_u32_e32 v13, vcc, v11, v13, vcc
	global_store_dword v[12:13], v10, off
.LBB118_26:
	s_or_b64 exec, exec, s[2:3]
	;;#ASMSTART
	v_rcp_f32 v10, v10
	;;#ASMEND
	s_and_saveexec_b64 s[10:11], s[0:1]
	s_cbranch_execz .LBB118_28
; %bb.27:
	v_mov_b32_e32 v11, v10
	;;#ASMSTART
	v_pk_mul_f32 v[2:3], v[2:3], v[10:11]
	;;#ASMEND
	v_mov_b32_e32 v12, 0xc3e00000
	v_mov_b32_e32 v13, 0x43e00000
	s_waitcnt lgkmcnt(0)
	;;#ASMSTART
	v_med3_f32 v2, v2, v12, v13
v_med3_f32 v3, v3, v12, v13
v_cvt_pk_fp8_f32 v15, v2, v3
	;;#ASMEND
	s_load_dwordx2 s[0:1], s[4:5], 0x0
	;;#ASMSTART
	v_pk_mul_f32 v[2:3], v[4:5], v[10:11]
	;;#ASMEND
	s_mul_hi_i32 s2, s8, s6
	s_mul_i32 s3, s8, s6
	;;#ASMSTART
	v_med3_f32 v2, v2, v12, v13
v_med3_f32 v3, v3, v12, v13
v_cvt_pk_fp8_f32 v4, v2, v3
	;;#ASMEND
	s_mov_b32 s8, 0x5040100
	v_perm_b32 v3, v4, v15, s8
	s_movk_i32 s8, 0xff
	v_and_b32_e32 v2, 0xffffff00, v4
	v_and_b32_sdwa v4, v3, s8 dst_sel:DWORD dst_unused:UNUSED_PAD src0_sel:WORD_1 src1_sel:DWORD
	s_mov_b32 s7, 0xffff
	v_or_b32_sdwa v2, v4, v2 dst_sel:WORD_1 dst_unused:UNUSED_PAD src0_sel:DWORD src1_sel:DWORD
	s_waitcnt lgkmcnt(0)
	s_add_u32 s0, s0, s3
	v_and_or_b32 v2, v3, s7, v2
	;;#ASMSTART
	v_pk_mul_f32 v[4:5], v[6:7], v[10:11]
	;;#ASMEND
	v_mov_b32_e32 v3, v5
	s_addc_u32 s1, s1, s2
	s_add_i32 s2, s19, 3
	;;#ASMSTART
	v_med3_f32 v4, v4, v12, v13
v_med3_f32 v3, v3, v12, v13
v_cvt_pk_fp8_f32 v6, v4, v3
	;;#ASMEND
	s_ashr_i32 s3, s2, 31
	;;#ASMSTART
	v_pk_mul_f32 v[4:5], v[8:9], v[10:11]
	;;#ASMEND
	v_mov_b32_e32 v3, v5
	s_lshr_b32 s3, s3, 30
	;;#ASMSTART
	v_med3_f32 v4, v4, v12, v13
v_med3_f32 v3, v3, v12, v13
v_cvt_pk_fp8_f32 v5, v4, v3
	;;#ASMEND
	s_add_i32 s2, s2, s3
	v_lshlrev_b32_e32 v3, 16, v5
	s_and_b32 s2, s2, -4
	s_and_b32 s1, s1, 0xffff
	s_mov_b32 s3, 0x20000
	v_and_or_b32 v3, v6, s7, v3
	buffer_store_dwordx2 v[2:3], v1, s[0:3], 0 offen
	;;#ASMSTART
	s_nop 0
	;;#ASMEND
.LBB118_28:
	s_or_b64 exec, exec, s[10:11]
	s_cmp_lt_i32 s20, 1
	s_cbranch_scc1 .LBB118_15
.LBB118_29:
	s_load_dword s0, s[4:5], 0x94
	s_waitcnt lgkmcnt(0)
	s_cmp_lg_u32 s0, 1
	s_cbranch_scc1 .LBB118_15
; %bb.30:
	s_lshl_b32 s0, s20, 1
	s_add_i32 s0, s0, 2
	v_cmp_gt_u32_e32 vcc, s20, v1
	s_and_b32 s26, s0, -4
	v_mov_b32_e32 v4, 0
	s_waitcnt vmcnt(0)
	v_lshlrev_b32_e32 v12, 4, v0
	v_mov_b32_e32 v5, 0
	v_mov_b32_e32 v6, 0
	;; [unrolled: 1-line block ×7, first 2 shown]
	s_barrier
	s_and_saveexec_b64 s[0:1], vcc
	s_cbranch_execz .LBB118_32
; %bb.31:
	s_mul_hi_i32 s3, s22, s6
	s_mul_i32 s2, s22, s6
	s_and_b32 s25, s25, 0xffff
	s_lshl_b64 s[2:3], s[2:3], 1
	s_add_u32 s8, s34, s2
	s_mov_b32 s27, 0x20000
	s_addc_u32 s2, s35, s3
	s_and_b32 s9, s2, 0xffff
	s_mov_b32 s10, s26
	s_mov_b32 s11, s27
	buffer_load_dwordx4 v[4:7], v12, s[8:11], 0 offen glc slc
	buffer_load_dwordx4 v[0:3], v12, s[24:27], 0 offen
.LBB118_32:
	s_or_b64 exec, exec, s[0:1]
	s_waitcnt vmcnt(1)
	v_cvt_f32_u32_sdwa v11, v4 dst_sel:DWORD dst_unused:UNUSED_PAD src0_sel:WORD_1
	v_cvt_f32_u32_sdwa v10, v4 dst_sel:DWORD dst_unused:UNUSED_PAD src0_sel:WORD_0
	v_cvt_f32_u32_sdwa v4, v7 dst_sel:DWORD dst_unused:UNUSED_PAD src0_sel:WORD_1
	v_cvt_f32_u32_sdwa v7, v7 dst_sel:DWORD dst_unused:UNUSED_PAD src0_sel:WORD_0
	;; [unrolled: 2-line block ×4, first 2 shown]
	v_cndmask_b32_e32 v11, 0, v11, vcc
	v_cndmask_b32_e32 v5, 0, v4, vcc
	;; [unrolled: 1-line block ×5, first 2 shown]
	v_mul_f32_e32 v13, v11, v11
	v_cndmask_b32_e32 v8, 0, v8, vcc
	v_fmac_f32_e32 v13, v10, v10
	v_cndmask_b32_e32 v9, 0, v9, vcc
	v_fmac_f32_e32 v13, v8, v8
	;; [unrolled: 2-line block ×3, first 2 shown]
	v_fmac_f32_e32 v13, v6, v6
	v_fmac_f32_e32 v13, v7, v7
	;; [unrolled: 1-line block ×4, first 2 shown]
	s_nop 1
	v_mov_b32_dpp v15, v13 quad_perm:[1,0,3,2] row_mask:0xf bank_mask:0xf
	v_add_f32_e32 v13, v13, v15
	s_nop 1
	v_mov_b32_dpp v15, v13 quad_perm:[2,3,0,1] row_mask:0xf bank_mask:0xf
	v_add_f32_e32 v13, v13, v15
	s_nop 1
	v_mov_b32_dpp v15, v13 row_half_mirror row_mask:0xf bank_mask:0xf
	v_add_f32_e32 v13, v13, v15
	s_nop 1
	v_mov_b32_dpp v15, v13 row_mirror row_mask:0xf bank_mask:0xf
	v_add_f32_e32 v13, v13, v15
	s_nop 1
	v_mov_b32_dpp v15, v13 row_bcast:15 row_mask:0xf bank_mask:0xf
	v_add_f32_e32 v13, v13, v15
	s_nop 1
	v_mov_b32_dpp v15, v13 row_bcast:31 row_mask:0xf bank_mask:0xf
	v_add_f32_e32 v13, v13, v15
	ds_bpermute_b32 v13, v14, v13
	s_and_saveexec_b64 s[0:1], vcc
	s_cbranch_execz .LBB118_15
; %bb.33:
	v_cvt_f32_u32_e32 v14, s20
	s_mov_b32 s27, 0x20000
	s_waitcnt lgkmcnt(0)
	v_div_scale_f32 v15, s[0:1], v14, v14, v13
	v_rcp_f32_e32 v16, v15
	v_div_scale_f32 v17, vcc, v13, v14, v13
	s_mov_b32 s0, 0x800000
	v_fma_f32 v18, -v15, v16, 1.0
	v_fmac_f32_e32 v16, v18, v16
	v_mul_f32_e32 v18, v17, v16
	v_fma_f32 v19, -v15, v18, v17
	v_fmac_f32_e32 v18, v19, v16
	v_fma_f32 v15, -v15, v18, v17
	v_div_fmas_f32 v15, v15, v16, v18
	v_div_fixup_f32 v13, v15, v14, v13
	v_add_f32_e32 v13, s17, v13
	v_mul_f32_e32 v14, 0x4b800000, v13
	v_cmp_gt_f32_e32 vcc, s0, v13
	v_cndmask_b32_e32 v13, v13, v14, vcc
	v_rsq_f32_e32 v13, v13
	s_mul_hi_i32 s1, s12, s6
	s_mul_i32 s0, s12, s6
	s_lshl_b64 s[0:1], s[0:1], 1
	v_mul_f32_e32 v14, 0x45800000, v13
	v_cndmask_b32_e32 v14, v13, v14, vcc
	s_add_u32 s24, s14, s0
	v_mov_b32_e32 v15, v14
	s_addc_u32 s0, s15, s1
	;;#ASMSTART
	v_pk_mul_f32 v[10:11], v[10:11], v[14:15]
	;;#ASMEND
	;;#ASMSTART
	v_pk_mul_f32 v[8:9], v[8:9], v[14:15]
	;;#ASMEND
	;; [unrolled: 3-line block ×4, first 2 shown]
	s_waitcnt vmcnt(0)
	v_cvt_f32_u32_sdwa v15, v0 dst_sel:DWORD dst_unused:UNUSED_PAD src0_sel:WORD_1
	v_cvt_f32_u32_sdwa v14, v0 dst_sel:DWORD dst_unused:UNUSED_PAD src0_sel:WORD_0
	v_cvt_f32_u32_sdwa v17, v1 dst_sel:DWORD dst_unused:UNUSED_PAD src0_sel:WORD_1
	v_cvt_f32_u32_sdwa v16, v1 dst_sel:DWORD dst_unused:UNUSED_PAD src0_sel:WORD_0
	;; [unrolled: 2-line block ×4, first 2 shown]
	;;#ASMSTART
	v_pk_mul_f32 v[2:3], v[10:11], v[14:15]
	;;#ASMEND
	s_and_b32 s25, s0, 0xffff
	s_mov_b32 s0, 0x7060302
	;;#ASMSTART
	v_pk_mul_f32 v[8:9], v[8:9], v[16:17]
	;;#ASMEND
	;;#ASMSTART
	v_pk_mul_f32 v[6:7], v[6:7], v[0:1]
	;;#ASMEND
	;; [unrolled: 3-line block ×3, first 2 shown]
	v_perm_b32 v0, v3, v2, s0
	v_perm_b32 v1, v9, v8, s0
	;; [unrolled: 1-line block ×4, first 2 shown]
	buffer_store_dwordx4 v[0:3], v12, s[24:27], 0 offen
	;;#ASMSTART
	s_nop 0
	;;#ASMEND
	s_endpgm
	.section	.rodata,"a",@progbits
	.p2align	6, 0x0
	.amdhsa_kernel _ZN5aiter35fused_qk_rmsnorm_group_quant_kernelItDB8_Li64ELi8ELi16ELb1ELb1ELb0ELb0ELb0ELb0EEEvPT0_PvPT_S6_S6_PKS5_S8_S8_S8_S8_ffiiiiiiiiiiiii
		.amdhsa_group_segment_fixed_size 0
		.amdhsa_private_segment_fixed_size 0
		.amdhsa_kernarg_size 400
		.amdhsa_user_sgpr_count 6
		.amdhsa_user_sgpr_private_segment_buffer 1
		.amdhsa_user_sgpr_dispatch_ptr 0
		.amdhsa_user_sgpr_queue_ptr 0
		.amdhsa_user_sgpr_kernarg_segment_ptr 1
		.amdhsa_user_sgpr_dispatch_id 0
		.amdhsa_user_sgpr_flat_scratch_init 0
		.amdhsa_user_sgpr_kernarg_preload_length 0
		.amdhsa_user_sgpr_kernarg_preload_offset 0
		.amdhsa_user_sgpr_private_segment_size 0
		.amdhsa_uses_dynamic_stack 0
		.amdhsa_system_sgpr_private_segment_wavefront_offset 0
		.amdhsa_system_sgpr_workgroup_id_x 1
		.amdhsa_system_sgpr_workgroup_id_y 1
		.amdhsa_system_sgpr_workgroup_id_z 0
		.amdhsa_system_sgpr_workgroup_info 0
		.amdhsa_system_vgpr_workitem_id 0
		.amdhsa_next_free_vgpr 27
		.amdhsa_next_free_sgpr 44
		.amdhsa_accum_offset 28
		.amdhsa_reserve_vcc 1
		.amdhsa_reserve_flat_scratch 0
		.amdhsa_float_round_mode_32 0
		.amdhsa_float_round_mode_16_64 0
		.amdhsa_float_denorm_mode_32 3
		.amdhsa_float_denorm_mode_16_64 3
		.amdhsa_dx10_clamp 1
		.amdhsa_ieee_mode 1
		.amdhsa_fp16_overflow 0
		.amdhsa_tg_split 0
		.amdhsa_exception_fp_ieee_invalid_op 0
		.amdhsa_exception_fp_denorm_src 0
		.amdhsa_exception_fp_ieee_div_zero 0
		.amdhsa_exception_fp_ieee_overflow 0
		.amdhsa_exception_fp_ieee_underflow 0
		.amdhsa_exception_fp_ieee_inexact 0
		.amdhsa_exception_int_div_zero 0
	.end_amdhsa_kernel
	.section	.text._ZN5aiter35fused_qk_rmsnorm_group_quant_kernelItDB8_Li64ELi8ELi16ELb1ELb1ELb0ELb0ELb0ELb0EEEvPT0_PvPT_S6_S6_PKS5_S8_S8_S8_S8_ffiiiiiiiiiiiii,"axG",@progbits,_ZN5aiter35fused_qk_rmsnorm_group_quant_kernelItDB8_Li64ELi8ELi16ELb1ELb1ELb0ELb0ELb0ELb0EEEvPT0_PvPT_S6_S6_PKS5_S8_S8_S8_S8_ffiiiiiiiiiiiii,comdat
.Lfunc_end118:
	.size	_ZN5aiter35fused_qk_rmsnorm_group_quant_kernelItDB8_Li64ELi8ELi16ELb1ELb1ELb0ELb0ELb0ELb0EEEvPT0_PvPT_S6_S6_PKS5_S8_S8_S8_S8_ffiiiiiiiiiiiii, .Lfunc_end118-_ZN5aiter35fused_qk_rmsnorm_group_quant_kernelItDB8_Li64ELi8ELi16ELb1ELb1ELb0ELb0ELb0ELb0EEEvPT0_PvPT_S6_S6_PKS5_S8_S8_S8_S8_ffiiiiiiiiiiiii
                                        ; -- End function
	.section	.AMDGPU.csdata,"",@progbits
; Kernel info:
; codeLenInByte = 2944
; NumSgprs: 48
; NumVgprs: 27
; NumAgprs: 0
; TotalNumVgprs: 27
; ScratchSize: 0
; MemoryBound: 0
; FloatMode: 240
; IeeeMode: 1
; LDSByteSize: 0 bytes/workgroup (compile time only)
; SGPRBlocks: 5
; VGPRBlocks: 3
; NumSGPRsForWavesPerEU: 48
; NumVGPRsForWavesPerEU: 27
; AccumOffset: 28
; Occupancy: 8
; WaveLimiterHint : 0
; COMPUTE_PGM_RSRC2:SCRATCH_EN: 0
; COMPUTE_PGM_RSRC2:USER_SGPR: 6
; COMPUTE_PGM_RSRC2:TRAP_HANDLER: 0
; COMPUTE_PGM_RSRC2:TGID_X_EN: 1
; COMPUTE_PGM_RSRC2:TGID_Y_EN: 1
; COMPUTE_PGM_RSRC2:TGID_Z_EN: 0
; COMPUTE_PGM_RSRC2:TIDIG_COMP_CNT: 0
; COMPUTE_PGM_RSRC3_GFX90A:ACCUM_OFFSET: 6
; COMPUTE_PGM_RSRC3_GFX90A:TG_SPLIT: 0
	.section	.text._ZN5aiter35fused_qk_rmsnorm_group_quant_kernelIDF16_N4opus5fp4_tELi64ELi8ELi16ELb1ELb1ELb0ELb0ELb0ELb0EEEvPT0_PvPT_S7_S7_PKS6_S9_S9_S9_S9_ffiiiiiiiiiiiii,"axG",@progbits,_ZN5aiter35fused_qk_rmsnorm_group_quant_kernelIDF16_N4opus5fp4_tELi64ELi8ELi16ELb1ELb1ELb0ELb0ELb0ELb0EEEvPT0_PvPT_S7_S7_PKS6_S9_S9_S9_S9_ffiiiiiiiiiiiii,comdat
	.protected	_ZN5aiter35fused_qk_rmsnorm_group_quant_kernelIDF16_N4opus5fp4_tELi64ELi8ELi16ELb1ELb1ELb0ELb0ELb0ELb0EEEvPT0_PvPT_S7_S7_PKS6_S9_S9_S9_S9_ffiiiiiiiiiiiii ; -- Begin function _ZN5aiter35fused_qk_rmsnorm_group_quant_kernelIDF16_N4opus5fp4_tELi64ELi8ELi16ELb1ELb1ELb0ELb0ELb0ELb0EEEvPT0_PvPT_S7_S7_PKS6_S9_S9_S9_S9_ffiiiiiiiiiiiii
	.globl	_ZN5aiter35fused_qk_rmsnorm_group_quant_kernelIDF16_N4opus5fp4_tELi64ELi8ELi16ELb1ELb1ELb0ELb0ELb0ELb0EEEvPT0_PvPT_S7_S7_PKS6_S9_S9_S9_S9_ffiiiiiiiiiiiii
	.p2align	8
	.type	_ZN5aiter35fused_qk_rmsnorm_group_quant_kernelIDF16_N4opus5fp4_tELi64ELi8ELi16ELb1ELb1ELb0ELb0ELb0ELb0EEEvPT0_PvPT_S7_S7_PKS6_S9_S9_S9_S9_ffiiiiiiiiiiiii,@function
_ZN5aiter35fused_qk_rmsnorm_group_quant_kernelIDF16_N4opus5fp4_tELi64ELi8ELi16ELb1ELb1ELb0ELb0ELb0ELb0EEEvPT0_PvPT_S7_S7_PKS6_S9_S9_S9_S9_ffiiiiiiiiiiiii: ; @_ZN5aiter35fused_qk_rmsnorm_group_quant_kernelIDF16_N4opus5fp4_tELi64ELi8ELi16ELb1ELb1ELb0ELb0ELb0ELb0EEEvPT0_PvPT_S7_S7_PKS6_S9_S9_S9_S9_ffiiiiiiiiiiiii
; %bb.0:
	s_load_dwordx8 s[16:23], s[4:5], 0x50
	s_waitcnt lgkmcnt(0)
	s_cmp_ge_i32 s6, s18
	s_cbranch_scc1 .LBB119_15
; %bb.1:
	s_cmp_lg_u32 s7, 0
	s_cselect_b64 s[2:3], -1, 0
	s_cmp_eq_u32 s7, 0
	s_cselect_b64 s[26:27], -1, 0
	s_and_b64 s[0:1], s[26:27], exec
	s_load_dwordx2 s[24:25], s[4:5], 0x48
	s_load_dwordx2 s[34:35], s[4:5], 0x30
	s_load_dwordx8 s[8:15], s[4:5], 0x70
	s_cselect_b32 s7, s19, s20
	s_add_i32 s0, s7, 1
	s_lshr_b32 s1, s0, 31
	s_add_i32 s0, s0, s1
	s_lshl_b32 s0, s0, 1
	v_lshlrev_b32_e32 v1, 3, v0
	s_and_b32 s30, s0, -4
	v_cmp_gt_i32_e64 s[0:1], s7, v1
	v_mov_b32_e32 v2, 0
	v_mov_b32_e32 v3, 0
	;; [unrolled: 1-line block ×8, first 2 shown]
	s_waitcnt lgkmcnt(0)
	s_and_saveexec_b64 s[14:15], s[0:1]
	s_cbranch_execz .LBB119_3
; %bb.2:
	s_load_dwordx2 s[28:29], s[4:5], 0x28
	s_load_dwordx2 s[38:39], s[4:5], 0x40
	s_and_b64 s[36:37], s[26:27], exec
	s_cselect_b32 s18, s21, s22
	v_lshlrev_b32_e32 v10, 4, v0
	s_waitcnt lgkmcnt(0)
	s_cselect_b32 s21, s29, s35
	s_cselect_b32 s31, s28, s34
	s_mul_hi_i32 s29, s18, s6
	s_mul_i32 s28, s18, s6
	s_lshl_b64 s[28:29], s[28:29], 1
	s_add_u32 s36, s31, s28
	s_addc_u32 s18, s21, s29
	s_and_b64 s[26:27], s[26:27], exec
	s_mov_b32 s31, 0x20000
	s_cselect_b32 s28, s38, s24
	s_cselect_b32 s21, s39, s25
	s_and_b32 s37, s18, 0xffff
	s_mov_b32 s38, s30
	s_mov_b32 s39, s31
	s_and_b32 s29, s21, 0xffff
	buffer_load_dwordx4 v[6:9], v10, s[36:39], 0 offen glc slc
	buffer_load_dwordx4 v[2:5], v10, s[28:31], 0 offen
.LBB119_3:
	s_or_b64 exec, exec, s[14:15]
	s_and_b64 vcc, exec, s[2:3]
	s_cbranch_vccz .LBB119_7
; %bb.4:
	v_mov_b32_e32 v11, 0
	v_mov_b32_e32 v10, 0
	;; [unrolled: 1-line block ×8, first 2 shown]
	s_and_saveexec_b64 s[14:15], s[0:1]
	s_cbranch_execz .LBB119_6
; %bb.5:
	s_waitcnt vmcnt(1)
	v_cvt_f32_f16_sdwa v17, v6 dst_sel:DWORD dst_unused:UNUSED_PAD src0_sel:WORD_1
	v_cvt_f32_f16_e32 v16, v6
	v_cvt_f32_f16_sdwa v15, v7 dst_sel:DWORD dst_unused:UNUSED_PAD src0_sel:WORD_1
	v_cvt_f32_f16_e32 v14, v7
	;; [unrolled: 2-line block ×4, first 2 shown]
.LBB119_6:
	s_or_b64 exec, exec, s[14:15]
	s_mov_b32 s18, s17
	s_cbranch_execz .LBB119_8
	s_branch .LBB119_11
.LBB119_7:
                                        ; implicit-def: $vgpr11
                                        ; implicit-def: $vgpr13
                                        ; implicit-def: $vgpr15
                                        ; implicit-def: $vgpr17
	s_mov_b32 s18, s17
.LBB119_8:
	v_mov_b32_e32 v11, 0
	v_mov_b32_e32 v10, 0
	;; [unrolled: 1-line block ×8, first 2 shown]
	s_and_saveexec_b64 s[14:15], s[0:1]
	s_cbranch_execz .LBB119_10
; %bb.9:
	s_load_dwordx2 s[26:27], s[4:5], 0x38
	s_mul_hi_i32 s29, s23, s6
	s_mul_i32 s28, s23, s6
	s_lshl_b64 s[28:29], s[28:29], 1
	s_mov_b32 s31, 0x20000
	s_waitcnt lgkmcnt(0)
	s_add_u32 s28, s26, s28
	s_addc_u32 s18, s27, s29
	s_and_b32 s29, s18, 0xffff
	v_lshlrev_b32_e32 v26, 4, v0
	buffer_load_dwordx4 v[10:13], v26, s[28:31], 0 offen glc slc
	s_waitcnt vmcnt(2)
	v_cvt_f32_f16_sdwa v15, v6 dst_sel:DWORD dst_unused:UNUSED_PAD src0_sel:WORD_1
	v_cvt_f32_f16_e32 v14, v6
	v_cvt_f32_f16_sdwa v19, v7 dst_sel:DWORD dst_unused:UNUSED_PAD src0_sel:WORD_1
	v_cvt_f32_f16_e32 v18, v7
	;; [unrolled: 2-line block ×4, first 2 shown]
	s_load_dwordx2 s[26:27], s[4:5], 0x20
	s_mul_hi_i32 s29, s13, s6
	s_mul_i32 s28, s13, s6
	s_lshl_b64 s[28:29], s[28:29], 1
	s_waitcnt lgkmcnt(0)
	s_add_u32 s28, s26, s28
	s_addc_u32 s13, s27, s29
	s_and_b32 s29, s13, 0xffff
	s_waitcnt vmcnt(0)
	v_cvt_f32_f16_e32 v8, v10
	v_cvt_f32_f16_sdwa v9, v10 dst_sel:DWORD dst_unused:UNUSED_PAD src0_sel:WORD_1
	v_cvt_f32_f16_e32 v10, v11
	v_cvt_f32_f16_sdwa v11, v11 dst_sel:DWORD dst_unused:UNUSED_PAD src0_sel:WORD_1
	;; [unrolled: 2-line block ×4, first 2 shown]
	v_pk_add_f32 v[16:17], v[14:15], v[8:9]
	v_pk_add_f32 v[14:15], v[18:19], v[10:11]
	;; [unrolled: 1-line block ×4, first 2 shown]
	v_cvt_f16_f32_e32 v6, v17
	v_cvt_f16_f32_e32 v7, v15
	;; [unrolled: 1-line block ×8, first 2 shown]
	v_pack_b32_f16 v9, v18, v9
	v_pack_b32_f16 v8, v19, v8
	v_pack_b32_f16 v7, v20, v7
	v_pack_b32_f16 v6, v21, v6
	buffer_store_dwordx4 v[6:9], v26, s[28:31], 0 offen glc slc
	;;#ASMSTART
	s_nop 0
	;;#ASMEND
.LBB119_10:
	s_or_b64 exec, exec, s[14:15]
	s_mov_b32 s18, s16
.LBB119_11:
	s_waitcnt vmcnt(1)
	v_mul_f32_e32 v6, v17, v17
	v_fmac_f32_e32 v6, v16, v16
	v_fmac_f32_e32 v6, v14, v14
	;; [unrolled: 1-line block ×7, first 2 shown]
	v_bfrev_b32_e32 v8, 0.5
	s_load_dwordx2 s[14:15], s[4:5], 0x18
	v_mov_b32_dpp v7, v6 quad_perm:[1,0,3,2] row_mask:0xf bank_mask:0xf
	v_add_f32_e32 v6, v6, v7
	s_nop 1
	v_mov_b32_dpp v7, v6 quad_perm:[2,3,0,1] row_mask:0xf bank_mask:0xf
	v_add_f32_e32 v6, v6, v7
	s_nop 1
	v_mov_b32_dpp v7, v6 row_half_mirror row_mask:0xf bank_mask:0xf
	v_add_f32_e32 v6, v6, v7
	s_nop 1
	v_mov_b32_dpp v7, v6 row_mirror row_mask:0xf bank_mask:0xf
	v_add_f32_e32 v6, v6, v7
	s_nop 1
	v_mov_b32_dpp v7, v6 row_bcast:15 row_mask:0xf bank_mask:0xf
	v_add_f32_e32 v6, v6, v7
	s_nop 1
	v_mov_b32_dpp v7, v6 row_bcast:31 row_mask:0xf bank_mask:0xf
	v_add_f32_e32 v6, v6, v7
	v_mbcnt_lo_u32_b32 v7, -1, 0
	v_mbcnt_hi_u32_b32 v7, -1, v7
	v_lshl_or_b32 v18, v7, 2, v8
	ds_bpermute_b32 v6, v18, v6
	s_and_saveexec_b64 s[26:27], s[0:1]
	s_cbranch_execnz .LBB119_16
; %bb.12:
	s_or_b64 exec, exec, s[26:27]
	s_mov_b64 s[26:27], -1
	s_and_b64 vcc, exec, s[2:3]
	s_cbranch_vccnz .LBB119_17
.LBB119_13:
	s_andn2_b64 vcc, exec, s[26:27]
	s_cbranch_vccz .LBB119_20
.LBB119_14:
	s_cmp_lt_i32 s20, 1
	s_cbranch_scc0 .LBB119_29
.LBB119_15:
	s_endpgm
.LBB119_16:
	v_cvt_f32_u32_e32 v7, s7
	s_mov_b32 s7, 0x800000
	s_waitcnt vmcnt(0)
	v_cvt_f32_f16_sdwa v23, v5 dst_sel:DWORD dst_unused:UNUSED_PAD src0_sel:WORD_1
	v_cvt_f32_f16_e32 v22, v5
	s_waitcnt lgkmcnt(0)
	v_div_scale_f32 v8, s[28:29], v7, v7, v6
	v_rcp_f32_e32 v9, v8
	v_div_scale_f32 v19, vcc, v6, v7, v6
	v_fma_f32 v20, -v8, v9, 1.0
	v_fmac_f32_e32 v9, v20, v9
	v_mul_f32_e32 v20, v19, v9
	v_fma_f32 v21, -v8, v20, v19
	v_fmac_f32_e32 v20, v21, v9
	v_fma_f32 v8, -v8, v20, v19
	v_div_fmas_f32 v8, v8, v9, v20
	v_div_fixup_f32 v6, v8, v7, v6
	v_add_f32_e32 v6, s18, v6
	v_mul_f32_e32 v7, 0x4b800000, v6
	v_cmp_gt_f32_e32 vcc, s7, v6
	v_cndmask_b32_e32 v6, v6, v7, vcc
	v_rsq_f32_e32 v6, v6
	v_cvt_f32_f16_sdwa v21, v3 dst_sel:DWORD dst_unused:UNUSED_PAD src0_sel:WORD_1
	v_cvt_f32_f16_e32 v20, v3
	v_cvt_f32_f16_sdwa v3, v4 dst_sel:DWORD dst_unused:UNUSED_PAD src0_sel:WORD_1
	v_mul_f32_e32 v7, 0x45800000, v6
	v_cndmask_b32_e32 v6, v6, v7, vcc
	v_mov_b32_e32 v7, v6
	;;#ASMSTART
	v_pk_mul_f32 v[8:9], v[16:17], v[6:7]
	;;#ASMEND
	;;#ASMSTART
	v_pk_mul_f32 v[14:15], v[14:15], v[6:7]
	;;#ASMEND
	;; [unrolled: 3-line block ×4, first 2 shown]
	v_cvt_f32_f16_sdwa v11, v2 dst_sel:DWORD dst_unused:UNUSED_PAD src0_sel:WORD_1
	v_cvt_f32_f16_e32 v10, v2
	v_cvt_f32_f16_e32 v2, v4
	;;#ASMSTART
	v_pk_mul_f32 v[16:17], v[8:9], v[10:11]
	;;#ASMEND
	;;#ASMSTART
	v_pk_mul_f32 v[14:15], v[14:15], v[20:21]
	;;#ASMEND
	;; [unrolled: 3-line block ×4, first 2 shown]
	s_or_b64 exec, exec, s[26:27]
	s_mov_b64 s[26:27], -1
	s_and_b64 vcc, exec, s[2:3]
	s_cbranch_vccz .LBB119_13
.LBB119_17:
	s_and_saveexec_b64 s[2:3], s[0:1]
	s_cbranch_execz .LBB119_19
; %bb.18:
	s_mul_hi_i32 s27, s12, s6
	s_mul_i32 s26, s12, s6
	s_waitcnt vmcnt(0)
	v_cvt_f16_f32_e32 v2, v16
	v_cvt_f16_f32_e32 v3, v14
	;; [unrolled: 1-line block ×4, first 2 shown]
	s_waitcnt lgkmcnt(0)
	v_cvt_f16_f32_e32 v6, v11
	v_cvt_f16_f32_e32 v7, v13
	;; [unrolled: 1-line block ×4, first 2 shown]
	s_lshl_b64 s[26:27], s[26:27], 1
	s_add_u32 s28, s14, s26
	s_addc_u32 s7, s15, s27
	s_and_b32 s29, s7, 0xffff
	s_mov_b32 s31, 0x20000
	v_pack_b32_f16 v5, v5, v6
	v_pack_b32_f16 v4, v4, v7
	;; [unrolled: 1-line block ×4, first 2 shown]
	v_lshlrev_b32_e32 v6, 4, v0
	buffer_store_dwordx4 v[2:5], v6, s[28:31], 0 offen
	;;#ASMSTART
	s_nop 0
	;;#ASMEND
.LBB119_19:
	s_or_b64 exec, exec, s[2:3]
	s_cbranch_execnz .LBB119_14
.LBB119_20:
	s_waitcnt vmcnt(0)
	v_mov_b32_e32 v2, 0
	s_and_saveexec_b64 s[2:3], s[0:1]
	s_cbranch_execz .LBB119_22
; %bb.21:
	s_load_dwordx2 s[26:27], s[4:5], 0x10
	s_mul_hi_i32 s29, s11, s6
	s_mul_i32 s28, s11, s6
	v_cvt_f16_f32_e32 v2, v16
	v_cvt_f16_f32_e32 v3, v14
	;; [unrolled: 1-line block ×4, first 2 shown]
	s_waitcnt lgkmcnt(0)
	v_cvt_f16_f32_e32 v6, v11
	v_cvt_f16_f32_e32 v7, v13
	;; [unrolled: 1-line block ×4, first 2 shown]
	s_lshl_b64 s[28:29], s[28:29], 1
	s_add_u32 s28, s26, s28
	s_addc_u32 s7, s27, s29
	s_mov_b32 s31, 0x20000
	s_and_b32 s29, s7, 0xffff
	v_pack_b32_f16 v5, v5, v6
	v_pack_b32_f16 v4, v4, v7
	;; [unrolled: 1-line block ×4, first 2 shown]
	v_lshlrev_b32_e32 v6, 4, v0
	buffer_store_dwordx4 v[2:5], v6, s[28:31], 0 offen
	;;#ASMSTART
	s_nop 0
	;;#ASMEND
	s_nop 0
	v_mov_b32_e32 v2, 0x2edbe6ff
.LBB119_22:
	s_or_b64 exec, exec, s[2:3]
	s_and_saveexec_b64 s[2:3], s[0:1]
	s_cbranch_execz .LBB119_24
; %bb.23:
	v_and_b32_e32 v3, 0x7fffffff, v16
	v_and_b32_e32 v4, 0x7fffffff, v17
	;;#ASMSTART
	v_max3_f32 v2, v2, v3, v4

	;;#ASMEND
	v_and_b32_e32 v3, 0x7fffffff, v14
	v_and_b32_e32 v4, 0x7fffffff, v15
	;;#ASMSTART
	v_max3_f32 v2, v2, v3, v4

	;;#ASMEND
	;; [unrolled: 6-line block ×4, first 2 shown]
.LBB119_24:
	s_or_b64 exec, exec, s[2:3]
	;;#ASMSTART
	v_max_f32 v3, v2, v2 quad_perm:[1,0,3,2] row_mask:0xf bank_mask:0xf bound_ctrl:1
	;;#ASMEND
	;;#ASMSTART
	v_max_f32 v2, v3, v3 quad_perm:[2,3,0,1] row_mask:0xf bank_mask:0xf bound_ctrl:1
	;;#ASMEND
	;;#ASMSTART
	v_max_f32 v3, v2, v2 row_half_mirror row_mask:0xf bank_mask:0xf bound_ctrl:1
	;;#ASMEND
	;;#ASMSTART
	v_max_f32 v2, v3, v3 row_mirror row_mask:0xf bank_mask:0xf bound_ctrl:1
	;;#ASMEND
	v_and_b32_e32 v3, 15, v0
	v_cmp_eq_u32_e32 vcc, 0, v3
	v_cmp_gt_i32_e64 s[2:3], s19, v1
	s_and_b64 s[26:27], vcc, s[2:3]
	s_and_saveexec_b64 s[2:3], s[26:27]
	s_cbranch_execz .LBB119_26
; %bb.25:
	s_load_dwordx2 s[26:27], s[4:5], 0x8
	v_mul_f32_e32 v2, 0x3e2aaaab, v2
	v_lshrrev_b32_e32 v3, 23, v2
	v_and_b32_e32 v4, 0x7f800000, v2
	v_and_b32_e32 v2, 0x7fffff, v2
	v_cmp_ne_u32_e32 vcc, 0, v2
	s_mul_hi_i32 s11, s9, s6
	s_mul_i32 s9, s9, s6
	s_mov_b32 s7, 0x7f800000
	v_addc_co_u32_e32 v2, vcc, 0, v3, vcc
	s_waitcnt lgkmcnt(0)
	s_add_u32 s26, s26, s9
	v_cmp_ne_u32_e32 vcc, s7, v4
	s_addc_u32 s27, s27, s11
	v_lshrrev_b32_e32 v5, 4, v0
	v_cndmask_b32_e32 v4, -1, v2, vcc
	v_pk_mov_b32 v[2:3], s[26:27], s[26:27] op_sel:[0,1]
	v_mad_i64_i32 v[2:3], s[10:11], s10, v5, v[2:3]
	global_store_byte v[2:3], v4, off
.LBB119_26:
	s_or_b64 exec, exec, s[2:3]
	s_and_saveexec_b64 s[2:3], s[0:1]
	s_cbranch_execz .LBB119_28
; %bb.27:
	s_load_dwordx2 s[0:1], s[4:5], 0x0
	s_mul_hi_i32 s7, s8, s6
	s_mul_i32 s8, s8, s6
	v_lshlrev_b32_e32 v2, 2, v0
	s_mov_b32 s11, 0x20000
	s_waitcnt lgkmcnt(0)
	s_add_u32 s8, s0, s8
	s_addc_u32 s0, s1, s7
	s_lshr_b32 s1, s19, 31
	s_add_i32 s1, s19, s1
	s_ashr_i32 s1, s1, 1
	s_add_i32 s1, s1, 3
	s_ashr_i32 s7, s1, 31
	s_lshr_b32 s7, s7, 30
	s_add_i32 s1, s1, s7
	s_and_b32 s10, s1, -4
	s_and_b32 s9, s0, 0xffff
	v_mov_b32_e32 v3, 0
	buffer_store_dword v3, v2, s[8:11], 0 offen
	;;#ASMSTART
	s_nop 0
	;;#ASMEND
.LBB119_28:
	s_or_b64 exec, exec, s[2:3]
	s_cmp_lt_i32 s20, 1
	s_cbranch_scc1 .LBB119_15
.LBB119_29:
	s_load_dword s0, s[4:5], 0x94
	s_waitcnt lgkmcnt(0)
	s_cmp_lg_u32 s0, 1
	s_cbranch_scc1 .LBB119_15
; %bb.30:
	s_lshl_b32 s0, s20, 1
	s_add_i32 s0, s0, 2
	v_cmp_gt_u32_e32 vcc, s20, v1
	s_and_b32 s26, s0, -4
	v_mov_b32_e32 v8, 0
	v_lshlrev_b32_e32 v16, 4, v0
	s_waitcnt vmcnt(0)
	v_mov_b32_e32 v4, 0
	v_mov_b32_e32 v5, 0
	;; [unrolled: 1-line block ×8, first 2 shown]
	s_barrier
	s_and_saveexec_b64 s[0:1], vcc
	s_cbranch_execz .LBB119_32
; %bb.31:
	s_mul_hi_i32 s3, s22, s6
	s_mul_i32 s2, s22, s6
	s_and_b32 s25, s25, 0xffff
	s_lshl_b64 s[2:3], s[2:3], 1
	s_add_u32 s8, s34, s2
	s_mov_b32 s27, 0x20000
	s_addc_u32 s2, s35, s3
	s_and_b32 s9, s2, 0xffff
	s_mov_b32 s10, s26
	s_mov_b32 s11, s27
	buffer_load_dwordx4 v[4:7], v16, s[8:11], 0 offen glc slc
	buffer_load_dwordx4 v[0:3], v16, s[24:27], 0 offen
.LBB119_32:
	s_or_b64 exec, exec, s[0:1]
	v_mov_b32_e32 v9, 0
	v_mov_b32_e32 v14, 0
	v_mov_b32_e32 v15, 0
	v_mov_b32_e32 v12, 0
	v_mov_b32_e32 v13, 0
	v_mov_b32_e32 v10, 0
	v_mov_b32_e32 v11, 0
	s_and_saveexec_b64 s[0:1], vcc
	s_cbranch_execz .LBB119_34
; %bb.33:
	s_waitcnt vmcnt(1)
	v_cvt_f32_f16_sdwa v9, v4 dst_sel:DWORD dst_unused:UNUSED_PAD src0_sel:WORD_1
	v_cvt_f32_f16_e32 v8, v4
	v_cvt_f32_f16_sdwa v15, v5 dst_sel:DWORD dst_unused:UNUSED_PAD src0_sel:WORD_1
	v_cvt_f32_f16_e32 v14, v5
	;; [unrolled: 2-line block ×4, first 2 shown]
.LBB119_34:
	s_or_b64 exec, exec, s[0:1]
	s_waitcnt vmcnt(1)
	v_mul_f32_e32 v4, v9, v9
	v_fmac_f32_e32 v4, v8, v8
	v_fmac_f32_e32 v4, v14, v14
	;; [unrolled: 1-line block ×7, first 2 shown]
	s_nop 1
	v_mov_b32_dpp v5, v4 quad_perm:[1,0,3,2] row_mask:0xf bank_mask:0xf
	v_add_f32_e32 v4, v4, v5
	s_nop 1
	v_mov_b32_dpp v5, v4 quad_perm:[2,3,0,1] row_mask:0xf bank_mask:0xf
	v_add_f32_e32 v4, v4, v5
	s_nop 1
	v_mov_b32_dpp v5, v4 row_half_mirror row_mask:0xf bank_mask:0xf
	v_add_f32_e32 v4, v4, v5
	s_nop 1
	v_mov_b32_dpp v5, v4 row_mirror row_mask:0xf bank_mask:0xf
	v_add_f32_e32 v4, v4, v5
	s_nop 1
	v_mov_b32_dpp v5, v4 row_bcast:15 row_mask:0xf bank_mask:0xf
	v_add_f32_e32 v4, v4, v5
	s_nop 1
	v_mov_b32_dpp v5, v4 row_bcast:31 row_mask:0xf bank_mask:0xf
	v_add_f32_e32 v4, v4, v5
	ds_bpermute_b32 v4, v18, v4
	s_and_saveexec_b64 s[0:1], vcc
	s_cbranch_execz .LBB119_15
; %bb.35:
	v_cvt_f32_u32_e32 v5, s20
	s_mov_b32 s27, 0x20000
	s_waitcnt lgkmcnt(0)
	v_div_scale_f32 v6, s[0:1], v5, v5, v4
	v_rcp_f32_e32 v7, v6
	v_div_scale_f32 v17, vcc, v4, v5, v4
	s_mov_b32 s0, 0x800000
	v_fma_f32 v18, -v6, v7, 1.0
	v_fmac_f32_e32 v7, v18, v7
	v_mul_f32_e32 v18, v17, v7
	v_fma_f32 v19, -v6, v18, v17
	v_fmac_f32_e32 v18, v19, v7
	v_fma_f32 v6, -v6, v18, v17
	v_div_fmas_f32 v6, v6, v7, v18
	v_div_fixup_f32 v4, v6, v5, v4
	v_add_f32_e32 v4, s17, v4
	v_mul_f32_e32 v5, 0x4b800000, v4
	v_cmp_gt_f32_e32 vcc, s0, v4
	v_cndmask_b32_e32 v4, v4, v5, vcc
	v_rsq_f32_e32 v4, v4
	s_waitcnt vmcnt(0)
	v_cvt_f32_f16_sdwa v19, v3 dst_sel:DWORD dst_unused:UNUSED_PAD src0_sel:WORD_1
	v_cvt_f32_f16_e32 v18, v3
	s_mul_hi_i32 s1, s12, s6
	v_mul_f32_e32 v5, 0x45800000, v4
	v_cndmask_b32_e32 v4, v4, v5, vcc
	v_mov_b32_e32 v5, v4
	;;#ASMSTART
	v_pk_mul_f32 v[6:7], v[8:9], v[4:5]
	;;#ASMEND
	;;#ASMSTART
	v_pk_mul_f32 v[8:9], v[14:15], v[4:5]
	;;#ASMEND
	;; [unrolled: 3-line block ×4, first 2 shown]
	v_cvt_f32_f16_sdwa v11, v0 dst_sel:DWORD dst_unused:UNUSED_PAD src0_sel:WORD_1
	v_cvt_f32_f16_e32 v10, v0
	v_cvt_f32_f16_sdwa v15, v1 dst_sel:DWORD dst_unused:UNUSED_PAD src0_sel:WORD_1
	v_cvt_f32_f16_e32 v14, v1
	;; [unrolled: 2-line block ×3, first 2 shown]
	;;#ASMSTART
	v_pk_mul_f32 v[2:3], v[6:7], v[10:11]
	;;#ASMEND
	;;#ASMSTART
	v_pk_mul_f32 v[6:7], v[8:9], v[14:15]
	;;#ASMEND
	;; [unrolled: 3-line block ×4, first 2 shown]
	s_mul_i32 s0, s12, s6
	v_cvt_f16_f32_e32 v2, v2
	v_cvt_f16_f32_e32 v3, v3
	;; [unrolled: 1-line block ×8, first 2 shown]
	s_lshl_b64 s[0:1], s[0:1], 1
	s_add_u32 s24, s14, s0
	s_addc_u32 s0, s15, s1
	s_and_b32 s25, s0, 0xffff
	v_pack_b32_f16 v0, v2, v3
	v_pack_b32_f16 v1, v6, v7
	;; [unrolled: 1-line block ×4, first 2 shown]
	buffer_store_dwordx4 v[0:3], v16, s[24:27], 0 offen
	;;#ASMSTART
	s_nop 0
	;;#ASMEND
	s_endpgm
	.section	.rodata,"a",@progbits
	.p2align	6, 0x0
	.amdhsa_kernel _ZN5aiter35fused_qk_rmsnorm_group_quant_kernelIDF16_N4opus5fp4_tELi64ELi8ELi16ELb1ELb1ELb0ELb0ELb0ELb0EEEvPT0_PvPT_S7_S7_PKS6_S9_S9_S9_S9_ffiiiiiiiiiiiii
		.amdhsa_group_segment_fixed_size 0
		.amdhsa_private_segment_fixed_size 0
		.amdhsa_kernarg_size 400
		.amdhsa_user_sgpr_count 6
		.amdhsa_user_sgpr_private_segment_buffer 1
		.amdhsa_user_sgpr_dispatch_ptr 0
		.amdhsa_user_sgpr_queue_ptr 0
		.amdhsa_user_sgpr_kernarg_segment_ptr 1
		.amdhsa_user_sgpr_dispatch_id 0
		.amdhsa_user_sgpr_flat_scratch_init 0
		.amdhsa_user_sgpr_kernarg_preload_length 0
		.amdhsa_user_sgpr_kernarg_preload_offset 0
		.amdhsa_user_sgpr_private_segment_size 0
		.amdhsa_uses_dynamic_stack 0
		.amdhsa_system_sgpr_private_segment_wavefront_offset 0
		.amdhsa_system_sgpr_workgroup_id_x 1
		.amdhsa_system_sgpr_workgroup_id_y 1
		.amdhsa_system_sgpr_workgroup_id_z 0
		.amdhsa_system_sgpr_workgroup_info 0
		.amdhsa_system_vgpr_workitem_id 0
		.amdhsa_next_free_vgpr 27
		.amdhsa_next_free_sgpr 40
		.amdhsa_accum_offset 28
		.amdhsa_reserve_vcc 1
		.amdhsa_reserve_flat_scratch 0
		.amdhsa_float_round_mode_32 0
		.amdhsa_float_round_mode_16_64 0
		.amdhsa_float_denorm_mode_32 3
		.amdhsa_float_denorm_mode_16_64 3
		.amdhsa_dx10_clamp 1
		.amdhsa_ieee_mode 1
		.amdhsa_fp16_overflow 0
		.amdhsa_tg_split 0
		.amdhsa_exception_fp_ieee_invalid_op 0
		.amdhsa_exception_fp_denorm_src 0
		.amdhsa_exception_fp_ieee_div_zero 0
		.amdhsa_exception_fp_ieee_overflow 0
		.amdhsa_exception_fp_ieee_underflow 0
		.amdhsa_exception_fp_ieee_inexact 0
		.amdhsa_exception_int_div_zero 0
	.end_amdhsa_kernel
	.section	.text._ZN5aiter35fused_qk_rmsnorm_group_quant_kernelIDF16_N4opus5fp4_tELi64ELi8ELi16ELb1ELb1ELb0ELb0ELb0ELb0EEEvPT0_PvPT_S7_S7_PKS6_S9_S9_S9_S9_ffiiiiiiiiiiiii,"axG",@progbits,_ZN5aiter35fused_qk_rmsnorm_group_quant_kernelIDF16_N4opus5fp4_tELi64ELi8ELi16ELb1ELb1ELb0ELb0ELb0ELb0EEEvPT0_PvPT_S7_S7_PKS6_S9_S9_S9_S9_ffiiiiiiiiiiiii,comdat
.Lfunc_end119:
	.size	_ZN5aiter35fused_qk_rmsnorm_group_quant_kernelIDF16_N4opus5fp4_tELi64ELi8ELi16ELb1ELb1ELb0ELb0ELb0ELb0EEEvPT0_PvPT_S7_S7_PKS6_S9_S9_S9_S9_ffiiiiiiiiiiiii, .Lfunc_end119-_ZN5aiter35fused_qk_rmsnorm_group_quant_kernelIDF16_N4opus5fp4_tELi64ELi8ELi16ELb1ELb1ELb0ELb0ELb0ELb0EEEvPT0_PvPT_S7_S7_PKS6_S9_S9_S9_S9_ffiiiiiiiiiiiii
                                        ; -- End function
	.section	.AMDGPU.csdata,"",@progbits
; Kernel info:
; codeLenInByte = 2704
; NumSgprs: 44
; NumVgprs: 27
; NumAgprs: 0
; TotalNumVgprs: 27
; ScratchSize: 0
; MemoryBound: 0
; FloatMode: 240
; IeeeMode: 1
; LDSByteSize: 0 bytes/workgroup (compile time only)
; SGPRBlocks: 5
; VGPRBlocks: 3
; NumSGPRsForWavesPerEU: 44
; NumVGPRsForWavesPerEU: 27
; AccumOffset: 28
; Occupancy: 8
; WaveLimiterHint : 0
; COMPUTE_PGM_RSRC2:SCRATCH_EN: 0
; COMPUTE_PGM_RSRC2:USER_SGPR: 6
; COMPUTE_PGM_RSRC2:TRAP_HANDLER: 0
; COMPUTE_PGM_RSRC2:TGID_X_EN: 1
; COMPUTE_PGM_RSRC2:TGID_Y_EN: 1
; COMPUTE_PGM_RSRC2:TGID_Z_EN: 0
; COMPUTE_PGM_RSRC2:TIDIG_COMP_CNT: 0
; COMPUTE_PGM_RSRC3_GFX90A:ACCUM_OFFSET: 6
; COMPUTE_PGM_RSRC3_GFX90A:TG_SPLIT: 0
	.section	.text._ZN5aiter35fused_qk_rmsnorm_group_quant_kernelItN4opus5fp4_tELi64ELi8ELi16ELb1ELb1ELb0ELb0ELb0ELb0EEEvPT0_PvPT_S7_S7_PKS6_S9_S9_S9_S9_ffiiiiiiiiiiiii,"axG",@progbits,_ZN5aiter35fused_qk_rmsnorm_group_quant_kernelItN4opus5fp4_tELi64ELi8ELi16ELb1ELb1ELb0ELb0ELb0ELb0EEEvPT0_PvPT_S7_S7_PKS6_S9_S9_S9_S9_ffiiiiiiiiiiiii,comdat
	.protected	_ZN5aiter35fused_qk_rmsnorm_group_quant_kernelItN4opus5fp4_tELi64ELi8ELi16ELb1ELb1ELb0ELb0ELb0ELb0EEEvPT0_PvPT_S7_S7_PKS6_S9_S9_S9_S9_ffiiiiiiiiiiiii ; -- Begin function _ZN5aiter35fused_qk_rmsnorm_group_quant_kernelItN4opus5fp4_tELi64ELi8ELi16ELb1ELb1ELb0ELb0ELb0ELb0EEEvPT0_PvPT_S7_S7_PKS6_S9_S9_S9_S9_ffiiiiiiiiiiiii
	.globl	_ZN5aiter35fused_qk_rmsnorm_group_quant_kernelItN4opus5fp4_tELi64ELi8ELi16ELb1ELb1ELb0ELb0ELb0ELb0EEEvPT0_PvPT_S7_S7_PKS6_S9_S9_S9_S9_ffiiiiiiiiiiiii
	.p2align	8
	.type	_ZN5aiter35fused_qk_rmsnorm_group_quant_kernelItN4opus5fp4_tELi64ELi8ELi16ELb1ELb1ELb0ELb0ELb0ELb0EEEvPT0_PvPT_S7_S7_PKS6_S9_S9_S9_S9_ffiiiiiiiiiiiii,@function
_ZN5aiter35fused_qk_rmsnorm_group_quant_kernelItN4opus5fp4_tELi64ELi8ELi16ELb1ELb1ELb0ELb0ELb0ELb0EEEvPT0_PvPT_S7_S7_PKS6_S9_S9_S9_S9_ffiiiiiiiiiiiii: ; @_ZN5aiter35fused_qk_rmsnorm_group_quant_kernelItN4opus5fp4_tELi64ELi8ELi16ELb1ELb1ELb0ELb0ELb0ELb0EEEvPT0_PvPT_S7_S7_PKS6_S9_S9_S9_S9_ffiiiiiiiiiiiii
; %bb.0:
	s_load_dwordx8 s[16:23], s[4:5], 0x50
	s_waitcnt lgkmcnt(0)
	s_cmp_ge_i32 s6, s18
	s_cbranch_scc1 .LBB120_15
; %bb.1:
	s_cmp_lg_u32 s7, 0
	s_cselect_b64 s[2:3], -1, 0
	s_cmp_eq_u32 s7, 0
	s_cselect_b64 s[26:27], -1, 0
	s_and_b64 s[0:1], s[26:27], exec
	s_load_dwordx2 s[24:25], s[4:5], 0x48
	s_load_dwordx2 s[34:35], s[4:5], 0x30
	s_load_dwordx8 s[8:15], s[4:5], 0x70
	s_cselect_b32 s7, s19, s20
	s_add_i32 s0, s7, 1
	s_lshr_b32 s1, s0, 31
	s_add_i32 s0, s0, s1
	s_lshl_b32 s0, s0, 1
	v_lshlrev_b32_e32 v1, 3, v0
	s_and_b32 s30, s0, -4
	v_cmp_gt_i32_e64 s[0:1], s7, v1
	v_mov_b32_e32 v10, 0
	v_mov_b32_e32 v11, 0
	;; [unrolled: 1-line block ×8, first 2 shown]
	s_waitcnt lgkmcnt(0)
	s_and_saveexec_b64 s[14:15], s[0:1]
	s_cbranch_execz .LBB120_3
; %bb.2:
	s_load_dwordx2 s[28:29], s[4:5], 0x28
	s_load_dwordx2 s[38:39], s[4:5], 0x40
	s_and_b64 s[36:37], s[26:27], exec
	s_cselect_b32 s18, s21, s22
	v_lshlrev_b32_e32 v2, 4, v0
	s_waitcnt lgkmcnt(0)
	s_cselect_b32 s21, s29, s35
	s_cselect_b32 s31, s28, s34
	s_mul_hi_i32 s29, s18, s6
	s_mul_i32 s28, s18, s6
	s_lshl_b64 s[28:29], s[28:29], 1
	s_add_u32 s36, s31, s28
	s_addc_u32 s18, s21, s29
	s_and_b64 s[26:27], s[26:27], exec
	s_mov_b32 s31, 0x20000
	s_cselect_b32 s28, s38, s24
	s_cselect_b32 s21, s39, s25
	s_and_b32 s37, s18, 0xffff
	s_mov_b32 s38, s30
	s_mov_b32 s39, s31
	s_and_b32 s29, s21, 0xffff
	buffer_load_dwordx4 v[14:17], v2, s[36:39], 0 offen glc slc
	buffer_load_dwordx4 v[10:13], v2, s[28:31], 0 offen
.LBB120_3:
	s_or_b64 exec, exec, s[14:15]
	s_and_b64 vcc, exec, s[2:3]
	s_cbranch_vccz .LBB120_7
; %bb.4:
	s_mov_b32 s36, 0
	s_mov_b32 s37, s36
	;; [unrolled: 1-line block ×8, first 2 shown]
	v_pk_mov_b32 v[2:3], s[36:37], s[36:37] op_sel:[0,1]
	v_pk_mov_b32 v[4:5], s[38:39], s[38:39] op_sel:[0,1]
	;; [unrolled: 1-line block ×4, first 2 shown]
	s_and_saveexec_b64 s[14:15], s[0:1]
	s_cbranch_execz .LBB120_6
; %bb.5:
	s_waitcnt vmcnt(1)
	v_cvt_f32_u32_sdwa v3, v14 dst_sel:DWORD dst_unused:UNUSED_PAD src0_sel:WORD_1
	v_cvt_f32_u32_sdwa v2, v14 dst_sel:DWORD dst_unused:UNUSED_PAD src0_sel:WORD_0
	v_cvt_f32_u32_sdwa v5, v15 dst_sel:DWORD dst_unused:UNUSED_PAD src0_sel:WORD_1
	v_cvt_f32_u32_sdwa v4, v15 dst_sel:DWORD dst_unused:UNUSED_PAD src0_sel:WORD_0
	;; [unrolled: 2-line block ×4, first 2 shown]
.LBB120_6:
	s_or_b64 exec, exec, s[14:15]
	s_mov_b32 s18, s17
	s_cbranch_execz .LBB120_8
	s_branch .LBB120_11
.LBB120_7:
                                        ; implicit-def: $vgpr2_vgpr3_vgpr4_vgpr5_vgpr6_vgpr7_vgpr8_vgpr9
	s_mov_b32 s18, s17
.LBB120_8:
	s_mov_b32 s36, 0
	s_mov_b32 s37, s36
	;; [unrolled: 1-line block ×8, first 2 shown]
	v_pk_mov_b32 v[2:3], s[36:37], s[36:37] op_sel:[0,1]
	v_pk_mov_b32 v[4:5], s[38:39], s[38:39] op_sel:[0,1]
	;; [unrolled: 1-line block ×4, first 2 shown]
	s_and_saveexec_b64 s[14:15], s[0:1]
	s_cbranch_execz .LBB120_10
; %bb.9:
	s_load_dwordx2 s[26:27], s[4:5], 0x38
	s_mul_hi_i32 s29, s23, s6
	s_mul_i32 s28, s23, s6
	s_lshl_b64 s[28:29], s[28:29], 1
	s_mov_b32 s31, 0x20000
	s_waitcnt lgkmcnt(0)
	s_add_u32 s28, s26, s28
	s_addc_u32 s18, s27, s29
	s_and_b32 s29, s18, 0xffff
	v_lshlrev_b32_e32 v26, 4, v0
	buffer_load_dwordx4 v[2:5], v26, s[28:31], 0 offen glc slc
	s_load_dwordx2 s[26:27], s[4:5], 0x20
	s_waitcnt vmcnt(2)
	v_cvt_f32_u32_sdwa v7, v14 dst_sel:DWORD dst_unused:UNUSED_PAD src0_sel:WORD_1
	v_cvt_f32_u32_sdwa v6, v14 dst_sel:DWORD dst_unused:UNUSED_PAD src0_sel:WORD_0
	v_cvt_f32_u32_sdwa v9, v15 dst_sel:DWORD dst_unused:UNUSED_PAD src0_sel:WORD_1
	v_cvt_f32_u32_sdwa v8, v15 dst_sel:DWORD dst_unused:UNUSED_PAD src0_sel:WORD_0
	;; [unrolled: 2-line block ×4, first 2 shown]
	s_mul_hi_i32 s29, s13, s6
	s_mul_i32 s28, s13, s6
	s_lshl_b64 s[28:29], s[28:29], 1
	s_waitcnt lgkmcnt(0)
	s_add_u32 s28, s26, s28
	s_mov_b32 s13, 0x7060302
	s_addc_u32 s18, s27, s29
	s_and_b32 s29, s18, 0xffff
	s_waitcnt vmcnt(0)
	v_cvt_f32_u32_sdwa v17, v2 dst_sel:DWORD dst_unused:UNUSED_PAD src0_sel:WORD_1
	v_cvt_f32_u32_sdwa v16, v2 dst_sel:DWORD dst_unused:UNUSED_PAD src0_sel:WORD_0
	v_cvt_f32_u32_sdwa v21, v3 dst_sel:DWORD dst_unused:UNUSED_PAD src0_sel:WORD_1
	v_cvt_f32_u32_sdwa v20, v3 dst_sel:DWORD dst_unused:UNUSED_PAD src0_sel:WORD_0
	;; [unrolled: 2-line block ×4, first 2 shown]
	v_pk_add_f32 v[2:3], v[6:7], v[16:17]
	v_pk_add_f32 v[4:5], v[8:9], v[20:21]
	;; [unrolled: 1-line block ×4, first 2 shown]
	v_perm_b32 v17, v9, v8, s13
	v_perm_b32 v16, v7, v6, s13
	;; [unrolled: 1-line block ×4, first 2 shown]
	buffer_store_dwordx4 v[14:17], v26, s[28:31], 0 offen glc slc
	;;#ASMSTART
	s_nop 0
	;;#ASMEND
.LBB120_10:
	s_or_b64 exec, exec, s[14:15]
	s_mov_b32 s18, s16
.LBB120_11:
	s_waitcnt vmcnt(1)
	v_mul_f32_e32 v14, v3, v3
	v_fmac_f32_e32 v14, v2, v2
	v_fmac_f32_e32 v14, v4, v4
	;; [unrolled: 1-line block ×7, first 2 shown]
	v_bfrev_b32_e32 v16, 0.5
	s_load_dwordx2 s[14:15], s[4:5], 0x18
	v_mov_b32_dpp v15, v14 quad_perm:[1,0,3,2] row_mask:0xf bank_mask:0xf
	v_add_f32_e32 v14, v14, v15
	s_nop 1
	v_mov_b32_dpp v15, v14 quad_perm:[2,3,0,1] row_mask:0xf bank_mask:0xf
	v_add_f32_e32 v14, v14, v15
	s_nop 1
	v_mov_b32_dpp v15, v14 row_half_mirror row_mask:0xf bank_mask:0xf
	v_add_f32_e32 v14, v14, v15
	s_nop 1
	v_mov_b32_dpp v15, v14 row_mirror row_mask:0xf bank_mask:0xf
	v_add_f32_e32 v14, v14, v15
	s_nop 1
	v_mov_b32_dpp v15, v14 row_bcast:15 row_mask:0xf bank_mask:0xf
	v_add_f32_e32 v14, v14, v15
	s_nop 1
	v_mov_b32_dpp v15, v14 row_bcast:31 row_mask:0xf bank_mask:0xf
	v_add_f32_e32 v15, v14, v15
	v_mbcnt_lo_u32_b32 v14, -1, 0
	v_mbcnt_hi_u32_b32 v14, -1, v14
	v_lshl_or_b32 v14, v14, 2, v16
	ds_bpermute_b32 v15, v14, v15
	s_and_saveexec_b64 s[26:27], s[0:1]
	s_cbranch_execnz .LBB120_16
; %bb.12:
	s_or_b64 exec, exec, s[26:27]
	s_mov_b64 s[26:27], -1
	s_and_b64 vcc, exec, s[2:3]
	s_cbranch_vccnz .LBB120_17
.LBB120_13:
	s_andn2_b64 vcc, exec, s[26:27]
	s_cbranch_vccz .LBB120_20
.LBB120_14:
	s_cmp_lt_i32 s20, 1
	s_cbranch_scc0 .LBB120_29
.LBB120_15:
	s_endpgm
.LBB120_16:
	v_cvt_f32_u32_e32 v16, s7
	s_mov_b32 s7, 0x800000
	s_waitcnt lgkmcnt(0)
	v_div_scale_f32 v17, s[28:29], v16, v16, v15
	v_rcp_f32_e32 v18, v17
	v_div_scale_f32 v19, vcc, v15, v16, v15
	v_fma_f32 v20, -v17, v18, 1.0
	v_fmac_f32_e32 v18, v20, v18
	v_mul_f32_e32 v20, v19, v18
	v_fma_f32 v21, -v17, v20, v19
	v_fmac_f32_e32 v20, v21, v18
	v_fma_f32 v17, -v17, v20, v19
	v_div_fmas_f32 v17, v17, v18, v20
	v_div_fixup_f32 v15, v17, v16, v15
	v_add_f32_e32 v15, s18, v15
	v_mul_f32_e32 v16, 0x4b800000, v15
	v_cmp_gt_f32_e32 vcc, s7, v15
	v_cndmask_b32_e32 v15, v15, v16, vcc
	v_rsq_f32_e32 v15, v15
	s_waitcnt vmcnt(0)
	v_cvt_f32_u32_sdwa v19, v11 dst_sel:DWORD dst_unused:UNUSED_PAD src0_sel:WORD_1
	v_cvt_f32_u32_sdwa v18, v11 dst_sel:DWORD dst_unused:UNUSED_PAD src0_sel:WORD_0
	v_cvt_f32_u32_sdwa v11, v12 dst_sel:DWORD dst_unused:UNUSED_PAD src0_sel:WORD_1
	v_mul_f32_e32 v16, 0x45800000, v15
	v_cndmask_b32_e32 v16, v15, v16, vcc
	v_mov_b32_e32 v17, v16
	;;#ASMSTART
	v_pk_mul_f32 v[2:3], v[2:3], v[16:17]
	;;#ASMEND
	;;#ASMSTART
	v_pk_mul_f32 v[4:5], v[4:5], v[16:17]
	;;#ASMEND
	;; [unrolled: 3-line block ×4, first 2 shown]
	v_cvt_f32_u32_sdwa v17, v10 dst_sel:DWORD dst_unused:UNUSED_PAD src0_sel:WORD_1
	v_cvt_f32_u32_sdwa v16, v10 dst_sel:DWORD dst_unused:UNUSED_PAD src0_sel:WORD_0
	v_cvt_f32_u32_sdwa v10, v12 dst_sel:DWORD dst_unused:UNUSED_PAD src0_sel:WORD_0
	v_cvt_f32_u32_sdwa v21, v13 dst_sel:DWORD dst_unused:UNUSED_PAD src0_sel:WORD_1
	v_cvt_f32_u32_sdwa v20, v13 dst_sel:DWORD dst_unused:UNUSED_PAD src0_sel:WORD_0
	;;#ASMSTART
	v_pk_mul_f32 v[2:3], v[2:3], v[16:17]
	;;#ASMEND
	;;#ASMSTART
	v_pk_mul_f32 v[4:5], v[4:5], v[18:19]
	;;#ASMEND
	;; [unrolled: 3-line block ×4, first 2 shown]
	s_or_b64 exec, exec, s[26:27]
	s_mov_b64 s[26:27], -1
	s_and_b64 vcc, exec, s[2:3]
	s_cbranch_vccz .LBB120_13
.LBB120_17:
	s_and_saveexec_b64 s[2:3], s[0:1]
	s_cbranch_execz .LBB120_19
; %bb.18:
	s_mul_hi_i32 s27, s12, s6
	s_mul_i32 s26, s12, s6
	s_lshl_b64 s[26:27], s[26:27], 1
	s_waitcnt lgkmcnt(0)
	s_add_u32 s28, s14, s26
	s_addc_u32 s7, s15, s27
	s_and_b32 s29, s7, 0xffff
	s_mov_b32 s7, 0x7060302
	s_mov_b32 s31, 0x20000
	s_waitcnt vmcnt(0)
	v_perm_b32 v10, v3, v2, s7
	v_perm_b32 v11, v5, v4, s7
	;; [unrolled: 1-line block ×4, first 2 shown]
	v_lshlrev_b32_e32 v15, 4, v0
	buffer_store_dwordx4 v[10:13], v15, s[28:31], 0 offen
	;;#ASMSTART
	s_nop 0
	;;#ASMEND
.LBB120_19:
	s_or_b64 exec, exec, s[2:3]
	s_cbranch_execnz .LBB120_14
.LBB120_20:
	s_waitcnt vmcnt(0)
	v_mov_b32_e32 v10, 0
	s_and_saveexec_b64 s[2:3], s[0:1]
	s_cbranch_execz .LBB120_22
; %bb.21:
	s_load_dwordx2 s[26:27], s[4:5], 0x10
	s_mul_hi_i32 s29, s11, s6
	s_mul_i32 s28, s11, s6
	s_lshl_b64 s[28:29], s[28:29], 1
	s_mov_b32 s31, 0x20000
	s_waitcnt lgkmcnt(0)
	s_add_u32 s28, s26, s28
	s_addc_u32 s7, s27, s29
	s_and_b32 s29, s7, 0xffff
	s_mov_b32 s7, 0x7060302
	v_perm_b32 v10, v3, v2, s7
	v_perm_b32 v11, v5, v4, s7
	;; [unrolled: 1-line block ×4, first 2 shown]
	v_lshlrev_b32_e32 v15, 4, v0
	buffer_store_dwordx4 v[10:13], v15, s[28:31], 0 offen
	;;#ASMSTART
	s_nop 0
	;;#ASMEND
	s_nop 0
	v_mov_b32_e32 v10, 0x2edbe6ff
.LBB120_22:
	s_or_b64 exec, exec, s[2:3]
	s_and_saveexec_b64 s[2:3], s[0:1]
	s_cbranch_execz .LBB120_24
; %bb.23:
	v_and_b32_e32 v2, 0x7fffffff, v2
	v_and_b32_e32 v3, 0x7fffffff, v3
	;;#ASMSTART
	v_max3_f32 v2, v10, v2, v3

	;;#ASMEND
	v_and_b32_e32 v3, 0x7fffffff, v4
	v_and_b32_e32 v4, 0x7fffffff, v5
	;;#ASMSTART
	v_max3_f32 v2, v2, v3, v4

	;;#ASMEND
	;; [unrolled: 6-line block ×4, first 2 shown]
.LBB120_24:
	s_or_b64 exec, exec, s[2:3]
	;;#ASMSTART
	v_max_f32 v2, v10, v10 quad_perm:[1,0,3,2] row_mask:0xf bank_mask:0xf bound_ctrl:1
	;;#ASMEND
	;;#ASMSTART
	v_max_f32 v3, v2, v2 quad_perm:[2,3,0,1] row_mask:0xf bank_mask:0xf bound_ctrl:1
	;;#ASMEND
	;;#ASMSTART
	v_max_f32 v4, v3, v3 row_half_mirror row_mask:0xf bank_mask:0xf bound_ctrl:1
	;;#ASMEND
	v_and_b32_e32 v3, 15, v0
	v_cmp_eq_u32_e32 vcc, 0, v3
	v_cmp_gt_i32_e64 s[2:3], s19, v1
	s_and_b64 s[26:27], vcc, s[2:3]
	;;#ASMSTART
	v_max_f32 v2, v4, v4 row_mirror row_mask:0xf bank_mask:0xf bound_ctrl:1
	;;#ASMEND
	s_and_saveexec_b64 s[2:3], s[26:27]
	s_cbranch_execz .LBB120_26
; %bb.25:
	s_load_dwordx2 s[26:27], s[4:5], 0x8
	v_mul_f32_e32 v2, 0x3e2aaaab, v2
	v_lshrrev_b32_e32 v3, 23, v2
	v_and_b32_e32 v4, 0x7f800000, v2
	v_and_b32_e32 v2, 0x7fffff, v2
	v_cmp_ne_u32_e32 vcc, 0, v2
	s_mul_hi_i32 s11, s9, s6
	s_mul_i32 s9, s9, s6
	s_mov_b32 s7, 0x7f800000
	v_addc_co_u32_e32 v2, vcc, 0, v3, vcc
	s_waitcnt lgkmcnt(0)
	s_add_u32 s26, s26, s9
	v_cmp_ne_u32_e32 vcc, s7, v4
	s_addc_u32 s27, s27, s11
	v_lshrrev_b32_e32 v5, 4, v0
	v_cndmask_b32_e32 v4, -1, v2, vcc
	v_pk_mov_b32 v[2:3], s[26:27], s[26:27] op_sel:[0,1]
	v_mad_i64_i32 v[2:3], s[10:11], s10, v5, v[2:3]
	global_store_byte v[2:3], v4, off
.LBB120_26:
	s_or_b64 exec, exec, s[2:3]
	s_and_saveexec_b64 s[2:3], s[0:1]
	s_cbranch_execz .LBB120_28
; %bb.27:
	s_load_dwordx2 s[0:1], s[4:5], 0x0
	s_mul_hi_i32 s7, s8, s6
	s_mul_i32 s8, s8, s6
	v_lshlrev_b32_e32 v2, 2, v0
	s_mov_b32 s11, 0x20000
	s_waitcnt lgkmcnt(0)
	s_add_u32 s8, s0, s8
	s_addc_u32 s0, s1, s7
	s_lshr_b32 s1, s19, 31
	s_add_i32 s1, s19, s1
	s_ashr_i32 s1, s1, 1
	s_add_i32 s1, s1, 3
	s_ashr_i32 s7, s1, 31
	s_lshr_b32 s7, s7, 30
	s_add_i32 s1, s1, s7
	s_and_b32 s10, s1, -4
	s_and_b32 s9, s0, 0xffff
	v_mov_b32_e32 v3, 0
	buffer_store_dword v3, v2, s[8:11], 0 offen
	;;#ASMSTART
	s_nop 0
	;;#ASMEND
.LBB120_28:
	s_or_b64 exec, exec, s[2:3]
	s_cmp_lt_i32 s20, 1
	s_cbranch_scc1 .LBB120_15
.LBB120_29:
	s_load_dword s0, s[4:5], 0x94
	s_waitcnt lgkmcnt(0)
	s_cmp_lg_u32 s0, 1
	s_cbranch_scc1 .LBB120_15
; %bb.30:
	s_lshl_b32 s0, s20, 1
	s_add_i32 s0, s0, 2
	v_cmp_gt_u32_e32 vcc, s20, v1
	s_and_b32 s26, s0, -4
	v_mov_b32_e32 v4, 0
	s_waitcnt vmcnt(0)
	v_lshlrev_b32_e32 v12, 4, v0
	v_mov_b32_e32 v5, 0
	v_mov_b32_e32 v6, 0
	v_mov_b32_e32 v7, 0
	v_mov_b32_e32 v0, 0
	v_mov_b32_e32 v1, 0
	v_mov_b32_e32 v2, 0
	v_mov_b32_e32 v3, 0
	s_barrier
	s_and_saveexec_b64 s[0:1], vcc
	s_cbranch_execz .LBB120_32
; %bb.31:
	s_mul_hi_i32 s3, s22, s6
	s_mul_i32 s2, s22, s6
	s_and_b32 s25, s25, 0xffff
	s_lshl_b64 s[2:3], s[2:3], 1
	s_add_u32 s8, s34, s2
	s_mov_b32 s27, 0x20000
	s_addc_u32 s2, s35, s3
	s_and_b32 s9, s2, 0xffff
	s_mov_b32 s10, s26
	s_mov_b32 s11, s27
	buffer_load_dwordx4 v[4:7], v12, s[8:11], 0 offen glc slc
	buffer_load_dwordx4 v[0:3], v12, s[24:27], 0 offen
.LBB120_32:
	s_or_b64 exec, exec, s[0:1]
	s_waitcnt vmcnt(1)
	v_cvt_f32_u32_sdwa v11, v4 dst_sel:DWORD dst_unused:UNUSED_PAD src0_sel:WORD_1
	v_cvt_f32_u32_sdwa v10, v4 dst_sel:DWORD dst_unused:UNUSED_PAD src0_sel:WORD_0
	v_cvt_f32_u32_sdwa v4, v7 dst_sel:DWORD dst_unused:UNUSED_PAD src0_sel:WORD_1
	v_cvt_f32_u32_sdwa v7, v7 dst_sel:DWORD dst_unused:UNUSED_PAD src0_sel:WORD_0
	;; [unrolled: 2-line block ×4, first 2 shown]
	v_cndmask_b32_e32 v11, 0, v11, vcc
	v_cndmask_b32_e32 v5, 0, v4, vcc
	;; [unrolled: 1-line block ×5, first 2 shown]
	v_mul_f32_e32 v13, v11, v11
	v_cndmask_b32_e32 v8, 0, v8, vcc
	v_fmac_f32_e32 v13, v10, v10
	v_cndmask_b32_e32 v9, 0, v9, vcc
	v_fmac_f32_e32 v13, v8, v8
	v_cndmask_b32_e32 v6, 0, v6, vcc
	v_fmac_f32_e32 v13, v9, v9
	v_fmac_f32_e32 v13, v6, v6
	v_fmac_f32_e32 v13, v7, v7
	;; [unrolled: 1-line block ×4, first 2 shown]
	s_nop 1
	v_mov_b32_dpp v15, v13 quad_perm:[1,0,3,2] row_mask:0xf bank_mask:0xf
	v_add_f32_e32 v13, v13, v15
	s_nop 1
	v_mov_b32_dpp v15, v13 quad_perm:[2,3,0,1] row_mask:0xf bank_mask:0xf
	v_add_f32_e32 v13, v13, v15
	s_nop 1
	v_mov_b32_dpp v15, v13 row_half_mirror row_mask:0xf bank_mask:0xf
	v_add_f32_e32 v13, v13, v15
	s_nop 1
	v_mov_b32_dpp v15, v13 row_mirror row_mask:0xf bank_mask:0xf
	v_add_f32_e32 v13, v13, v15
	s_nop 1
	v_mov_b32_dpp v15, v13 row_bcast:15 row_mask:0xf bank_mask:0xf
	v_add_f32_e32 v13, v13, v15
	s_nop 1
	v_mov_b32_dpp v15, v13 row_bcast:31 row_mask:0xf bank_mask:0xf
	v_add_f32_e32 v13, v13, v15
	ds_bpermute_b32 v13, v14, v13
	s_and_saveexec_b64 s[0:1], vcc
	s_cbranch_execz .LBB120_15
; %bb.33:
	v_cvt_f32_u32_e32 v14, s20
	s_mov_b32 s27, 0x20000
	s_waitcnt lgkmcnt(0)
	v_div_scale_f32 v15, s[0:1], v14, v14, v13
	v_rcp_f32_e32 v16, v15
	v_div_scale_f32 v17, vcc, v13, v14, v13
	s_mov_b32 s0, 0x800000
	v_fma_f32 v18, -v15, v16, 1.0
	v_fmac_f32_e32 v16, v18, v16
	v_mul_f32_e32 v18, v17, v16
	v_fma_f32 v19, -v15, v18, v17
	v_fmac_f32_e32 v18, v19, v16
	v_fma_f32 v15, -v15, v18, v17
	v_div_fmas_f32 v15, v15, v16, v18
	v_div_fixup_f32 v13, v15, v14, v13
	v_add_f32_e32 v13, s17, v13
	v_mul_f32_e32 v14, 0x4b800000, v13
	v_cmp_gt_f32_e32 vcc, s0, v13
	v_cndmask_b32_e32 v13, v13, v14, vcc
	v_rsq_f32_e32 v13, v13
	s_mul_hi_i32 s1, s12, s6
	s_mul_i32 s0, s12, s6
	s_lshl_b64 s[0:1], s[0:1], 1
	v_mul_f32_e32 v14, 0x45800000, v13
	v_cndmask_b32_e32 v14, v13, v14, vcc
	s_add_u32 s24, s14, s0
	v_mov_b32_e32 v15, v14
	s_addc_u32 s0, s15, s1
	;;#ASMSTART
	v_pk_mul_f32 v[10:11], v[10:11], v[14:15]
	;;#ASMEND
	;;#ASMSTART
	v_pk_mul_f32 v[8:9], v[8:9], v[14:15]
	;;#ASMEND
	;;#ASMSTART
	v_pk_mul_f32 v[6:7], v[6:7], v[14:15]
	;;#ASMEND
	;;#ASMSTART
	v_pk_mul_f32 v[4:5], v[4:5], v[14:15]
	;;#ASMEND
	s_waitcnt vmcnt(0)
	v_cvt_f32_u32_sdwa v15, v0 dst_sel:DWORD dst_unused:UNUSED_PAD src0_sel:WORD_1
	v_cvt_f32_u32_sdwa v14, v0 dst_sel:DWORD dst_unused:UNUSED_PAD src0_sel:WORD_0
	v_cvt_f32_u32_sdwa v17, v1 dst_sel:DWORD dst_unused:UNUSED_PAD src0_sel:WORD_1
	v_cvt_f32_u32_sdwa v16, v1 dst_sel:DWORD dst_unused:UNUSED_PAD src0_sel:WORD_0
	;; [unrolled: 2-line block ×4, first 2 shown]
	;;#ASMSTART
	v_pk_mul_f32 v[2:3], v[10:11], v[14:15]
	;;#ASMEND
	s_and_b32 s25, s0, 0xffff
	s_mov_b32 s0, 0x7060302
	;;#ASMSTART
	v_pk_mul_f32 v[8:9], v[8:9], v[16:17]
	;;#ASMEND
	;;#ASMSTART
	v_pk_mul_f32 v[6:7], v[6:7], v[0:1]
	;;#ASMEND
	;; [unrolled: 3-line block ×3, first 2 shown]
	v_perm_b32 v0, v3, v2, s0
	v_perm_b32 v1, v9, v8, s0
	;; [unrolled: 1-line block ×4, first 2 shown]
	buffer_store_dwordx4 v[0:3], v12, s[24:27], 0 offen
	;;#ASMSTART
	s_nop 0
	;;#ASMEND
	s_endpgm
	.section	.rodata,"a",@progbits
	.p2align	6, 0x0
	.amdhsa_kernel _ZN5aiter35fused_qk_rmsnorm_group_quant_kernelItN4opus5fp4_tELi64ELi8ELi16ELb1ELb1ELb0ELb0ELb0ELb0EEEvPT0_PvPT_S7_S7_PKS6_S9_S9_S9_S9_ffiiiiiiiiiiiii
		.amdhsa_group_segment_fixed_size 0
		.amdhsa_private_segment_fixed_size 0
		.amdhsa_kernarg_size 400
		.amdhsa_user_sgpr_count 6
		.amdhsa_user_sgpr_private_segment_buffer 1
		.amdhsa_user_sgpr_dispatch_ptr 0
		.amdhsa_user_sgpr_queue_ptr 0
		.amdhsa_user_sgpr_kernarg_segment_ptr 1
		.amdhsa_user_sgpr_dispatch_id 0
		.amdhsa_user_sgpr_flat_scratch_init 0
		.amdhsa_user_sgpr_kernarg_preload_length 0
		.amdhsa_user_sgpr_kernarg_preload_offset 0
		.amdhsa_user_sgpr_private_segment_size 0
		.amdhsa_uses_dynamic_stack 0
		.amdhsa_system_sgpr_private_segment_wavefront_offset 0
		.amdhsa_system_sgpr_workgroup_id_x 1
		.amdhsa_system_sgpr_workgroup_id_y 1
		.amdhsa_system_sgpr_workgroup_id_z 0
		.amdhsa_system_sgpr_workgroup_info 0
		.amdhsa_system_vgpr_workitem_id 0
		.amdhsa_next_free_vgpr 27
		.amdhsa_next_free_sgpr 44
		.amdhsa_accum_offset 28
		.amdhsa_reserve_vcc 1
		.amdhsa_reserve_flat_scratch 0
		.amdhsa_float_round_mode_32 0
		.amdhsa_float_round_mode_16_64 0
		.amdhsa_float_denorm_mode_32 3
		.amdhsa_float_denorm_mode_16_64 3
		.amdhsa_dx10_clamp 1
		.amdhsa_ieee_mode 1
		.amdhsa_fp16_overflow 0
		.amdhsa_tg_split 0
		.amdhsa_exception_fp_ieee_invalid_op 0
		.amdhsa_exception_fp_denorm_src 0
		.amdhsa_exception_fp_ieee_div_zero 0
		.amdhsa_exception_fp_ieee_overflow 0
		.amdhsa_exception_fp_ieee_underflow 0
		.amdhsa_exception_fp_ieee_inexact 0
		.amdhsa_exception_int_div_zero 0
	.end_amdhsa_kernel
	.section	.text._ZN5aiter35fused_qk_rmsnorm_group_quant_kernelItN4opus5fp4_tELi64ELi8ELi16ELb1ELb1ELb0ELb0ELb0ELb0EEEvPT0_PvPT_S7_S7_PKS6_S9_S9_S9_S9_ffiiiiiiiiiiiii,"axG",@progbits,_ZN5aiter35fused_qk_rmsnorm_group_quant_kernelItN4opus5fp4_tELi64ELi8ELi16ELb1ELb1ELb0ELb0ELb0ELb0EEEvPT0_PvPT_S7_S7_PKS6_S9_S9_S9_S9_ffiiiiiiiiiiiii,comdat
.Lfunc_end120:
	.size	_ZN5aiter35fused_qk_rmsnorm_group_quant_kernelItN4opus5fp4_tELi64ELi8ELi16ELb1ELb1ELb0ELb0ELb0ELb0EEEvPT0_PvPT_S7_S7_PKS6_S9_S9_S9_S9_ffiiiiiiiiiiiii, .Lfunc_end120-_ZN5aiter35fused_qk_rmsnorm_group_quant_kernelItN4opus5fp4_tELi64ELi8ELi16ELb1ELb1ELb0ELb0ELb0ELb0EEEvPT0_PvPT_S7_S7_PKS6_S9_S9_S9_S9_ffiiiiiiiiiiiii
                                        ; -- End function
	.section	.AMDGPU.csdata,"",@progbits
; Kernel info:
; codeLenInByte = 2752
; NumSgprs: 48
; NumVgprs: 27
; NumAgprs: 0
; TotalNumVgprs: 27
; ScratchSize: 0
; MemoryBound: 0
; FloatMode: 240
; IeeeMode: 1
; LDSByteSize: 0 bytes/workgroup (compile time only)
; SGPRBlocks: 5
; VGPRBlocks: 3
; NumSGPRsForWavesPerEU: 48
; NumVGPRsForWavesPerEU: 27
; AccumOffset: 28
; Occupancy: 8
; WaveLimiterHint : 0
; COMPUTE_PGM_RSRC2:SCRATCH_EN: 0
; COMPUTE_PGM_RSRC2:USER_SGPR: 6
; COMPUTE_PGM_RSRC2:TRAP_HANDLER: 0
; COMPUTE_PGM_RSRC2:TGID_X_EN: 1
; COMPUTE_PGM_RSRC2:TGID_Y_EN: 1
; COMPUTE_PGM_RSRC2:TGID_Z_EN: 0
; COMPUTE_PGM_RSRC2:TIDIG_COMP_CNT: 0
; COMPUTE_PGM_RSRC3_GFX90A:ACCUM_OFFSET: 6
; COMPUTE_PGM_RSRC3_GFX90A:TG_SPLIT: 0
	.section	.text._ZN5aiter35fused_qk_rmsnorm_group_quant_kernelIDF16_DB8_Li64ELi8ELi16ELb1ELb0ELb1ELb0ELb0ELb0EEEvPT0_PvPT_S6_S6_PKS5_S8_S8_S8_S8_ffiiiiiiiiiiiii,"axG",@progbits,_ZN5aiter35fused_qk_rmsnorm_group_quant_kernelIDF16_DB8_Li64ELi8ELi16ELb1ELb0ELb1ELb0ELb0ELb0EEEvPT0_PvPT_S6_S6_PKS5_S8_S8_S8_S8_ffiiiiiiiiiiiii,comdat
	.protected	_ZN5aiter35fused_qk_rmsnorm_group_quant_kernelIDF16_DB8_Li64ELi8ELi16ELb1ELb0ELb1ELb0ELb0ELb0EEEvPT0_PvPT_S6_S6_PKS5_S8_S8_S8_S8_ffiiiiiiiiiiiii ; -- Begin function _ZN5aiter35fused_qk_rmsnorm_group_quant_kernelIDF16_DB8_Li64ELi8ELi16ELb1ELb0ELb1ELb0ELb0ELb0EEEvPT0_PvPT_S6_S6_PKS5_S8_S8_S8_S8_ffiiiiiiiiiiiii
	.globl	_ZN5aiter35fused_qk_rmsnorm_group_quant_kernelIDF16_DB8_Li64ELi8ELi16ELb1ELb0ELb1ELb0ELb0ELb0EEEvPT0_PvPT_S6_S6_PKS5_S8_S8_S8_S8_ffiiiiiiiiiiiii
	.p2align	8
	.type	_ZN5aiter35fused_qk_rmsnorm_group_quant_kernelIDF16_DB8_Li64ELi8ELi16ELb1ELb0ELb1ELb0ELb0ELb0EEEvPT0_PvPT_S6_S6_PKS5_S8_S8_S8_S8_ffiiiiiiiiiiiii,@function
_ZN5aiter35fused_qk_rmsnorm_group_quant_kernelIDF16_DB8_Li64ELi8ELi16ELb1ELb0ELb1ELb0ELb0ELb0EEEvPT0_PvPT_S6_S6_PKS5_S8_S8_S8_S8_ffiiiiiiiiiiiii: ; @_ZN5aiter35fused_qk_rmsnorm_group_quant_kernelIDF16_DB8_Li64ELi8ELi16ELb1ELb0ELb1ELb0ELb0ELb0EEEvPT0_PvPT_S6_S6_PKS5_S8_S8_S8_S8_ffiiiiiiiiiiiii
; %bb.0:
	s_load_dwordx8 s[8:15], s[4:5], 0x50
	s_waitcnt lgkmcnt(0)
	s_cmp_ge_i32 s6, s10
	s_cbranch_scc1 .LBB121_15
; %bb.1:
	s_cmp_lg_u32 s7, 0
	s_cselect_b64 s[2:3], -1, 0
	s_cmp_eq_u32 s7, 0
	s_cselect_b64 s[24:25], -1, 0
	s_and_b64 s[0:1], s[24:25], exec
	s_load_dwordx2 s[16:17], s[4:5], 0x48
	s_load_dwordx2 s[30:31], s[4:5], 0x30
	s_load_dwordx4 s[20:23], s[4:5], 0x70
	s_cselect_b32 s7, s11, s12
	s_add_i32 s0, s7, 1
	s_lshr_b32 s1, s0, 31
	s_add_i32 s0, s0, s1
	s_lshl_b32 s0, s0, 1
	v_lshlrev_b32_e32 v1, 3, v0
	s_and_b32 s26, s0, -4
	v_cmp_gt_i32_e64 s[0:1], s7, v1
	v_mov_b32_e32 v20, 0
	v_mov_b32_e32 v21, 0
	;; [unrolled: 1-line block ×8, first 2 shown]
	s_and_saveexec_b64 s[18:19], s[0:1]
	s_cbranch_execz .LBB121_3
; %bb.2:
	s_load_dwordx2 s[28:29], s[4:5], 0x28
	s_load_dwordx2 s[34:35], s[4:5], 0x40
	s_and_b64 s[36:37], s[24:25], exec
	s_cselect_b32 s10, s13, s14
	s_mov_b32 s27, 0x20000
	s_waitcnt lgkmcnt(0)
	s_cselect_b32 s13, s29, s31
	s_cselect_b32 s23, s28, s30
	s_mul_hi_i32 s29, s10, s6
	s_mul_i32 s28, s10, s6
	s_lshl_b64 s[28:29], s[28:29], 1
	s_add_u32 s36, s23, s28
	s_addc_u32 s10, s13, s29
	s_and_b64 s[24:25], s[24:25], exec
	s_cselect_b32 s24, s34, s16
	s_cselect_b32 s13, s35, s17
	v_lshlrev_b32_e32 v2, 4, v0
	s_and_b32 s37, s10, 0xffff
	s_mov_b32 s38, s26
	s_mov_b32 s39, s27
	s_and_b32 s25, s13, 0xffff
	buffer_load_dwordx4 v[24:27], v2, s[36:39], 0 offen glc slc
	buffer_load_dwordx4 v[20:23], v2, s[24:27], 0 offen
.LBB121_3:
	s_or_b64 exec, exec, s[18:19]
	s_load_dwordx2 s[28:29], s[4:5], 0x80
	s_and_b64 vcc, exec, s[2:3]
	s_cbranch_vccz .LBB121_7
; %bb.4:
	v_mov_b32_e32 v29, 0
	v_mov_b32_e32 v28, 0
	v_mov_b32_e32 v7, 0
	v_mov_b32_e32 v6, 0
	v_mov_b32_e32 v15, 0
	v_mov_b32_e32 v14, 0
	v_mov_b32_e32 v11, 0
	v_mov_b32_e32 v10, 0
	s_and_saveexec_b64 s[18:19], s[0:1]
	s_cbranch_execz .LBB121_6
; %bb.5:
	s_waitcnt vmcnt(1)
	v_cvt_f32_f16_sdwa v11, v24 dst_sel:DWORD dst_unused:UNUSED_PAD src0_sel:WORD_1
	v_cvt_f32_f16_e32 v10, v24
	v_cvt_f32_f16_sdwa v15, v25 dst_sel:DWORD dst_unused:UNUSED_PAD src0_sel:WORD_1
	v_cvt_f32_f16_e32 v14, v25
	;; [unrolled: 2-line block ×4, first 2 shown]
.LBB121_6:
	s_or_b64 exec, exec, s[18:19]
	s_mov_b32 s10, s9
	s_cbranch_execz .LBB121_8
	s_branch .LBB121_11
.LBB121_7:
                                        ; implicit-def: $vgpr10_vgpr11_vgpr12_vgpr13_vgpr14_vgpr15_vgpr16_vgpr17
                                        ; implicit-def: $vgpr29
                                        ; implicit-def: $vgpr12_vgpr13_vgpr14_vgpr15_vgpr16_vgpr17_vgpr18_vgpr19
                                        ; implicit-def: $vgpr2_vgpr3_vgpr4_vgpr5_vgpr6_vgpr7_vgpr8_vgpr9
	s_mov_b32 s10, s9
.LBB121_8:
	v_mov_b32_e32 v29, 0
	v_mov_b32_e32 v28, 0
	;; [unrolled: 1-line block ×8, first 2 shown]
	s_and_saveexec_b64 s[18:19], s[0:1]
	s_cbranch_execz .LBB121_10
; %bb.9:
	s_load_dwordx2 s[24:25], s[4:5], 0x38
	s_mul_hi_i32 s35, s15, s6
	s_mul_i32 s34, s15, s6
	s_lshl_b64 s[34:35], s[34:35], 1
	s_mov_b32 s27, 0x20000
	s_waitcnt lgkmcnt(0)
	s_add_u32 s24, s24, s34
	s_addc_u32 s10, s25, s35
	s_and_b32 s25, s10, 0xffff
	v_lshlrev_b32_e32 v30, 4, v0
	buffer_load_dwordx4 v[2:5], v30, s[24:27], 0 offen glc slc
	s_waitcnt vmcnt(2)
	v_cvt_f32_f16_sdwa v7, v24 dst_sel:DWORD dst_unused:UNUSED_PAD src0_sel:WORD_1
	v_cvt_f32_f16_e32 v6, v24
	v_cvt_f32_f16_sdwa v9, v25 dst_sel:DWORD dst_unused:UNUSED_PAD src0_sel:WORD_1
	v_cvt_f32_f16_e32 v8, v25
	;; [unrolled: 2-line block ×4, first 2 shown]
	s_load_dwordx2 s[24:25], s[4:5], 0x20
	s_mul_hi_i32 s35, s29, s6
	s_mul_i32 s34, s29, s6
	s_lshl_b64 s[34:35], s[34:35], 1
	s_waitcnt lgkmcnt(0)
	s_add_u32 s24, s24, s34
	s_addc_u32 s10, s25, s35
	s_and_b32 s25, s10, 0xffff
	s_waitcnt vmcnt(0)
	v_cvt_f32_f16_e32 v10, v2
	v_cvt_f32_f16_sdwa v11, v2 dst_sel:DWORD dst_unused:UNUSED_PAD src0_sel:WORD_1
	v_cvt_f32_f16_e32 v2, v3
	v_cvt_f32_f16_sdwa v3, v3 dst_sel:DWORD dst_unused:UNUSED_PAD src0_sel:WORD_1
	v_cvt_f32_f16_e32 v18, v4
	v_cvt_f32_f16_sdwa v19, v4 dst_sel:DWORD dst_unused:UNUSED_PAD src0_sel:WORD_1
	v_cvt_f32_f16_e32 v4, v5
	v_cvt_f32_f16_sdwa v5, v5 dst_sel:DWORD dst_unused:UNUSED_PAD src0_sel:WORD_1
	v_pk_add_f32 v[10:11], v[6:7], v[10:11]
	v_pk_add_f32 v[14:15], v[8:9], v[2:3]
	v_pk_add_f32 v[6:7], v[12:13], v[18:19]
	v_pk_add_f32 v[28:29], v[16:17], v[4:5]
	v_cvt_f16_f32_e32 v2, v11
	v_cvt_f16_f32_e32 v3, v15
	;; [unrolled: 1-line block ×8, first 2 shown]
	v_pack_b32_f16 v5, v8, v5
	v_pack_b32_f16 v4, v9, v4
	;; [unrolled: 1-line block ×4, first 2 shown]
	buffer_store_dwordx4 v[2:5], v30, s[24:27], 0 offen glc slc
	;;#ASMSTART
	s_nop 0
	;;#ASMEND
.LBB121_10:
	s_or_b64 exec, exec, s[18:19]
	s_mov_b32 s10, s8
.LBB121_11:
	v_mul_f32_e32 v2, v11, v11
	v_fmac_f32_e32 v2, v10, v10
	v_fmac_f32_e32 v2, v14, v14
	v_fmac_f32_e32 v2, v15, v15
	v_fmac_f32_e32 v2, v6, v6
	v_fmac_f32_e32 v2, v7, v7
	v_fmac_f32_e32 v2, v28, v28
	v_fmac_f32_e32 v2, v29, v29
	v_bfrev_b32_e32 v4, 0.5
	s_load_dwordx2 s[34:35], s[4:5], 0x18
	v_mov_b32_dpp v3, v2 quad_perm:[1,0,3,2] row_mask:0xf bank_mask:0xf
	v_add_f32_e32 v2, v2, v3
	s_nop 1
	v_mov_b32_dpp v3, v2 quad_perm:[2,3,0,1] row_mask:0xf bank_mask:0xf
	v_add_f32_e32 v2, v2, v3
	s_nop 1
	v_mov_b32_dpp v3, v2 row_half_mirror row_mask:0xf bank_mask:0xf
	v_add_f32_e32 v2, v2, v3
	s_nop 1
	v_mov_b32_dpp v3, v2 row_mirror row_mask:0xf bank_mask:0xf
	v_add_f32_e32 v2, v2, v3
	s_nop 1
	v_mov_b32_dpp v3, v2 row_bcast:15 row_mask:0xf bank_mask:0xf
	v_add_f32_e32 v2, v2, v3
	s_nop 1
	v_mov_b32_dpp v3, v2 row_bcast:31 row_mask:0xf bank_mask:0xf
	v_add_f32_e32 v2, v2, v3
	v_mbcnt_lo_u32_b32 v3, -1, 0
	v_mbcnt_hi_u32_b32 v3, -1, v3
	v_lshl_or_b32 v16, v3, 2, v4
	ds_bpermute_b32 v2, v16, v2
	s_and_saveexec_b64 s[18:19], s[0:1]
	s_cbranch_execnz .LBB121_16
; %bb.12:
	s_or_b64 exec, exec, s[18:19]
	s_mov_b64 s[18:19], -1
	s_and_b64 vcc, exec, s[2:3]
	s_cbranch_vccnz .LBB121_17
.LBB121_13:
	s_andn2_b64 vcc, exec, s[18:19]
	s_cbranch_vccz .LBB121_20
.LBB121_14:
	s_cmp_lt_i32 s12, 1
	s_cbranch_scc0 .LBB121_27
.LBB121_15:
	s_endpgm
.LBB121_16:
	v_cvt_f32_u32_e32 v3, s7
	s_mov_b32 s7, 0x800000
	s_waitcnt vmcnt(0)
	v_cvt_f32_f16_sdwa v19, v23 dst_sel:DWORD dst_unused:UNUSED_PAD src0_sel:WORD_1
	v_cvt_f32_f16_e32 v18, v23
	s_waitcnt lgkmcnt(0)
	v_div_scale_f32 v4, s[24:25], v3, v3, v2
	v_rcp_f32_e32 v5, v4
	v_div_scale_f32 v8, vcc, v2, v3, v2
	v_fma_f32 v9, -v4, v5, 1.0
	v_fmac_f32_e32 v5, v9, v5
	v_mul_f32_e32 v9, v8, v5
	v_fma_f32 v12, -v4, v9, v8
	v_fmac_f32_e32 v9, v12, v5
	v_fma_f32 v4, -v4, v9, v8
	v_div_fmas_f32 v4, v4, v5, v9
	v_div_fixup_f32 v2, v4, v3, v2
	v_add_f32_e32 v2, s10, v2
	v_mul_f32_e32 v3, 0x4b800000, v2
	v_cmp_gt_f32_e32 vcc, s7, v2
	v_cndmask_b32_e32 v2, v2, v3, vcc
	v_rsq_f32_e32 v2, v2
	v_cvt_f32_f16_sdwa v3, v20 dst_sel:DWORD dst_unused:UNUSED_PAD src0_sel:WORD_1
	v_mul_f32_e32 v4, 0x45800000, v2
	v_cndmask_b32_e32 v4, v2, v4, vcc
	v_cvt_f32_f16_e32 v2, v20
	v_mov_b32_e32 v5, v4
	;;#ASMSTART
	v_pk_mul_f32 v[8:9], v[10:11], v[4:5]
	;;#ASMEND
	;;#ASMSTART
	v_pk_mul_f32 v[12:13], v[14:15], v[4:5]
	;;#ASMEND
	v_cvt_f32_f16_sdwa v15, v21 dst_sel:DWORD dst_unused:UNUSED_PAD src0_sel:WORD_1
	v_cvt_f32_f16_e32 v14, v21
	;;#ASMSTART
	v_pk_mul_f32 v[6:7], v[6:7], v[4:5]
	;;#ASMEND
	;;#ASMSTART
	v_pk_mul_f32 v[4:5], v[28:29], v[4:5]
	;;#ASMEND
	v_pk_add_f32 v[2:3], v[2:3], 1.0 op_sel_hi:[1,0]
	;;#ASMSTART
	v_pk_mul_f32 v[10:11], v[8:9], v[2:3]
	;;#ASMEND
	v_cvt_f32_f16_sdwa v9, v22 dst_sel:DWORD dst_unused:UNUSED_PAD src0_sel:WORD_1
	v_cvt_f32_f16_e32 v8, v22
	v_pk_add_f32 v[2:3], v[14:15], 1.0 op_sel_hi:[1,0]
	;;#ASMSTART
	v_pk_mul_f32 v[14:15], v[12:13], v[2:3]
	;;#ASMEND
	v_pk_add_f32 v[2:3], v[8:9], 1.0 op_sel_hi:[1,0]
	;;#ASMSTART
	v_pk_mul_f32 v[6:7], v[6:7], v[2:3]
	;;#ASMEND
	;; [unrolled: 4-line block ×3, first 2 shown]
	s_or_b64 exec, exec, s[18:19]
	s_mov_b64 s[18:19], -1
	s_and_b64 vcc, exec, s[2:3]
	s_cbranch_vccz .LBB121_13
.LBB121_17:
	s_and_saveexec_b64 s[2:3], s[0:1]
	s_cbranch_execz .LBB121_19
; %bb.18:
	s_waitcnt lgkmcnt(0)
	s_mul_hi_i32 s19, s28, s6
	s_mul_i32 s18, s28, s6
	v_cvt_f16_f32_e32 v2, v10
	v_cvt_f16_f32_e32 v3, v14
	;; [unrolled: 1-line block ×8, first 2 shown]
	s_lshl_b64 s[18:19], s[18:19], 1
	s_add_u32 s24, s34, s18
	s_addc_u32 s7, s35, s19
	s_and_b32 s25, s7, 0xffff
	s_mov_b32 s27, 0x20000
	v_pack_b32_f16 v5, v5, v8
	v_pack_b32_f16 v4, v4, v9
	;; [unrolled: 1-line block ×4, first 2 shown]
	v_lshlrev_b32_e32 v8, 4, v0
	buffer_store_dwordx4 v[2:5], v8, s[24:27], 0 offen
	;;#ASMSTART
	s_nop 0
	;;#ASMEND
.LBB121_19:
	s_or_b64 exec, exec, s[2:3]
	s_cbranch_execnz .LBB121_14
.LBB121_20:
	s_waitcnt lgkmcnt(0)
	v_mov_b32_e32 v2, 0
	s_and_saveexec_b64 s[2:3], s[0:1]
	s_cbranch_execz .LBB121_22
; %bb.21:
	v_and_b32_e32 v2, 0x7fffffff, v10
	v_and_b32_e32 v3, 0x7fffffff, v11
	v_mov_b32_e32 v4, 0x2edbe6ff
	;;#ASMSTART
	v_max3_f32 v2, v4, v2, v3

	;;#ASMEND
	v_and_b32_e32 v3, 0x7fffffff, v14
	v_and_b32_e32 v4, 0x7fffffff, v15
	;;#ASMSTART
	v_max3_f32 v2, v2, v3, v4

	;;#ASMEND
	v_and_b32_e32 v3, 0x7fffffff, v6
	v_and_b32_e32 v4, 0x7fffffff, v7
	;; [unrolled: 6-line block ×3, first 2 shown]
	;;#ASMSTART
	v_max3_f32 v2, v2, v3, v4

	;;#ASMEND
.LBB121_22:
	s_or_b64 exec, exec, s[2:3]
	;;#ASMSTART
	v_max_f32 v3, v2, v2 quad_perm:[1,0,3,2] row_mask:0xf bank_mask:0xf bound_ctrl:1
	;;#ASMEND
	;;#ASMSTART
	v_max_f32 v2, v3, v3 quad_perm:[2,3,0,1] row_mask:0xf bank_mask:0xf bound_ctrl:1
	;;#ASMEND
	;;#ASMSTART
	v_max_f32 v3, v2, v2 row_half_mirror row_mask:0xf bank_mask:0xf bound_ctrl:1
	;;#ASMEND
	;;#ASMSTART
	v_max_f32 v2, v3, v3 row_mirror row_mask:0xf bank_mask:0xf bound_ctrl:1
	;;#ASMEND
	v_and_b32_e32 v3, 15, v0
	v_cmp_eq_u32_e32 vcc, 0, v3
	v_cmp_gt_i32_e64 s[2:3], s11, v1
	v_mul_f32_e32 v2, 0x3b124925, v2
	s_and_b64 s[18:19], vcc, s[2:3]
	s_and_saveexec_b64 s[2:3], s[18:19]
	s_cbranch_execz .LBB121_24
; %bb.23:
	s_load_dwordx2 s[18:19], s[4:5], 0x8
	v_lshrrev_b32_e32 v3, 4, v0
	s_mul_hi_i32 s25, s21, s6
	s_mul_i32 s24, s21, s6
	v_mad_i64_i32 v[4:5], s[22:23], s22, v3, 0
	s_lshl_b64 s[22:23], s[24:25], 2
	s_waitcnt lgkmcnt(0)
	s_add_u32 s7, s18, s22
	s_addc_u32 s8, s19, s23
	v_lshlrev_b64 v[4:5], 2, v[4:5]
	v_mov_b32_e32 v3, s8
	v_add_co_u32_e32 v4, vcc, s7, v4
	v_addc_co_u32_e32 v5, vcc, v3, v5, vcc
	global_store_dword v[4:5], v2, off
.LBB121_24:
	s_or_b64 exec, exec, s[2:3]
	;;#ASMSTART
	v_rcp_f32 v2, v2
	;;#ASMEND
	s_and_saveexec_b64 s[18:19], s[0:1]
	s_cbranch_execz .LBB121_26
; %bb.25:
	v_mov_b32_e32 v3, v2
	;;#ASMSTART
	v_pk_mul_f32 v[4:5], v[10:11], v[2:3]
	;;#ASMEND
	s_load_dwordx2 s[0:1], s[4:5], 0x0
	v_mov_b32_e32 v8, 0xc3e00000
	v_mov_b32_e32 v9, 0x43e00000
	;;#ASMSTART
	v_med3_f32 v4, v4, v8, v9
v_med3_f32 v5, v5, v8, v9
v_cvt_pk_fp8_f32 v10, v4, v5
	;;#ASMEND
	;;#ASMSTART
	v_pk_mul_f32 v[4:5], v[14:15], v[2:3]
	;;#ASMEND
	;;#ASMSTART
	v_med3_f32 v4, v4, v8, v9
v_med3_f32 v5, v5, v8, v9
v_cvt_pk_fp8_f32 v11, v4, v5
	;;#ASMEND
	s_mov_b32 s8, 0x5040100
	v_perm_b32 v5, v11, v10, s8
	s_movk_i32 s8, 0xff
	s_mul_i32 s3, s20, s6
	v_and_b32_e32 v4, 0xffffff00, v11
	v_and_b32_sdwa v10, v5, s8 dst_sel:DWORD dst_unused:UNUSED_PAD src0_sel:WORD_1 src1_sel:DWORD
	s_mul_hi_i32 s2, s20, s6
	s_mov_b32 s7, 0xffff
	s_waitcnt lgkmcnt(0)
	s_add_u32 s0, s0, s3
	v_or_b32_sdwa v4, v10, v4 dst_sel:WORD_1 dst_unused:UNUSED_PAD src0_sel:DWORD src1_sel:DWORD
	s_addc_u32 s1, s1, s2
	s_add_i32 s2, s11, 3
	v_and_or_b32 v4, v5, s7, v4
	;;#ASMSTART
	v_pk_mul_f32 v[6:7], v[6:7], v[2:3]
	;;#ASMEND
	v_mov_b32_e32 v5, v7
	s_ashr_i32 s3, s2, 31
	;;#ASMSTART
	v_med3_f32 v6, v6, v8, v9
v_med3_f32 v5, v5, v8, v9
v_cvt_pk_fp8_f32 v7, v6, v5
	;;#ASMEND
	;;#ASMSTART
	v_pk_mul_f32 v[2:3], v[28:29], v[2:3]
	;;#ASMEND
	s_lshr_b32 s3, s3, 30
	;;#ASMSTART
	v_med3_f32 v2, v2, v8, v9
v_med3_f32 v3, v3, v8, v9
v_cvt_pk_fp8_f32 v5, v2, v3
	;;#ASMEND
	s_add_i32 s2, s2, s3
	v_lshlrev_b32_e32 v2, 16, v5
	s_and_b32 s2, s2, -4
	s_and_b32 s1, s1, 0xffff
	s_mov_b32 s3, 0x20000
	v_and_or_b32 v5, v7, s7, v2
	buffer_store_dwordx2 v[4:5], v1, s[0:3], 0 offen
	;;#ASMSTART
	s_nop 0
	;;#ASMEND
.LBB121_26:
	s_or_b64 exec, exec, s[18:19]
	s_cmp_lt_i32 s12, 1
	s_cbranch_scc1 .LBB121_15
.LBB121_27:
	s_load_dword s0, s[4:5], 0x94
	s_waitcnt lgkmcnt(0)
	s_cmp_lg_u32 s0, 1
	s_cbranch_scc1 .LBB121_15
; %bb.28:
	s_lshl_b32 s0, s12, 1
	s_add_i32 s0, s0, 2
	v_cmp_gt_u32_e32 vcc, s12, v1
	s_and_b32 s18, s0, -4
	v_mov_b32_e32 v8, 0
	v_lshlrev_b32_e32 v17, 4, v0
	v_mov_b32_e32 v4, 0
	v_mov_b32_e32 v5, 0
	;; [unrolled: 1-line block ×8, first 2 shown]
	s_barrier
	s_and_saveexec_b64 s[0:1], vcc
	s_cbranch_execz .LBB121_30
; %bb.29:
	s_mul_hi_i32 s3, s14, s6
	s_mul_i32 s2, s14, s6
	s_and_b32 s17, s17, 0xffff
	s_lshl_b64 s[2:3], s[2:3], 1
	s_add_u32 s20, s30, s2
	s_mov_b32 s19, 0x20000
	s_addc_u32 s2, s31, s3
	s_and_b32 s21, s2, 0xffff
	s_mov_b32 s22, s18
	s_mov_b32 s23, s19
	buffer_load_dwordx4 v[4:7], v17, s[20:23], 0 offen glc slc
	buffer_load_dwordx4 v[0:3], v17, s[16:19], 0 offen
.LBB121_30:
	s_or_b64 exec, exec, s[0:1]
	v_mov_b32_e32 v9, 0
	v_mov_b32_e32 v12, 0
	;; [unrolled: 1-line block ×7, first 2 shown]
	s_and_saveexec_b64 s[0:1], vcc
	s_cbranch_execz .LBB121_32
; %bb.31:
	s_waitcnt vmcnt(1)
	v_cvt_f32_f16_sdwa v9, v4 dst_sel:DWORD dst_unused:UNUSED_PAD src0_sel:WORD_1
	v_cvt_f32_f16_e32 v8, v4
	v_cvt_f32_f16_sdwa v13, v5 dst_sel:DWORD dst_unused:UNUSED_PAD src0_sel:WORD_1
	v_cvt_f32_f16_e32 v12, v5
	;; [unrolled: 2-line block ×4, first 2 shown]
.LBB121_32:
	s_or_b64 exec, exec, s[0:1]
	s_waitcnt vmcnt(1)
	v_mul_f32_e32 v4, v9, v9
	v_fmac_f32_e32 v4, v8, v8
	v_fmac_f32_e32 v4, v12, v12
	;; [unrolled: 1-line block ×7, first 2 shown]
	s_nop 1
	v_mov_b32_dpp v5, v4 quad_perm:[1,0,3,2] row_mask:0xf bank_mask:0xf
	v_add_f32_e32 v4, v4, v5
	s_nop 1
	v_mov_b32_dpp v5, v4 quad_perm:[2,3,0,1] row_mask:0xf bank_mask:0xf
	v_add_f32_e32 v4, v4, v5
	s_nop 1
	v_mov_b32_dpp v5, v4 row_half_mirror row_mask:0xf bank_mask:0xf
	v_add_f32_e32 v4, v4, v5
	s_nop 1
	v_mov_b32_dpp v5, v4 row_mirror row_mask:0xf bank_mask:0xf
	v_add_f32_e32 v4, v4, v5
	s_nop 1
	v_mov_b32_dpp v5, v4 row_bcast:15 row_mask:0xf bank_mask:0xf
	v_add_f32_e32 v4, v4, v5
	s_nop 1
	v_mov_b32_dpp v5, v4 row_bcast:31 row_mask:0xf bank_mask:0xf
	v_add_f32_e32 v4, v4, v5
	ds_bpermute_b32 v4, v16, v4
	s_and_saveexec_b64 s[0:1], vcc
	s_cbranch_execz .LBB121_15
; %bb.33:
	v_cvt_f32_u32_e32 v5, s12
	s_mov_b32 s19, 0x20000
	s_waitcnt lgkmcnt(0)
	v_div_scale_f32 v6, s[0:1], v5, v5, v4
	v_rcp_f32_e32 v7, v6
	v_div_scale_f32 v16, vcc, v4, v5, v4
	s_mov_b32 s0, 0x800000
	v_fma_f32 v18, -v6, v7, 1.0
	v_fmac_f32_e32 v7, v18, v7
	v_mul_f32_e32 v18, v16, v7
	v_fma_f32 v19, -v6, v18, v16
	v_fmac_f32_e32 v18, v19, v7
	v_fma_f32 v6, -v6, v18, v16
	v_div_fmas_f32 v6, v6, v7, v18
	v_div_fixup_f32 v4, v6, v5, v4
	v_add_f32_e32 v4, s9, v4
	v_mul_f32_e32 v5, 0x4b800000, v4
	v_cmp_gt_f32_e32 vcc, s0, v4
	v_cndmask_b32_e32 v4, v4, v5, vcc
	v_rsq_f32_e32 v4, v4
	s_waitcnt vmcnt(0)
	v_cvt_f32_f16_sdwa v5, v0 dst_sel:DWORD dst_unused:UNUSED_PAD src0_sel:WORD_1
	v_cvt_f32_f16_sdwa v19, v1 dst_sel:DWORD dst_unused:UNUSED_PAD src0_sel:WORD_1
	v_cvt_f32_f16_e32 v18, v1
	v_mul_f32_e32 v6, 0x45800000, v4
	v_cndmask_b32_e32 v6, v4, v6, vcc
	v_cvt_f32_f16_e32 v4, v0
	v_mov_b32_e32 v7, v6
	;;#ASMSTART
	v_pk_mul_f32 v[8:9], v[8:9], v[6:7]
	;;#ASMEND
	;;#ASMSTART
	v_pk_mul_f32 v[12:13], v[12:13], v[6:7]
	;;#ASMEND
	v_pk_add_f32 v[4:5], v[4:5], 1.0 op_sel_hi:[1,0]
	;;#ASMSTART
	v_pk_mul_f32 v[14:15], v[14:15], v[6:7]
	;;#ASMEND
	;;#ASMSTART
	v_pk_mul_f32 v[0:1], v[10:11], v[6:7]
	;;#ASMEND
	;;#ASMSTART
	v_pk_mul_f32 v[4:5], v[8:9], v[4:5]
	;;#ASMEND
	v_cvt_f32_f16_sdwa v9, v2 dst_sel:DWORD dst_unused:UNUSED_PAD src0_sel:WORD_1
	v_cvt_f32_f16_e32 v8, v2
	v_cvt_f32_f16_sdwa v11, v3 dst_sel:DWORD dst_unused:UNUSED_PAD src0_sel:WORD_1
	v_cvt_f32_f16_e32 v10, v3
	v_pk_add_f32 v[6:7], v[18:19], 1.0 op_sel_hi:[1,0]
	;;#ASMSTART
	v_pk_mul_f32 v[2:3], v[12:13], v[6:7]
	;;#ASMEND
	v_pk_add_f32 v[6:7], v[8:9], 1.0 op_sel_hi:[1,0]
	;;#ASMSTART
	v_pk_mul_f32 v[6:7], v[14:15], v[6:7]
	;;#ASMEND
	;; [unrolled: 4-line block ×3, first 2 shown]
	s_mul_hi_i32 s1, s28, s6
	s_mul_i32 s0, s28, s6
	v_cvt_f16_f32_e32 v4, v4
	v_cvt_f16_f32_e32 v5, v5
	;; [unrolled: 1-line block ×8, first 2 shown]
	s_lshl_b64 s[0:1], s[0:1], 1
	s_add_u32 s16, s34, s0
	s_addc_u32 s0, s35, s1
	s_and_b32 s17, s0, 0xffff
	v_pack_b32_f16 v0, v4, v5
	v_pack_b32_f16 v1, v2, v3
	;; [unrolled: 1-line block ×4, first 2 shown]
	buffer_store_dwordx4 v[0:3], v17, s[16:19], 0 offen
	;;#ASMSTART
	s_nop 0
	;;#ASMEND
	s_endpgm
	.section	.rodata,"a",@progbits
	.p2align	6, 0x0
	.amdhsa_kernel _ZN5aiter35fused_qk_rmsnorm_group_quant_kernelIDF16_DB8_Li64ELi8ELi16ELb1ELb0ELb1ELb0ELb0ELb0EEEvPT0_PvPT_S6_S6_PKS5_S8_S8_S8_S8_ffiiiiiiiiiiiii
		.amdhsa_group_segment_fixed_size 0
		.amdhsa_private_segment_fixed_size 0
		.amdhsa_kernarg_size 400
		.amdhsa_user_sgpr_count 6
		.amdhsa_user_sgpr_private_segment_buffer 1
		.amdhsa_user_sgpr_dispatch_ptr 0
		.amdhsa_user_sgpr_queue_ptr 0
		.amdhsa_user_sgpr_kernarg_segment_ptr 1
		.amdhsa_user_sgpr_dispatch_id 0
		.amdhsa_user_sgpr_flat_scratch_init 0
		.amdhsa_user_sgpr_kernarg_preload_length 0
		.amdhsa_user_sgpr_kernarg_preload_offset 0
		.amdhsa_user_sgpr_private_segment_size 0
		.amdhsa_uses_dynamic_stack 0
		.amdhsa_system_sgpr_private_segment_wavefront_offset 0
		.amdhsa_system_sgpr_workgroup_id_x 1
		.amdhsa_system_sgpr_workgroup_id_y 1
		.amdhsa_system_sgpr_workgroup_id_z 0
		.amdhsa_system_sgpr_workgroup_info 0
		.amdhsa_system_vgpr_workitem_id 0
		.amdhsa_next_free_vgpr 31
		.amdhsa_next_free_sgpr 40
		.amdhsa_accum_offset 32
		.amdhsa_reserve_vcc 1
		.amdhsa_reserve_flat_scratch 0
		.amdhsa_float_round_mode_32 0
		.amdhsa_float_round_mode_16_64 0
		.amdhsa_float_denorm_mode_32 3
		.amdhsa_float_denorm_mode_16_64 3
		.amdhsa_dx10_clamp 1
		.amdhsa_ieee_mode 1
		.amdhsa_fp16_overflow 0
		.amdhsa_tg_split 0
		.amdhsa_exception_fp_ieee_invalid_op 0
		.amdhsa_exception_fp_denorm_src 0
		.amdhsa_exception_fp_ieee_div_zero 0
		.amdhsa_exception_fp_ieee_overflow 0
		.amdhsa_exception_fp_ieee_underflow 0
		.amdhsa_exception_fp_ieee_inexact 0
		.amdhsa_exception_int_div_zero 0
	.end_amdhsa_kernel
	.section	.text._ZN5aiter35fused_qk_rmsnorm_group_quant_kernelIDF16_DB8_Li64ELi8ELi16ELb1ELb0ELb1ELb0ELb0ELb0EEEvPT0_PvPT_S6_S6_PKS5_S8_S8_S8_S8_ffiiiiiiiiiiiii,"axG",@progbits,_ZN5aiter35fused_qk_rmsnorm_group_quant_kernelIDF16_DB8_Li64ELi8ELi16ELb1ELb0ELb1ELb0ELb0ELb0EEEvPT0_PvPT_S6_S6_PKS5_S8_S8_S8_S8_ffiiiiiiiiiiiii,comdat
.Lfunc_end121:
	.size	_ZN5aiter35fused_qk_rmsnorm_group_quant_kernelIDF16_DB8_Li64ELi8ELi16ELb1ELb0ELb1ELb0ELb0ELb0EEEvPT0_PvPT_S6_S6_PKS5_S8_S8_S8_S8_ffiiiiiiiiiiiii, .Lfunc_end121-_ZN5aiter35fused_qk_rmsnorm_group_quant_kernelIDF16_DB8_Li64ELi8ELi16ELb1ELb0ELb1ELb0ELb0ELb0EEEvPT0_PvPT_S6_S6_PKS5_S8_S8_S8_S8_ffiiiiiiiiiiiii
                                        ; -- End function
	.section	.AMDGPU.csdata,"",@progbits
; Kernel info:
; codeLenInByte = 2796
; NumSgprs: 44
; NumVgprs: 31
; NumAgprs: 0
; TotalNumVgprs: 31
; ScratchSize: 0
; MemoryBound: 0
; FloatMode: 240
; IeeeMode: 1
; LDSByteSize: 0 bytes/workgroup (compile time only)
; SGPRBlocks: 5
; VGPRBlocks: 3
; NumSGPRsForWavesPerEU: 44
; NumVGPRsForWavesPerEU: 31
; AccumOffset: 32
; Occupancy: 8
; WaveLimiterHint : 0
; COMPUTE_PGM_RSRC2:SCRATCH_EN: 0
; COMPUTE_PGM_RSRC2:USER_SGPR: 6
; COMPUTE_PGM_RSRC2:TRAP_HANDLER: 0
; COMPUTE_PGM_RSRC2:TGID_X_EN: 1
; COMPUTE_PGM_RSRC2:TGID_Y_EN: 1
; COMPUTE_PGM_RSRC2:TGID_Z_EN: 0
; COMPUTE_PGM_RSRC2:TIDIG_COMP_CNT: 0
; COMPUTE_PGM_RSRC3_GFX90A:ACCUM_OFFSET: 7
; COMPUTE_PGM_RSRC3_GFX90A:TG_SPLIT: 0
	.section	.text._ZN5aiter35fused_qk_rmsnorm_group_quant_kernelItDB8_Li64ELi8ELi16ELb1ELb0ELb1ELb0ELb0ELb0EEEvPT0_PvPT_S6_S6_PKS5_S8_S8_S8_S8_ffiiiiiiiiiiiii,"axG",@progbits,_ZN5aiter35fused_qk_rmsnorm_group_quant_kernelItDB8_Li64ELi8ELi16ELb1ELb0ELb1ELb0ELb0ELb0EEEvPT0_PvPT_S6_S6_PKS5_S8_S8_S8_S8_ffiiiiiiiiiiiii,comdat
	.protected	_ZN5aiter35fused_qk_rmsnorm_group_quant_kernelItDB8_Li64ELi8ELi16ELb1ELb0ELb1ELb0ELb0ELb0EEEvPT0_PvPT_S6_S6_PKS5_S8_S8_S8_S8_ffiiiiiiiiiiiii ; -- Begin function _ZN5aiter35fused_qk_rmsnorm_group_quant_kernelItDB8_Li64ELi8ELi16ELb1ELb0ELb1ELb0ELb0ELb0EEEvPT0_PvPT_S6_S6_PKS5_S8_S8_S8_S8_ffiiiiiiiiiiiii
	.globl	_ZN5aiter35fused_qk_rmsnorm_group_quant_kernelItDB8_Li64ELi8ELi16ELb1ELb0ELb1ELb0ELb0ELb0EEEvPT0_PvPT_S6_S6_PKS5_S8_S8_S8_S8_ffiiiiiiiiiiiii
	.p2align	8
	.type	_ZN5aiter35fused_qk_rmsnorm_group_quant_kernelItDB8_Li64ELi8ELi16ELb1ELb0ELb1ELb0ELb0ELb0EEEvPT0_PvPT_S6_S6_PKS5_S8_S8_S8_S8_ffiiiiiiiiiiiii,@function
_ZN5aiter35fused_qk_rmsnorm_group_quant_kernelItDB8_Li64ELi8ELi16ELb1ELb0ELb1ELb0ELb0ELb0EEEvPT0_PvPT_S6_S6_PKS5_S8_S8_S8_S8_ffiiiiiiiiiiiii: ; @_ZN5aiter35fused_qk_rmsnorm_group_quant_kernelItDB8_Li64ELi8ELi16ELb1ELb0ELb1ELb0ELb0ELb0EEEvPT0_PvPT_S6_S6_PKS5_S8_S8_S8_S8_ffiiiiiiiiiiiii
; %bb.0:
	s_load_dwordx8 s[8:15], s[4:5], 0x50
	s_waitcnt lgkmcnt(0)
	s_cmp_ge_i32 s6, s10
	s_cbranch_scc1 .LBB122_15
; %bb.1:
	s_cmp_lg_u32 s7, 0
	s_cselect_b64 s[2:3], -1, 0
	s_cmp_eq_u32 s7, 0
	s_cselect_b64 s[24:25], -1, 0
	s_and_b64 s[0:1], s[24:25], exec
	s_load_dwordx2 s[16:17], s[4:5], 0x48
	s_load_dwordx2 s[30:31], s[4:5], 0x30
	s_load_dwordx4 s[20:23], s[4:5], 0x70
	s_cselect_b32 s7, s11, s12
	s_add_i32 s0, s7, 1
	s_lshr_b32 s1, s0, 31
	s_add_i32 s0, s0, s1
	s_lshl_b32 s0, s0, 1
	v_lshlrev_b32_e32 v1, 3, v0
	s_and_b32 s26, s0, -4
	v_cmp_gt_i32_e64 s[0:1], s7, v1
	v_mov_b32_e32 v10, 0
	v_mov_b32_e32 v11, 0
	;; [unrolled: 1-line block ×8, first 2 shown]
	s_and_saveexec_b64 s[18:19], s[0:1]
	s_cbranch_execz .LBB122_3
; %bb.2:
	s_load_dwordx2 s[28:29], s[4:5], 0x28
	s_load_dwordx2 s[34:35], s[4:5], 0x40
	s_and_b64 s[36:37], s[24:25], exec
	s_cselect_b32 s10, s13, s14
	s_mov_b32 s27, 0x20000
	s_waitcnt lgkmcnt(0)
	s_cselect_b32 s13, s29, s31
	s_cselect_b32 s23, s28, s30
	s_mul_hi_i32 s29, s10, s6
	s_mul_i32 s28, s10, s6
	s_lshl_b64 s[28:29], s[28:29], 1
	s_add_u32 s36, s23, s28
	s_addc_u32 s10, s13, s29
	s_and_b64 s[24:25], s[24:25], exec
	s_cselect_b32 s24, s34, s16
	s_cselect_b32 s13, s35, s17
	v_lshlrev_b32_e32 v2, 4, v0
	s_and_b32 s37, s10, 0xffff
	s_mov_b32 s38, s26
	s_mov_b32 s39, s27
	s_and_b32 s25, s13, 0xffff
	buffer_load_dwordx4 v[14:17], v2, s[36:39], 0 offen glc slc
	buffer_load_dwordx4 v[10:13], v2, s[24:27], 0 offen
.LBB122_3:
	s_or_b64 exec, exec, s[18:19]
	s_load_dwordx2 s[28:29], s[4:5], 0x80
	s_and_b64 vcc, exec, s[2:3]
	s_cbranch_vccz .LBB122_7
; %bb.4:
	s_mov_b32 s36, 0
	s_mov_b32 s37, s36
	;; [unrolled: 1-line block ×8, first 2 shown]
	v_pk_mov_b32 v[2:3], s[36:37], s[36:37] op_sel:[0,1]
	v_pk_mov_b32 v[4:5], s[38:39], s[38:39] op_sel:[0,1]
	;; [unrolled: 1-line block ×4, first 2 shown]
	s_and_saveexec_b64 s[18:19], s[0:1]
	s_cbranch_execz .LBB122_6
; %bb.5:
	s_waitcnt vmcnt(1)
	v_cvt_f32_u32_sdwa v3, v14 dst_sel:DWORD dst_unused:UNUSED_PAD src0_sel:WORD_1
	v_cvt_f32_u32_sdwa v2, v14 dst_sel:DWORD dst_unused:UNUSED_PAD src0_sel:WORD_0
	v_cvt_f32_u32_sdwa v5, v15 dst_sel:DWORD dst_unused:UNUSED_PAD src0_sel:WORD_1
	v_cvt_f32_u32_sdwa v4, v15 dst_sel:DWORD dst_unused:UNUSED_PAD src0_sel:WORD_0
	;; [unrolled: 2-line block ×4, first 2 shown]
.LBB122_6:
	s_or_b64 exec, exec, s[18:19]
	s_mov_b32 s10, s9
	s_cbranch_execz .LBB122_8
	s_branch .LBB122_11
.LBB122_7:
                                        ; implicit-def: $vgpr2_vgpr3_vgpr4_vgpr5_vgpr6_vgpr7_vgpr8_vgpr9
	s_mov_b32 s10, s9
.LBB122_8:
	s_mov_b32 s36, 0
	s_mov_b32 s37, s36
	;; [unrolled: 1-line block ×8, first 2 shown]
	v_pk_mov_b32 v[2:3], s[36:37], s[36:37] op_sel:[0,1]
	v_pk_mov_b32 v[4:5], s[38:39], s[38:39] op_sel:[0,1]
	;; [unrolled: 1-line block ×4, first 2 shown]
	s_and_saveexec_b64 s[18:19], s[0:1]
	s_cbranch_execz .LBB122_10
; %bb.9:
	s_load_dwordx2 s[24:25], s[4:5], 0x38
	s_mul_hi_i32 s35, s15, s6
	s_mul_i32 s34, s15, s6
	s_lshl_b64 s[34:35], s[34:35], 1
	s_mov_b32 s27, 0x20000
	s_waitcnt lgkmcnt(0)
	s_add_u32 s24, s24, s34
	s_addc_u32 s10, s25, s35
	s_and_b32 s25, s10, 0xffff
	v_lshlrev_b32_e32 v26, 4, v0
	buffer_load_dwordx4 v[2:5], v26, s[24:27], 0 offen glc slc
	s_load_dwordx2 s[24:25], s[4:5], 0x20
	s_waitcnt vmcnt(2)
	v_cvt_f32_u32_sdwa v7, v14 dst_sel:DWORD dst_unused:UNUSED_PAD src0_sel:WORD_1
	v_cvt_f32_u32_sdwa v6, v14 dst_sel:DWORD dst_unused:UNUSED_PAD src0_sel:WORD_0
	v_cvt_f32_u32_sdwa v9, v15 dst_sel:DWORD dst_unused:UNUSED_PAD src0_sel:WORD_1
	v_cvt_f32_u32_sdwa v8, v15 dst_sel:DWORD dst_unused:UNUSED_PAD src0_sel:WORD_0
	;; [unrolled: 2-line block ×4, first 2 shown]
	s_mul_hi_i32 s35, s29, s6
	s_mul_i32 s34, s29, s6
	s_lshl_b64 s[34:35], s[34:35], 1
	s_waitcnt lgkmcnt(0)
	s_add_u32 s24, s24, s34
	s_mov_b32 s10, 0x7060302
	s_addc_u32 s13, s25, s35
	s_and_b32 s25, s13, 0xffff
	s_waitcnt vmcnt(0)
	v_cvt_f32_u32_sdwa v17, v2 dst_sel:DWORD dst_unused:UNUSED_PAD src0_sel:WORD_1
	v_cvt_f32_u32_sdwa v16, v2 dst_sel:DWORD dst_unused:UNUSED_PAD src0_sel:WORD_0
	v_cvt_f32_u32_sdwa v21, v3 dst_sel:DWORD dst_unused:UNUSED_PAD src0_sel:WORD_1
	v_cvt_f32_u32_sdwa v20, v3 dst_sel:DWORD dst_unused:UNUSED_PAD src0_sel:WORD_0
	;; [unrolled: 2-line block ×4, first 2 shown]
	v_pk_add_f32 v[2:3], v[6:7], v[16:17]
	v_pk_add_f32 v[4:5], v[8:9], v[20:21]
	;; [unrolled: 1-line block ×4, first 2 shown]
	v_perm_b32 v17, v9, v8, s10
	v_perm_b32 v16, v7, v6, s10
	;; [unrolled: 1-line block ×4, first 2 shown]
	buffer_store_dwordx4 v[14:17], v26, s[24:27], 0 offen glc slc
	;;#ASMSTART
	s_nop 0
	;;#ASMEND
.LBB122_10:
	s_or_b64 exec, exec, s[18:19]
	s_mov_b32 s10, s8
.LBB122_11:
	s_waitcnt vmcnt(1)
	v_mul_f32_e32 v14, v3, v3
	v_fmac_f32_e32 v14, v2, v2
	v_fmac_f32_e32 v14, v4, v4
	;; [unrolled: 1-line block ×7, first 2 shown]
	v_bfrev_b32_e32 v16, 0.5
	s_load_dwordx2 s[34:35], s[4:5], 0x18
	v_mov_b32_dpp v15, v14 quad_perm:[1,0,3,2] row_mask:0xf bank_mask:0xf
	v_add_f32_e32 v14, v14, v15
	s_nop 1
	v_mov_b32_dpp v15, v14 quad_perm:[2,3,0,1] row_mask:0xf bank_mask:0xf
	v_add_f32_e32 v14, v14, v15
	s_nop 1
	v_mov_b32_dpp v15, v14 row_half_mirror row_mask:0xf bank_mask:0xf
	v_add_f32_e32 v14, v14, v15
	s_nop 1
	v_mov_b32_dpp v15, v14 row_mirror row_mask:0xf bank_mask:0xf
	v_add_f32_e32 v14, v14, v15
	s_nop 1
	v_mov_b32_dpp v15, v14 row_bcast:15 row_mask:0xf bank_mask:0xf
	v_add_f32_e32 v14, v14, v15
	s_nop 1
	v_mov_b32_dpp v15, v14 row_bcast:31 row_mask:0xf bank_mask:0xf
	v_add_f32_e32 v15, v14, v15
	v_mbcnt_lo_u32_b32 v14, -1, 0
	v_mbcnt_hi_u32_b32 v14, -1, v14
	v_lshl_or_b32 v14, v14, 2, v16
	ds_bpermute_b32 v15, v14, v15
	s_and_saveexec_b64 s[18:19], s[0:1]
	s_cbranch_execnz .LBB122_16
; %bb.12:
	s_or_b64 exec, exec, s[18:19]
	s_mov_b64 s[18:19], -1
	s_and_b64 vcc, exec, s[2:3]
	s_cbranch_vccnz .LBB122_17
.LBB122_13:
	s_andn2_b64 vcc, exec, s[18:19]
	s_cbranch_vccz .LBB122_20
.LBB122_14:
	s_cmp_lt_i32 s12, 1
	s_cbranch_scc0 .LBB122_27
.LBB122_15:
	s_endpgm
.LBB122_16:
	v_cvt_f32_u32_e32 v16, s7
	s_mov_b32 s7, 0x800000
	s_waitcnt lgkmcnt(0)
	v_div_scale_f32 v17, s[24:25], v16, v16, v15
	v_rcp_f32_e32 v18, v17
	v_div_scale_f32 v19, vcc, v15, v16, v15
	v_fma_f32 v20, -v17, v18, 1.0
	v_fmac_f32_e32 v18, v20, v18
	v_mul_f32_e32 v20, v19, v18
	v_fma_f32 v21, -v17, v20, v19
	v_fmac_f32_e32 v20, v21, v18
	v_fma_f32 v17, -v17, v20, v19
	v_div_fmas_f32 v17, v17, v18, v20
	v_div_fixup_f32 v15, v17, v16, v15
	v_add_f32_e32 v15, s10, v15
	v_mul_f32_e32 v16, 0x4b800000, v15
	v_cmp_gt_f32_e32 vcc, s7, v15
	v_cndmask_b32_e32 v15, v15, v16, vcc
	v_rsq_f32_e32 v15, v15
	s_waitcnt vmcnt(0)
	v_cvt_f32_u32_sdwa v17, v10 dst_sel:DWORD dst_unused:UNUSED_PAD src0_sel:WORD_1
	v_cvt_f32_u32_sdwa v21, v11 dst_sel:DWORD dst_unused:UNUSED_PAD src0_sel:WORD_1
	v_cvt_f32_u32_sdwa v20, v11 dst_sel:DWORD dst_unused:UNUSED_PAD src0_sel:WORD_0
	v_mul_f32_e32 v16, 0x45800000, v15
	v_cndmask_b32_e32 v18, v15, v16, vcc
	v_cvt_f32_u32_sdwa v16, v10 dst_sel:DWORD dst_unused:UNUSED_PAD src0_sel:WORD_0
	v_mov_b32_e32 v19, v18
	;;#ASMSTART
	v_pk_mul_f32 v[2:3], v[2:3], v[18:19]
	;;#ASMEND
	;;#ASMSTART
	v_pk_mul_f32 v[4:5], v[4:5], v[18:19]
	;;#ASMEND
	v_pk_add_f32 v[10:11], v[16:17], 1.0 op_sel_hi:[1,0]
	v_cvt_f32_u32_sdwa v17, v12 dst_sel:DWORD dst_unused:UNUSED_PAD src0_sel:WORD_1
	v_cvt_f32_u32_sdwa v16, v12 dst_sel:DWORD dst_unused:UNUSED_PAD src0_sel:WORD_0
	;;#ASMSTART
	v_pk_mul_f32 v[6:7], v[6:7], v[18:19]
	;;#ASMEND
	;;#ASMSTART
	v_pk_mul_f32 v[8:9], v[8:9], v[18:19]
	;;#ASMEND
	v_cvt_f32_u32_sdwa v19, v13 dst_sel:DWORD dst_unused:UNUSED_PAD src0_sel:WORD_1
	v_cvt_f32_u32_sdwa v18, v13 dst_sel:DWORD dst_unused:UNUSED_PAD src0_sel:WORD_0
	;;#ASMSTART
	v_pk_mul_f32 v[2:3], v[2:3], v[10:11]
	;;#ASMEND
	v_pk_add_f32 v[10:11], v[20:21], 1.0 op_sel_hi:[1,0]
	;;#ASMSTART
	v_pk_mul_f32 v[4:5], v[4:5], v[10:11]
	;;#ASMEND
	v_pk_add_f32 v[10:11], v[16:17], 1.0 op_sel_hi:[1,0]
	;; [unrolled: 4-line block ×3, first 2 shown]
	;;#ASMSTART
	v_pk_mul_f32 v[8:9], v[8:9], v[10:11]
	;;#ASMEND
	s_or_b64 exec, exec, s[18:19]
	s_mov_b64 s[18:19], -1
	s_and_b64 vcc, exec, s[2:3]
	s_cbranch_vccz .LBB122_13
.LBB122_17:
	s_and_saveexec_b64 s[2:3], s[0:1]
	s_cbranch_execz .LBB122_19
; %bb.18:
	s_waitcnt lgkmcnt(0)
	s_mul_hi_i32 s19, s28, s6
	s_mul_i32 s18, s28, s6
	s_lshl_b64 s[18:19], s[18:19], 1
	s_add_u32 s24, s34, s18
	s_addc_u32 s7, s35, s19
	s_and_b32 s25, s7, 0xffff
	s_mov_b32 s7, 0x7060302
	s_mov_b32 s27, 0x20000
	s_waitcnt vmcnt(0)
	v_perm_b32 v10, v3, v2, s7
	v_perm_b32 v11, v5, v4, s7
	;; [unrolled: 1-line block ×4, first 2 shown]
	v_lshlrev_b32_e32 v15, 4, v0
	buffer_store_dwordx4 v[10:13], v15, s[24:27], 0 offen
	;;#ASMSTART
	s_nop 0
	;;#ASMEND
.LBB122_19:
	s_or_b64 exec, exec, s[2:3]
	s_cbranch_execnz .LBB122_14
.LBB122_20:
	s_waitcnt vmcnt(0)
	v_mov_b32_e32 v10, 0
	s_and_saveexec_b64 s[2:3], s[0:1]
	s_cbranch_execz .LBB122_22
; %bb.21:
	v_and_b32_e32 v10, 0x7fffffff, v2
	v_and_b32_e32 v11, 0x7fffffff, v3
	v_mov_b32_e32 v12, 0x2edbe6ff
	;;#ASMSTART
	v_max3_f32 v10, v12, v10, v11

	;;#ASMEND
	v_and_b32_e32 v11, 0x7fffffff, v4
	v_and_b32_e32 v12, 0x7fffffff, v5
	;;#ASMSTART
	v_max3_f32 v10, v10, v11, v12

	;;#ASMEND
	v_and_b32_e32 v11, 0x7fffffff, v6
	v_and_b32_e32 v12, 0x7fffffff, v7
	;; [unrolled: 6-line block ×3, first 2 shown]
	;;#ASMSTART
	v_max3_f32 v10, v10, v11, v12

	;;#ASMEND
.LBB122_22:
	s_or_b64 exec, exec, s[2:3]
	;;#ASMSTART
	v_max_f32 v11, v10, v10 quad_perm:[1,0,3,2] row_mask:0xf bank_mask:0xf bound_ctrl:1
	;;#ASMEND
	;;#ASMSTART
	v_max_f32 v10, v11, v11 quad_perm:[2,3,0,1] row_mask:0xf bank_mask:0xf bound_ctrl:1
	;;#ASMEND
	;;#ASMSTART
	v_max_f32 v11, v10, v10 row_half_mirror row_mask:0xf bank_mask:0xf bound_ctrl:1
	;;#ASMEND
	;;#ASMSTART
	v_max_f32 v10, v11, v11 row_mirror row_mask:0xf bank_mask:0xf bound_ctrl:1
	;;#ASMEND
	v_and_b32_e32 v11, 15, v0
	v_cmp_eq_u32_e32 vcc, 0, v11
	v_cmp_gt_i32_e64 s[2:3], s11, v1
	v_mul_f32_e32 v10, 0x3b124925, v10
	s_and_b64 s[18:19], vcc, s[2:3]
	s_and_saveexec_b64 s[2:3], s[18:19]
	s_cbranch_execz .LBB122_24
; %bb.23:
	s_load_dwordx2 s[18:19], s[4:5], 0x8
	v_lshrrev_b32_e32 v11, 4, v0
	s_waitcnt lgkmcnt(0)
	s_mul_hi_i32 s25, s21, s6
	s_mul_i32 s24, s21, s6
	v_mad_i64_i32 v[12:13], s[22:23], s22, v11, 0
	s_lshl_b64 s[22:23], s[24:25], 2
	s_add_u32 s7, s18, s22
	s_addc_u32 s8, s19, s23
	v_lshlrev_b64 v[12:13], 2, v[12:13]
	v_mov_b32_e32 v11, s8
	v_add_co_u32_e32 v12, vcc, s7, v12
	v_addc_co_u32_e32 v13, vcc, v11, v13, vcc
	global_store_dword v[12:13], v10, off
.LBB122_24:
	s_or_b64 exec, exec, s[2:3]
	;;#ASMSTART
	v_rcp_f32 v10, v10
	;;#ASMEND
	s_and_saveexec_b64 s[18:19], s[0:1]
	s_cbranch_execz .LBB122_26
; %bb.25:
	v_mov_b32_e32 v11, v10
	;;#ASMSTART
	v_pk_mul_f32 v[2:3], v[2:3], v[10:11]
	;;#ASMEND
	v_mov_b32_e32 v12, 0xc3e00000
	v_mov_b32_e32 v13, 0x43e00000
	s_waitcnt lgkmcnt(0)
	;;#ASMSTART
	v_med3_f32 v2, v2, v12, v13
v_med3_f32 v3, v3, v12, v13
v_cvt_pk_fp8_f32 v15, v2, v3
	;;#ASMEND
	s_load_dwordx2 s[0:1], s[4:5], 0x0
	;;#ASMSTART
	v_pk_mul_f32 v[2:3], v[4:5], v[10:11]
	;;#ASMEND
	;;#ASMSTART
	v_med3_f32 v2, v2, v12, v13
v_med3_f32 v3, v3, v12, v13
v_cvt_pk_fp8_f32 v4, v2, v3
	;;#ASMEND
	s_mov_b32 s8, 0x5040100
	v_perm_b32 v3, v4, v15, s8
	s_movk_i32 s8, 0xff
	v_and_b32_e32 v2, 0xffffff00, v4
	v_and_b32_sdwa v4, v3, s8 dst_sel:DWORD dst_unused:UNUSED_PAD src0_sel:WORD_1 src1_sel:DWORD
	s_mul_i32 s3, s20, s6
	s_mov_b32 s7, 0xffff
	v_or_b32_sdwa v2, v4, v2 dst_sel:WORD_1 dst_unused:UNUSED_PAD src0_sel:DWORD src1_sel:DWORD
	s_mul_hi_i32 s2, s20, s6
	s_waitcnt lgkmcnt(0)
	s_add_u32 s0, s0, s3
	v_and_or_b32 v2, v3, s7, v2
	;;#ASMSTART
	v_pk_mul_f32 v[4:5], v[6:7], v[10:11]
	;;#ASMEND
	v_mov_b32_e32 v3, v5
	s_addc_u32 s1, s1, s2
	s_add_i32 s2, s11, 3
	;;#ASMSTART
	v_med3_f32 v4, v4, v12, v13
v_med3_f32 v3, v3, v12, v13
v_cvt_pk_fp8_f32 v6, v4, v3
	;;#ASMEND
	s_ashr_i32 s3, s2, 31
	;;#ASMSTART
	v_pk_mul_f32 v[4:5], v[8:9], v[10:11]
	;;#ASMEND
	v_mov_b32_e32 v3, v5
	s_lshr_b32 s3, s3, 30
	;;#ASMSTART
	v_med3_f32 v4, v4, v12, v13
v_med3_f32 v3, v3, v12, v13
v_cvt_pk_fp8_f32 v5, v4, v3
	;;#ASMEND
	s_add_i32 s2, s2, s3
	v_lshlrev_b32_e32 v3, 16, v5
	s_and_b32 s2, s2, -4
	s_and_b32 s1, s1, 0xffff
	s_mov_b32 s3, 0x20000
	v_and_or_b32 v3, v6, s7, v3
	buffer_store_dwordx2 v[2:3], v1, s[0:3], 0 offen
	;;#ASMSTART
	s_nop 0
	;;#ASMEND
.LBB122_26:
	s_or_b64 exec, exec, s[18:19]
	s_cmp_lt_i32 s12, 1
	s_cbranch_scc1 .LBB122_15
.LBB122_27:
	s_load_dword s0, s[4:5], 0x94
	s_waitcnt lgkmcnt(0)
	s_cmp_lg_u32 s0, 1
	s_cbranch_scc1 .LBB122_15
; %bb.28:
	s_lshl_b32 s0, s12, 1
	s_add_i32 s0, s0, 2
	v_cmp_gt_u32_e32 vcc, s12, v1
	s_and_b32 s18, s0, -4
	v_mov_b32_e32 v4, 0
	s_waitcnt vmcnt(0)
	v_lshlrev_b32_e32 v12, 4, v0
	v_mov_b32_e32 v5, 0
	v_mov_b32_e32 v6, 0
	;; [unrolled: 1-line block ×7, first 2 shown]
	s_barrier
	s_and_saveexec_b64 s[0:1], vcc
	s_cbranch_execz .LBB122_30
; %bb.29:
	s_mul_hi_i32 s3, s14, s6
	s_mul_i32 s2, s14, s6
	s_and_b32 s17, s17, 0xffff
	s_lshl_b64 s[2:3], s[2:3], 1
	s_add_u32 s20, s30, s2
	s_mov_b32 s19, 0x20000
	s_addc_u32 s2, s31, s3
	s_and_b32 s21, s2, 0xffff
	s_mov_b32 s22, s18
	s_mov_b32 s23, s19
	buffer_load_dwordx4 v[4:7], v12, s[20:23], 0 offen glc slc
	buffer_load_dwordx4 v[0:3], v12, s[16:19], 0 offen
.LBB122_30:
	s_or_b64 exec, exec, s[0:1]
	s_waitcnt vmcnt(1)
	v_cvt_f32_u32_sdwa v11, v4 dst_sel:DWORD dst_unused:UNUSED_PAD src0_sel:WORD_1
	v_cvt_f32_u32_sdwa v10, v4 dst_sel:DWORD dst_unused:UNUSED_PAD src0_sel:WORD_0
	v_cvt_f32_u32_sdwa v4, v7 dst_sel:DWORD dst_unused:UNUSED_PAD src0_sel:WORD_1
	v_cvt_f32_u32_sdwa v7, v7 dst_sel:DWORD dst_unused:UNUSED_PAD src0_sel:WORD_0
	;; [unrolled: 2-line block ×4, first 2 shown]
	v_cndmask_b32_e32 v11, 0, v11, vcc
	v_cndmask_b32_e32 v5, 0, v4, vcc
	v_cndmask_b32_e32 v4, 0, v7, vcc
	v_cndmask_b32_e32 v7, 0, v13, vcc
	v_cndmask_b32_e32 v10, 0, v10, vcc
	v_mul_f32_e32 v13, v11, v11
	v_cndmask_b32_e32 v8, 0, v8, vcc
	v_fmac_f32_e32 v13, v10, v10
	v_cndmask_b32_e32 v9, 0, v9, vcc
	v_fmac_f32_e32 v13, v8, v8
	v_cndmask_b32_e32 v6, 0, v6, vcc
	v_fmac_f32_e32 v13, v9, v9
	v_fmac_f32_e32 v13, v6, v6
	v_fmac_f32_e32 v13, v7, v7
	;; [unrolled: 1-line block ×4, first 2 shown]
	s_nop 1
	v_mov_b32_dpp v15, v13 quad_perm:[1,0,3,2] row_mask:0xf bank_mask:0xf
	v_add_f32_e32 v13, v13, v15
	s_nop 1
	v_mov_b32_dpp v15, v13 quad_perm:[2,3,0,1] row_mask:0xf bank_mask:0xf
	v_add_f32_e32 v13, v13, v15
	s_nop 1
	v_mov_b32_dpp v15, v13 row_half_mirror row_mask:0xf bank_mask:0xf
	v_add_f32_e32 v13, v13, v15
	s_nop 1
	v_mov_b32_dpp v15, v13 row_mirror row_mask:0xf bank_mask:0xf
	v_add_f32_e32 v13, v13, v15
	s_nop 1
	v_mov_b32_dpp v15, v13 row_bcast:15 row_mask:0xf bank_mask:0xf
	v_add_f32_e32 v13, v13, v15
	s_nop 1
	v_mov_b32_dpp v15, v13 row_bcast:31 row_mask:0xf bank_mask:0xf
	v_add_f32_e32 v13, v13, v15
	ds_bpermute_b32 v13, v14, v13
	s_and_saveexec_b64 s[0:1], vcc
	s_cbranch_execz .LBB122_15
; %bb.31:
	v_cvt_f32_u32_e32 v14, s12
	s_mov_b32 s19, 0x20000
	s_waitcnt lgkmcnt(0)
	v_div_scale_f32 v15, s[0:1], v14, v14, v13
	v_rcp_f32_e32 v16, v15
	v_div_scale_f32 v17, vcc, v13, v14, v13
	s_mov_b32 s0, 0x800000
	v_fma_f32 v18, -v15, v16, 1.0
	v_fmac_f32_e32 v16, v18, v16
	v_mul_f32_e32 v18, v17, v16
	v_fma_f32 v19, -v15, v18, v17
	v_fmac_f32_e32 v18, v19, v16
	v_fma_f32 v15, -v15, v18, v17
	v_div_fmas_f32 v15, v15, v16, v18
	v_div_fixup_f32 v13, v15, v14, v13
	v_add_f32_e32 v13, s9, v13
	v_mul_f32_e32 v14, 0x4b800000, v13
	v_cmp_gt_f32_e32 vcc, s0, v13
	v_cndmask_b32_e32 v13, v13, v14, vcc
	v_rsq_f32_e32 v13, v13
	s_waitcnt vmcnt(0)
	v_cvt_f32_u32_sdwa v15, v0 dst_sel:DWORD dst_unused:UNUSED_PAD src0_sel:WORD_1
	v_cvt_f32_u32_sdwa v19, v1 dst_sel:DWORD dst_unused:UNUSED_PAD src0_sel:WORD_1
	v_cvt_f32_u32_sdwa v18, v1 dst_sel:DWORD dst_unused:UNUSED_PAD src0_sel:WORD_0
	v_mul_f32_e32 v14, 0x45800000, v13
	v_cndmask_b32_e32 v16, v13, v14, vcc
	v_cvt_f32_u32_sdwa v14, v0 dst_sel:DWORD dst_unused:UNUSED_PAD src0_sel:WORD_0
	v_mov_b32_e32 v17, v16
	;;#ASMSTART
	v_pk_mul_f32 v[10:11], v[10:11], v[16:17]
	;;#ASMEND
	;;#ASMSTART
	v_pk_mul_f32 v[8:9], v[8:9], v[16:17]
	;;#ASMEND
	;; [unrolled: 3-line block ×4, first 2 shown]
	v_pk_add_f32 v[4:5], v[14:15], 1.0 op_sel_hi:[1,0]
	v_cvt_f32_u32_sdwa v15, v2 dst_sel:DWORD dst_unused:UNUSED_PAD src0_sel:WORD_1
	v_cvt_f32_u32_sdwa v14, v2 dst_sel:DWORD dst_unused:UNUSED_PAD src0_sel:WORD_0
	v_cvt_f32_u32_sdwa v17, v3 dst_sel:DWORD dst_unused:UNUSED_PAD src0_sel:WORD_1
	v_cvt_f32_u32_sdwa v16, v3 dst_sel:DWORD dst_unused:UNUSED_PAD src0_sel:WORD_0
	s_mul_hi_i32 s1, s28, s6
	s_mul_i32 s0, s28, s6
	s_lshl_b64 s[0:1], s[0:1], 1
	s_add_u32 s16, s34, s0
	;;#ASMSTART
	v_pk_mul_f32 v[4:5], v[10:11], v[4:5]
	;;#ASMEND
	v_pk_add_f32 v[10:11], v[18:19], 1.0 op_sel_hi:[1,0]
	;;#ASMSTART
	v_pk_mul_f32 v[2:3], v[8:9], v[10:11]
	;;#ASMEND
	v_pk_add_f32 v[8:9], v[14:15], 1.0 op_sel_hi:[1,0]
	s_addc_u32 s0, s35, s1
	;;#ASMSTART
	v_pk_mul_f32 v[6:7], v[6:7], v[8:9]
	;;#ASMEND
	v_pk_add_f32 v[8:9], v[16:17], 1.0 op_sel_hi:[1,0]
	s_and_b32 s17, s0, 0xffff
	s_mov_b32 s0, 0x7060302
	;;#ASMSTART
	v_pk_mul_f32 v[8:9], v[0:1], v[8:9]
	;;#ASMEND
	v_perm_b32 v0, v5, v4, s0
	v_perm_b32 v1, v3, v2, s0
	;; [unrolled: 1-line block ×4, first 2 shown]
	buffer_store_dwordx4 v[0:3], v12, s[16:19], 0 offen
	;;#ASMSTART
	s_nop 0
	;;#ASMEND
	s_endpgm
	.section	.rodata,"a",@progbits
	.p2align	6, 0x0
	.amdhsa_kernel _ZN5aiter35fused_qk_rmsnorm_group_quant_kernelItDB8_Li64ELi8ELi16ELb1ELb0ELb1ELb0ELb0ELb0EEEvPT0_PvPT_S6_S6_PKS5_S8_S8_S8_S8_ffiiiiiiiiiiiii
		.amdhsa_group_segment_fixed_size 0
		.amdhsa_private_segment_fixed_size 0
		.amdhsa_kernarg_size 400
		.amdhsa_user_sgpr_count 6
		.amdhsa_user_sgpr_private_segment_buffer 1
		.amdhsa_user_sgpr_dispatch_ptr 0
		.amdhsa_user_sgpr_queue_ptr 0
		.amdhsa_user_sgpr_kernarg_segment_ptr 1
		.amdhsa_user_sgpr_dispatch_id 0
		.amdhsa_user_sgpr_flat_scratch_init 0
		.amdhsa_user_sgpr_kernarg_preload_length 0
		.amdhsa_user_sgpr_kernarg_preload_offset 0
		.amdhsa_user_sgpr_private_segment_size 0
		.amdhsa_uses_dynamic_stack 0
		.amdhsa_system_sgpr_private_segment_wavefront_offset 0
		.amdhsa_system_sgpr_workgroup_id_x 1
		.amdhsa_system_sgpr_workgroup_id_y 1
		.amdhsa_system_sgpr_workgroup_id_z 0
		.amdhsa_system_sgpr_workgroup_info 0
		.amdhsa_system_vgpr_workitem_id 0
		.amdhsa_next_free_vgpr 27
		.amdhsa_next_free_sgpr 44
		.amdhsa_accum_offset 28
		.amdhsa_reserve_vcc 1
		.amdhsa_reserve_flat_scratch 0
		.amdhsa_float_round_mode_32 0
		.amdhsa_float_round_mode_16_64 0
		.amdhsa_float_denorm_mode_32 3
		.amdhsa_float_denorm_mode_16_64 3
		.amdhsa_dx10_clamp 1
		.amdhsa_ieee_mode 1
		.amdhsa_fp16_overflow 0
		.amdhsa_tg_split 0
		.amdhsa_exception_fp_ieee_invalid_op 0
		.amdhsa_exception_fp_denorm_src 0
		.amdhsa_exception_fp_ieee_div_zero 0
		.amdhsa_exception_fp_ieee_overflow 0
		.amdhsa_exception_fp_ieee_underflow 0
		.amdhsa_exception_fp_ieee_inexact 0
		.amdhsa_exception_int_div_zero 0
	.end_amdhsa_kernel
	.section	.text._ZN5aiter35fused_qk_rmsnorm_group_quant_kernelItDB8_Li64ELi8ELi16ELb1ELb0ELb1ELb0ELb0ELb0EEEvPT0_PvPT_S6_S6_PKS5_S8_S8_S8_S8_ffiiiiiiiiiiiii,"axG",@progbits,_ZN5aiter35fused_qk_rmsnorm_group_quant_kernelItDB8_Li64ELi8ELi16ELb1ELb0ELb1ELb0ELb0ELb0EEEvPT0_PvPT_S6_S6_PKS5_S8_S8_S8_S8_ffiiiiiiiiiiiii,comdat
.Lfunc_end122:
	.size	_ZN5aiter35fused_qk_rmsnorm_group_quant_kernelItDB8_Li64ELi8ELi16ELb1ELb0ELb1ELb0ELb0ELb0EEEvPT0_PvPT_S6_S6_PKS5_S8_S8_S8_S8_ffiiiiiiiiiiiii, .Lfunc_end122-_ZN5aiter35fused_qk_rmsnorm_group_quant_kernelItDB8_Li64ELi8ELi16ELb1ELb0ELb1ELb0ELb0ELb0EEEvPT0_PvPT_S6_S6_PKS5_S8_S8_S8_S8_ffiiiiiiiiiiiii
                                        ; -- End function
	.section	.AMDGPU.csdata,"",@progbits
; Kernel info:
; codeLenInByte = 2888
; NumSgprs: 48
; NumVgprs: 27
; NumAgprs: 0
; TotalNumVgprs: 27
; ScratchSize: 0
; MemoryBound: 0
; FloatMode: 240
; IeeeMode: 1
; LDSByteSize: 0 bytes/workgroup (compile time only)
; SGPRBlocks: 5
; VGPRBlocks: 3
; NumSGPRsForWavesPerEU: 48
; NumVGPRsForWavesPerEU: 27
; AccumOffset: 28
; Occupancy: 8
; WaveLimiterHint : 0
; COMPUTE_PGM_RSRC2:SCRATCH_EN: 0
; COMPUTE_PGM_RSRC2:USER_SGPR: 6
; COMPUTE_PGM_RSRC2:TRAP_HANDLER: 0
; COMPUTE_PGM_RSRC2:TGID_X_EN: 1
; COMPUTE_PGM_RSRC2:TGID_Y_EN: 1
; COMPUTE_PGM_RSRC2:TGID_Z_EN: 0
; COMPUTE_PGM_RSRC2:TIDIG_COMP_CNT: 0
; COMPUTE_PGM_RSRC3_GFX90A:ACCUM_OFFSET: 6
; COMPUTE_PGM_RSRC3_GFX90A:TG_SPLIT: 0
	.section	.text._ZN5aiter35fused_qk_rmsnorm_group_quant_kernelIDF16_N4opus5fp4_tELi64ELi8ELi16ELb1ELb0ELb1ELb0ELb0ELb0EEEvPT0_PvPT_S7_S7_PKS6_S9_S9_S9_S9_ffiiiiiiiiiiiii,"axG",@progbits,_ZN5aiter35fused_qk_rmsnorm_group_quant_kernelIDF16_N4opus5fp4_tELi64ELi8ELi16ELb1ELb0ELb1ELb0ELb0ELb0EEEvPT0_PvPT_S7_S7_PKS6_S9_S9_S9_S9_ffiiiiiiiiiiiii,comdat
	.protected	_ZN5aiter35fused_qk_rmsnorm_group_quant_kernelIDF16_N4opus5fp4_tELi64ELi8ELi16ELb1ELb0ELb1ELb0ELb0ELb0EEEvPT0_PvPT_S7_S7_PKS6_S9_S9_S9_S9_ffiiiiiiiiiiiii ; -- Begin function _ZN5aiter35fused_qk_rmsnorm_group_quant_kernelIDF16_N4opus5fp4_tELi64ELi8ELi16ELb1ELb0ELb1ELb0ELb0ELb0EEEvPT0_PvPT_S7_S7_PKS6_S9_S9_S9_S9_ffiiiiiiiiiiiii
	.globl	_ZN5aiter35fused_qk_rmsnorm_group_quant_kernelIDF16_N4opus5fp4_tELi64ELi8ELi16ELb1ELb0ELb1ELb0ELb0ELb0EEEvPT0_PvPT_S7_S7_PKS6_S9_S9_S9_S9_ffiiiiiiiiiiiii
	.p2align	8
	.type	_ZN5aiter35fused_qk_rmsnorm_group_quant_kernelIDF16_N4opus5fp4_tELi64ELi8ELi16ELb1ELb0ELb1ELb0ELb0ELb0EEEvPT0_PvPT_S7_S7_PKS6_S9_S9_S9_S9_ffiiiiiiiiiiiii,@function
_ZN5aiter35fused_qk_rmsnorm_group_quant_kernelIDF16_N4opus5fp4_tELi64ELi8ELi16ELb1ELb0ELb1ELb0ELb0ELb0EEEvPT0_PvPT_S7_S7_PKS6_S9_S9_S9_S9_ffiiiiiiiiiiiii: ; @_ZN5aiter35fused_qk_rmsnorm_group_quant_kernelIDF16_N4opus5fp4_tELi64ELi8ELi16ELb1ELb0ELb1ELb0ELb0ELb0EEEvPT0_PvPT_S7_S7_PKS6_S9_S9_S9_S9_ffiiiiiiiiiiiii
; %bb.0:
	s_load_dwordx8 s[8:15], s[4:5], 0x50
	s_waitcnt lgkmcnt(0)
	s_cmp_ge_i32 s6, s10
	s_cbranch_scc1 .LBB123_15
; %bb.1:
	s_cmp_lg_u32 s7, 0
	s_cselect_b64 s[2:3], -1, 0
	s_cmp_eq_u32 s7, 0
	s_cselect_b64 s[24:25], -1, 0
	s_and_b64 s[0:1], s[24:25], exec
	s_load_dwordx2 s[16:17], s[4:5], 0x48
	s_load_dwordx2 s[30:31], s[4:5], 0x30
	s_load_dwordx4 s[20:23], s[4:5], 0x70
	s_cselect_b32 s7, s11, s12
	s_add_i32 s0, s7, 1
	s_lshr_b32 s1, s0, 31
	s_add_i32 s0, s0, s1
	s_lshl_b32 s0, s0, 1
	v_lshlrev_b32_e32 v1, 3, v0
	s_and_b32 s26, s0, -4
	v_cmp_gt_i32_e64 s[0:1], s7, v1
	v_mov_b32_e32 v2, 0
	v_mov_b32_e32 v3, 0
	;; [unrolled: 1-line block ×8, first 2 shown]
	s_and_saveexec_b64 s[18:19], s[0:1]
	s_cbranch_execz .LBB123_3
; %bb.2:
	s_load_dwordx2 s[28:29], s[4:5], 0x28
	s_load_dwordx2 s[34:35], s[4:5], 0x40
	s_and_b64 s[36:37], s[24:25], exec
	s_cselect_b32 s10, s13, s14
	s_mov_b32 s27, 0x20000
	s_waitcnt lgkmcnt(0)
	s_cselect_b32 s13, s29, s31
	s_cselect_b32 s23, s28, s30
	s_mul_hi_i32 s29, s10, s6
	s_mul_i32 s28, s10, s6
	s_lshl_b64 s[28:29], s[28:29], 1
	s_add_u32 s36, s23, s28
	s_addc_u32 s10, s13, s29
	s_and_b64 s[24:25], s[24:25], exec
	s_cselect_b32 s24, s34, s16
	s_cselect_b32 s13, s35, s17
	v_lshlrev_b32_e32 v10, 4, v0
	s_and_b32 s37, s10, 0xffff
	s_mov_b32 s38, s26
	s_mov_b32 s39, s27
	s_and_b32 s25, s13, 0xffff
	buffer_load_dwordx4 v[6:9], v10, s[36:39], 0 offen glc slc
	buffer_load_dwordx4 v[2:5], v10, s[24:27], 0 offen
.LBB123_3:
	s_or_b64 exec, exec, s[18:19]
	s_load_dwordx2 s[28:29], s[4:5], 0x80
	s_and_b64 vcc, exec, s[2:3]
	s_cbranch_vccz .LBB123_7
; %bb.4:
	v_mov_b32_e32 v11, 0
	v_mov_b32_e32 v10, 0
	;; [unrolled: 1-line block ×8, first 2 shown]
	s_and_saveexec_b64 s[18:19], s[0:1]
	s_cbranch_execz .LBB123_6
; %bb.5:
	s_waitcnt vmcnt(1)
	v_cvt_f32_f16_sdwa v13, v6 dst_sel:DWORD dst_unused:UNUSED_PAD src0_sel:WORD_1
	v_cvt_f32_f16_e32 v12, v6
	v_cvt_f32_f16_sdwa v17, v7 dst_sel:DWORD dst_unused:UNUSED_PAD src0_sel:WORD_1
	v_cvt_f32_f16_e32 v16, v7
	;; [unrolled: 2-line block ×4, first 2 shown]
.LBB123_6:
	s_or_b64 exec, exec, s[18:19]
	s_mov_b32 s10, s9
	s_cbranch_execz .LBB123_8
	s_branch .LBB123_11
.LBB123_7:
                                        ; implicit-def: $vgpr11
                                        ; implicit-def: $vgpr15
                                        ; implicit-def: $vgpr17
                                        ; implicit-def: $vgpr13
	s_mov_b32 s10, s9
.LBB123_8:
	v_mov_b32_e32 v11, 0
	v_mov_b32_e32 v10, 0
	;; [unrolled: 1-line block ×8, first 2 shown]
	s_and_saveexec_b64 s[18:19], s[0:1]
	s_cbranch_execz .LBB123_10
; %bb.9:
	s_load_dwordx2 s[24:25], s[4:5], 0x38
	s_mul_hi_i32 s35, s15, s6
	s_mul_i32 s34, s15, s6
	s_lshl_b64 s[34:35], s[34:35], 1
	s_mov_b32 s27, 0x20000
	s_waitcnt lgkmcnt(0)
	s_add_u32 s24, s24, s34
	s_addc_u32 s10, s25, s35
	s_and_b32 s25, s10, 0xffff
	v_lshlrev_b32_e32 v24, 4, v0
	buffer_load_dwordx4 v[10:13], v24, s[24:27], 0 offen glc slc
	s_waitcnt vmcnt(2)
	v_cvt_f32_f16_sdwa v15, v6 dst_sel:DWORD dst_unused:UNUSED_PAD src0_sel:WORD_1
	v_cvt_f32_f16_e32 v14, v6
	v_cvt_f32_f16_sdwa v17, v7 dst_sel:DWORD dst_unused:UNUSED_PAD src0_sel:WORD_1
	v_cvt_f32_f16_e32 v16, v7
	;; [unrolled: 2-line block ×4, first 2 shown]
	s_load_dwordx2 s[24:25], s[4:5], 0x20
	s_mul_hi_i32 s35, s29, s6
	s_mul_i32 s34, s29, s6
	s_lshl_b64 s[34:35], s[34:35], 1
	s_waitcnt lgkmcnt(0)
	s_add_u32 s24, s24, s34
	s_addc_u32 s10, s25, s35
	s_and_b32 s25, s10, 0xffff
	s_waitcnt vmcnt(0)
	v_cvt_f32_f16_e32 v8, v10
	v_cvt_f32_f16_sdwa v9, v10 dst_sel:DWORD dst_unused:UNUSED_PAD src0_sel:WORD_1
	v_cvt_f32_f16_e32 v10, v11
	v_cvt_f32_f16_sdwa v11, v11 dst_sel:DWORD dst_unused:UNUSED_PAD src0_sel:WORD_1
	;; [unrolled: 2-line block ×4, first 2 shown]
	v_pk_add_f32 v[12:13], v[14:15], v[8:9]
	v_pk_add_f32 v[16:17], v[16:17], v[10:11]
	;; [unrolled: 1-line block ×4, first 2 shown]
	v_cvt_f16_f32_e32 v6, v13
	v_cvt_f16_f32_e32 v7, v17
	;; [unrolled: 1-line block ×8, first 2 shown]
	v_pack_b32_f16 v9, v18, v9
	v_pack_b32_f16 v8, v19, v8
	;; [unrolled: 1-line block ×4, first 2 shown]
	buffer_store_dwordx4 v[6:9], v24, s[24:27], 0 offen glc slc
	;;#ASMSTART
	s_nop 0
	;;#ASMEND
.LBB123_10:
	s_or_b64 exec, exec, s[18:19]
	s_mov_b32 s10, s8
.LBB123_11:
	s_waitcnt vmcnt(1)
	v_mul_f32_e32 v6, v13, v13
	v_fmac_f32_e32 v6, v12, v12
	v_fmac_f32_e32 v6, v16, v16
	;; [unrolled: 1-line block ×7, first 2 shown]
	v_bfrev_b32_e32 v8, 0.5
	s_load_dwordx2 s[34:35], s[4:5], 0x18
	v_mov_b32_dpp v7, v6 quad_perm:[1,0,3,2] row_mask:0xf bank_mask:0xf
	v_add_f32_e32 v6, v6, v7
	s_nop 1
	v_mov_b32_dpp v7, v6 quad_perm:[2,3,0,1] row_mask:0xf bank_mask:0xf
	v_add_f32_e32 v6, v6, v7
	s_nop 1
	v_mov_b32_dpp v7, v6 row_half_mirror row_mask:0xf bank_mask:0xf
	v_add_f32_e32 v6, v6, v7
	s_nop 1
	v_mov_b32_dpp v7, v6 row_mirror row_mask:0xf bank_mask:0xf
	v_add_f32_e32 v6, v6, v7
	s_nop 1
	v_mov_b32_dpp v7, v6 row_bcast:15 row_mask:0xf bank_mask:0xf
	v_add_f32_e32 v6, v6, v7
	s_nop 1
	v_mov_b32_dpp v7, v6 row_bcast:31 row_mask:0xf bank_mask:0xf
	v_add_f32_e32 v6, v6, v7
	v_mbcnt_lo_u32_b32 v7, -1, 0
	v_mbcnt_hi_u32_b32 v7, -1, v7
	v_lshl_or_b32 v18, v7, 2, v8
	ds_bpermute_b32 v6, v18, v6
	s_and_saveexec_b64 s[18:19], s[0:1]
	s_cbranch_execnz .LBB123_16
; %bb.12:
	s_or_b64 exec, exec, s[18:19]
	s_mov_b64 s[18:19], -1
	s_and_b64 vcc, exec, s[2:3]
	s_cbranch_vccnz .LBB123_17
.LBB123_13:
	s_andn2_b64 vcc, exec, s[18:19]
	s_cbranch_vccz .LBB123_20
.LBB123_14:
	s_cmp_lt_i32 s12, 1
	s_cbranch_scc0 .LBB123_27
.LBB123_15:
	s_endpgm
.LBB123_16:
	v_cvt_f32_u32_e32 v7, s7
	s_mov_b32 s7, 0x800000
	s_waitcnt lgkmcnt(0)
	v_div_scale_f32 v8, s[24:25], v7, v7, v6
	v_rcp_f32_e32 v9, v8
	v_div_scale_f32 v19, vcc, v6, v7, v6
	v_fma_f32 v20, -v8, v9, 1.0
	v_fmac_f32_e32 v9, v20, v9
	v_mul_f32_e32 v20, v19, v9
	v_fma_f32 v21, -v8, v20, v19
	v_fmac_f32_e32 v20, v21, v9
	v_fma_f32 v8, -v8, v20, v19
	v_div_fmas_f32 v8, v8, v9, v20
	v_div_fixup_f32 v6, v8, v7, v6
	v_add_f32_e32 v6, s10, v6
	v_mul_f32_e32 v7, 0x4b800000, v6
	v_cmp_gt_f32_e32 vcc, s7, v6
	v_cndmask_b32_e32 v6, v6, v7, vcc
	v_rsq_f32_e32 v6, v6
	s_waitcnt vmcnt(0)
	v_cvt_f32_f16_sdwa v7, v2 dst_sel:DWORD dst_unused:UNUSED_PAD src0_sel:WORD_1
	v_cvt_f32_f16_sdwa v21, v3 dst_sel:DWORD dst_unused:UNUSED_PAD src0_sel:WORD_1
	v_cvt_f32_f16_e32 v20, v3
	v_mul_f32_e32 v8, 0x45800000, v6
	v_cndmask_b32_e32 v8, v6, v8, vcc
	v_mov_b32_e32 v9, v8
	;;#ASMSTART
	v_pk_mul_f32 v[12:13], v[12:13], v[8:9]
	;;#ASMEND
	;;#ASMSTART
	v_pk_mul_f32 v[16:17], v[16:17], v[8:9]
	;;#ASMEND
	;; [unrolled: 3-line block ×3, first 2 shown]
	v_cvt_f32_f16_e32 v6, v2
	;;#ASMSTART
	v_pk_mul_f32 v[2:3], v[10:11], v[8:9]
	;;#ASMEND
	v_cvt_f32_f16_sdwa v9, v4 dst_sel:DWORD dst_unused:UNUSED_PAD src0_sel:WORD_1
	v_cvt_f32_f16_e32 v8, v4
	v_cvt_f32_f16_sdwa v11, v5 dst_sel:DWORD dst_unused:UNUSED_PAD src0_sel:WORD_1
	v_cvt_f32_f16_e32 v10, v5
	v_pk_add_f32 v[6:7], v[6:7], 1.0 op_sel_hi:[1,0]
	v_pk_add_f32 v[4:5], v[8:9], 1.0 op_sel_hi:[1,0]
	;;#ASMSTART
	v_pk_mul_f32 v[12:13], v[12:13], v[6:7]
	;;#ASMEND
	v_pk_add_f32 v[6:7], v[20:21], 1.0 op_sel_hi:[1,0]
	;;#ASMSTART
	v_pk_mul_f32 v[16:17], v[16:17], v[6:7]
	;;#ASMEND
	;;#ASMSTART
	v_pk_mul_f32 v[14:15], v[14:15], v[4:5]
	;;#ASMEND
	v_pk_add_f32 v[4:5], v[10:11], 1.0 op_sel_hi:[1,0]
	;;#ASMSTART
	v_pk_mul_f32 v[10:11], v[2:3], v[4:5]
	;;#ASMEND
	s_or_b64 exec, exec, s[18:19]
	s_mov_b64 s[18:19], -1
	s_and_b64 vcc, exec, s[2:3]
	s_cbranch_vccz .LBB123_13
.LBB123_17:
	s_and_saveexec_b64 s[2:3], s[0:1]
	s_cbranch_execz .LBB123_19
; %bb.18:
	s_waitcnt lgkmcnt(0)
	s_mul_hi_i32 s19, s28, s6
	s_mul_i32 s18, s28, s6
	s_waitcnt vmcnt(0)
	v_cvt_f16_f32_e32 v2, v12
	v_cvt_f16_f32_e32 v3, v16
	v_cvt_f16_f32_e32 v4, v14
	v_cvt_f16_f32_e32 v5, v10
	v_cvt_f16_f32_e32 v6, v11
	v_cvt_f16_f32_e32 v7, v15
	v_cvt_f16_f32_e32 v8, v17
	v_cvt_f16_f32_e32 v9, v13
	s_lshl_b64 s[18:19], s[18:19], 1
	s_add_u32 s24, s34, s18
	s_addc_u32 s7, s35, s19
	s_and_b32 s25, s7, 0xffff
	s_mov_b32 s27, 0x20000
	v_pack_b32_f16 v5, v5, v6
	v_pack_b32_f16 v4, v4, v7
	v_pack_b32_f16 v3, v3, v8
	v_pack_b32_f16 v2, v2, v9
	v_lshlrev_b32_e32 v6, 4, v0
	buffer_store_dwordx4 v[2:5], v6, s[24:27], 0 offen
	;;#ASMSTART
	s_nop 0
	;;#ASMEND
.LBB123_19:
	s_or_b64 exec, exec, s[2:3]
	s_cbranch_execnz .LBB123_14
.LBB123_20:
	s_waitcnt vmcnt(0)
	v_mov_b32_e32 v2, 0
	s_and_saveexec_b64 s[2:3], s[0:1]
	s_cbranch_execz .LBB123_22
; %bb.21:
	v_and_b32_e32 v2, 0x7fffffff, v12
	v_and_b32_e32 v3, 0x7fffffff, v13
	v_mov_b32_e32 v4, 0x2edbe6ff
	;;#ASMSTART
	v_max3_f32 v2, v4, v2, v3

	;;#ASMEND
	v_and_b32_e32 v3, 0x7fffffff, v16
	v_and_b32_e32 v4, 0x7fffffff, v17
	;;#ASMSTART
	v_max3_f32 v2, v2, v3, v4

	;;#ASMEND
	v_and_b32_e32 v3, 0x7fffffff, v14
	v_and_b32_e32 v4, 0x7fffffff, v15
	;; [unrolled: 6-line block ×3, first 2 shown]
	;;#ASMSTART
	v_max3_f32 v2, v2, v3, v4

	;;#ASMEND
.LBB123_22:
	s_or_b64 exec, exec, s[2:3]
	;;#ASMSTART
	v_max_f32 v3, v2, v2 quad_perm:[1,0,3,2] row_mask:0xf bank_mask:0xf bound_ctrl:1
	;;#ASMEND
	;;#ASMSTART
	v_max_f32 v2, v3, v3 quad_perm:[2,3,0,1] row_mask:0xf bank_mask:0xf bound_ctrl:1
	;;#ASMEND
	;;#ASMSTART
	v_max_f32 v3, v2, v2 row_half_mirror row_mask:0xf bank_mask:0xf bound_ctrl:1
	;;#ASMEND
	;;#ASMSTART
	v_max_f32 v2, v3, v3 row_mirror row_mask:0xf bank_mask:0xf bound_ctrl:1
	;;#ASMEND
	v_and_b32_e32 v3, 15, v0
	v_cmp_eq_u32_e32 vcc, 0, v3
	v_cmp_gt_i32_e64 s[2:3], s11, v1
	s_and_b64 s[18:19], vcc, s[2:3]
	s_and_saveexec_b64 s[2:3], s[18:19]
	s_cbranch_execz .LBB123_24
; %bb.23:
	s_load_dwordx2 s[18:19], s[4:5], 0x8
	v_mul_f32_e32 v2, 0x3e2aaaab, v2
	v_lshrrev_b32_e32 v3, 23, v2
	v_and_b32_e32 v4, 0x7f800000, v2
	v_and_b32_e32 v2, 0x7fffff, v2
	v_cmp_ne_u32_e32 vcc, 0, v2
	s_waitcnt lgkmcnt(0)
	s_mul_i32 s10, s21, s6
	s_mov_b32 s7, 0x7f800000
	v_addc_co_u32_e32 v2, vcc, 0, v3, vcc
	s_mul_hi_i32 s8, s21, s6
	s_add_u32 s18, s18, s10
	v_cmp_ne_u32_e32 vcc, s7, v4
	s_addc_u32 s19, s19, s8
	v_lshrrev_b32_e32 v5, 4, v0
	v_cndmask_b32_e32 v4, -1, v2, vcc
	v_pk_mov_b32 v[2:3], s[18:19], s[18:19] op_sel:[0,1]
	v_mad_i64_i32 v[2:3], s[18:19], s22, v5, v[2:3]
	global_store_byte v[2:3], v4, off
.LBB123_24:
	s_or_b64 exec, exec, s[2:3]
	s_and_saveexec_b64 s[2:3], s[0:1]
	s_cbranch_execz .LBB123_26
; %bb.25:
	s_load_dwordx2 s[0:1], s[4:5], 0x0
	s_waitcnt lgkmcnt(0)
	s_mul_i32 s8, s20, s6
	s_mul_hi_i32 s7, s20, s6
	v_lshlrev_b32_e32 v2, 2, v0
	s_mov_b32 s23, 0x20000
	s_add_u32 s20, s0, s8
	s_addc_u32 s0, s1, s7
	s_lshr_b32 s1, s11, 31
	s_add_i32 s1, s11, s1
	s_ashr_i32 s1, s1, 1
	s_add_i32 s1, s1, 3
	s_ashr_i32 s7, s1, 31
	s_lshr_b32 s7, s7, 30
	s_add_i32 s1, s1, s7
	s_and_b32 s22, s1, -4
	s_and_b32 s21, s0, 0xffff
	v_mov_b32_e32 v3, 0
	buffer_store_dword v3, v2, s[20:23], 0 offen
	;;#ASMSTART
	s_nop 0
	;;#ASMEND
.LBB123_26:
	s_or_b64 exec, exec, s[2:3]
	s_cmp_lt_i32 s12, 1
	s_cbranch_scc1 .LBB123_15
.LBB123_27:
	s_load_dword s0, s[4:5], 0x94
	s_waitcnt lgkmcnt(0)
	s_cmp_lg_u32 s0, 1
	s_cbranch_scc1 .LBB123_15
; %bb.28:
	s_lshl_b32 s0, s12, 1
	s_add_i32 s0, s0, 2
	v_cmp_gt_u32_e32 vcc, s12, v1
	s_and_b32 s18, s0, -4
	v_mov_b32_e32 v8, 0
	v_lshlrev_b32_e32 v16, 4, v0
	s_waitcnt vmcnt(0)
	v_mov_b32_e32 v4, 0
	v_mov_b32_e32 v5, 0
	;; [unrolled: 1-line block ×8, first 2 shown]
	s_barrier
	s_and_saveexec_b64 s[0:1], vcc
	s_cbranch_execz .LBB123_30
; %bb.29:
	s_mul_hi_i32 s3, s14, s6
	s_mul_i32 s2, s14, s6
	s_and_b32 s17, s17, 0xffff
	s_lshl_b64 s[2:3], s[2:3], 1
	s_add_u32 s20, s30, s2
	s_mov_b32 s19, 0x20000
	s_addc_u32 s2, s31, s3
	s_and_b32 s21, s2, 0xffff
	s_mov_b32 s22, s18
	s_mov_b32 s23, s19
	buffer_load_dwordx4 v[4:7], v16, s[20:23], 0 offen glc slc
	buffer_load_dwordx4 v[0:3], v16, s[16:19], 0 offen
.LBB123_30:
	s_or_b64 exec, exec, s[0:1]
	v_mov_b32_e32 v9, 0
	v_mov_b32_e32 v12, 0
	;; [unrolled: 1-line block ×7, first 2 shown]
	s_and_saveexec_b64 s[0:1], vcc
	s_cbranch_execz .LBB123_32
; %bb.31:
	s_waitcnt vmcnt(1)
	v_cvt_f32_f16_sdwa v9, v4 dst_sel:DWORD dst_unused:UNUSED_PAD src0_sel:WORD_1
	v_cvt_f32_f16_e32 v8, v4
	v_cvt_f32_f16_sdwa v13, v5 dst_sel:DWORD dst_unused:UNUSED_PAD src0_sel:WORD_1
	v_cvt_f32_f16_e32 v12, v5
	;; [unrolled: 2-line block ×4, first 2 shown]
.LBB123_32:
	s_or_b64 exec, exec, s[0:1]
	s_waitcnt vmcnt(1)
	v_mul_f32_e32 v4, v9, v9
	v_fmac_f32_e32 v4, v8, v8
	v_fmac_f32_e32 v4, v12, v12
	;; [unrolled: 1-line block ×7, first 2 shown]
	s_nop 1
	v_mov_b32_dpp v5, v4 quad_perm:[1,0,3,2] row_mask:0xf bank_mask:0xf
	v_add_f32_e32 v4, v4, v5
	s_nop 1
	v_mov_b32_dpp v5, v4 quad_perm:[2,3,0,1] row_mask:0xf bank_mask:0xf
	v_add_f32_e32 v4, v4, v5
	s_nop 1
	v_mov_b32_dpp v5, v4 row_half_mirror row_mask:0xf bank_mask:0xf
	v_add_f32_e32 v4, v4, v5
	s_nop 1
	v_mov_b32_dpp v5, v4 row_mirror row_mask:0xf bank_mask:0xf
	v_add_f32_e32 v4, v4, v5
	s_nop 1
	v_mov_b32_dpp v5, v4 row_bcast:15 row_mask:0xf bank_mask:0xf
	v_add_f32_e32 v4, v4, v5
	s_nop 1
	v_mov_b32_dpp v5, v4 row_bcast:31 row_mask:0xf bank_mask:0xf
	v_add_f32_e32 v4, v4, v5
	ds_bpermute_b32 v4, v18, v4
	s_and_saveexec_b64 s[0:1], vcc
	s_cbranch_execz .LBB123_15
; %bb.33:
	v_cvt_f32_u32_e32 v5, s12
	s_mov_b32 s19, 0x20000
	s_waitcnt lgkmcnt(0)
	v_div_scale_f32 v6, s[0:1], v5, v5, v4
	v_rcp_f32_e32 v7, v6
	v_div_scale_f32 v17, vcc, v4, v5, v4
	s_mov_b32 s0, 0x800000
	v_fma_f32 v18, -v6, v7, 1.0
	v_fmac_f32_e32 v7, v18, v7
	v_mul_f32_e32 v18, v17, v7
	v_fma_f32 v19, -v6, v18, v17
	v_fmac_f32_e32 v18, v19, v7
	v_fma_f32 v6, -v6, v18, v17
	v_div_fmas_f32 v6, v6, v7, v18
	v_div_fixup_f32 v4, v6, v5, v4
	v_add_f32_e32 v4, s9, v4
	v_mul_f32_e32 v5, 0x4b800000, v4
	v_cmp_gt_f32_e32 vcc, s0, v4
	v_cndmask_b32_e32 v4, v4, v5, vcc
	v_rsq_f32_e32 v4, v4
	s_waitcnt vmcnt(0)
	v_cvt_f32_f16_sdwa v5, v0 dst_sel:DWORD dst_unused:UNUSED_PAD src0_sel:WORD_1
	v_cvt_f32_f16_sdwa v19, v1 dst_sel:DWORD dst_unused:UNUSED_PAD src0_sel:WORD_1
	v_cvt_f32_f16_e32 v18, v1
	v_mul_f32_e32 v6, 0x45800000, v4
	v_cndmask_b32_e32 v6, v4, v6, vcc
	v_cvt_f32_f16_e32 v4, v0
	v_mov_b32_e32 v7, v6
	;;#ASMSTART
	v_pk_mul_f32 v[8:9], v[8:9], v[6:7]
	;;#ASMEND
	;;#ASMSTART
	v_pk_mul_f32 v[12:13], v[12:13], v[6:7]
	;;#ASMEND
	v_pk_add_f32 v[4:5], v[4:5], 1.0 op_sel_hi:[1,0]
	;;#ASMSTART
	v_pk_mul_f32 v[14:15], v[14:15], v[6:7]
	;;#ASMEND
	;;#ASMSTART
	v_pk_mul_f32 v[0:1], v[10:11], v[6:7]
	;;#ASMEND
	;; [unrolled: 3-line block ×3, first 2 shown]
	v_cvt_f32_f16_sdwa v9, v2 dst_sel:DWORD dst_unused:UNUSED_PAD src0_sel:WORD_1
	v_cvt_f32_f16_e32 v8, v2
	v_cvt_f32_f16_sdwa v11, v3 dst_sel:DWORD dst_unused:UNUSED_PAD src0_sel:WORD_1
	v_cvt_f32_f16_e32 v10, v3
	v_pk_add_f32 v[6:7], v[18:19], 1.0 op_sel_hi:[1,0]
	;;#ASMSTART
	v_pk_mul_f32 v[2:3], v[12:13], v[6:7]
	;;#ASMEND
	v_pk_add_f32 v[6:7], v[8:9], 1.0 op_sel_hi:[1,0]
	;;#ASMSTART
	v_pk_mul_f32 v[6:7], v[14:15], v[6:7]
	;;#ASMEND
	;; [unrolled: 4-line block ×3, first 2 shown]
	s_mul_hi_i32 s1, s28, s6
	s_mul_i32 s0, s28, s6
	v_cvt_f16_f32_e32 v4, v4
	v_cvt_f16_f32_e32 v5, v5
	;; [unrolled: 1-line block ×8, first 2 shown]
	s_lshl_b64 s[0:1], s[0:1], 1
	s_add_u32 s16, s34, s0
	s_addc_u32 s0, s35, s1
	s_and_b32 s17, s0, 0xffff
	v_pack_b32_f16 v0, v4, v5
	v_pack_b32_f16 v1, v2, v3
	;; [unrolled: 1-line block ×4, first 2 shown]
	buffer_store_dwordx4 v[0:3], v16, s[16:19], 0 offen
	;;#ASMSTART
	s_nop 0
	;;#ASMEND
	s_endpgm
	.section	.rodata,"a",@progbits
	.p2align	6, 0x0
	.amdhsa_kernel _ZN5aiter35fused_qk_rmsnorm_group_quant_kernelIDF16_N4opus5fp4_tELi64ELi8ELi16ELb1ELb0ELb1ELb0ELb0ELb0EEEvPT0_PvPT_S7_S7_PKS6_S9_S9_S9_S9_ffiiiiiiiiiiiii
		.amdhsa_group_segment_fixed_size 0
		.amdhsa_private_segment_fixed_size 0
		.amdhsa_kernarg_size 400
		.amdhsa_user_sgpr_count 6
		.amdhsa_user_sgpr_private_segment_buffer 1
		.amdhsa_user_sgpr_dispatch_ptr 0
		.amdhsa_user_sgpr_queue_ptr 0
		.amdhsa_user_sgpr_kernarg_segment_ptr 1
		.amdhsa_user_sgpr_dispatch_id 0
		.amdhsa_user_sgpr_flat_scratch_init 0
		.amdhsa_user_sgpr_kernarg_preload_length 0
		.amdhsa_user_sgpr_kernarg_preload_offset 0
		.amdhsa_user_sgpr_private_segment_size 0
		.amdhsa_uses_dynamic_stack 0
		.amdhsa_system_sgpr_private_segment_wavefront_offset 0
		.amdhsa_system_sgpr_workgroup_id_x 1
		.amdhsa_system_sgpr_workgroup_id_y 1
		.amdhsa_system_sgpr_workgroup_id_z 0
		.amdhsa_system_sgpr_workgroup_info 0
		.amdhsa_system_vgpr_workitem_id 0
		.amdhsa_next_free_vgpr 25
		.amdhsa_next_free_sgpr 40
		.amdhsa_accum_offset 28
		.amdhsa_reserve_vcc 1
		.amdhsa_reserve_flat_scratch 0
		.amdhsa_float_round_mode_32 0
		.amdhsa_float_round_mode_16_64 0
		.amdhsa_float_denorm_mode_32 3
		.amdhsa_float_denorm_mode_16_64 3
		.amdhsa_dx10_clamp 1
		.amdhsa_ieee_mode 1
		.amdhsa_fp16_overflow 0
		.amdhsa_tg_split 0
		.amdhsa_exception_fp_ieee_invalid_op 0
		.amdhsa_exception_fp_denorm_src 0
		.amdhsa_exception_fp_ieee_div_zero 0
		.amdhsa_exception_fp_ieee_overflow 0
		.amdhsa_exception_fp_ieee_underflow 0
		.amdhsa_exception_fp_ieee_inexact 0
		.amdhsa_exception_int_div_zero 0
	.end_amdhsa_kernel
	.section	.text._ZN5aiter35fused_qk_rmsnorm_group_quant_kernelIDF16_N4opus5fp4_tELi64ELi8ELi16ELb1ELb0ELb1ELb0ELb0ELb0EEEvPT0_PvPT_S7_S7_PKS6_S9_S9_S9_S9_ffiiiiiiiiiiiii,"axG",@progbits,_ZN5aiter35fused_qk_rmsnorm_group_quant_kernelIDF16_N4opus5fp4_tELi64ELi8ELi16ELb1ELb0ELb1ELb0ELb0ELb0EEEvPT0_PvPT_S7_S7_PKS6_S9_S9_S9_S9_ffiiiiiiiiiiiii,comdat
.Lfunc_end123:
	.size	_ZN5aiter35fused_qk_rmsnorm_group_quant_kernelIDF16_N4opus5fp4_tELi64ELi8ELi16ELb1ELb0ELb1ELb0ELb0ELb0EEEvPT0_PvPT_S7_S7_PKS6_S9_S9_S9_S9_ffiiiiiiiiiiiii, .Lfunc_end123-_ZN5aiter35fused_qk_rmsnorm_group_quant_kernelIDF16_N4opus5fp4_tELi64ELi8ELi16ELb1ELb0ELb1ELb0ELb0ELb0EEEvPT0_PvPT_S7_S7_PKS6_S9_S9_S9_S9_ffiiiiiiiiiiiii
                                        ; -- End function
	.section	.AMDGPU.csdata,"",@progbits
; Kernel info:
; codeLenInByte = 2624
; NumSgprs: 44
; NumVgprs: 25
; NumAgprs: 0
; TotalNumVgprs: 25
; ScratchSize: 0
; MemoryBound: 0
; FloatMode: 240
; IeeeMode: 1
; LDSByteSize: 0 bytes/workgroup (compile time only)
; SGPRBlocks: 5
; VGPRBlocks: 3
; NumSGPRsForWavesPerEU: 44
; NumVGPRsForWavesPerEU: 25
; AccumOffset: 28
; Occupancy: 8
; WaveLimiterHint : 0
; COMPUTE_PGM_RSRC2:SCRATCH_EN: 0
; COMPUTE_PGM_RSRC2:USER_SGPR: 6
; COMPUTE_PGM_RSRC2:TRAP_HANDLER: 0
; COMPUTE_PGM_RSRC2:TGID_X_EN: 1
; COMPUTE_PGM_RSRC2:TGID_Y_EN: 1
; COMPUTE_PGM_RSRC2:TGID_Z_EN: 0
; COMPUTE_PGM_RSRC2:TIDIG_COMP_CNT: 0
; COMPUTE_PGM_RSRC3_GFX90A:ACCUM_OFFSET: 6
; COMPUTE_PGM_RSRC3_GFX90A:TG_SPLIT: 0
	.section	.text._ZN5aiter35fused_qk_rmsnorm_group_quant_kernelItN4opus5fp4_tELi64ELi8ELi16ELb1ELb0ELb1ELb0ELb0ELb0EEEvPT0_PvPT_S7_S7_PKS6_S9_S9_S9_S9_ffiiiiiiiiiiiii,"axG",@progbits,_ZN5aiter35fused_qk_rmsnorm_group_quant_kernelItN4opus5fp4_tELi64ELi8ELi16ELb1ELb0ELb1ELb0ELb0ELb0EEEvPT0_PvPT_S7_S7_PKS6_S9_S9_S9_S9_ffiiiiiiiiiiiii,comdat
	.protected	_ZN5aiter35fused_qk_rmsnorm_group_quant_kernelItN4opus5fp4_tELi64ELi8ELi16ELb1ELb0ELb1ELb0ELb0ELb0EEEvPT0_PvPT_S7_S7_PKS6_S9_S9_S9_S9_ffiiiiiiiiiiiii ; -- Begin function _ZN5aiter35fused_qk_rmsnorm_group_quant_kernelItN4opus5fp4_tELi64ELi8ELi16ELb1ELb0ELb1ELb0ELb0ELb0EEEvPT0_PvPT_S7_S7_PKS6_S9_S9_S9_S9_ffiiiiiiiiiiiii
	.globl	_ZN5aiter35fused_qk_rmsnorm_group_quant_kernelItN4opus5fp4_tELi64ELi8ELi16ELb1ELb0ELb1ELb0ELb0ELb0EEEvPT0_PvPT_S7_S7_PKS6_S9_S9_S9_S9_ffiiiiiiiiiiiii
	.p2align	8
	.type	_ZN5aiter35fused_qk_rmsnorm_group_quant_kernelItN4opus5fp4_tELi64ELi8ELi16ELb1ELb0ELb1ELb0ELb0ELb0EEEvPT0_PvPT_S7_S7_PKS6_S9_S9_S9_S9_ffiiiiiiiiiiiii,@function
_ZN5aiter35fused_qk_rmsnorm_group_quant_kernelItN4opus5fp4_tELi64ELi8ELi16ELb1ELb0ELb1ELb0ELb0ELb0EEEvPT0_PvPT_S7_S7_PKS6_S9_S9_S9_S9_ffiiiiiiiiiiiii: ; @_ZN5aiter35fused_qk_rmsnorm_group_quant_kernelItN4opus5fp4_tELi64ELi8ELi16ELb1ELb0ELb1ELb0ELb0ELb0EEEvPT0_PvPT_S7_S7_PKS6_S9_S9_S9_S9_ffiiiiiiiiiiiii
; %bb.0:
	s_load_dwordx8 s[8:15], s[4:5], 0x50
	s_waitcnt lgkmcnt(0)
	s_cmp_ge_i32 s6, s10
	s_cbranch_scc1 .LBB124_15
; %bb.1:
	s_cmp_lg_u32 s7, 0
	s_cselect_b64 s[2:3], -1, 0
	s_cmp_eq_u32 s7, 0
	s_cselect_b64 s[24:25], -1, 0
	s_and_b64 s[0:1], s[24:25], exec
	s_load_dwordx2 s[16:17], s[4:5], 0x48
	s_load_dwordx2 s[30:31], s[4:5], 0x30
	s_load_dwordx4 s[20:23], s[4:5], 0x70
	s_cselect_b32 s7, s11, s12
	s_add_i32 s0, s7, 1
	s_lshr_b32 s1, s0, 31
	s_add_i32 s0, s0, s1
	s_lshl_b32 s0, s0, 1
	v_lshlrev_b32_e32 v1, 3, v0
	s_and_b32 s26, s0, -4
	v_cmp_gt_i32_e64 s[0:1], s7, v1
	v_mov_b32_e32 v10, 0
	v_mov_b32_e32 v11, 0
	;; [unrolled: 1-line block ×8, first 2 shown]
	s_and_saveexec_b64 s[18:19], s[0:1]
	s_cbranch_execz .LBB124_3
; %bb.2:
	s_load_dwordx2 s[28:29], s[4:5], 0x28
	s_load_dwordx2 s[34:35], s[4:5], 0x40
	s_and_b64 s[36:37], s[24:25], exec
	s_cselect_b32 s10, s13, s14
	s_mov_b32 s27, 0x20000
	s_waitcnt lgkmcnt(0)
	s_cselect_b32 s13, s29, s31
	s_cselect_b32 s23, s28, s30
	s_mul_hi_i32 s29, s10, s6
	s_mul_i32 s28, s10, s6
	s_lshl_b64 s[28:29], s[28:29], 1
	s_add_u32 s36, s23, s28
	s_addc_u32 s10, s13, s29
	s_and_b64 s[24:25], s[24:25], exec
	s_cselect_b32 s24, s34, s16
	s_cselect_b32 s13, s35, s17
	v_lshlrev_b32_e32 v2, 4, v0
	s_and_b32 s37, s10, 0xffff
	s_mov_b32 s38, s26
	s_mov_b32 s39, s27
	s_and_b32 s25, s13, 0xffff
	buffer_load_dwordx4 v[14:17], v2, s[36:39], 0 offen glc slc
	buffer_load_dwordx4 v[10:13], v2, s[24:27], 0 offen
.LBB124_3:
	s_or_b64 exec, exec, s[18:19]
	s_load_dwordx2 s[28:29], s[4:5], 0x80
	s_and_b64 vcc, exec, s[2:3]
	s_cbranch_vccz .LBB124_7
; %bb.4:
	s_mov_b32 s36, 0
	s_mov_b32 s37, s36
	;; [unrolled: 1-line block ×8, first 2 shown]
	v_pk_mov_b32 v[2:3], s[36:37], s[36:37] op_sel:[0,1]
	v_pk_mov_b32 v[4:5], s[38:39], s[38:39] op_sel:[0,1]
	;; [unrolled: 1-line block ×4, first 2 shown]
	s_and_saveexec_b64 s[18:19], s[0:1]
	s_cbranch_execz .LBB124_6
; %bb.5:
	s_waitcnt vmcnt(1)
	v_cvt_f32_u32_sdwa v3, v14 dst_sel:DWORD dst_unused:UNUSED_PAD src0_sel:WORD_1
	v_cvt_f32_u32_sdwa v2, v14 dst_sel:DWORD dst_unused:UNUSED_PAD src0_sel:WORD_0
	v_cvt_f32_u32_sdwa v5, v15 dst_sel:DWORD dst_unused:UNUSED_PAD src0_sel:WORD_1
	v_cvt_f32_u32_sdwa v4, v15 dst_sel:DWORD dst_unused:UNUSED_PAD src0_sel:WORD_0
	;; [unrolled: 2-line block ×4, first 2 shown]
.LBB124_6:
	s_or_b64 exec, exec, s[18:19]
	s_mov_b32 s10, s9
	s_cbranch_execz .LBB124_8
	s_branch .LBB124_11
.LBB124_7:
                                        ; implicit-def: $vgpr2_vgpr3_vgpr4_vgpr5_vgpr6_vgpr7_vgpr8_vgpr9
	s_mov_b32 s10, s9
.LBB124_8:
	s_mov_b32 s36, 0
	s_mov_b32 s37, s36
	;; [unrolled: 1-line block ×8, first 2 shown]
	v_pk_mov_b32 v[2:3], s[36:37], s[36:37] op_sel:[0,1]
	v_pk_mov_b32 v[4:5], s[38:39], s[38:39] op_sel:[0,1]
	;; [unrolled: 1-line block ×4, first 2 shown]
	s_and_saveexec_b64 s[18:19], s[0:1]
	s_cbranch_execz .LBB124_10
; %bb.9:
	s_load_dwordx2 s[24:25], s[4:5], 0x38
	s_mul_hi_i32 s35, s15, s6
	s_mul_i32 s34, s15, s6
	s_lshl_b64 s[34:35], s[34:35], 1
	s_mov_b32 s27, 0x20000
	s_waitcnt lgkmcnt(0)
	s_add_u32 s24, s24, s34
	s_addc_u32 s10, s25, s35
	s_and_b32 s25, s10, 0xffff
	v_lshlrev_b32_e32 v26, 4, v0
	buffer_load_dwordx4 v[2:5], v26, s[24:27], 0 offen glc slc
	s_load_dwordx2 s[24:25], s[4:5], 0x20
	s_waitcnt vmcnt(2)
	v_cvt_f32_u32_sdwa v7, v14 dst_sel:DWORD dst_unused:UNUSED_PAD src0_sel:WORD_1
	v_cvt_f32_u32_sdwa v6, v14 dst_sel:DWORD dst_unused:UNUSED_PAD src0_sel:WORD_0
	v_cvt_f32_u32_sdwa v9, v15 dst_sel:DWORD dst_unused:UNUSED_PAD src0_sel:WORD_1
	v_cvt_f32_u32_sdwa v8, v15 dst_sel:DWORD dst_unused:UNUSED_PAD src0_sel:WORD_0
	;; [unrolled: 2-line block ×4, first 2 shown]
	s_mul_hi_i32 s35, s29, s6
	s_mul_i32 s34, s29, s6
	s_lshl_b64 s[34:35], s[34:35], 1
	s_waitcnt lgkmcnt(0)
	s_add_u32 s24, s24, s34
	s_mov_b32 s10, 0x7060302
	s_addc_u32 s13, s25, s35
	s_and_b32 s25, s13, 0xffff
	s_waitcnt vmcnt(0)
	v_cvt_f32_u32_sdwa v17, v2 dst_sel:DWORD dst_unused:UNUSED_PAD src0_sel:WORD_1
	v_cvt_f32_u32_sdwa v16, v2 dst_sel:DWORD dst_unused:UNUSED_PAD src0_sel:WORD_0
	v_cvt_f32_u32_sdwa v21, v3 dst_sel:DWORD dst_unused:UNUSED_PAD src0_sel:WORD_1
	v_cvt_f32_u32_sdwa v20, v3 dst_sel:DWORD dst_unused:UNUSED_PAD src0_sel:WORD_0
	;; [unrolled: 2-line block ×4, first 2 shown]
	v_pk_add_f32 v[2:3], v[6:7], v[16:17]
	v_pk_add_f32 v[4:5], v[8:9], v[20:21]
	;; [unrolled: 1-line block ×4, first 2 shown]
	v_perm_b32 v17, v9, v8, s10
	v_perm_b32 v16, v7, v6, s10
	;; [unrolled: 1-line block ×4, first 2 shown]
	buffer_store_dwordx4 v[14:17], v26, s[24:27], 0 offen glc slc
	;;#ASMSTART
	s_nop 0
	;;#ASMEND
.LBB124_10:
	s_or_b64 exec, exec, s[18:19]
	s_mov_b32 s10, s8
.LBB124_11:
	s_waitcnt vmcnt(1)
	v_mul_f32_e32 v14, v3, v3
	v_fmac_f32_e32 v14, v2, v2
	v_fmac_f32_e32 v14, v4, v4
	;; [unrolled: 1-line block ×7, first 2 shown]
	v_bfrev_b32_e32 v16, 0.5
	s_load_dwordx2 s[34:35], s[4:5], 0x18
	v_mov_b32_dpp v15, v14 quad_perm:[1,0,3,2] row_mask:0xf bank_mask:0xf
	v_add_f32_e32 v14, v14, v15
	s_nop 1
	v_mov_b32_dpp v15, v14 quad_perm:[2,3,0,1] row_mask:0xf bank_mask:0xf
	v_add_f32_e32 v14, v14, v15
	s_nop 1
	v_mov_b32_dpp v15, v14 row_half_mirror row_mask:0xf bank_mask:0xf
	v_add_f32_e32 v14, v14, v15
	s_nop 1
	v_mov_b32_dpp v15, v14 row_mirror row_mask:0xf bank_mask:0xf
	v_add_f32_e32 v14, v14, v15
	s_nop 1
	v_mov_b32_dpp v15, v14 row_bcast:15 row_mask:0xf bank_mask:0xf
	v_add_f32_e32 v14, v14, v15
	s_nop 1
	v_mov_b32_dpp v15, v14 row_bcast:31 row_mask:0xf bank_mask:0xf
	v_add_f32_e32 v15, v14, v15
	v_mbcnt_lo_u32_b32 v14, -1, 0
	v_mbcnt_hi_u32_b32 v14, -1, v14
	v_lshl_or_b32 v14, v14, 2, v16
	ds_bpermute_b32 v15, v14, v15
	s_and_saveexec_b64 s[18:19], s[0:1]
	s_cbranch_execnz .LBB124_16
; %bb.12:
	s_or_b64 exec, exec, s[18:19]
	s_mov_b64 s[18:19], -1
	s_and_b64 vcc, exec, s[2:3]
	s_cbranch_vccnz .LBB124_17
.LBB124_13:
	s_andn2_b64 vcc, exec, s[18:19]
	s_cbranch_vccz .LBB124_20
.LBB124_14:
	s_cmp_lt_i32 s12, 1
	s_cbranch_scc0 .LBB124_27
.LBB124_15:
	s_endpgm
.LBB124_16:
	v_cvt_f32_u32_e32 v16, s7
	s_mov_b32 s7, 0x800000
	s_waitcnt lgkmcnt(0)
	v_div_scale_f32 v17, s[24:25], v16, v16, v15
	v_rcp_f32_e32 v18, v17
	v_div_scale_f32 v19, vcc, v15, v16, v15
	v_fma_f32 v20, -v17, v18, 1.0
	v_fmac_f32_e32 v18, v20, v18
	v_mul_f32_e32 v20, v19, v18
	v_fma_f32 v21, -v17, v20, v19
	v_fmac_f32_e32 v20, v21, v18
	v_fma_f32 v17, -v17, v20, v19
	v_div_fmas_f32 v17, v17, v18, v20
	v_div_fixup_f32 v15, v17, v16, v15
	v_add_f32_e32 v15, s10, v15
	v_mul_f32_e32 v16, 0x4b800000, v15
	v_cmp_gt_f32_e32 vcc, s7, v15
	v_cndmask_b32_e32 v15, v15, v16, vcc
	v_rsq_f32_e32 v15, v15
	s_waitcnt vmcnt(0)
	v_cvt_f32_u32_sdwa v17, v10 dst_sel:DWORD dst_unused:UNUSED_PAD src0_sel:WORD_1
	v_cvt_f32_u32_sdwa v21, v11 dst_sel:DWORD dst_unused:UNUSED_PAD src0_sel:WORD_1
	v_cvt_f32_u32_sdwa v20, v11 dst_sel:DWORD dst_unused:UNUSED_PAD src0_sel:WORD_0
	v_mul_f32_e32 v16, 0x45800000, v15
	v_cndmask_b32_e32 v18, v15, v16, vcc
	v_cvt_f32_u32_sdwa v16, v10 dst_sel:DWORD dst_unused:UNUSED_PAD src0_sel:WORD_0
	v_mov_b32_e32 v19, v18
	;;#ASMSTART
	v_pk_mul_f32 v[2:3], v[2:3], v[18:19]
	;;#ASMEND
	;;#ASMSTART
	v_pk_mul_f32 v[4:5], v[4:5], v[18:19]
	;;#ASMEND
	v_pk_add_f32 v[10:11], v[16:17], 1.0 op_sel_hi:[1,0]
	v_cvt_f32_u32_sdwa v17, v12 dst_sel:DWORD dst_unused:UNUSED_PAD src0_sel:WORD_1
	v_cvt_f32_u32_sdwa v16, v12 dst_sel:DWORD dst_unused:UNUSED_PAD src0_sel:WORD_0
	;;#ASMSTART
	v_pk_mul_f32 v[6:7], v[6:7], v[18:19]
	;;#ASMEND
	;;#ASMSTART
	v_pk_mul_f32 v[8:9], v[8:9], v[18:19]
	;;#ASMEND
	v_cvt_f32_u32_sdwa v19, v13 dst_sel:DWORD dst_unused:UNUSED_PAD src0_sel:WORD_1
	v_cvt_f32_u32_sdwa v18, v13 dst_sel:DWORD dst_unused:UNUSED_PAD src0_sel:WORD_0
	;;#ASMSTART
	v_pk_mul_f32 v[2:3], v[2:3], v[10:11]
	;;#ASMEND
	v_pk_add_f32 v[10:11], v[20:21], 1.0 op_sel_hi:[1,0]
	;;#ASMSTART
	v_pk_mul_f32 v[4:5], v[4:5], v[10:11]
	;;#ASMEND
	v_pk_add_f32 v[10:11], v[16:17], 1.0 op_sel_hi:[1,0]
	;; [unrolled: 4-line block ×3, first 2 shown]
	;;#ASMSTART
	v_pk_mul_f32 v[8:9], v[8:9], v[10:11]
	;;#ASMEND
	s_or_b64 exec, exec, s[18:19]
	s_mov_b64 s[18:19], -1
	s_and_b64 vcc, exec, s[2:3]
	s_cbranch_vccz .LBB124_13
.LBB124_17:
	s_and_saveexec_b64 s[2:3], s[0:1]
	s_cbranch_execz .LBB124_19
; %bb.18:
	s_waitcnt lgkmcnt(0)
	s_mul_hi_i32 s19, s28, s6
	s_mul_i32 s18, s28, s6
	s_lshl_b64 s[18:19], s[18:19], 1
	s_add_u32 s24, s34, s18
	s_addc_u32 s7, s35, s19
	s_and_b32 s25, s7, 0xffff
	s_mov_b32 s7, 0x7060302
	s_mov_b32 s27, 0x20000
	s_waitcnt vmcnt(0)
	v_perm_b32 v10, v3, v2, s7
	v_perm_b32 v11, v5, v4, s7
	;; [unrolled: 1-line block ×4, first 2 shown]
	v_lshlrev_b32_e32 v15, 4, v0
	buffer_store_dwordx4 v[10:13], v15, s[24:27], 0 offen
	;;#ASMSTART
	s_nop 0
	;;#ASMEND
.LBB124_19:
	s_or_b64 exec, exec, s[2:3]
	s_cbranch_execnz .LBB124_14
.LBB124_20:
	s_waitcnt vmcnt(0)
	v_mov_b32_e32 v10, 0
	s_and_saveexec_b64 s[2:3], s[0:1]
	s_cbranch_execz .LBB124_22
; %bb.21:
	v_and_b32_e32 v2, 0x7fffffff, v2
	v_and_b32_e32 v3, 0x7fffffff, v3
	v_mov_b32_e32 v10, 0x2edbe6ff
	;;#ASMSTART
	v_max3_f32 v2, v10, v2, v3

	;;#ASMEND
	v_and_b32_e32 v3, 0x7fffffff, v4
	v_and_b32_e32 v4, 0x7fffffff, v5
	;;#ASMSTART
	v_max3_f32 v2, v2, v3, v4

	;;#ASMEND
	v_and_b32_e32 v3, 0x7fffffff, v6
	v_and_b32_e32 v4, 0x7fffffff, v7
	;; [unrolled: 6-line block ×3, first 2 shown]
	;;#ASMSTART
	v_max3_f32 v10, v2, v3, v4

	;;#ASMEND
.LBB124_22:
	s_or_b64 exec, exec, s[2:3]
	;;#ASMSTART
	v_max_f32 v2, v10, v10 quad_perm:[1,0,3,2] row_mask:0xf bank_mask:0xf bound_ctrl:1
	;;#ASMEND
	;;#ASMSTART
	v_max_f32 v3, v2, v2 quad_perm:[2,3,0,1] row_mask:0xf bank_mask:0xf bound_ctrl:1
	;;#ASMEND
	;;#ASMSTART
	v_max_f32 v4, v3, v3 row_half_mirror row_mask:0xf bank_mask:0xf bound_ctrl:1
	;;#ASMEND
	v_and_b32_e32 v3, 15, v0
	v_cmp_eq_u32_e32 vcc, 0, v3
	v_cmp_gt_i32_e64 s[2:3], s11, v1
	s_and_b64 s[18:19], vcc, s[2:3]
	;;#ASMSTART
	v_max_f32 v2, v4, v4 row_mirror row_mask:0xf bank_mask:0xf bound_ctrl:1
	;;#ASMEND
	s_and_saveexec_b64 s[2:3], s[18:19]
	s_cbranch_execz .LBB124_24
; %bb.23:
	s_load_dwordx2 s[18:19], s[4:5], 0x8
	v_mul_f32_e32 v2, 0x3e2aaaab, v2
	v_lshrrev_b32_e32 v3, 23, v2
	v_and_b32_e32 v4, 0x7f800000, v2
	v_and_b32_e32 v2, 0x7fffff, v2
	v_cmp_ne_u32_e32 vcc, 0, v2
	s_waitcnt lgkmcnt(0)
	s_mul_i32 s10, s21, s6
	s_mov_b32 s7, 0x7f800000
	v_addc_co_u32_e32 v2, vcc, 0, v3, vcc
	s_mul_hi_i32 s8, s21, s6
	s_add_u32 s18, s18, s10
	v_cmp_ne_u32_e32 vcc, s7, v4
	s_addc_u32 s19, s19, s8
	v_lshrrev_b32_e32 v5, 4, v0
	v_cndmask_b32_e32 v4, -1, v2, vcc
	v_pk_mov_b32 v[2:3], s[18:19], s[18:19] op_sel:[0,1]
	v_mad_i64_i32 v[2:3], s[18:19], s22, v5, v[2:3]
	global_store_byte v[2:3], v4, off
.LBB124_24:
	s_or_b64 exec, exec, s[2:3]
	s_and_saveexec_b64 s[2:3], s[0:1]
	s_cbranch_execz .LBB124_26
; %bb.25:
	s_load_dwordx2 s[0:1], s[4:5], 0x0
	s_waitcnt lgkmcnt(0)
	s_mul_i32 s8, s20, s6
	s_mul_hi_i32 s7, s20, s6
	v_lshlrev_b32_e32 v2, 2, v0
	s_mov_b32 s23, 0x20000
	s_add_u32 s20, s0, s8
	s_addc_u32 s0, s1, s7
	s_lshr_b32 s1, s11, 31
	s_add_i32 s1, s11, s1
	s_ashr_i32 s1, s1, 1
	s_add_i32 s1, s1, 3
	s_ashr_i32 s7, s1, 31
	s_lshr_b32 s7, s7, 30
	s_add_i32 s1, s1, s7
	s_and_b32 s22, s1, -4
	s_and_b32 s21, s0, 0xffff
	v_mov_b32_e32 v3, 0
	buffer_store_dword v3, v2, s[20:23], 0 offen
	;;#ASMSTART
	s_nop 0
	;;#ASMEND
.LBB124_26:
	s_or_b64 exec, exec, s[2:3]
	s_cmp_lt_i32 s12, 1
	s_cbranch_scc1 .LBB124_15
.LBB124_27:
	s_load_dword s0, s[4:5], 0x94
	s_waitcnt lgkmcnt(0)
	s_cmp_lg_u32 s0, 1
	s_cbranch_scc1 .LBB124_15
; %bb.28:
	s_lshl_b32 s0, s12, 1
	s_add_i32 s0, s0, 2
	v_cmp_gt_u32_e32 vcc, s12, v1
	s_and_b32 s18, s0, -4
	v_mov_b32_e32 v4, 0
	s_waitcnt vmcnt(0)
	v_lshlrev_b32_e32 v12, 4, v0
	v_mov_b32_e32 v5, 0
	v_mov_b32_e32 v6, 0
	;; [unrolled: 1-line block ×7, first 2 shown]
	s_barrier
	s_and_saveexec_b64 s[0:1], vcc
	s_cbranch_execz .LBB124_30
; %bb.29:
	s_mul_hi_i32 s3, s14, s6
	s_mul_i32 s2, s14, s6
	s_and_b32 s17, s17, 0xffff
	s_lshl_b64 s[2:3], s[2:3], 1
	s_add_u32 s20, s30, s2
	s_mov_b32 s19, 0x20000
	s_addc_u32 s2, s31, s3
	s_and_b32 s21, s2, 0xffff
	s_mov_b32 s22, s18
	s_mov_b32 s23, s19
	buffer_load_dwordx4 v[4:7], v12, s[20:23], 0 offen glc slc
	buffer_load_dwordx4 v[0:3], v12, s[16:19], 0 offen
.LBB124_30:
	s_or_b64 exec, exec, s[0:1]
	s_waitcnt vmcnt(1)
	v_cvt_f32_u32_sdwa v11, v4 dst_sel:DWORD dst_unused:UNUSED_PAD src0_sel:WORD_1
	v_cvt_f32_u32_sdwa v10, v4 dst_sel:DWORD dst_unused:UNUSED_PAD src0_sel:WORD_0
	v_cvt_f32_u32_sdwa v4, v7 dst_sel:DWORD dst_unused:UNUSED_PAD src0_sel:WORD_1
	v_cvt_f32_u32_sdwa v7, v7 dst_sel:DWORD dst_unused:UNUSED_PAD src0_sel:WORD_0
	;; [unrolled: 2-line block ×4, first 2 shown]
	v_cndmask_b32_e32 v11, 0, v11, vcc
	v_cndmask_b32_e32 v5, 0, v4, vcc
	;; [unrolled: 1-line block ×5, first 2 shown]
	v_mul_f32_e32 v13, v11, v11
	v_cndmask_b32_e32 v8, 0, v8, vcc
	v_fmac_f32_e32 v13, v10, v10
	v_cndmask_b32_e32 v9, 0, v9, vcc
	v_fmac_f32_e32 v13, v8, v8
	;; [unrolled: 2-line block ×3, first 2 shown]
	v_fmac_f32_e32 v13, v6, v6
	v_fmac_f32_e32 v13, v7, v7
	;; [unrolled: 1-line block ×4, first 2 shown]
	s_nop 1
	v_mov_b32_dpp v15, v13 quad_perm:[1,0,3,2] row_mask:0xf bank_mask:0xf
	v_add_f32_e32 v13, v13, v15
	s_nop 1
	v_mov_b32_dpp v15, v13 quad_perm:[2,3,0,1] row_mask:0xf bank_mask:0xf
	v_add_f32_e32 v13, v13, v15
	s_nop 1
	v_mov_b32_dpp v15, v13 row_half_mirror row_mask:0xf bank_mask:0xf
	v_add_f32_e32 v13, v13, v15
	s_nop 1
	v_mov_b32_dpp v15, v13 row_mirror row_mask:0xf bank_mask:0xf
	v_add_f32_e32 v13, v13, v15
	s_nop 1
	v_mov_b32_dpp v15, v13 row_bcast:15 row_mask:0xf bank_mask:0xf
	v_add_f32_e32 v13, v13, v15
	s_nop 1
	v_mov_b32_dpp v15, v13 row_bcast:31 row_mask:0xf bank_mask:0xf
	v_add_f32_e32 v13, v13, v15
	ds_bpermute_b32 v13, v14, v13
	s_and_saveexec_b64 s[0:1], vcc
	s_cbranch_execz .LBB124_15
; %bb.31:
	v_cvt_f32_u32_e32 v14, s12
	s_mov_b32 s19, 0x20000
	s_waitcnt lgkmcnt(0)
	v_div_scale_f32 v15, s[0:1], v14, v14, v13
	v_rcp_f32_e32 v16, v15
	v_div_scale_f32 v17, vcc, v13, v14, v13
	s_mov_b32 s0, 0x800000
	v_fma_f32 v18, -v15, v16, 1.0
	v_fmac_f32_e32 v16, v18, v16
	v_mul_f32_e32 v18, v17, v16
	v_fma_f32 v19, -v15, v18, v17
	v_fmac_f32_e32 v18, v19, v16
	v_fma_f32 v15, -v15, v18, v17
	v_div_fmas_f32 v15, v15, v16, v18
	v_div_fixup_f32 v13, v15, v14, v13
	v_add_f32_e32 v13, s9, v13
	v_mul_f32_e32 v14, 0x4b800000, v13
	v_cmp_gt_f32_e32 vcc, s0, v13
	v_cndmask_b32_e32 v13, v13, v14, vcc
	v_rsq_f32_e32 v13, v13
	s_waitcnt vmcnt(0)
	v_cvt_f32_u32_sdwa v15, v0 dst_sel:DWORD dst_unused:UNUSED_PAD src0_sel:WORD_1
	v_cvt_f32_u32_sdwa v19, v1 dst_sel:DWORD dst_unused:UNUSED_PAD src0_sel:WORD_1
	v_cvt_f32_u32_sdwa v18, v1 dst_sel:DWORD dst_unused:UNUSED_PAD src0_sel:WORD_0
	v_mul_f32_e32 v14, 0x45800000, v13
	v_cndmask_b32_e32 v16, v13, v14, vcc
	v_cvt_f32_u32_sdwa v14, v0 dst_sel:DWORD dst_unused:UNUSED_PAD src0_sel:WORD_0
	v_mov_b32_e32 v17, v16
	;;#ASMSTART
	v_pk_mul_f32 v[10:11], v[10:11], v[16:17]
	;;#ASMEND
	;;#ASMSTART
	v_pk_mul_f32 v[8:9], v[8:9], v[16:17]
	;;#ASMEND
	;; [unrolled: 3-line block ×4, first 2 shown]
	v_pk_add_f32 v[4:5], v[14:15], 1.0 op_sel_hi:[1,0]
	v_cvt_f32_u32_sdwa v15, v2 dst_sel:DWORD dst_unused:UNUSED_PAD src0_sel:WORD_1
	v_cvt_f32_u32_sdwa v14, v2 dst_sel:DWORD dst_unused:UNUSED_PAD src0_sel:WORD_0
	v_cvt_f32_u32_sdwa v17, v3 dst_sel:DWORD dst_unused:UNUSED_PAD src0_sel:WORD_1
	v_cvt_f32_u32_sdwa v16, v3 dst_sel:DWORD dst_unused:UNUSED_PAD src0_sel:WORD_0
	s_mul_hi_i32 s1, s28, s6
	s_mul_i32 s0, s28, s6
	s_lshl_b64 s[0:1], s[0:1], 1
	s_add_u32 s16, s34, s0
	;;#ASMSTART
	v_pk_mul_f32 v[4:5], v[10:11], v[4:5]
	;;#ASMEND
	v_pk_add_f32 v[10:11], v[18:19], 1.0 op_sel_hi:[1,0]
	;;#ASMSTART
	v_pk_mul_f32 v[2:3], v[8:9], v[10:11]
	;;#ASMEND
	v_pk_add_f32 v[8:9], v[14:15], 1.0 op_sel_hi:[1,0]
	s_addc_u32 s0, s35, s1
	;;#ASMSTART
	v_pk_mul_f32 v[6:7], v[6:7], v[8:9]
	;;#ASMEND
	v_pk_add_f32 v[8:9], v[16:17], 1.0 op_sel_hi:[1,0]
	s_and_b32 s17, s0, 0xffff
	s_mov_b32 s0, 0x7060302
	;;#ASMSTART
	v_pk_mul_f32 v[8:9], v[0:1], v[8:9]
	;;#ASMEND
	v_perm_b32 v0, v5, v4, s0
	v_perm_b32 v1, v3, v2, s0
	;; [unrolled: 1-line block ×4, first 2 shown]
	buffer_store_dwordx4 v[0:3], v12, s[16:19], 0 offen
	;;#ASMSTART
	s_nop 0
	;;#ASMEND
	s_endpgm
	.section	.rodata,"a",@progbits
	.p2align	6, 0x0
	.amdhsa_kernel _ZN5aiter35fused_qk_rmsnorm_group_quant_kernelItN4opus5fp4_tELi64ELi8ELi16ELb1ELb0ELb1ELb0ELb0ELb0EEEvPT0_PvPT_S7_S7_PKS6_S9_S9_S9_S9_ffiiiiiiiiiiiii
		.amdhsa_group_segment_fixed_size 0
		.amdhsa_private_segment_fixed_size 0
		.amdhsa_kernarg_size 400
		.amdhsa_user_sgpr_count 6
		.amdhsa_user_sgpr_private_segment_buffer 1
		.amdhsa_user_sgpr_dispatch_ptr 0
		.amdhsa_user_sgpr_queue_ptr 0
		.amdhsa_user_sgpr_kernarg_segment_ptr 1
		.amdhsa_user_sgpr_dispatch_id 0
		.amdhsa_user_sgpr_flat_scratch_init 0
		.amdhsa_user_sgpr_kernarg_preload_length 0
		.amdhsa_user_sgpr_kernarg_preload_offset 0
		.amdhsa_user_sgpr_private_segment_size 0
		.amdhsa_uses_dynamic_stack 0
		.amdhsa_system_sgpr_private_segment_wavefront_offset 0
		.amdhsa_system_sgpr_workgroup_id_x 1
		.amdhsa_system_sgpr_workgroup_id_y 1
		.amdhsa_system_sgpr_workgroup_id_z 0
		.amdhsa_system_sgpr_workgroup_info 0
		.amdhsa_system_vgpr_workitem_id 0
		.amdhsa_next_free_vgpr 27
		.amdhsa_next_free_sgpr 44
		.amdhsa_accum_offset 28
		.amdhsa_reserve_vcc 1
		.amdhsa_reserve_flat_scratch 0
		.amdhsa_float_round_mode_32 0
		.amdhsa_float_round_mode_16_64 0
		.amdhsa_float_denorm_mode_32 3
		.amdhsa_float_denorm_mode_16_64 3
		.amdhsa_dx10_clamp 1
		.amdhsa_ieee_mode 1
		.amdhsa_fp16_overflow 0
		.amdhsa_tg_split 0
		.amdhsa_exception_fp_ieee_invalid_op 0
		.amdhsa_exception_fp_denorm_src 0
		.amdhsa_exception_fp_ieee_div_zero 0
		.amdhsa_exception_fp_ieee_overflow 0
		.amdhsa_exception_fp_ieee_underflow 0
		.amdhsa_exception_fp_ieee_inexact 0
		.amdhsa_exception_int_div_zero 0
	.end_amdhsa_kernel
	.section	.text._ZN5aiter35fused_qk_rmsnorm_group_quant_kernelItN4opus5fp4_tELi64ELi8ELi16ELb1ELb0ELb1ELb0ELb0ELb0EEEvPT0_PvPT_S7_S7_PKS6_S9_S9_S9_S9_ffiiiiiiiiiiiii,"axG",@progbits,_ZN5aiter35fused_qk_rmsnorm_group_quant_kernelItN4opus5fp4_tELi64ELi8ELi16ELb1ELb0ELb1ELb0ELb0ELb0EEEvPT0_PvPT_S7_S7_PKS6_S9_S9_S9_S9_ffiiiiiiiiiiiii,comdat
.Lfunc_end124:
	.size	_ZN5aiter35fused_qk_rmsnorm_group_quant_kernelItN4opus5fp4_tELi64ELi8ELi16ELb1ELb0ELb1ELb0ELb0ELb0EEEvPT0_PvPT_S7_S7_PKS6_S9_S9_S9_S9_ffiiiiiiiiiiiii, .Lfunc_end124-_ZN5aiter35fused_qk_rmsnorm_group_quant_kernelItN4opus5fp4_tELi64ELi8ELi16ELb1ELb0ELb1ELb0ELb0ELb0EEEvPT0_PvPT_S7_S7_PKS6_S9_S9_S9_S9_ffiiiiiiiiiiiii
                                        ; -- End function
	.section	.AMDGPU.csdata,"",@progbits
; Kernel info:
; codeLenInByte = 2696
; NumSgprs: 48
; NumVgprs: 27
; NumAgprs: 0
; TotalNumVgprs: 27
; ScratchSize: 0
; MemoryBound: 0
; FloatMode: 240
; IeeeMode: 1
; LDSByteSize: 0 bytes/workgroup (compile time only)
; SGPRBlocks: 5
; VGPRBlocks: 3
; NumSGPRsForWavesPerEU: 48
; NumVGPRsForWavesPerEU: 27
; AccumOffset: 28
; Occupancy: 8
; WaveLimiterHint : 0
; COMPUTE_PGM_RSRC2:SCRATCH_EN: 0
; COMPUTE_PGM_RSRC2:USER_SGPR: 6
; COMPUTE_PGM_RSRC2:TRAP_HANDLER: 0
; COMPUTE_PGM_RSRC2:TGID_X_EN: 1
; COMPUTE_PGM_RSRC2:TGID_Y_EN: 1
; COMPUTE_PGM_RSRC2:TGID_Z_EN: 0
; COMPUTE_PGM_RSRC2:TIDIG_COMP_CNT: 0
; COMPUTE_PGM_RSRC3_GFX90A:ACCUM_OFFSET: 6
; COMPUTE_PGM_RSRC3_GFX90A:TG_SPLIT: 0
	.section	.text._ZN5aiter35fused_qk_rmsnorm_group_quant_kernelIDF16_DB8_Li64ELi8ELi16ELb1ELb0ELb0ELb0ELb0ELb0EEEvPT0_PvPT_S6_S6_PKS5_S8_S8_S8_S8_ffiiiiiiiiiiiii,"axG",@progbits,_ZN5aiter35fused_qk_rmsnorm_group_quant_kernelIDF16_DB8_Li64ELi8ELi16ELb1ELb0ELb0ELb0ELb0ELb0EEEvPT0_PvPT_S6_S6_PKS5_S8_S8_S8_S8_ffiiiiiiiiiiiii,comdat
	.protected	_ZN5aiter35fused_qk_rmsnorm_group_quant_kernelIDF16_DB8_Li64ELi8ELi16ELb1ELb0ELb0ELb0ELb0ELb0EEEvPT0_PvPT_S6_S6_PKS5_S8_S8_S8_S8_ffiiiiiiiiiiiii ; -- Begin function _ZN5aiter35fused_qk_rmsnorm_group_quant_kernelIDF16_DB8_Li64ELi8ELi16ELb1ELb0ELb0ELb0ELb0ELb0EEEvPT0_PvPT_S6_S6_PKS5_S8_S8_S8_S8_ffiiiiiiiiiiiii
	.globl	_ZN5aiter35fused_qk_rmsnorm_group_quant_kernelIDF16_DB8_Li64ELi8ELi16ELb1ELb0ELb0ELb0ELb0ELb0EEEvPT0_PvPT_S6_S6_PKS5_S8_S8_S8_S8_ffiiiiiiiiiiiii
	.p2align	8
	.type	_ZN5aiter35fused_qk_rmsnorm_group_quant_kernelIDF16_DB8_Li64ELi8ELi16ELb1ELb0ELb0ELb0ELb0ELb0EEEvPT0_PvPT_S6_S6_PKS5_S8_S8_S8_S8_ffiiiiiiiiiiiii,@function
_ZN5aiter35fused_qk_rmsnorm_group_quant_kernelIDF16_DB8_Li64ELi8ELi16ELb1ELb0ELb0ELb0ELb0ELb0EEEvPT0_PvPT_S6_S6_PKS5_S8_S8_S8_S8_ffiiiiiiiiiiiii: ; @_ZN5aiter35fused_qk_rmsnorm_group_quant_kernelIDF16_DB8_Li64ELi8ELi16ELb1ELb0ELb0ELb0ELb0ELb0EEEvPT0_PvPT_S6_S6_PKS5_S8_S8_S8_S8_ffiiiiiiiiiiiii
; %bb.0:
	s_load_dwordx8 s[8:15], s[4:5], 0x50
	s_waitcnt lgkmcnt(0)
	s_cmp_ge_i32 s6, s10
	s_cbranch_scc1 .LBB125_15
; %bb.1:
	s_cmp_lg_u32 s7, 0
	s_cselect_b64 s[2:3], -1, 0
	s_cmp_eq_u32 s7, 0
	s_cselect_b64 s[24:25], -1, 0
	s_and_b64 s[0:1], s[24:25], exec
	s_load_dwordx2 s[16:17], s[4:5], 0x48
	s_load_dwordx2 s[30:31], s[4:5], 0x30
	s_load_dwordx4 s[20:23], s[4:5], 0x70
	s_cselect_b32 s7, s11, s12
	s_add_i32 s0, s7, 1
	s_lshr_b32 s1, s0, 31
	s_add_i32 s0, s0, s1
	s_lshl_b32 s0, s0, 1
	v_lshlrev_b32_e32 v1, 3, v0
	s_and_b32 s26, s0, -4
	v_cmp_gt_i32_e64 s[0:1], s7, v1
	v_mov_b32_e32 v24, 0
	v_mov_b32_e32 v25, 0
	;; [unrolled: 1-line block ×8, first 2 shown]
	s_and_saveexec_b64 s[18:19], s[0:1]
	s_cbranch_execz .LBB125_3
; %bb.2:
	s_load_dwordx2 s[28:29], s[4:5], 0x28
	s_load_dwordx2 s[34:35], s[4:5], 0x40
	s_and_b64 s[36:37], s[24:25], exec
	s_cselect_b32 s10, s13, s14
	s_mov_b32 s27, 0x20000
	s_waitcnt lgkmcnt(0)
	s_cselect_b32 s13, s29, s31
	s_cselect_b32 s23, s28, s30
	s_mul_hi_i32 s29, s10, s6
	s_mul_i32 s28, s10, s6
	s_lshl_b64 s[28:29], s[28:29], 1
	s_add_u32 s36, s23, s28
	s_addc_u32 s10, s13, s29
	s_and_b64 s[24:25], s[24:25], exec
	s_cselect_b32 s24, s34, s16
	s_cselect_b32 s13, s35, s17
	v_lshlrev_b32_e32 v2, 4, v0
	s_and_b32 s37, s10, 0xffff
	s_mov_b32 s38, s26
	s_mov_b32 s39, s27
	s_and_b32 s25, s13, 0xffff
	buffer_load_dwordx4 v[28:31], v2, s[36:39], 0 offen glc slc
	buffer_load_dwordx4 v[24:27], v2, s[24:27], 0 offen
.LBB125_3:
	s_or_b64 exec, exec, s[18:19]
	s_load_dwordx2 s[28:29], s[4:5], 0x80
	s_and_b64 vcc, exec, s[2:3]
	s_cbranch_vccz .LBB125_7
; %bb.4:
	v_mov_b32_e32 v33, 0
	v_mov_b32_e32 v32, 0
	;; [unrolled: 1-line block ×8, first 2 shown]
	s_and_saveexec_b64 s[18:19], s[0:1]
	s_cbranch_execz .LBB125_6
; %bb.5:
	s_waitcnt vmcnt(1)
	v_cvt_f32_f16_sdwa v17, v28 dst_sel:DWORD dst_unused:UNUSED_PAD src0_sel:WORD_1
	v_cvt_f32_f16_e32 v16, v28
	v_cvt_f32_f16_sdwa v11, v29 dst_sel:DWORD dst_unused:UNUSED_PAD src0_sel:WORD_1
	v_cvt_f32_f16_e32 v10, v29
	;; [unrolled: 2-line block ×4, first 2 shown]
.LBB125_6:
	s_or_b64 exec, exec, s[18:19]
	s_mov_b32 s10, s9
	s_cbranch_execz .LBB125_8
	s_branch .LBB125_11
.LBB125_7:
                                        ; implicit-def: $vgpr8_vgpr9_vgpr10_vgpr11_vgpr12_vgpr13_vgpr14_vgpr15
                                        ; implicit-def: $vgpr33
                                        ; implicit-def: $vgpr16_vgpr17_vgpr18_vgpr19_vgpr20_vgpr21_vgpr22_vgpr23
                                        ; implicit-def: $vgpr2_vgpr3_vgpr4_vgpr5_vgpr6_vgpr7_vgpr8_vgpr9
	s_mov_b32 s10, s9
.LBB125_8:
	v_mov_b32_e32 v33, 0
	v_mov_b32_e32 v32, 0
	;; [unrolled: 1-line block ×8, first 2 shown]
	s_and_saveexec_b64 s[18:19], s[0:1]
	s_cbranch_execz .LBB125_10
; %bb.9:
	s_load_dwordx2 s[24:25], s[4:5], 0x38
	s_mul_hi_i32 s35, s15, s6
	s_mul_i32 s34, s15, s6
	s_lshl_b64 s[34:35], s[34:35], 1
	s_mov_b32 s27, 0x20000
	s_waitcnt lgkmcnt(0)
	s_add_u32 s24, s24, s34
	s_addc_u32 s10, s25, s35
	s_and_b32 s25, s10, 0xffff
	v_lshlrev_b32_e32 v20, 4, v0
	buffer_load_dwordx4 v[2:5], v20, s[24:27], 0 offen glc slc
	s_waitcnt vmcnt(2)
	v_cvt_f32_f16_sdwa v7, v28 dst_sel:DWORD dst_unused:UNUSED_PAD src0_sel:WORD_1
	v_cvt_f32_f16_e32 v6, v28
	v_cvt_f32_f16_sdwa v9, v29 dst_sel:DWORD dst_unused:UNUSED_PAD src0_sel:WORD_1
	v_cvt_f32_f16_e32 v8, v29
	;; [unrolled: 2-line block ×4, first 2 shown]
	s_load_dwordx2 s[24:25], s[4:5], 0x20
	s_mul_hi_i32 s35, s29, s6
	s_mul_i32 s34, s29, s6
	s_lshl_b64 s[34:35], s[34:35], 1
	s_waitcnt lgkmcnt(0)
	s_add_u32 s24, s24, s34
	s_addc_u32 s10, s25, s35
	s_and_b32 s25, s10, 0xffff
	s_waitcnt vmcnt(0)
	v_cvt_f32_f16_e32 v10, v2
	v_cvt_f32_f16_sdwa v11, v2 dst_sel:DWORD dst_unused:UNUSED_PAD src0_sel:WORD_1
	v_cvt_f32_f16_e32 v2, v3
	v_cvt_f32_f16_sdwa v3, v3 dst_sel:DWORD dst_unused:UNUSED_PAD src0_sel:WORD_1
	;; [unrolled: 2-line block ×4, first 2 shown]
	v_pk_add_f32 v[16:17], v[6:7], v[10:11]
	v_pk_add_f32 v[10:11], v[8:9], v[2:3]
	;; [unrolled: 1-line block ×4, first 2 shown]
	v_cvt_f16_f32_e32 v2, v17
	v_cvt_f16_f32_e32 v3, v11
	;; [unrolled: 1-line block ×8, first 2 shown]
	v_pack_b32_f16 v5, v8, v5
	v_pack_b32_f16 v4, v9, v4
	;; [unrolled: 1-line block ×4, first 2 shown]
	buffer_store_dwordx4 v[2:5], v20, s[24:27], 0 offen glc slc
	;;#ASMSTART
	s_nop 0
	;;#ASMEND
.LBB125_10:
	s_or_b64 exec, exec, s[18:19]
	s_mov_b32 s10, s8
.LBB125_11:
	v_mul_f32_e32 v2, v17, v17
	v_fmac_f32_e32 v2, v16, v16
	v_fmac_f32_e32 v2, v10, v10
	;; [unrolled: 1-line block ×7, first 2 shown]
	v_bfrev_b32_e32 v4, 0.5
	s_load_dwordx2 s[34:35], s[4:5], 0x18
	v_mov_b32_dpp v3, v2 quad_perm:[1,0,3,2] row_mask:0xf bank_mask:0xf
	v_add_f32_e32 v2, v2, v3
	s_nop 1
	v_mov_b32_dpp v3, v2 quad_perm:[2,3,0,1] row_mask:0xf bank_mask:0xf
	v_add_f32_e32 v2, v2, v3
	s_nop 1
	v_mov_b32_dpp v3, v2 row_half_mirror row_mask:0xf bank_mask:0xf
	v_add_f32_e32 v2, v2, v3
	s_nop 1
	v_mov_b32_dpp v3, v2 row_mirror row_mask:0xf bank_mask:0xf
	v_add_f32_e32 v2, v2, v3
	s_nop 1
	v_mov_b32_dpp v3, v2 row_bcast:15 row_mask:0xf bank_mask:0xf
	v_add_f32_e32 v2, v2, v3
	s_nop 1
	v_mov_b32_dpp v3, v2 row_bcast:31 row_mask:0xf bank_mask:0xf
	v_add_f32_e32 v2, v2, v3
	v_mbcnt_lo_u32_b32 v3, -1, 0
	v_mbcnt_hi_u32_b32 v3, -1, v3
	v_lshl_or_b32 v18, v3, 2, v4
	ds_bpermute_b32 v2, v18, v2
	s_and_saveexec_b64 s[18:19], s[0:1]
	s_cbranch_execnz .LBB125_16
; %bb.12:
	s_or_b64 exec, exec, s[18:19]
	s_mov_b64 s[18:19], -1
	s_and_b64 vcc, exec, s[2:3]
	s_cbranch_vccnz .LBB125_17
.LBB125_13:
	s_andn2_b64 vcc, exec, s[18:19]
	s_cbranch_vccz .LBB125_20
.LBB125_14:
	s_cmp_lt_i32 s12, 1
	s_cbranch_scc0 .LBB125_27
.LBB125_15:
	s_endpgm
.LBB125_16:
	v_cvt_f32_u32_e32 v3, s7
	s_mov_b32 s7, 0x800000
	s_waitcnt vmcnt(0)
	v_cvt_f32_f16_sdwa v13, v25 dst_sel:DWORD dst_unused:UNUSED_PAD src0_sel:WORD_1
	v_cvt_f32_f16_sdwa v15, v26 dst_sel:DWORD dst_unused:UNUSED_PAD src0_sel:WORD_1
	s_waitcnt lgkmcnt(0)
	v_div_scale_f32 v4, s[24:25], v3, v3, v2
	v_rcp_f32_e32 v5, v4
	v_div_scale_f32 v8, vcc, v2, v3, v2
	v_cvt_f32_f16_e32 v14, v26
	v_fma_f32 v9, -v4, v5, 1.0
	v_fmac_f32_e32 v5, v9, v5
	v_mul_f32_e32 v9, v8, v5
	v_fma_f32 v12, -v4, v9, v8
	v_fmac_f32_e32 v9, v12, v5
	v_fma_f32 v4, -v4, v9, v8
	v_div_fmas_f32 v4, v4, v5, v9
	v_div_fixup_f32 v2, v4, v3, v2
	v_add_f32_e32 v2, s10, v2
	v_mul_f32_e32 v3, 0x4b800000, v2
	v_cmp_gt_f32_e32 vcc, s7, v2
	v_cndmask_b32_e32 v2, v2, v3, vcc
	v_rsq_f32_e32 v2, v2
	v_cvt_f32_f16_e32 v12, v25
	v_cvt_f32_f16_sdwa v21, v27 dst_sel:DWORD dst_unused:UNUSED_PAD src0_sel:WORD_1
	v_cvt_f32_f16_e32 v20, v27
	v_mul_f32_e32 v3, 0x45800000, v2
	v_cndmask_b32_e32 v2, v2, v3, vcc
	v_mov_b32_e32 v3, v2
	;;#ASMSTART
	v_pk_mul_f32 v[4:5], v[16:17], v[2:3]
	;;#ASMEND
	;;#ASMSTART
	v_pk_mul_f32 v[8:9], v[10:11], v[2:3]
	;;#ASMEND
	;; [unrolled: 3-line block ×3, first 2 shown]
	v_cvt_f32_f16_sdwa v11, v24 dst_sel:DWORD dst_unused:UNUSED_PAD src0_sel:WORD_1
	v_cvt_f32_f16_e32 v10, v24
	;;#ASMSTART
	v_pk_mul_f32 v[2:3], v[32:33], v[2:3]
	;;#ASMEND
	;;#ASMSTART
	v_pk_mul_f32 v[16:17], v[4:5], v[10:11]
	;;#ASMEND
	;; [unrolled: 3-line block ×5, first 2 shown]
	s_or_b64 exec, exec, s[18:19]
	s_mov_b64 s[18:19], -1
	s_and_b64 vcc, exec, s[2:3]
	s_cbranch_vccz .LBB125_13
.LBB125_17:
	s_and_saveexec_b64 s[2:3], s[0:1]
	s_cbranch_execz .LBB125_19
; %bb.18:
	s_waitcnt lgkmcnt(0)
	s_mul_hi_i32 s19, s28, s6
	s_mul_i32 s18, s28, s6
	v_cvt_f16_f32_e32 v2, v16
	v_cvt_f16_f32_e32 v3, v10
	v_cvt_f16_f32_e32 v4, v6
	v_cvt_f16_f32_e32 v5, v32
	v_cvt_f16_f32_e32 v8, v33
	v_cvt_f16_f32_e32 v9, v7
	v_cvt_f16_f32_e32 v12, v11
	v_cvt_f16_f32_e32 v13, v17
	s_lshl_b64 s[18:19], s[18:19], 1
	s_add_u32 s24, s34, s18
	s_addc_u32 s7, s35, s19
	s_and_b32 s25, s7, 0xffff
	s_mov_b32 s27, 0x20000
	v_pack_b32_f16 v5, v5, v8
	v_pack_b32_f16 v4, v4, v9
	;; [unrolled: 1-line block ×4, first 2 shown]
	v_lshlrev_b32_e32 v8, 4, v0
	buffer_store_dwordx4 v[2:5], v8, s[24:27], 0 offen
	;;#ASMSTART
	s_nop 0
	;;#ASMEND
.LBB125_19:
	s_or_b64 exec, exec, s[2:3]
	s_cbranch_execnz .LBB125_14
.LBB125_20:
	s_waitcnt lgkmcnt(0)
	v_mov_b32_e32 v2, 0
	s_and_saveexec_b64 s[2:3], s[0:1]
	s_cbranch_execz .LBB125_22
; %bb.21:
	v_and_b32_e32 v2, 0x7fffffff, v16
	v_and_b32_e32 v3, 0x7fffffff, v17
	v_mov_b32_e32 v4, 0x2edbe6ff
	;;#ASMSTART
	v_max3_f32 v2, v4, v2, v3

	;;#ASMEND
	v_and_b32_e32 v3, 0x7fffffff, v10
	v_and_b32_e32 v4, 0x7fffffff, v11
	;;#ASMSTART
	v_max3_f32 v2, v2, v3, v4

	;;#ASMEND
	v_and_b32_e32 v3, 0x7fffffff, v6
	v_and_b32_e32 v4, 0x7fffffff, v7
	;;#ASMSTART
	v_max3_f32 v2, v2, v3, v4

	;;#ASMEND
	v_and_b32_e32 v3, 0x7fffffff, v32
	v_and_b32_e32 v4, 0x7fffffff, v33
	;;#ASMSTART
	v_max3_f32 v2, v2, v3, v4

	;;#ASMEND
.LBB125_22:
	s_or_b64 exec, exec, s[2:3]
	;;#ASMSTART
	v_max_f32 v3, v2, v2 quad_perm:[1,0,3,2] row_mask:0xf bank_mask:0xf bound_ctrl:1
	;;#ASMEND
	;;#ASMSTART
	v_max_f32 v2, v3, v3 quad_perm:[2,3,0,1] row_mask:0xf bank_mask:0xf bound_ctrl:1
	;;#ASMEND
	;;#ASMSTART
	v_max_f32 v3, v2, v2 row_half_mirror row_mask:0xf bank_mask:0xf bound_ctrl:1
	;;#ASMEND
	;;#ASMSTART
	v_max_f32 v2, v3, v3 row_mirror row_mask:0xf bank_mask:0xf bound_ctrl:1
	;;#ASMEND
	v_and_b32_e32 v3, 15, v0
	v_cmp_eq_u32_e32 vcc, 0, v3
	v_cmp_gt_i32_e64 s[2:3], s11, v1
	v_mul_f32_e32 v2, 0x3b124925, v2
	s_and_b64 s[18:19], vcc, s[2:3]
	s_and_saveexec_b64 s[2:3], s[18:19]
	s_cbranch_execz .LBB125_24
; %bb.23:
	s_load_dwordx2 s[18:19], s[4:5], 0x8
	v_lshrrev_b32_e32 v3, 4, v0
	s_mul_hi_i32 s25, s21, s6
	s_mul_i32 s24, s21, s6
	v_mad_i64_i32 v[4:5], s[22:23], s22, v3, 0
	s_lshl_b64 s[22:23], s[24:25], 2
	s_waitcnt lgkmcnt(0)
	s_add_u32 s7, s18, s22
	s_addc_u32 s8, s19, s23
	v_lshlrev_b64 v[4:5], 2, v[4:5]
	v_mov_b32_e32 v3, s8
	v_add_co_u32_e32 v4, vcc, s7, v4
	v_addc_co_u32_e32 v5, vcc, v3, v5, vcc
	global_store_dword v[4:5], v2, off
.LBB125_24:
	s_or_b64 exec, exec, s[2:3]
	;;#ASMSTART
	v_rcp_f32 v2, v2
	;;#ASMEND
	s_and_saveexec_b64 s[18:19], s[0:1]
	s_cbranch_execz .LBB125_26
; %bb.25:
	v_mov_b32_e32 v3, v2
	;;#ASMSTART
	v_pk_mul_f32 v[4:5], v[16:17], v[2:3]
	;;#ASMEND
	s_load_dwordx2 s[0:1], s[4:5], 0x0
	v_mov_b32_e32 v8, 0xc3e00000
	v_mov_b32_e32 v9, 0x43e00000
	;;#ASMSTART
	v_med3_f32 v4, v4, v8, v9
v_med3_f32 v5, v5, v8, v9
v_cvt_pk_fp8_f32 v12, v4, v5
	;;#ASMEND
	;;#ASMSTART
	v_pk_mul_f32 v[4:5], v[10:11], v[2:3]
	;;#ASMEND
	;;#ASMSTART
	v_med3_f32 v4, v4, v8, v9
v_med3_f32 v5, v5, v8, v9
v_cvt_pk_fp8_f32 v10, v4, v5
	;;#ASMEND
	s_mov_b32 s8, 0x5040100
	v_perm_b32 v5, v10, v12, s8
	s_movk_i32 s8, 0xff
	s_mul_i32 s3, s20, s6
	v_and_b32_e32 v4, 0xffffff00, v10
	v_and_b32_sdwa v10, v5, s8 dst_sel:DWORD dst_unused:UNUSED_PAD src0_sel:WORD_1 src1_sel:DWORD
	s_mul_hi_i32 s2, s20, s6
	s_mov_b32 s7, 0xffff
	s_waitcnt lgkmcnt(0)
	s_add_u32 s0, s0, s3
	v_or_b32_sdwa v4, v10, v4 dst_sel:WORD_1 dst_unused:UNUSED_PAD src0_sel:DWORD src1_sel:DWORD
	s_addc_u32 s1, s1, s2
	s_add_i32 s2, s11, 3
	v_and_or_b32 v4, v5, s7, v4
	;;#ASMSTART
	v_pk_mul_f32 v[6:7], v[6:7], v[2:3]
	;;#ASMEND
	v_mov_b32_e32 v5, v7
	s_ashr_i32 s3, s2, 31
	;;#ASMSTART
	v_med3_f32 v6, v6, v8, v9
v_med3_f32 v5, v5, v8, v9
v_cvt_pk_fp8_f32 v7, v6, v5
	;;#ASMEND
	;;#ASMSTART
	v_pk_mul_f32 v[2:3], v[32:33], v[2:3]
	;;#ASMEND
	s_lshr_b32 s3, s3, 30
	;;#ASMSTART
	v_med3_f32 v2, v2, v8, v9
v_med3_f32 v3, v3, v8, v9
v_cvt_pk_fp8_f32 v5, v2, v3
	;;#ASMEND
	s_add_i32 s2, s2, s3
	v_lshlrev_b32_e32 v2, 16, v5
	s_and_b32 s2, s2, -4
	s_and_b32 s1, s1, 0xffff
	s_mov_b32 s3, 0x20000
	v_and_or_b32 v5, v7, s7, v2
	buffer_store_dwordx2 v[4:5], v1, s[0:3], 0 offen
	;;#ASMSTART
	s_nop 0
	;;#ASMEND
.LBB125_26:
	s_or_b64 exec, exec, s[18:19]
	s_cmp_lt_i32 s12, 1
	s_cbranch_scc1 .LBB125_15
.LBB125_27:
	s_load_dword s0, s[4:5], 0x94
	s_waitcnt lgkmcnt(0)
	s_cmp_lg_u32 s0, 1
	s_cbranch_scc1 .LBB125_15
; %bb.28:
	s_lshl_b32 s0, s12, 1
	s_add_i32 s0, s0, 2
	v_cmp_gt_u32_e32 vcc, s12, v1
	s_and_b32 s18, s0, -4
	v_mov_b32_e32 v8, 0
	v_lshlrev_b32_e32 v16, 4, v0
	v_mov_b32_e32 v4, 0
	v_mov_b32_e32 v5, 0
	;; [unrolled: 1-line block ×8, first 2 shown]
	s_barrier
	s_and_saveexec_b64 s[0:1], vcc
	s_cbranch_execz .LBB125_30
; %bb.29:
	s_mul_hi_i32 s3, s14, s6
	s_mul_i32 s2, s14, s6
	s_and_b32 s17, s17, 0xffff
	s_lshl_b64 s[2:3], s[2:3], 1
	s_add_u32 s20, s30, s2
	s_mov_b32 s19, 0x20000
	s_addc_u32 s2, s31, s3
	s_and_b32 s21, s2, 0xffff
	s_mov_b32 s22, s18
	s_mov_b32 s23, s19
	buffer_load_dwordx4 v[4:7], v16, s[20:23], 0 offen glc slc
	buffer_load_dwordx4 v[0:3], v16, s[16:19], 0 offen
.LBB125_30:
	s_or_b64 exec, exec, s[0:1]
	v_mov_b32_e32 v9, 0
	v_mov_b32_e32 v14, 0
	;; [unrolled: 1-line block ×7, first 2 shown]
	s_and_saveexec_b64 s[0:1], vcc
	s_cbranch_execz .LBB125_32
; %bb.31:
	s_waitcnt vmcnt(1)
	v_cvt_f32_f16_sdwa v9, v4 dst_sel:DWORD dst_unused:UNUSED_PAD src0_sel:WORD_1
	v_cvt_f32_f16_e32 v8, v4
	v_cvt_f32_f16_sdwa v15, v5 dst_sel:DWORD dst_unused:UNUSED_PAD src0_sel:WORD_1
	v_cvt_f32_f16_e32 v14, v5
	;; [unrolled: 2-line block ×4, first 2 shown]
.LBB125_32:
	s_or_b64 exec, exec, s[0:1]
	s_waitcnt vmcnt(1)
	v_mul_f32_e32 v4, v9, v9
	v_fmac_f32_e32 v4, v8, v8
	v_fmac_f32_e32 v4, v14, v14
	;; [unrolled: 1-line block ×7, first 2 shown]
	s_nop 1
	v_mov_b32_dpp v5, v4 quad_perm:[1,0,3,2] row_mask:0xf bank_mask:0xf
	v_add_f32_e32 v4, v4, v5
	s_nop 1
	v_mov_b32_dpp v5, v4 quad_perm:[2,3,0,1] row_mask:0xf bank_mask:0xf
	v_add_f32_e32 v4, v4, v5
	s_nop 1
	v_mov_b32_dpp v5, v4 row_half_mirror row_mask:0xf bank_mask:0xf
	v_add_f32_e32 v4, v4, v5
	s_nop 1
	v_mov_b32_dpp v5, v4 row_mirror row_mask:0xf bank_mask:0xf
	v_add_f32_e32 v4, v4, v5
	s_nop 1
	v_mov_b32_dpp v5, v4 row_bcast:15 row_mask:0xf bank_mask:0xf
	v_add_f32_e32 v4, v4, v5
	s_nop 1
	v_mov_b32_dpp v5, v4 row_bcast:31 row_mask:0xf bank_mask:0xf
	v_add_f32_e32 v4, v4, v5
	ds_bpermute_b32 v4, v18, v4
	s_and_saveexec_b64 s[0:1], vcc
	s_cbranch_execz .LBB125_15
; %bb.33:
	v_cvt_f32_u32_e32 v5, s12
	s_mov_b32 s19, 0x20000
	s_waitcnt lgkmcnt(0)
	v_div_scale_f32 v6, s[0:1], v5, v5, v4
	v_rcp_f32_e32 v7, v6
	v_div_scale_f32 v17, vcc, v4, v5, v4
	s_mov_b32 s0, 0x800000
	v_fma_f32 v18, -v6, v7, 1.0
	v_fmac_f32_e32 v7, v18, v7
	v_mul_f32_e32 v18, v17, v7
	v_fma_f32 v19, -v6, v18, v17
	v_fmac_f32_e32 v18, v19, v7
	v_fma_f32 v6, -v6, v18, v17
	v_div_fmas_f32 v6, v6, v7, v18
	v_div_fixup_f32 v4, v6, v5, v4
	v_add_f32_e32 v4, s9, v4
	v_mul_f32_e32 v5, 0x4b800000, v4
	v_cmp_gt_f32_e32 vcc, s0, v4
	v_cndmask_b32_e32 v4, v4, v5, vcc
	v_rsq_f32_e32 v4, v4
	s_waitcnt vmcnt(0)
	v_cvt_f32_f16_sdwa v19, v3 dst_sel:DWORD dst_unused:UNUSED_PAD src0_sel:WORD_1
	v_cvt_f32_f16_e32 v18, v3
	s_mul_hi_i32 s1, s28, s6
	v_mul_f32_e32 v5, 0x45800000, v4
	v_cndmask_b32_e32 v4, v4, v5, vcc
	v_mov_b32_e32 v5, v4
	;;#ASMSTART
	v_pk_mul_f32 v[6:7], v[8:9], v[4:5]
	;;#ASMEND
	;;#ASMSTART
	v_pk_mul_f32 v[8:9], v[14:15], v[4:5]
	;;#ASMEND
	;; [unrolled: 3-line block ×4, first 2 shown]
	v_cvt_f32_f16_sdwa v11, v0 dst_sel:DWORD dst_unused:UNUSED_PAD src0_sel:WORD_1
	v_cvt_f32_f16_e32 v10, v0
	v_cvt_f32_f16_sdwa v15, v1 dst_sel:DWORD dst_unused:UNUSED_PAD src0_sel:WORD_1
	v_cvt_f32_f16_e32 v14, v1
	;; [unrolled: 2-line block ×3, first 2 shown]
	;;#ASMSTART
	v_pk_mul_f32 v[2:3], v[6:7], v[10:11]
	;;#ASMEND
	;;#ASMSTART
	v_pk_mul_f32 v[6:7], v[8:9], v[14:15]
	;;#ASMEND
	;; [unrolled: 3-line block ×4, first 2 shown]
	s_mul_i32 s0, s28, s6
	v_cvt_f16_f32_e32 v2, v2
	v_cvt_f16_f32_e32 v3, v3
	;; [unrolled: 1-line block ×8, first 2 shown]
	s_lshl_b64 s[0:1], s[0:1], 1
	s_add_u32 s16, s34, s0
	s_addc_u32 s0, s35, s1
	s_and_b32 s17, s0, 0xffff
	v_pack_b32_f16 v0, v2, v3
	v_pack_b32_f16 v1, v6, v7
	;; [unrolled: 1-line block ×4, first 2 shown]
	buffer_store_dwordx4 v[0:3], v16, s[16:19], 0 offen
	;;#ASMSTART
	s_nop 0
	;;#ASMEND
	s_endpgm
	.section	.rodata,"a",@progbits
	.p2align	6, 0x0
	.amdhsa_kernel _ZN5aiter35fused_qk_rmsnorm_group_quant_kernelIDF16_DB8_Li64ELi8ELi16ELb1ELb0ELb0ELb0ELb0ELb0EEEvPT0_PvPT_S6_S6_PKS5_S8_S8_S8_S8_ffiiiiiiiiiiiii
		.amdhsa_group_segment_fixed_size 0
		.amdhsa_private_segment_fixed_size 0
		.amdhsa_kernarg_size 400
		.amdhsa_user_sgpr_count 6
		.amdhsa_user_sgpr_private_segment_buffer 1
		.amdhsa_user_sgpr_dispatch_ptr 0
		.amdhsa_user_sgpr_queue_ptr 0
		.amdhsa_user_sgpr_kernarg_segment_ptr 1
		.amdhsa_user_sgpr_dispatch_id 0
		.amdhsa_user_sgpr_flat_scratch_init 0
		.amdhsa_user_sgpr_kernarg_preload_length 0
		.amdhsa_user_sgpr_kernarg_preload_offset 0
		.amdhsa_user_sgpr_private_segment_size 0
		.amdhsa_uses_dynamic_stack 0
		.amdhsa_system_sgpr_private_segment_wavefront_offset 0
		.amdhsa_system_sgpr_workgroup_id_x 1
		.amdhsa_system_sgpr_workgroup_id_y 1
		.amdhsa_system_sgpr_workgroup_id_z 0
		.amdhsa_system_sgpr_workgroup_info 0
		.amdhsa_system_vgpr_workitem_id 0
		.amdhsa_next_free_vgpr 34
		.amdhsa_next_free_sgpr 40
		.amdhsa_accum_offset 36
		.amdhsa_reserve_vcc 1
		.amdhsa_reserve_flat_scratch 0
		.amdhsa_float_round_mode_32 0
		.amdhsa_float_round_mode_16_64 0
		.amdhsa_float_denorm_mode_32 3
		.amdhsa_float_denorm_mode_16_64 3
		.amdhsa_dx10_clamp 1
		.amdhsa_ieee_mode 1
		.amdhsa_fp16_overflow 0
		.amdhsa_tg_split 0
		.amdhsa_exception_fp_ieee_invalid_op 0
		.amdhsa_exception_fp_denorm_src 0
		.amdhsa_exception_fp_ieee_div_zero 0
		.amdhsa_exception_fp_ieee_overflow 0
		.amdhsa_exception_fp_ieee_underflow 0
		.amdhsa_exception_fp_ieee_inexact 0
		.amdhsa_exception_int_div_zero 0
	.end_amdhsa_kernel
	.section	.text._ZN5aiter35fused_qk_rmsnorm_group_quant_kernelIDF16_DB8_Li64ELi8ELi16ELb1ELb0ELb0ELb0ELb0ELb0EEEvPT0_PvPT_S6_S6_PKS5_S8_S8_S8_S8_ffiiiiiiiiiiiii,"axG",@progbits,_ZN5aiter35fused_qk_rmsnorm_group_quant_kernelIDF16_DB8_Li64ELi8ELi16ELb1ELb0ELb0ELb0ELb0ELb0EEEvPT0_PvPT_S6_S6_PKS5_S8_S8_S8_S8_ffiiiiiiiiiiiii,comdat
.Lfunc_end125:
	.size	_ZN5aiter35fused_qk_rmsnorm_group_quant_kernelIDF16_DB8_Li64ELi8ELi16ELb1ELb0ELb0ELb0ELb0ELb0EEEvPT0_PvPT_S6_S6_PKS5_S8_S8_S8_S8_ffiiiiiiiiiiiii, .Lfunc_end125-_ZN5aiter35fused_qk_rmsnorm_group_quant_kernelIDF16_DB8_Li64ELi8ELi16ELb1ELb0ELb0ELb0ELb0ELb0EEEvPT0_PvPT_S6_S6_PKS5_S8_S8_S8_S8_ffiiiiiiiiiiiii
                                        ; -- End function
	.section	.AMDGPU.csdata,"",@progbits
; Kernel info:
; codeLenInByte = 2732
; NumSgprs: 44
; NumVgprs: 34
; NumAgprs: 0
; TotalNumVgprs: 34
; ScratchSize: 0
; MemoryBound: 0
; FloatMode: 240
; IeeeMode: 1
; LDSByteSize: 0 bytes/workgroup (compile time only)
; SGPRBlocks: 5
; VGPRBlocks: 4
; NumSGPRsForWavesPerEU: 44
; NumVGPRsForWavesPerEU: 34
; AccumOffset: 36
; Occupancy: 8
; WaveLimiterHint : 0
; COMPUTE_PGM_RSRC2:SCRATCH_EN: 0
; COMPUTE_PGM_RSRC2:USER_SGPR: 6
; COMPUTE_PGM_RSRC2:TRAP_HANDLER: 0
; COMPUTE_PGM_RSRC2:TGID_X_EN: 1
; COMPUTE_PGM_RSRC2:TGID_Y_EN: 1
; COMPUTE_PGM_RSRC2:TGID_Z_EN: 0
; COMPUTE_PGM_RSRC2:TIDIG_COMP_CNT: 0
; COMPUTE_PGM_RSRC3_GFX90A:ACCUM_OFFSET: 8
; COMPUTE_PGM_RSRC3_GFX90A:TG_SPLIT: 0
	.section	.text._ZN5aiter35fused_qk_rmsnorm_group_quant_kernelItDB8_Li64ELi8ELi16ELb1ELb0ELb0ELb0ELb0ELb0EEEvPT0_PvPT_S6_S6_PKS5_S8_S8_S8_S8_ffiiiiiiiiiiiii,"axG",@progbits,_ZN5aiter35fused_qk_rmsnorm_group_quant_kernelItDB8_Li64ELi8ELi16ELb1ELb0ELb0ELb0ELb0ELb0EEEvPT0_PvPT_S6_S6_PKS5_S8_S8_S8_S8_ffiiiiiiiiiiiii,comdat
	.protected	_ZN5aiter35fused_qk_rmsnorm_group_quant_kernelItDB8_Li64ELi8ELi16ELb1ELb0ELb0ELb0ELb0ELb0EEEvPT0_PvPT_S6_S6_PKS5_S8_S8_S8_S8_ffiiiiiiiiiiiii ; -- Begin function _ZN5aiter35fused_qk_rmsnorm_group_quant_kernelItDB8_Li64ELi8ELi16ELb1ELb0ELb0ELb0ELb0ELb0EEEvPT0_PvPT_S6_S6_PKS5_S8_S8_S8_S8_ffiiiiiiiiiiiii
	.globl	_ZN5aiter35fused_qk_rmsnorm_group_quant_kernelItDB8_Li64ELi8ELi16ELb1ELb0ELb0ELb0ELb0ELb0EEEvPT0_PvPT_S6_S6_PKS5_S8_S8_S8_S8_ffiiiiiiiiiiiii
	.p2align	8
	.type	_ZN5aiter35fused_qk_rmsnorm_group_quant_kernelItDB8_Li64ELi8ELi16ELb1ELb0ELb0ELb0ELb0ELb0EEEvPT0_PvPT_S6_S6_PKS5_S8_S8_S8_S8_ffiiiiiiiiiiiii,@function
_ZN5aiter35fused_qk_rmsnorm_group_quant_kernelItDB8_Li64ELi8ELi16ELb1ELb0ELb0ELb0ELb0ELb0EEEvPT0_PvPT_S6_S6_PKS5_S8_S8_S8_S8_ffiiiiiiiiiiiii: ; @_ZN5aiter35fused_qk_rmsnorm_group_quant_kernelItDB8_Li64ELi8ELi16ELb1ELb0ELb0ELb0ELb0ELb0EEEvPT0_PvPT_S6_S6_PKS5_S8_S8_S8_S8_ffiiiiiiiiiiiii
; %bb.0:
	s_load_dwordx8 s[8:15], s[4:5], 0x50
	s_waitcnt lgkmcnt(0)
	s_cmp_ge_i32 s6, s10
	s_cbranch_scc1 .LBB126_15
; %bb.1:
	s_cmp_lg_u32 s7, 0
	s_cselect_b64 s[2:3], -1, 0
	s_cmp_eq_u32 s7, 0
	s_cselect_b64 s[24:25], -1, 0
	s_and_b64 s[0:1], s[24:25], exec
	s_load_dwordx2 s[16:17], s[4:5], 0x48
	s_load_dwordx2 s[30:31], s[4:5], 0x30
	s_load_dwordx4 s[20:23], s[4:5], 0x70
	s_cselect_b32 s7, s11, s12
	s_add_i32 s0, s7, 1
	s_lshr_b32 s1, s0, 31
	s_add_i32 s0, s0, s1
	s_lshl_b32 s0, s0, 1
	v_lshlrev_b32_e32 v1, 3, v0
	s_and_b32 s26, s0, -4
	v_cmp_gt_i32_e64 s[0:1], s7, v1
	v_mov_b32_e32 v10, 0
	v_mov_b32_e32 v11, 0
	;; [unrolled: 1-line block ×8, first 2 shown]
	s_and_saveexec_b64 s[18:19], s[0:1]
	s_cbranch_execz .LBB126_3
; %bb.2:
	s_load_dwordx2 s[28:29], s[4:5], 0x28
	s_load_dwordx2 s[34:35], s[4:5], 0x40
	s_and_b64 s[36:37], s[24:25], exec
	s_cselect_b32 s10, s13, s14
	s_mov_b32 s27, 0x20000
	s_waitcnt lgkmcnt(0)
	s_cselect_b32 s13, s29, s31
	s_cselect_b32 s23, s28, s30
	s_mul_hi_i32 s29, s10, s6
	s_mul_i32 s28, s10, s6
	s_lshl_b64 s[28:29], s[28:29], 1
	s_add_u32 s36, s23, s28
	s_addc_u32 s10, s13, s29
	s_and_b64 s[24:25], s[24:25], exec
	s_cselect_b32 s24, s34, s16
	s_cselect_b32 s13, s35, s17
	v_lshlrev_b32_e32 v2, 4, v0
	s_and_b32 s37, s10, 0xffff
	s_mov_b32 s38, s26
	s_mov_b32 s39, s27
	s_and_b32 s25, s13, 0xffff
	buffer_load_dwordx4 v[14:17], v2, s[36:39], 0 offen glc slc
	buffer_load_dwordx4 v[10:13], v2, s[24:27], 0 offen
.LBB126_3:
	s_or_b64 exec, exec, s[18:19]
	s_load_dwordx2 s[28:29], s[4:5], 0x80
	s_and_b64 vcc, exec, s[2:3]
	s_cbranch_vccz .LBB126_7
; %bb.4:
	s_mov_b32 s36, 0
	s_mov_b32 s37, s36
	;; [unrolled: 1-line block ×8, first 2 shown]
	v_pk_mov_b32 v[2:3], s[36:37], s[36:37] op_sel:[0,1]
	v_pk_mov_b32 v[4:5], s[38:39], s[38:39] op_sel:[0,1]
	;; [unrolled: 1-line block ×4, first 2 shown]
	s_and_saveexec_b64 s[18:19], s[0:1]
	s_cbranch_execz .LBB126_6
; %bb.5:
	s_waitcnt vmcnt(1)
	v_cvt_f32_u32_sdwa v3, v14 dst_sel:DWORD dst_unused:UNUSED_PAD src0_sel:WORD_1
	v_cvt_f32_u32_sdwa v2, v14 dst_sel:DWORD dst_unused:UNUSED_PAD src0_sel:WORD_0
	v_cvt_f32_u32_sdwa v5, v15 dst_sel:DWORD dst_unused:UNUSED_PAD src0_sel:WORD_1
	v_cvt_f32_u32_sdwa v4, v15 dst_sel:DWORD dst_unused:UNUSED_PAD src0_sel:WORD_0
	;; [unrolled: 2-line block ×4, first 2 shown]
.LBB126_6:
	s_or_b64 exec, exec, s[18:19]
	s_mov_b32 s10, s9
	s_cbranch_execz .LBB126_8
	s_branch .LBB126_11
.LBB126_7:
                                        ; implicit-def: $vgpr2_vgpr3_vgpr4_vgpr5_vgpr6_vgpr7_vgpr8_vgpr9
	s_mov_b32 s10, s9
.LBB126_8:
	s_mov_b32 s36, 0
	s_mov_b32 s37, s36
	;; [unrolled: 1-line block ×8, first 2 shown]
	v_pk_mov_b32 v[2:3], s[36:37], s[36:37] op_sel:[0,1]
	v_pk_mov_b32 v[4:5], s[38:39], s[38:39] op_sel:[0,1]
	;; [unrolled: 1-line block ×4, first 2 shown]
	s_and_saveexec_b64 s[18:19], s[0:1]
	s_cbranch_execz .LBB126_10
; %bb.9:
	s_load_dwordx2 s[24:25], s[4:5], 0x38
	s_mul_hi_i32 s35, s15, s6
	s_mul_i32 s34, s15, s6
	s_lshl_b64 s[34:35], s[34:35], 1
	s_mov_b32 s27, 0x20000
	s_waitcnt lgkmcnt(0)
	s_add_u32 s24, s24, s34
	s_addc_u32 s10, s25, s35
	s_and_b32 s25, s10, 0xffff
	v_lshlrev_b32_e32 v26, 4, v0
	buffer_load_dwordx4 v[2:5], v26, s[24:27], 0 offen glc slc
	s_load_dwordx2 s[24:25], s[4:5], 0x20
	s_waitcnt vmcnt(2)
	v_cvt_f32_u32_sdwa v7, v14 dst_sel:DWORD dst_unused:UNUSED_PAD src0_sel:WORD_1
	v_cvt_f32_u32_sdwa v6, v14 dst_sel:DWORD dst_unused:UNUSED_PAD src0_sel:WORD_0
	v_cvt_f32_u32_sdwa v9, v15 dst_sel:DWORD dst_unused:UNUSED_PAD src0_sel:WORD_1
	v_cvt_f32_u32_sdwa v8, v15 dst_sel:DWORD dst_unused:UNUSED_PAD src0_sel:WORD_0
	;; [unrolled: 2-line block ×4, first 2 shown]
	s_mul_hi_i32 s35, s29, s6
	s_mul_i32 s34, s29, s6
	s_lshl_b64 s[34:35], s[34:35], 1
	s_waitcnt lgkmcnt(0)
	s_add_u32 s24, s24, s34
	s_mov_b32 s10, 0x7060302
	s_addc_u32 s13, s25, s35
	s_and_b32 s25, s13, 0xffff
	s_waitcnt vmcnt(0)
	v_cvt_f32_u32_sdwa v17, v2 dst_sel:DWORD dst_unused:UNUSED_PAD src0_sel:WORD_1
	v_cvt_f32_u32_sdwa v16, v2 dst_sel:DWORD dst_unused:UNUSED_PAD src0_sel:WORD_0
	v_cvt_f32_u32_sdwa v21, v3 dst_sel:DWORD dst_unused:UNUSED_PAD src0_sel:WORD_1
	v_cvt_f32_u32_sdwa v20, v3 dst_sel:DWORD dst_unused:UNUSED_PAD src0_sel:WORD_0
	;; [unrolled: 2-line block ×4, first 2 shown]
	v_pk_add_f32 v[2:3], v[6:7], v[16:17]
	v_pk_add_f32 v[4:5], v[8:9], v[20:21]
	v_pk_add_f32 v[6:7], v[14:15], v[22:23]
	v_pk_add_f32 v[8:9], v[18:19], v[24:25]
	v_perm_b32 v17, v9, v8, s10
	v_perm_b32 v16, v7, v6, s10
	;; [unrolled: 1-line block ×4, first 2 shown]
	buffer_store_dwordx4 v[14:17], v26, s[24:27], 0 offen glc slc
	;;#ASMSTART
	s_nop 0
	;;#ASMEND
.LBB126_10:
	s_or_b64 exec, exec, s[18:19]
	s_mov_b32 s10, s8
.LBB126_11:
	s_waitcnt vmcnt(1)
	v_mul_f32_e32 v14, v3, v3
	v_fmac_f32_e32 v14, v2, v2
	v_fmac_f32_e32 v14, v4, v4
	;; [unrolled: 1-line block ×7, first 2 shown]
	v_bfrev_b32_e32 v16, 0.5
	s_load_dwordx2 s[34:35], s[4:5], 0x18
	v_mov_b32_dpp v15, v14 quad_perm:[1,0,3,2] row_mask:0xf bank_mask:0xf
	v_add_f32_e32 v14, v14, v15
	s_nop 1
	v_mov_b32_dpp v15, v14 quad_perm:[2,3,0,1] row_mask:0xf bank_mask:0xf
	v_add_f32_e32 v14, v14, v15
	s_nop 1
	v_mov_b32_dpp v15, v14 row_half_mirror row_mask:0xf bank_mask:0xf
	v_add_f32_e32 v14, v14, v15
	s_nop 1
	v_mov_b32_dpp v15, v14 row_mirror row_mask:0xf bank_mask:0xf
	v_add_f32_e32 v14, v14, v15
	s_nop 1
	v_mov_b32_dpp v15, v14 row_bcast:15 row_mask:0xf bank_mask:0xf
	v_add_f32_e32 v14, v14, v15
	s_nop 1
	v_mov_b32_dpp v15, v14 row_bcast:31 row_mask:0xf bank_mask:0xf
	v_add_f32_e32 v15, v14, v15
	v_mbcnt_lo_u32_b32 v14, -1, 0
	v_mbcnt_hi_u32_b32 v14, -1, v14
	v_lshl_or_b32 v14, v14, 2, v16
	ds_bpermute_b32 v15, v14, v15
	s_and_saveexec_b64 s[18:19], s[0:1]
	s_cbranch_execnz .LBB126_16
; %bb.12:
	s_or_b64 exec, exec, s[18:19]
	s_mov_b64 s[18:19], -1
	s_and_b64 vcc, exec, s[2:3]
	s_cbranch_vccnz .LBB126_17
.LBB126_13:
	s_andn2_b64 vcc, exec, s[18:19]
	s_cbranch_vccz .LBB126_20
.LBB126_14:
	s_cmp_lt_i32 s12, 1
	s_cbranch_scc0 .LBB126_27
.LBB126_15:
	s_endpgm
.LBB126_16:
	v_cvt_f32_u32_e32 v16, s7
	s_mov_b32 s7, 0x800000
	s_waitcnt lgkmcnt(0)
	v_div_scale_f32 v17, s[24:25], v16, v16, v15
	v_rcp_f32_e32 v18, v17
	v_div_scale_f32 v19, vcc, v15, v16, v15
	v_fma_f32 v20, -v17, v18, 1.0
	v_fmac_f32_e32 v18, v20, v18
	v_mul_f32_e32 v20, v19, v18
	v_fma_f32 v21, -v17, v20, v19
	v_fmac_f32_e32 v20, v21, v18
	v_fma_f32 v17, -v17, v20, v19
	v_div_fmas_f32 v17, v17, v18, v20
	v_div_fixup_f32 v15, v17, v16, v15
	v_add_f32_e32 v15, s10, v15
	v_mul_f32_e32 v16, 0x4b800000, v15
	v_cmp_gt_f32_e32 vcc, s7, v15
	v_cndmask_b32_e32 v15, v15, v16, vcc
	v_rsq_f32_e32 v15, v15
	s_waitcnt vmcnt(0)
	v_cvt_f32_u32_sdwa v19, v11 dst_sel:DWORD dst_unused:UNUSED_PAD src0_sel:WORD_1
	v_cvt_f32_u32_sdwa v18, v11 dst_sel:DWORD dst_unused:UNUSED_PAD src0_sel:WORD_0
	v_cvt_f32_u32_sdwa v11, v12 dst_sel:DWORD dst_unused:UNUSED_PAD src0_sel:WORD_1
	v_mul_f32_e32 v16, 0x45800000, v15
	v_cndmask_b32_e32 v16, v15, v16, vcc
	v_mov_b32_e32 v17, v16
	;;#ASMSTART
	v_pk_mul_f32 v[2:3], v[2:3], v[16:17]
	;;#ASMEND
	;;#ASMSTART
	v_pk_mul_f32 v[4:5], v[4:5], v[16:17]
	;;#ASMEND
	;; [unrolled: 3-line block ×4, first 2 shown]
	v_cvt_f32_u32_sdwa v17, v10 dst_sel:DWORD dst_unused:UNUSED_PAD src0_sel:WORD_1
	v_cvt_f32_u32_sdwa v16, v10 dst_sel:DWORD dst_unused:UNUSED_PAD src0_sel:WORD_0
	v_cvt_f32_u32_sdwa v10, v12 dst_sel:DWORD dst_unused:UNUSED_PAD src0_sel:WORD_0
	v_cvt_f32_u32_sdwa v21, v13 dst_sel:DWORD dst_unused:UNUSED_PAD src0_sel:WORD_1
	v_cvt_f32_u32_sdwa v20, v13 dst_sel:DWORD dst_unused:UNUSED_PAD src0_sel:WORD_0
	;;#ASMSTART
	v_pk_mul_f32 v[2:3], v[2:3], v[16:17]
	;;#ASMEND
	;;#ASMSTART
	v_pk_mul_f32 v[4:5], v[4:5], v[18:19]
	;;#ASMEND
	;; [unrolled: 3-line block ×4, first 2 shown]
	s_or_b64 exec, exec, s[18:19]
	s_mov_b64 s[18:19], -1
	s_and_b64 vcc, exec, s[2:3]
	s_cbranch_vccz .LBB126_13
.LBB126_17:
	s_and_saveexec_b64 s[2:3], s[0:1]
	s_cbranch_execz .LBB126_19
; %bb.18:
	s_waitcnt lgkmcnt(0)
	s_mul_hi_i32 s19, s28, s6
	s_mul_i32 s18, s28, s6
	s_lshl_b64 s[18:19], s[18:19], 1
	s_add_u32 s24, s34, s18
	s_addc_u32 s7, s35, s19
	s_and_b32 s25, s7, 0xffff
	s_mov_b32 s7, 0x7060302
	s_mov_b32 s27, 0x20000
	s_waitcnt vmcnt(0)
	v_perm_b32 v10, v3, v2, s7
	v_perm_b32 v11, v5, v4, s7
	;; [unrolled: 1-line block ×4, first 2 shown]
	v_lshlrev_b32_e32 v15, 4, v0
	buffer_store_dwordx4 v[10:13], v15, s[24:27], 0 offen
	;;#ASMSTART
	s_nop 0
	;;#ASMEND
.LBB126_19:
	s_or_b64 exec, exec, s[2:3]
	s_cbranch_execnz .LBB126_14
.LBB126_20:
	s_waitcnt vmcnt(0)
	v_mov_b32_e32 v10, 0
	s_and_saveexec_b64 s[2:3], s[0:1]
	s_cbranch_execz .LBB126_22
; %bb.21:
	v_and_b32_e32 v10, 0x7fffffff, v2
	v_and_b32_e32 v11, 0x7fffffff, v3
	v_mov_b32_e32 v12, 0x2edbe6ff
	;;#ASMSTART
	v_max3_f32 v10, v12, v10, v11

	;;#ASMEND
	v_and_b32_e32 v11, 0x7fffffff, v4
	v_and_b32_e32 v12, 0x7fffffff, v5
	;;#ASMSTART
	v_max3_f32 v10, v10, v11, v12

	;;#ASMEND
	v_and_b32_e32 v11, 0x7fffffff, v6
	v_and_b32_e32 v12, 0x7fffffff, v7
	;; [unrolled: 6-line block ×3, first 2 shown]
	;;#ASMSTART
	v_max3_f32 v10, v10, v11, v12

	;;#ASMEND
.LBB126_22:
	s_or_b64 exec, exec, s[2:3]
	;;#ASMSTART
	v_max_f32 v11, v10, v10 quad_perm:[1,0,3,2] row_mask:0xf bank_mask:0xf bound_ctrl:1
	;;#ASMEND
	;;#ASMSTART
	v_max_f32 v10, v11, v11 quad_perm:[2,3,0,1] row_mask:0xf bank_mask:0xf bound_ctrl:1
	;;#ASMEND
	;;#ASMSTART
	v_max_f32 v11, v10, v10 row_half_mirror row_mask:0xf bank_mask:0xf bound_ctrl:1
	;;#ASMEND
	;;#ASMSTART
	v_max_f32 v10, v11, v11 row_mirror row_mask:0xf bank_mask:0xf bound_ctrl:1
	;;#ASMEND
	v_and_b32_e32 v11, 15, v0
	v_cmp_eq_u32_e32 vcc, 0, v11
	v_cmp_gt_i32_e64 s[2:3], s11, v1
	v_mul_f32_e32 v10, 0x3b124925, v10
	s_and_b64 s[18:19], vcc, s[2:3]
	s_and_saveexec_b64 s[2:3], s[18:19]
	s_cbranch_execz .LBB126_24
; %bb.23:
	s_load_dwordx2 s[18:19], s[4:5], 0x8
	v_lshrrev_b32_e32 v11, 4, v0
	s_waitcnt lgkmcnt(0)
	s_mul_hi_i32 s25, s21, s6
	s_mul_i32 s24, s21, s6
	v_mad_i64_i32 v[12:13], s[22:23], s22, v11, 0
	s_lshl_b64 s[22:23], s[24:25], 2
	s_add_u32 s7, s18, s22
	s_addc_u32 s8, s19, s23
	v_lshlrev_b64 v[12:13], 2, v[12:13]
	v_mov_b32_e32 v11, s8
	v_add_co_u32_e32 v12, vcc, s7, v12
	v_addc_co_u32_e32 v13, vcc, v11, v13, vcc
	global_store_dword v[12:13], v10, off
.LBB126_24:
	s_or_b64 exec, exec, s[2:3]
	;;#ASMSTART
	v_rcp_f32 v10, v10
	;;#ASMEND
	s_and_saveexec_b64 s[18:19], s[0:1]
	s_cbranch_execz .LBB126_26
; %bb.25:
	v_mov_b32_e32 v11, v10
	;;#ASMSTART
	v_pk_mul_f32 v[2:3], v[2:3], v[10:11]
	;;#ASMEND
	v_mov_b32_e32 v12, 0xc3e00000
	v_mov_b32_e32 v13, 0x43e00000
	s_waitcnt lgkmcnt(0)
	;;#ASMSTART
	v_med3_f32 v2, v2, v12, v13
v_med3_f32 v3, v3, v12, v13
v_cvt_pk_fp8_f32 v15, v2, v3
	;;#ASMEND
	s_load_dwordx2 s[0:1], s[4:5], 0x0
	;;#ASMSTART
	v_pk_mul_f32 v[2:3], v[4:5], v[10:11]
	;;#ASMEND
	;;#ASMSTART
	v_med3_f32 v2, v2, v12, v13
v_med3_f32 v3, v3, v12, v13
v_cvt_pk_fp8_f32 v4, v2, v3
	;;#ASMEND
	s_mov_b32 s8, 0x5040100
	v_perm_b32 v3, v4, v15, s8
	s_movk_i32 s8, 0xff
	v_and_b32_e32 v2, 0xffffff00, v4
	v_and_b32_sdwa v4, v3, s8 dst_sel:DWORD dst_unused:UNUSED_PAD src0_sel:WORD_1 src1_sel:DWORD
	s_mul_i32 s3, s20, s6
	s_mov_b32 s7, 0xffff
	v_or_b32_sdwa v2, v4, v2 dst_sel:WORD_1 dst_unused:UNUSED_PAD src0_sel:DWORD src1_sel:DWORD
	s_mul_hi_i32 s2, s20, s6
	s_waitcnt lgkmcnt(0)
	s_add_u32 s0, s0, s3
	v_and_or_b32 v2, v3, s7, v2
	;;#ASMSTART
	v_pk_mul_f32 v[4:5], v[6:7], v[10:11]
	;;#ASMEND
	v_mov_b32_e32 v3, v5
	s_addc_u32 s1, s1, s2
	s_add_i32 s2, s11, 3
	;;#ASMSTART
	v_med3_f32 v4, v4, v12, v13
v_med3_f32 v3, v3, v12, v13
v_cvt_pk_fp8_f32 v6, v4, v3
	;;#ASMEND
	s_ashr_i32 s3, s2, 31
	;;#ASMSTART
	v_pk_mul_f32 v[4:5], v[8:9], v[10:11]
	;;#ASMEND
	v_mov_b32_e32 v3, v5
	s_lshr_b32 s3, s3, 30
	;;#ASMSTART
	v_med3_f32 v4, v4, v12, v13
v_med3_f32 v3, v3, v12, v13
v_cvt_pk_fp8_f32 v5, v4, v3
	;;#ASMEND
	s_add_i32 s2, s2, s3
	v_lshlrev_b32_e32 v3, 16, v5
	s_and_b32 s2, s2, -4
	s_and_b32 s1, s1, 0xffff
	s_mov_b32 s3, 0x20000
	v_and_or_b32 v3, v6, s7, v3
	buffer_store_dwordx2 v[2:3], v1, s[0:3], 0 offen
	;;#ASMSTART
	s_nop 0
	;;#ASMEND
.LBB126_26:
	s_or_b64 exec, exec, s[18:19]
	s_cmp_lt_i32 s12, 1
	s_cbranch_scc1 .LBB126_15
.LBB126_27:
	s_load_dword s0, s[4:5], 0x94
	s_waitcnt lgkmcnt(0)
	s_cmp_lg_u32 s0, 1
	s_cbranch_scc1 .LBB126_15
; %bb.28:
	s_lshl_b32 s0, s12, 1
	s_add_i32 s0, s0, 2
	v_cmp_gt_u32_e32 vcc, s12, v1
	s_and_b32 s18, s0, -4
	v_mov_b32_e32 v4, 0
	s_waitcnt vmcnt(0)
	v_lshlrev_b32_e32 v12, 4, v0
	v_mov_b32_e32 v5, 0
	v_mov_b32_e32 v6, 0
	;; [unrolled: 1-line block ×7, first 2 shown]
	s_barrier
	s_and_saveexec_b64 s[0:1], vcc
	s_cbranch_execz .LBB126_30
; %bb.29:
	s_mul_hi_i32 s3, s14, s6
	s_mul_i32 s2, s14, s6
	s_and_b32 s17, s17, 0xffff
	s_lshl_b64 s[2:3], s[2:3], 1
	s_add_u32 s20, s30, s2
	s_mov_b32 s19, 0x20000
	s_addc_u32 s2, s31, s3
	s_and_b32 s21, s2, 0xffff
	s_mov_b32 s22, s18
	s_mov_b32 s23, s19
	buffer_load_dwordx4 v[4:7], v12, s[20:23], 0 offen glc slc
	buffer_load_dwordx4 v[0:3], v12, s[16:19], 0 offen
.LBB126_30:
	s_or_b64 exec, exec, s[0:1]
	s_waitcnt vmcnt(1)
	v_cvt_f32_u32_sdwa v11, v4 dst_sel:DWORD dst_unused:UNUSED_PAD src0_sel:WORD_1
	v_cvt_f32_u32_sdwa v10, v4 dst_sel:DWORD dst_unused:UNUSED_PAD src0_sel:WORD_0
	v_cvt_f32_u32_sdwa v4, v7 dst_sel:DWORD dst_unused:UNUSED_PAD src0_sel:WORD_1
	v_cvt_f32_u32_sdwa v7, v7 dst_sel:DWORD dst_unused:UNUSED_PAD src0_sel:WORD_0
	;; [unrolled: 2-line block ×4, first 2 shown]
	v_cndmask_b32_e32 v11, 0, v11, vcc
	v_cndmask_b32_e32 v5, 0, v4, vcc
	;; [unrolled: 1-line block ×5, first 2 shown]
	v_mul_f32_e32 v13, v11, v11
	v_cndmask_b32_e32 v8, 0, v8, vcc
	v_fmac_f32_e32 v13, v10, v10
	v_cndmask_b32_e32 v9, 0, v9, vcc
	v_fmac_f32_e32 v13, v8, v8
	;; [unrolled: 2-line block ×3, first 2 shown]
	v_fmac_f32_e32 v13, v6, v6
	v_fmac_f32_e32 v13, v7, v7
	;; [unrolled: 1-line block ×4, first 2 shown]
	s_nop 1
	v_mov_b32_dpp v15, v13 quad_perm:[1,0,3,2] row_mask:0xf bank_mask:0xf
	v_add_f32_e32 v13, v13, v15
	s_nop 1
	v_mov_b32_dpp v15, v13 quad_perm:[2,3,0,1] row_mask:0xf bank_mask:0xf
	v_add_f32_e32 v13, v13, v15
	s_nop 1
	v_mov_b32_dpp v15, v13 row_half_mirror row_mask:0xf bank_mask:0xf
	v_add_f32_e32 v13, v13, v15
	s_nop 1
	v_mov_b32_dpp v15, v13 row_mirror row_mask:0xf bank_mask:0xf
	v_add_f32_e32 v13, v13, v15
	s_nop 1
	v_mov_b32_dpp v15, v13 row_bcast:15 row_mask:0xf bank_mask:0xf
	v_add_f32_e32 v13, v13, v15
	s_nop 1
	v_mov_b32_dpp v15, v13 row_bcast:31 row_mask:0xf bank_mask:0xf
	v_add_f32_e32 v13, v13, v15
	ds_bpermute_b32 v13, v14, v13
	s_and_saveexec_b64 s[0:1], vcc
	s_cbranch_execz .LBB126_15
; %bb.31:
	v_cvt_f32_u32_e32 v14, s12
	s_mov_b32 s19, 0x20000
	s_waitcnt lgkmcnt(0)
	v_div_scale_f32 v15, s[0:1], v14, v14, v13
	v_rcp_f32_e32 v16, v15
	v_div_scale_f32 v17, vcc, v13, v14, v13
	s_mov_b32 s0, 0x800000
	v_fma_f32 v18, -v15, v16, 1.0
	v_fmac_f32_e32 v16, v18, v16
	v_mul_f32_e32 v18, v17, v16
	v_fma_f32 v19, -v15, v18, v17
	v_fmac_f32_e32 v18, v19, v16
	v_fma_f32 v15, -v15, v18, v17
	v_div_fmas_f32 v15, v15, v16, v18
	v_div_fixup_f32 v13, v15, v14, v13
	v_add_f32_e32 v13, s9, v13
	v_mul_f32_e32 v14, 0x4b800000, v13
	v_cmp_gt_f32_e32 vcc, s0, v13
	v_cndmask_b32_e32 v13, v13, v14, vcc
	v_rsq_f32_e32 v13, v13
	s_mul_hi_i32 s1, s28, s6
	s_mul_i32 s0, s28, s6
	s_lshl_b64 s[0:1], s[0:1], 1
	v_mul_f32_e32 v14, 0x45800000, v13
	v_cndmask_b32_e32 v14, v13, v14, vcc
	s_add_u32 s16, s34, s0
	v_mov_b32_e32 v15, v14
	s_addc_u32 s0, s35, s1
	;;#ASMSTART
	v_pk_mul_f32 v[10:11], v[10:11], v[14:15]
	;;#ASMEND
	;;#ASMSTART
	v_pk_mul_f32 v[8:9], v[8:9], v[14:15]
	;;#ASMEND
	;;#ASMSTART
	v_pk_mul_f32 v[6:7], v[6:7], v[14:15]
	;;#ASMEND
	;;#ASMSTART
	v_pk_mul_f32 v[4:5], v[4:5], v[14:15]
	;;#ASMEND
	s_waitcnt vmcnt(0)
	v_cvt_f32_u32_sdwa v15, v0 dst_sel:DWORD dst_unused:UNUSED_PAD src0_sel:WORD_1
	v_cvt_f32_u32_sdwa v14, v0 dst_sel:DWORD dst_unused:UNUSED_PAD src0_sel:WORD_0
	v_cvt_f32_u32_sdwa v17, v1 dst_sel:DWORD dst_unused:UNUSED_PAD src0_sel:WORD_1
	v_cvt_f32_u32_sdwa v16, v1 dst_sel:DWORD dst_unused:UNUSED_PAD src0_sel:WORD_0
	;; [unrolled: 2-line block ×4, first 2 shown]
	;;#ASMSTART
	v_pk_mul_f32 v[2:3], v[10:11], v[14:15]
	;;#ASMEND
	s_and_b32 s17, s0, 0xffff
	s_mov_b32 s0, 0x7060302
	;;#ASMSTART
	v_pk_mul_f32 v[8:9], v[8:9], v[16:17]
	;;#ASMEND
	;;#ASMSTART
	v_pk_mul_f32 v[6:7], v[6:7], v[0:1]
	;;#ASMEND
	;; [unrolled: 3-line block ×3, first 2 shown]
	v_perm_b32 v0, v3, v2, s0
	v_perm_b32 v1, v9, v8, s0
	;; [unrolled: 1-line block ×4, first 2 shown]
	buffer_store_dwordx4 v[0:3], v12, s[16:19], 0 offen
	;;#ASMSTART
	s_nop 0
	;;#ASMEND
	s_endpgm
	.section	.rodata,"a",@progbits
	.p2align	6, 0x0
	.amdhsa_kernel _ZN5aiter35fused_qk_rmsnorm_group_quant_kernelItDB8_Li64ELi8ELi16ELb1ELb0ELb0ELb0ELb0ELb0EEEvPT0_PvPT_S6_S6_PKS5_S8_S8_S8_S8_ffiiiiiiiiiiiii
		.amdhsa_group_segment_fixed_size 0
		.amdhsa_private_segment_fixed_size 0
		.amdhsa_kernarg_size 400
		.amdhsa_user_sgpr_count 6
		.amdhsa_user_sgpr_private_segment_buffer 1
		.amdhsa_user_sgpr_dispatch_ptr 0
		.amdhsa_user_sgpr_queue_ptr 0
		.amdhsa_user_sgpr_kernarg_segment_ptr 1
		.amdhsa_user_sgpr_dispatch_id 0
		.amdhsa_user_sgpr_flat_scratch_init 0
		.amdhsa_user_sgpr_kernarg_preload_length 0
		.amdhsa_user_sgpr_kernarg_preload_offset 0
		.amdhsa_user_sgpr_private_segment_size 0
		.amdhsa_uses_dynamic_stack 0
		.amdhsa_system_sgpr_private_segment_wavefront_offset 0
		.amdhsa_system_sgpr_workgroup_id_x 1
		.amdhsa_system_sgpr_workgroup_id_y 1
		.amdhsa_system_sgpr_workgroup_id_z 0
		.amdhsa_system_sgpr_workgroup_info 0
		.amdhsa_system_vgpr_workitem_id 0
		.amdhsa_next_free_vgpr 27
		.amdhsa_next_free_sgpr 44
		.amdhsa_accum_offset 28
		.amdhsa_reserve_vcc 1
		.amdhsa_reserve_flat_scratch 0
		.amdhsa_float_round_mode_32 0
		.amdhsa_float_round_mode_16_64 0
		.amdhsa_float_denorm_mode_32 3
		.amdhsa_float_denorm_mode_16_64 3
		.amdhsa_dx10_clamp 1
		.amdhsa_ieee_mode 1
		.amdhsa_fp16_overflow 0
		.amdhsa_tg_split 0
		.amdhsa_exception_fp_ieee_invalid_op 0
		.amdhsa_exception_fp_denorm_src 0
		.amdhsa_exception_fp_ieee_div_zero 0
		.amdhsa_exception_fp_ieee_overflow 0
		.amdhsa_exception_fp_ieee_underflow 0
		.amdhsa_exception_fp_ieee_inexact 0
		.amdhsa_exception_int_div_zero 0
	.end_amdhsa_kernel
	.section	.text._ZN5aiter35fused_qk_rmsnorm_group_quant_kernelItDB8_Li64ELi8ELi16ELb1ELb0ELb0ELb0ELb0ELb0EEEvPT0_PvPT_S6_S6_PKS5_S8_S8_S8_S8_ffiiiiiiiiiiiii,"axG",@progbits,_ZN5aiter35fused_qk_rmsnorm_group_quant_kernelItDB8_Li64ELi8ELi16ELb1ELb0ELb0ELb0ELb0ELb0EEEvPT0_PvPT_S6_S6_PKS5_S8_S8_S8_S8_ffiiiiiiiiiiiii,comdat
.Lfunc_end126:
	.size	_ZN5aiter35fused_qk_rmsnorm_group_quant_kernelItDB8_Li64ELi8ELi16ELb1ELb0ELb0ELb0ELb0ELb0EEEvPT0_PvPT_S6_S6_PKS5_S8_S8_S8_S8_ffiiiiiiiiiiiii, .Lfunc_end126-_ZN5aiter35fused_qk_rmsnorm_group_quant_kernelItDB8_Li64ELi8ELi16ELb1ELb0ELb0ELb0ELb0ELb0EEEvPT0_PvPT_S6_S6_PKS5_S8_S8_S8_S8_ffiiiiiiiiiiiii
                                        ; -- End function
	.section	.AMDGPU.csdata,"",@progbits
; Kernel info:
; codeLenInByte = 2824
; NumSgprs: 48
; NumVgprs: 27
; NumAgprs: 0
; TotalNumVgprs: 27
; ScratchSize: 0
; MemoryBound: 0
; FloatMode: 240
; IeeeMode: 1
; LDSByteSize: 0 bytes/workgroup (compile time only)
; SGPRBlocks: 5
; VGPRBlocks: 3
; NumSGPRsForWavesPerEU: 48
; NumVGPRsForWavesPerEU: 27
; AccumOffset: 28
; Occupancy: 8
; WaveLimiterHint : 0
; COMPUTE_PGM_RSRC2:SCRATCH_EN: 0
; COMPUTE_PGM_RSRC2:USER_SGPR: 6
; COMPUTE_PGM_RSRC2:TRAP_HANDLER: 0
; COMPUTE_PGM_RSRC2:TGID_X_EN: 1
; COMPUTE_PGM_RSRC2:TGID_Y_EN: 1
; COMPUTE_PGM_RSRC2:TGID_Z_EN: 0
; COMPUTE_PGM_RSRC2:TIDIG_COMP_CNT: 0
; COMPUTE_PGM_RSRC3_GFX90A:ACCUM_OFFSET: 6
; COMPUTE_PGM_RSRC3_GFX90A:TG_SPLIT: 0
	.section	.text._ZN5aiter35fused_qk_rmsnorm_group_quant_kernelIDF16_N4opus5fp4_tELi64ELi8ELi16ELb1ELb0ELb0ELb0ELb0ELb0EEEvPT0_PvPT_S7_S7_PKS6_S9_S9_S9_S9_ffiiiiiiiiiiiii,"axG",@progbits,_ZN5aiter35fused_qk_rmsnorm_group_quant_kernelIDF16_N4opus5fp4_tELi64ELi8ELi16ELb1ELb0ELb0ELb0ELb0ELb0EEEvPT0_PvPT_S7_S7_PKS6_S9_S9_S9_S9_ffiiiiiiiiiiiii,comdat
	.protected	_ZN5aiter35fused_qk_rmsnorm_group_quant_kernelIDF16_N4opus5fp4_tELi64ELi8ELi16ELb1ELb0ELb0ELb0ELb0ELb0EEEvPT0_PvPT_S7_S7_PKS6_S9_S9_S9_S9_ffiiiiiiiiiiiii ; -- Begin function _ZN5aiter35fused_qk_rmsnorm_group_quant_kernelIDF16_N4opus5fp4_tELi64ELi8ELi16ELb1ELb0ELb0ELb0ELb0ELb0EEEvPT0_PvPT_S7_S7_PKS6_S9_S9_S9_S9_ffiiiiiiiiiiiii
	.globl	_ZN5aiter35fused_qk_rmsnorm_group_quant_kernelIDF16_N4opus5fp4_tELi64ELi8ELi16ELb1ELb0ELb0ELb0ELb0ELb0EEEvPT0_PvPT_S7_S7_PKS6_S9_S9_S9_S9_ffiiiiiiiiiiiii
	.p2align	8
	.type	_ZN5aiter35fused_qk_rmsnorm_group_quant_kernelIDF16_N4opus5fp4_tELi64ELi8ELi16ELb1ELb0ELb0ELb0ELb0ELb0EEEvPT0_PvPT_S7_S7_PKS6_S9_S9_S9_S9_ffiiiiiiiiiiiii,@function
_ZN5aiter35fused_qk_rmsnorm_group_quant_kernelIDF16_N4opus5fp4_tELi64ELi8ELi16ELb1ELb0ELb0ELb0ELb0ELb0EEEvPT0_PvPT_S7_S7_PKS6_S9_S9_S9_S9_ffiiiiiiiiiiiii: ; @_ZN5aiter35fused_qk_rmsnorm_group_quant_kernelIDF16_N4opus5fp4_tELi64ELi8ELi16ELb1ELb0ELb0ELb0ELb0ELb0EEEvPT0_PvPT_S7_S7_PKS6_S9_S9_S9_S9_ffiiiiiiiiiiiii
; %bb.0:
	s_load_dwordx8 s[8:15], s[4:5], 0x50
	s_waitcnt lgkmcnt(0)
	s_cmp_ge_i32 s6, s10
	s_cbranch_scc1 .LBB127_15
; %bb.1:
	s_cmp_lg_u32 s7, 0
	s_cselect_b64 s[2:3], -1, 0
	s_cmp_eq_u32 s7, 0
	s_cselect_b64 s[24:25], -1, 0
	s_and_b64 s[0:1], s[24:25], exec
	s_load_dwordx2 s[16:17], s[4:5], 0x48
	s_load_dwordx2 s[30:31], s[4:5], 0x30
	s_load_dwordx4 s[20:23], s[4:5], 0x70
	s_cselect_b32 s7, s11, s12
	s_add_i32 s0, s7, 1
	s_lshr_b32 s1, s0, 31
	s_add_i32 s0, s0, s1
	s_lshl_b32 s0, s0, 1
	v_lshlrev_b32_e32 v1, 3, v0
	s_and_b32 s26, s0, -4
	v_cmp_gt_i32_e64 s[0:1], s7, v1
	v_mov_b32_e32 v2, 0
	v_mov_b32_e32 v3, 0
	v_mov_b32_e32 v4, 0
	v_mov_b32_e32 v5, 0
	v_mov_b32_e32 v6, 0
	v_mov_b32_e32 v7, 0
	v_mov_b32_e32 v8, 0
	v_mov_b32_e32 v9, 0
	s_and_saveexec_b64 s[18:19], s[0:1]
	s_cbranch_execz .LBB127_3
; %bb.2:
	s_load_dwordx2 s[28:29], s[4:5], 0x28
	s_load_dwordx2 s[34:35], s[4:5], 0x40
	s_and_b64 s[36:37], s[24:25], exec
	s_cselect_b32 s10, s13, s14
	s_mov_b32 s27, 0x20000
	s_waitcnt lgkmcnt(0)
	s_cselect_b32 s13, s29, s31
	s_cselect_b32 s23, s28, s30
	s_mul_hi_i32 s29, s10, s6
	s_mul_i32 s28, s10, s6
	s_lshl_b64 s[28:29], s[28:29], 1
	s_add_u32 s36, s23, s28
	s_addc_u32 s10, s13, s29
	s_and_b64 s[24:25], s[24:25], exec
	s_cselect_b32 s24, s34, s16
	s_cselect_b32 s13, s35, s17
	v_lshlrev_b32_e32 v10, 4, v0
	s_and_b32 s37, s10, 0xffff
	s_mov_b32 s38, s26
	s_mov_b32 s39, s27
	s_and_b32 s25, s13, 0xffff
	buffer_load_dwordx4 v[6:9], v10, s[36:39], 0 offen glc slc
	buffer_load_dwordx4 v[2:5], v10, s[24:27], 0 offen
.LBB127_3:
	s_or_b64 exec, exec, s[18:19]
	s_load_dwordx2 s[28:29], s[4:5], 0x80
	s_and_b64 vcc, exec, s[2:3]
	s_cbranch_vccz .LBB127_7
; %bb.4:
	v_mov_b32_e32 v11, 0
	v_mov_b32_e32 v10, 0
	;; [unrolled: 1-line block ×8, first 2 shown]
	s_and_saveexec_b64 s[18:19], s[0:1]
	s_cbranch_execz .LBB127_6
; %bb.5:
	s_waitcnt vmcnt(1)
	v_cvt_f32_f16_sdwa v17, v6 dst_sel:DWORD dst_unused:UNUSED_PAD src0_sel:WORD_1
	v_cvt_f32_f16_e32 v16, v6
	v_cvt_f32_f16_sdwa v15, v7 dst_sel:DWORD dst_unused:UNUSED_PAD src0_sel:WORD_1
	v_cvt_f32_f16_e32 v14, v7
	;; [unrolled: 2-line block ×4, first 2 shown]
.LBB127_6:
	s_or_b64 exec, exec, s[18:19]
	s_mov_b32 s10, s9
	s_cbranch_execz .LBB127_8
	s_branch .LBB127_11
.LBB127_7:
                                        ; implicit-def: $vgpr11
                                        ; implicit-def: $vgpr13
                                        ; implicit-def: $vgpr15
                                        ; implicit-def: $vgpr17
	s_mov_b32 s10, s9
.LBB127_8:
	v_mov_b32_e32 v11, 0
	v_mov_b32_e32 v10, 0
	;; [unrolled: 1-line block ×8, first 2 shown]
	s_and_saveexec_b64 s[18:19], s[0:1]
	s_cbranch_execz .LBB127_10
; %bb.9:
	s_load_dwordx2 s[24:25], s[4:5], 0x38
	s_mul_hi_i32 s35, s15, s6
	s_mul_i32 s34, s15, s6
	s_lshl_b64 s[34:35], s[34:35], 1
	s_mov_b32 s27, 0x20000
	s_waitcnt lgkmcnt(0)
	s_add_u32 s24, s24, s34
	s_addc_u32 s10, s25, s35
	s_and_b32 s25, s10, 0xffff
	v_lshlrev_b32_e32 v26, 4, v0
	buffer_load_dwordx4 v[10:13], v26, s[24:27], 0 offen glc slc
	s_waitcnt vmcnt(2)
	v_cvt_f32_f16_sdwa v15, v6 dst_sel:DWORD dst_unused:UNUSED_PAD src0_sel:WORD_1
	v_cvt_f32_f16_e32 v14, v6
	v_cvt_f32_f16_sdwa v19, v7 dst_sel:DWORD dst_unused:UNUSED_PAD src0_sel:WORD_1
	v_cvt_f32_f16_e32 v18, v7
	;; [unrolled: 2-line block ×4, first 2 shown]
	s_load_dwordx2 s[24:25], s[4:5], 0x20
	s_mul_hi_i32 s35, s29, s6
	s_mul_i32 s34, s29, s6
	s_lshl_b64 s[34:35], s[34:35], 1
	s_waitcnt lgkmcnt(0)
	s_add_u32 s24, s24, s34
	s_addc_u32 s10, s25, s35
	s_and_b32 s25, s10, 0xffff
	s_waitcnt vmcnt(0)
	v_cvt_f32_f16_e32 v8, v10
	v_cvt_f32_f16_sdwa v9, v10 dst_sel:DWORD dst_unused:UNUSED_PAD src0_sel:WORD_1
	v_cvt_f32_f16_e32 v10, v11
	v_cvt_f32_f16_sdwa v11, v11 dst_sel:DWORD dst_unused:UNUSED_PAD src0_sel:WORD_1
	;; [unrolled: 2-line block ×4, first 2 shown]
	v_pk_add_f32 v[16:17], v[14:15], v[8:9]
	v_pk_add_f32 v[14:15], v[18:19], v[10:11]
	;; [unrolled: 1-line block ×4, first 2 shown]
	v_cvt_f16_f32_e32 v6, v17
	v_cvt_f16_f32_e32 v7, v15
	;; [unrolled: 1-line block ×8, first 2 shown]
	v_pack_b32_f16 v9, v18, v9
	v_pack_b32_f16 v8, v19, v8
	;; [unrolled: 1-line block ×4, first 2 shown]
	buffer_store_dwordx4 v[6:9], v26, s[24:27], 0 offen glc slc
	;;#ASMSTART
	s_nop 0
	;;#ASMEND
.LBB127_10:
	s_or_b64 exec, exec, s[18:19]
	s_mov_b32 s10, s8
.LBB127_11:
	s_waitcnt vmcnt(1)
	v_mul_f32_e32 v6, v17, v17
	v_fmac_f32_e32 v6, v16, v16
	v_fmac_f32_e32 v6, v14, v14
	;; [unrolled: 1-line block ×7, first 2 shown]
	v_bfrev_b32_e32 v8, 0.5
	s_load_dwordx2 s[34:35], s[4:5], 0x18
	v_mov_b32_dpp v7, v6 quad_perm:[1,0,3,2] row_mask:0xf bank_mask:0xf
	v_add_f32_e32 v6, v6, v7
	s_nop 1
	v_mov_b32_dpp v7, v6 quad_perm:[2,3,0,1] row_mask:0xf bank_mask:0xf
	v_add_f32_e32 v6, v6, v7
	s_nop 1
	v_mov_b32_dpp v7, v6 row_half_mirror row_mask:0xf bank_mask:0xf
	v_add_f32_e32 v6, v6, v7
	s_nop 1
	v_mov_b32_dpp v7, v6 row_mirror row_mask:0xf bank_mask:0xf
	v_add_f32_e32 v6, v6, v7
	s_nop 1
	v_mov_b32_dpp v7, v6 row_bcast:15 row_mask:0xf bank_mask:0xf
	v_add_f32_e32 v6, v6, v7
	s_nop 1
	v_mov_b32_dpp v7, v6 row_bcast:31 row_mask:0xf bank_mask:0xf
	v_add_f32_e32 v6, v6, v7
	v_mbcnt_lo_u32_b32 v7, -1, 0
	v_mbcnt_hi_u32_b32 v7, -1, v7
	v_lshl_or_b32 v18, v7, 2, v8
	ds_bpermute_b32 v6, v18, v6
	s_and_saveexec_b64 s[18:19], s[0:1]
	s_cbranch_execnz .LBB127_16
; %bb.12:
	s_or_b64 exec, exec, s[18:19]
	s_mov_b64 s[18:19], -1
	s_and_b64 vcc, exec, s[2:3]
	s_cbranch_vccnz .LBB127_17
.LBB127_13:
	s_andn2_b64 vcc, exec, s[18:19]
	s_cbranch_vccz .LBB127_20
.LBB127_14:
	s_cmp_lt_i32 s12, 1
	s_cbranch_scc0 .LBB127_27
.LBB127_15:
	s_endpgm
.LBB127_16:
	v_cvt_f32_u32_e32 v7, s7
	s_mov_b32 s7, 0x800000
	s_waitcnt vmcnt(0)
	v_cvt_f32_f16_sdwa v23, v5 dst_sel:DWORD dst_unused:UNUSED_PAD src0_sel:WORD_1
	v_cvt_f32_f16_e32 v22, v5
	s_waitcnt lgkmcnt(0)
	v_div_scale_f32 v8, s[24:25], v7, v7, v6
	v_rcp_f32_e32 v9, v8
	v_div_scale_f32 v19, vcc, v6, v7, v6
	v_fma_f32 v20, -v8, v9, 1.0
	v_fmac_f32_e32 v9, v20, v9
	v_mul_f32_e32 v20, v19, v9
	v_fma_f32 v21, -v8, v20, v19
	v_fmac_f32_e32 v20, v21, v9
	v_fma_f32 v8, -v8, v20, v19
	v_div_fmas_f32 v8, v8, v9, v20
	v_div_fixup_f32 v6, v8, v7, v6
	v_add_f32_e32 v6, s10, v6
	v_mul_f32_e32 v7, 0x4b800000, v6
	v_cmp_gt_f32_e32 vcc, s7, v6
	v_cndmask_b32_e32 v6, v6, v7, vcc
	v_rsq_f32_e32 v6, v6
	v_cvt_f32_f16_sdwa v21, v3 dst_sel:DWORD dst_unused:UNUSED_PAD src0_sel:WORD_1
	v_cvt_f32_f16_e32 v20, v3
	v_cvt_f32_f16_sdwa v3, v4 dst_sel:DWORD dst_unused:UNUSED_PAD src0_sel:WORD_1
	v_mul_f32_e32 v7, 0x45800000, v6
	v_cndmask_b32_e32 v6, v6, v7, vcc
	v_mov_b32_e32 v7, v6
	;;#ASMSTART
	v_pk_mul_f32 v[8:9], v[16:17], v[6:7]
	;;#ASMEND
	;;#ASMSTART
	v_pk_mul_f32 v[14:15], v[14:15], v[6:7]
	;;#ASMEND
	;; [unrolled: 3-line block ×4, first 2 shown]
	v_cvt_f32_f16_sdwa v11, v2 dst_sel:DWORD dst_unused:UNUSED_PAD src0_sel:WORD_1
	v_cvt_f32_f16_e32 v10, v2
	v_cvt_f32_f16_e32 v2, v4
	;;#ASMSTART
	v_pk_mul_f32 v[16:17], v[8:9], v[10:11]
	;;#ASMEND
	;;#ASMSTART
	v_pk_mul_f32 v[14:15], v[14:15], v[20:21]
	;;#ASMEND
	;; [unrolled: 3-line block ×4, first 2 shown]
	s_or_b64 exec, exec, s[18:19]
	s_mov_b64 s[18:19], -1
	s_and_b64 vcc, exec, s[2:3]
	s_cbranch_vccz .LBB127_13
.LBB127_17:
	s_and_saveexec_b64 s[2:3], s[0:1]
	s_cbranch_execz .LBB127_19
; %bb.18:
	s_waitcnt lgkmcnt(0)
	s_mul_hi_i32 s19, s28, s6
	s_mul_i32 s18, s28, s6
	s_waitcnt vmcnt(0)
	v_cvt_f16_f32_e32 v2, v16
	v_cvt_f16_f32_e32 v3, v14
	;; [unrolled: 1-line block ×8, first 2 shown]
	s_lshl_b64 s[18:19], s[18:19], 1
	s_add_u32 s24, s34, s18
	s_addc_u32 s7, s35, s19
	s_and_b32 s25, s7, 0xffff
	s_mov_b32 s27, 0x20000
	v_pack_b32_f16 v5, v5, v6
	v_pack_b32_f16 v4, v4, v7
	;; [unrolled: 1-line block ×4, first 2 shown]
	v_lshlrev_b32_e32 v6, 4, v0
	buffer_store_dwordx4 v[2:5], v6, s[24:27], 0 offen
	;;#ASMSTART
	s_nop 0
	;;#ASMEND
.LBB127_19:
	s_or_b64 exec, exec, s[2:3]
	s_cbranch_execnz .LBB127_14
.LBB127_20:
	s_waitcnt vmcnt(0)
	v_mov_b32_e32 v2, 0
	s_and_saveexec_b64 s[2:3], s[0:1]
	s_cbranch_execz .LBB127_22
; %bb.21:
	v_and_b32_e32 v2, 0x7fffffff, v16
	v_and_b32_e32 v3, 0x7fffffff, v17
	v_mov_b32_e32 v4, 0x2edbe6ff
	;;#ASMSTART
	v_max3_f32 v2, v4, v2, v3

	;;#ASMEND
	v_and_b32_e32 v3, 0x7fffffff, v14
	v_and_b32_e32 v4, 0x7fffffff, v15
	;;#ASMSTART
	v_max3_f32 v2, v2, v3, v4

	;;#ASMEND
	v_and_b32_e32 v3, 0x7fffffff, v12
	v_and_b32_e32 v4, 0x7fffffff, v13
	;; [unrolled: 6-line block ×3, first 2 shown]
	;;#ASMSTART
	v_max3_f32 v2, v2, v3, v4

	;;#ASMEND
.LBB127_22:
	s_or_b64 exec, exec, s[2:3]
	;;#ASMSTART
	v_max_f32 v3, v2, v2 quad_perm:[1,0,3,2] row_mask:0xf bank_mask:0xf bound_ctrl:1
	;;#ASMEND
	;;#ASMSTART
	v_max_f32 v2, v3, v3 quad_perm:[2,3,0,1] row_mask:0xf bank_mask:0xf bound_ctrl:1
	;;#ASMEND
	;;#ASMSTART
	v_max_f32 v3, v2, v2 row_half_mirror row_mask:0xf bank_mask:0xf bound_ctrl:1
	;;#ASMEND
	;;#ASMSTART
	v_max_f32 v2, v3, v3 row_mirror row_mask:0xf bank_mask:0xf bound_ctrl:1
	;;#ASMEND
	v_and_b32_e32 v3, 15, v0
	v_cmp_eq_u32_e32 vcc, 0, v3
	v_cmp_gt_i32_e64 s[2:3], s11, v1
	s_and_b64 s[18:19], vcc, s[2:3]
	s_and_saveexec_b64 s[2:3], s[18:19]
	s_cbranch_execz .LBB127_24
; %bb.23:
	s_load_dwordx2 s[18:19], s[4:5], 0x8
	v_mul_f32_e32 v2, 0x3e2aaaab, v2
	v_lshrrev_b32_e32 v3, 23, v2
	v_and_b32_e32 v4, 0x7f800000, v2
	v_and_b32_e32 v2, 0x7fffff, v2
	v_cmp_ne_u32_e32 vcc, 0, v2
	s_waitcnt lgkmcnt(0)
	s_mul_i32 s10, s21, s6
	s_mov_b32 s7, 0x7f800000
	v_addc_co_u32_e32 v2, vcc, 0, v3, vcc
	s_mul_hi_i32 s8, s21, s6
	s_add_u32 s18, s18, s10
	v_cmp_ne_u32_e32 vcc, s7, v4
	s_addc_u32 s19, s19, s8
	v_lshrrev_b32_e32 v5, 4, v0
	v_cndmask_b32_e32 v4, -1, v2, vcc
	v_pk_mov_b32 v[2:3], s[18:19], s[18:19] op_sel:[0,1]
	v_mad_i64_i32 v[2:3], s[18:19], s22, v5, v[2:3]
	global_store_byte v[2:3], v4, off
.LBB127_24:
	s_or_b64 exec, exec, s[2:3]
	s_and_saveexec_b64 s[2:3], s[0:1]
	s_cbranch_execz .LBB127_26
; %bb.25:
	s_load_dwordx2 s[0:1], s[4:5], 0x0
	s_waitcnt lgkmcnt(0)
	s_mul_i32 s8, s20, s6
	s_mul_hi_i32 s7, s20, s6
	v_lshlrev_b32_e32 v2, 2, v0
	s_mov_b32 s23, 0x20000
	s_add_u32 s20, s0, s8
	s_addc_u32 s0, s1, s7
	s_lshr_b32 s1, s11, 31
	s_add_i32 s1, s11, s1
	s_ashr_i32 s1, s1, 1
	s_add_i32 s1, s1, 3
	s_ashr_i32 s7, s1, 31
	s_lshr_b32 s7, s7, 30
	s_add_i32 s1, s1, s7
	s_and_b32 s22, s1, -4
	s_and_b32 s21, s0, 0xffff
	v_mov_b32_e32 v3, 0
	buffer_store_dword v3, v2, s[20:23], 0 offen
	;;#ASMSTART
	s_nop 0
	;;#ASMEND
.LBB127_26:
	s_or_b64 exec, exec, s[2:3]
	s_cmp_lt_i32 s12, 1
	s_cbranch_scc1 .LBB127_15
.LBB127_27:
	s_load_dword s0, s[4:5], 0x94
	s_waitcnt lgkmcnt(0)
	s_cmp_lg_u32 s0, 1
	s_cbranch_scc1 .LBB127_15
; %bb.28:
	s_lshl_b32 s0, s12, 1
	s_add_i32 s0, s0, 2
	v_cmp_gt_u32_e32 vcc, s12, v1
	s_and_b32 s18, s0, -4
	v_mov_b32_e32 v8, 0
	v_lshlrev_b32_e32 v16, 4, v0
	s_waitcnt vmcnt(0)
	v_mov_b32_e32 v4, 0
	v_mov_b32_e32 v5, 0
	;; [unrolled: 1-line block ×8, first 2 shown]
	s_barrier
	s_and_saveexec_b64 s[0:1], vcc
	s_cbranch_execz .LBB127_30
; %bb.29:
	s_mul_hi_i32 s3, s14, s6
	s_mul_i32 s2, s14, s6
	s_and_b32 s17, s17, 0xffff
	s_lshl_b64 s[2:3], s[2:3], 1
	s_add_u32 s20, s30, s2
	s_mov_b32 s19, 0x20000
	s_addc_u32 s2, s31, s3
	s_and_b32 s21, s2, 0xffff
	s_mov_b32 s22, s18
	s_mov_b32 s23, s19
	buffer_load_dwordx4 v[4:7], v16, s[20:23], 0 offen glc slc
	buffer_load_dwordx4 v[0:3], v16, s[16:19], 0 offen
.LBB127_30:
	s_or_b64 exec, exec, s[0:1]
	v_mov_b32_e32 v9, 0
	v_mov_b32_e32 v14, 0
	;; [unrolled: 1-line block ×7, first 2 shown]
	s_and_saveexec_b64 s[0:1], vcc
	s_cbranch_execz .LBB127_32
; %bb.31:
	s_waitcnt vmcnt(1)
	v_cvt_f32_f16_sdwa v9, v4 dst_sel:DWORD dst_unused:UNUSED_PAD src0_sel:WORD_1
	v_cvt_f32_f16_e32 v8, v4
	v_cvt_f32_f16_sdwa v15, v5 dst_sel:DWORD dst_unused:UNUSED_PAD src0_sel:WORD_1
	v_cvt_f32_f16_e32 v14, v5
	;; [unrolled: 2-line block ×4, first 2 shown]
.LBB127_32:
	s_or_b64 exec, exec, s[0:1]
	s_waitcnt vmcnt(1)
	v_mul_f32_e32 v4, v9, v9
	v_fmac_f32_e32 v4, v8, v8
	v_fmac_f32_e32 v4, v14, v14
	;; [unrolled: 1-line block ×7, first 2 shown]
	s_nop 1
	v_mov_b32_dpp v5, v4 quad_perm:[1,0,3,2] row_mask:0xf bank_mask:0xf
	v_add_f32_e32 v4, v4, v5
	s_nop 1
	v_mov_b32_dpp v5, v4 quad_perm:[2,3,0,1] row_mask:0xf bank_mask:0xf
	v_add_f32_e32 v4, v4, v5
	s_nop 1
	v_mov_b32_dpp v5, v4 row_half_mirror row_mask:0xf bank_mask:0xf
	v_add_f32_e32 v4, v4, v5
	s_nop 1
	v_mov_b32_dpp v5, v4 row_mirror row_mask:0xf bank_mask:0xf
	v_add_f32_e32 v4, v4, v5
	s_nop 1
	v_mov_b32_dpp v5, v4 row_bcast:15 row_mask:0xf bank_mask:0xf
	v_add_f32_e32 v4, v4, v5
	s_nop 1
	v_mov_b32_dpp v5, v4 row_bcast:31 row_mask:0xf bank_mask:0xf
	v_add_f32_e32 v4, v4, v5
	ds_bpermute_b32 v4, v18, v4
	s_and_saveexec_b64 s[0:1], vcc
	s_cbranch_execz .LBB127_15
; %bb.33:
	v_cvt_f32_u32_e32 v5, s12
	s_mov_b32 s19, 0x20000
	s_waitcnt lgkmcnt(0)
	v_div_scale_f32 v6, s[0:1], v5, v5, v4
	v_rcp_f32_e32 v7, v6
	v_div_scale_f32 v17, vcc, v4, v5, v4
	s_mov_b32 s0, 0x800000
	v_fma_f32 v18, -v6, v7, 1.0
	v_fmac_f32_e32 v7, v18, v7
	v_mul_f32_e32 v18, v17, v7
	v_fma_f32 v19, -v6, v18, v17
	v_fmac_f32_e32 v18, v19, v7
	v_fma_f32 v6, -v6, v18, v17
	v_div_fmas_f32 v6, v6, v7, v18
	v_div_fixup_f32 v4, v6, v5, v4
	v_add_f32_e32 v4, s9, v4
	v_mul_f32_e32 v5, 0x4b800000, v4
	v_cmp_gt_f32_e32 vcc, s0, v4
	v_cndmask_b32_e32 v4, v4, v5, vcc
	v_rsq_f32_e32 v4, v4
	s_waitcnt vmcnt(0)
	v_cvt_f32_f16_sdwa v19, v3 dst_sel:DWORD dst_unused:UNUSED_PAD src0_sel:WORD_1
	v_cvt_f32_f16_e32 v18, v3
	s_mul_hi_i32 s1, s28, s6
	v_mul_f32_e32 v5, 0x45800000, v4
	v_cndmask_b32_e32 v4, v4, v5, vcc
	v_mov_b32_e32 v5, v4
	;;#ASMSTART
	v_pk_mul_f32 v[6:7], v[8:9], v[4:5]
	;;#ASMEND
	;;#ASMSTART
	v_pk_mul_f32 v[8:9], v[14:15], v[4:5]
	;;#ASMEND
	;; [unrolled: 3-line block ×4, first 2 shown]
	v_cvt_f32_f16_sdwa v11, v0 dst_sel:DWORD dst_unused:UNUSED_PAD src0_sel:WORD_1
	v_cvt_f32_f16_e32 v10, v0
	v_cvt_f32_f16_sdwa v15, v1 dst_sel:DWORD dst_unused:UNUSED_PAD src0_sel:WORD_1
	v_cvt_f32_f16_e32 v14, v1
	;; [unrolled: 2-line block ×3, first 2 shown]
	;;#ASMSTART
	v_pk_mul_f32 v[2:3], v[6:7], v[10:11]
	;;#ASMEND
	;;#ASMSTART
	v_pk_mul_f32 v[6:7], v[8:9], v[14:15]
	;;#ASMEND
	;; [unrolled: 3-line block ×4, first 2 shown]
	s_mul_i32 s0, s28, s6
	v_cvt_f16_f32_e32 v2, v2
	v_cvt_f16_f32_e32 v3, v3
	;; [unrolled: 1-line block ×8, first 2 shown]
	s_lshl_b64 s[0:1], s[0:1], 1
	s_add_u32 s16, s34, s0
	s_addc_u32 s0, s35, s1
	s_and_b32 s17, s0, 0xffff
	v_pack_b32_f16 v0, v2, v3
	v_pack_b32_f16 v1, v6, v7
	;; [unrolled: 1-line block ×4, first 2 shown]
	buffer_store_dwordx4 v[0:3], v16, s[16:19], 0 offen
	;;#ASMSTART
	s_nop 0
	;;#ASMEND
	s_endpgm
	.section	.rodata,"a",@progbits
	.p2align	6, 0x0
	.amdhsa_kernel _ZN5aiter35fused_qk_rmsnorm_group_quant_kernelIDF16_N4opus5fp4_tELi64ELi8ELi16ELb1ELb0ELb0ELb0ELb0ELb0EEEvPT0_PvPT_S7_S7_PKS6_S9_S9_S9_S9_ffiiiiiiiiiiiii
		.amdhsa_group_segment_fixed_size 0
		.amdhsa_private_segment_fixed_size 0
		.amdhsa_kernarg_size 400
		.amdhsa_user_sgpr_count 6
		.amdhsa_user_sgpr_private_segment_buffer 1
		.amdhsa_user_sgpr_dispatch_ptr 0
		.amdhsa_user_sgpr_queue_ptr 0
		.amdhsa_user_sgpr_kernarg_segment_ptr 1
		.amdhsa_user_sgpr_dispatch_id 0
		.amdhsa_user_sgpr_flat_scratch_init 0
		.amdhsa_user_sgpr_kernarg_preload_length 0
		.amdhsa_user_sgpr_kernarg_preload_offset 0
		.amdhsa_user_sgpr_private_segment_size 0
		.amdhsa_uses_dynamic_stack 0
		.amdhsa_system_sgpr_private_segment_wavefront_offset 0
		.amdhsa_system_sgpr_workgroup_id_x 1
		.amdhsa_system_sgpr_workgroup_id_y 1
		.amdhsa_system_sgpr_workgroup_id_z 0
		.amdhsa_system_sgpr_workgroup_info 0
		.amdhsa_system_vgpr_workitem_id 0
		.amdhsa_next_free_vgpr 27
		.amdhsa_next_free_sgpr 40
		.amdhsa_accum_offset 28
		.amdhsa_reserve_vcc 1
		.amdhsa_reserve_flat_scratch 0
		.amdhsa_float_round_mode_32 0
		.amdhsa_float_round_mode_16_64 0
		.amdhsa_float_denorm_mode_32 3
		.amdhsa_float_denorm_mode_16_64 3
		.amdhsa_dx10_clamp 1
		.amdhsa_ieee_mode 1
		.amdhsa_fp16_overflow 0
		.amdhsa_tg_split 0
		.amdhsa_exception_fp_ieee_invalid_op 0
		.amdhsa_exception_fp_denorm_src 0
		.amdhsa_exception_fp_ieee_div_zero 0
		.amdhsa_exception_fp_ieee_overflow 0
		.amdhsa_exception_fp_ieee_underflow 0
		.amdhsa_exception_fp_ieee_inexact 0
		.amdhsa_exception_int_div_zero 0
	.end_amdhsa_kernel
	.section	.text._ZN5aiter35fused_qk_rmsnorm_group_quant_kernelIDF16_N4opus5fp4_tELi64ELi8ELi16ELb1ELb0ELb0ELb0ELb0ELb0EEEvPT0_PvPT_S7_S7_PKS6_S9_S9_S9_S9_ffiiiiiiiiiiiii,"axG",@progbits,_ZN5aiter35fused_qk_rmsnorm_group_quant_kernelIDF16_N4opus5fp4_tELi64ELi8ELi16ELb1ELb0ELb0ELb0ELb0ELb0EEEvPT0_PvPT_S7_S7_PKS6_S9_S9_S9_S9_ffiiiiiiiiiiiii,comdat
.Lfunc_end127:
	.size	_ZN5aiter35fused_qk_rmsnorm_group_quant_kernelIDF16_N4opus5fp4_tELi64ELi8ELi16ELb1ELb0ELb0ELb0ELb0ELb0EEEvPT0_PvPT_S7_S7_PKS6_S9_S9_S9_S9_ffiiiiiiiiiiiii, .Lfunc_end127-_ZN5aiter35fused_qk_rmsnorm_group_quant_kernelIDF16_N4opus5fp4_tELi64ELi8ELi16ELb1ELb0ELb0ELb0ELb0ELb0EEEvPT0_PvPT_S7_S7_PKS6_S9_S9_S9_S9_ffiiiiiiiiiiiii
                                        ; -- End function
	.section	.AMDGPU.csdata,"",@progbits
; Kernel info:
; codeLenInByte = 2560
; NumSgprs: 44
; NumVgprs: 27
; NumAgprs: 0
; TotalNumVgprs: 27
; ScratchSize: 0
; MemoryBound: 0
; FloatMode: 240
; IeeeMode: 1
; LDSByteSize: 0 bytes/workgroup (compile time only)
; SGPRBlocks: 5
; VGPRBlocks: 3
; NumSGPRsForWavesPerEU: 44
; NumVGPRsForWavesPerEU: 27
; AccumOffset: 28
; Occupancy: 8
; WaveLimiterHint : 0
; COMPUTE_PGM_RSRC2:SCRATCH_EN: 0
; COMPUTE_PGM_RSRC2:USER_SGPR: 6
; COMPUTE_PGM_RSRC2:TRAP_HANDLER: 0
; COMPUTE_PGM_RSRC2:TGID_X_EN: 1
; COMPUTE_PGM_RSRC2:TGID_Y_EN: 1
; COMPUTE_PGM_RSRC2:TGID_Z_EN: 0
; COMPUTE_PGM_RSRC2:TIDIG_COMP_CNT: 0
; COMPUTE_PGM_RSRC3_GFX90A:ACCUM_OFFSET: 6
; COMPUTE_PGM_RSRC3_GFX90A:TG_SPLIT: 0
	.section	.text._ZN5aiter35fused_qk_rmsnorm_group_quant_kernelItN4opus5fp4_tELi64ELi8ELi16ELb1ELb0ELb0ELb0ELb0ELb0EEEvPT0_PvPT_S7_S7_PKS6_S9_S9_S9_S9_ffiiiiiiiiiiiii,"axG",@progbits,_ZN5aiter35fused_qk_rmsnorm_group_quant_kernelItN4opus5fp4_tELi64ELi8ELi16ELb1ELb0ELb0ELb0ELb0ELb0EEEvPT0_PvPT_S7_S7_PKS6_S9_S9_S9_S9_ffiiiiiiiiiiiii,comdat
	.protected	_ZN5aiter35fused_qk_rmsnorm_group_quant_kernelItN4opus5fp4_tELi64ELi8ELi16ELb1ELb0ELb0ELb0ELb0ELb0EEEvPT0_PvPT_S7_S7_PKS6_S9_S9_S9_S9_ffiiiiiiiiiiiii ; -- Begin function _ZN5aiter35fused_qk_rmsnorm_group_quant_kernelItN4opus5fp4_tELi64ELi8ELi16ELb1ELb0ELb0ELb0ELb0ELb0EEEvPT0_PvPT_S7_S7_PKS6_S9_S9_S9_S9_ffiiiiiiiiiiiii
	.globl	_ZN5aiter35fused_qk_rmsnorm_group_quant_kernelItN4opus5fp4_tELi64ELi8ELi16ELb1ELb0ELb0ELb0ELb0ELb0EEEvPT0_PvPT_S7_S7_PKS6_S9_S9_S9_S9_ffiiiiiiiiiiiii
	.p2align	8
	.type	_ZN5aiter35fused_qk_rmsnorm_group_quant_kernelItN4opus5fp4_tELi64ELi8ELi16ELb1ELb0ELb0ELb0ELb0ELb0EEEvPT0_PvPT_S7_S7_PKS6_S9_S9_S9_S9_ffiiiiiiiiiiiii,@function
_ZN5aiter35fused_qk_rmsnorm_group_quant_kernelItN4opus5fp4_tELi64ELi8ELi16ELb1ELb0ELb0ELb0ELb0ELb0EEEvPT0_PvPT_S7_S7_PKS6_S9_S9_S9_S9_ffiiiiiiiiiiiii: ; @_ZN5aiter35fused_qk_rmsnorm_group_quant_kernelItN4opus5fp4_tELi64ELi8ELi16ELb1ELb0ELb0ELb0ELb0ELb0EEEvPT0_PvPT_S7_S7_PKS6_S9_S9_S9_S9_ffiiiiiiiiiiiii
; %bb.0:
	s_load_dwordx8 s[8:15], s[4:5], 0x50
	s_waitcnt lgkmcnt(0)
	s_cmp_ge_i32 s6, s10
	s_cbranch_scc1 .LBB128_15
; %bb.1:
	s_cmp_lg_u32 s7, 0
	s_cselect_b64 s[2:3], -1, 0
	s_cmp_eq_u32 s7, 0
	s_cselect_b64 s[24:25], -1, 0
	s_and_b64 s[0:1], s[24:25], exec
	s_load_dwordx2 s[16:17], s[4:5], 0x48
	s_load_dwordx2 s[30:31], s[4:5], 0x30
	s_load_dwordx4 s[20:23], s[4:5], 0x70
	s_cselect_b32 s7, s11, s12
	s_add_i32 s0, s7, 1
	s_lshr_b32 s1, s0, 31
	s_add_i32 s0, s0, s1
	s_lshl_b32 s0, s0, 1
	v_lshlrev_b32_e32 v1, 3, v0
	s_and_b32 s26, s0, -4
	v_cmp_gt_i32_e64 s[0:1], s7, v1
	v_mov_b32_e32 v10, 0
	v_mov_b32_e32 v11, 0
	v_mov_b32_e32 v12, 0
	v_mov_b32_e32 v13, 0
	v_mov_b32_e32 v14, 0
	v_mov_b32_e32 v15, 0
	v_mov_b32_e32 v16, 0
	v_mov_b32_e32 v17, 0
	s_and_saveexec_b64 s[18:19], s[0:1]
	s_cbranch_execz .LBB128_3
; %bb.2:
	s_load_dwordx2 s[28:29], s[4:5], 0x28
	s_load_dwordx2 s[34:35], s[4:5], 0x40
	s_and_b64 s[36:37], s[24:25], exec
	s_cselect_b32 s10, s13, s14
	s_mov_b32 s27, 0x20000
	s_waitcnt lgkmcnt(0)
	s_cselect_b32 s13, s29, s31
	s_cselect_b32 s23, s28, s30
	s_mul_hi_i32 s29, s10, s6
	s_mul_i32 s28, s10, s6
	s_lshl_b64 s[28:29], s[28:29], 1
	s_add_u32 s36, s23, s28
	s_addc_u32 s10, s13, s29
	s_and_b64 s[24:25], s[24:25], exec
	s_cselect_b32 s24, s34, s16
	s_cselect_b32 s13, s35, s17
	v_lshlrev_b32_e32 v2, 4, v0
	s_and_b32 s37, s10, 0xffff
	s_mov_b32 s38, s26
	s_mov_b32 s39, s27
	s_and_b32 s25, s13, 0xffff
	buffer_load_dwordx4 v[14:17], v2, s[36:39], 0 offen glc slc
	buffer_load_dwordx4 v[10:13], v2, s[24:27], 0 offen
.LBB128_3:
	s_or_b64 exec, exec, s[18:19]
	s_load_dwordx2 s[28:29], s[4:5], 0x80
	s_and_b64 vcc, exec, s[2:3]
	s_cbranch_vccz .LBB128_7
; %bb.4:
	s_mov_b32 s36, 0
	s_mov_b32 s37, s36
	;; [unrolled: 1-line block ×8, first 2 shown]
	v_pk_mov_b32 v[2:3], s[36:37], s[36:37] op_sel:[0,1]
	v_pk_mov_b32 v[4:5], s[38:39], s[38:39] op_sel:[0,1]
	;; [unrolled: 1-line block ×4, first 2 shown]
	s_and_saveexec_b64 s[18:19], s[0:1]
	s_cbranch_execz .LBB128_6
; %bb.5:
	s_waitcnt vmcnt(1)
	v_cvt_f32_u32_sdwa v3, v14 dst_sel:DWORD dst_unused:UNUSED_PAD src0_sel:WORD_1
	v_cvt_f32_u32_sdwa v2, v14 dst_sel:DWORD dst_unused:UNUSED_PAD src0_sel:WORD_0
	v_cvt_f32_u32_sdwa v5, v15 dst_sel:DWORD dst_unused:UNUSED_PAD src0_sel:WORD_1
	v_cvt_f32_u32_sdwa v4, v15 dst_sel:DWORD dst_unused:UNUSED_PAD src0_sel:WORD_0
	;; [unrolled: 2-line block ×4, first 2 shown]
.LBB128_6:
	s_or_b64 exec, exec, s[18:19]
	s_mov_b32 s10, s9
	s_cbranch_execz .LBB128_8
	s_branch .LBB128_11
.LBB128_7:
                                        ; implicit-def: $vgpr2_vgpr3_vgpr4_vgpr5_vgpr6_vgpr7_vgpr8_vgpr9
	s_mov_b32 s10, s9
.LBB128_8:
	s_mov_b32 s36, 0
	s_mov_b32 s37, s36
	;; [unrolled: 1-line block ×8, first 2 shown]
	v_pk_mov_b32 v[2:3], s[36:37], s[36:37] op_sel:[0,1]
	v_pk_mov_b32 v[4:5], s[38:39], s[38:39] op_sel:[0,1]
	;; [unrolled: 1-line block ×4, first 2 shown]
	s_and_saveexec_b64 s[18:19], s[0:1]
	s_cbranch_execz .LBB128_10
; %bb.9:
	s_load_dwordx2 s[24:25], s[4:5], 0x38
	s_mul_hi_i32 s35, s15, s6
	s_mul_i32 s34, s15, s6
	s_lshl_b64 s[34:35], s[34:35], 1
	s_mov_b32 s27, 0x20000
	s_waitcnt lgkmcnt(0)
	s_add_u32 s24, s24, s34
	s_addc_u32 s10, s25, s35
	s_and_b32 s25, s10, 0xffff
	v_lshlrev_b32_e32 v26, 4, v0
	buffer_load_dwordx4 v[2:5], v26, s[24:27], 0 offen glc slc
	s_load_dwordx2 s[24:25], s[4:5], 0x20
	s_waitcnt vmcnt(2)
	v_cvt_f32_u32_sdwa v7, v14 dst_sel:DWORD dst_unused:UNUSED_PAD src0_sel:WORD_1
	v_cvt_f32_u32_sdwa v6, v14 dst_sel:DWORD dst_unused:UNUSED_PAD src0_sel:WORD_0
	v_cvt_f32_u32_sdwa v9, v15 dst_sel:DWORD dst_unused:UNUSED_PAD src0_sel:WORD_1
	v_cvt_f32_u32_sdwa v8, v15 dst_sel:DWORD dst_unused:UNUSED_PAD src0_sel:WORD_0
	;; [unrolled: 2-line block ×4, first 2 shown]
	s_mul_hi_i32 s35, s29, s6
	s_mul_i32 s34, s29, s6
	s_lshl_b64 s[34:35], s[34:35], 1
	s_waitcnt lgkmcnt(0)
	s_add_u32 s24, s24, s34
	s_mov_b32 s10, 0x7060302
	s_addc_u32 s13, s25, s35
	s_and_b32 s25, s13, 0xffff
	s_waitcnt vmcnt(0)
	v_cvt_f32_u32_sdwa v17, v2 dst_sel:DWORD dst_unused:UNUSED_PAD src0_sel:WORD_1
	v_cvt_f32_u32_sdwa v16, v2 dst_sel:DWORD dst_unused:UNUSED_PAD src0_sel:WORD_0
	v_cvt_f32_u32_sdwa v21, v3 dst_sel:DWORD dst_unused:UNUSED_PAD src0_sel:WORD_1
	v_cvt_f32_u32_sdwa v20, v3 dst_sel:DWORD dst_unused:UNUSED_PAD src0_sel:WORD_0
	;; [unrolled: 2-line block ×4, first 2 shown]
	v_pk_add_f32 v[2:3], v[6:7], v[16:17]
	v_pk_add_f32 v[4:5], v[8:9], v[20:21]
	v_pk_add_f32 v[6:7], v[14:15], v[22:23]
	v_pk_add_f32 v[8:9], v[18:19], v[24:25]
	v_perm_b32 v17, v9, v8, s10
	v_perm_b32 v16, v7, v6, s10
	;; [unrolled: 1-line block ×4, first 2 shown]
	buffer_store_dwordx4 v[14:17], v26, s[24:27], 0 offen glc slc
	;;#ASMSTART
	s_nop 0
	;;#ASMEND
.LBB128_10:
	s_or_b64 exec, exec, s[18:19]
	s_mov_b32 s10, s8
.LBB128_11:
	s_waitcnt vmcnt(1)
	v_mul_f32_e32 v14, v3, v3
	v_fmac_f32_e32 v14, v2, v2
	v_fmac_f32_e32 v14, v4, v4
	;; [unrolled: 1-line block ×7, first 2 shown]
	v_bfrev_b32_e32 v16, 0.5
	s_load_dwordx2 s[34:35], s[4:5], 0x18
	v_mov_b32_dpp v15, v14 quad_perm:[1,0,3,2] row_mask:0xf bank_mask:0xf
	v_add_f32_e32 v14, v14, v15
	s_nop 1
	v_mov_b32_dpp v15, v14 quad_perm:[2,3,0,1] row_mask:0xf bank_mask:0xf
	v_add_f32_e32 v14, v14, v15
	s_nop 1
	v_mov_b32_dpp v15, v14 row_half_mirror row_mask:0xf bank_mask:0xf
	v_add_f32_e32 v14, v14, v15
	s_nop 1
	v_mov_b32_dpp v15, v14 row_mirror row_mask:0xf bank_mask:0xf
	v_add_f32_e32 v14, v14, v15
	s_nop 1
	v_mov_b32_dpp v15, v14 row_bcast:15 row_mask:0xf bank_mask:0xf
	v_add_f32_e32 v14, v14, v15
	s_nop 1
	v_mov_b32_dpp v15, v14 row_bcast:31 row_mask:0xf bank_mask:0xf
	v_add_f32_e32 v15, v14, v15
	v_mbcnt_lo_u32_b32 v14, -1, 0
	v_mbcnt_hi_u32_b32 v14, -1, v14
	v_lshl_or_b32 v14, v14, 2, v16
	ds_bpermute_b32 v15, v14, v15
	s_and_saveexec_b64 s[18:19], s[0:1]
	s_cbranch_execnz .LBB128_16
; %bb.12:
	s_or_b64 exec, exec, s[18:19]
	s_mov_b64 s[18:19], -1
	s_and_b64 vcc, exec, s[2:3]
	s_cbranch_vccnz .LBB128_17
.LBB128_13:
	s_andn2_b64 vcc, exec, s[18:19]
	s_cbranch_vccz .LBB128_20
.LBB128_14:
	s_cmp_lt_i32 s12, 1
	s_cbranch_scc0 .LBB128_27
.LBB128_15:
	s_endpgm
.LBB128_16:
	v_cvt_f32_u32_e32 v16, s7
	s_mov_b32 s7, 0x800000
	s_waitcnt lgkmcnt(0)
	v_div_scale_f32 v17, s[24:25], v16, v16, v15
	v_rcp_f32_e32 v18, v17
	v_div_scale_f32 v19, vcc, v15, v16, v15
	v_fma_f32 v20, -v17, v18, 1.0
	v_fmac_f32_e32 v18, v20, v18
	v_mul_f32_e32 v20, v19, v18
	v_fma_f32 v21, -v17, v20, v19
	v_fmac_f32_e32 v20, v21, v18
	v_fma_f32 v17, -v17, v20, v19
	v_div_fmas_f32 v17, v17, v18, v20
	v_div_fixup_f32 v15, v17, v16, v15
	v_add_f32_e32 v15, s10, v15
	v_mul_f32_e32 v16, 0x4b800000, v15
	v_cmp_gt_f32_e32 vcc, s7, v15
	v_cndmask_b32_e32 v15, v15, v16, vcc
	v_rsq_f32_e32 v15, v15
	s_waitcnt vmcnt(0)
	v_cvt_f32_u32_sdwa v19, v11 dst_sel:DWORD dst_unused:UNUSED_PAD src0_sel:WORD_1
	v_cvt_f32_u32_sdwa v18, v11 dst_sel:DWORD dst_unused:UNUSED_PAD src0_sel:WORD_0
	v_cvt_f32_u32_sdwa v11, v12 dst_sel:DWORD dst_unused:UNUSED_PAD src0_sel:WORD_1
	v_mul_f32_e32 v16, 0x45800000, v15
	v_cndmask_b32_e32 v16, v15, v16, vcc
	v_mov_b32_e32 v17, v16
	;;#ASMSTART
	v_pk_mul_f32 v[2:3], v[2:3], v[16:17]
	;;#ASMEND
	;;#ASMSTART
	v_pk_mul_f32 v[4:5], v[4:5], v[16:17]
	;;#ASMEND
	;; [unrolled: 3-line block ×4, first 2 shown]
	v_cvt_f32_u32_sdwa v17, v10 dst_sel:DWORD dst_unused:UNUSED_PAD src0_sel:WORD_1
	v_cvt_f32_u32_sdwa v16, v10 dst_sel:DWORD dst_unused:UNUSED_PAD src0_sel:WORD_0
	v_cvt_f32_u32_sdwa v10, v12 dst_sel:DWORD dst_unused:UNUSED_PAD src0_sel:WORD_0
	v_cvt_f32_u32_sdwa v21, v13 dst_sel:DWORD dst_unused:UNUSED_PAD src0_sel:WORD_1
	v_cvt_f32_u32_sdwa v20, v13 dst_sel:DWORD dst_unused:UNUSED_PAD src0_sel:WORD_0
	;;#ASMSTART
	v_pk_mul_f32 v[2:3], v[2:3], v[16:17]
	;;#ASMEND
	;;#ASMSTART
	v_pk_mul_f32 v[4:5], v[4:5], v[18:19]
	;;#ASMEND
	;; [unrolled: 3-line block ×4, first 2 shown]
	s_or_b64 exec, exec, s[18:19]
	s_mov_b64 s[18:19], -1
	s_and_b64 vcc, exec, s[2:3]
	s_cbranch_vccz .LBB128_13
.LBB128_17:
	s_and_saveexec_b64 s[2:3], s[0:1]
	s_cbranch_execz .LBB128_19
; %bb.18:
	s_waitcnt lgkmcnt(0)
	s_mul_hi_i32 s19, s28, s6
	s_mul_i32 s18, s28, s6
	s_lshl_b64 s[18:19], s[18:19], 1
	s_add_u32 s24, s34, s18
	s_addc_u32 s7, s35, s19
	s_and_b32 s25, s7, 0xffff
	s_mov_b32 s7, 0x7060302
	s_mov_b32 s27, 0x20000
	s_waitcnt vmcnt(0)
	v_perm_b32 v10, v3, v2, s7
	v_perm_b32 v11, v5, v4, s7
	;; [unrolled: 1-line block ×4, first 2 shown]
	v_lshlrev_b32_e32 v15, 4, v0
	buffer_store_dwordx4 v[10:13], v15, s[24:27], 0 offen
	;;#ASMSTART
	s_nop 0
	;;#ASMEND
.LBB128_19:
	s_or_b64 exec, exec, s[2:3]
	s_cbranch_execnz .LBB128_14
.LBB128_20:
	s_waitcnt vmcnt(0)
	v_mov_b32_e32 v10, 0
	s_and_saveexec_b64 s[2:3], s[0:1]
	s_cbranch_execz .LBB128_22
; %bb.21:
	v_and_b32_e32 v2, 0x7fffffff, v2
	v_and_b32_e32 v3, 0x7fffffff, v3
	v_mov_b32_e32 v10, 0x2edbe6ff
	;;#ASMSTART
	v_max3_f32 v2, v10, v2, v3

	;;#ASMEND
	v_and_b32_e32 v3, 0x7fffffff, v4
	v_and_b32_e32 v4, 0x7fffffff, v5
	;;#ASMSTART
	v_max3_f32 v2, v2, v3, v4

	;;#ASMEND
	v_and_b32_e32 v3, 0x7fffffff, v6
	v_and_b32_e32 v4, 0x7fffffff, v7
	;; [unrolled: 6-line block ×3, first 2 shown]
	;;#ASMSTART
	v_max3_f32 v10, v2, v3, v4

	;;#ASMEND
.LBB128_22:
	s_or_b64 exec, exec, s[2:3]
	;;#ASMSTART
	v_max_f32 v2, v10, v10 quad_perm:[1,0,3,2] row_mask:0xf bank_mask:0xf bound_ctrl:1
	;;#ASMEND
	;;#ASMSTART
	v_max_f32 v3, v2, v2 quad_perm:[2,3,0,1] row_mask:0xf bank_mask:0xf bound_ctrl:1
	;;#ASMEND
	;;#ASMSTART
	v_max_f32 v4, v3, v3 row_half_mirror row_mask:0xf bank_mask:0xf bound_ctrl:1
	;;#ASMEND
	v_and_b32_e32 v3, 15, v0
	v_cmp_eq_u32_e32 vcc, 0, v3
	v_cmp_gt_i32_e64 s[2:3], s11, v1
	s_and_b64 s[18:19], vcc, s[2:3]
	;;#ASMSTART
	v_max_f32 v2, v4, v4 row_mirror row_mask:0xf bank_mask:0xf bound_ctrl:1
	;;#ASMEND
	s_and_saveexec_b64 s[2:3], s[18:19]
	s_cbranch_execz .LBB128_24
; %bb.23:
	s_load_dwordx2 s[18:19], s[4:5], 0x8
	v_mul_f32_e32 v2, 0x3e2aaaab, v2
	v_lshrrev_b32_e32 v3, 23, v2
	v_and_b32_e32 v4, 0x7f800000, v2
	v_and_b32_e32 v2, 0x7fffff, v2
	v_cmp_ne_u32_e32 vcc, 0, v2
	s_waitcnt lgkmcnt(0)
	s_mul_i32 s10, s21, s6
	s_mov_b32 s7, 0x7f800000
	v_addc_co_u32_e32 v2, vcc, 0, v3, vcc
	s_mul_hi_i32 s8, s21, s6
	s_add_u32 s18, s18, s10
	v_cmp_ne_u32_e32 vcc, s7, v4
	s_addc_u32 s19, s19, s8
	v_lshrrev_b32_e32 v5, 4, v0
	v_cndmask_b32_e32 v4, -1, v2, vcc
	v_pk_mov_b32 v[2:3], s[18:19], s[18:19] op_sel:[0,1]
	v_mad_i64_i32 v[2:3], s[18:19], s22, v5, v[2:3]
	global_store_byte v[2:3], v4, off
.LBB128_24:
	s_or_b64 exec, exec, s[2:3]
	s_and_saveexec_b64 s[2:3], s[0:1]
	s_cbranch_execz .LBB128_26
; %bb.25:
	s_load_dwordx2 s[0:1], s[4:5], 0x0
	s_waitcnt lgkmcnt(0)
	s_mul_i32 s8, s20, s6
	s_mul_hi_i32 s7, s20, s6
	v_lshlrev_b32_e32 v2, 2, v0
	s_mov_b32 s23, 0x20000
	s_add_u32 s20, s0, s8
	s_addc_u32 s0, s1, s7
	s_lshr_b32 s1, s11, 31
	s_add_i32 s1, s11, s1
	s_ashr_i32 s1, s1, 1
	s_add_i32 s1, s1, 3
	s_ashr_i32 s7, s1, 31
	s_lshr_b32 s7, s7, 30
	s_add_i32 s1, s1, s7
	s_and_b32 s22, s1, -4
	s_and_b32 s21, s0, 0xffff
	v_mov_b32_e32 v3, 0
	buffer_store_dword v3, v2, s[20:23], 0 offen
	;;#ASMSTART
	s_nop 0
	;;#ASMEND
.LBB128_26:
	s_or_b64 exec, exec, s[2:3]
	s_cmp_lt_i32 s12, 1
	s_cbranch_scc1 .LBB128_15
.LBB128_27:
	s_load_dword s0, s[4:5], 0x94
	s_waitcnt lgkmcnt(0)
	s_cmp_lg_u32 s0, 1
	s_cbranch_scc1 .LBB128_15
; %bb.28:
	s_lshl_b32 s0, s12, 1
	s_add_i32 s0, s0, 2
	v_cmp_gt_u32_e32 vcc, s12, v1
	s_and_b32 s18, s0, -4
	v_mov_b32_e32 v4, 0
	s_waitcnt vmcnt(0)
	v_lshlrev_b32_e32 v12, 4, v0
	v_mov_b32_e32 v5, 0
	v_mov_b32_e32 v6, 0
	;; [unrolled: 1-line block ×7, first 2 shown]
	s_barrier
	s_and_saveexec_b64 s[0:1], vcc
	s_cbranch_execz .LBB128_30
; %bb.29:
	s_mul_hi_i32 s3, s14, s6
	s_mul_i32 s2, s14, s6
	s_and_b32 s17, s17, 0xffff
	s_lshl_b64 s[2:3], s[2:3], 1
	s_add_u32 s20, s30, s2
	s_mov_b32 s19, 0x20000
	s_addc_u32 s2, s31, s3
	s_and_b32 s21, s2, 0xffff
	s_mov_b32 s22, s18
	s_mov_b32 s23, s19
	buffer_load_dwordx4 v[4:7], v12, s[20:23], 0 offen glc slc
	buffer_load_dwordx4 v[0:3], v12, s[16:19], 0 offen
.LBB128_30:
	s_or_b64 exec, exec, s[0:1]
	s_waitcnt vmcnt(1)
	v_cvt_f32_u32_sdwa v11, v4 dst_sel:DWORD dst_unused:UNUSED_PAD src0_sel:WORD_1
	v_cvt_f32_u32_sdwa v10, v4 dst_sel:DWORD dst_unused:UNUSED_PAD src0_sel:WORD_0
	v_cvt_f32_u32_sdwa v4, v7 dst_sel:DWORD dst_unused:UNUSED_PAD src0_sel:WORD_1
	v_cvt_f32_u32_sdwa v7, v7 dst_sel:DWORD dst_unused:UNUSED_PAD src0_sel:WORD_0
	;; [unrolled: 2-line block ×4, first 2 shown]
	v_cndmask_b32_e32 v11, 0, v11, vcc
	v_cndmask_b32_e32 v5, 0, v4, vcc
	;; [unrolled: 1-line block ×5, first 2 shown]
	v_mul_f32_e32 v13, v11, v11
	v_cndmask_b32_e32 v8, 0, v8, vcc
	v_fmac_f32_e32 v13, v10, v10
	v_cndmask_b32_e32 v9, 0, v9, vcc
	v_fmac_f32_e32 v13, v8, v8
	;; [unrolled: 2-line block ×3, first 2 shown]
	v_fmac_f32_e32 v13, v6, v6
	v_fmac_f32_e32 v13, v7, v7
	;; [unrolled: 1-line block ×4, first 2 shown]
	s_nop 1
	v_mov_b32_dpp v15, v13 quad_perm:[1,0,3,2] row_mask:0xf bank_mask:0xf
	v_add_f32_e32 v13, v13, v15
	s_nop 1
	v_mov_b32_dpp v15, v13 quad_perm:[2,3,0,1] row_mask:0xf bank_mask:0xf
	v_add_f32_e32 v13, v13, v15
	s_nop 1
	v_mov_b32_dpp v15, v13 row_half_mirror row_mask:0xf bank_mask:0xf
	v_add_f32_e32 v13, v13, v15
	s_nop 1
	v_mov_b32_dpp v15, v13 row_mirror row_mask:0xf bank_mask:0xf
	v_add_f32_e32 v13, v13, v15
	s_nop 1
	v_mov_b32_dpp v15, v13 row_bcast:15 row_mask:0xf bank_mask:0xf
	v_add_f32_e32 v13, v13, v15
	s_nop 1
	v_mov_b32_dpp v15, v13 row_bcast:31 row_mask:0xf bank_mask:0xf
	v_add_f32_e32 v13, v13, v15
	ds_bpermute_b32 v13, v14, v13
	s_and_saveexec_b64 s[0:1], vcc
	s_cbranch_execz .LBB128_15
; %bb.31:
	v_cvt_f32_u32_e32 v14, s12
	s_mov_b32 s19, 0x20000
	s_waitcnt lgkmcnt(0)
	v_div_scale_f32 v15, s[0:1], v14, v14, v13
	v_rcp_f32_e32 v16, v15
	v_div_scale_f32 v17, vcc, v13, v14, v13
	s_mov_b32 s0, 0x800000
	v_fma_f32 v18, -v15, v16, 1.0
	v_fmac_f32_e32 v16, v18, v16
	v_mul_f32_e32 v18, v17, v16
	v_fma_f32 v19, -v15, v18, v17
	v_fmac_f32_e32 v18, v19, v16
	v_fma_f32 v15, -v15, v18, v17
	v_div_fmas_f32 v15, v15, v16, v18
	v_div_fixup_f32 v13, v15, v14, v13
	v_add_f32_e32 v13, s9, v13
	v_mul_f32_e32 v14, 0x4b800000, v13
	v_cmp_gt_f32_e32 vcc, s0, v13
	v_cndmask_b32_e32 v13, v13, v14, vcc
	v_rsq_f32_e32 v13, v13
	s_mul_hi_i32 s1, s28, s6
	s_mul_i32 s0, s28, s6
	s_lshl_b64 s[0:1], s[0:1], 1
	v_mul_f32_e32 v14, 0x45800000, v13
	v_cndmask_b32_e32 v14, v13, v14, vcc
	s_add_u32 s16, s34, s0
	v_mov_b32_e32 v15, v14
	s_addc_u32 s0, s35, s1
	;;#ASMSTART
	v_pk_mul_f32 v[10:11], v[10:11], v[14:15]
	;;#ASMEND
	;;#ASMSTART
	v_pk_mul_f32 v[8:9], v[8:9], v[14:15]
	;;#ASMEND
	;; [unrolled: 3-line block ×4, first 2 shown]
	s_waitcnt vmcnt(0)
	v_cvt_f32_u32_sdwa v15, v0 dst_sel:DWORD dst_unused:UNUSED_PAD src0_sel:WORD_1
	v_cvt_f32_u32_sdwa v14, v0 dst_sel:DWORD dst_unused:UNUSED_PAD src0_sel:WORD_0
	v_cvt_f32_u32_sdwa v17, v1 dst_sel:DWORD dst_unused:UNUSED_PAD src0_sel:WORD_1
	v_cvt_f32_u32_sdwa v16, v1 dst_sel:DWORD dst_unused:UNUSED_PAD src0_sel:WORD_0
	;; [unrolled: 2-line block ×4, first 2 shown]
	;;#ASMSTART
	v_pk_mul_f32 v[2:3], v[10:11], v[14:15]
	;;#ASMEND
	s_and_b32 s17, s0, 0xffff
	s_mov_b32 s0, 0x7060302
	;;#ASMSTART
	v_pk_mul_f32 v[8:9], v[8:9], v[16:17]
	;;#ASMEND
	;;#ASMSTART
	v_pk_mul_f32 v[6:7], v[6:7], v[0:1]
	;;#ASMEND
	;; [unrolled: 3-line block ×3, first 2 shown]
	v_perm_b32 v0, v3, v2, s0
	v_perm_b32 v1, v9, v8, s0
	;; [unrolled: 1-line block ×4, first 2 shown]
	buffer_store_dwordx4 v[0:3], v12, s[16:19], 0 offen
	;;#ASMSTART
	s_nop 0
	;;#ASMEND
	s_endpgm
	.section	.rodata,"a",@progbits
	.p2align	6, 0x0
	.amdhsa_kernel _ZN5aiter35fused_qk_rmsnorm_group_quant_kernelItN4opus5fp4_tELi64ELi8ELi16ELb1ELb0ELb0ELb0ELb0ELb0EEEvPT0_PvPT_S7_S7_PKS6_S9_S9_S9_S9_ffiiiiiiiiiiiii
		.amdhsa_group_segment_fixed_size 0
		.amdhsa_private_segment_fixed_size 0
		.amdhsa_kernarg_size 400
		.amdhsa_user_sgpr_count 6
		.amdhsa_user_sgpr_private_segment_buffer 1
		.amdhsa_user_sgpr_dispatch_ptr 0
		.amdhsa_user_sgpr_queue_ptr 0
		.amdhsa_user_sgpr_kernarg_segment_ptr 1
		.amdhsa_user_sgpr_dispatch_id 0
		.amdhsa_user_sgpr_flat_scratch_init 0
		.amdhsa_user_sgpr_kernarg_preload_length 0
		.amdhsa_user_sgpr_kernarg_preload_offset 0
		.amdhsa_user_sgpr_private_segment_size 0
		.amdhsa_uses_dynamic_stack 0
		.amdhsa_system_sgpr_private_segment_wavefront_offset 0
		.amdhsa_system_sgpr_workgroup_id_x 1
		.amdhsa_system_sgpr_workgroup_id_y 1
		.amdhsa_system_sgpr_workgroup_id_z 0
		.amdhsa_system_sgpr_workgroup_info 0
		.amdhsa_system_vgpr_workitem_id 0
		.amdhsa_next_free_vgpr 27
		.amdhsa_next_free_sgpr 44
		.amdhsa_accum_offset 28
		.amdhsa_reserve_vcc 1
		.amdhsa_reserve_flat_scratch 0
		.amdhsa_float_round_mode_32 0
		.amdhsa_float_round_mode_16_64 0
		.amdhsa_float_denorm_mode_32 3
		.amdhsa_float_denorm_mode_16_64 3
		.amdhsa_dx10_clamp 1
		.amdhsa_ieee_mode 1
		.amdhsa_fp16_overflow 0
		.amdhsa_tg_split 0
		.amdhsa_exception_fp_ieee_invalid_op 0
		.amdhsa_exception_fp_denorm_src 0
		.amdhsa_exception_fp_ieee_div_zero 0
		.amdhsa_exception_fp_ieee_overflow 0
		.amdhsa_exception_fp_ieee_underflow 0
		.amdhsa_exception_fp_ieee_inexact 0
		.amdhsa_exception_int_div_zero 0
	.end_amdhsa_kernel
	.section	.text._ZN5aiter35fused_qk_rmsnorm_group_quant_kernelItN4opus5fp4_tELi64ELi8ELi16ELb1ELb0ELb0ELb0ELb0ELb0EEEvPT0_PvPT_S7_S7_PKS6_S9_S9_S9_S9_ffiiiiiiiiiiiii,"axG",@progbits,_ZN5aiter35fused_qk_rmsnorm_group_quant_kernelItN4opus5fp4_tELi64ELi8ELi16ELb1ELb0ELb0ELb0ELb0ELb0EEEvPT0_PvPT_S7_S7_PKS6_S9_S9_S9_S9_ffiiiiiiiiiiiii,comdat
.Lfunc_end128:
	.size	_ZN5aiter35fused_qk_rmsnorm_group_quant_kernelItN4opus5fp4_tELi64ELi8ELi16ELb1ELb0ELb0ELb0ELb0ELb0EEEvPT0_PvPT_S7_S7_PKS6_S9_S9_S9_S9_ffiiiiiiiiiiiii, .Lfunc_end128-_ZN5aiter35fused_qk_rmsnorm_group_quant_kernelItN4opus5fp4_tELi64ELi8ELi16ELb1ELb0ELb0ELb0ELb0ELb0EEEvPT0_PvPT_S7_S7_PKS6_S9_S9_S9_S9_ffiiiiiiiiiiiii
                                        ; -- End function
	.section	.AMDGPU.csdata,"",@progbits
; Kernel info:
; codeLenInByte = 2632
; NumSgprs: 48
; NumVgprs: 27
; NumAgprs: 0
; TotalNumVgprs: 27
; ScratchSize: 0
; MemoryBound: 0
; FloatMode: 240
; IeeeMode: 1
; LDSByteSize: 0 bytes/workgroup (compile time only)
; SGPRBlocks: 5
; VGPRBlocks: 3
; NumSGPRsForWavesPerEU: 48
; NumVGPRsForWavesPerEU: 27
; AccumOffset: 28
; Occupancy: 8
; WaveLimiterHint : 0
; COMPUTE_PGM_RSRC2:SCRATCH_EN: 0
; COMPUTE_PGM_RSRC2:USER_SGPR: 6
; COMPUTE_PGM_RSRC2:TRAP_HANDLER: 0
; COMPUTE_PGM_RSRC2:TGID_X_EN: 1
; COMPUTE_PGM_RSRC2:TGID_Y_EN: 1
; COMPUTE_PGM_RSRC2:TGID_Z_EN: 0
; COMPUTE_PGM_RSRC2:TIDIG_COMP_CNT: 0
; COMPUTE_PGM_RSRC3_GFX90A:ACCUM_OFFSET: 6
; COMPUTE_PGM_RSRC3_GFX90A:TG_SPLIT: 0
	.section	.text._ZN5aiter35fused_qk_rmsnorm_group_quant_kernelIDF16_DB8_Li64ELi8ELi16ELb0ELb1ELb1ELb0ELb0ELb0EEEvPT0_PvPT_S6_S6_PKS5_S8_S8_S8_S8_ffiiiiiiiiiiiii,"axG",@progbits,_ZN5aiter35fused_qk_rmsnorm_group_quant_kernelIDF16_DB8_Li64ELi8ELi16ELb0ELb1ELb1ELb0ELb0ELb0EEEvPT0_PvPT_S6_S6_PKS5_S8_S8_S8_S8_ffiiiiiiiiiiiii,comdat
	.protected	_ZN5aiter35fused_qk_rmsnorm_group_quant_kernelIDF16_DB8_Li64ELi8ELi16ELb0ELb1ELb1ELb0ELb0ELb0EEEvPT0_PvPT_S6_S6_PKS5_S8_S8_S8_S8_ffiiiiiiiiiiiii ; -- Begin function _ZN5aiter35fused_qk_rmsnorm_group_quant_kernelIDF16_DB8_Li64ELi8ELi16ELb0ELb1ELb1ELb0ELb0ELb0EEEvPT0_PvPT_S6_S6_PKS5_S8_S8_S8_S8_ffiiiiiiiiiiiii
	.globl	_ZN5aiter35fused_qk_rmsnorm_group_quant_kernelIDF16_DB8_Li64ELi8ELi16ELb0ELb1ELb1ELb0ELb0ELb0EEEvPT0_PvPT_S6_S6_PKS5_S8_S8_S8_S8_ffiiiiiiiiiiiii
	.p2align	8
	.type	_ZN5aiter35fused_qk_rmsnorm_group_quant_kernelIDF16_DB8_Li64ELi8ELi16ELb0ELb1ELb1ELb0ELb0ELb0EEEvPT0_PvPT_S6_S6_PKS5_S8_S8_S8_S8_ffiiiiiiiiiiiii,@function
_ZN5aiter35fused_qk_rmsnorm_group_quant_kernelIDF16_DB8_Li64ELi8ELi16ELb0ELb1ELb1ELb0ELb0ELb0EEEvPT0_PvPT_S6_S6_PKS5_S8_S8_S8_S8_ffiiiiiiiiiiiii: ; @_ZN5aiter35fused_qk_rmsnorm_group_quant_kernelIDF16_DB8_Li64ELi8ELi16ELb0ELb1ELb1ELb0ELb0ELb0EEEvPT0_PvPT_S6_S6_PKS5_S8_S8_S8_S8_ffiiiiiiiiiiiii
; %bb.0:
	s_load_dwordx4 s[12:15], s[4:5], 0x50
	s_waitcnt lgkmcnt(0)
	s_cmp_ge_i32 s6, s14
	s_cbranch_scc1 .LBB129_10
; %bb.1:
	s_load_dwordx2 s[8:9], s[4:5], 0x48
	s_load_dwordx2 s[30:31], s[4:5], 0x30
	s_load_dwordx4 s[16:19], s[4:5], 0x60
	s_cmp_lg_u32 s7, 0
	s_cselect_b64 s[2:3], -1, 0
	s_cmp_eq_u32 s7, 0
	s_cselect_b64 vcc, -1, 0
	s_and_b64 s[0:1], vcc, exec
	s_waitcnt lgkmcnt(0)
	s_cselect_b32 s7, s15, s16
	s_add_i32 s0, s7, 1
	s_lshr_b32 s1, s0, 31
	s_add_i32 s0, s0, s1
	s_lshl_b32 s0, s0, 1
	v_lshlrev_b32_e32 v1, 3, v0
	s_and_b32 s22, s0, -4
	v_cmp_gt_i32_e64 s[0:1], s7, v1
	v_mov_b32_e32 v10, 0
	v_mov_b32_e32 v2, 0
	;; [unrolled: 1-line block ×9, first 2 shown]
	s_and_saveexec_b64 s[10:11], s[0:1]
	s_cbranch_execz .LBB129_3
; %bb.2:
	s_load_dwordx2 s[20:21], s[4:5], 0x28
	s_load_dwordx2 s[26:27], s[4:5], 0x40
	s_and_b64 s[24:25], vcc, exec
	s_cselect_b32 s14, s17, s18
	s_mov_b32 s23, 0x20000
	s_waitcnt lgkmcnt(0)
	s_cselect_b32 s17, s21, s31
	s_cselect_b32 s19, s20, s30
	s_mul_hi_i32 s21, s14, s6
	s_mul_i32 s20, s14, s6
	s_lshl_b64 s[20:21], s[20:21], 1
	s_add_u32 s24, s19, s20
	s_addc_u32 s14, s17, s21
	s_and_b64 s[20:21], vcc, exec
	s_cselect_b32 s20, s26, s8
	s_cselect_b32 s17, s27, s9
	v_lshlrev_b32_e32 v11, 4, v0
	s_and_b32 s25, s14, 0xffff
	s_mov_b32 s26, s22
	s_mov_b32 s27, s23
	s_and_b32 s21, s17, 0xffff
	buffer_load_dwordx4 v[6:9], v11, s[24:27], 0 offen glc slc
	buffer_load_dwordx4 v[2:5], v11, s[20:23], 0 offen
.LBB129_3:
	s_or_b64 exec, exec, s[10:11]
	v_mov_b32_e32 v11, 0
	v_mov_b32_e32 v16, 0
	;; [unrolled: 1-line block ×7, first 2 shown]
	s_and_saveexec_b64 s[10:11], s[0:1]
	s_cbranch_execz .LBB129_5
; %bb.4:
	s_waitcnt vmcnt(1)
	v_cvt_f32_f16_sdwa v11, v6 dst_sel:DWORD dst_unused:UNUSED_PAD src0_sel:WORD_1
	v_cvt_f32_f16_e32 v10, v6
	v_cvt_f32_f16_sdwa v17, v7 dst_sel:DWORD dst_unused:UNUSED_PAD src0_sel:WORD_1
	v_cvt_f32_f16_e32 v16, v7
	;; [unrolled: 2-line block ×4, first 2 shown]
.LBB129_5:
	s_or_b64 exec, exec, s[10:11]
	s_waitcnt vmcnt(1)
	v_mul_f32_e32 v6, v11, v11
	v_fmac_f32_e32 v6, v10, v10
	v_fmac_f32_e32 v6, v16, v16
	;; [unrolled: 1-line block ×7, first 2 shown]
	v_bfrev_b32_e32 v8, 0.5
	s_load_dwordx2 s[28:29], s[4:5], 0x18
	v_mov_b32_dpp v7, v6 quad_perm:[1,0,3,2] row_mask:0xf bank_mask:0xf
	v_add_f32_e32 v6, v6, v7
	s_nop 1
	v_mov_b32_dpp v7, v6 quad_perm:[2,3,0,1] row_mask:0xf bank_mask:0xf
	v_add_f32_e32 v6, v6, v7
	s_nop 1
	v_mov_b32_dpp v7, v6 row_half_mirror row_mask:0xf bank_mask:0xf
	v_add_f32_e32 v6, v6, v7
	s_nop 1
	v_mov_b32_dpp v7, v6 row_mirror row_mask:0xf bank_mask:0xf
	v_add_f32_e32 v6, v6, v7
	s_nop 1
	v_mov_b32_dpp v7, v6 row_bcast:15 row_mask:0xf bank_mask:0xf
	v_add_f32_e32 v6, v6, v7
	s_nop 1
	v_mov_b32_dpp v7, v6 row_bcast:31 row_mask:0xf bank_mask:0xf
	v_add_f32_e32 v6, v6, v7
	v_mbcnt_lo_u32_b32 v7, -1, 0
	v_mbcnt_hi_u32_b32 v7, -1, v7
	v_lshl_or_b32 v18, v7, 2, v8
	ds_bpermute_b32 v6, v18, v6
	s_and_saveexec_b64 s[10:11], s[0:1]
	s_cbranch_execz .LBB129_7
; %bb.6:
	v_cvt_f32_u32_e32 v7, s7
	v_mov_b32_e32 v8, s13
	v_mov_b32_e32 v9, s12
	v_cndmask_b32_e32 v8, v8, v9, vcc
	s_waitcnt lgkmcnt(0)
	v_div_scale_f32 v19, s[20:21], v7, v7, v6
	v_rcp_f32_e32 v20, v19
	v_div_scale_f32 v9, vcc, v6, v7, v6
	s_mov_b32 s7, 0x800000
	v_fma_f32 v21, -v19, v20, 1.0
	v_fmac_f32_e32 v20, v21, v20
	v_mul_f32_e32 v21, v9, v20
	v_fma_f32 v22, -v19, v21, v9
	v_fmac_f32_e32 v21, v22, v20
	v_fma_f32 v9, -v19, v21, v9
	v_div_fmas_f32 v9, v9, v20, v21
	v_div_fixup_f32 v6, v9, v7, v6
	v_add_f32_e32 v6, v8, v6
	v_mul_f32_e32 v7, 0x4b800000, v6
	v_cmp_gt_f32_e32 vcc, s7, v6
	v_cndmask_b32_e32 v6, v6, v7, vcc
	v_rsq_f32_e32 v6, v6
	s_waitcnt vmcnt(0)
	v_cvt_f32_f16_sdwa v21, v3 dst_sel:DWORD dst_unused:UNUSED_PAD src0_sel:WORD_1
	v_cvt_f32_f16_e32 v20, v3
	v_mul_f32_e32 v7, 0x45800000, v6
	v_cndmask_b32_e32 v6, v6, v7, vcc
	v_mov_b32_e32 v7, v6
	;;#ASMSTART
	v_pk_mul_f32 v[8:9], v[10:11], v[6:7]
	;;#ASMEND
	v_cvt_f32_f16_sdwa v11, v2 dst_sel:DWORD dst_unused:UNUSED_PAD src0_sel:WORD_1
	v_cvt_f32_f16_e32 v10, v2
	;;#ASMSTART
	v_pk_mul_f32 v[16:17], v[16:17], v[6:7]
	;;#ASMEND
	;;#ASMSTART
	v_pk_mul_f32 v[14:15], v[14:15], v[6:7]
	;;#ASMEND
	;; [unrolled: 3-line block ×3, first 2 shown]
	v_pk_add_f32 v[6:7], v[10:11], 1.0 op_sel_hi:[1,0]
	;;#ASMSTART
	v_pk_mul_f32 v[10:11], v[8:9], v[6:7]
	;;#ASMEND
	v_cvt_f32_f16_sdwa v9, v4 dst_sel:DWORD dst_unused:UNUSED_PAD src0_sel:WORD_1
	v_cvt_f32_f16_e32 v8, v4
	v_cvt_f32_f16_sdwa v13, v5 dst_sel:DWORD dst_unused:UNUSED_PAD src0_sel:WORD_1
	v_cvt_f32_f16_e32 v12, v5
	v_pk_add_f32 v[6:7], v[20:21], 1.0 op_sel_hi:[1,0]
	v_pk_add_f32 v[4:5], v[8:9], 1.0 op_sel_hi:[1,0]
	;;#ASMSTART
	v_pk_mul_f32 v[16:17], v[16:17], v[6:7]
	;;#ASMEND
	;;#ASMSTART
	v_pk_mul_f32 v[14:15], v[14:15], v[4:5]
	;;#ASMEND
	v_pk_add_f32 v[4:5], v[12:13], 1.0 op_sel_hi:[1,0]
	;;#ASMSTART
	v_pk_mul_f32 v[12:13], v[2:3], v[4:5]
	;;#ASMEND
.LBB129_7:
	s_or_b64 exec, exec, s[10:11]
	s_load_dword s7, s[4:5], 0x80
	s_mov_b64 s[10:11], -1
	s_and_b64 vcc, exec, s[2:3]
	s_cbranch_vccnz .LBB129_11
; %bb.8:
	s_andn2_b64 vcc, exec, s[10:11]
	s_cbranch_vccz .LBB129_14
.LBB129_9:
	s_cmp_lt_i32 s16, 1
	s_cbranch_scc0 .LBB129_23
.LBB129_10:
	s_endpgm
.LBB129_11:
	s_and_saveexec_b64 s[2:3], s[0:1]
	s_cbranch_execz .LBB129_13
; %bb.12:
	s_waitcnt lgkmcnt(0)
	s_mul_hi_i32 s11, s7, s6
	s_mul_i32 s10, s7, s6
	s_waitcnt vmcnt(0)
	v_cvt_f16_f32_e32 v2, v10
	v_cvt_f16_f32_e32 v3, v16
	;; [unrolled: 1-line block ×8, first 2 shown]
	s_lshl_b64 s[10:11], s[10:11], 1
	s_add_u32 s20, s28, s10
	s_addc_u32 s10, s29, s11
	s_and_b32 s21, s10, 0xffff
	s_mov_b32 s23, 0x20000
	v_pack_b32_f16 v5, v5, v6
	v_pack_b32_f16 v4, v4, v7
	;; [unrolled: 1-line block ×4, first 2 shown]
	v_lshlrev_b32_e32 v6, 4, v0
	buffer_store_dwordx4 v[2:5], v6, s[20:23], 0 offen
	;;#ASMSTART
	s_nop 0
	;;#ASMEND
.LBB129_13:
	s_or_b64 exec, exec, s[2:3]
	s_cbranch_execnz .LBB129_9
.LBB129_14:
	s_load_dwordx4 s[24:27], s[4:5], 0x70
	s_waitcnt vmcnt(0)
	v_mov_b32_e32 v2, 0
	s_and_saveexec_b64 s[2:3], s[0:1]
	s_cbranch_execz .LBB129_16
; %bb.15:
	s_load_dwordx2 s[10:11], s[4:5], 0x10
	s_waitcnt lgkmcnt(0)
	s_mul_hi_i32 s21, s27, s6
	s_mul_i32 s20, s27, s6
	v_cvt_f16_f32_e32 v2, v10
	v_cvt_f16_f32_e32 v3, v16
	;; [unrolled: 1-line block ×8, first 2 shown]
	s_lshl_b64 s[20:21], s[20:21], 1
	s_add_u32 s20, s10, s20
	s_addc_u32 s10, s11, s21
	s_mov_b32 s23, 0x20000
	s_and_b32 s21, s10, 0xffff
	v_pack_b32_f16 v5, v5, v6
	v_pack_b32_f16 v4, v4, v7
	;; [unrolled: 1-line block ×4, first 2 shown]
	v_lshlrev_b32_e32 v6, 4, v0
	buffer_store_dwordx4 v[2:5], v6, s[20:23], 0 offen
	;;#ASMSTART
	s_nop 0
	;;#ASMEND
	s_nop 0
	v_mov_b32_e32 v2, 0x2edbe6ff
.LBB129_16:
	s_or_b64 exec, exec, s[2:3]
	s_and_saveexec_b64 s[2:3], s[0:1]
	s_cbranch_execz .LBB129_18
; %bb.17:
	v_and_b32_e32 v3, 0x7fffffff, v10
	v_and_b32_e32 v4, 0x7fffffff, v11
	;;#ASMSTART
	v_max3_f32 v2, v2, v3, v4

	;;#ASMEND
	v_and_b32_e32 v3, 0x7fffffff, v16
	v_and_b32_e32 v4, 0x7fffffff, v17
	;;#ASMSTART
	v_max3_f32 v2, v2, v3, v4

	;;#ASMEND
	v_and_b32_e32 v3, 0x7fffffff, v14
	v_and_b32_e32 v4, 0x7fffffff, v15
	;;#ASMSTART
	v_max3_f32 v2, v2, v3, v4

	;;#ASMEND
	v_and_b32_e32 v3, 0x7fffffff, v12
	v_and_b32_e32 v4, 0x7fffffff, v13
	;;#ASMSTART
	v_max3_f32 v2, v2, v3, v4

	;;#ASMEND
.LBB129_18:
	s_or_b64 exec, exec, s[2:3]
	;;#ASMSTART
	v_max_f32 v3, v2, v2 quad_perm:[1,0,3,2] row_mask:0xf bank_mask:0xf bound_ctrl:1
	;;#ASMEND
	;;#ASMSTART
	v_max_f32 v2, v3, v3 quad_perm:[2,3,0,1] row_mask:0xf bank_mask:0xf bound_ctrl:1
	;;#ASMEND
	;;#ASMSTART
	v_max_f32 v3, v2, v2 row_half_mirror row_mask:0xf bank_mask:0xf bound_ctrl:1
	;;#ASMEND
	;;#ASMSTART
	v_max_f32 v2, v3, v3 row_mirror row_mask:0xf bank_mask:0xf bound_ctrl:1
	;;#ASMEND
	v_and_b32_e32 v3, 15, v0
	v_cmp_eq_u32_e32 vcc, 0, v3
	v_cmp_gt_i32_e64 s[2:3], s15, v1
	v_mul_f32_e32 v2, 0x3b124925, v2
	s_and_b64 s[10:11], vcc, s[2:3]
	s_and_saveexec_b64 s[2:3], s[10:11]
	s_cbranch_execz .LBB129_20
; %bb.19:
	s_load_dwordx2 s[10:11], s[4:5], 0x8
	s_waitcnt lgkmcnt(0)
	s_mul_hi_i32 s21, s25, s6
	s_mul_i32 s20, s25, s6
	v_lshrrev_b32_e32 v3, 4, v0
	s_lshl_b64 s[20:21], s[20:21], 2
	v_mad_i64_i32 v[4:5], s[22:23], s26, v3, 0
	s_add_u32 s10, s10, s20
	s_addc_u32 s11, s11, s21
	v_lshlrev_b64 v[4:5], 2, v[4:5]
	v_mov_b32_e32 v3, s11
	v_add_co_u32_e32 v4, vcc, s10, v4
	v_addc_co_u32_e32 v5, vcc, v3, v5, vcc
	global_store_dword v[4:5], v2, off
.LBB129_20:
	s_or_b64 exec, exec, s[2:3]
	;;#ASMSTART
	v_rcp_f32 v2, v2
	;;#ASMEND
	s_and_saveexec_b64 s[10:11], s[0:1]
	s_cbranch_execz .LBB129_22
; %bb.21:
	v_mov_b32_e32 v3, v2
	;;#ASMSTART
	v_pk_mul_f32 v[4:5], v[10:11], v[2:3]
	;;#ASMEND
	s_load_dwordx2 s[0:1], s[4:5], 0x0
	v_mov_b32_e32 v8, 0xc3e00000
	v_mov_b32_e32 v9, 0x43e00000
	s_waitcnt lgkmcnt(0)
	;;#ASMSTART
	v_med3_f32 v4, v4, v8, v9
v_med3_f32 v5, v5, v8, v9
v_cvt_pk_fp8_f32 v6, v4, v5
	;;#ASMEND
	;;#ASMSTART
	v_pk_mul_f32 v[4:5], v[16:17], v[2:3]
	;;#ASMEND
	;;#ASMSTART
	v_med3_f32 v4, v4, v8, v9
v_med3_f32 v5, v5, v8, v9
v_cvt_pk_fp8_f32 v7, v4, v5
	;;#ASMEND
	s_mov_b32 s14, 0x5040100
	v_perm_b32 v5, v7, v6, s14
	s_movk_i32 s14, 0xff
	s_mul_i32 s3, s24, s6
	v_and_b32_e32 v4, 0xffffff00, v7
	v_and_b32_sdwa v6, v5, s14 dst_sel:DWORD dst_unused:UNUSED_PAD src0_sel:WORD_1 src1_sel:DWORD
	s_mul_hi_i32 s2, s24, s6
	s_mov_b32 s12, 0xffff
	s_add_u32 s0, s0, s3
	v_or_b32_sdwa v4, v6, v4 dst_sel:WORD_1 dst_unused:UNUSED_PAD src0_sel:DWORD src1_sel:DWORD
	s_addc_u32 s1, s1, s2
	s_add_i32 s2, s15, 3
	v_and_or_b32 v4, v5, s12, v4
	;;#ASMSTART
	v_pk_mul_f32 v[6:7], v[14:15], v[2:3]
	;;#ASMEND
	v_mov_b32_e32 v5, v7
	s_ashr_i32 s3, s2, 31
	;;#ASMSTART
	v_med3_f32 v6, v6, v8, v9
v_med3_f32 v5, v5, v8, v9
v_cvt_pk_fp8_f32 v7, v6, v5
	;;#ASMEND
	;;#ASMSTART
	v_pk_mul_f32 v[2:3], v[12:13], v[2:3]
	;;#ASMEND
	s_lshr_b32 s3, s3, 30
	;;#ASMSTART
	v_med3_f32 v2, v2, v8, v9
v_med3_f32 v3, v3, v8, v9
v_cvt_pk_fp8_f32 v5, v2, v3
	;;#ASMEND
	s_add_i32 s2, s2, s3
	v_lshlrev_b32_e32 v2, 16, v5
	s_and_b32 s2, s2, -4
	s_and_b32 s1, s1, 0xffff
	s_mov_b32 s3, 0x20000
	v_and_or_b32 v5, v7, s12, v2
	buffer_store_dwordx2 v[4:5], v1, s[0:3], 0 offen
	;;#ASMSTART
	s_nop 0
	;;#ASMEND
.LBB129_22:
	s_or_b64 exec, exec, s[10:11]
	s_cmp_lt_i32 s16, 1
	s_cbranch_scc1 .LBB129_10
.LBB129_23:
	s_load_dword s0, s[4:5], 0x94
	s_waitcnt lgkmcnt(0)
	s_cmp_lg_u32 s0, 1
	s_cbranch_scc1 .LBB129_10
; %bb.24:
	s_lshl_b32 s0, s16, 1
	s_add_i32 s0, s0, 2
	v_cmp_gt_u32_e32 vcc, s16, v1
	s_and_b32 s10, s0, -4
	v_mov_b32_e32 v8, 0
	v_lshlrev_b32_e32 v16, 4, v0
	s_waitcnt vmcnt(0)
	v_mov_b32_e32 v4, 0
	v_mov_b32_e32 v5, 0
	;; [unrolled: 1-line block ×8, first 2 shown]
	s_barrier
	s_and_saveexec_b64 s[0:1], vcc
	s_cbranch_execz .LBB129_26
; %bb.25:
	s_mul_hi_i32 s3, s18, s6
	s_mul_i32 s2, s18, s6
	s_and_b32 s9, s9, 0xffff
	s_lshl_b64 s[2:3], s[2:3], 1
	s_add_u32 s20, s30, s2
	s_mov_b32 s11, 0x20000
	s_addc_u32 s2, s31, s3
	s_and_b32 s21, s2, 0xffff
	s_mov_b32 s22, s10
	s_mov_b32 s23, s11
	buffer_load_dwordx4 v[4:7], v16, s[20:23], 0 offen glc slc
	buffer_load_dwordx4 v[0:3], v16, s[8:11], 0 offen
.LBB129_26:
	s_or_b64 exec, exec, s[0:1]
	v_mov_b32_e32 v9, 0
	v_mov_b32_e32 v12, 0
	;; [unrolled: 1-line block ×7, first 2 shown]
	s_and_saveexec_b64 s[0:1], vcc
	s_cbranch_execz .LBB129_28
; %bb.27:
	s_waitcnt vmcnt(1)
	v_cvt_f32_f16_sdwa v9, v4 dst_sel:DWORD dst_unused:UNUSED_PAD src0_sel:WORD_1
	v_cvt_f32_f16_e32 v8, v4
	v_cvt_f32_f16_sdwa v13, v5 dst_sel:DWORD dst_unused:UNUSED_PAD src0_sel:WORD_1
	v_cvt_f32_f16_e32 v12, v5
	;; [unrolled: 2-line block ×4, first 2 shown]
.LBB129_28:
	s_or_b64 exec, exec, s[0:1]
	s_waitcnt vmcnt(1)
	v_mul_f32_e32 v4, v9, v9
	v_fmac_f32_e32 v4, v8, v8
	v_fmac_f32_e32 v4, v12, v12
	;; [unrolled: 1-line block ×7, first 2 shown]
	s_nop 1
	v_mov_b32_dpp v5, v4 quad_perm:[1,0,3,2] row_mask:0xf bank_mask:0xf
	v_add_f32_e32 v4, v4, v5
	s_nop 1
	v_mov_b32_dpp v5, v4 quad_perm:[2,3,0,1] row_mask:0xf bank_mask:0xf
	v_add_f32_e32 v4, v4, v5
	s_nop 1
	v_mov_b32_dpp v5, v4 row_half_mirror row_mask:0xf bank_mask:0xf
	v_add_f32_e32 v4, v4, v5
	s_nop 1
	v_mov_b32_dpp v5, v4 row_mirror row_mask:0xf bank_mask:0xf
	v_add_f32_e32 v4, v4, v5
	s_nop 1
	v_mov_b32_dpp v5, v4 row_bcast:15 row_mask:0xf bank_mask:0xf
	v_add_f32_e32 v4, v4, v5
	s_nop 1
	v_mov_b32_dpp v5, v4 row_bcast:31 row_mask:0xf bank_mask:0xf
	v_add_f32_e32 v4, v4, v5
	ds_bpermute_b32 v4, v18, v4
	s_and_saveexec_b64 s[0:1], vcc
	s_cbranch_execz .LBB129_10
; %bb.29:
	v_cvt_f32_u32_e32 v5, s16
	s_mov_b32 s11, 0x20000
	s_waitcnt lgkmcnt(0)
	v_div_scale_f32 v6, s[0:1], v5, v5, v4
	v_rcp_f32_e32 v7, v6
	v_div_scale_f32 v17, vcc, v4, v5, v4
	s_mov_b32 s0, 0x800000
	v_fma_f32 v18, -v6, v7, 1.0
	v_fmac_f32_e32 v7, v18, v7
	v_mul_f32_e32 v18, v17, v7
	v_fma_f32 v19, -v6, v18, v17
	v_fmac_f32_e32 v18, v19, v7
	v_fma_f32 v6, -v6, v18, v17
	v_div_fmas_f32 v6, v6, v7, v18
	v_div_fixup_f32 v4, v6, v5, v4
	v_add_f32_e32 v4, s13, v4
	v_mul_f32_e32 v5, 0x4b800000, v4
	v_cmp_gt_f32_e32 vcc, s0, v4
	v_cndmask_b32_e32 v4, v4, v5, vcc
	v_rsq_f32_e32 v4, v4
	s_waitcnt vmcnt(0)
	v_cvt_f32_f16_sdwa v5, v0 dst_sel:DWORD dst_unused:UNUSED_PAD src0_sel:WORD_1
	v_cvt_f32_f16_sdwa v19, v1 dst_sel:DWORD dst_unused:UNUSED_PAD src0_sel:WORD_1
	v_cvt_f32_f16_e32 v18, v1
	v_mul_f32_e32 v6, 0x45800000, v4
	v_cndmask_b32_e32 v6, v4, v6, vcc
	v_cvt_f32_f16_e32 v4, v0
	v_mov_b32_e32 v7, v6
	;;#ASMSTART
	v_pk_mul_f32 v[8:9], v[8:9], v[6:7]
	;;#ASMEND
	;;#ASMSTART
	v_pk_mul_f32 v[12:13], v[12:13], v[6:7]
	;;#ASMEND
	v_pk_add_f32 v[4:5], v[4:5], 1.0 op_sel_hi:[1,0]
	;;#ASMSTART
	v_pk_mul_f32 v[14:15], v[14:15], v[6:7]
	;;#ASMEND
	;;#ASMSTART
	v_pk_mul_f32 v[0:1], v[10:11], v[6:7]
	;;#ASMEND
	;; [unrolled: 3-line block ×3, first 2 shown]
	v_cvt_f32_f16_sdwa v9, v2 dst_sel:DWORD dst_unused:UNUSED_PAD src0_sel:WORD_1
	v_cvt_f32_f16_e32 v8, v2
	v_cvt_f32_f16_sdwa v11, v3 dst_sel:DWORD dst_unused:UNUSED_PAD src0_sel:WORD_1
	v_cvt_f32_f16_e32 v10, v3
	v_pk_add_f32 v[6:7], v[18:19], 1.0 op_sel_hi:[1,0]
	;;#ASMSTART
	v_pk_mul_f32 v[2:3], v[12:13], v[6:7]
	;;#ASMEND
	v_pk_add_f32 v[6:7], v[8:9], 1.0 op_sel_hi:[1,0]
	;;#ASMSTART
	v_pk_mul_f32 v[6:7], v[14:15], v[6:7]
	;;#ASMEND
	;; [unrolled: 4-line block ×3, first 2 shown]
	s_mul_hi_i32 s1, s7, s6
	s_mul_i32 s0, s7, s6
	v_cvt_f16_f32_e32 v4, v4
	v_cvt_f16_f32_e32 v5, v5
	;; [unrolled: 1-line block ×8, first 2 shown]
	s_lshl_b64 s[0:1], s[0:1], 1
	s_add_u32 s8, s28, s0
	s_addc_u32 s0, s29, s1
	s_and_b32 s9, s0, 0xffff
	v_pack_b32_f16 v0, v4, v5
	v_pack_b32_f16 v1, v2, v3
	;; [unrolled: 1-line block ×4, first 2 shown]
	buffer_store_dwordx4 v[0:3], v16, s[8:11], 0 offen
	;;#ASMSTART
	s_nop 0
	;;#ASMEND
	s_endpgm
	.section	.rodata,"a",@progbits
	.p2align	6, 0x0
	.amdhsa_kernel _ZN5aiter35fused_qk_rmsnorm_group_quant_kernelIDF16_DB8_Li64ELi8ELi16ELb0ELb1ELb1ELb0ELb0ELb0EEEvPT0_PvPT_S6_S6_PKS5_S8_S8_S8_S8_ffiiiiiiiiiiiii
		.amdhsa_group_segment_fixed_size 0
		.amdhsa_private_segment_fixed_size 0
		.amdhsa_kernarg_size 400
		.amdhsa_user_sgpr_count 6
		.amdhsa_user_sgpr_private_segment_buffer 1
		.amdhsa_user_sgpr_dispatch_ptr 0
		.amdhsa_user_sgpr_queue_ptr 0
		.amdhsa_user_sgpr_kernarg_segment_ptr 1
		.amdhsa_user_sgpr_dispatch_id 0
		.amdhsa_user_sgpr_flat_scratch_init 0
		.amdhsa_user_sgpr_kernarg_preload_length 0
		.amdhsa_user_sgpr_kernarg_preload_offset 0
		.amdhsa_user_sgpr_private_segment_size 0
		.amdhsa_uses_dynamic_stack 0
		.amdhsa_system_sgpr_private_segment_wavefront_offset 0
		.amdhsa_system_sgpr_workgroup_id_x 1
		.amdhsa_system_sgpr_workgroup_id_y 1
		.amdhsa_system_sgpr_workgroup_id_z 0
		.amdhsa_system_sgpr_workgroup_info 0
		.amdhsa_system_vgpr_workitem_id 0
		.amdhsa_next_free_vgpr 23
		.amdhsa_next_free_sgpr 32
		.amdhsa_accum_offset 24
		.amdhsa_reserve_vcc 1
		.amdhsa_reserve_flat_scratch 0
		.amdhsa_float_round_mode_32 0
		.amdhsa_float_round_mode_16_64 0
		.amdhsa_float_denorm_mode_32 3
		.amdhsa_float_denorm_mode_16_64 3
		.amdhsa_dx10_clamp 1
		.amdhsa_ieee_mode 1
		.amdhsa_fp16_overflow 0
		.amdhsa_tg_split 0
		.amdhsa_exception_fp_ieee_invalid_op 0
		.amdhsa_exception_fp_denorm_src 0
		.amdhsa_exception_fp_ieee_div_zero 0
		.amdhsa_exception_fp_ieee_overflow 0
		.amdhsa_exception_fp_ieee_underflow 0
		.amdhsa_exception_fp_ieee_inexact 0
		.amdhsa_exception_int_div_zero 0
	.end_amdhsa_kernel
	.section	.text._ZN5aiter35fused_qk_rmsnorm_group_quant_kernelIDF16_DB8_Li64ELi8ELi16ELb0ELb1ELb1ELb0ELb0ELb0EEEvPT0_PvPT_S6_S6_PKS5_S8_S8_S8_S8_ffiiiiiiiiiiiii,"axG",@progbits,_ZN5aiter35fused_qk_rmsnorm_group_quant_kernelIDF16_DB8_Li64ELi8ELi16ELb0ELb1ELb1ELb0ELb0ELb0EEEvPT0_PvPT_S6_S6_PKS5_S8_S8_S8_S8_ffiiiiiiiiiiiii,comdat
.Lfunc_end129:
	.size	_ZN5aiter35fused_qk_rmsnorm_group_quant_kernelIDF16_DB8_Li64ELi8ELi16ELb0ELb1ELb1ELb0ELb0ELb0EEEvPT0_PvPT_S6_S6_PKS5_S8_S8_S8_S8_ffiiiiiiiiiiiii, .Lfunc_end129-_ZN5aiter35fused_qk_rmsnorm_group_quant_kernelIDF16_DB8_Li64ELi8ELi16ELb0ELb1ELb1ELb0ELb0ELb0EEEvPT0_PvPT_S6_S6_PKS5_S8_S8_S8_S8_ffiiiiiiiiiiiii
                                        ; -- End function
	.section	.AMDGPU.csdata,"",@progbits
; Kernel info:
; codeLenInByte = 2576
; NumSgprs: 36
; NumVgprs: 23
; NumAgprs: 0
; TotalNumVgprs: 23
; ScratchSize: 0
; MemoryBound: 0
; FloatMode: 240
; IeeeMode: 1
; LDSByteSize: 0 bytes/workgroup (compile time only)
; SGPRBlocks: 4
; VGPRBlocks: 2
; NumSGPRsForWavesPerEU: 36
; NumVGPRsForWavesPerEU: 23
; AccumOffset: 24
; Occupancy: 8
; WaveLimiterHint : 0
; COMPUTE_PGM_RSRC2:SCRATCH_EN: 0
; COMPUTE_PGM_RSRC2:USER_SGPR: 6
; COMPUTE_PGM_RSRC2:TRAP_HANDLER: 0
; COMPUTE_PGM_RSRC2:TGID_X_EN: 1
; COMPUTE_PGM_RSRC2:TGID_Y_EN: 1
; COMPUTE_PGM_RSRC2:TGID_Z_EN: 0
; COMPUTE_PGM_RSRC2:TIDIG_COMP_CNT: 0
; COMPUTE_PGM_RSRC3_GFX90A:ACCUM_OFFSET: 5
; COMPUTE_PGM_RSRC3_GFX90A:TG_SPLIT: 0
	.section	.text._ZN5aiter35fused_qk_rmsnorm_group_quant_kernelItDB8_Li64ELi8ELi16ELb0ELb1ELb1ELb0ELb0ELb0EEEvPT0_PvPT_S6_S6_PKS5_S8_S8_S8_S8_ffiiiiiiiiiiiii,"axG",@progbits,_ZN5aiter35fused_qk_rmsnorm_group_quant_kernelItDB8_Li64ELi8ELi16ELb0ELb1ELb1ELb0ELb0ELb0EEEvPT0_PvPT_S6_S6_PKS5_S8_S8_S8_S8_ffiiiiiiiiiiiii,comdat
	.protected	_ZN5aiter35fused_qk_rmsnorm_group_quant_kernelItDB8_Li64ELi8ELi16ELb0ELb1ELb1ELb0ELb0ELb0EEEvPT0_PvPT_S6_S6_PKS5_S8_S8_S8_S8_ffiiiiiiiiiiiii ; -- Begin function _ZN5aiter35fused_qk_rmsnorm_group_quant_kernelItDB8_Li64ELi8ELi16ELb0ELb1ELb1ELb0ELb0ELb0EEEvPT0_PvPT_S6_S6_PKS5_S8_S8_S8_S8_ffiiiiiiiiiiiii
	.globl	_ZN5aiter35fused_qk_rmsnorm_group_quant_kernelItDB8_Li64ELi8ELi16ELb0ELb1ELb1ELb0ELb0ELb0EEEvPT0_PvPT_S6_S6_PKS5_S8_S8_S8_S8_ffiiiiiiiiiiiii
	.p2align	8
	.type	_ZN5aiter35fused_qk_rmsnorm_group_quant_kernelItDB8_Li64ELi8ELi16ELb0ELb1ELb1ELb0ELb0ELb0EEEvPT0_PvPT_S6_S6_PKS5_S8_S8_S8_S8_ffiiiiiiiiiiiii,@function
_ZN5aiter35fused_qk_rmsnorm_group_quant_kernelItDB8_Li64ELi8ELi16ELb0ELb1ELb1ELb0ELb0ELb0EEEvPT0_PvPT_S6_S6_PKS5_S8_S8_S8_S8_ffiiiiiiiiiiiii: ; @_ZN5aiter35fused_qk_rmsnorm_group_quant_kernelItDB8_Li64ELi8ELi16ELb0ELb1ELb1ELb0ELb0ELb0EEEvPT0_PvPT_S6_S6_PKS5_S8_S8_S8_S8_ffiiiiiiiiiiiii
; %bb.0:
	s_load_dwordx4 s[12:15], s[4:5], 0x50
	s_waitcnt lgkmcnt(0)
	s_cmp_ge_i32 s6, s14
	s_cbranch_scc1 .LBB130_8
; %bb.1:
	s_load_dwordx2 s[8:9], s[4:5], 0x48
	s_load_dwordx2 s[30:31], s[4:5], 0x30
	s_load_dwordx4 s[16:19], s[4:5], 0x60
	s_cmp_lg_u32 s7, 0
	s_cselect_b64 s[2:3], -1, 0
	s_cmp_eq_u32 s7, 0
	s_cselect_b64 vcc, -1, 0
	s_and_b64 s[0:1], vcc, exec
	s_waitcnt lgkmcnt(0)
	s_cselect_b32 s7, s15, s16
	s_add_i32 s0, s7, 1
	s_lshr_b32 s1, s0, 31
	s_add_i32 s0, s0, s1
	s_lshl_b32 s0, s0, 1
	v_lshlrev_b32_e32 v1, 3, v0
	s_and_b32 s22, s0, -4
	v_cmp_gt_i32_e64 s[0:1], s7, v1
	v_mov_b32_e32 v2, 0
	v_mov_b32_e32 v3, 0
	;; [unrolled: 1-line block ×8, first 2 shown]
	s_and_saveexec_b64 s[10:11], s[0:1]
	s_cbranch_execz .LBB130_3
; %bb.2:
	s_load_dwordx2 s[20:21], s[4:5], 0x28
	s_load_dwordx2 s[26:27], s[4:5], 0x40
	s_and_b64 s[24:25], vcc, exec
	s_cselect_b32 s14, s17, s18
	s_mov_b32 s23, 0x20000
	s_waitcnt lgkmcnt(0)
	s_cselect_b32 s17, s21, s31
	s_cselect_b32 s19, s20, s30
	s_mul_hi_i32 s21, s14, s6
	s_mul_i32 s20, s14, s6
	s_lshl_b64 s[20:21], s[20:21], 1
	s_add_u32 s24, s19, s20
	s_addc_u32 s14, s17, s21
	s_and_b64 s[20:21], vcc, exec
	s_cselect_b32 s20, s26, s8
	s_cselect_b32 s17, s27, s9
	v_lshlrev_b32_e32 v10, 4, v0
	s_and_b32 s25, s14, 0xffff
	s_mov_b32 s26, s22
	s_mov_b32 s27, s23
	s_and_b32 s21, s17, 0xffff
	buffer_load_dwordx4 v[6:9], v10, s[24:27], 0 offen glc slc
	buffer_load_dwordx4 v[2:5], v10, s[20:23], 0 offen
.LBB130_3:
	s_or_b64 exec, exec, s[10:11]
	s_waitcnt vmcnt(1)
	v_cvt_f32_u32_sdwa v13, v6 dst_sel:DWORD dst_unused:UNUSED_PAD src0_sel:WORD_1
	v_cvt_f32_u32_sdwa v12, v6 dst_sel:DWORD dst_unused:UNUSED_PAD src0_sel:WORD_0
	v_cvt_f32_u32_sdwa v6, v9 dst_sel:DWORD dst_unused:UNUSED_PAD src0_sel:WORD_1
	v_cvt_f32_u32_sdwa v9, v9 dst_sel:DWORD dst_unused:UNUSED_PAD src0_sel:WORD_0
	;; [unrolled: 2-line block ×4, first 2 shown]
	v_cndmask_b32_e64 v13, 0, v13, s[0:1]
	v_cndmask_b32_e64 v7, 0, v6, s[0:1]
	;; [unrolled: 1-line block ×5, first 2 shown]
	v_mul_f32_e32 v14, v13, v13
	v_cndmask_b32_e64 v10, 0, v10, s[0:1]
	v_fmac_f32_e32 v14, v12, v12
	v_cndmask_b32_e64 v11, 0, v11, s[0:1]
	v_fmac_f32_e32 v14, v10, v10
	;; [unrolled: 2-line block ×3, first 2 shown]
	v_fmac_f32_e32 v14, v8, v8
	v_fmac_f32_e32 v14, v9, v9
	;; [unrolled: 1-line block ×4, first 2 shown]
	v_bfrev_b32_e32 v16, 0.5
	s_load_dwordx2 s[28:29], s[4:5], 0x18
	v_mov_b32_dpp v15, v14 quad_perm:[1,0,3,2] row_mask:0xf bank_mask:0xf
	v_add_f32_e32 v14, v14, v15
	s_nop 1
	v_mov_b32_dpp v15, v14 quad_perm:[2,3,0,1] row_mask:0xf bank_mask:0xf
	v_add_f32_e32 v14, v14, v15
	s_nop 1
	v_mov_b32_dpp v15, v14 row_half_mirror row_mask:0xf bank_mask:0xf
	v_add_f32_e32 v14, v14, v15
	s_nop 1
	v_mov_b32_dpp v15, v14 row_mirror row_mask:0xf bank_mask:0xf
	v_add_f32_e32 v14, v14, v15
	s_nop 1
	v_mov_b32_dpp v15, v14 row_bcast:15 row_mask:0xf bank_mask:0xf
	v_add_f32_e32 v14, v14, v15
	s_nop 1
	v_mov_b32_dpp v15, v14 row_bcast:31 row_mask:0xf bank_mask:0xf
	v_add_f32_e32 v15, v14, v15
	v_mbcnt_lo_u32_b32 v14, -1, 0
	v_mbcnt_hi_u32_b32 v14, -1, v14
	v_lshl_or_b32 v14, v14, 2, v16
	ds_bpermute_b32 v15, v14, v15
	s_and_saveexec_b64 s[10:11], s[0:1]
	s_cbranch_execz .LBB130_5
; %bb.4:
	v_cvt_f32_u32_e32 v16, s7
	v_mov_b32_e32 v17, s13
	v_mov_b32_e32 v18, s12
	v_cndmask_b32_e32 v17, v17, v18, vcc
	s_waitcnt lgkmcnt(0)
	v_div_scale_f32 v19, s[20:21], v16, v16, v15
	v_rcp_f32_e32 v20, v19
	v_div_scale_f32 v18, vcc, v15, v16, v15
	s_mov_b32 s7, 0x800000
	v_fma_f32 v21, -v19, v20, 1.0
	v_fmac_f32_e32 v20, v21, v20
	v_mul_f32_e32 v21, v18, v20
	v_fma_f32 v22, -v19, v21, v18
	v_fmac_f32_e32 v21, v22, v20
	v_fma_f32 v18, -v19, v21, v18
	v_div_fmas_f32 v18, v18, v20, v21
	v_div_fixup_f32 v15, v18, v16, v15
	v_add_f32_e32 v15, v17, v15
	v_mul_f32_e32 v16, 0x4b800000, v15
	v_cmp_gt_f32_e32 vcc, s7, v15
	v_cndmask_b32_e32 v15, v15, v16, vcc
	v_rsq_f32_e32 v15, v15
	s_waitcnt vmcnt(0)
	v_cvt_f32_u32_sdwa v19, v2 dst_sel:DWORD dst_unused:UNUSED_PAD src0_sel:WORD_1
	v_cvt_f32_u32_sdwa v18, v2 dst_sel:DWORD dst_unused:UNUSED_PAD src0_sel:WORD_0
	v_cvt_f32_u32_sdwa v21, v3 dst_sel:DWORD dst_unused:UNUSED_PAD src0_sel:WORD_1
	v_mul_f32_e32 v16, 0x45800000, v15
	v_cndmask_b32_e32 v16, v15, v16, vcc
	v_mov_b32_e32 v17, v16
	;;#ASMSTART
	v_pk_mul_f32 v[12:13], v[12:13], v[16:17]
	;;#ASMEND
	;;#ASMSTART
	v_pk_mul_f32 v[10:11], v[10:11], v[16:17]
	;;#ASMEND
	;; [unrolled: 3-line block ×3, first 2 shown]
	v_cvt_f32_u32_sdwa v20, v3 dst_sel:DWORD dst_unused:UNUSED_PAD src0_sel:WORD_0
	;;#ASMSTART
	v_pk_mul_f32 v[2:3], v[6:7], v[16:17]
	;;#ASMEND
	v_cvt_f32_u32_sdwa v17, v4 dst_sel:DWORD dst_unused:UNUSED_PAD src0_sel:WORD_1
	v_cvt_f32_u32_sdwa v16, v4 dst_sel:DWORD dst_unused:UNUSED_PAD src0_sel:WORD_0
	v_pk_add_f32 v[6:7], v[18:19], 1.0 op_sel_hi:[1,0]
	v_cvt_f32_u32_sdwa v19, v5 dst_sel:DWORD dst_unused:UNUSED_PAD src0_sel:WORD_1
	v_cvt_f32_u32_sdwa v18, v5 dst_sel:DWORD dst_unused:UNUSED_PAD src0_sel:WORD_0
	;;#ASMSTART
	v_pk_mul_f32 v[12:13], v[12:13], v[6:7]
	;;#ASMEND
	v_pk_add_f32 v[6:7], v[20:21], 1.0 op_sel_hi:[1,0]
	v_pk_add_f32 v[4:5], v[16:17], 1.0 op_sel_hi:[1,0]
	;;#ASMSTART
	v_pk_mul_f32 v[10:11], v[10:11], v[6:7]
	;;#ASMEND
	;;#ASMSTART
	v_pk_mul_f32 v[8:9], v[8:9], v[4:5]
	;;#ASMEND
	v_pk_add_f32 v[4:5], v[18:19], 1.0 op_sel_hi:[1,0]
	;;#ASMSTART
	v_pk_mul_f32 v[6:7], v[2:3], v[4:5]
	;;#ASMEND
.LBB130_5:
	s_or_b64 exec, exec, s[10:11]
	s_load_dword s7, s[4:5], 0x80
	s_mov_b64 s[10:11], -1
	s_and_b64 vcc, exec, s[2:3]
	s_cbranch_vccnz .LBB130_9
; %bb.6:
	s_andn2_b64 vcc, exec, s[10:11]
	s_cbranch_vccz .LBB130_12
.LBB130_7:
	s_cmp_lt_i32 s16, 1
	s_cbranch_scc0 .LBB130_21
.LBB130_8:
	s_endpgm
.LBB130_9:
	s_and_saveexec_b64 s[2:3], s[0:1]
	s_cbranch_execz .LBB130_11
; %bb.10:
	s_waitcnt lgkmcnt(0)
	s_mul_hi_i32 s11, s7, s6
	s_mul_i32 s10, s7, s6
	s_lshl_b64 s[10:11], s[10:11], 1
	s_add_u32 s20, s28, s10
	s_addc_u32 s10, s29, s11
	s_and_b32 s21, s10, 0xffff
	s_mov_b32 s10, 0x7060302
	s_mov_b32 s23, 0x20000
	s_waitcnt vmcnt(0)
	v_perm_b32 v2, v13, v12, s10
	v_perm_b32 v3, v11, v10, s10
	;; [unrolled: 1-line block ×4, first 2 shown]
	v_lshlrev_b32_e32 v15, 4, v0
	buffer_store_dwordx4 v[2:5], v15, s[20:23], 0 offen
	;;#ASMSTART
	s_nop 0
	;;#ASMEND
.LBB130_11:
	s_or_b64 exec, exec, s[2:3]
	s_cbranch_execnz .LBB130_7
.LBB130_12:
	s_load_dwordx4 s[24:27], s[4:5], 0x70
	s_waitcnt vmcnt(0)
	v_mov_b32_e32 v2, 0
	s_and_saveexec_b64 s[2:3], s[0:1]
	s_cbranch_execz .LBB130_14
; %bb.13:
	s_load_dwordx2 s[10:11], s[4:5], 0x10
	s_waitcnt lgkmcnt(0)
	s_mul_hi_i32 s21, s27, s6
	s_mul_i32 s20, s27, s6
	s_lshl_b64 s[20:21], s[20:21], 1
	s_mov_b32 s23, 0x20000
	s_add_u32 s20, s10, s20
	s_addc_u32 s10, s11, s21
	s_and_b32 s21, s10, 0xffff
	s_mov_b32 s10, 0x7060302
	v_perm_b32 v2, v13, v12, s10
	v_perm_b32 v3, v11, v10, s10
	;; [unrolled: 1-line block ×4, first 2 shown]
	v_lshlrev_b32_e32 v15, 4, v0
	buffer_store_dwordx4 v[2:5], v15, s[20:23], 0 offen
	;;#ASMSTART
	s_nop 0
	;;#ASMEND
	s_nop 0
	v_mov_b32_e32 v2, 0x2edbe6ff
.LBB130_14:
	s_or_b64 exec, exec, s[2:3]
	s_and_saveexec_b64 s[2:3], s[0:1]
	s_cbranch_execz .LBB130_16
; %bb.15:
	v_and_b32_e32 v3, 0x7fffffff, v12
	v_and_b32_e32 v4, 0x7fffffff, v13
	;;#ASMSTART
	v_max3_f32 v2, v2, v3, v4

	;;#ASMEND
	v_and_b32_e32 v3, 0x7fffffff, v10
	v_and_b32_e32 v4, 0x7fffffff, v11
	;;#ASMSTART
	v_max3_f32 v2, v2, v3, v4

	;;#ASMEND
	;; [unrolled: 6-line block ×4, first 2 shown]
.LBB130_16:
	s_or_b64 exec, exec, s[2:3]
	;;#ASMSTART
	v_max_f32 v3, v2, v2 quad_perm:[1,0,3,2] row_mask:0xf bank_mask:0xf bound_ctrl:1
	;;#ASMEND
	;;#ASMSTART
	v_max_f32 v2, v3, v3 quad_perm:[2,3,0,1] row_mask:0xf bank_mask:0xf bound_ctrl:1
	;;#ASMEND
	;;#ASMSTART
	v_max_f32 v3, v2, v2 row_half_mirror row_mask:0xf bank_mask:0xf bound_ctrl:1
	;;#ASMEND
	;;#ASMSTART
	v_max_f32 v2, v3, v3 row_mirror row_mask:0xf bank_mask:0xf bound_ctrl:1
	;;#ASMEND
	v_and_b32_e32 v3, 15, v0
	v_cmp_eq_u32_e32 vcc, 0, v3
	v_cmp_gt_i32_e64 s[2:3], s15, v1
	v_mul_f32_e32 v2, 0x3b124925, v2
	s_and_b64 s[10:11], vcc, s[2:3]
	s_and_saveexec_b64 s[2:3], s[10:11]
	s_cbranch_execz .LBB130_18
; %bb.17:
	s_load_dwordx2 s[10:11], s[4:5], 0x8
	s_waitcnt lgkmcnt(0)
	s_mul_hi_i32 s21, s25, s6
	s_mul_i32 s20, s25, s6
	v_lshrrev_b32_e32 v3, 4, v0
	s_lshl_b64 s[20:21], s[20:21], 2
	v_mad_i64_i32 v[4:5], s[22:23], s26, v3, 0
	s_add_u32 s10, s10, s20
	s_addc_u32 s11, s11, s21
	v_lshlrev_b64 v[4:5], 2, v[4:5]
	v_mov_b32_e32 v3, s11
	v_add_co_u32_e32 v4, vcc, s10, v4
	v_addc_co_u32_e32 v5, vcc, v3, v5, vcc
	global_store_dword v[4:5], v2, off
.LBB130_18:
	s_or_b64 exec, exec, s[2:3]
	;;#ASMSTART
	v_rcp_f32 v2, v2
	;;#ASMEND
	s_and_saveexec_b64 s[10:11], s[0:1]
	s_cbranch_execz .LBB130_20
; %bb.19:
	v_mov_b32_e32 v3, v2
	;;#ASMSTART
	v_pk_mul_f32 v[4:5], v[12:13], v[2:3]
	;;#ASMEND
	s_load_dwordx2 s[0:1], s[4:5], 0x0
	v_mov_b32_e32 v12, 0xc3e00000
	v_mov_b32_e32 v13, 0x43e00000
	s_waitcnt lgkmcnt(0)
	;;#ASMSTART
	v_med3_f32 v4, v4, v12, v13
v_med3_f32 v5, v5, v12, v13
v_cvt_pk_fp8_f32 v15, v4, v5
	;;#ASMEND
	;;#ASMSTART
	v_pk_mul_f32 v[4:5], v[10:11], v[2:3]
	;;#ASMEND
	;;#ASMSTART
	v_med3_f32 v4, v4, v12, v13
v_med3_f32 v5, v5, v12, v13
v_cvt_pk_fp8_f32 v10, v4, v5
	;;#ASMEND
	s_mov_b32 s14, 0x5040100
	v_perm_b32 v5, v10, v15, s14
	s_movk_i32 s14, 0xff
	s_mul_i32 s3, s24, s6
	v_and_b32_e32 v4, 0xffffff00, v10
	v_and_b32_sdwa v10, v5, s14 dst_sel:DWORD dst_unused:UNUSED_PAD src0_sel:WORD_1 src1_sel:DWORD
	s_mul_hi_i32 s2, s24, s6
	s_mov_b32 s12, 0xffff
	s_add_u32 s0, s0, s3
	v_or_b32_sdwa v4, v10, v4 dst_sel:WORD_1 dst_unused:UNUSED_PAD src0_sel:DWORD src1_sel:DWORD
	s_addc_u32 s1, s1, s2
	s_add_i32 s2, s15, 3
	v_and_or_b32 v4, v5, s12, v4
	;;#ASMSTART
	v_pk_mul_f32 v[8:9], v[8:9], v[2:3]
	;;#ASMEND
	v_mov_b32_e32 v5, v9
	s_ashr_i32 s3, s2, 31
	;;#ASMSTART
	v_med3_f32 v8, v8, v12, v13
v_med3_f32 v5, v5, v12, v13
v_cvt_pk_fp8_f32 v9, v8, v5
	;;#ASMEND
	;;#ASMSTART
	v_pk_mul_f32 v[2:3], v[6:7], v[2:3]
	;;#ASMEND
	s_lshr_b32 s3, s3, 30
	;;#ASMSTART
	v_med3_f32 v2, v2, v12, v13
v_med3_f32 v3, v3, v12, v13
v_cvt_pk_fp8_f32 v5, v2, v3
	;;#ASMEND
	s_add_i32 s2, s2, s3
	v_lshlrev_b32_e32 v2, 16, v5
	s_and_b32 s2, s2, -4
	s_and_b32 s1, s1, 0xffff
	s_mov_b32 s3, 0x20000
	v_and_or_b32 v5, v9, s12, v2
	buffer_store_dwordx2 v[4:5], v1, s[0:3], 0 offen
	;;#ASMSTART
	s_nop 0
	;;#ASMEND
.LBB130_20:
	s_or_b64 exec, exec, s[10:11]
	s_cmp_lt_i32 s16, 1
	s_cbranch_scc1 .LBB130_8
.LBB130_21:
	s_load_dword s0, s[4:5], 0x94
	s_waitcnt lgkmcnt(0)
	s_cmp_lg_u32 s0, 1
	s_cbranch_scc1 .LBB130_8
; %bb.22:
	s_lshl_b32 s0, s16, 1
	s_add_i32 s0, s0, 2
	v_cmp_gt_u32_e32 vcc, s16, v1
	s_and_b32 s10, s0, -4
	s_waitcnt vmcnt(0)
	v_mov_b32_e32 v4, 0
	v_lshlrev_b32_e32 v12, 4, v0
	v_mov_b32_e32 v5, 0
	v_mov_b32_e32 v6, 0
	;; [unrolled: 1-line block ×7, first 2 shown]
	s_barrier
	s_and_saveexec_b64 s[0:1], vcc
	s_cbranch_execz .LBB130_24
; %bb.23:
	s_mul_hi_i32 s3, s18, s6
	s_mul_i32 s2, s18, s6
	s_and_b32 s9, s9, 0xffff
	s_lshl_b64 s[2:3], s[2:3], 1
	s_add_u32 s20, s30, s2
	s_mov_b32 s11, 0x20000
	s_addc_u32 s2, s31, s3
	s_and_b32 s21, s2, 0xffff
	s_mov_b32 s22, s10
	s_mov_b32 s23, s11
	buffer_load_dwordx4 v[4:7], v12, s[20:23], 0 offen glc slc
	buffer_load_dwordx4 v[0:3], v12, s[8:11], 0 offen
.LBB130_24:
	s_or_b64 exec, exec, s[0:1]
	s_waitcnt vmcnt(1)
	v_cvt_f32_u32_sdwa v11, v4 dst_sel:DWORD dst_unused:UNUSED_PAD src0_sel:WORD_1
	v_cvt_f32_u32_sdwa v10, v4 dst_sel:DWORD dst_unused:UNUSED_PAD src0_sel:WORD_0
	v_cvt_f32_u32_sdwa v4, v7 dst_sel:DWORD dst_unused:UNUSED_PAD src0_sel:WORD_1
	v_cvt_f32_u32_sdwa v7, v7 dst_sel:DWORD dst_unused:UNUSED_PAD src0_sel:WORD_0
	;; [unrolled: 2-line block ×4, first 2 shown]
	v_cndmask_b32_e32 v11, 0, v11, vcc
	v_cndmask_b32_e32 v5, 0, v4, vcc
	;; [unrolled: 1-line block ×5, first 2 shown]
	v_mul_f32_e32 v13, v11, v11
	v_cndmask_b32_e32 v8, 0, v8, vcc
	v_fmac_f32_e32 v13, v10, v10
	v_cndmask_b32_e32 v9, 0, v9, vcc
	v_fmac_f32_e32 v13, v8, v8
	;; [unrolled: 2-line block ×3, first 2 shown]
	v_fmac_f32_e32 v13, v6, v6
	v_fmac_f32_e32 v13, v7, v7
	;; [unrolled: 1-line block ×4, first 2 shown]
	s_nop 1
	v_mov_b32_dpp v15, v13 quad_perm:[1,0,3,2] row_mask:0xf bank_mask:0xf
	v_add_f32_e32 v13, v13, v15
	s_nop 1
	v_mov_b32_dpp v15, v13 quad_perm:[2,3,0,1] row_mask:0xf bank_mask:0xf
	v_add_f32_e32 v13, v13, v15
	s_nop 1
	v_mov_b32_dpp v15, v13 row_half_mirror row_mask:0xf bank_mask:0xf
	v_add_f32_e32 v13, v13, v15
	s_nop 1
	v_mov_b32_dpp v15, v13 row_mirror row_mask:0xf bank_mask:0xf
	v_add_f32_e32 v13, v13, v15
	s_nop 1
	v_mov_b32_dpp v15, v13 row_bcast:15 row_mask:0xf bank_mask:0xf
	v_add_f32_e32 v13, v13, v15
	s_nop 1
	v_mov_b32_dpp v15, v13 row_bcast:31 row_mask:0xf bank_mask:0xf
	v_add_f32_e32 v13, v13, v15
	ds_bpermute_b32 v13, v14, v13
	s_and_saveexec_b64 s[0:1], vcc
	s_cbranch_execz .LBB130_8
; %bb.25:
	v_cvt_f32_u32_e32 v14, s16
	s_mov_b32 s11, 0x20000
	s_waitcnt lgkmcnt(0)
	v_div_scale_f32 v15, s[0:1], v14, v14, v13
	v_rcp_f32_e32 v16, v15
	v_div_scale_f32 v17, vcc, v13, v14, v13
	s_mov_b32 s0, 0x800000
	v_fma_f32 v18, -v15, v16, 1.0
	v_fmac_f32_e32 v16, v18, v16
	v_mul_f32_e32 v18, v17, v16
	v_fma_f32 v19, -v15, v18, v17
	v_fmac_f32_e32 v18, v19, v16
	v_fma_f32 v15, -v15, v18, v17
	v_div_fmas_f32 v15, v15, v16, v18
	v_div_fixup_f32 v13, v15, v14, v13
	v_add_f32_e32 v13, s13, v13
	v_mul_f32_e32 v14, 0x4b800000, v13
	v_cmp_gt_f32_e32 vcc, s0, v13
	v_cndmask_b32_e32 v13, v13, v14, vcc
	v_rsq_f32_e32 v13, v13
	s_waitcnt vmcnt(0)
	v_cvt_f32_u32_sdwa v15, v0 dst_sel:DWORD dst_unused:UNUSED_PAD src0_sel:WORD_1
	v_cvt_f32_u32_sdwa v19, v1 dst_sel:DWORD dst_unused:UNUSED_PAD src0_sel:WORD_1
	v_cvt_f32_u32_sdwa v18, v1 dst_sel:DWORD dst_unused:UNUSED_PAD src0_sel:WORD_0
	v_mul_f32_e32 v14, 0x45800000, v13
	v_cndmask_b32_e32 v16, v13, v14, vcc
	v_cvt_f32_u32_sdwa v14, v0 dst_sel:DWORD dst_unused:UNUSED_PAD src0_sel:WORD_0
	v_mov_b32_e32 v17, v16
	;;#ASMSTART
	v_pk_mul_f32 v[10:11], v[10:11], v[16:17]
	;;#ASMEND
	;;#ASMSTART
	v_pk_mul_f32 v[8:9], v[8:9], v[16:17]
	;;#ASMEND
	;; [unrolled: 3-line block ×4, first 2 shown]
	v_pk_add_f32 v[4:5], v[14:15], 1.0 op_sel_hi:[1,0]
	v_cvt_f32_u32_sdwa v15, v2 dst_sel:DWORD dst_unused:UNUSED_PAD src0_sel:WORD_1
	v_cvt_f32_u32_sdwa v14, v2 dst_sel:DWORD dst_unused:UNUSED_PAD src0_sel:WORD_0
	v_cvt_f32_u32_sdwa v17, v3 dst_sel:DWORD dst_unused:UNUSED_PAD src0_sel:WORD_1
	v_cvt_f32_u32_sdwa v16, v3 dst_sel:DWORD dst_unused:UNUSED_PAD src0_sel:WORD_0
	s_mul_hi_i32 s1, s7, s6
	s_mul_i32 s0, s7, s6
	s_lshl_b64 s[0:1], s[0:1], 1
	s_add_u32 s8, s28, s0
	;;#ASMSTART
	v_pk_mul_f32 v[4:5], v[10:11], v[4:5]
	;;#ASMEND
	v_pk_add_f32 v[10:11], v[18:19], 1.0 op_sel_hi:[1,0]
	;;#ASMSTART
	v_pk_mul_f32 v[2:3], v[8:9], v[10:11]
	;;#ASMEND
	v_pk_add_f32 v[8:9], v[14:15], 1.0 op_sel_hi:[1,0]
	s_addc_u32 s0, s29, s1
	;;#ASMSTART
	v_pk_mul_f32 v[6:7], v[6:7], v[8:9]
	;;#ASMEND
	v_pk_add_f32 v[8:9], v[16:17], 1.0 op_sel_hi:[1,0]
	s_and_b32 s9, s0, 0xffff
	s_mov_b32 s0, 0x7060302
	;;#ASMSTART
	v_pk_mul_f32 v[8:9], v[0:1], v[8:9]
	;;#ASMEND
	v_perm_b32 v0, v5, v4, s0
	v_perm_b32 v1, v3, v2, s0
	;; [unrolled: 1-line block ×4, first 2 shown]
	buffer_store_dwordx4 v[0:3], v12, s[8:11], 0 offen
	;;#ASMSTART
	s_nop 0
	;;#ASMEND
	s_endpgm
	.section	.rodata,"a",@progbits
	.p2align	6, 0x0
	.amdhsa_kernel _ZN5aiter35fused_qk_rmsnorm_group_quant_kernelItDB8_Li64ELi8ELi16ELb0ELb1ELb1ELb0ELb0ELb0EEEvPT0_PvPT_S6_S6_PKS5_S8_S8_S8_S8_ffiiiiiiiiiiiii
		.amdhsa_group_segment_fixed_size 0
		.amdhsa_private_segment_fixed_size 0
		.amdhsa_kernarg_size 400
		.amdhsa_user_sgpr_count 6
		.amdhsa_user_sgpr_private_segment_buffer 1
		.amdhsa_user_sgpr_dispatch_ptr 0
		.amdhsa_user_sgpr_queue_ptr 0
		.amdhsa_user_sgpr_kernarg_segment_ptr 1
		.amdhsa_user_sgpr_dispatch_id 0
		.amdhsa_user_sgpr_flat_scratch_init 0
		.amdhsa_user_sgpr_kernarg_preload_length 0
		.amdhsa_user_sgpr_kernarg_preload_offset 0
		.amdhsa_user_sgpr_private_segment_size 0
		.amdhsa_uses_dynamic_stack 0
		.amdhsa_system_sgpr_private_segment_wavefront_offset 0
		.amdhsa_system_sgpr_workgroup_id_x 1
		.amdhsa_system_sgpr_workgroup_id_y 1
		.amdhsa_system_sgpr_workgroup_id_z 0
		.amdhsa_system_sgpr_workgroup_info 0
		.amdhsa_system_vgpr_workitem_id 0
		.amdhsa_next_free_vgpr 23
		.amdhsa_next_free_sgpr 32
		.amdhsa_accum_offset 24
		.amdhsa_reserve_vcc 1
		.amdhsa_reserve_flat_scratch 0
		.amdhsa_float_round_mode_32 0
		.amdhsa_float_round_mode_16_64 0
		.amdhsa_float_denorm_mode_32 3
		.amdhsa_float_denorm_mode_16_64 3
		.amdhsa_dx10_clamp 1
		.amdhsa_ieee_mode 1
		.amdhsa_fp16_overflow 0
		.amdhsa_tg_split 0
		.amdhsa_exception_fp_ieee_invalid_op 0
		.amdhsa_exception_fp_denorm_src 0
		.amdhsa_exception_fp_ieee_div_zero 0
		.amdhsa_exception_fp_ieee_overflow 0
		.amdhsa_exception_fp_ieee_underflow 0
		.amdhsa_exception_fp_ieee_inexact 0
		.amdhsa_exception_int_div_zero 0
	.end_amdhsa_kernel
	.section	.text._ZN5aiter35fused_qk_rmsnorm_group_quant_kernelItDB8_Li64ELi8ELi16ELb0ELb1ELb1ELb0ELb0ELb0EEEvPT0_PvPT_S6_S6_PKS5_S8_S8_S8_S8_ffiiiiiiiiiiiii,"axG",@progbits,_ZN5aiter35fused_qk_rmsnorm_group_quant_kernelItDB8_Li64ELi8ELi16ELb0ELb1ELb1ELb0ELb0ELb0EEEvPT0_PvPT_S6_S6_PKS5_S8_S8_S8_S8_ffiiiiiiiiiiiii,comdat
.Lfunc_end130:
	.size	_ZN5aiter35fused_qk_rmsnorm_group_quant_kernelItDB8_Li64ELi8ELi16ELb0ELb1ELb1ELb0ELb0ELb0EEEvPT0_PvPT_S6_S6_PKS5_S8_S8_S8_S8_ffiiiiiiiiiiiii, .Lfunc_end130-_ZN5aiter35fused_qk_rmsnorm_group_quant_kernelItDB8_Li64ELi8ELi16ELb0ELb1ELb1ELb0ELb0ELb0EEEvPT0_PvPT_S6_S6_PKS5_S8_S8_S8_S8_ffiiiiiiiiiiiii
                                        ; -- End function
	.section	.AMDGPU.csdata,"",@progbits
; Kernel info:
; codeLenInByte = 2568
; NumSgprs: 36
; NumVgprs: 23
; NumAgprs: 0
; TotalNumVgprs: 23
; ScratchSize: 0
; MemoryBound: 0
; FloatMode: 240
; IeeeMode: 1
; LDSByteSize: 0 bytes/workgroup (compile time only)
; SGPRBlocks: 4
; VGPRBlocks: 2
; NumSGPRsForWavesPerEU: 36
; NumVGPRsForWavesPerEU: 23
; AccumOffset: 24
; Occupancy: 8
; WaveLimiterHint : 0
; COMPUTE_PGM_RSRC2:SCRATCH_EN: 0
; COMPUTE_PGM_RSRC2:USER_SGPR: 6
; COMPUTE_PGM_RSRC2:TRAP_HANDLER: 0
; COMPUTE_PGM_RSRC2:TGID_X_EN: 1
; COMPUTE_PGM_RSRC2:TGID_Y_EN: 1
; COMPUTE_PGM_RSRC2:TGID_Z_EN: 0
; COMPUTE_PGM_RSRC2:TIDIG_COMP_CNT: 0
; COMPUTE_PGM_RSRC3_GFX90A:ACCUM_OFFSET: 5
; COMPUTE_PGM_RSRC3_GFX90A:TG_SPLIT: 0
	.section	.text._ZN5aiter35fused_qk_rmsnorm_group_quant_kernelIDF16_N4opus5fp4_tELi64ELi8ELi16ELb0ELb1ELb1ELb0ELb0ELb0EEEvPT0_PvPT_S7_S7_PKS6_S9_S9_S9_S9_ffiiiiiiiiiiiii,"axG",@progbits,_ZN5aiter35fused_qk_rmsnorm_group_quant_kernelIDF16_N4opus5fp4_tELi64ELi8ELi16ELb0ELb1ELb1ELb0ELb0ELb0EEEvPT0_PvPT_S7_S7_PKS6_S9_S9_S9_S9_ffiiiiiiiiiiiii,comdat
	.protected	_ZN5aiter35fused_qk_rmsnorm_group_quant_kernelIDF16_N4opus5fp4_tELi64ELi8ELi16ELb0ELb1ELb1ELb0ELb0ELb0EEEvPT0_PvPT_S7_S7_PKS6_S9_S9_S9_S9_ffiiiiiiiiiiiii ; -- Begin function _ZN5aiter35fused_qk_rmsnorm_group_quant_kernelIDF16_N4opus5fp4_tELi64ELi8ELi16ELb0ELb1ELb1ELb0ELb0ELb0EEEvPT0_PvPT_S7_S7_PKS6_S9_S9_S9_S9_ffiiiiiiiiiiiii
	.globl	_ZN5aiter35fused_qk_rmsnorm_group_quant_kernelIDF16_N4opus5fp4_tELi64ELi8ELi16ELb0ELb1ELb1ELb0ELb0ELb0EEEvPT0_PvPT_S7_S7_PKS6_S9_S9_S9_S9_ffiiiiiiiiiiiii
	.p2align	8
	.type	_ZN5aiter35fused_qk_rmsnorm_group_quant_kernelIDF16_N4opus5fp4_tELi64ELi8ELi16ELb0ELb1ELb1ELb0ELb0ELb0EEEvPT0_PvPT_S7_S7_PKS6_S9_S9_S9_S9_ffiiiiiiiiiiiii,@function
_ZN5aiter35fused_qk_rmsnorm_group_quant_kernelIDF16_N4opus5fp4_tELi64ELi8ELi16ELb0ELb1ELb1ELb0ELb0ELb0EEEvPT0_PvPT_S7_S7_PKS6_S9_S9_S9_S9_ffiiiiiiiiiiiii: ; @_ZN5aiter35fused_qk_rmsnorm_group_quant_kernelIDF16_N4opus5fp4_tELi64ELi8ELi16ELb0ELb1ELb1ELb0ELb0ELb0EEEvPT0_PvPT_S7_S7_PKS6_S9_S9_S9_S9_ffiiiiiiiiiiiii
; %bb.0:
	s_load_dwordx4 s[12:15], s[4:5], 0x50
	s_waitcnt lgkmcnt(0)
	s_cmp_ge_i32 s6, s14
	s_cbranch_scc1 .LBB131_10
; %bb.1:
	s_load_dwordx2 s[8:9], s[4:5], 0x48
	s_load_dwordx2 s[30:31], s[4:5], 0x30
	s_load_dwordx4 s[16:19], s[4:5], 0x60
	s_cmp_lg_u32 s7, 0
	s_cselect_b64 s[2:3], -1, 0
	s_cmp_eq_u32 s7, 0
	s_cselect_b64 vcc, -1, 0
	s_and_b64 s[0:1], vcc, exec
	s_waitcnt lgkmcnt(0)
	s_cselect_b32 s7, s15, s16
	s_add_i32 s0, s7, 1
	s_lshr_b32 s1, s0, 31
	s_add_i32 s0, s0, s1
	s_lshl_b32 s0, s0, 1
	v_lshlrev_b32_e32 v1, 3, v0
	s_and_b32 s22, s0, -4
	v_cmp_gt_i32_e64 s[0:1], s7, v1
	v_mov_b32_e32 v10, 0
	v_mov_b32_e32 v2, 0
	;; [unrolled: 1-line block ×9, first 2 shown]
	s_and_saveexec_b64 s[10:11], s[0:1]
	s_cbranch_execz .LBB131_3
; %bb.2:
	s_load_dwordx2 s[20:21], s[4:5], 0x28
	s_load_dwordx2 s[26:27], s[4:5], 0x40
	s_and_b64 s[24:25], vcc, exec
	s_cselect_b32 s14, s17, s18
	s_mov_b32 s23, 0x20000
	s_waitcnt lgkmcnt(0)
	s_cselect_b32 s17, s21, s31
	s_cselect_b32 s19, s20, s30
	s_mul_hi_i32 s21, s14, s6
	s_mul_i32 s20, s14, s6
	s_lshl_b64 s[20:21], s[20:21], 1
	s_add_u32 s24, s19, s20
	s_addc_u32 s14, s17, s21
	s_and_b64 s[20:21], vcc, exec
	s_cselect_b32 s20, s26, s8
	s_cselect_b32 s17, s27, s9
	v_lshlrev_b32_e32 v11, 4, v0
	s_and_b32 s25, s14, 0xffff
	s_mov_b32 s26, s22
	s_mov_b32 s27, s23
	s_and_b32 s21, s17, 0xffff
	buffer_load_dwordx4 v[6:9], v11, s[24:27], 0 offen glc slc
	buffer_load_dwordx4 v[2:5], v11, s[20:23], 0 offen
.LBB131_3:
	s_or_b64 exec, exec, s[10:11]
	v_mov_b32_e32 v11, 0
	v_mov_b32_e32 v16, 0
	;; [unrolled: 1-line block ×7, first 2 shown]
	s_and_saveexec_b64 s[10:11], s[0:1]
	s_cbranch_execz .LBB131_5
; %bb.4:
	s_waitcnt vmcnt(1)
	v_cvt_f32_f16_sdwa v11, v6 dst_sel:DWORD dst_unused:UNUSED_PAD src0_sel:WORD_1
	v_cvt_f32_f16_e32 v10, v6
	v_cvt_f32_f16_sdwa v17, v7 dst_sel:DWORD dst_unused:UNUSED_PAD src0_sel:WORD_1
	v_cvt_f32_f16_e32 v16, v7
	;; [unrolled: 2-line block ×4, first 2 shown]
.LBB131_5:
	s_or_b64 exec, exec, s[10:11]
	s_waitcnt vmcnt(1)
	v_mul_f32_e32 v6, v11, v11
	v_fmac_f32_e32 v6, v10, v10
	v_fmac_f32_e32 v6, v16, v16
	;; [unrolled: 1-line block ×7, first 2 shown]
	v_bfrev_b32_e32 v8, 0.5
	s_load_dwordx2 s[28:29], s[4:5], 0x18
	v_mov_b32_dpp v7, v6 quad_perm:[1,0,3,2] row_mask:0xf bank_mask:0xf
	v_add_f32_e32 v6, v6, v7
	s_nop 1
	v_mov_b32_dpp v7, v6 quad_perm:[2,3,0,1] row_mask:0xf bank_mask:0xf
	v_add_f32_e32 v6, v6, v7
	s_nop 1
	v_mov_b32_dpp v7, v6 row_half_mirror row_mask:0xf bank_mask:0xf
	v_add_f32_e32 v6, v6, v7
	s_nop 1
	v_mov_b32_dpp v7, v6 row_mirror row_mask:0xf bank_mask:0xf
	v_add_f32_e32 v6, v6, v7
	s_nop 1
	v_mov_b32_dpp v7, v6 row_bcast:15 row_mask:0xf bank_mask:0xf
	v_add_f32_e32 v6, v6, v7
	s_nop 1
	v_mov_b32_dpp v7, v6 row_bcast:31 row_mask:0xf bank_mask:0xf
	v_add_f32_e32 v6, v6, v7
	v_mbcnt_lo_u32_b32 v7, -1, 0
	v_mbcnt_hi_u32_b32 v7, -1, v7
	v_lshl_or_b32 v18, v7, 2, v8
	ds_bpermute_b32 v6, v18, v6
	s_and_saveexec_b64 s[10:11], s[0:1]
	s_cbranch_execz .LBB131_7
; %bb.6:
	v_cvt_f32_u32_e32 v7, s7
	v_mov_b32_e32 v8, s13
	v_mov_b32_e32 v9, s12
	v_cndmask_b32_e32 v8, v8, v9, vcc
	s_waitcnt lgkmcnt(0)
	v_div_scale_f32 v19, s[20:21], v7, v7, v6
	v_rcp_f32_e32 v20, v19
	v_div_scale_f32 v9, vcc, v6, v7, v6
	s_mov_b32 s7, 0x800000
	v_fma_f32 v21, -v19, v20, 1.0
	v_fmac_f32_e32 v20, v21, v20
	v_mul_f32_e32 v21, v9, v20
	v_fma_f32 v22, -v19, v21, v9
	v_fmac_f32_e32 v21, v22, v20
	v_fma_f32 v9, -v19, v21, v9
	v_div_fmas_f32 v9, v9, v20, v21
	v_div_fixup_f32 v6, v9, v7, v6
	v_add_f32_e32 v6, v8, v6
	v_mul_f32_e32 v7, 0x4b800000, v6
	v_cmp_gt_f32_e32 vcc, s7, v6
	v_cndmask_b32_e32 v6, v6, v7, vcc
	v_rsq_f32_e32 v6, v6
	s_waitcnt vmcnt(0)
	v_cvt_f32_f16_sdwa v21, v3 dst_sel:DWORD dst_unused:UNUSED_PAD src0_sel:WORD_1
	v_cvt_f32_f16_e32 v20, v3
	v_mul_f32_e32 v7, 0x45800000, v6
	v_cndmask_b32_e32 v6, v6, v7, vcc
	v_mov_b32_e32 v7, v6
	;;#ASMSTART
	v_pk_mul_f32 v[8:9], v[10:11], v[6:7]
	;;#ASMEND
	v_cvt_f32_f16_sdwa v11, v2 dst_sel:DWORD dst_unused:UNUSED_PAD src0_sel:WORD_1
	v_cvt_f32_f16_e32 v10, v2
	;;#ASMSTART
	v_pk_mul_f32 v[16:17], v[16:17], v[6:7]
	;;#ASMEND
	;;#ASMSTART
	v_pk_mul_f32 v[14:15], v[14:15], v[6:7]
	;;#ASMEND
	;; [unrolled: 3-line block ×3, first 2 shown]
	v_pk_add_f32 v[6:7], v[10:11], 1.0 op_sel_hi:[1,0]
	;;#ASMSTART
	v_pk_mul_f32 v[10:11], v[8:9], v[6:7]
	;;#ASMEND
	v_cvt_f32_f16_sdwa v9, v4 dst_sel:DWORD dst_unused:UNUSED_PAD src0_sel:WORD_1
	v_cvt_f32_f16_e32 v8, v4
	v_cvt_f32_f16_sdwa v13, v5 dst_sel:DWORD dst_unused:UNUSED_PAD src0_sel:WORD_1
	v_cvt_f32_f16_e32 v12, v5
	v_pk_add_f32 v[6:7], v[20:21], 1.0 op_sel_hi:[1,0]
	v_pk_add_f32 v[4:5], v[8:9], 1.0 op_sel_hi:[1,0]
	;;#ASMSTART
	v_pk_mul_f32 v[16:17], v[16:17], v[6:7]
	;;#ASMEND
	;;#ASMSTART
	v_pk_mul_f32 v[14:15], v[14:15], v[4:5]
	;;#ASMEND
	v_pk_add_f32 v[4:5], v[12:13], 1.0 op_sel_hi:[1,0]
	;;#ASMSTART
	v_pk_mul_f32 v[12:13], v[2:3], v[4:5]
	;;#ASMEND
.LBB131_7:
	s_or_b64 exec, exec, s[10:11]
	s_load_dword s7, s[4:5], 0x80
	s_mov_b64 s[10:11], -1
	s_and_b64 vcc, exec, s[2:3]
	s_cbranch_vccnz .LBB131_11
; %bb.8:
	s_andn2_b64 vcc, exec, s[10:11]
	s_cbranch_vccz .LBB131_14
.LBB131_9:
	s_cmp_lt_i32 s16, 1
	s_cbranch_scc0 .LBB131_23
.LBB131_10:
	s_endpgm
.LBB131_11:
	s_and_saveexec_b64 s[2:3], s[0:1]
	s_cbranch_execz .LBB131_13
; %bb.12:
	s_waitcnt lgkmcnt(0)
	s_mul_hi_i32 s11, s7, s6
	s_mul_i32 s10, s7, s6
	s_waitcnt vmcnt(0)
	v_cvt_f16_f32_e32 v2, v10
	v_cvt_f16_f32_e32 v3, v16
	;; [unrolled: 1-line block ×8, first 2 shown]
	s_lshl_b64 s[10:11], s[10:11], 1
	s_add_u32 s20, s28, s10
	s_addc_u32 s10, s29, s11
	s_and_b32 s21, s10, 0xffff
	s_mov_b32 s23, 0x20000
	v_pack_b32_f16 v5, v5, v6
	v_pack_b32_f16 v4, v4, v7
	;; [unrolled: 1-line block ×4, first 2 shown]
	v_lshlrev_b32_e32 v6, 4, v0
	buffer_store_dwordx4 v[2:5], v6, s[20:23], 0 offen
	;;#ASMSTART
	s_nop 0
	;;#ASMEND
.LBB131_13:
	s_or_b64 exec, exec, s[2:3]
	s_cbranch_execnz .LBB131_9
.LBB131_14:
	s_load_dwordx4 s[24:27], s[4:5], 0x70
	s_waitcnt vmcnt(0)
	v_mov_b32_e32 v2, 0
	s_and_saveexec_b64 s[2:3], s[0:1]
	s_cbranch_execz .LBB131_16
; %bb.15:
	s_load_dwordx2 s[10:11], s[4:5], 0x10
	s_waitcnt lgkmcnt(0)
	s_mul_hi_i32 s21, s27, s6
	s_mul_i32 s20, s27, s6
	v_cvt_f16_f32_e32 v2, v10
	v_cvt_f16_f32_e32 v3, v16
	;; [unrolled: 1-line block ×8, first 2 shown]
	s_lshl_b64 s[20:21], s[20:21], 1
	s_add_u32 s20, s10, s20
	s_addc_u32 s10, s11, s21
	s_mov_b32 s23, 0x20000
	s_and_b32 s21, s10, 0xffff
	v_pack_b32_f16 v5, v5, v6
	v_pack_b32_f16 v4, v4, v7
	;; [unrolled: 1-line block ×4, first 2 shown]
	v_lshlrev_b32_e32 v6, 4, v0
	buffer_store_dwordx4 v[2:5], v6, s[20:23], 0 offen
	;;#ASMSTART
	s_nop 0
	;;#ASMEND
	s_nop 0
	v_mov_b32_e32 v2, 0x2edbe6ff
.LBB131_16:
	s_or_b64 exec, exec, s[2:3]
	s_and_saveexec_b64 s[2:3], s[0:1]
	s_cbranch_execz .LBB131_18
; %bb.17:
	v_and_b32_e32 v3, 0x7fffffff, v10
	v_and_b32_e32 v4, 0x7fffffff, v11
	;;#ASMSTART
	v_max3_f32 v2, v2, v3, v4

	;;#ASMEND
	v_and_b32_e32 v3, 0x7fffffff, v16
	v_and_b32_e32 v4, 0x7fffffff, v17
	;;#ASMSTART
	v_max3_f32 v2, v2, v3, v4

	;;#ASMEND
	v_and_b32_e32 v3, 0x7fffffff, v14
	v_and_b32_e32 v4, 0x7fffffff, v15
	;;#ASMSTART
	v_max3_f32 v2, v2, v3, v4

	;;#ASMEND
	v_and_b32_e32 v3, 0x7fffffff, v12
	v_and_b32_e32 v4, 0x7fffffff, v13
	;;#ASMSTART
	v_max3_f32 v2, v2, v3, v4

	;;#ASMEND
.LBB131_18:
	s_or_b64 exec, exec, s[2:3]
	;;#ASMSTART
	v_max_f32 v3, v2, v2 quad_perm:[1,0,3,2] row_mask:0xf bank_mask:0xf bound_ctrl:1
	;;#ASMEND
	;;#ASMSTART
	v_max_f32 v2, v3, v3 quad_perm:[2,3,0,1] row_mask:0xf bank_mask:0xf bound_ctrl:1
	;;#ASMEND
	;;#ASMSTART
	v_max_f32 v3, v2, v2 row_half_mirror row_mask:0xf bank_mask:0xf bound_ctrl:1
	;;#ASMEND
	;;#ASMSTART
	v_max_f32 v2, v3, v3 row_mirror row_mask:0xf bank_mask:0xf bound_ctrl:1
	;;#ASMEND
	v_and_b32_e32 v3, 15, v0
	v_cmp_eq_u32_e32 vcc, 0, v3
	v_cmp_gt_i32_e64 s[2:3], s15, v1
	s_and_b64 s[10:11], vcc, s[2:3]
	s_and_saveexec_b64 s[2:3], s[10:11]
	s_cbranch_execz .LBB131_20
; %bb.19:
	s_load_dwordx2 s[10:11], s[4:5], 0x8
	v_mul_f32_e32 v2, 0x3e2aaaab, v2
	v_lshrrev_b32_e32 v3, 23, v2
	v_and_b32_e32 v4, 0x7f800000, v2
	v_and_b32_e32 v2, 0x7fffff, v2
	v_cmp_ne_u32_e32 vcc, 0, v2
	s_waitcnt lgkmcnt(0)
	s_mul_i32 s17, s25, s6
	s_mov_b32 s12, 0x7f800000
	v_addc_co_u32_e32 v2, vcc, 0, v3, vcc
	s_mul_hi_i32 s14, s25, s6
	s_add_u32 s10, s10, s17
	v_cmp_ne_u32_e32 vcc, s12, v4
	s_addc_u32 s11, s11, s14
	v_lshrrev_b32_e32 v5, 4, v0
	v_cndmask_b32_e32 v4, -1, v2, vcc
	v_pk_mov_b32 v[2:3], s[10:11], s[10:11] op_sel:[0,1]
	v_mad_i64_i32 v[2:3], s[10:11], s26, v5, v[2:3]
	global_store_byte v[2:3], v4, off
.LBB131_20:
	s_or_b64 exec, exec, s[2:3]
	s_and_saveexec_b64 s[2:3], s[0:1]
	s_cbranch_execz .LBB131_22
; %bb.21:
	s_load_dwordx2 s[0:1], s[4:5], 0x0
	s_waitcnt lgkmcnt(0)
	s_mul_i32 s11, s24, s6
	s_mul_hi_i32 s10, s24, s6
	v_lshlrev_b32_e32 v2, 2, v0
	s_mov_b32 s23, 0x20000
	s_add_u32 s20, s0, s11
	s_addc_u32 s0, s1, s10
	s_lshr_b32 s1, s15, 31
	s_add_i32 s1, s15, s1
	s_ashr_i32 s1, s1, 1
	s_add_i32 s1, s1, 3
	s_ashr_i32 s10, s1, 31
	s_lshr_b32 s10, s10, 30
	s_add_i32 s1, s1, s10
	s_and_b32 s22, s1, -4
	s_and_b32 s21, s0, 0xffff
	v_mov_b32_e32 v3, 0
	buffer_store_dword v3, v2, s[20:23], 0 offen
	;;#ASMSTART
	s_nop 0
	;;#ASMEND
.LBB131_22:
	s_or_b64 exec, exec, s[2:3]
	s_cmp_lt_i32 s16, 1
	s_cbranch_scc1 .LBB131_10
.LBB131_23:
	s_load_dword s0, s[4:5], 0x94
	s_waitcnt lgkmcnt(0)
	s_cmp_lg_u32 s0, 1
	s_cbranch_scc1 .LBB131_10
; %bb.24:
	s_lshl_b32 s0, s16, 1
	s_add_i32 s0, s0, 2
	v_cmp_gt_u32_e32 vcc, s16, v1
	s_and_b32 s10, s0, -4
	v_mov_b32_e32 v8, 0
	v_lshlrev_b32_e32 v16, 4, v0
	s_waitcnt vmcnt(0)
	v_mov_b32_e32 v4, 0
	v_mov_b32_e32 v5, 0
	;; [unrolled: 1-line block ×8, first 2 shown]
	s_barrier
	s_and_saveexec_b64 s[0:1], vcc
	s_cbranch_execz .LBB131_26
; %bb.25:
	s_mul_hi_i32 s3, s18, s6
	s_mul_i32 s2, s18, s6
	s_and_b32 s9, s9, 0xffff
	s_lshl_b64 s[2:3], s[2:3], 1
	s_add_u32 s20, s30, s2
	s_mov_b32 s11, 0x20000
	s_addc_u32 s2, s31, s3
	s_and_b32 s21, s2, 0xffff
	s_mov_b32 s22, s10
	s_mov_b32 s23, s11
	buffer_load_dwordx4 v[4:7], v16, s[20:23], 0 offen glc slc
	buffer_load_dwordx4 v[0:3], v16, s[8:11], 0 offen
.LBB131_26:
	s_or_b64 exec, exec, s[0:1]
	v_mov_b32_e32 v9, 0
	v_mov_b32_e32 v12, 0
	;; [unrolled: 1-line block ×7, first 2 shown]
	s_and_saveexec_b64 s[0:1], vcc
	s_cbranch_execz .LBB131_28
; %bb.27:
	s_waitcnt vmcnt(1)
	v_cvt_f32_f16_sdwa v9, v4 dst_sel:DWORD dst_unused:UNUSED_PAD src0_sel:WORD_1
	v_cvt_f32_f16_e32 v8, v4
	v_cvt_f32_f16_sdwa v13, v5 dst_sel:DWORD dst_unused:UNUSED_PAD src0_sel:WORD_1
	v_cvt_f32_f16_e32 v12, v5
	;; [unrolled: 2-line block ×4, first 2 shown]
.LBB131_28:
	s_or_b64 exec, exec, s[0:1]
	s_waitcnt vmcnt(1)
	v_mul_f32_e32 v4, v9, v9
	v_fmac_f32_e32 v4, v8, v8
	v_fmac_f32_e32 v4, v12, v12
	;; [unrolled: 1-line block ×7, first 2 shown]
	s_nop 1
	v_mov_b32_dpp v5, v4 quad_perm:[1,0,3,2] row_mask:0xf bank_mask:0xf
	v_add_f32_e32 v4, v4, v5
	s_nop 1
	v_mov_b32_dpp v5, v4 quad_perm:[2,3,0,1] row_mask:0xf bank_mask:0xf
	v_add_f32_e32 v4, v4, v5
	s_nop 1
	v_mov_b32_dpp v5, v4 row_half_mirror row_mask:0xf bank_mask:0xf
	v_add_f32_e32 v4, v4, v5
	s_nop 1
	v_mov_b32_dpp v5, v4 row_mirror row_mask:0xf bank_mask:0xf
	v_add_f32_e32 v4, v4, v5
	s_nop 1
	v_mov_b32_dpp v5, v4 row_bcast:15 row_mask:0xf bank_mask:0xf
	v_add_f32_e32 v4, v4, v5
	s_nop 1
	v_mov_b32_dpp v5, v4 row_bcast:31 row_mask:0xf bank_mask:0xf
	v_add_f32_e32 v4, v4, v5
	ds_bpermute_b32 v4, v18, v4
	s_and_saveexec_b64 s[0:1], vcc
	s_cbranch_execz .LBB131_10
; %bb.29:
	v_cvt_f32_u32_e32 v5, s16
	s_mov_b32 s11, 0x20000
	s_waitcnt lgkmcnt(0)
	v_div_scale_f32 v6, s[0:1], v5, v5, v4
	v_rcp_f32_e32 v7, v6
	v_div_scale_f32 v17, vcc, v4, v5, v4
	s_mov_b32 s0, 0x800000
	v_fma_f32 v18, -v6, v7, 1.0
	v_fmac_f32_e32 v7, v18, v7
	v_mul_f32_e32 v18, v17, v7
	v_fma_f32 v19, -v6, v18, v17
	v_fmac_f32_e32 v18, v19, v7
	v_fma_f32 v6, -v6, v18, v17
	v_div_fmas_f32 v6, v6, v7, v18
	v_div_fixup_f32 v4, v6, v5, v4
	v_add_f32_e32 v4, s13, v4
	v_mul_f32_e32 v5, 0x4b800000, v4
	v_cmp_gt_f32_e32 vcc, s0, v4
	v_cndmask_b32_e32 v4, v4, v5, vcc
	v_rsq_f32_e32 v4, v4
	s_waitcnt vmcnt(0)
	v_cvt_f32_f16_sdwa v5, v0 dst_sel:DWORD dst_unused:UNUSED_PAD src0_sel:WORD_1
	v_cvt_f32_f16_sdwa v19, v1 dst_sel:DWORD dst_unused:UNUSED_PAD src0_sel:WORD_1
	v_cvt_f32_f16_e32 v18, v1
	v_mul_f32_e32 v6, 0x45800000, v4
	v_cndmask_b32_e32 v6, v4, v6, vcc
	v_cvt_f32_f16_e32 v4, v0
	v_mov_b32_e32 v7, v6
	;;#ASMSTART
	v_pk_mul_f32 v[8:9], v[8:9], v[6:7]
	;;#ASMEND
	;;#ASMSTART
	v_pk_mul_f32 v[12:13], v[12:13], v[6:7]
	;;#ASMEND
	v_pk_add_f32 v[4:5], v[4:5], 1.0 op_sel_hi:[1,0]
	;;#ASMSTART
	v_pk_mul_f32 v[14:15], v[14:15], v[6:7]
	;;#ASMEND
	;;#ASMSTART
	v_pk_mul_f32 v[0:1], v[10:11], v[6:7]
	;;#ASMEND
	;;#ASMSTART
	v_pk_mul_f32 v[4:5], v[8:9], v[4:5]
	;;#ASMEND
	v_cvt_f32_f16_sdwa v9, v2 dst_sel:DWORD dst_unused:UNUSED_PAD src0_sel:WORD_1
	v_cvt_f32_f16_e32 v8, v2
	v_cvt_f32_f16_sdwa v11, v3 dst_sel:DWORD dst_unused:UNUSED_PAD src0_sel:WORD_1
	v_cvt_f32_f16_e32 v10, v3
	v_pk_add_f32 v[6:7], v[18:19], 1.0 op_sel_hi:[1,0]
	;;#ASMSTART
	v_pk_mul_f32 v[2:3], v[12:13], v[6:7]
	;;#ASMEND
	v_pk_add_f32 v[6:7], v[8:9], 1.0 op_sel_hi:[1,0]
	;;#ASMSTART
	v_pk_mul_f32 v[6:7], v[14:15], v[6:7]
	;;#ASMEND
	;; [unrolled: 4-line block ×3, first 2 shown]
	s_mul_hi_i32 s1, s7, s6
	s_mul_i32 s0, s7, s6
	v_cvt_f16_f32_e32 v4, v4
	v_cvt_f16_f32_e32 v5, v5
	;; [unrolled: 1-line block ×8, first 2 shown]
	s_lshl_b64 s[0:1], s[0:1], 1
	s_add_u32 s8, s28, s0
	s_addc_u32 s0, s29, s1
	s_and_b32 s9, s0, 0xffff
	v_pack_b32_f16 v0, v4, v5
	v_pack_b32_f16 v1, v2, v3
	;; [unrolled: 1-line block ×4, first 2 shown]
	buffer_store_dwordx4 v[0:3], v16, s[8:11], 0 offen
	;;#ASMSTART
	s_nop 0
	;;#ASMEND
	s_endpgm
	.section	.rodata,"a",@progbits
	.p2align	6, 0x0
	.amdhsa_kernel _ZN5aiter35fused_qk_rmsnorm_group_quant_kernelIDF16_N4opus5fp4_tELi64ELi8ELi16ELb0ELb1ELb1ELb0ELb0ELb0EEEvPT0_PvPT_S7_S7_PKS6_S9_S9_S9_S9_ffiiiiiiiiiiiii
		.amdhsa_group_segment_fixed_size 0
		.amdhsa_private_segment_fixed_size 0
		.amdhsa_kernarg_size 400
		.amdhsa_user_sgpr_count 6
		.amdhsa_user_sgpr_private_segment_buffer 1
		.amdhsa_user_sgpr_dispatch_ptr 0
		.amdhsa_user_sgpr_queue_ptr 0
		.amdhsa_user_sgpr_kernarg_segment_ptr 1
		.amdhsa_user_sgpr_dispatch_id 0
		.amdhsa_user_sgpr_flat_scratch_init 0
		.amdhsa_user_sgpr_kernarg_preload_length 0
		.amdhsa_user_sgpr_kernarg_preload_offset 0
		.amdhsa_user_sgpr_private_segment_size 0
		.amdhsa_uses_dynamic_stack 0
		.amdhsa_system_sgpr_private_segment_wavefront_offset 0
		.amdhsa_system_sgpr_workgroup_id_x 1
		.amdhsa_system_sgpr_workgroup_id_y 1
		.amdhsa_system_sgpr_workgroup_id_z 0
		.amdhsa_system_sgpr_workgroup_info 0
		.amdhsa_system_vgpr_workitem_id 0
		.amdhsa_next_free_vgpr 23
		.amdhsa_next_free_sgpr 32
		.amdhsa_accum_offset 24
		.amdhsa_reserve_vcc 1
		.amdhsa_reserve_flat_scratch 0
		.amdhsa_float_round_mode_32 0
		.amdhsa_float_round_mode_16_64 0
		.amdhsa_float_denorm_mode_32 3
		.amdhsa_float_denorm_mode_16_64 3
		.amdhsa_dx10_clamp 1
		.amdhsa_ieee_mode 1
		.amdhsa_fp16_overflow 0
		.amdhsa_tg_split 0
		.amdhsa_exception_fp_ieee_invalid_op 0
		.amdhsa_exception_fp_denorm_src 0
		.amdhsa_exception_fp_ieee_div_zero 0
		.amdhsa_exception_fp_ieee_overflow 0
		.amdhsa_exception_fp_ieee_underflow 0
		.amdhsa_exception_fp_ieee_inexact 0
		.amdhsa_exception_int_div_zero 0
	.end_amdhsa_kernel
	.section	.text._ZN5aiter35fused_qk_rmsnorm_group_quant_kernelIDF16_N4opus5fp4_tELi64ELi8ELi16ELb0ELb1ELb1ELb0ELb0ELb0EEEvPT0_PvPT_S7_S7_PKS6_S9_S9_S9_S9_ffiiiiiiiiiiiii,"axG",@progbits,_ZN5aiter35fused_qk_rmsnorm_group_quant_kernelIDF16_N4opus5fp4_tELi64ELi8ELi16ELb0ELb1ELb1ELb0ELb0ELb0EEEvPT0_PvPT_S7_S7_PKS6_S9_S9_S9_S9_ffiiiiiiiiiiiii,comdat
.Lfunc_end131:
	.size	_ZN5aiter35fused_qk_rmsnorm_group_quant_kernelIDF16_N4opus5fp4_tELi64ELi8ELi16ELb0ELb1ELb1ELb0ELb0ELb0EEEvPT0_PvPT_S7_S7_PKS6_S9_S9_S9_S9_ffiiiiiiiiiiiii, .Lfunc_end131-_ZN5aiter35fused_qk_rmsnorm_group_quant_kernelIDF16_N4opus5fp4_tELi64ELi8ELi16ELb0ELb1ELb1ELb0ELb0ELb0EEEvPT0_PvPT_S7_S7_PKS6_S9_S9_S9_S9_ffiiiiiiiiiiiii
                                        ; -- End function
	.section	.AMDGPU.csdata,"",@progbits
; Kernel info:
; codeLenInByte = 2392
; NumSgprs: 36
; NumVgprs: 23
; NumAgprs: 0
; TotalNumVgprs: 23
; ScratchSize: 0
; MemoryBound: 0
; FloatMode: 240
; IeeeMode: 1
; LDSByteSize: 0 bytes/workgroup (compile time only)
; SGPRBlocks: 4
; VGPRBlocks: 2
; NumSGPRsForWavesPerEU: 36
; NumVGPRsForWavesPerEU: 23
; AccumOffset: 24
; Occupancy: 8
; WaveLimiterHint : 0
; COMPUTE_PGM_RSRC2:SCRATCH_EN: 0
; COMPUTE_PGM_RSRC2:USER_SGPR: 6
; COMPUTE_PGM_RSRC2:TRAP_HANDLER: 0
; COMPUTE_PGM_RSRC2:TGID_X_EN: 1
; COMPUTE_PGM_RSRC2:TGID_Y_EN: 1
; COMPUTE_PGM_RSRC2:TGID_Z_EN: 0
; COMPUTE_PGM_RSRC2:TIDIG_COMP_CNT: 0
; COMPUTE_PGM_RSRC3_GFX90A:ACCUM_OFFSET: 5
; COMPUTE_PGM_RSRC3_GFX90A:TG_SPLIT: 0
	.section	.text._ZN5aiter35fused_qk_rmsnorm_group_quant_kernelItN4opus5fp4_tELi64ELi8ELi16ELb0ELb1ELb1ELb0ELb0ELb0EEEvPT0_PvPT_S7_S7_PKS6_S9_S9_S9_S9_ffiiiiiiiiiiiii,"axG",@progbits,_ZN5aiter35fused_qk_rmsnorm_group_quant_kernelItN4opus5fp4_tELi64ELi8ELi16ELb0ELb1ELb1ELb0ELb0ELb0EEEvPT0_PvPT_S7_S7_PKS6_S9_S9_S9_S9_ffiiiiiiiiiiiii,comdat
	.protected	_ZN5aiter35fused_qk_rmsnorm_group_quant_kernelItN4opus5fp4_tELi64ELi8ELi16ELb0ELb1ELb1ELb0ELb0ELb0EEEvPT0_PvPT_S7_S7_PKS6_S9_S9_S9_S9_ffiiiiiiiiiiiii ; -- Begin function _ZN5aiter35fused_qk_rmsnorm_group_quant_kernelItN4opus5fp4_tELi64ELi8ELi16ELb0ELb1ELb1ELb0ELb0ELb0EEEvPT0_PvPT_S7_S7_PKS6_S9_S9_S9_S9_ffiiiiiiiiiiiii
	.globl	_ZN5aiter35fused_qk_rmsnorm_group_quant_kernelItN4opus5fp4_tELi64ELi8ELi16ELb0ELb1ELb1ELb0ELb0ELb0EEEvPT0_PvPT_S7_S7_PKS6_S9_S9_S9_S9_ffiiiiiiiiiiiii
	.p2align	8
	.type	_ZN5aiter35fused_qk_rmsnorm_group_quant_kernelItN4opus5fp4_tELi64ELi8ELi16ELb0ELb1ELb1ELb0ELb0ELb0EEEvPT0_PvPT_S7_S7_PKS6_S9_S9_S9_S9_ffiiiiiiiiiiiii,@function
_ZN5aiter35fused_qk_rmsnorm_group_quant_kernelItN4opus5fp4_tELi64ELi8ELi16ELb0ELb1ELb1ELb0ELb0ELb0EEEvPT0_PvPT_S7_S7_PKS6_S9_S9_S9_S9_ffiiiiiiiiiiiii: ; @_ZN5aiter35fused_qk_rmsnorm_group_quant_kernelItN4opus5fp4_tELi64ELi8ELi16ELb0ELb1ELb1ELb0ELb0ELb0EEEvPT0_PvPT_S7_S7_PKS6_S9_S9_S9_S9_ffiiiiiiiiiiiii
; %bb.0:
	s_load_dwordx4 s[12:15], s[4:5], 0x50
	s_waitcnt lgkmcnt(0)
	s_cmp_ge_i32 s6, s14
	s_cbranch_scc1 .LBB132_8
; %bb.1:
	s_load_dwordx2 s[8:9], s[4:5], 0x48
	s_load_dwordx2 s[30:31], s[4:5], 0x30
	s_load_dwordx4 s[16:19], s[4:5], 0x60
	s_cmp_lg_u32 s7, 0
	s_cselect_b64 s[2:3], -1, 0
	s_cmp_eq_u32 s7, 0
	s_cselect_b64 vcc, -1, 0
	s_and_b64 s[0:1], vcc, exec
	s_waitcnt lgkmcnt(0)
	s_cselect_b32 s7, s15, s16
	s_add_i32 s0, s7, 1
	s_lshr_b32 s1, s0, 31
	s_add_i32 s0, s0, s1
	s_lshl_b32 s0, s0, 1
	v_lshlrev_b32_e32 v1, 3, v0
	s_and_b32 s22, s0, -4
	v_cmp_gt_i32_e64 s[0:1], s7, v1
	v_mov_b32_e32 v2, 0
	v_mov_b32_e32 v3, 0
	;; [unrolled: 1-line block ×8, first 2 shown]
	s_and_saveexec_b64 s[10:11], s[0:1]
	s_cbranch_execz .LBB132_3
; %bb.2:
	s_load_dwordx2 s[20:21], s[4:5], 0x28
	s_load_dwordx2 s[26:27], s[4:5], 0x40
	s_and_b64 s[24:25], vcc, exec
	s_cselect_b32 s14, s17, s18
	s_mov_b32 s23, 0x20000
	s_waitcnt lgkmcnt(0)
	s_cselect_b32 s17, s21, s31
	s_cselect_b32 s19, s20, s30
	s_mul_hi_i32 s21, s14, s6
	s_mul_i32 s20, s14, s6
	s_lshl_b64 s[20:21], s[20:21], 1
	s_add_u32 s24, s19, s20
	s_addc_u32 s14, s17, s21
	s_and_b64 s[20:21], vcc, exec
	s_cselect_b32 s20, s26, s8
	s_cselect_b32 s17, s27, s9
	v_lshlrev_b32_e32 v10, 4, v0
	s_and_b32 s25, s14, 0xffff
	s_mov_b32 s26, s22
	s_mov_b32 s27, s23
	s_and_b32 s21, s17, 0xffff
	buffer_load_dwordx4 v[6:9], v10, s[24:27], 0 offen glc slc
	buffer_load_dwordx4 v[2:5], v10, s[20:23], 0 offen
.LBB132_3:
	s_or_b64 exec, exec, s[10:11]
	s_waitcnt vmcnt(1)
	v_cvt_f32_u32_sdwa v11, v6 dst_sel:DWORD dst_unused:UNUSED_PAD src0_sel:WORD_1
	v_cvt_f32_u32_sdwa v10, v6 dst_sel:DWORD dst_unused:UNUSED_PAD src0_sel:WORD_0
	v_cvt_f32_u32_sdwa v6, v9 dst_sel:DWORD dst_unused:UNUSED_PAD src0_sel:WORD_1
	v_cvt_f32_u32_sdwa v9, v9 dst_sel:DWORD dst_unused:UNUSED_PAD src0_sel:WORD_0
	v_cvt_f32_u32_sdwa v14, v8 dst_sel:DWORD dst_unused:UNUSED_PAD src0_sel:WORD_1
	v_cvt_f32_u32_sdwa v12, v7 dst_sel:DWORD dst_unused:UNUSED_PAD src0_sel:WORD_0
	v_cvt_f32_u32_sdwa v13, v7 dst_sel:DWORD dst_unused:UNUSED_PAD src0_sel:WORD_1
	v_cvt_f32_u32_sdwa v8, v8 dst_sel:DWORD dst_unused:UNUSED_PAD src0_sel:WORD_0
	v_cndmask_b32_e64 v11, 0, v11, s[0:1]
	v_cndmask_b32_e64 v7, 0, v6, s[0:1]
	;; [unrolled: 1-line block ×5, first 2 shown]
	v_mul_f32_e32 v14, v11, v11
	v_cndmask_b32_e64 v12, 0, v12, s[0:1]
	v_fmac_f32_e32 v14, v10, v10
	v_cndmask_b32_e64 v13, 0, v13, s[0:1]
	v_fmac_f32_e32 v14, v12, v12
	;; [unrolled: 2-line block ×3, first 2 shown]
	v_fmac_f32_e32 v14, v8, v8
	v_fmac_f32_e32 v14, v9, v9
	;; [unrolled: 1-line block ×4, first 2 shown]
	v_bfrev_b32_e32 v16, 0.5
	s_load_dwordx2 s[28:29], s[4:5], 0x18
	v_mov_b32_dpp v15, v14 quad_perm:[1,0,3,2] row_mask:0xf bank_mask:0xf
	v_add_f32_e32 v14, v14, v15
	s_nop 1
	v_mov_b32_dpp v15, v14 quad_perm:[2,3,0,1] row_mask:0xf bank_mask:0xf
	v_add_f32_e32 v14, v14, v15
	s_nop 1
	v_mov_b32_dpp v15, v14 row_half_mirror row_mask:0xf bank_mask:0xf
	v_add_f32_e32 v14, v14, v15
	s_nop 1
	v_mov_b32_dpp v15, v14 row_mirror row_mask:0xf bank_mask:0xf
	v_add_f32_e32 v14, v14, v15
	s_nop 1
	v_mov_b32_dpp v15, v14 row_bcast:15 row_mask:0xf bank_mask:0xf
	v_add_f32_e32 v14, v14, v15
	s_nop 1
	v_mov_b32_dpp v15, v14 row_bcast:31 row_mask:0xf bank_mask:0xf
	v_add_f32_e32 v15, v14, v15
	v_mbcnt_lo_u32_b32 v14, -1, 0
	v_mbcnt_hi_u32_b32 v14, -1, v14
	v_lshl_or_b32 v14, v14, 2, v16
	ds_bpermute_b32 v15, v14, v15
	s_and_saveexec_b64 s[10:11], s[0:1]
	s_cbranch_execz .LBB132_5
; %bb.4:
	v_cvt_f32_u32_e32 v16, s7
	v_mov_b32_e32 v17, s13
	v_mov_b32_e32 v18, s12
	v_cndmask_b32_e32 v17, v17, v18, vcc
	s_waitcnt lgkmcnt(0)
	v_div_scale_f32 v19, s[20:21], v16, v16, v15
	v_rcp_f32_e32 v20, v19
	v_div_scale_f32 v18, vcc, v15, v16, v15
	s_mov_b32 s7, 0x800000
	v_fma_f32 v21, -v19, v20, 1.0
	v_fmac_f32_e32 v20, v21, v20
	v_mul_f32_e32 v21, v18, v20
	v_fma_f32 v22, -v19, v21, v18
	v_fmac_f32_e32 v21, v22, v20
	v_fma_f32 v18, -v19, v21, v18
	v_div_fmas_f32 v18, v18, v20, v21
	v_div_fixup_f32 v15, v18, v16, v15
	v_add_f32_e32 v15, v17, v15
	v_mul_f32_e32 v16, 0x4b800000, v15
	v_cmp_gt_f32_e32 vcc, s7, v15
	v_cndmask_b32_e32 v15, v15, v16, vcc
	v_rsq_f32_e32 v15, v15
	s_waitcnt vmcnt(0)
	v_cvt_f32_u32_sdwa v19, v2 dst_sel:DWORD dst_unused:UNUSED_PAD src0_sel:WORD_1
	v_cvt_f32_u32_sdwa v18, v2 dst_sel:DWORD dst_unused:UNUSED_PAD src0_sel:WORD_0
	v_cvt_f32_u32_sdwa v21, v3 dst_sel:DWORD dst_unused:UNUSED_PAD src0_sel:WORD_1
	v_mul_f32_e32 v16, 0x45800000, v15
	v_cndmask_b32_e32 v16, v15, v16, vcc
	v_mov_b32_e32 v17, v16
	;;#ASMSTART
	v_pk_mul_f32 v[10:11], v[10:11], v[16:17]
	;;#ASMEND
	;;#ASMSTART
	v_pk_mul_f32 v[12:13], v[12:13], v[16:17]
	;;#ASMEND
	;; [unrolled: 3-line block ×3, first 2 shown]
	v_cvt_f32_u32_sdwa v20, v3 dst_sel:DWORD dst_unused:UNUSED_PAD src0_sel:WORD_0
	;;#ASMSTART
	v_pk_mul_f32 v[2:3], v[6:7], v[16:17]
	;;#ASMEND
	v_cvt_f32_u32_sdwa v17, v4 dst_sel:DWORD dst_unused:UNUSED_PAD src0_sel:WORD_1
	v_cvt_f32_u32_sdwa v16, v4 dst_sel:DWORD dst_unused:UNUSED_PAD src0_sel:WORD_0
	v_pk_add_f32 v[6:7], v[18:19], 1.0 op_sel_hi:[1,0]
	v_cvt_f32_u32_sdwa v19, v5 dst_sel:DWORD dst_unused:UNUSED_PAD src0_sel:WORD_1
	v_cvt_f32_u32_sdwa v18, v5 dst_sel:DWORD dst_unused:UNUSED_PAD src0_sel:WORD_0
	;;#ASMSTART
	v_pk_mul_f32 v[10:11], v[10:11], v[6:7]
	;;#ASMEND
	v_pk_add_f32 v[6:7], v[20:21], 1.0 op_sel_hi:[1,0]
	v_pk_add_f32 v[4:5], v[16:17], 1.0 op_sel_hi:[1,0]
	;;#ASMSTART
	v_pk_mul_f32 v[12:13], v[12:13], v[6:7]
	;;#ASMEND
	;;#ASMSTART
	v_pk_mul_f32 v[8:9], v[8:9], v[4:5]
	;;#ASMEND
	v_pk_add_f32 v[4:5], v[18:19], 1.0 op_sel_hi:[1,0]
	;;#ASMSTART
	v_pk_mul_f32 v[6:7], v[2:3], v[4:5]
	;;#ASMEND
.LBB132_5:
	s_or_b64 exec, exec, s[10:11]
	s_load_dword s7, s[4:5], 0x80
	s_mov_b64 s[10:11], -1
	s_and_b64 vcc, exec, s[2:3]
	s_cbranch_vccnz .LBB132_9
; %bb.6:
	s_andn2_b64 vcc, exec, s[10:11]
	s_cbranch_vccz .LBB132_12
.LBB132_7:
	s_cmp_lt_i32 s16, 1
	s_cbranch_scc0 .LBB132_21
.LBB132_8:
	s_endpgm
.LBB132_9:
	s_and_saveexec_b64 s[2:3], s[0:1]
	s_cbranch_execz .LBB132_11
; %bb.10:
	s_waitcnt lgkmcnt(0)
	s_mul_hi_i32 s11, s7, s6
	s_mul_i32 s10, s7, s6
	s_lshl_b64 s[10:11], s[10:11], 1
	s_add_u32 s20, s28, s10
	s_addc_u32 s10, s29, s11
	s_and_b32 s21, s10, 0xffff
	s_mov_b32 s10, 0x7060302
	s_mov_b32 s23, 0x20000
	s_waitcnt vmcnt(0)
	v_perm_b32 v2, v11, v10, s10
	v_perm_b32 v3, v13, v12, s10
	;; [unrolled: 1-line block ×4, first 2 shown]
	v_lshlrev_b32_e32 v15, 4, v0
	buffer_store_dwordx4 v[2:5], v15, s[20:23], 0 offen
	;;#ASMSTART
	s_nop 0
	;;#ASMEND
.LBB132_11:
	s_or_b64 exec, exec, s[2:3]
	s_cbranch_execnz .LBB132_7
.LBB132_12:
	s_load_dwordx4 s[24:27], s[4:5], 0x70
	s_waitcnt vmcnt(0)
	v_mov_b32_e32 v2, 0
	s_and_saveexec_b64 s[2:3], s[0:1]
	s_cbranch_execz .LBB132_14
; %bb.13:
	s_load_dwordx2 s[10:11], s[4:5], 0x10
	s_waitcnt lgkmcnt(0)
	s_mul_hi_i32 s21, s27, s6
	s_mul_i32 s20, s27, s6
	s_lshl_b64 s[20:21], s[20:21], 1
	s_mov_b32 s23, 0x20000
	s_add_u32 s20, s10, s20
	s_addc_u32 s10, s11, s21
	s_and_b32 s21, s10, 0xffff
	s_mov_b32 s10, 0x7060302
	v_perm_b32 v2, v11, v10, s10
	v_perm_b32 v3, v13, v12, s10
	;; [unrolled: 1-line block ×4, first 2 shown]
	v_lshlrev_b32_e32 v15, 4, v0
	buffer_store_dwordx4 v[2:5], v15, s[20:23], 0 offen
	;;#ASMSTART
	s_nop 0
	;;#ASMEND
	s_nop 0
	v_mov_b32_e32 v2, 0x2edbe6ff
.LBB132_14:
	s_or_b64 exec, exec, s[2:3]
	s_and_saveexec_b64 s[2:3], s[0:1]
	s_cbranch_execz .LBB132_16
; %bb.15:
	v_and_b32_e32 v3, 0x7fffffff, v10
	v_and_b32_e32 v4, 0x7fffffff, v11
	;;#ASMSTART
	v_max3_f32 v2, v2, v3, v4

	;;#ASMEND
	v_and_b32_e32 v3, 0x7fffffff, v12
	v_and_b32_e32 v4, 0x7fffffff, v13
	;;#ASMSTART
	v_max3_f32 v2, v2, v3, v4

	;;#ASMEND
	v_and_b32_e32 v3, 0x7fffffff, v8
	v_and_b32_e32 v4, 0x7fffffff, v9
	;;#ASMSTART
	v_max3_f32 v2, v2, v3, v4

	;;#ASMEND
	v_and_b32_e32 v3, 0x7fffffff, v6
	v_and_b32_e32 v4, 0x7fffffff, v7
	;;#ASMSTART
	v_max3_f32 v2, v2, v3, v4

	;;#ASMEND
.LBB132_16:
	s_or_b64 exec, exec, s[2:3]
	;;#ASMSTART
	v_max_f32 v3, v2, v2 quad_perm:[1,0,3,2] row_mask:0xf bank_mask:0xf bound_ctrl:1
	;;#ASMEND
	;;#ASMSTART
	v_max_f32 v2, v3, v3 quad_perm:[2,3,0,1] row_mask:0xf bank_mask:0xf bound_ctrl:1
	;;#ASMEND
	;;#ASMSTART
	v_max_f32 v3, v2, v2 row_half_mirror row_mask:0xf bank_mask:0xf bound_ctrl:1
	;;#ASMEND
	;;#ASMSTART
	v_max_f32 v2, v3, v3 row_mirror row_mask:0xf bank_mask:0xf bound_ctrl:1
	;;#ASMEND
	v_and_b32_e32 v3, 15, v0
	v_cmp_eq_u32_e32 vcc, 0, v3
	v_cmp_gt_i32_e64 s[2:3], s15, v1
	s_and_b64 s[10:11], vcc, s[2:3]
	s_and_saveexec_b64 s[2:3], s[10:11]
	s_cbranch_execz .LBB132_18
; %bb.17:
	s_load_dwordx2 s[10:11], s[4:5], 0x8
	v_mul_f32_e32 v2, 0x3e2aaaab, v2
	v_lshrrev_b32_e32 v3, 23, v2
	v_and_b32_e32 v4, 0x7f800000, v2
	v_and_b32_e32 v2, 0x7fffff, v2
	v_cmp_ne_u32_e32 vcc, 0, v2
	s_waitcnt lgkmcnt(0)
	s_mul_i32 s17, s25, s6
	s_mov_b32 s12, 0x7f800000
	v_addc_co_u32_e32 v2, vcc, 0, v3, vcc
	s_mul_hi_i32 s14, s25, s6
	s_add_u32 s10, s10, s17
	v_cmp_ne_u32_e32 vcc, s12, v4
	s_addc_u32 s11, s11, s14
	v_lshrrev_b32_e32 v5, 4, v0
	v_cndmask_b32_e32 v4, -1, v2, vcc
	v_pk_mov_b32 v[2:3], s[10:11], s[10:11] op_sel:[0,1]
	v_mad_i64_i32 v[2:3], s[10:11], s26, v5, v[2:3]
	global_store_byte v[2:3], v4, off
.LBB132_18:
	s_or_b64 exec, exec, s[2:3]
	s_and_saveexec_b64 s[2:3], s[0:1]
	s_cbranch_execz .LBB132_20
; %bb.19:
	s_load_dwordx2 s[0:1], s[4:5], 0x0
	s_waitcnt lgkmcnt(0)
	s_mul_i32 s11, s24, s6
	s_mul_hi_i32 s10, s24, s6
	v_lshlrev_b32_e32 v2, 2, v0
	s_mov_b32 s23, 0x20000
	s_add_u32 s20, s0, s11
	s_addc_u32 s0, s1, s10
	s_lshr_b32 s1, s15, 31
	s_add_i32 s1, s15, s1
	s_ashr_i32 s1, s1, 1
	s_add_i32 s1, s1, 3
	s_ashr_i32 s10, s1, 31
	s_lshr_b32 s10, s10, 30
	s_add_i32 s1, s1, s10
	s_and_b32 s22, s1, -4
	s_and_b32 s21, s0, 0xffff
	v_mov_b32_e32 v3, 0
	buffer_store_dword v3, v2, s[20:23], 0 offen
	;;#ASMSTART
	s_nop 0
	;;#ASMEND
.LBB132_20:
	s_or_b64 exec, exec, s[2:3]
	s_cmp_lt_i32 s16, 1
	s_cbranch_scc1 .LBB132_8
.LBB132_21:
	s_load_dword s0, s[4:5], 0x94
	s_waitcnt lgkmcnt(0)
	s_cmp_lg_u32 s0, 1
	s_cbranch_scc1 .LBB132_8
; %bb.22:
	s_lshl_b32 s0, s16, 1
	s_add_i32 s0, s0, 2
	v_cmp_gt_u32_e32 vcc, s16, v1
	s_and_b32 s10, s0, -4
	s_waitcnt vmcnt(0)
	v_mov_b32_e32 v4, 0
	v_lshlrev_b32_e32 v12, 4, v0
	v_mov_b32_e32 v5, 0
	v_mov_b32_e32 v6, 0
	;; [unrolled: 1-line block ×7, first 2 shown]
	s_barrier
	s_and_saveexec_b64 s[0:1], vcc
	s_cbranch_execz .LBB132_24
; %bb.23:
	s_mul_hi_i32 s3, s18, s6
	s_mul_i32 s2, s18, s6
	s_and_b32 s9, s9, 0xffff
	s_lshl_b64 s[2:3], s[2:3], 1
	s_add_u32 s20, s30, s2
	s_mov_b32 s11, 0x20000
	s_addc_u32 s2, s31, s3
	s_and_b32 s21, s2, 0xffff
	s_mov_b32 s22, s10
	s_mov_b32 s23, s11
	buffer_load_dwordx4 v[4:7], v12, s[20:23], 0 offen glc slc
	buffer_load_dwordx4 v[0:3], v12, s[8:11], 0 offen
.LBB132_24:
	s_or_b64 exec, exec, s[0:1]
	s_waitcnt vmcnt(1)
	v_cvt_f32_u32_sdwa v11, v4 dst_sel:DWORD dst_unused:UNUSED_PAD src0_sel:WORD_1
	v_cvt_f32_u32_sdwa v10, v4 dst_sel:DWORD dst_unused:UNUSED_PAD src0_sel:WORD_0
	v_cvt_f32_u32_sdwa v4, v7 dst_sel:DWORD dst_unused:UNUSED_PAD src0_sel:WORD_1
	v_cvt_f32_u32_sdwa v7, v7 dst_sel:DWORD dst_unused:UNUSED_PAD src0_sel:WORD_0
	;; [unrolled: 2-line block ×4, first 2 shown]
	v_cndmask_b32_e32 v11, 0, v11, vcc
	v_cndmask_b32_e32 v5, 0, v4, vcc
	v_cndmask_b32_e32 v4, 0, v7, vcc
	v_cndmask_b32_e32 v7, 0, v13, vcc
	v_cndmask_b32_e32 v10, 0, v10, vcc
	v_mul_f32_e32 v13, v11, v11
	v_cndmask_b32_e32 v8, 0, v8, vcc
	v_fmac_f32_e32 v13, v10, v10
	v_cndmask_b32_e32 v9, 0, v9, vcc
	v_fmac_f32_e32 v13, v8, v8
	;; [unrolled: 2-line block ×3, first 2 shown]
	v_fmac_f32_e32 v13, v6, v6
	v_fmac_f32_e32 v13, v7, v7
	;; [unrolled: 1-line block ×4, first 2 shown]
	s_nop 1
	v_mov_b32_dpp v15, v13 quad_perm:[1,0,3,2] row_mask:0xf bank_mask:0xf
	v_add_f32_e32 v13, v13, v15
	s_nop 1
	v_mov_b32_dpp v15, v13 quad_perm:[2,3,0,1] row_mask:0xf bank_mask:0xf
	v_add_f32_e32 v13, v13, v15
	s_nop 1
	v_mov_b32_dpp v15, v13 row_half_mirror row_mask:0xf bank_mask:0xf
	v_add_f32_e32 v13, v13, v15
	s_nop 1
	v_mov_b32_dpp v15, v13 row_mirror row_mask:0xf bank_mask:0xf
	v_add_f32_e32 v13, v13, v15
	s_nop 1
	v_mov_b32_dpp v15, v13 row_bcast:15 row_mask:0xf bank_mask:0xf
	v_add_f32_e32 v13, v13, v15
	s_nop 1
	v_mov_b32_dpp v15, v13 row_bcast:31 row_mask:0xf bank_mask:0xf
	v_add_f32_e32 v13, v13, v15
	ds_bpermute_b32 v13, v14, v13
	s_and_saveexec_b64 s[0:1], vcc
	s_cbranch_execz .LBB132_8
; %bb.25:
	v_cvt_f32_u32_e32 v14, s16
	s_mov_b32 s11, 0x20000
	s_waitcnt lgkmcnt(0)
	v_div_scale_f32 v15, s[0:1], v14, v14, v13
	v_rcp_f32_e32 v16, v15
	v_div_scale_f32 v17, vcc, v13, v14, v13
	s_mov_b32 s0, 0x800000
	v_fma_f32 v18, -v15, v16, 1.0
	v_fmac_f32_e32 v16, v18, v16
	v_mul_f32_e32 v18, v17, v16
	v_fma_f32 v19, -v15, v18, v17
	v_fmac_f32_e32 v18, v19, v16
	v_fma_f32 v15, -v15, v18, v17
	v_div_fmas_f32 v15, v15, v16, v18
	v_div_fixup_f32 v13, v15, v14, v13
	v_add_f32_e32 v13, s13, v13
	v_mul_f32_e32 v14, 0x4b800000, v13
	v_cmp_gt_f32_e32 vcc, s0, v13
	v_cndmask_b32_e32 v13, v13, v14, vcc
	v_rsq_f32_e32 v13, v13
	s_waitcnt vmcnt(0)
	v_cvt_f32_u32_sdwa v15, v0 dst_sel:DWORD dst_unused:UNUSED_PAD src0_sel:WORD_1
	v_cvt_f32_u32_sdwa v19, v1 dst_sel:DWORD dst_unused:UNUSED_PAD src0_sel:WORD_1
	v_cvt_f32_u32_sdwa v18, v1 dst_sel:DWORD dst_unused:UNUSED_PAD src0_sel:WORD_0
	v_mul_f32_e32 v14, 0x45800000, v13
	v_cndmask_b32_e32 v16, v13, v14, vcc
	v_cvt_f32_u32_sdwa v14, v0 dst_sel:DWORD dst_unused:UNUSED_PAD src0_sel:WORD_0
	v_mov_b32_e32 v17, v16
	;;#ASMSTART
	v_pk_mul_f32 v[10:11], v[10:11], v[16:17]
	;;#ASMEND
	;;#ASMSTART
	v_pk_mul_f32 v[8:9], v[8:9], v[16:17]
	;;#ASMEND
	;; [unrolled: 3-line block ×4, first 2 shown]
	v_pk_add_f32 v[4:5], v[14:15], 1.0 op_sel_hi:[1,0]
	v_cvt_f32_u32_sdwa v15, v2 dst_sel:DWORD dst_unused:UNUSED_PAD src0_sel:WORD_1
	v_cvt_f32_u32_sdwa v14, v2 dst_sel:DWORD dst_unused:UNUSED_PAD src0_sel:WORD_0
	v_cvt_f32_u32_sdwa v17, v3 dst_sel:DWORD dst_unused:UNUSED_PAD src0_sel:WORD_1
	v_cvt_f32_u32_sdwa v16, v3 dst_sel:DWORD dst_unused:UNUSED_PAD src0_sel:WORD_0
	s_mul_hi_i32 s1, s7, s6
	s_mul_i32 s0, s7, s6
	s_lshl_b64 s[0:1], s[0:1], 1
	s_add_u32 s8, s28, s0
	;;#ASMSTART
	v_pk_mul_f32 v[4:5], v[10:11], v[4:5]
	;;#ASMEND
	v_pk_add_f32 v[10:11], v[18:19], 1.0 op_sel_hi:[1,0]
	;;#ASMSTART
	v_pk_mul_f32 v[2:3], v[8:9], v[10:11]
	;;#ASMEND
	v_pk_add_f32 v[8:9], v[14:15], 1.0 op_sel_hi:[1,0]
	s_addc_u32 s0, s29, s1
	;;#ASMSTART
	v_pk_mul_f32 v[6:7], v[6:7], v[8:9]
	;;#ASMEND
	v_pk_add_f32 v[8:9], v[16:17], 1.0 op_sel_hi:[1,0]
	s_and_b32 s9, s0, 0xffff
	s_mov_b32 s0, 0x7060302
	;;#ASMSTART
	v_pk_mul_f32 v[8:9], v[0:1], v[8:9]
	;;#ASMEND
	v_perm_b32 v0, v5, v4, s0
	v_perm_b32 v1, v3, v2, s0
	;; [unrolled: 1-line block ×4, first 2 shown]
	buffer_store_dwordx4 v[0:3], v12, s[8:11], 0 offen
	;;#ASMSTART
	s_nop 0
	;;#ASMEND
	s_endpgm
	.section	.rodata,"a",@progbits
	.p2align	6, 0x0
	.amdhsa_kernel _ZN5aiter35fused_qk_rmsnorm_group_quant_kernelItN4opus5fp4_tELi64ELi8ELi16ELb0ELb1ELb1ELb0ELb0ELb0EEEvPT0_PvPT_S7_S7_PKS6_S9_S9_S9_S9_ffiiiiiiiiiiiii
		.amdhsa_group_segment_fixed_size 0
		.amdhsa_private_segment_fixed_size 0
		.amdhsa_kernarg_size 400
		.amdhsa_user_sgpr_count 6
		.amdhsa_user_sgpr_private_segment_buffer 1
		.amdhsa_user_sgpr_dispatch_ptr 0
		.amdhsa_user_sgpr_queue_ptr 0
		.amdhsa_user_sgpr_kernarg_segment_ptr 1
		.amdhsa_user_sgpr_dispatch_id 0
		.amdhsa_user_sgpr_flat_scratch_init 0
		.amdhsa_user_sgpr_kernarg_preload_length 0
		.amdhsa_user_sgpr_kernarg_preload_offset 0
		.amdhsa_user_sgpr_private_segment_size 0
		.amdhsa_uses_dynamic_stack 0
		.amdhsa_system_sgpr_private_segment_wavefront_offset 0
		.amdhsa_system_sgpr_workgroup_id_x 1
		.amdhsa_system_sgpr_workgroup_id_y 1
		.amdhsa_system_sgpr_workgroup_id_z 0
		.amdhsa_system_sgpr_workgroup_info 0
		.amdhsa_system_vgpr_workitem_id 0
		.amdhsa_next_free_vgpr 23
		.amdhsa_next_free_sgpr 32
		.amdhsa_accum_offset 24
		.amdhsa_reserve_vcc 1
		.amdhsa_reserve_flat_scratch 0
		.amdhsa_float_round_mode_32 0
		.amdhsa_float_round_mode_16_64 0
		.amdhsa_float_denorm_mode_32 3
		.amdhsa_float_denorm_mode_16_64 3
		.amdhsa_dx10_clamp 1
		.amdhsa_ieee_mode 1
		.amdhsa_fp16_overflow 0
		.amdhsa_tg_split 0
		.amdhsa_exception_fp_ieee_invalid_op 0
		.amdhsa_exception_fp_denorm_src 0
		.amdhsa_exception_fp_ieee_div_zero 0
		.amdhsa_exception_fp_ieee_overflow 0
		.amdhsa_exception_fp_ieee_underflow 0
		.amdhsa_exception_fp_ieee_inexact 0
		.amdhsa_exception_int_div_zero 0
	.end_amdhsa_kernel
	.section	.text._ZN5aiter35fused_qk_rmsnorm_group_quant_kernelItN4opus5fp4_tELi64ELi8ELi16ELb0ELb1ELb1ELb0ELb0ELb0EEEvPT0_PvPT_S7_S7_PKS6_S9_S9_S9_S9_ffiiiiiiiiiiiii,"axG",@progbits,_ZN5aiter35fused_qk_rmsnorm_group_quant_kernelItN4opus5fp4_tELi64ELi8ELi16ELb0ELb1ELb1ELb0ELb0ELb0EEEvPT0_PvPT_S7_S7_PKS6_S9_S9_S9_S9_ffiiiiiiiiiiiii,comdat
.Lfunc_end132:
	.size	_ZN5aiter35fused_qk_rmsnorm_group_quant_kernelItN4opus5fp4_tELi64ELi8ELi16ELb0ELb1ELb1ELb0ELb0ELb0EEEvPT0_PvPT_S7_S7_PKS6_S9_S9_S9_S9_ffiiiiiiiiiiiii, .Lfunc_end132-_ZN5aiter35fused_qk_rmsnorm_group_quant_kernelItN4opus5fp4_tELi64ELi8ELi16ELb0ELb1ELb1ELb0ELb0ELb0EEEvPT0_PvPT_S7_S7_PKS6_S9_S9_S9_S9_ffiiiiiiiiiiiii
                                        ; -- End function
	.section	.AMDGPU.csdata,"",@progbits
; Kernel info:
; codeLenInByte = 2384
; NumSgprs: 36
; NumVgprs: 23
; NumAgprs: 0
; TotalNumVgprs: 23
; ScratchSize: 0
; MemoryBound: 0
; FloatMode: 240
; IeeeMode: 1
; LDSByteSize: 0 bytes/workgroup (compile time only)
; SGPRBlocks: 4
; VGPRBlocks: 2
; NumSGPRsForWavesPerEU: 36
; NumVGPRsForWavesPerEU: 23
; AccumOffset: 24
; Occupancy: 8
; WaveLimiterHint : 0
; COMPUTE_PGM_RSRC2:SCRATCH_EN: 0
; COMPUTE_PGM_RSRC2:USER_SGPR: 6
; COMPUTE_PGM_RSRC2:TRAP_HANDLER: 0
; COMPUTE_PGM_RSRC2:TGID_X_EN: 1
; COMPUTE_PGM_RSRC2:TGID_Y_EN: 1
; COMPUTE_PGM_RSRC2:TGID_Z_EN: 0
; COMPUTE_PGM_RSRC2:TIDIG_COMP_CNT: 0
; COMPUTE_PGM_RSRC3_GFX90A:ACCUM_OFFSET: 5
; COMPUTE_PGM_RSRC3_GFX90A:TG_SPLIT: 0
	.section	.text._ZN5aiter35fused_qk_rmsnorm_group_quant_kernelIDF16_DB8_Li64ELi8ELi16ELb0ELb1ELb0ELb0ELb0ELb0EEEvPT0_PvPT_S6_S6_PKS5_S8_S8_S8_S8_ffiiiiiiiiiiiii,"axG",@progbits,_ZN5aiter35fused_qk_rmsnorm_group_quant_kernelIDF16_DB8_Li64ELi8ELi16ELb0ELb1ELb0ELb0ELb0ELb0EEEvPT0_PvPT_S6_S6_PKS5_S8_S8_S8_S8_ffiiiiiiiiiiiii,comdat
	.protected	_ZN5aiter35fused_qk_rmsnorm_group_quant_kernelIDF16_DB8_Li64ELi8ELi16ELb0ELb1ELb0ELb0ELb0ELb0EEEvPT0_PvPT_S6_S6_PKS5_S8_S8_S8_S8_ffiiiiiiiiiiiii ; -- Begin function _ZN5aiter35fused_qk_rmsnorm_group_quant_kernelIDF16_DB8_Li64ELi8ELi16ELb0ELb1ELb0ELb0ELb0ELb0EEEvPT0_PvPT_S6_S6_PKS5_S8_S8_S8_S8_ffiiiiiiiiiiiii
	.globl	_ZN5aiter35fused_qk_rmsnorm_group_quant_kernelIDF16_DB8_Li64ELi8ELi16ELb0ELb1ELb0ELb0ELb0ELb0EEEvPT0_PvPT_S6_S6_PKS5_S8_S8_S8_S8_ffiiiiiiiiiiiii
	.p2align	8
	.type	_ZN5aiter35fused_qk_rmsnorm_group_quant_kernelIDF16_DB8_Li64ELi8ELi16ELb0ELb1ELb0ELb0ELb0ELb0EEEvPT0_PvPT_S6_S6_PKS5_S8_S8_S8_S8_ffiiiiiiiiiiiii,@function
_ZN5aiter35fused_qk_rmsnorm_group_quant_kernelIDF16_DB8_Li64ELi8ELi16ELb0ELb1ELb0ELb0ELb0ELb0EEEvPT0_PvPT_S6_S6_PKS5_S8_S8_S8_S8_ffiiiiiiiiiiiii: ; @_ZN5aiter35fused_qk_rmsnorm_group_quant_kernelIDF16_DB8_Li64ELi8ELi16ELb0ELb1ELb0ELb0ELb0ELb0EEEvPT0_PvPT_S6_S6_PKS5_S8_S8_S8_S8_ffiiiiiiiiiiiii
; %bb.0:
	s_load_dwordx4 s[12:15], s[4:5], 0x50
	s_waitcnt lgkmcnt(0)
	s_cmp_ge_i32 s6, s14
	s_cbranch_scc1 .LBB133_10
; %bb.1:
	s_load_dwordx2 s[8:9], s[4:5], 0x48
	s_load_dwordx2 s[30:31], s[4:5], 0x30
	s_load_dwordx4 s[16:19], s[4:5], 0x60
	s_cmp_lg_u32 s7, 0
	s_cselect_b64 s[2:3], -1, 0
	s_cmp_eq_u32 s7, 0
	s_cselect_b64 vcc, -1, 0
	s_and_b64 s[0:1], vcc, exec
	s_waitcnt lgkmcnt(0)
	s_cselect_b32 s7, s15, s16
	s_add_i32 s0, s7, 1
	s_lshr_b32 s1, s0, 31
	s_add_i32 s0, s0, s1
	s_lshl_b32 s0, s0, 1
	v_lshlrev_b32_e32 v1, 3, v0
	s_and_b32 s22, s0, -4
	v_cmp_gt_i32_e64 s[0:1], s7, v1
	v_mov_b32_e32 v10, 0
	v_mov_b32_e32 v2, 0
	;; [unrolled: 1-line block ×9, first 2 shown]
	s_and_saveexec_b64 s[10:11], s[0:1]
	s_cbranch_execz .LBB133_3
; %bb.2:
	s_load_dwordx2 s[20:21], s[4:5], 0x28
	s_load_dwordx2 s[26:27], s[4:5], 0x40
	s_and_b64 s[24:25], vcc, exec
	s_cselect_b32 s14, s17, s18
	s_mov_b32 s23, 0x20000
	s_waitcnt lgkmcnt(0)
	s_cselect_b32 s17, s21, s31
	s_cselect_b32 s19, s20, s30
	s_mul_hi_i32 s21, s14, s6
	s_mul_i32 s20, s14, s6
	s_lshl_b64 s[20:21], s[20:21], 1
	s_add_u32 s24, s19, s20
	s_addc_u32 s14, s17, s21
	s_and_b64 s[20:21], vcc, exec
	s_cselect_b32 s20, s26, s8
	s_cselect_b32 s17, s27, s9
	v_lshlrev_b32_e32 v11, 4, v0
	s_and_b32 s25, s14, 0xffff
	s_mov_b32 s26, s22
	s_mov_b32 s27, s23
	s_and_b32 s21, s17, 0xffff
	buffer_load_dwordx4 v[6:9], v11, s[24:27], 0 offen glc slc
	buffer_load_dwordx4 v[2:5], v11, s[20:23], 0 offen
.LBB133_3:
	s_or_b64 exec, exec, s[10:11]
	v_mov_b32_e32 v11, 0
	v_mov_b32_e32 v16, 0
	;; [unrolled: 1-line block ×7, first 2 shown]
	s_and_saveexec_b64 s[10:11], s[0:1]
	s_cbranch_execz .LBB133_5
; %bb.4:
	s_waitcnt vmcnt(1)
	v_cvt_f32_f16_sdwa v11, v6 dst_sel:DWORD dst_unused:UNUSED_PAD src0_sel:WORD_1
	v_cvt_f32_f16_e32 v10, v6
	v_cvt_f32_f16_sdwa v17, v7 dst_sel:DWORD dst_unused:UNUSED_PAD src0_sel:WORD_1
	v_cvt_f32_f16_e32 v16, v7
	;; [unrolled: 2-line block ×4, first 2 shown]
.LBB133_5:
	s_or_b64 exec, exec, s[10:11]
	s_waitcnt vmcnt(1)
	v_mul_f32_e32 v6, v11, v11
	v_fmac_f32_e32 v6, v10, v10
	v_fmac_f32_e32 v6, v16, v16
	v_fmac_f32_e32 v6, v17, v17
	v_fmac_f32_e32 v6, v14, v14
	v_fmac_f32_e32 v6, v15, v15
	v_fmac_f32_e32 v6, v12, v12
	v_fmac_f32_e32 v6, v13, v13
	v_bfrev_b32_e32 v8, 0.5
	s_load_dwordx2 s[28:29], s[4:5], 0x18
	v_mov_b32_dpp v7, v6 quad_perm:[1,0,3,2] row_mask:0xf bank_mask:0xf
	v_add_f32_e32 v6, v6, v7
	s_nop 1
	v_mov_b32_dpp v7, v6 quad_perm:[2,3,0,1] row_mask:0xf bank_mask:0xf
	v_add_f32_e32 v6, v6, v7
	s_nop 1
	v_mov_b32_dpp v7, v6 row_half_mirror row_mask:0xf bank_mask:0xf
	v_add_f32_e32 v6, v6, v7
	s_nop 1
	v_mov_b32_dpp v7, v6 row_mirror row_mask:0xf bank_mask:0xf
	v_add_f32_e32 v6, v6, v7
	s_nop 1
	v_mov_b32_dpp v7, v6 row_bcast:15 row_mask:0xf bank_mask:0xf
	v_add_f32_e32 v6, v6, v7
	s_nop 1
	v_mov_b32_dpp v7, v6 row_bcast:31 row_mask:0xf bank_mask:0xf
	v_add_f32_e32 v6, v6, v7
	v_mbcnt_lo_u32_b32 v7, -1, 0
	v_mbcnt_hi_u32_b32 v7, -1, v7
	v_lshl_or_b32 v18, v7, 2, v8
	ds_bpermute_b32 v6, v18, v6
	s_and_saveexec_b64 s[10:11], s[0:1]
	s_cbranch_execz .LBB133_7
; %bb.6:
	v_cvt_f32_u32_e32 v7, s7
	v_mov_b32_e32 v8, s13
	v_mov_b32_e32 v9, s12
	v_cndmask_b32_e32 v8, v8, v9, vcc
	s_waitcnt lgkmcnt(0)
	v_div_scale_f32 v19, s[20:21], v7, v7, v6
	v_rcp_f32_e32 v20, v19
	v_div_scale_f32 v9, vcc, v6, v7, v6
	s_mov_b32 s7, 0x800000
	v_fma_f32 v21, -v19, v20, 1.0
	v_fmac_f32_e32 v20, v21, v20
	v_mul_f32_e32 v21, v9, v20
	v_fma_f32 v22, -v19, v21, v9
	v_fmac_f32_e32 v21, v22, v20
	v_fma_f32 v9, -v19, v21, v9
	v_div_fmas_f32 v9, v9, v20, v21
	v_div_fixup_f32 v6, v9, v7, v6
	v_add_f32_e32 v6, v8, v6
	v_mul_f32_e32 v7, 0x4b800000, v6
	v_cmp_gt_f32_e32 vcc, s7, v6
	v_cndmask_b32_e32 v6, v6, v7, vcc
	v_rsq_f32_e32 v6, v6
	s_waitcnt vmcnt(0)
	v_cvt_f32_f16_sdwa v21, v5 dst_sel:DWORD dst_unused:UNUSED_PAD src0_sel:WORD_1
	v_cvt_f32_f16_e32 v20, v5
	v_mul_f32_e32 v7, 0x45800000, v6
	v_cndmask_b32_e32 v6, v6, v7, vcc
	v_mov_b32_e32 v7, v6
	;;#ASMSTART
	v_pk_mul_f32 v[8:9], v[10:11], v[6:7]
	;;#ASMEND
	;;#ASMSTART
	v_pk_mul_f32 v[16:17], v[16:17], v[6:7]
	;;#ASMEND
	;; [unrolled: 3-line block ×4, first 2 shown]
	v_cvt_f32_f16_sdwa v11, v2 dst_sel:DWORD dst_unused:UNUSED_PAD src0_sel:WORD_1
	v_cvt_f32_f16_e32 v10, v2
	v_cvt_f32_f16_sdwa v13, v3 dst_sel:DWORD dst_unused:UNUSED_PAD src0_sel:WORD_1
	v_cvt_f32_f16_e32 v12, v3
	;; [unrolled: 2-line block ×3, first 2 shown]
	;;#ASMSTART
	v_pk_mul_f32 v[10:11], v[8:9], v[10:11]
	;;#ASMEND
	;;#ASMSTART
	v_pk_mul_f32 v[16:17], v[16:17], v[12:13]
	;;#ASMEND
	;; [unrolled: 3-line block ×4, first 2 shown]
.LBB133_7:
	s_or_b64 exec, exec, s[10:11]
	s_load_dword s7, s[4:5], 0x80
	s_mov_b64 s[10:11], -1
	s_and_b64 vcc, exec, s[2:3]
	s_cbranch_vccnz .LBB133_11
; %bb.8:
	s_andn2_b64 vcc, exec, s[10:11]
	s_cbranch_vccz .LBB133_14
.LBB133_9:
	s_cmp_lt_i32 s16, 1
	s_cbranch_scc0 .LBB133_23
.LBB133_10:
	s_endpgm
.LBB133_11:
	s_and_saveexec_b64 s[2:3], s[0:1]
	s_cbranch_execz .LBB133_13
; %bb.12:
	s_waitcnt lgkmcnt(0)
	s_mul_hi_i32 s11, s7, s6
	s_mul_i32 s10, s7, s6
	s_waitcnt vmcnt(0)
	v_cvt_f16_f32_e32 v2, v10
	v_cvt_f16_f32_e32 v3, v16
	v_cvt_f16_f32_e32 v4, v14
	v_cvt_f16_f32_e32 v5, v12
	v_cvt_f16_f32_e32 v6, v13
	v_cvt_f16_f32_e32 v7, v15
	v_cvt_f16_f32_e32 v8, v17
	v_cvt_f16_f32_e32 v9, v11
	s_lshl_b64 s[10:11], s[10:11], 1
	s_add_u32 s20, s28, s10
	s_addc_u32 s10, s29, s11
	s_and_b32 s21, s10, 0xffff
	s_mov_b32 s23, 0x20000
	v_pack_b32_f16 v5, v5, v6
	v_pack_b32_f16 v4, v4, v7
	;; [unrolled: 1-line block ×4, first 2 shown]
	v_lshlrev_b32_e32 v6, 4, v0
	buffer_store_dwordx4 v[2:5], v6, s[20:23], 0 offen
	;;#ASMSTART
	s_nop 0
	;;#ASMEND
.LBB133_13:
	s_or_b64 exec, exec, s[2:3]
	s_cbranch_execnz .LBB133_9
.LBB133_14:
	s_load_dwordx4 s[24:27], s[4:5], 0x70
	s_waitcnt vmcnt(0)
	v_mov_b32_e32 v2, 0
	s_and_saveexec_b64 s[2:3], s[0:1]
	s_cbranch_execz .LBB133_16
; %bb.15:
	s_load_dwordx2 s[10:11], s[4:5], 0x10
	s_waitcnt lgkmcnt(0)
	s_mul_hi_i32 s21, s27, s6
	s_mul_i32 s20, s27, s6
	v_cvt_f16_f32_e32 v2, v10
	v_cvt_f16_f32_e32 v3, v16
	;; [unrolled: 1-line block ×8, first 2 shown]
	s_lshl_b64 s[20:21], s[20:21], 1
	s_add_u32 s20, s10, s20
	s_addc_u32 s10, s11, s21
	s_mov_b32 s23, 0x20000
	s_and_b32 s21, s10, 0xffff
	v_pack_b32_f16 v5, v5, v6
	v_pack_b32_f16 v4, v4, v7
	;; [unrolled: 1-line block ×4, first 2 shown]
	v_lshlrev_b32_e32 v6, 4, v0
	buffer_store_dwordx4 v[2:5], v6, s[20:23], 0 offen
	;;#ASMSTART
	s_nop 0
	;;#ASMEND
	s_nop 0
	v_mov_b32_e32 v2, 0x2edbe6ff
.LBB133_16:
	s_or_b64 exec, exec, s[2:3]
	s_and_saveexec_b64 s[2:3], s[0:1]
	s_cbranch_execz .LBB133_18
; %bb.17:
	v_and_b32_e32 v3, 0x7fffffff, v10
	v_and_b32_e32 v4, 0x7fffffff, v11
	;;#ASMSTART
	v_max3_f32 v2, v2, v3, v4

	;;#ASMEND
	v_and_b32_e32 v3, 0x7fffffff, v16
	v_and_b32_e32 v4, 0x7fffffff, v17
	;;#ASMSTART
	v_max3_f32 v2, v2, v3, v4

	;;#ASMEND
	;; [unrolled: 6-line block ×4, first 2 shown]
.LBB133_18:
	s_or_b64 exec, exec, s[2:3]
	;;#ASMSTART
	v_max_f32 v3, v2, v2 quad_perm:[1,0,3,2] row_mask:0xf bank_mask:0xf bound_ctrl:1
	;;#ASMEND
	;;#ASMSTART
	v_max_f32 v2, v3, v3 quad_perm:[2,3,0,1] row_mask:0xf bank_mask:0xf bound_ctrl:1
	;;#ASMEND
	;;#ASMSTART
	v_max_f32 v3, v2, v2 row_half_mirror row_mask:0xf bank_mask:0xf bound_ctrl:1
	;;#ASMEND
	;;#ASMSTART
	v_max_f32 v2, v3, v3 row_mirror row_mask:0xf bank_mask:0xf bound_ctrl:1
	;;#ASMEND
	v_and_b32_e32 v3, 15, v0
	v_cmp_eq_u32_e32 vcc, 0, v3
	v_cmp_gt_i32_e64 s[2:3], s15, v1
	v_mul_f32_e32 v2, 0x3b124925, v2
	s_and_b64 s[10:11], vcc, s[2:3]
	s_and_saveexec_b64 s[2:3], s[10:11]
	s_cbranch_execz .LBB133_20
; %bb.19:
	s_load_dwordx2 s[10:11], s[4:5], 0x8
	s_waitcnt lgkmcnt(0)
	s_mul_hi_i32 s21, s25, s6
	s_mul_i32 s20, s25, s6
	v_lshrrev_b32_e32 v3, 4, v0
	s_lshl_b64 s[20:21], s[20:21], 2
	v_mad_i64_i32 v[4:5], s[22:23], s26, v3, 0
	s_add_u32 s10, s10, s20
	s_addc_u32 s11, s11, s21
	v_lshlrev_b64 v[4:5], 2, v[4:5]
	v_mov_b32_e32 v3, s11
	v_add_co_u32_e32 v4, vcc, s10, v4
	v_addc_co_u32_e32 v5, vcc, v3, v5, vcc
	global_store_dword v[4:5], v2, off
.LBB133_20:
	s_or_b64 exec, exec, s[2:3]
	;;#ASMSTART
	v_rcp_f32 v2, v2
	;;#ASMEND
	s_and_saveexec_b64 s[10:11], s[0:1]
	s_cbranch_execz .LBB133_22
; %bb.21:
	v_mov_b32_e32 v3, v2
	;;#ASMSTART
	v_pk_mul_f32 v[4:5], v[10:11], v[2:3]
	;;#ASMEND
	s_load_dwordx2 s[0:1], s[4:5], 0x0
	v_mov_b32_e32 v8, 0xc3e00000
	v_mov_b32_e32 v9, 0x43e00000
	s_waitcnt lgkmcnt(0)
	;;#ASMSTART
	v_med3_f32 v4, v4, v8, v9
v_med3_f32 v5, v5, v8, v9
v_cvt_pk_fp8_f32 v6, v4, v5
	;;#ASMEND
	;;#ASMSTART
	v_pk_mul_f32 v[4:5], v[16:17], v[2:3]
	;;#ASMEND
	;;#ASMSTART
	v_med3_f32 v4, v4, v8, v9
v_med3_f32 v5, v5, v8, v9
v_cvt_pk_fp8_f32 v7, v4, v5
	;;#ASMEND
	s_mov_b32 s14, 0x5040100
	v_perm_b32 v5, v7, v6, s14
	s_movk_i32 s14, 0xff
	s_mul_i32 s3, s24, s6
	v_and_b32_e32 v4, 0xffffff00, v7
	v_and_b32_sdwa v6, v5, s14 dst_sel:DWORD dst_unused:UNUSED_PAD src0_sel:WORD_1 src1_sel:DWORD
	s_mul_hi_i32 s2, s24, s6
	s_mov_b32 s12, 0xffff
	s_add_u32 s0, s0, s3
	v_or_b32_sdwa v4, v6, v4 dst_sel:WORD_1 dst_unused:UNUSED_PAD src0_sel:DWORD src1_sel:DWORD
	s_addc_u32 s1, s1, s2
	s_add_i32 s2, s15, 3
	v_and_or_b32 v4, v5, s12, v4
	;;#ASMSTART
	v_pk_mul_f32 v[6:7], v[14:15], v[2:3]
	;;#ASMEND
	v_mov_b32_e32 v5, v7
	s_ashr_i32 s3, s2, 31
	;;#ASMSTART
	v_med3_f32 v6, v6, v8, v9
v_med3_f32 v5, v5, v8, v9
v_cvt_pk_fp8_f32 v7, v6, v5
	;;#ASMEND
	;;#ASMSTART
	v_pk_mul_f32 v[2:3], v[12:13], v[2:3]
	;;#ASMEND
	s_lshr_b32 s3, s3, 30
	;;#ASMSTART
	v_med3_f32 v2, v2, v8, v9
v_med3_f32 v3, v3, v8, v9
v_cvt_pk_fp8_f32 v5, v2, v3
	;;#ASMEND
	s_add_i32 s2, s2, s3
	v_lshlrev_b32_e32 v2, 16, v5
	s_and_b32 s2, s2, -4
	s_and_b32 s1, s1, 0xffff
	s_mov_b32 s3, 0x20000
	v_and_or_b32 v5, v7, s12, v2
	buffer_store_dwordx2 v[4:5], v1, s[0:3], 0 offen
	;;#ASMSTART
	s_nop 0
	;;#ASMEND
.LBB133_22:
	s_or_b64 exec, exec, s[10:11]
	s_cmp_lt_i32 s16, 1
	s_cbranch_scc1 .LBB133_10
.LBB133_23:
	s_load_dword s0, s[4:5], 0x94
	s_waitcnt lgkmcnt(0)
	s_cmp_lg_u32 s0, 1
	s_cbranch_scc1 .LBB133_10
; %bb.24:
	s_lshl_b32 s0, s16, 1
	s_add_i32 s0, s0, 2
	v_cmp_gt_u32_e32 vcc, s16, v1
	s_and_b32 s10, s0, -4
	v_mov_b32_e32 v8, 0
	v_lshlrev_b32_e32 v16, 4, v0
	s_waitcnt vmcnt(0)
	v_mov_b32_e32 v4, 0
	v_mov_b32_e32 v5, 0
	;; [unrolled: 1-line block ×8, first 2 shown]
	s_barrier
	s_and_saveexec_b64 s[0:1], vcc
	s_cbranch_execz .LBB133_26
; %bb.25:
	s_mul_hi_i32 s3, s18, s6
	s_mul_i32 s2, s18, s6
	s_and_b32 s9, s9, 0xffff
	s_lshl_b64 s[2:3], s[2:3], 1
	s_add_u32 s20, s30, s2
	s_mov_b32 s11, 0x20000
	s_addc_u32 s2, s31, s3
	s_and_b32 s21, s2, 0xffff
	s_mov_b32 s22, s10
	s_mov_b32 s23, s11
	buffer_load_dwordx4 v[4:7], v16, s[20:23], 0 offen glc slc
	buffer_load_dwordx4 v[0:3], v16, s[8:11], 0 offen
.LBB133_26:
	s_or_b64 exec, exec, s[0:1]
	v_mov_b32_e32 v9, 0
	v_mov_b32_e32 v14, 0
	;; [unrolled: 1-line block ×7, first 2 shown]
	s_and_saveexec_b64 s[0:1], vcc
	s_cbranch_execz .LBB133_28
; %bb.27:
	s_waitcnt vmcnt(1)
	v_cvt_f32_f16_sdwa v9, v4 dst_sel:DWORD dst_unused:UNUSED_PAD src0_sel:WORD_1
	v_cvt_f32_f16_e32 v8, v4
	v_cvt_f32_f16_sdwa v15, v5 dst_sel:DWORD dst_unused:UNUSED_PAD src0_sel:WORD_1
	v_cvt_f32_f16_e32 v14, v5
	;; [unrolled: 2-line block ×4, first 2 shown]
.LBB133_28:
	s_or_b64 exec, exec, s[0:1]
	s_waitcnt vmcnt(1)
	v_mul_f32_e32 v4, v9, v9
	v_fmac_f32_e32 v4, v8, v8
	v_fmac_f32_e32 v4, v14, v14
	;; [unrolled: 1-line block ×7, first 2 shown]
	s_nop 1
	v_mov_b32_dpp v5, v4 quad_perm:[1,0,3,2] row_mask:0xf bank_mask:0xf
	v_add_f32_e32 v4, v4, v5
	s_nop 1
	v_mov_b32_dpp v5, v4 quad_perm:[2,3,0,1] row_mask:0xf bank_mask:0xf
	v_add_f32_e32 v4, v4, v5
	s_nop 1
	v_mov_b32_dpp v5, v4 row_half_mirror row_mask:0xf bank_mask:0xf
	v_add_f32_e32 v4, v4, v5
	s_nop 1
	v_mov_b32_dpp v5, v4 row_mirror row_mask:0xf bank_mask:0xf
	v_add_f32_e32 v4, v4, v5
	s_nop 1
	v_mov_b32_dpp v5, v4 row_bcast:15 row_mask:0xf bank_mask:0xf
	v_add_f32_e32 v4, v4, v5
	s_nop 1
	v_mov_b32_dpp v5, v4 row_bcast:31 row_mask:0xf bank_mask:0xf
	v_add_f32_e32 v4, v4, v5
	ds_bpermute_b32 v4, v18, v4
	s_and_saveexec_b64 s[0:1], vcc
	s_cbranch_execz .LBB133_10
; %bb.29:
	v_cvt_f32_u32_e32 v5, s16
	s_mov_b32 s11, 0x20000
	s_waitcnt lgkmcnt(0)
	v_div_scale_f32 v6, s[0:1], v5, v5, v4
	v_rcp_f32_e32 v7, v6
	v_div_scale_f32 v17, vcc, v4, v5, v4
	s_mov_b32 s0, 0x800000
	v_fma_f32 v18, -v6, v7, 1.0
	v_fmac_f32_e32 v7, v18, v7
	v_mul_f32_e32 v18, v17, v7
	v_fma_f32 v19, -v6, v18, v17
	v_fmac_f32_e32 v18, v19, v7
	v_fma_f32 v6, -v6, v18, v17
	v_div_fmas_f32 v6, v6, v7, v18
	v_div_fixup_f32 v4, v6, v5, v4
	v_add_f32_e32 v4, s13, v4
	v_mul_f32_e32 v5, 0x4b800000, v4
	v_cmp_gt_f32_e32 vcc, s0, v4
	v_cndmask_b32_e32 v4, v4, v5, vcc
	v_rsq_f32_e32 v4, v4
	s_waitcnt vmcnt(0)
	v_cvt_f32_f16_sdwa v19, v3 dst_sel:DWORD dst_unused:UNUSED_PAD src0_sel:WORD_1
	v_cvt_f32_f16_e32 v18, v3
	s_mul_hi_i32 s1, s7, s6
	v_mul_f32_e32 v5, 0x45800000, v4
	v_cndmask_b32_e32 v4, v4, v5, vcc
	v_mov_b32_e32 v5, v4
	;;#ASMSTART
	v_pk_mul_f32 v[6:7], v[8:9], v[4:5]
	;;#ASMEND
	;;#ASMSTART
	v_pk_mul_f32 v[8:9], v[14:15], v[4:5]
	;;#ASMEND
	;; [unrolled: 3-line block ×4, first 2 shown]
	v_cvt_f32_f16_sdwa v11, v0 dst_sel:DWORD dst_unused:UNUSED_PAD src0_sel:WORD_1
	v_cvt_f32_f16_e32 v10, v0
	v_cvt_f32_f16_sdwa v15, v1 dst_sel:DWORD dst_unused:UNUSED_PAD src0_sel:WORD_1
	v_cvt_f32_f16_e32 v14, v1
	;; [unrolled: 2-line block ×3, first 2 shown]
	;;#ASMSTART
	v_pk_mul_f32 v[2:3], v[6:7], v[10:11]
	;;#ASMEND
	;;#ASMSTART
	v_pk_mul_f32 v[6:7], v[8:9], v[14:15]
	;;#ASMEND
	;; [unrolled: 3-line block ×4, first 2 shown]
	s_mul_i32 s0, s7, s6
	v_cvt_f16_f32_e32 v2, v2
	v_cvt_f16_f32_e32 v3, v3
	;; [unrolled: 1-line block ×8, first 2 shown]
	s_lshl_b64 s[0:1], s[0:1], 1
	s_add_u32 s8, s28, s0
	s_addc_u32 s0, s29, s1
	s_and_b32 s9, s0, 0xffff
	v_pack_b32_f16 v0, v2, v3
	v_pack_b32_f16 v1, v6, v7
	;; [unrolled: 1-line block ×4, first 2 shown]
	buffer_store_dwordx4 v[0:3], v16, s[8:11], 0 offen
	;;#ASMSTART
	s_nop 0
	;;#ASMEND
	s_endpgm
	.section	.rodata,"a",@progbits
	.p2align	6, 0x0
	.amdhsa_kernel _ZN5aiter35fused_qk_rmsnorm_group_quant_kernelIDF16_DB8_Li64ELi8ELi16ELb0ELb1ELb0ELb0ELb0ELb0EEEvPT0_PvPT_S6_S6_PKS5_S8_S8_S8_S8_ffiiiiiiiiiiiii
		.amdhsa_group_segment_fixed_size 0
		.amdhsa_private_segment_fixed_size 0
		.amdhsa_kernarg_size 400
		.amdhsa_user_sgpr_count 6
		.amdhsa_user_sgpr_private_segment_buffer 1
		.amdhsa_user_sgpr_dispatch_ptr 0
		.amdhsa_user_sgpr_queue_ptr 0
		.amdhsa_user_sgpr_kernarg_segment_ptr 1
		.amdhsa_user_sgpr_dispatch_id 0
		.amdhsa_user_sgpr_flat_scratch_init 0
		.amdhsa_user_sgpr_kernarg_preload_length 0
		.amdhsa_user_sgpr_kernarg_preload_offset 0
		.amdhsa_user_sgpr_private_segment_size 0
		.amdhsa_uses_dynamic_stack 0
		.amdhsa_system_sgpr_private_segment_wavefront_offset 0
		.amdhsa_system_sgpr_workgroup_id_x 1
		.amdhsa_system_sgpr_workgroup_id_y 1
		.amdhsa_system_sgpr_workgroup_id_z 0
		.amdhsa_system_sgpr_workgroup_info 0
		.amdhsa_system_vgpr_workitem_id 0
		.amdhsa_next_free_vgpr 23
		.amdhsa_next_free_sgpr 32
		.amdhsa_accum_offset 24
		.amdhsa_reserve_vcc 1
		.amdhsa_reserve_flat_scratch 0
		.amdhsa_float_round_mode_32 0
		.amdhsa_float_round_mode_16_64 0
		.amdhsa_float_denorm_mode_32 3
		.amdhsa_float_denorm_mode_16_64 3
		.amdhsa_dx10_clamp 1
		.amdhsa_ieee_mode 1
		.amdhsa_fp16_overflow 0
		.amdhsa_tg_split 0
		.amdhsa_exception_fp_ieee_invalid_op 0
		.amdhsa_exception_fp_denorm_src 0
		.amdhsa_exception_fp_ieee_div_zero 0
		.amdhsa_exception_fp_ieee_overflow 0
		.amdhsa_exception_fp_ieee_underflow 0
		.amdhsa_exception_fp_ieee_inexact 0
		.amdhsa_exception_int_div_zero 0
	.end_amdhsa_kernel
	.section	.text._ZN5aiter35fused_qk_rmsnorm_group_quant_kernelIDF16_DB8_Li64ELi8ELi16ELb0ELb1ELb0ELb0ELb0ELb0EEEvPT0_PvPT_S6_S6_PKS5_S8_S8_S8_S8_ffiiiiiiiiiiiii,"axG",@progbits,_ZN5aiter35fused_qk_rmsnorm_group_quant_kernelIDF16_DB8_Li64ELi8ELi16ELb0ELb1ELb0ELb0ELb0ELb0EEEvPT0_PvPT_S6_S6_PKS5_S8_S8_S8_S8_ffiiiiiiiiiiiii,comdat
.Lfunc_end133:
	.size	_ZN5aiter35fused_qk_rmsnorm_group_quant_kernelIDF16_DB8_Li64ELi8ELi16ELb0ELb1ELb0ELb0ELb0ELb0EEEvPT0_PvPT_S6_S6_PKS5_S8_S8_S8_S8_ffiiiiiiiiiiiii, .Lfunc_end133-_ZN5aiter35fused_qk_rmsnorm_group_quant_kernelIDF16_DB8_Li64ELi8ELi16ELb0ELb1ELb0ELb0ELb0ELb0EEEvPT0_PvPT_S6_S6_PKS5_S8_S8_S8_S8_ffiiiiiiiiiiiii
                                        ; -- End function
	.section	.AMDGPU.csdata,"",@progbits
; Kernel info:
; codeLenInByte = 2512
; NumSgprs: 36
; NumVgprs: 23
; NumAgprs: 0
; TotalNumVgprs: 23
; ScratchSize: 0
; MemoryBound: 0
; FloatMode: 240
; IeeeMode: 1
; LDSByteSize: 0 bytes/workgroup (compile time only)
; SGPRBlocks: 4
; VGPRBlocks: 2
; NumSGPRsForWavesPerEU: 36
; NumVGPRsForWavesPerEU: 23
; AccumOffset: 24
; Occupancy: 8
; WaveLimiterHint : 0
; COMPUTE_PGM_RSRC2:SCRATCH_EN: 0
; COMPUTE_PGM_RSRC2:USER_SGPR: 6
; COMPUTE_PGM_RSRC2:TRAP_HANDLER: 0
; COMPUTE_PGM_RSRC2:TGID_X_EN: 1
; COMPUTE_PGM_RSRC2:TGID_Y_EN: 1
; COMPUTE_PGM_RSRC2:TGID_Z_EN: 0
; COMPUTE_PGM_RSRC2:TIDIG_COMP_CNT: 0
; COMPUTE_PGM_RSRC3_GFX90A:ACCUM_OFFSET: 5
; COMPUTE_PGM_RSRC3_GFX90A:TG_SPLIT: 0
	.section	.text._ZN5aiter35fused_qk_rmsnorm_group_quant_kernelItDB8_Li64ELi8ELi16ELb0ELb1ELb0ELb0ELb0ELb0EEEvPT0_PvPT_S6_S6_PKS5_S8_S8_S8_S8_ffiiiiiiiiiiiii,"axG",@progbits,_ZN5aiter35fused_qk_rmsnorm_group_quant_kernelItDB8_Li64ELi8ELi16ELb0ELb1ELb0ELb0ELb0ELb0EEEvPT0_PvPT_S6_S6_PKS5_S8_S8_S8_S8_ffiiiiiiiiiiiii,comdat
	.protected	_ZN5aiter35fused_qk_rmsnorm_group_quant_kernelItDB8_Li64ELi8ELi16ELb0ELb1ELb0ELb0ELb0ELb0EEEvPT0_PvPT_S6_S6_PKS5_S8_S8_S8_S8_ffiiiiiiiiiiiii ; -- Begin function _ZN5aiter35fused_qk_rmsnorm_group_quant_kernelItDB8_Li64ELi8ELi16ELb0ELb1ELb0ELb0ELb0ELb0EEEvPT0_PvPT_S6_S6_PKS5_S8_S8_S8_S8_ffiiiiiiiiiiiii
	.globl	_ZN5aiter35fused_qk_rmsnorm_group_quant_kernelItDB8_Li64ELi8ELi16ELb0ELb1ELb0ELb0ELb0ELb0EEEvPT0_PvPT_S6_S6_PKS5_S8_S8_S8_S8_ffiiiiiiiiiiiii
	.p2align	8
	.type	_ZN5aiter35fused_qk_rmsnorm_group_quant_kernelItDB8_Li64ELi8ELi16ELb0ELb1ELb0ELb0ELb0ELb0EEEvPT0_PvPT_S6_S6_PKS5_S8_S8_S8_S8_ffiiiiiiiiiiiii,@function
_ZN5aiter35fused_qk_rmsnorm_group_quant_kernelItDB8_Li64ELi8ELi16ELb0ELb1ELb0ELb0ELb0ELb0EEEvPT0_PvPT_S6_S6_PKS5_S8_S8_S8_S8_ffiiiiiiiiiiiii: ; @_ZN5aiter35fused_qk_rmsnorm_group_quant_kernelItDB8_Li64ELi8ELi16ELb0ELb1ELb0ELb0ELb0ELb0EEEvPT0_PvPT_S6_S6_PKS5_S8_S8_S8_S8_ffiiiiiiiiiiiii
; %bb.0:
	s_load_dwordx4 s[12:15], s[4:5], 0x50
	s_waitcnt lgkmcnt(0)
	s_cmp_ge_i32 s6, s14
	s_cbranch_scc1 .LBB134_8
; %bb.1:
	s_load_dwordx2 s[8:9], s[4:5], 0x48
	s_load_dwordx2 s[30:31], s[4:5], 0x30
	s_load_dwordx4 s[16:19], s[4:5], 0x60
	s_cmp_lg_u32 s7, 0
	s_cselect_b64 s[2:3], -1, 0
	s_cmp_eq_u32 s7, 0
	s_cselect_b64 vcc, -1, 0
	s_and_b64 s[0:1], vcc, exec
	s_waitcnt lgkmcnt(0)
	s_cselect_b32 s7, s15, s16
	s_add_i32 s0, s7, 1
	s_lshr_b32 s1, s0, 31
	s_add_i32 s0, s0, s1
	s_lshl_b32 s0, s0, 1
	v_lshlrev_b32_e32 v1, 3, v0
	s_and_b32 s22, s0, -4
	v_cmp_gt_i32_e64 s[0:1], s7, v1
	v_mov_b32_e32 v2, 0
	v_mov_b32_e32 v3, 0
	v_mov_b32_e32 v4, 0
	v_mov_b32_e32 v5, 0
	v_mov_b32_e32 v6, 0
	v_mov_b32_e32 v7, 0
	v_mov_b32_e32 v8, 0
	v_mov_b32_e32 v9, 0
	s_and_saveexec_b64 s[10:11], s[0:1]
	s_cbranch_execz .LBB134_3
; %bb.2:
	s_load_dwordx2 s[20:21], s[4:5], 0x28
	s_load_dwordx2 s[26:27], s[4:5], 0x40
	s_and_b64 s[24:25], vcc, exec
	s_cselect_b32 s14, s17, s18
	s_mov_b32 s23, 0x20000
	s_waitcnt lgkmcnt(0)
	s_cselect_b32 s17, s21, s31
	s_cselect_b32 s19, s20, s30
	s_mul_hi_i32 s21, s14, s6
	s_mul_i32 s20, s14, s6
	s_lshl_b64 s[20:21], s[20:21], 1
	s_add_u32 s24, s19, s20
	s_addc_u32 s14, s17, s21
	s_and_b64 s[20:21], vcc, exec
	s_cselect_b32 s20, s26, s8
	s_cselect_b32 s17, s27, s9
	v_lshlrev_b32_e32 v10, 4, v0
	s_and_b32 s25, s14, 0xffff
	s_mov_b32 s26, s22
	s_mov_b32 s27, s23
	s_and_b32 s21, s17, 0xffff
	buffer_load_dwordx4 v[6:9], v10, s[24:27], 0 offen glc slc
	buffer_load_dwordx4 v[2:5], v10, s[20:23], 0 offen
.LBB134_3:
	s_or_b64 exec, exec, s[10:11]
	s_waitcnt vmcnt(1)
	v_cvt_f32_u32_sdwa v13, v6 dst_sel:DWORD dst_unused:UNUSED_PAD src0_sel:WORD_1
	v_cvt_f32_u32_sdwa v12, v6 dst_sel:DWORD dst_unused:UNUSED_PAD src0_sel:WORD_0
	v_cvt_f32_u32_sdwa v6, v9 dst_sel:DWORD dst_unused:UNUSED_PAD src0_sel:WORD_1
	v_cvt_f32_u32_sdwa v9, v9 dst_sel:DWORD dst_unused:UNUSED_PAD src0_sel:WORD_0
	;; [unrolled: 2-line block ×4, first 2 shown]
	v_cndmask_b32_e64 v13, 0, v13, s[0:1]
	v_cndmask_b32_e64 v7, 0, v6, s[0:1]
	;; [unrolled: 1-line block ×5, first 2 shown]
	v_mul_f32_e32 v14, v13, v13
	v_cndmask_b32_e64 v10, 0, v10, s[0:1]
	v_fmac_f32_e32 v14, v12, v12
	v_cndmask_b32_e64 v11, 0, v11, s[0:1]
	v_fmac_f32_e32 v14, v10, v10
	v_cndmask_b32_e64 v8, 0, v8, s[0:1]
	v_fmac_f32_e32 v14, v11, v11
	v_fmac_f32_e32 v14, v8, v8
	v_fmac_f32_e32 v14, v9, v9
	;; [unrolled: 1-line block ×4, first 2 shown]
	v_bfrev_b32_e32 v16, 0.5
	s_load_dwordx2 s[28:29], s[4:5], 0x18
	v_mov_b32_dpp v15, v14 quad_perm:[1,0,3,2] row_mask:0xf bank_mask:0xf
	v_add_f32_e32 v14, v14, v15
	s_nop 1
	v_mov_b32_dpp v15, v14 quad_perm:[2,3,0,1] row_mask:0xf bank_mask:0xf
	v_add_f32_e32 v14, v14, v15
	s_nop 1
	v_mov_b32_dpp v15, v14 row_half_mirror row_mask:0xf bank_mask:0xf
	v_add_f32_e32 v14, v14, v15
	s_nop 1
	v_mov_b32_dpp v15, v14 row_mirror row_mask:0xf bank_mask:0xf
	v_add_f32_e32 v14, v14, v15
	s_nop 1
	v_mov_b32_dpp v15, v14 row_bcast:15 row_mask:0xf bank_mask:0xf
	v_add_f32_e32 v14, v14, v15
	s_nop 1
	v_mov_b32_dpp v15, v14 row_bcast:31 row_mask:0xf bank_mask:0xf
	v_add_f32_e32 v15, v14, v15
	v_mbcnt_lo_u32_b32 v14, -1, 0
	v_mbcnt_hi_u32_b32 v14, -1, v14
	v_lshl_or_b32 v14, v14, 2, v16
	ds_bpermute_b32 v15, v14, v15
	s_and_saveexec_b64 s[10:11], s[0:1]
	s_cbranch_execz .LBB134_5
; %bb.4:
	v_cvt_f32_u32_e32 v16, s7
	v_mov_b32_e32 v17, s13
	v_mov_b32_e32 v18, s12
	v_cndmask_b32_e32 v17, v17, v18, vcc
	s_waitcnt lgkmcnt(0)
	v_div_scale_f32 v19, s[20:21], v16, v16, v15
	v_rcp_f32_e32 v20, v19
	v_div_scale_f32 v18, vcc, v15, v16, v15
	s_mov_b32 s7, 0x800000
	v_fma_f32 v21, -v19, v20, 1.0
	v_fmac_f32_e32 v20, v21, v20
	v_mul_f32_e32 v21, v18, v20
	v_fma_f32 v22, -v19, v21, v18
	v_fmac_f32_e32 v21, v22, v20
	v_fma_f32 v18, -v19, v21, v18
	v_div_fmas_f32 v18, v18, v20, v21
	v_div_fixup_f32 v15, v18, v16, v15
	v_add_f32_e32 v15, v17, v15
	v_mul_f32_e32 v16, 0x4b800000, v15
	v_cmp_gt_f32_e32 vcc, s7, v15
	v_cndmask_b32_e32 v15, v15, v16, vcc
	v_rsq_f32_e32 v15, v15
	s_waitcnt vmcnt(0)
	v_cvt_f32_u32_sdwa v19, v3 dst_sel:DWORD dst_unused:UNUSED_PAD src0_sel:WORD_1
	v_cvt_f32_u32_sdwa v18, v3 dst_sel:DWORD dst_unused:UNUSED_PAD src0_sel:WORD_0
	v_cvt_f32_u32_sdwa v3, v4 dst_sel:DWORD dst_unused:UNUSED_PAD src0_sel:WORD_1
	v_mul_f32_e32 v16, 0x45800000, v15
	v_cndmask_b32_e32 v16, v15, v16, vcc
	v_mov_b32_e32 v17, v16
	;;#ASMSTART
	v_pk_mul_f32 v[12:13], v[12:13], v[16:17]
	;;#ASMEND
	;;#ASMSTART
	v_pk_mul_f32 v[10:11], v[10:11], v[16:17]
	;;#ASMEND
	;;#ASMSTART
	v_pk_mul_f32 v[8:9], v[8:9], v[16:17]
	;;#ASMEND
	;;#ASMSTART
	v_pk_mul_f32 v[6:7], v[6:7], v[16:17]
	;;#ASMEND
	v_cvt_f32_u32_sdwa v17, v2 dst_sel:DWORD dst_unused:UNUSED_PAD src0_sel:WORD_1
	v_cvt_f32_u32_sdwa v16, v2 dst_sel:DWORD dst_unused:UNUSED_PAD src0_sel:WORD_0
	v_cvt_f32_u32_sdwa v2, v4 dst_sel:DWORD dst_unused:UNUSED_PAD src0_sel:WORD_0
	v_cvt_f32_u32_sdwa v21, v5 dst_sel:DWORD dst_unused:UNUSED_PAD src0_sel:WORD_1
	v_cvt_f32_u32_sdwa v20, v5 dst_sel:DWORD dst_unused:UNUSED_PAD src0_sel:WORD_0
	;;#ASMSTART
	v_pk_mul_f32 v[12:13], v[12:13], v[16:17]
	;;#ASMEND
	;;#ASMSTART
	v_pk_mul_f32 v[10:11], v[10:11], v[18:19]
	;;#ASMEND
	;; [unrolled: 3-line block ×4, first 2 shown]
.LBB134_5:
	s_or_b64 exec, exec, s[10:11]
	s_load_dword s7, s[4:5], 0x80
	s_mov_b64 s[10:11], -1
	s_and_b64 vcc, exec, s[2:3]
	s_cbranch_vccnz .LBB134_9
; %bb.6:
	s_andn2_b64 vcc, exec, s[10:11]
	s_cbranch_vccz .LBB134_12
.LBB134_7:
	s_cmp_lt_i32 s16, 1
	s_cbranch_scc0 .LBB134_21
.LBB134_8:
	s_endpgm
.LBB134_9:
	s_and_saveexec_b64 s[2:3], s[0:1]
	s_cbranch_execz .LBB134_11
; %bb.10:
	s_waitcnt lgkmcnt(0)
	s_mul_hi_i32 s11, s7, s6
	s_mul_i32 s10, s7, s6
	s_lshl_b64 s[10:11], s[10:11], 1
	s_add_u32 s20, s28, s10
	s_addc_u32 s10, s29, s11
	s_and_b32 s21, s10, 0xffff
	s_mov_b32 s10, 0x7060302
	s_mov_b32 s23, 0x20000
	s_waitcnt vmcnt(0)
	v_perm_b32 v2, v13, v12, s10
	v_perm_b32 v3, v11, v10, s10
	;; [unrolled: 1-line block ×4, first 2 shown]
	v_lshlrev_b32_e32 v15, 4, v0
	buffer_store_dwordx4 v[2:5], v15, s[20:23], 0 offen
	;;#ASMSTART
	s_nop 0
	;;#ASMEND
.LBB134_11:
	s_or_b64 exec, exec, s[2:3]
	s_cbranch_execnz .LBB134_7
.LBB134_12:
	s_load_dwordx4 s[24:27], s[4:5], 0x70
	s_waitcnt vmcnt(0)
	v_mov_b32_e32 v2, 0
	s_and_saveexec_b64 s[2:3], s[0:1]
	s_cbranch_execz .LBB134_14
; %bb.13:
	s_load_dwordx2 s[10:11], s[4:5], 0x10
	s_waitcnt lgkmcnt(0)
	s_mul_hi_i32 s21, s27, s6
	s_mul_i32 s20, s27, s6
	s_lshl_b64 s[20:21], s[20:21], 1
	s_mov_b32 s23, 0x20000
	s_add_u32 s20, s10, s20
	s_addc_u32 s10, s11, s21
	s_and_b32 s21, s10, 0xffff
	s_mov_b32 s10, 0x7060302
	v_perm_b32 v2, v13, v12, s10
	v_perm_b32 v3, v11, v10, s10
	;; [unrolled: 1-line block ×4, first 2 shown]
	v_lshlrev_b32_e32 v15, 4, v0
	buffer_store_dwordx4 v[2:5], v15, s[20:23], 0 offen
	;;#ASMSTART
	s_nop 0
	;;#ASMEND
	s_nop 0
	v_mov_b32_e32 v2, 0x2edbe6ff
.LBB134_14:
	s_or_b64 exec, exec, s[2:3]
	s_and_saveexec_b64 s[2:3], s[0:1]
	s_cbranch_execz .LBB134_16
; %bb.15:
	v_and_b32_e32 v3, 0x7fffffff, v12
	v_and_b32_e32 v4, 0x7fffffff, v13
	;;#ASMSTART
	v_max3_f32 v2, v2, v3, v4

	;;#ASMEND
	v_and_b32_e32 v3, 0x7fffffff, v10
	v_and_b32_e32 v4, 0x7fffffff, v11
	;;#ASMSTART
	v_max3_f32 v2, v2, v3, v4

	;;#ASMEND
	;; [unrolled: 6-line block ×4, first 2 shown]
.LBB134_16:
	s_or_b64 exec, exec, s[2:3]
	;;#ASMSTART
	v_max_f32 v3, v2, v2 quad_perm:[1,0,3,2] row_mask:0xf bank_mask:0xf bound_ctrl:1
	;;#ASMEND
	;;#ASMSTART
	v_max_f32 v2, v3, v3 quad_perm:[2,3,0,1] row_mask:0xf bank_mask:0xf bound_ctrl:1
	;;#ASMEND
	;;#ASMSTART
	v_max_f32 v3, v2, v2 row_half_mirror row_mask:0xf bank_mask:0xf bound_ctrl:1
	;;#ASMEND
	;;#ASMSTART
	v_max_f32 v2, v3, v3 row_mirror row_mask:0xf bank_mask:0xf bound_ctrl:1
	;;#ASMEND
	v_and_b32_e32 v3, 15, v0
	v_cmp_eq_u32_e32 vcc, 0, v3
	v_cmp_gt_i32_e64 s[2:3], s15, v1
	v_mul_f32_e32 v2, 0x3b124925, v2
	s_and_b64 s[10:11], vcc, s[2:3]
	s_and_saveexec_b64 s[2:3], s[10:11]
	s_cbranch_execz .LBB134_18
; %bb.17:
	s_load_dwordx2 s[10:11], s[4:5], 0x8
	s_waitcnt lgkmcnt(0)
	s_mul_hi_i32 s21, s25, s6
	s_mul_i32 s20, s25, s6
	v_lshrrev_b32_e32 v3, 4, v0
	s_lshl_b64 s[20:21], s[20:21], 2
	v_mad_i64_i32 v[4:5], s[22:23], s26, v3, 0
	s_add_u32 s10, s10, s20
	s_addc_u32 s11, s11, s21
	v_lshlrev_b64 v[4:5], 2, v[4:5]
	v_mov_b32_e32 v3, s11
	v_add_co_u32_e32 v4, vcc, s10, v4
	v_addc_co_u32_e32 v5, vcc, v3, v5, vcc
	global_store_dword v[4:5], v2, off
.LBB134_18:
	s_or_b64 exec, exec, s[2:3]
	;;#ASMSTART
	v_rcp_f32 v2, v2
	;;#ASMEND
	s_and_saveexec_b64 s[10:11], s[0:1]
	s_cbranch_execz .LBB134_20
; %bb.19:
	v_mov_b32_e32 v3, v2
	;;#ASMSTART
	v_pk_mul_f32 v[4:5], v[12:13], v[2:3]
	;;#ASMEND
	s_load_dwordx2 s[0:1], s[4:5], 0x0
	v_mov_b32_e32 v12, 0xc3e00000
	v_mov_b32_e32 v13, 0x43e00000
	s_waitcnt lgkmcnt(0)
	;;#ASMSTART
	v_med3_f32 v4, v4, v12, v13
v_med3_f32 v5, v5, v12, v13
v_cvt_pk_fp8_f32 v15, v4, v5
	;;#ASMEND
	;;#ASMSTART
	v_pk_mul_f32 v[4:5], v[10:11], v[2:3]
	;;#ASMEND
	;;#ASMSTART
	v_med3_f32 v4, v4, v12, v13
v_med3_f32 v5, v5, v12, v13
v_cvt_pk_fp8_f32 v10, v4, v5
	;;#ASMEND
	s_mov_b32 s14, 0x5040100
	v_perm_b32 v5, v10, v15, s14
	s_movk_i32 s14, 0xff
	s_mul_i32 s3, s24, s6
	v_and_b32_e32 v4, 0xffffff00, v10
	v_and_b32_sdwa v10, v5, s14 dst_sel:DWORD dst_unused:UNUSED_PAD src0_sel:WORD_1 src1_sel:DWORD
	s_mul_hi_i32 s2, s24, s6
	s_mov_b32 s12, 0xffff
	s_add_u32 s0, s0, s3
	v_or_b32_sdwa v4, v10, v4 dst_sel:WORD_1 dst_unused:UNUSED_PAD src0_sel:DWORD src1_sel:DWORD
	s_addc_u32 s1, s1, s2
	s_add_i32 s2, s15, 3
	v_and_or_b32 v4, v5, s12, v4
	;;#ASMSTART
	v_pk_mul_f32 v[8:9], v[8:9], v[2:3]
	;;#ASMEND
	v_mov_b32_e32 v5, v9
	s_ashr_i32 s3, s2, 31
	;;#ASMSTART
	v_med3_f32 v8, v8, v12, v13
v_med3_f32 v5, v5, v12, v13
v_cvt_pk_fp8_f32 v9, v8, v5
	;;#ASMEND
	;;#ASMSTART
	v_pk_mul_f32 v[2:3], v[6:7], v[2:3]
	;;#ASMEND
	s_lshr_b32 s3, s3, 30
	;;#ASMSTART
	v_med3_f32 v2, v2, v12, v13
v_med3_f32 v3, v3, v12, v13
v_cvt_pk_fp8_f32 v5, v2, v3
	;;#ASMEND
	s_add_i32 s2, s2, s3
	v_lshlrev_b32_e32 v2, 16, v5
	s_and_b32 s2, s2, -4
	s_and_b32 s1, s1, 0xffff
	s_mov_b32 s3, 0x20000
	v_and_or_b32 v5, v9, s12, v2
	buffer_store_dwordx2 v[4:5], v1, s[0:3], 0 offen
	;;#ASMSTART
	s_nop 0
	;;#ASMEND
.LBB134_20:
	s_or_b64 exec, exec, s[10:11]
	s_cmp_lt_i32 s16, 1
	s_cbranch_scc1 .LBB134_8
.LBB134_21:
	s_load_dword s0, s[4:5], 0x94
	s_waitcnt lgkmcnt(0)
	s_cmp_lg_u32 s0, 1
	s_cbranch_scc1 .LBB134_8
; %bb.22:
	s_lshl_b32 s0, s16, 1
	s_add_i32 s0, s0, 2
	v_cmp_gt_u32_e32 vcc, s16, v1
	s_and_b32 s10, s0, -4
	s_waitcnt vmcnt(0)
	v_mov_b32_e32 v4, 0
	v_lshlrev_b32_e32 v12, 4, v0
	v_mov_b32_e32 v5, 0
	v_mov_b32_e32 v6, 0
	;; [unrolled: 1-line block ×7, first 2 shown]
	s_barrier
	s_and_saveexec_b64 s[0:1], vcc
	s_cbranch_execz .LBB134_24
; %bb.23:
	s_mul_hi_i32 s3, s18, s6
	s_mul_i32 s2, s18, s6
	s_and_b32 s9, s9, 0xffff
	s_lshl_b64 s[2:3], s[2:3], 1
	s_add_u32 s20, s30, s2
	s_mov_b32 s11, 0x20000
	s_addc_u32 s2, s31, s3
	s_and_b32 s21, s2, 0xffff
	s_mov_b32 s22, s10
	s_mov_b32 s23, s11
	buffer_load_dwordx4 v[4:7], v12, s[20:23], 0 offen glc slc
	buffer_load_dwordx4 v[0:3], v12, s[8:11], 0 offen
.LBB134_24:
	s_or_b64 exec, exec, s[0:1]
	s_waitcnt vmcnt(1)
	v_cvt_f32_u32_sdwa v11, v4 dst_sel:DWORD dst_unused:UNUSED_PAD src0_sel:WORD_1
	v_cvt_f32_u32_sdwa v10, v4 dst_sel:DWORD dst_unused:UNUSED_PAD src0_sel:WORD_0
	v_cvt_f32_u32_sdwa v4, v7 dst_sel:DWORD dst_unused:UNUSED_PAD src0_sel:WORD_1
	v_cvt_f32_u32_sdwa v7, v7 dst_sel:DWORD dst_unused:UNUSED_PAD src0_sel:WORD_0
	;; [unrolled: 2-line block ×4, first 2 shown]
	v_cndmask_b32_e32 v11, 0, v11, vcc
	v_cndmask_b32_e32 v5, 0, v4, vcc
	;; [unrolled: 1-line block ×5, first 2 shown]
	v_mul_f32_e32 v13, v11, v11
	v_cndmask_b32_e32 v8, 0, v8, vcc
	v_fmac_f32_e32 v13, v10, v10
	v_cndmask_b32_e32 v9, 0, v9, vcc
	v_fmac_f32_e32 v13, v8, v8
	;; [unrolled: 2-line block ×3, first 2 shown]
	v_fmac_f32_e32 v13, v6, v6
	v_fmac_f32_e32 v13, v7, v7
	;; [unrolled: 1-line block ×4, first 2 shown]
	s_nop 1
	v_mov_b32_dpp v15, v13 quad_perm:[1,0,3,2] row_mask:0xf bank_mask:0xf
	v_add_f32_e32 v13, v13, v15
	s_nop 1
	v_mov_b32_dpp v15, v13 quad_perm:[2,3,0,1] row_mask:0xf bank_mask:0xf
	v_add_f32_e32 v13, v13, v15
	s_nop 1
	v_mov_b32_dpp v15, v13 row_half_mirror row_mask:0xf bank_mask:0xf
	v_add_f32_e32 v13, v13, v15
	s_nop 1
	v_mov_b32_dpp v15, v13 row_mirror row_mask:0xf bank_mask:0xf
	v_add_f32_e32 v13, v13, v15
	s_nop 1
	v_mov_b32_dpp v15, v13 row_bcast:15 row_mask:0xf bank_mask:0xf
	v_add_f32_e32 v13, v13, v15
	s_nop 1
	v_mov_b32_dpp v15, v13 row_bcast:31 row_mask:0xf bank_mask:0xf
	v_add_f32_e32 v13, v13, v15
	ds_bpermute_b32 v13, v14, v13
	s_and_saveexec_b64 s[0:1], vcc
	s_cbranch_execz .LBB134_8
; %bb.25:
	v_cvt_f32_u32_e32 v14, s16
	s_mov_b32 s11, 0x20000
	s_waitcnt lgkmcnt(0)
	v_div_scale_f32 v15, s[0:1], v14, v14, v13
	v_rcp_f32_e32 v16, v15
	v_div_scale_f32 v17, vcc, v13, v14, v13
	s_mov_b32 s0, 0x800000
	v_fma_f32 v18, -v15, v16, 1.0
	v_fmac_f32_e32 v16, v18, v16
	v_mul_f32_e32 v18, v17, v16
	v_fma_f32 v19, -v15, v18, v17
	v_fmac_f32_e32 v18, v19, v16
	v_fma_f32 v15, -v15, v18, v17
	v_div_fmas_f32 v15, v15, v16, v18
	v_div_fixup_f32 v13, v15, v14, v13
	v_add_f32_e32 v13, s13, v13
	v_mul_f32_e32 v14, 0x4b800000, v13
	v_cmp_gt_f32_e32 vcc, s0, v13
	v_cndmask_b32_e32 v13, v13, v14, vcc
	v_rsq_f32_e32 v13, v13
	s_mul_hi_i32 s1, s7, s6
	s_mul_i32 s0, s7, s6
	s_lshl_b64 s[0:1], s[0:1], 1
	v_mul_f32_e32 v14, 0x45800000, v13
	v_cndmask_b32_e32 v14, v13, v14, vcc
	s_add_u32 s8, s28, s0
	v_mov_b32_e32 v15, v14
	s_addc_u32 s0, s29, s1
	;;#ASMSTART
	v_pk_mul_f32 v[10:11], v[10:11], v[14:15]
	;;#ASMEND
	;;#ASMSTART
	v_pk_mul_f32 v[8:9], v[8:9], v[14:15]
	;;#ASMEND
	;;#ASMSTART
	v_pk_mul_f32 v[6:7], v[6:7], v[14:15]
	;;#ASMEND
	;;#ASMSTART
	v_pk_mul_f32 v[4:5], v[4:5], v[14:15]
	;;#ASMEND
	s_waitcnt vmcnt(0)
	v_cvt_f32_u32_sdwa v15, v0 dst_sel:DWORD dst_unused:UNUSED_PAD src0_sel:WORD_1
	v_cvt_f32_u32_sdwa v14, v0 dst_sel:DWORD dst_unused:UNUSED_PAD src0_sel:WORD_0
	v_cvt_f32_u32_sdwa v17, v1 dst_sel:DWORD dst_unused:UNUSED_PAD src0_sel:WORD_1
	v_cvt_f32_u32_sdwa v16, v1 dst_sel:DWORD dst_unused:UNUSED_PAD src0_sel:WORD_0
	v_cvt_f32_u32_sdwa v1, v2 dst_sel:DWORD dst_unused:UNUSED_PAD src0_sel:WORD_1
	v_cvt_f32_u32_sdwa v0, v2 dst_sel:DWORD dst_unused:UNUSED_PAD src0_sel:WORD_0
	v_cvt_f32_u32_sdwa v19, v3 dst_sel:DWORD dst_unused:UNUSED_PAD src0_sel:WORD_1
	v_cvt_f32_u32_sdwa v18, v3 dst_sel:DWORD dst_unused:UNUSED_PAD src0_sel:WORD_0
	;;#ASMSTART
	v_pk_mul_f32 v[2:3], v[10:11], v[14:15]
	;;#ASMEND
	s_and_b32 s9, s0, 0xffff
	s_mov_b32 s0, 0x7060302
	;;#ASMSTART
	v_pk_mul_f32 v[8:9], v[8:9], v[16:17]
	;;#ASMEND
	;;#ASMSTART
	v_pk_mul_f32 v[6:7], v[6:7], v[0:1]
	;;#ASMEND
	;; [unrolled: 3-line block ×3, first 2 shown]
	v_perm_b32 v0, v3, v2, s0
	v_perm_b32 v1, v9, v8, s0
	;; [unrolled: 1-line block ×4, first 2 shown]
	buffer_store_dwordx4 v[0:3], v12, s[8:11], 0 offen
	;;#ASMSTART
	s_nop 0
	;;#ASMEND
	s_endpgm
	.section	.rodata,"a",@progbits
	.p2align	6, 0x0
	.amdhsa_kernel _ZN5aiter35fused_qk_rmsnorm_group_quant_kernelItDB8_Li64ELi8ELi16ELb0ELb1ELb0ELb0ELb0ELb0EEEvPT0_PvPT_S6_S6_PKS5_S8_S8_S8_S8_ffiiiiiiiiiiiii
		.amdhsa_group_segment_fixed_size 0
		.amdhsa_private_segment_fixed_size 0
		.amdhsa_kernarg_size 400
		.amdhsa_user_sgpr_count 6
		.amdhsa_user_sgpr_private_segment_buffer 1
		.amdhsa_user_sgpr_dispatch_ptr 0
		.amdhsa_user_sgpr_queue_ptr 0
		.amdhsa_user_sgpr_kernarg_segment_ptr 1
		.amdhsa_user_sgpr_dispatch_id 0
		.amdhsa_user_sgpr_flat_scratch_init 0
		.amdhsa_user_sgpr_kernarg_preload_length 0
		.amdhsa_user_sgpr_kernarg_preload_offset 0
		.amdhsa_user_sgpr_private_segment_size 0
		.amdhsa_uses_dynamic_stack 0
		.amdhsa_system_sgpr_private_segment_wavefront_offset 0
		.amdhsa_system_sgpr_workgroup_id_x 1
		.amdhsa_system_sgpr_workgroup_id_y 1
		.amdhsa_system_sgpr_workgroup_id_z 0
		.amdhsa_system_sgpr_workgroup_info 0
		.amdhsa_system_vgpr_workitem_id 0
		.amdhsa_next_free_vgpr 23
		.amdhsa_next_free_sgpr 32
		.amdhsa_accum_offset 24
		.amdhsa_reserve_vcc 1
		.amdhsa_reserve_flat_scratch 0
		.amdhsa_float_round_mode_32 0
		.amdhsa_float_round_mode_16_64 0
		.amdhsa_float_denorm_mode_32 3
		.amdhsa_float_denorm_mode_16_64 3
		.amdhsa_dx10_clamp 1
		.amdhsa_ieee_mode 1
		.amdhsa_fp16_overflow 0
		.amdhsa_tg_split 0
		.amdhsa_exception_fp_ieee_invalid_op 0
		.amdhsa_exception_fp_denorm_src 0
		.amdhsa_exception_fp_ieee_div_zero 0
		.amdhsa_exception_fp_ieee_overflow 0
		.amdhsa_exception_fp_ieee_underflow 0
		.amdhsa_exception_fp_ieee_inexact 0
		.amdhsa_exception_int_div_zero 0
	.end_amdhsa_kernel
	.section	.text._ZN5aiter35fused_qk_rmsnorm_group_quant_kernelItDB8_Li64ELi8ELi16ELb0ELb1ELb0ELb0ELb0ELb0EEEvPT0_PvPT_S6_S6_PKS5_S8_S8_S8_S8_ffiiiiiiiiiiiii,"axG",@progbits,_ZN5aiter35fused_qk_rmsnorm_group_quant_kernelItDB8_Li64ELi8ELi16ELb0ELb1ELb0ELb0ELb0ELb0EEEvPT0_PvPT_S6_S6_PKS5_S8_S8_S8_S8_ffiiiiiiiiiiiii,comdat
.Lfunc_end134:
	.size	_ZN5aiter35fused_qk_rmsnorm_group_quant_kernelItDB8_Li64ELi8ELi16ELb0ELb1ELb0ELb0ELb0ELb0EEEvPT0_PvPT_S6_S6_PKS5_S8_S8_S8_S8_ffiiiiiiiiiiiii, .Lfunc_end134-_ZN5aiter35fused_qk_rmsnorm_group_quant_kernelItDB8_Li64ELi8ELi16ELb0ELb1ELb0ELb0ELb0ELb0EEEvPT0_PvPT_S6_S6_PKS5_S8_S8_S8_S8_ffiiiiiiiiiiiii
                                        ; -- End function
	.section	.AMDGPU.csdata,"",@progbits
; Kernel info:
; codeLenInByte = 2504
; NumSgprs: 36
; NumVgprs: 23
; NumAgprs: 0
; TotalNumVgprs: 23
; ScratchSize: 0
; MemoryBound: 0
; FloatMode: 240
; IeeeMode: 1
; LDSByteSize: 0 bytes/workgroup (compile time only)
; SGPRBlocks: 4
; VGPRBlocks: 2
; NumSGPRsForWavesPerEU: 36
; NumVGPRsForWavesPerEU: 23
; AccumOffset: 24
; Occupancy: 8
; WaveLimiterHint : 0
; COMPUTE_PGM_RSRC2:SCRATCH_EN: 0
; COMPUTE_PGM_RSRC2:USER_SGPR: 6
; COMPUTE_PGM_RSRC2:TRAP_HANDLER: 0
; COMPUTE_PGM_RSRC2:TGID_X_EN: 1
; COMPUTE_PGM_RSRC2:TGID_Y_EN: 1
; COMPUTE_PGM_RSRC2:TGID_Z_EN: 0
; COMPUTE_PGM_RSRC2:TIDIG_COMP_CNT: 0
; COMPUTE_PGM_RSRC3_GFX90A:ACCUM_OFFSET: 5
; COMPUTE_PGM_RSRC3_GFX90A:TG_SPLIT: 0
	.section	.text._ZN5aiter35fused_qk_rmsnorm_group_quant_kernelIDF16_N4opus5fp4_tELi64ELi8ELi16ELb0ELb1ELb0ELb0ELb0ELb0EEEvPT0_PvPT_S7_S7_PKS6_S9_S9_S9_S9_ffiiiiiiiiiiiii,"axG",@progbits,_ZN5aiter35fused_qk_rmsnorm_group_quant_kernelIDF16_N4opus5fp4_tELi64ELi8ELi16ELb0ELb1ELb0ELb0ELb0ELb0EEEvPT0_PvPT_S7_S7_PKS6_S9_S9_S9_S9_ffiiiiiiiiiiiii,comdat
	.protected	_ZN5aiter35fused_qk_rmsnorm_group_quant_kernelIDF16_N4opus5fp4_tELi64ELi8ELi16ELb0ELb1ELb0ELb0ELb0ELb0EEEvPT0_PvPT_S7_S7_PKS6_S9_S9_S9_S9_ffiiiiiiiiiiiii ; -- Begin function _ZN5aiter35fused_qk_rmsnorm_group_quant_kernelIDF16_N4opus5fp4_tELi64ELi8ELi16ELb0ELb1ELb0ELb0ELb0ELb0EEEvPT0_PvPT_S7_S7_PKS6_S9_S9_S9_S9_ffiiiiiiiiiiiii
	.globl	_ZN5aiter35fused_qk_rmsnorm_group_quant_kernelIDF16_N4opus5fp4_tELi64ELi8ELi16ELb0ELb1ELb0ELb0ELb0ELb0EEEvPT0_PvPT_S7_S7_PKS6_S9_S9_S9_S9_ffiiiiiiiiiiiii
	.p2align	8
	.type	_ZN5aiter35fused_qk_rmsnorm_group_quant_kernelIDF16_N4opus5fp4_tELi64ELi8ELi16ELb0ELb1ELb0ELb0ELb0ELb0EEEvPT0_PvPT_S7_S7_PKS6_S9_S9_S9_S9_ffiiiiiiiiiiiii,@function
_ZN5aiter35fused_qk_rmsnorm_group_quant_kernelIDF16_N4opus5fp4_tELi64ELi8ELi16ELb0ELb1ELb0ELb0ELb0ELb0EEEvPT0_PvPT_S7_S7_PKS6_S9_S9_S9_S9_ffiiiiiiiiiiiii: ; @_ZN5aiter35fused_qk_rmsnorm_group_quant_kernelIDF16_N4opus5fp4_tELi64ELi8ELi16ELb0ELb1ELb0ELb0ELb0ELb0EEEvPT0_PvPT_S7_S7_PKS6_S9_S9_S9_S9_ffiiiiiiiiiiiii
; %bb.0:
	s_load_dwordx4 s[12:15], s[4:5], 0x50
	s_waitcnt lgkmcnt(0)
	s_cmp_ge_i32 s6, s14
	s_cbranch_scc1 .LBB135_10
; %bb.1:
	s_load_dwordx2 s[8:9], s[4:5], 0x48
	s_load_dwordx2 s[30:31], s[4:5], 0x30
	s_load_dwordx4 s[16:19], s[4:5], 0x60
	s_cmp_lg_u32 s7, 0
	s_cselect_b64 s[2:3], -1, 0
	s_cmp_eq_u32 s7, 0
	s_cselect_b64 vcc, -1, 0
	s_and_b64 s[0:1], vcc, exec
	s_waitcnt lgkmcnt(0)
	s_cselect_b32 s7, s15, s16
	s_add_i32 s0, s7, 1
	s_lshr_b32 s1, s0, 31
	s_add_i32 s0, s0, s1
	s_lshl_b32 s0, s0, 1
	v_lshlrev_b32_e32 v1, 3, v0
	s_and_b32 s22, s0, -4
	v_cmp_gt_i32_e64 s[0:1], s7, v1
	v_mov_b32_e32 v10, 0
	v_mov_b32_e32 v2, 0
	v_mov_b32_e32 v3, 0
	v_mov_b32_e32 v4, 0
	v_mov_b32_e32 v5, 0
	v_mov_b32_e32 v6, 0
	v_mov_b32_e32 v7, 0
	v_mov_b32_e32 v8, 0
	v_mov_b32_e32 v9, 0
	s_and_saveexec_b64 s[10:11], s[0:1]
	s_cbranch_execz .LBB135_3
; %bb.2:
	s_load_dwordx2 s[20:21], s[4:5], 0x28
	s_load_dwordx2 s[26:27], s[4:5], 0x40
	s_and_b64 s[24:25], vcc, exec
	s_cselect_b32 s14, s17, s18
	s_mov_b32 s23, 0x20000
	s_waitcnt lgkmcnt(0)
	s_cselect_b32 s17, s21, s31
	s_cselect_b32 s19, s20, s30
	s_mul_hi_i32 s21, s14, s6
	s_mul_i32 s20, s14, s6
	s_lshl_b64 s[20:21], s[20:21], 1
	s_add_u32 s24, s19, s20
	s_addc_u32 s14, s17, s21
	s_and_b64 s[20:21], vcc, exec
	s_cselect_b32 s20, s26, s8
	s_cselect_b32 s17, s27, s9
	v_lshlrev_b32_e32 v11, 4, v0
	s_and_b32 s25, s14, 0xffff
	s_mov_b32 s26, s22
	s_mov_b32 s27, s23
	s_and_b32 s21, s17, 0xffff
	buffer_load_dwordx4 v[6:9], v11, s[24:27], 0 offen glc slc
	buffer_load_dwordx4 v[2:5], v11, s[20:23], 0 offen
.LBB135_3:
	s_or_b64 exec, exec, s[10:11]
	v_mov_b32_e32 v11, 0
	v_mov_b32_e32 v16, 0
	;; [unrolled: 1-line block ×7, first 2 shown]
	s_and_saveexec_b64 s[10:11], s[0:1]
	s_cbranch_execz .LBB135_5
; %bb.4:
	s_waitcnt vmcnt(1)
	v_cvt_f32_f16_sdwa v11, v6 dst_sel:DWORD dst_unused:UNUSED_PAD src0_sel:WORD_1
	v_cvt_f32_f16_e32 v10, v6
	v_cvt_f32_f16_sdwa v17, v7 dst_sel:DWORD dst_unused:UNUSED_PAD src0_sel:WORD_1
	v_cvt_f32_f16_e32 v16, v7
	;; [unrolled: 2-line block ×4, first 2 shown]
.LBB135_5:
	s_or_b64 exec, exec, s[10:11]
	s_waitcnt vmcnt(1)
	v_mul_f32_e32 v6, v11, v11
	v_fmac_f32_e32 v6, v10, v10
	v_fmac_f32_e32 v6, v16, v16
	;; [unrolled: 1-line block ×7, first 2 shown]
	v_bfrev_b32_e32 v8, 0.5
	s_load_dwordx2 s[28:29], s[4:5], 0x18
	v_mov_b32_dpp v7, v6 quad_perm:[1,0,3,2] row_mask:0xf bank_mask:0xf
	v_add_f32_e32 v6, v6, v7
	s_nop 1
	v_mov_b32_dpp v7, v6 quad_perm:[2,3,0,1] row_mask:0xf bank_mask:0xf
	v_add_f32_e32 v6, v6, v7
	s_nop 1
	v_mov_b32_dpp v7, v6 row_half_mirror row_mask:0xf bank_mask:0xf
	v_add_f32_e32 v6, v6, v7
	s_nop 1
	v_mov_b32_dpp v7, v6 row_mirror row_mask:0xf bank_mask:0xf
	v_add_f32_e32 v6, v6, v7
	s_nop 1
	v_mov_b32_dpp v7, v6 row_bcast:15 row_mask:0xf bank_mask:0xf
	v_add_f32_e32 v6, v6, v7
	s_nop 1
	v_mov_b32_dpp v7, v6 row_bcast:31 row_mask:0xf bank_mask:0xf
	v_add_f32_e32 v6, v6, v7
	v_mbcnt_lo_u32_b32 v7, -1, 0
	v_mbcnt_hi_u32_b32 v7, -1, v7
	v_lshl_or_b32 v18, v7, 2, v8
	ds_bpermute_b32 v6, v18, v6
	s_and_saveexec_b64 s[10:11], s[0:1]
	s_cbranch_execz .LBB135_7
; %bb.6:
	v_cvt_f32_u32_e32 v7, s7
	v_mov_b32_e32 v8, s13
	v_mov_b32_e32 v9, s12
	v_cndmask_b32_e32 v8, v8, v9, vcc
	s_waitcnt lgkmcnt(0)
	v_div_scale_f32 v19, s[20:21], v7, v7, v6
	v_rcp_f32_e32 v20, v19
	v_div_scale_f32 v9, vcc, v6, v7, v6
	s_mov_b32 s7, 0x800000
	v_fma_f32 v21, -v19, v20, 1.0
	v_fmac_f32_e32 v20, v21, v20
	v_mul_f32_e32 v21, v9, v20
	v_fma_f32 v22, -v19, v21, v9
	v_fmac_f32_e32 v21, v22, v20
	v_fma_f32 v9, -v19, v21, v9
	v_div_fmas_f32 v9, v9, v20, v21
	v_div_fixup_f32 v6, v9, v7, v6
	v_add_f32_e32 v6, v8, v6
	v_mul_f32_e32 v7, 0x4b800000, v6
	v_cmp_gt_f32_e32 vcc, s7, v6
	v_cndmask_b32_e32 v6, v6, v7, vcc
	v_rsq_f32_e32 v6, v6
	s_waitcnt vmcnt(0)
	v_cvt_f32_f16_sdwa v21, v5 dst_sel:DWORD dst_unused:UNUSED_PAD src0_sel:WORD_1
	v_cvt_f32_f16_e32 v20, v5
	v_mul_f32_e32 v7, 0x45800000, v6
	v_cndmask_b32_e32 v6, v6, v7, vcc
	v_mov_b32_e32 v7, v6
	;;#ASMSTART
	v_pk_mul_f32 v[8:9], v[10:11], v[6:7]
	;;#ASMEND
	;;#ASMSTART
	v_pk_mul_f32 v[16:17], v[16:17], v[6:7]
	;;#ASMEND
	;; [unrolled: 3-line block ×4, first 2 shown]
	v_cvt_f32_f16_sdwa v11, v2 dst_sel:DWORD dst_unused:UNUSED_PAD src0_sel:WORD_1
	v_cvt_f32_f16_e32 v10, v2
	v_cvt_f32_f16_sdwa v15, v3 dst_sel:DWORD dst_unused:UNUSED_PAD src0_sel:WORD_1
	v_cvt_f32_f16_e32 v14, v3
	;; [unrolled: 2-line block ×3, first 2 shown]
	;;#ASMSTART
	v_pk_mul_f32 v[10:11], v[8:9], v[10:11]
	;;#ASMEND
	;;#ASMSTART
	v_pk_mul_f32 v[16:17], v[16:17], v[14:15]
	;;#ASMEND
	;; [unrolled: 3-line block ×4, first 2 shown]
.LBB135_7:
	s_or_b64 exec, exec, s[10:11]
	s_load_dword s7, s[4:5], 0x80
	s_mov_b64 s[10:11], -1
	s_and_b64 vcc, exec, s[2:3]
	s_cbranch_vccnz .LBB135_11
; %bb.8:
	s_andn2_b64 vcc, exec, s[10:11]
	s_cbranch_vccz .LBB135_14
.LBB135_9:
	s_cmp_lt_i32 s16, 1
	s_cbranch_scc0 .LBB135_23
.LBB135_10:
	s_endpgm
.LBB135_11:
	s_and_saveexec_b64 s[2:3], s[0:1]
	s_cbranch_execz .LBB135_13
; %bb.12:
	s_waitcnt lgkmcnt(0)
	s_mul_hi_i32 s11, s7, s6
	s_mul_i32 s10, s7, s6
	s_waitcnt vmcnt(0)
	v_cvt_f16_f32_e32 v2, v10
	v_cvt_f16_f32_e32 v3, v16
	;; [unrolled: 1-line block ×8, first 2 shown]
	s_lshl_b64 s[10:11], s[10:11], 1
	s_add_u32 s20, s28, s10
	s_addc_u32 s10, s29, s11
	s_and_b32 s21, s10, 0xffff
	s_mov_b32 s23, 0x20000
	v_pack_b32_f16 v5, v5, v6
	v_pack_b32_f16 v4, v4, v7
	;; [unrolled: 1-line block ×4, first 2 shown]
	v_lshlrev_b32_e32 v6, 4, v0
	buffer_store_dwordx4 v[2:5], v6, s[20:23], 0 offen
	;;#ASMSTART
	s_nop 0
	;;#ASMEND
.LBB135_13:
	s_or_b64 exec, exec, s[2:3]
	s_cbranch_execnz .LBB135_9
.LBB135_14:
	s_load_dwordx4 s[24:27], s[4:5], 0x70
	s_waitcnt vmcnt(0)
	v_mov_b32_e32 v2, 0
	s_and_saveexec_b64 s[2:3], s[0:1]
	s_cbranch_execz .LBB135_16
; %bb.15:
	s_load_dwordx2 s[10:11], s[4:5], 0x10
	s_waitcnt lgkmcnt(0)
	s_mul_hi_i32 s21, s27, s6
	s_mul_i32 s20, s27, s6
	v_cvt_f16_f32_e32 v2, v10
	v_cvt_f16_f32_e32 v3, v16
	;; [unrolled: 1-line block ×8, first 2 shown]
	s_lshl_b64 s[20:21], s[20:21], 1
	s_add_u32 s20, s10, s20
	s_addc_u32 s10, s11, s21
	s_mov_b32 s23, 0x20000
	s_and_b32 s21, s10, 0xffff
	v_pack_b32_f16 v5, v5, v6
	v_pack_b32_f16 v4, v4, v7
	;; [unrolled: 1-line block ×4, first 2 shown]
	v_lshlrev_b32_e32 v6, 4, v0
	buffer_store_dwordx4 v[2:5], v6, s[20:23], 0 offen
	;;#ASMSTART
	s_nop 0
	;;#ASMEND
	s_nop 0
	v_mov_b32_e32 v2, 0x2edbe6ff
.LBB135_16:
	s_or_b64 exec, exec, s[2:3]
	s_and_saveexec_b64 s[2:3], s[0:1]
	s_cbranch_execz .LBB135_18
; %bb.17:
	v_and_b32_e32 v3, 0x7fffffff, v10
	v_and_b32_e32 v4, 0x7fffffff, v11
	;;#ASMSTART
	v_max3_f32 v2, v2, v3, v4

	;;#ASMEND
	v_and_b32_e32 v3, 0x7fffffff, v16
	v_and_b32_e32 v4, 0x7fffffff, v17
	;;#ASMSTART
	v_max3_f32 v2, v2, v3, v4

	;;#ASMEND
	;; [unrolled: 6-line block ×4, first 2 shown]
.LBB135_18:
	s_or_b64 exec, exec, s[2:3]
	;;#ASMSTART
	v_max_f32 v3, v2, v2 quad_perm:[1,0,3,2] row_mask:0xf bank_mask:0xf bound_ctrl:1
	;;#ASMEND
	;;#ASMSTART
	v_max_f32 v2, v3, v3 quad_perm:[2,3,0,1] row_mask:0xf bank_mask:0xf bound_ctrl:1
	;;#ASMEND
	;;#ASMSTART
	v_max_f32 v3, v2, v2 row_half_mirror row_mask:0xf bank_mask:0xf bound_ctrl:1
	;;#ASMEND
	;;#ASMSTART
	v_max_f32 v2, v3, v3 row_mirror row_mask:0xf bank_mask:0xf bound_ctrl:1
	;;#ASMEND
	v_and_b32_e32 v3, 15, v0
	v_cmp_eq_u32_e32 vcc, 0, v3
	v_cmp_gt_i32_e64 s[2:3], s15, v1
	s_and_b64 s[10:11], vcc, s[2:3]
	s_and_saveexec_b64 s[2:3], s[10:11]
	s_cbranch_execz .LBB135_20
; %bb.19:
	s_load_dwordx2 s[10:11], s[4:5], 0x8
	v_mul_f32_e32 v2, 0x3e2aaaab, v2
	v_lshrrev_b32_e32 v3, 23, v2
	v_and_b32_e32 v4, 0x7f800000, v2
	v_and_b32_e32 v2, 0x7fffff, v2
	v_cmp_ne_u32_e32 vcc, 0, v2
	s_waitcnt lgkmcnt(0)
	s_mul_i32 s17, s25, s6
	s_mov_b32 s12, 0x7f800000
	v_addc_co_u32_e32 v2, vcc, 0, v3, vcc
	s_mul_hi_i32 s14, s25, s6
	s_add_u32 s10, s10, s17
	v_cmp_ne_u32_e32 vcc, s12, v4
	s_addc_u32 s11, s11, s14
	v_lshrrev_b32_e32 v5, 4, v0
	v_cndmask_b32_e32 v4, -1, v2, vcc
	v_pk_mov_b32 v[2:3], s[10:11], s[10:11] op_sel:[0,1]
	v_mad_i64_i32 v[2:3], s[10:11], s26, v5, v[2:3]
	global_store_byte v[2:3], v4, off
.LBB135_20:
	s_or_b64 exec, exec, s[2:3]
	s_and_saveexec_b64 s[2:3], s[0:1]
	s_cbranch_execz .LBB135_22
; %bb.21:
	s_load_dwordx2 s[0:1], s[4:5], 0x0
	s_waitcnt lgkmcnt(0)
	s_mul_i32 s11, s24, s6
	s_mul_hi_i32 s10, s24, s6
	v_lshlrev_b32_e32 v2, 2, v0
	s_mov_b32 s23, 0x20000
	s_add_u32 s20, s0, s11
	s_addc_u32 s0, s1, s10
	s_lshr_b32 s1, s15, 31
	s_add_i32 s1, s15, s1
	s_ashr_i32 s1, s1, 1
	s_add_i32 s1, s1, 3
	s_ashr_i32 s10, s1, 31
	s_lshr_b32 s10, s10, 30
	s_add_i32 s1, s1, s10
	s_and_b32 s22, s1, -4
	s_and_b32 s21, s0, 0xffff
	v_mov_b32_e32 v3, 0
	buffer_store_dword v3, v2, s[20:23], 0 offen
	;;#ASMSTART
	s_nop 0
	;;#ASMEND
.LBB135_22:
	s_or_b64 exec, exec, s[2:3]
	s_cmp_lt_i32 s16, 1
	s_cbranch_scc1 .LBB135_10
.LBB135_23:
	s_load_dword s0, s[4:5], 0x94
	s_waitcnt lgkmcnt(0)
	s_cmp_lg_u32 s0, 1
	s_cbranch_scc1 .LBB135_10
; %bb.24:
	s_lshl_b32 s0, s16, 1
	s_add_i32 s0, s0, 2
	v_cmp_gt_u32_e32 vcc, s16, v1
	s_and_b32 s10, s0, -4
	v_mov_b32_e32 v8, 0
	v_lshlrev_b32_e32 v16, 4, v0
	s_waitcnt vmcnt(0)
	v_mov_b32_e32 v4, 0
	v_mov_b32_e32 v5, 0
	;; [unrolled: 1-line block ×8, first 2 shown]
	s_barrier
	s_and_saveexec_b64 s[0:1], vcc
	s_cbranch_execz .LBB135_26
; %bb.25:
	s_mul_hi_i32 s3, s18, s6
	s_mul_i32 s2, s18, s6
	s_and_b32 s9, s9, 0xffff
	s_lshl_b64 s[2:3], s[2:3], 1
	s_add_u32 s20, s30, s2
	s_mov_b32 s11, 0x20000
	s_addc_u32 s2, s31, s3
	s_and_b32 s21, s2, 0xffff
	s_mov_b32 s22, s10
	s_mov_b32 s23, s11
	buffer_load_dwordx4 v[4:7], v16, s[20:23], 0 offen glc slc
	buffer_load_dwordx4 v[0:3], v16, s[8:11], 0 offen
.LBB135_26:
	s_or_b64 exec, exec, s[0:1]
	v_mov_b32_e32 v9, 0
	v_mov_b32_e32 v14, 0
	v_mov_b32_e32 v15, 0
	v_mov_b32_e32 v12, 0
	v_mov_b32_e32 v13, 0
	v_mov_b32_e32 v10, 0
	v_mov_b32_e32 v11, 0
	s_and_saveexec_b64 s[0:1], vcc
	s_cbranch_execz .LBB135_28
; %bb.27:
	s_waitcnt vmcnt(1)
	v_cvt_f32_f16_sdwa v9, v4 dst_sel:DWORD dst_unused:UNUSED_PAD src0_sel:WORD_1
	v_cvt_f32_f16_e32 v8, v4
	v_cvt_f32_f16_sdwa v15, v5 dst_sel:DWORD dst_unused:UNUSED_PAD src0_sel:WORD_1
	v_cvt_f32_f16_e32 v14, v5
	;; [unrolled: 2-line block ×4, first 2 shown]
.LBB135_28:
	s_or_b64 exec, exec, s[0:1]
	s_waitcnt vmcnt(1)
	v_mul_f32_e32 v4, v9, v9
	v_fmac_f32_e32 v4, v8, v8
	v_fmac_f32_e32 v4, v14, v14
	;; [unrolled: 1-line block ×7, first 2 shown]
	s_nop 1
	v_mov_b32_dpp v5, v4 quad_perm:[1,0,3,2] row_mask:0xf bank_mask:0xf
	v_add_f32_e32 v4, v4, v5
	s_nop 1
	v_mov_b32_dpp v5, v4 quad_perm:[2,3,0,1] row_mask:0xf bank_mask:0xf
	v_add_f32_e32 v4, v4, v5
	s_nop 1
	v_mov_b32_dpp v5, v4 row_half_mirror row_mask:0xf bank_mask:0xf
	v_add_f32_e32 v4, v4, v5
	s_nop 1
	v_mov_b32_dpp v5, v4 row_mirror row_mask:0xf bank_mask:0xf
	v_add_f32_e32 v4, v4, v5
	s_nop 1
	v_mov_b32_dpp v5, v4 row_bcast:15 row_mask:0xf bank_mask:0xf
	v_add_f32_e32 v4, v4, v5
	s_nop 1
	v_mov_b32_dpp v5, v4 row_bcast:31 row_mask:0xf bank_mask:0xf
	v_add_f32_e32 v4, v4, v5
	ds_bpermute_b32 v4, v18, v4
	s_and_saveexec_b64 s[0:1], vcc
	s_cbranch_execz .LBB135_10
; %bb.29:
	v_cvt_f32_u32_e32 v5, s16
	s_mov_b32 s11, 0x20000
	s_waitcnt lgkmcnt(0)
	v_div_scale_f32 v6, s[0:1], v5, v5, v4
	v_rcp_f32_e32 v7, v6
	v_div_scale_f32 v17, vcc, v4, v5, v4
	s_mov_b32 s0, 0x800000
	v_fma_f32 v18, -v6, v7, 1.0
	v_fmac_f32_e32 v7, v18, v7
	v_mul_f32_e32 v18, v17, v7
	v_fma_f32 v19, -v6, v18, v17
	v_fmac_f32_e32 v18, v19, v7
	v_fma_f32 v6, -v6, v18, v17
	v_div_fmas_f32 v6, v6, v7, v18
	v_div_fixup_f32 v4, v6, v5, v4
	v_add_f32_e32 v4, s13, v4
	v_mul_f32_e32 v5, 0x4b800000, v4
	v_cmp_gt_f32_e32 vcc, s0, v4
	v_cndmask_b32_e32 v4, v4, v5, vcc
	v_rsq_f32_e32 v4, v4
	s_waitcnt vmcnt(0)
	v_cvt_f32_f16_sdwa v19, v3 dst_sel:DWORD dst_unused:UNUSED_PAD src0_sel:WORD_1
	v_cvt_f32_f16_e32 v18, v3
	s_mul_hi_i32 s1, s7, s6
	v_mul_f32_e32 v5, 0x45800000, v4
	v_cndmask_b32_e32 v4, v4, v5, vcc
	v_mov_b32_e32 v5, v4
	;;#ASMSTART
	v_pk_mul_f32 v[6:7], v[8:9], v[4:5]
	;;#ASMEND
	;;#ASMSTART
	v_pk_mul_f32 v[8:9], v[14:15], v[4:5]
	;;#ASMEND
	;; [unrolled: 3-line block ×4, first 2 shown]
	v_cvt_f32_f16_sdwa v11, v0 dst_sel:DWORD dst_unused:UNUSED_PAD src0_sel:WORD_1
	v_cvt_f32_f16_e32 v10, v0
	v_cvt_f32_f16_sdwa v15, v1 dst_sel:DWORD dst_unused:UNUSED_PAD src0_sel:WORD_1
	v_cvt_f32_f16_e32 v14, v1
	;; [unrolled: 2-line block ×3, first 2 shown]
	;;#ASMSTART
	v_pk_mul_f32 v[2:3], v[6:7], v[10:11]
	;;#ASMEND
	;;#ASMSTART
	v_pk_mul_f32 v[6:7], v[8:9], v[14:15]
	;;#ASMEND
	;; [unrolled: 3-line block ×4, first 2 shown]
	s_mul_i32 s0, s7, s6
	v_cvt_f16_f32_e32 v2, v2
	v_cvt_f16_f32_e32 v3, v3
	;; [unrolled: 1-line block ×8, first 2 shown]
	s_lshl_b64 s[0:1], s[0:1], 1
	s_add_u32 s8, s28, s0
	s_addc_u32 s0, s29, s1
	s_and_b32 s9, s0, 0xffff
	v_pack_b32_f16 v0, v2, v3
	v_pack_b32_f16 v1, v6, v7
	;; [unrolled: 1-line block ×4, first 2 shown]
	buffer_store_dwordx4 v[0:3], v16, s[8:11], 0 offen
	;;#ASMSTART
	s_nop 0
	;;#ASMEND
	s_endpgm
	.section	.rodata,"a",@progbits
	.p2align	6, 0x0
	.amdhsa_kernel _ZN5aiter35fused_qk_rmsnorm_group_quant_kernelIDF16_N4opus5fp4_tELi64ELi8ELi16ELb0ELb1ELb0ELb0ELb0ELb0EEEvPT0_PvPT_S7_S7_PKS6_S9_S9_S9_S9_ffiiiiiiiiiiiii
		.amdhsa_group_segment_fixed_size 0
		.amdhsa_private_segment_fixed_size 0
		.amdhsa_kernarg_size 400
		.amdhsa_user_sgpr_count 6
		.amdhsa_user_sgpr_private_segment_buffer 1
		.amdhsa_user_sgpr_dispatch_ptr 0
		.amdhsa_user_sgpr_queue_ptr 0
		.amdhsa_user_sgpr_kernarg_segment_ptr 1
		.amdhsa_user_sgpr_dispatch_id 0
		.amdhsa_user_sgpr_flat_scratch_init 0
		.amdhsa_user_sgpr_kernarg_preload_length 0
		.amdhsa_user_sgpr_kernarg_preload_offset 0
		.amdhsa_user_sgpr_private_segment_size 0
		.amdhsa_uses_dynamic_stack 0
		.amdhsa_system_sgpr_private_segment_wavefront_offset 0
		.amdhsa_system_sgpr_workgroup_id_x 1
		.amdhsa_system_sgpr_workgroup_id_y 1
		.amdhsa_system_sgpr_workgroup_id_z 0
		.amdhsa_system_sgpr_workgroup_info 0
		.amdhsa_system_vgpr_workitem_id 0
		.amdhsa_next_free_vgpr 23
		.amdhsa_next_free_sgpr 32
		.amdhsa_accum_offset 24
		.amdhsa_reserve_vcc 1
		.amdhsa_reserve_flat_scratch 0
		.amdhsa_float_round_mode_32 0
		.amdhsa_float_round_mode_16_64 0
		.amdhsa_float_denorm_mode_32 3
		.amdhsa_float_denorm_mode_16_64 3
		.amdhsa_dx10_clamp 1
		.amdhsa_ieee_mode 1
		.amdhsa_fp16_overflow 0
		.amdhsa_tg_split 0
		.amdhsa_exception_fp_ieee_invalid_op 0
		.amdhsa_exception_fp_denorm_src 0
		.amdhsa_exception_fp_ieee_div_zero 0
		.amdhsa_exception_fp_ieee_overflow 0
		.amdhsa_exception_fp_ieee_underflow 0
		.amdhsa_exception_fp_ieee_inexact 0
		.amdhsa_exception_int_div_zero 0
	.end_amdhsa_kernel
	.section	.text._ZN5aiter35fused_qk_rmsnorm_group_quant_kernelIDF16_N4opus5fp4_tELi64ELi8ELi16ELb0ELb1ELb0ELb0ELb0ELb0EEEvPT0_PvPT_S7_S7_PKS6_S9_S9_S9_S9_ffiiiiiiiiiiiii,"axG",@progbits,_ZN5aiter35fused_qk_rmsnorm_group_quant_kernelIDF16_N4opus5fp4_tELi64ELi8ELi16ELb0ELb1ELb0ELb0ELb0ELb0EEEvPT0_PvPT_S7_S7_PKS6_S9_S9_S9_S9_ffiiiiiiiiiiiii,comdat
.Lfunc_end135:
	.size	_ZN5aiter35fused_qk_rmsnorm_group_quant_kernelIDF16_N4opus5fp4_tELi64ELi8ELi16ELb0ELb1ELb0ELb0ELb0ELb0EEEvPT0_PvPT_S7_S7_PKS6_S9_S9_S9_S9_ffiiiiiiiiiiiii, .Lfunc_end135-_ZN5aiter35fused_qk_rmsnorm_group_quant_kernelIDF16_N4opus5fp4_tELi64ELi8ELi16ELb0ELb1ELb0ELb0ELb0ELb0EEEvPT0_PvPT_S7_S7_PKS6_S9_S9_S9_S9_ffiiiiiiiiiiiii
                                        ; -- End function
	.section	.AMDGPU.csdata,"",@progbits
; Kernel info:
; codeLenInByte = 2328
; NumSgprs: 36
; NumVgprs: 23
; NumAgprs: 0
; TotalNumVgprs: 23
; ScratchSize: 0
; MemoryBound: 0
; FloatMode: 240
; IeeeMode: 1
; LDSByteSize: 0 bytes/workgroup (compile time only)
; SGPRBlocks: 4
; VGPRBlocks: 2
; NumSGPRsForWavesPerEU: 36
; NumVGPRsForWavesPerEU: 23
; AccumOffset: 24
; Occupancy: 8
; WaveLimiterHint : 0
; COMPUTE_PGM_RSRC2:SCRATCH_EN: 0
; COMPUTE_PGM_RSRC2:USER_SGPR: 6
; COMPUTE_PGM_RSRC2:TRAP_HANDLER: 0
; COMPUTE_PGM_RSRC2:TGID_X_EN: 1
; COMPUTE_PGM_RSRC2:TGID_Y_EN: 1
; COMPUTE_PGM_RSRC2:TGID_Z_EN: 0
; COMPUTE_PGM_RSRC2:TIDIG_COMP_CNT: 0
; COMPUTE_PGM_RSRC3_GFX90A:ACCUM_OFFSET: 5
; COMPUTE_PGM_RSRC3_GFX90A:TG_SPLIT: 0
	.section	.text._ZN5aiter35fused_qk_rmsnorm_group_quant_kernelItN4opus5fp4_tELi64ELi8ELi16ELb0ELb1ELb0ELb0ELb0ELb0EEEvPT0_PvPT_S7_S7_PKS6_S9_S9_S9_S9_ffiiiiiiiiiiiii,"axG",@progbits,_ZN5aiter35fused_qk_rmsnorm_group_quant_kernelItN4opus5fp4_tELi64ELi8ELi16ELb0ELb1ELb0ELb0ELb0ELb0EEEvPT0_PvPT_S7_S7_PKS6_S9_S9_S9_S9_ffiiiiiiiiiiiii,comdat
	.protected	_ZN5aiter35fused_qk_rmsnorm_group_quant_kernelItN4opus5fp4_tELi64ELi8ELi16ELb0ELb1ELb0ELb0ELb0ELb0EEEvPT0_PvPT_S7_S7_PKS6_S9_S9_S9_S9_ffiiiiiiiiiiiii ; -- Begin function _ZN5aiter35fused_qk_rmsnorm_group_quant_kernelItN4opus5fp4_tELi64ELi8ELi16ELb0ELb1ELb0ELb0ELb0ELb0EEEvPT0_PvPT_S7_S7_PKS6_S9_S9_S9_S9_ffiiiiiiiiiiiii
	.globl	_ZN5aiter35fused_qk_rmsnorm_group_quant_kernelItN4opus5fp4_tELi64ELi8ELi16ELb0ELb1ELb0ELb0ELb0ELb0EEEvPT0_PvPT_S7_S7_PKS6_S9_S9_S9_S9_ffiiiiiiiiiiiii
	.p2align	8
	.type	_ZN5aiter35fused_qk_rmsnorm_group_quant_kernelItN4opus5fp4_tELi64ELi8ELi16ELb0ELb1ELb0ELb0ELb0ELb0EEEvPT0_PvPT_S7_S7_PKS6_S9_S9_S9_S9_ffiiiiiiiiiiiii,@function
_ZN5aiter35fused_qk_rmsnorm_group_quant_kernelItN4opus5fp4_tELi64ELi8ELi16ELb0ELb1ELb0ELb0ELb0ELb0EEEvPT0_PvPT_S7_S7_PKS6_S9_S9_S9_S9_ffiiiiiiiiiiiii: ; @_ZN5aiter35fused_qk_rmsnorm_group_quant_kernelItN4opus5fp4_tELi64ELi8ELi16ELb0ELb1ELb0ELb0ELb0ELb0EEEvPT0_PvPT_S7_S7_PKS6_S9_S9_S9_S9_ffiiiiiiiiiiiii
; %bb.0:
	s_load_dwordx4 s[12:15], s[4:5], 0x50
	s_waitcnt lgkmcnt(0)
	s_cmp_ge_i32 s6, s14
	s_cbranch_scc1 .LBB136_8
; %bb.1:
	s_load_dwordx2 s[8:9], s[4:5], 0x48
	s_load_dwordx2 s[30:31], s[4:5], 0x30
	s_load_dwordx4 s[16:19], s[4:5], 0x60
	s_cmp_lg_u32 s7, 0
	s_cselect_b64 s[2:3], -1, 0
	s_cmp_eq_u32 s7, 0
	s_cselect_b64 vcc, -1, 0
	s_and_b64 s[0:1], vcc, exec
	s_waitcnt lgkmcnt(0)
	s_cselect_b32 s7, s15, s16
	s_add_i32 s0, s7, 1
	s_lshr_b32 s1, s0, 31
	s_add_i32 s0, s0, s1
	s_lshl_b32 s0, s0, 1
	v_lshlrev_b32_e32 v1, 3, v0
	s_and_b32 s22, s0, -4
	v_cmp_gt_i32_e64 s[0:1], s7, v1
	v_mov_b32_e32 v2, 0
	v_mov_b32_e32 v3, 0
	;; [unrolled: 1-line block ×8, first 2 shown]
	s_and_saveexec_b64 s[10:11], s[0:1]
	s_cbranch_execz .LBB136_3
; %bb.2:
	s_load_dwordx2 s[20:21], s[4:5], 0x28
	s_load_dwordx2 s[26:27], s[4:5], 0x40
	s_and_b64 s[24:25], vcc, exec
	s_cselect_b32 s14, s17, s18
	s_mov_b32 s23, 0x20000
	s_waitcnt lgkmcnt(0)
	s_cselect_b32 s17, s21, s31
	s_cselect_b32 s19, s20, s30
	s_mul_hi_i32 s21, s14, s6
	s_mul_i32 s20, s14, s6
	s_lshl_b64 s[20:21], s[20:21], 1
	s_add_u32 s24, s19, s20
	s_addc_u32 s14, s17, s21
	s_and_b64 s[20:21], vcc, exec
	s_cselect_b32 s20, s26, s8
	s_cselect_b32 s17, s27, s9
	v_lshlrev_b32_e32 v10, 4, v0
	s_and_b32 s25, s14, 0xffff
	s_mov_b32 s26, s22
	s_mov_b32 s27, s23
	s_and_b32 s21, s17, 0xffff
	buffer_load_dwordx4 v[6:9], v10, s[24:27], 0 offen glc slc
	buffer_load_dwordx4 v[2:5], v10, s[20:23], 0 offen
.LBB136_3:
	s_or_b64 exec, exec, s[10:11]
	s_waitcnt vmcnt(1)
	v_cvt_f32_u32_sdwa v13, v6 dst_sel:DWORD dst_unused:UNUSED_PAD src0_sel:WORD_1
	v_cvt_f32_u32_sdwa v12, v6 dst_sel:DWORD dst_unused:UNUSED_PAD src0_sel:WORD_0
	v_cvt_f32_u32_sdwa v6, v9 dst_sel:DWORD dst_unused:UNUSED_PAD src0_sel:WORD_1
	v_cvt_f32_u32_sdwa v9, v9 dst_sel:DWORD dst_unused:UNUSED_PAD src0_sel:WORD_0
	;; [unrolled: 2-line block ×4, first 2 shown]
	v_cndmask_b32_e64 v13, 0, v13, s[0:1]
	v_cndmask_b32_e64 v7, 0, v6, s[0:1]
	v_cndmask_b32_e64 v6, 0, v9, s[0:1]
	v_cndmask_b32_e64 v9, 0, v14, s[0:1]
	v_cndmask_b32_e64 v12, 0, v12, s[0:1]
	v_mul_f32_e32 v14, v13, v13
	v_cndmask_b32_e64 v10, 0, v10, s[0:1]
	v_fmac_f32_e32 v14, v12, v12
	v_cndmask_b32_e64 v11, 0, v11, s[0:1]
	v_fmac_f32_e32 v14, v10, v10
	;; [unrolled: 2-line block ×3, first 2 shown]
	v_fmac_f32_e32 v14, v8, v8
	v_fmac_f32_e32 v14, v9, v9
	v_fmac_f32_e32 v14, v6, v6
	v_fmac_f32_e32 v14, v7, v7
	v_bfrev_b32_e32 v16, 0.5
	s_load_dwordx2 s[28:29], s[4:5], 0x18
	v_mov_b32_dpp v15, v14 quad_perm:[1,0,3,2] row_mask:0xf bank_mask:0xf
	v_add_f32_e32 v14, v14, v15
	s_nop 1
	v_mov_b32_dpp v15, v14 quad_perm:[2,3,0,1] row_mask:0xf bank_mask:0xf
	v_add_f32_e32 v14, v14, v15
	s_nop 1
	v_mov_b32_dpp v15, v14 row_half_mirror row_mask:0xf bank_mask:0xf
	v_add_f32_e32 v14, v14, v15
	s_nop 1
	v_mov_b32_dpp v15, v14 row_mirror row_mask:0xf bank_mask:0xf
	v_add_f32_e32 v14, v14, v15
	s_nop 1
	v_mov_b32_dpp v15, v14 row_bcast:15 row_mask:0xf bank_mask:0xf
	v_add_f32_e32 v14, v14, v15
	s_nop 1
	v_mov_b32_dpp v15, v14 row_bcast:31 row_mask:0xf bank_mask:0xf
	v_add_f32_e32 v15, v14, v15
	v_mbcnt_lo_u32_b32 v14, -1, 0
	v_mbcnt_hi_u32_b32 v14, -1, v14
	v_lshl_or_b32 v14, v14, 2, v16
	ds_bpermute_b32 v15, v14, v15
	s_and_saveexec_b64 s[10:11], s[0:1]
	s_cbranch_execz .LBB136_5
; %bb.4:
	v_cvt_f32_u32_e32 v16, s7
	v_mov_b32_e32 v17, s13
	v_mov_b32_e32 v18, s12
	v_cndmask_b32_e32 v17, v17, v18, vcc
	s_waitcnt lgkmcnt(0)
	v_div_scale_f32 v19, s[20:21], v16, v16, v15
	v_rcp_f32_e32 v20, v19
	v_div_scale_f32 v18, vcc, v15, v16, v15
	s_mov_b32 s7, 0x800000
	v_fma_f32 v21, -v19, v20, 1.0
	v_fmac_f32_e32 v20, v21, v20
	v_mul_f32_e32 v21, v18, v20
	v_fma_f32 v22, -v19, v21, v18
	v_fmac_f32_e32 v21, v22, v20
	v_fma_f32 v18, -v19, v21, v18
	v_div_fmas_f32 v18, v18, v20, v21
	v_div_fixup_f32 v15, v18, v16, v15
	v_add_f32_e32 v15, v17, v15
	v_mul_f32_e32 v16, 0x4b800000, v15
	v_cmp_gt_f32_e32 vcc, s7, v15
	v_cndmask_b32_e32 v15, v15, v16, vcc
	v_rsq_f32_e32 v15, v15
	s_waitcnt vmcnt(0)
	v_cvt_f32_u32_sdwa v19, v3 dst_sel:DWORD dst_unused:UNUSED_PAD src0_sel:WORD_1
	v_cvt_f32_u32_sdwa v18, v3 dst_sel:DWORD dst_unused:UNUSED_PAD src0_sel:WORD_0
	v_cvt_f32_u32_sdwa v3, v4 dst_sel:DWORD dst_unused:UNUSED_PAD src0_sel:WORD_1
	v_mul_f32_e32 v16, 0x45800000, v15
	v_cndmask_b32_e32 v16, v15, v16, vcc
	v_mov_b32_e32 v17, v16
	;;#ASMSTART
	v_pk_mul_f32 v[12:13], v[12:13], v[16:17]
	;;#ASMEND
	;;#ASMSTART
	v_pk_mul_f32 v[10:11], v[10:11], v[16:17]
	;;#ASMEND
	;; [unrolled: 3-line block ×4, first 2 shown]
	v_cvt_f32_u32_sdwa v17, v2 dst_sel:DWORD dst_unused:UNUSED_PAD src0_sel:WORD_1
	v_cvt_f32_u32_sdwa v16, v2 dst_sel:DWORD dst_unused:UNUSED_PAD src0_sel:WORD_0
	v_cvt_f32_u32_sdwa v2, v4 dst_sel:DWORD dst_unused:UNUSED_PAD src0_sel:WORD_0
	v_cvt_f32_u32_sdwa v21, v5 dst_sel:DWORD dst_unused:UNUSED_PAD src0_sel:WORD_1
	v_cvt_f32_u32_sdwa v20, v5 dst_sel:DWORD dst_unused:UNUSED_PAD src0_sel:WORD_0
	;;#ASMSTART
	v_pk_mul_f32 v[12:13], v[12:13], v[16:17]
	;;#ASMEND
	;;#ASMSTART
	v_pk_mul_f32 v[10:11], v[10:11], v[18:19]
	;;#ASMEND
	;;#ASMSTART
	v_pk_mul_f32 v[8:9], v[8:9], v[2:3]
	;;#ASMEND
	;;#ASMSTART
	v_pk_mul_f32 v[6:7], v[6:7], v[20:21]
	;;#ASMEND
.LBB136_5:
	s_or_b64 exec, exec, s[10:11]
	s_load_dword s7, s[4:5], 0x80
	s_mov_b64 s[10:11], -1
	s_and_b64 vcc, exec, s[2:3]
	s_cbranch_vccnz .LBB136_9
; %bb.6:
	s_andn2_b64 vcc, exec, s[10:11]
	s_cbranch_vccz .LBB136_12
.LBB136_7:
	s_cmp_lt_i32 s16, 1
	s_cbranch_scc0 .LBB136_21
.LBB136_8:
	s_endpgm
.LBB136_9:
	s_and_saveexec_b64 s[2:3], s[0:1]
	s_cbranch_execz .LBB136_11
; %bb.10:
	s_waitcnt lgkmcnt(0)
	s_mul_hi_i32 s11, s7, s6
	s_mul_i32 s10, s7, s6
	s_lshl_b64 s[10:11], s[10:11], 1
	s_add_u32 s20, s28, s10
	s_addc_u32 s10, s29, s11
	s_and_b32 s21, s10, 0xffff
	s_mov_b32 s10, 0x7060302
	s_mov_b32 s23, 0x20000
	s_waitcnt vmcnt(0)
	v_perm_b32 v2, v13, v12, s10
	v_perm_b32 v3, v11, v10, s10
	v_perm_b32 v4, v9, v8, s10
	v_perm_b32 v5, v7, v6, s10
	v_lshlrev_b32_e32 v15, 4, v0
	buffer_store_dwordx4 v[2:5], v15, s[20:23], 0 offen
	;;#ASMSTART
	s_nop 0
	;;#ASMEND
.LBB136_11:
	s_or_b64 exec, exec, s[2:3]
	s_cbranch_execnz .LBB136_7
.LBB136_12:
	s_load_dwordx4 s[24:27], s[4:5], 0x70
	s_waitcnt vmcnt(0)
	v_mov_b32_e32 v2, 0
	s_and_saveexec_b64 s[2:3], s[0:1]
	s_cbranch_execz .LBB136_14
; %bb.13:
	s_load_dwordx2 s[10:11], s[4:5], 0x10
	s_waitcnt lgkmcnt(0)
	s_mul_hi_i32 s21, s27, s6
	s_mul_i32 s20, s27, s6
	s_lshl_b64 s[20:21], s[20:21], 1
	s_mov_b32 s23, 0x20000
	s_add_u32 s20, s10, s20
	s_addc_u32 s10, s11, s21
	s_and_b32 s21, s10, 0xffff
	s_mov_b32 s10, 0x7060302
	v_perm_b32 v2, v13, v12, s10
	v_perm_b32 v3, v11, v10, s10
	;; [unrolled: 1-line block ×4, first 2 shown]
	v_lshlrev_b32_e32 v15, 4, v0
	buffer_store_dwordx4 v[2:5], v15, s[20:23], 0 offen
	;;#ASMSTART
	s_nop 0
	;;#ASMEND
	s_nop 0
	v_mov_b32_e32 v2, 0x2edbe6ff
.LBB136_14:
	s_or_b64 exec, exec, s[2:3]
	s_and_saveexec_b64 s[2:3], s[0:1]
	s_cbranch_execz .LBB136_16
; %bb.15:
	v_and_b32_e32 v3, 0x7fffffff, v12
	v_and_b32_e32 v4, 0x7fffffff, v13
	;;#ASMSTART
	v_max3_f32 v2, v2, v3, v4

	;;#ASMEND
	v_and_b32_e32 v3, 0x7fffffff, v10
	v_and_b32_e32 v4, 0x7fffffff, v11
	;;#ASMSTART
	v_max3_f32 v2, v2, v3, v4

	;;#ASMEND
	;; [unrolled: 6-line block ×4, first 2 shown]
.LBB136_16:
	s_or_b64 exec, exec, s[2:3]
	;;#ASMSTART
	v_max_f32 v3, v2, v2 quad_perm:[1,0,3,2] row_mask:0xf bank_mask:0xf bound_ctrl:1
	;;#ASMEND
	;;#ASMSTART
	v_max_f32 v2, v3, v3 quad_perm:[2,3,0,1] row_mask:0xf bank_mask:0xf bound_ctrl:1
	;;#ASMEND
	;;#ASMSTART
	v_max_f32 v3, v2, v2 row_half_mirror row_mask:0xf bank_mask:0xf bound_ctrl:1
	;;#ASMEND
	;;#ASMSTART
	v_max_f32 v2, v3, v3 row_mirror row_mask:0xf bank_mask:0xf bound_ctrl:1
	;;#ASMEND
	v_and_b32_e32 v3, 15, v0
	v_cmp_eq_u32_e32 vcc, 0, v3
	v_cmp_gt_i32_e64 s[2:3], s15, v1
	s_and_b64 s[10:11], vcc, s[2:3]
	s_and_saveexec_b64 s[2:3], s[10:11]
	s_cbranch_execz .LBB136_18
; %bb.17:
	s_load_dwordx2 s[10:11], s[4:5], 0x8
	v_mul_f32_e32 v2, 0x3e2aaaab, v2
	v_lshrrev_b32_e32 v3, 23, v2
	v_and_b32_e32 v4, 0x7f800000, v2
	v_and_b32_e32 v2, 0x7fffff, v2
	v_cmp_ne_u32_e32 vcc, 0, v2
	s_waitcnt lgkmcnt(0)
	s_mul_i32 s17, s25, s6
	s_mov_b32 s12, 0x7f800000
	v_addc_co_u32_e32 v2, vcc, 0, v3, vcc
	s_mul_hi_i32 s14, s25, s6
	s_add_u32 s10, s10, s17
	v_cmp_ne_u32_e32 vcc, s12, v4
	s_addc_u32 s11, s11, s14
	v_lshrrev_b32_e32 v5, 4, v0
	v_cndmask_b32_e32 v4, -1, v2, vcc
	v_pk_mov_b32 v[2:3], s[10:11], s[10:11] op_sel:[0,1]
	v_mad_i64_i32 v[2:3], s[10:11], s26, v5, v[2:3]
	global_store_byte v[2:3], v4, off
.LBB136_18:
	s_or_b64 exec, exec, s[2:3]
	s_and_saveexec_b64 s[2:3], s[0:1]
	s_cbranch_execz .LBB136_20
; %bb.19:
	s_load_dwordx2 s[0:1], s[4:5], 0x0
	s_waitcnt lgkmcnt(0)
	s_mul_i32 s11, s24, s6
	s_mul_hi_i32 s10, s24, s6
	v_lshlrev_b32_e32 v2, 2, v0
	s_mov_b32 s23, 0x20000
	s_add_u32 s20, s0, s11
	s_addc_u32 s0, s1, s10
	s_lshr_b32 s1, s15, 31
	s_add_i32 s1, s15, s1
	s_ashr_i32 s1, s1, 1
	s_add_i32 s1, s1, 3
	s_ashr_i32 s10, s1, 31
	s_lshr_b32 s10, s10, 30
	s_add_i32 s1, s1, s10
	s_and_b32 s22, s1, -4
	s_and_b32 s21, s0, 0xffff
	v_mov_b32_e32 v3, 0
	buffer_store_dword v3, v2, s[20:23], 0 offen
	;;#ASMSTART
	s_nop 0
	;;#ASMEND
.LBB136_20:
	s_or_b64 exec, exec, s[2:3]
	s_cmp_lt_i32 s16, 1
	s_cbranch_scc1 .LBB136_8
.LBB136_21:
	s_load_dword s0, s[4:5], 0x94
	s_waitcnt lgkmcnt(0)
	s_cmp_lg_u32 s0, 1
	s_cbranch_scc1 .LBB136_8
; %bb.22:
	s_lshl_b32 s0, s16, 1
	s_add_i32 s0, s0, 2
	v_cmp_gt_u32_e32 vcc, s16, v1
	s_and_b32 s10, s0, -4
	s_waitcnt vmcnt(0)
	v_mov_b32_e32 v4, 0
	v_lshlrev_b32_e32 v12, 4, v0
	v_mov_b32_e32 v5, 0
	v_mov_b32_e32 v6, 0
	;; [unrolled: 1-line block ×7, first 2 shown]
	s_barrier
	s_and_saveexec_b64 s[0:1], vcc
	s_cbranch_execz .LBB136_24
; %bb.23:
	s_mul_hi_i32 s3, s18, s6
	s_mul_i32 s2, s18, s6
	s_and_b32 s9, s9, 0xffff
	s_lshl_b64 s[2:3], s[2:3], 1
	s_add_u32 s20, s30, s2
	s_mov_b32 s11, 0x20000
	s_addc_u32 s2, s31, s3
	s_and_b32 s21, s2, 0xffff
	s_mov_b32 s22, s10
	s_mov_b32 s23, s11
	buffer_load_dwordx4 v[4:7], v12, s[20:23], 0 offen glc slc
	buffer_load_dwordx4 v[0:3], v12, s[8:11], 0 offen
.LBB136_24:
	s_or_b64 exec, exec, s[0:1]
	s_waitcnt vmcnt(1)
	v_cvt_f32_u32_sdwa v11, v4 dst_sel:DWORD dst_unused:UNUSED_PAD src0_sel:WORD_1
	v_cvt_f32_u32_sdwa v10, v4 dst_sel:DWORD dst_unused:UNUSED_PAD src0_sel:WORD_0
	v_cvt_f32_u32_sdwa v4, v7 dst_sel:DWORD dst_unused:UNUSED_PAD src0_sel:WORD_1
	v_cvt_f32_u32_sdwa v7, v7 dst_sel:DWORD dst_unused:UNUSED_PAD src0_sel:WORD_0
	;; [unrolled: 2-line block ×4, first 2 shown]
	v_cndmask_b32_e32 v11, 0, v11, vcc
	v_cndmask_b32_e32 v5, 0, v4, vcc
	;; [unrolled: 1-line block ×5, first 2 shown]
	v_mul_f32_e32 v13, v11, v11
	v_cndmask_b32_e32 v8, 0, v8, vcc
	v_fmac_f32_e32 v13, v10, v10
	v_cndmask_b32_e32 v9, 0, v9, vcc
	v_fmac_f32_e32 v13, v8, v8
	;; [unrolled: 2-line block ×3, first 2 shown]
	v_fmac_f32_e32 v13, v6, v6
	v_fmac_f32_e32 v13, v7, v7
	;; [unrolled: 1-line block ×4, first 2 shown]
	s_nop 1
	v_mov_b32_dpp v15, v13 quad_perm:[1,0,3,2] row_mask:0xf bank_mask:0xf
	v_add_f32_e32 v13, v13, v15
	s_nop 1
	v_mov_b32_dpp v15, v13 quad_perm:[2,3,0,1] row_mask:0xf bank_mask:0xf
	v_add_f32_e32 v13, v13, v15
	s_nop 1
	v_mov_b32_dpp v15, v13 row_half_mirror row_mask:0xf bank_mask:0xf
	v_add_f32_e32 v13, v13, v15
	s_nop 1
	v_mov_b32_dpp v15, v13 row_mirror row_mask:0xf bank_mask:0xf
	v_add_f32_e32 v13, v13, v15
	s_nop 1
	v_mov_b32_dpp v15, v13 row_bcast:15 row_mask:0xf bank_mask:0xf
	v_add_f32_e32 v13, v13, v15
	s_nop 1
	v_mov_b32_dpp v15, v13 row_bcast:31 row_mask:0xf bank_mask:0xf
	v_add_f32_e32 v13, v13, v15
	ds_bpermute_b32 v13, v14, v13
	s_and_saveexec_b64 s[0:1], vcc
	s_cbranch_execz .LBB136_8
; %bb.25:
	v_cvt_f32_u32_e32 v14, s16
	s_mov_b32 s11, 0x20000
	s_waitcnt lgkmcnt(0)
	v_div_scale_f32 v15, s[0:1], v14, v14, v13
	v_rcp_f32_e32 v16, v15
	v_div_scale_f32 v17, vcc, v13, v14, v13
	s_mov_b32 s0, 0x800000
	v_fma_f32 v18, -v15, v16, 1.0
	v_fmac_f32_e32 v16, v18, v16
	v_mul_f32_e32 v18, v17, v16
	v_fma_f32 v19, -v15, v18, v17
	v_fmac_f32_e32 v18, v19, v16
	v_fma_f32 v15, -v15, v18, v17
	v_div_fmas_f32 v15, v15, v16, v18
	v_div_fixup_f32 v13, v15, v14, v13
	v_add_f32_e32 v13, s13, v13
	v_mul_f32_e32 v14, 0x4b800000, v13
	v_cmp_gt_f32_e32 vcc, s0, v13
	v_cndmask_b32_e32 v13, v13, v14, vcc
	v_rsq_f32_e32 v13, v13
	s_mul_hi_i32 s1, s7, s6
	s_mul_i32 s0, s7, s6
	s_lshl_b64 s[0:1], s[0:1], 1
	v_mul_f32_e32 v14, 0x45800000, v13
	v_cndmask_b32_e32 v14, v13, v14, vcc
	s_add_u32 s8, s28, s0
	v_mov_b32_e32 v15, v14
	s_addc_u32 s0, s29, s1
	;;#ASMSTART
	v_pk_mul_f32 v[10:11], v[10:11], v[14:15]
	;;#ASMEND
	;;#ASMSTART
	v_pk_mul_f32 v[8:9], v[8:9], v[14:15]
	;;#ASMEND
	;; [unrolled: 3-line block ×4, first 2 shown]
	s_waitcnt vmcnt(0)
	v_cvt_f32_u32_sdwa v15, v0 dst_sel:DWORD dst_unused:UNUSED_PAD src0_sel:WORD_1
	v_cvt_f32_u32_sdwa v14, v0 dst_sel:DWORD dst_unused:UNUSED_PAD src0_sel:WORD_0
	v_cvt_f32_u32_sdwa v17, v1 dst_sel:DWORD dst_unused:UNUSED_PAD src0_sel:WORD_1
	v_cvt_f32_u32_sdwa v16, v1 dst_sel:DWORD dst_unused:UNUSED_PAD src0_sel:WORD_0
	;; [unrolled: 2-line block ×4, first 2 shown]
	;;#ASMSTART
	v_pk_mul_f32 v[2:3], v[10:11], v[14:15]
	;;#ASMEND
	s_and_b32 s9, s0, 0xffff
	s_mov_b32 s0, 0x7060302
	;;#ASMSTART
	v_pk_mul_f32 v[8:9], v[8:9], v[16:17]
	;;#ASMEND
	;;#ASMSTART
	v_pk_mul_f32 v[6:7], v[6:7], v[0:1]
	;;#ASMEND
	;; [unrolled: 3-line block ×3, first 2 shown]
	v_perm_b32 v0, v3, v2, s0
	v_perm_b32 v1, v9, v8, s0
	;; [unrolled: 1-line block ×4, first 2 shown]
	buffer_store_dwordx4 v[0:3], v12, s[8:11], 0 offen
	;;#ASMSTART
	s_nop 0
	;;#ASMEND
	s_endpgm
	.section	.rodata,"a",@progbits
	.p2align	6, 0x0
	.amdhsa_kernel _ZN5aiter35fused_qk_rmsnorm_group_quant_kernelItN4opus5fp4_tELi64ELi8ELi16ELb0ELb1ELb0ELb0ELb0ELb0EEEvPT0_PvPT_S7_S7_PKS6_S9_S9_S9_S9_ffiiiiiiiiiiiii
		.amdhsa_group_segment_fixed_size 0
		.amdhsa_private_segment_fixed_size 0
		.amdhsa_kernarg_size 400
		.amdhsa_user_sgpr_count 6
		.amdhsa_user_sgpr_private_segment_buffer 1
		.amdhsa_user_sgpr_dispatch_ptr 0
		.amdhsa_user_sgpr_queue_ptr 0
		.amdhsa_user_sgpr_kernarg_segment_ptr 1
		.amdhsa_user_sgpr_dispatch_id 0
		.amdhsa_user_sgpr_flat_scratch_init 0
		.amdhsa_user_sgpr_kernarg_preload_length 0
		.amdhsa_user_sgpr_kernarg_preload_offset 0
		.amdhsa_user_sgpr_private_segment_size 0
		.amdhsa_uses_dynamic_stack 0
		.amdhsa_system_sgpr_private_segment_wavefront_offset 0
		.amdhsa_system_sgpr_workgroup_id_x 1
		.amdhsa_system_sgpr_workgroup_id_y 1
		.amdhsa_system_sgpr_workgroup_id_z 0
		.amdhsa_system_sgpr_workgroup_info 0
		.amdhsa_system_vgpr_workitem_id 0
		.amdhsa_next_free_vgpr 23
		.amdhsa_next_free_sgpr 32
		.amdhsa_accum_offset 24
		.amdhsa_reserve_vcc 1
		.amdhsa_reserve_flat_scratch 0
		.amdhsa_float_round_mode_32 0
		.amdhsa_float_round_mode_16_64 0
		.amdhsa_float_denorm_mode_32 3
		.amdhsa_float_denorm_mode_16_64 3
		.amdhsa_dx10_clamp 1
		.amdhsa_ieee_mode 1
		.amdhsa_fp16_overflow 0
		.amdhsa_tg_split 0
		.amdhsa_exception_fp_ieee_invalid_op 0
		.amdhsa_exception_fp_denorm_src 0
		.amdhsa_exception_fp_ieee_div_zero 0
		.amdhsa_exception_fp_ieee_overflow 0
		.amdhsa_exception_fp_ieee_underflow 0
		.amdhsa_exception_fp_ieee_inexact 0
		.amdhsa_exception_int_div_zero 0
	.end_amdhsa_kernel
	.section	.text._ZN5aiter35fused_qk_rmsnorm_group_quant_kernelItN4opus5fp4_tELi64ELi8ELi16ELb0ELb1ELb0ELb0ELb0ELb0EEEvPT0_PvPT_S7_S7_PKS6_S9_S9_S9_S9_ffiiiiiiiiiiiii,"axG",@progbits,_ZN5aiter35fused_qk_rmsnorm_group_quant_kernelItN4opus5fp4_tELi64ELi8ELi16ELb0ELb1ELb0ELb0ELb0ELb0EEEvPT0_PvPT_S7_S7_PKS6_S9_S9_S9_S9_ffiiiiiiiiiiiii,comdat
.Lfunc_end136:
	.size	_ZN5aiter35fused_qk_rmsnorm_group_quant_kernelItN4opus5fp4_tELi64ELi8ELi16ELb0ELb1ELb0ELb0ELb0ELb0EEEvPT0_PvPT_S7_S7_PKS6_S9_S9_S9_S9_ffiiiiiiiiiiiii, .Lfunc_end136-_ZN5aiter35fused_qk_rmsnorm_group_quant_kernelItN4opus5fp4_tELi64ELi8ELi16ELb0ELb1ELb0ELb0ELb0ELb0EEEvPT0_PvPT_S7_S7_PKS6_S9_S9_S9_S9_ffiiiiiiiiiiiii
                                        ; -- End function
	.section	.AMDGPU.csdata,"",@progbits
; Kernel info:
; codeLenInByte = 2320
; NumSgprs: 36
; NumVgprs: 23
; NumAgprs: 0
; TotalNumVgprs: 23
; ScratchSize: 0
; MemoryBound: 0
; FloatMode: 240
; IeeeMode: 1
; LDSByteSize: 0 bytes/workgroup (compile time only)
; SGPRBlocks: 4
; VGPRBlocks: 2
; NumSGPRsForWavesPerEU: 36
; NumVGPRsForWavesPerEU: 23
; AccumOffset: 24
; Occupancy: 8
; WaveLimiterHint : 0
; COMPUTE_PGM_RSRC2:SCRATCH_EN: 0
; COMPUTE_PGM_RSRC2:USER_SGPR: 6
; COMPUTE_PGM_RSRC2:TRAP_HANDLER: 0
; COMPUTE_PGM_RSRC2:TGID_X_EN: 1
; COMPUTE_PGM_RSRC2:TGID_Y_EN: 1
; COMPUTE_PGM_RSRC2:TGID_Z_EN: 0
; COMPUTE_PGM_RSRC2:TIDIG_COMP_CNT: 0
; COMPUTE_PGM_RSRC3_GFX90A:ACCUM_OFFSET: 5
; COMPUTE_PGM_RSRC3_GFX90A:TG_SPLIT: 0
	.section	.text._ZN5aiter35fused_qk_rmsnorm_group_quant_kernelIDF16_DB8_Li64ELi8ELi16ELb0ELb0ELb1ELb0ELb0ELb0EEEvPT0_PvPT_S6_S6_PKS5_S8_S8_S8_S8_ffiiiiiiiiiiiii,"axG",@progbits,_ZN5aiter35fused_qk_rmsnorm_group_quant_kernelIDF16_DB8_Li64ELi8ELi16ELb0ELb0ELb1ELb0ELb0ELb0EEEvPT0_PvPT_S6_S6_PKS5_S8_S8_S8_S8_ffiiiiiiiiiiiii,comdat
	.protected	_ZN5aiter35fused_qk_rmsnorm_group_quant_kernelIDF16_DB8_Li64ELi8ELi16ELb0ELb0ELb1ELb0ELb0ELb0EEEvPT0_PvPT_S6_S6_PKS5_S8_S8_S8_S8_ffiiiiiiiiiiiii ; -- Begin function _ZN5aiter35fused_qk_rmsnorm_group_quant_kernelIDF16_DB8_Li64ELi8ELi16ELb0ELb0ELb1ELb0ELb0ELb0EEEvPT0_PvPT_S6_S6_PKS5_S8_S8_S8_S8_ffiiiiiiiiiiiii
	.globl	_ZN5aiter35fused_qk_rmsnorm_group_quant_kernelIDF16_DB8_Li64ELi8ELi16ELb0ELb0ELb1ELb0ELb0ELb0EEEvPT0_PvPT_S6_S6_PKS5_S8_S8_S8_S8_ffiiiiiiiiiiiii
	.p2align	8
	.type	_ZN5aiter35fused_qk_rmsnorm_group_quant_kernelIDF16_DB8_Li64ELi8ELi16ELb0ELb0ELb1ELb0ELb0ELb0EEEvPT0_PvPT_S6_S6_PKS5_S8_S8_S8_S8_ffiiiiiiiiiiiii,@function
_ZN5aiter35fused_qk_rmsnorm_group_quant_kernelIDF16_DB8_Li64ELi8ELi16ELb0ELb0ELb1ELb0ELb0ELb0EEEvPT0_PvPT_S6_S6_PKS5_S8_S8_S8_S8_ffiiiiiiiiiiiii: ; @_ZN5aiter35fused_qk_rmsnorm_group_quant_kernelIDF16_DB8_Li64ELi8ELi16ELb0ELb0ELb1ELb0ELb0ELb0EEEvPT0_PvPT_S6_S6_PKS5_S8_S8_S8_S8_ffiiiiiiiiiiiii
; %bb.0:
	s_load_dwordx4 s[12:15], s[4:5], 0x50
	s_waitcnt lgkmcnt(0)
	s_cmp_ge_i32 s6, s14
	s_cbranch_scc1 .LBB137_10
; %bb.1:
	s_load_dwordx2 s[8:9], s[4:5], 0x48
	s_load_dwordx2 s[26:27], s[4:5], 0x30
	s_load_dwordx4 s[16:19], s[4:5], 0x60
	s_cmp_lg_u32 s7, 0
	s_cselect_b64 s[2:3], -1, 0
	s_cmp_eq_u32 s7, 0
	s_cselect_b64 vcc, -1, 0
	s_and_b64 s[0:1], vcc, exec
	s_waitcnt lgkmcnt(0)
	s_cselect_b32 s7, s15, s16
	s_add_i32 s0, s7, 1
	s_lshr_b32 s1, s0, 31
	s_add_i32 s0, s0, s1
	s_lshl_b32 s0, s0, 1
	v_lshlrev_b32_e32 v1, 3, v0
	s_and_b32 s22, s0, -4
	v_cmp_gt_i32_e64 s[0:1], s7, v1
	v_mov_b32_e32 v10, 0
	v_mov_b32_e32 v2, 0
	;; [unrolled: 1-line block ×9, first 2 shown]
	s_and_saveexec_b64 s[10:11], s[0:1]
	s_cbranch_execz .LBB137_3
; %bb.2:
	s_load_dwordx2 s[20:21], s[4:5], 0x28
	s_load_dwordx2 s[24:25], s[4:5], 0x40
	s_and_b64 s[28:29], vcc, exec
	s_cselect_b32 s14, s17, s18
	s_mov_b32 s23, 0x20000
	s_waitcnt lgkmcnt(0)
	s_cselect_b32 s17, s21, s27
	s_cselect_b32 s19, s20, s26
	s_mul_hi_i32 s21, s14, s6
	s_mul_i32 s20, s14, s6
	s_lshl_b64 s[20:21], s[20:21], 1
	s_add_u32 s28, s19, s20
	s_addc_u32 s14, s17, s21
	s_and_b64 s[20:21], vcc, exec
	s_cselect_b32 s20, s24, s8
	s_cselect_b32 s17, s25, s9
	v_lshlrev_b32_e32 v11, 4, v0
	s_and_b32 s29, s14, 0xffff
	s_mov_b32 s30, s22
	s_mov_b32 s31, s23
	s_and_b32 s21, s17, 0xffff
	buffer_load_dwordx4 v[6:9], v11, s[28:31], 0 offen glc slc
	buffer_load_dwordx4 v[2:5], v11, s[20:23], 0 offen
.LBB137_3:
	s_or_b64 exec, exec, s[10:11]
	v_mov_b32_e32 v11, 0
	v_mov_b32_e32 v16, 0
	;; [unrolled: 1-line block ×7, first 2 shown]
	s_and_saveexec_b64 s[10:11], s[0:1]
	s_cbranch_execz .LBB137_5
; %bb.4:
	s_waitcnt vmcnt(1)
	v_cvt_f32_f16_sdwa v11, v6 dst_sel:DWORD dst_unused:UNUSED_PAD src0_sel:WORD_1
	v_cvt_f32_f16_e32 v10, v6
	v_cvt_f32_f16_sdwa v17, v7 dst_sel:DWORD dst_unused:UNUSED_PAD src0_sel:WORD_1
	v_cvt_f32_f16_e32 v16, v7
	;; [unrolled: 2-line block ×4, first 2 shown]
.LBB137_5:
	s_or_b64 exec, exec, s[10:11]
	s_waitcnt vmcnt(1)
	v_mul_f32_e32 v6, v11, v11
	v_fmac_f32_e32 v6, v10, v10
	v_fmac_f32_e32 v6, v16, v16
	;; [unrolled: 1-line block ×7, first 2 shown]
	v_bfrev_b32_e32 v8, 0.5
	s_load_dwordx2 s[24:25], s[4:5], 0x18
	v_mov_b32_dpp v7, v6 quad_perm:[1,0,3,2] row_mask:0xf bank_mask:0xf
	v_add_f32_e32 v6, v6, v7
	s_nop 1
	v_mov_b32_dpp v7, v6 quad_perm:[2,3,0,1] row_mask:0xf bank_mask:0xf
	v_add_f32_e32 v6, v6, v7
	s_nop 1
	v_mov_b32_dpp v7, v6 row_half_mirror row_mask:0xf bank_mask:0xf
	v_add_f32_e32 v6, v6, v7
	s_nop 1
	v_mov_b32_dpp v7, v6 row_mirror row_mask:0xf bank_mask:0xf
	v_add_f32_e32 v6, v6, v7
	s_nop 1
	v_mov_b32_dpp v7, v6 row_bcast:15 row_mask:0xf bank_mask:0xf
	v_add_f32_e32 v6, v6, v7
	s_nop 1
	v_mov_b32_dpp v7, v6 row_bcast:31 row_mask:0xf bank_mask:0xf
	v_add_f32_e32 v6, v6, v7
	v_mbcnt_lo_u32_b32 v7, -1, 0
	v_mbcnt_hi_u32_b32 v7, -1, v7
	v_lshl_or_b32 v18, v7, 2, v8
	ds_bpermute_b32 v6, v18, v6
	s_and_saveexec_b64 s[10:11], s[0:1]
	s_cbranch_execz .LBB137_7
; %bb.6:
	v_cvt_f32_u32_e32 v7, s7
	v_mov_b32_e32 v8, s13
	v_mov_b32_e32 v9, s12
	v_cndmask_b32_e32 v8, v8, v9, vcc
	s_waitcnt lgkmcnt(0)
	v_div_scale_f32 v19, s[20:21], v7, v7, v6
	v_rcp_f32_e32 v20, v19
	v_div_scale_f32 v9, vcc, v6, v7, v6
	s_mov_b32 s7, 0x800000
	v_fma_f32 v21, -v19, v20, 1.0
	v_fmac_f32_e32 v20, v21, v20
	v_mul_f32_e32 v21, v9, v20
	v_fma_f32 v22, -v19, v21, v9
	v_fmac_f32_e32 v21, v22, v20
	v_fma_f32 v9, -v19, v21, v9
	v_div_fmas_f32 v9, v9, v20, v21
	v_div_fixup_f32 v6, v9, v7, v6
	v_add_f32_e32 v6, v8, v6
	v_mul_f32_e32 v7, 0x4b800000, v6
	v_cmp_gt_f32_e32 vcc, s7, v6
	v_cndmask_b32_e32 v6, v6, v7, vcc
	v_rsq_f32_e32 v6, v6
	s_waitcnt vmcnt(0)
	v_cvt_f32_f16_sdwa v21, v3 dst_sel:DWORD dst_unused:UNUSED_PAD src0_sel:WORD_1
	v_cvt_f32_f16_e32 v20, v3
	v_mul_f32_e32 v7, 0x45800000, v6
	v_cndmask_b32_e32 v6, v6, v7, vcc
	v_mov_b32_e32 v7, v6
	;;#ASMSTART
	v_pk_mul_f32 v[8:9], v[10:11], v[6:7]
	;;#ASMEND
	v_cvt_f32_f16_sdwa v11, v2 dst_sel:DWORD dst_unused:UNUSED_PAD src0_sel:WORD_1
	v_cvt_f32_f16_e32 v10, v2
	;;#ASMSTART
	v_pk_mul_f32 v[16:17], v[16:17], v[6:7]
	;;#ASMEND
	;;#ASMSTART
	v_pk_mul_f32 v[14:15], v[14:15], v[6:7]
	;;#ASMEND
	;; [unrolled: 3-line block ×3, first 2 shown]
	v_pk_add_f32 v[6:7], v[10:11], 1.0 op_sel_hi:[1,0]
	;;#ASMSTART
	v_pk_mul_f32 v[10:11], v[8:9], v[6:7]
	;;#ASMEND
	v_cvt_f32_f16_sdwa v9, v4 dst_sel:DWORD dst_unused:UNUSED_PAD src0_sel:WORD_1
	v_cvt_f32_f16_e32 v8, v4
	v_cvt_f32_f16_sdwa v13, v5 dst_sel:DWORD dst_unused:UNUSED_PAD src0_sel:WORD_1
	v_cvt_f32_f16_e32 v12, v5
	v_pk_add_f32 v[6:7], v[20:21], 1.0 op_sel_hi:[1,0]
	v_pk_add_f32 v[4:5], v[8:9], 1.0 op_sel_hi:[1,0]
	;;#ASMSTART
	v_pk_mul_f32 v[16:17], v[16:17], v[6:7]
	;;#ASMEND
	;;#ASMSTART
	v_pk_mul_f32 v[14:15], v[14:15], v[4:5]
	;;#ASMEND
	v_pk_add_f32 v[4:5], v[12:13], 1.0 op_sel_hi:[1,0]
	;;#ASMSTART
	v_pk_mul_f32 v[12:13], v[2:3], v[4:5]
	;;#ASMEND
.LBB137_7:
	s_or_b64 exec, exec, s[10:11]
	s_load_dword s7, s[4:5], 0x80
	s_mov_b64 s[10:11], -1
	s_and_b64 vcc, exec, s[2:3]
	s_cbranch_vccnz .LBB137_11
; %bb.8:
	s_andn2_b64 vcc, exec, s[10:11]
	s_cbranch_vccz .LBB137_14
.LBB137_9:
	s_cmp_lt_i32 s16, 1
	s_cbranch_scc0 .LBB137_21
.LBB137_10:
	s_endpgm
.LBB137_11:
	s_and_saveexec_b64 s[2:3], s[0:1]
	s_cbranch_execz .LBB137_13
; %bb.12:
	s_waitcnt lgkmcnt(0)
	s_mul_hi_i32 s11, s7, s6
	s_mul_i32 s10, s7, s6
	s_waitcnt vmcnt(0)
	v_cvt_f16_f32_e32 v2, v10
	v_cvt_f16_f32_e32 v3, v16
	v_cvt_f16_f32_e32 v4, v14
	v_cvt_f16_f32_e32 v5, v12
	v_cvt_f16_f32_e32 v6, v13
	v_cvt_f16_f32_e32 v7, v15
	v_cvt_f16_f32_e32 v8, v17
	v_cvt_f16_f32_e32 v9, v11
	s_lshl_b64 s[10:11], s[10:11], 1
	s_add_u32 s20, s24, s10
	s_addc_u32 s10, s25, s11
	s_and_b32 s21, s10, 0xffff
	s_mov_b32 s23, 0x20000
	v_pack_b32_f16 v5, v5, v6
	v_pack_b32_f16 v4, v4, v7
	;; [unrolled: 1-line block ×4, first 2 shown]
	v_lshlrev_b32_e32 v6, 4, v0
	buffer_store_dwordx4 v[2:5], v6, s[20:23], 0 offen
	;;#ASMSTART
	s_nop 0
	;;#ASMEND
.LBB137_13:
	s_or_b64 exec, exec, s[2:3]
	s_cbranch_execnz .LBB137_9
.LBB137_14:
	s_waitcnt vmcnt(0)
	v_mov_b32_e32 v2, 0
	s_and_saveexec_b64 s[2:3], s[0:1]
	s_cbranch_execz .LBB137_16
; %bb.15:
	v_and_b32_e32 v2, 0x7fffffff, v10
	v_and_b32_e32 v3, 0x7fffffff, v11
	v_mov_b32_e32 v4, 0x2edbe6ff
	;;#ASMSTART
	v_max3_f32 v2, v4, v2, v3

	;;#ASMEND
	v_and_b32_e32 v3, 0x7fffffff, v16
	v_and_b32_e32 v4, 0x7fffffff, v17
	;;#ASMSTART
	v_max3_f32 v2, v2, v3, v4

	;;#ASMEND
	v_and_b32_e32 v3, 0x7fffffff, v14
	v_and_b32_e32 v4, 0x7fffffff, v15
	;; [unrolled: 6-line block ×3, first 2 shown]
	;;#ASMSTART
	v_max3_f32 v2, v2, v3, v4

	;;#ASMEND
.LBB137_16:
	s_or_b64 exec, exec, s[2:3]
	s_load_dwordx4 s[20:23], s[4:5], 0x70
	;;#ASMSTART
	v_max_f32 v3, v2, v2 quad_perm:[1,0,3,2] row_mask:0xf bank_mask:0xf bound_ctrl:1
	;;#ASMEND
	;;#ASMSTART
	v_max_f32 v2, v3, v3 quad_perm:[2,3,0,1] row_mask:0xf bank_mask:0xf bound_ctrl:1
	;;#ASMEND
	;;#ASMSTART
	v_max_f32 v3, v2, v2 row_half_mirror row_mask:0xf bank_mask:0xf bound_ctrl:1
	;;#ASMEND
	;;#ASMSTART
	v_max_f32 v2, v3, v3 row_mirror row_mask:0xf bank_mask:0xf bound_ctrl:1
	;;#ASMEND
	v_and_b32_e32 v3, 15, v0
	v_cmp_eq_u32_e32 vcc, 0, v3
	v_cmp_gt_i32_e64 s[2:3], s15, v1
	v_mul_f32_e32 v2, 0x3b124925, v2
	s_and_b64 s[10:11], vcc, s[2:3]
	s_and_saveexec_b64 s[2:3], s[10:11]
	s_cbranch_execz .LBB137_18
; %bb.17:
	s_load_dwordx2 s[10:11], s[4:5], 0x8
	v_lshrrev_b32_e32 v3, 4, v0
	s_waitcnt lgkmcnt(0)
	s_mul_hi_i32 s29, s21, s6
	s_mul_i32 s28, s21, s6
	v_mad_i64_i32 v[4:5], s[22:23], s22, v3, 0
	s_lshl_b64 s[22:23], s[28:29], 2
	s_add_u32 s10, s10, s22
	s_addc_u32 s11, s11, s23
	v_lshlrev_b64 v[4:5], 2, v[4:5]
	v_mov_b32_e32 v3, s11
	v_add_co_u32_e32 v4, vcc, s10, v4
	v_addc_co_u32_e32 v5, vcc, v3, v5, vcc
	global_store_dword v[4:5], v2, off
.LBB137_18:
	s_or_b64 exec, exec, s[2:3]
	;;#ASMSTART
	v_rcp_f32 v2, v2
	;;#ASMEND
	s_and_saveexec_b64 s[10:11], s[0:1]
	s_cbranch_execz .LBB137_20
; %bb.19:
	v_mov_b32_e32 v3, v2
	;;#ASMSTART
	v_pk_mul_f32 v[4:5], v[10:11], v[2:3]
	;;#ASMEND
	s_load_dwordx2 s[0:1], s[4:5], 0x0
	v_mov_b32_e32 v8, 0xc3e00000
	v_mov_b32_e32 v9, 0x43e00000
	s_waitcnt lgkmcnt(0)
	;;#ASMSTART
	v_med3_f32 v4, v4, v8, v9
v_med3_f32 v5, v5, v8, v9
v_cvt_pk_fp8_f32 v6, v4, v5
	;;#ASMEND
	;;#ASMSTART
	v_pk_mul_f32 v[4:5], v[16:17], v[2:3]
	;;#ASMEND
	;;#ASMSTART
	v_med3_f32 v4, v4, v8, v9
v_med3_f32 v5, v5, v8, v9
v_cvt_pk_fp8_f32 v7, v4, v5
	;;#ASMEND
	s_mov_b32 s14, 0x5040100
	v_perm_b32 v5, v7, v6, s14
	s_movk_i32 s14, 0xff
	s_mul_i32 s3, s20, s6
	v_and_b32_e32 v4, 0xffffff00, v7
	v_and_b32_sdwa v6, v5, s14 dst_sel:DWORD dst_unused:UNUSED_PAD src0_sel:WORD_1 src1_sel:DWORD
	s_mul_hi_i32 s2, s20, s6
	s_mov_b32 s12, 0xffff
	s_add_u32 s0, s0, s3
	v_or_b32_sdwa v4, v6, v4 dst_sel:WORD_1 dst_unused:UNUSED_PAD src0_sel:DWORD src1_sel:DWORD
	s_addc_u32 s1, s1, s2
	s_add_i32 s2, s15, 3
	v_and_or_b32 v4, v5, s12, v4
	;;#ASMSTART
	v_pk_mul_f32 v[6:7], v[14:15], v[2:3]
	;;#ASMEND
	v_mov_b32_e32 v5, v7
	s_ashr_i32 s3, s2, 31
	;;#ASMSTART
	v_med3_f32 v6, v6, v8, v9
v_med3_f32 v5, v5, v8, v9
v_cvt_pk_fp8_f32 v7, v6, v5
	;;#ASMEND
	;;#ASMSTART
	v_pk_mul_f32 v[2:3], v[12:13], v[2:3]
	;;#ASMEND
	s_lshr_b32 s3, s3, 30
	;;#ASMSTART
	v_med3_f32 v2, v2, v8, v9
v_med3_f32 v3, v3, v8, v9
v_cvt_pk_fp8_f32 v5, v2, v3
	;;#ASMEND
	s_add_i32 s2, s2, s3
	v_lshlrev_b32_e32 v2, 16, v5
	s_and_b32 s2, s2, -4
	s_and_b32 s1, s1, 0xffff
	s_mov_b32 s3, 0x20000
	v_and_or_b32 v5, v7, s12, v2
	buffer_store_dwordx2 v[4:5], v1, s[0:3], 0 offen
	;;#ASMSTART
	s_nop 0
	;;#ASMEND
.LBB137_20:
	s_or_b64 exec, exec, s[10:11]
	s_cmp_lt_i32 s16, 1
	s_cbranch_scc1 .LBB137_10
.LBB137_21:
	s_load_dword s0, s[4:5], 0x94
	s_waitcnt lgkmcnt(0)
	s_cmp_lg_u32 s0, 1
	s_cbranch_scc1 .LBB137_10
; %bb.22:
	s_lshl_b32 s0, s16, 1
	s_add_i32 s0, s0, 2
	v_cmp_gt_u32_e32 vcc, s16, v1
	s_and_b32 s10, s0, -4
	v_mov_b32_e32 v8, 0
	v_lshlrev_b32_e32 v16, 4, v0
	s_waitcnt vmcnt(0)
	v_mov_b32_e32 v4, 0
	v_mov_b32_e32 v5, 0
	;; [unrolled: 1-line block ×8, first 2 shown]
	s_barrier
	s_and_saveexec_b64 s[0:1], vcc
	s_cbranch_execz .LBB137_24
; %bb.23:
	s_mul_hi_i32 s3, s18, s6
	s_mul_i32 s2, s18, s6
	s_and_b32 s9, s9, 0xffff
	s_lshl_b64 s[2:3], s[2:3], 1
	s_add_u32 s20, s26, s2
	s_mov_b32 s11, 0x20000
	s_addc_u32 s2, s27, s3
	s_and_b32 s21, s2, 0xffff
	s_mov_b32 s22, s10
	s_mov_b32 s23, s11
	buffer_load_dwordx4 v[4:7], v16, s[20:23], 0 offen glc slc
	buffer_load_dwordx4 v[0:3], v16, s[8:11], 0 offen
.LBB137_24:
	s_or_b64 exec, exec, s[0:1]
	v_mov_b32_e32 v9, 0
	v_mov_b32_e32 v12, 0
	;; [unrolled: 1-line block ×7, first 2 shown]
	s_and_saveexec_b64 s[0:1], vcc
	s_cbranch_execz .LBB137_26
; %bb.25:
	s_waitcnt vmcnt(1)
	v_cvt_f32_f16_sdwa v9, v4 dst_sel:DWORD dst_unused:UNUSED_PAD src0_sel:WORD_1
	v_cvt_f32_f16_e32 v8, v4
	v_cvt_f32_f16_sdwa v13, v5 dst_sel:DWORD dst_unused:UNUSED_PAD src0_sel:WORD_1
	v_cvt_f32_f16_e32 v12, v5
	;; [unrolled: 2-line block ×4, first 2 shown]
.LBB137_26:
	s_or_b64 exec, exec, s[0:1]
	s_waitcnt vmcnt(1)
	v_mul_f32_e32 v4, v9, v9
	v_fmac_f32_e32 v4, v8, v8
	v_fmac_f32_e32 v4, v12, v12
	;; [unrolled: 1-line block ×7, first 2 shown]
	s_nop 1
	v_mov_b32_dpp v5, v4 quad_perm:[1,0,3,2] row_mask:0xf bank_mask:0xf
	v_add_f32_e32 v4, v4, v5
	s_nop 1
	v_mov_b32_dpp v5, v4 quad_perm:[2,3,0,1] row_mask:0xf bank_mask:0xf
	v_add_f32_e32 v4, v4, v5
	s_nop 1
	v_mov_b32_dpp v5, v4 row_half_mirror row_mask:0xf bank_mask:0xf
	v_add_f32_e32 v4, v4, v5
	s_nop 1
	v_mov_b32_dpp v5, v4 row_mirror row_mask:0xf bank_mask:0xf
	v_add_f32_e32 v4, v4, v5
	s_nop 1
	v_mov_b32_dpp v5, v4 row_bcast:15 row_mask:0xf bank_mask:0xf
	v_add_f32_e32 v4, v4, v5
	s_nop 1
	v_mov_b32_dpp v5, v4 row_bcast:31 row_mask:0xf bank_mask:0xf
	v_add_f32_e32 v4, v4, v5
	ds_bpermute_b32 v4, v18, v4
	s_and_saveexec_b64 s[0:1], vcc
	s_cbranch_execz .LBB137_10
; %bb.27:
	v_cvt_f32_u32_e32 v5, s16
	s_mov_b32 s11, 0x20000
	s_waitcnt lgkmcnt(0)
	v_div_scale_f32 v6, s[0:1], v5, v5, v4
	v_rcp_f32_e32 v7, v6
	v_div_scale_f32 v17, vcc, v4, v5, v4
	s_mov_b32 s0, 0x800000
	v_fma_f32 v18, -v6, v7, 1.0
	v_fmac_f32_e32 v7, v18, v7
	v_mul_f32_e32 v18, v17, v7
	v_fma_f32 v19, -v6, v18, v17
	v_fmac_f32_e32 v18, v19, v7
	v_fma_f32 v6, -v6, v18, v17
	v_div_fmas_f32 v6, v6, v7, v18
	v_div_fixup_f32 v4, v6, v5, v4
	v_add_f32_e32 v4, s13, v4
	v_mul_f32_e32 v5, 0x4b800000, v4
	v_cmp_gt_f32_e32 vcc, s0, v4
	v_cndmask_b32_e32 v4, v4, v5, vcc
	v_rsq_f32_e32 v4, v4
	s_waitcnt vmcnt(0)
	v_cvt_f32_f16_sdwa v5, v0 dst_sel:DWORD dst_unused:UNUSED_PAD src0_sel:WORD_1
	v_cvt_f32_f16_sdwa v19, v1 dst_sel:DWORD dst_unused:UNUSED_PAD src0_sel:WORD_1
	v_cvt_f32_f16_e32 v18, v1
	v_mul_f32_e32 v6, 0x45800000, v4
	v_cndmask_b32_e32 v6, v4, v6, vcc
	v_cvt_f32_f16_e32 v4, v0
	v_mov_b32_e32 v7, v6
	;;#ASMSTART
	v_pk_mul_f32 v[8:9], v[8:9], v[6:7]
	;;#ASMEND
	;;#ASMSTART
	v_pk_mul_f32 v[12:13], v[12:13], v[6:7]
	;;#ASMEND
	v_pk_add_f32 v[4:5], v[4:5], 1.0 op_sel_hi:[1,0]
	;;#ASMSTART
	v_pk_mul_f32 v[14:15], v[14:15], v[6:7]
	;;#ASMEND
	;;#ASMSTART
	v_pk_mul_f32 v[0:1], v[10:11], v[6:7]
	;;#ASMEND
	;; [unrolled: 3-line block ×3, first 2 shown]
	v_cvt_f32_f16_sdwa v9, v2 dst_sel:DWORD dst_unused:UNUSED_PAD src0_sel:WORD_1
	v_cvt_f32_f16_e32 v8, v2
	v_cvt_f32_f16_sdwa v11, v3 dst_sel:DWORD dst_unused:UNUSED_PAD src0_sel:WORD_1
	v_cvt_f32_f16_e32 v10, v3
	v_pk_add_f32 v[6:7], v[18:19], 1.0 op_sel_hi:[1,0]
	;;#ASMSTART
	v_pk_mul_f32 v[2:3], v[12:13], v[6:7]
	;;#ASMEND
	v_pk_add_f32 v[6:7], v[8:9], 1.0 op_sel_hi:[1,0]
	;;#ASMSTART
	v_pk_mul_f32 v[6:7], v[14:15], v[6:7]
	;;#ASMEND
	;; [unrolled: 4-line block ×3, first 2 shown]
	s_mul_hi_i32 s1, s7, s6
	s_mul_i32 s0, s7, s6
	v_cvt_f16_f32_e32 v4, v4
	v_cvt_f16_f32_e32 v5, v5
	;; [unrolled: 1-line block ×8, first 2 shown]
	s_lshl_b64 s[0:1], s[0:1], 1
	s_add_u32 s8, s24, s0
	s_addc_u32 s0, s25, s1
	s_and_b32 s9, s0, 0xffff
	v_pack_b32_f16 v0, v4, v5
	v_pack_b32_f16 v1, v2, v3
	;; [unrolled: 1-line block ×4, first 2 shown]
	buffer_store_dwordx4 v[0:3], v16, s[8:11], 0 offen
	;;#ASMSTART
	s_nop 0
	;;#ASMEND
	s_endpgm
	.section	.rodata,"a",@progbits
	.p2align	6, 0x0
	.amdhsa_kernel _ZN5aiter35fused_qk_rmsnorm_group_quant_kernelIDF16_DB8_Li64ELi8ELi16ELb0ELb0ELb1ELb0ELb0ELb0EEEvPT0_PvPT_S6_S6_PKS5_S8_S8_S8_S8_ffiiiiiiiiiiiii
		.amdhsa_group_segment_fixed_size 0
		.amdhsa_private_segment_fixed_size 0
		.amdhsa_kernarg_size 400
		.amdhsa_user_sgpr_count 6
		.amdhsa_user_sgpr_private_segment_buffer 1
		.amdhsa_user_sgpr_dispatch_ptr 0
		.amdhsa_user_sgpr_queue_ptr 0
		.amdhsa_user_sgpr_kernarg_segment_ptr 1
		.amdhsa_user_sgpr_dispatch_id 0
		.amdhsa_user_sgpr_flat_scratch_init 0
		.amdhsa_user_sgpr_kernarg_preload_length 0
		.amdhsa_user_sgpr_kernarg_preload_offset 0
		.amdhsa_user_sgpr_private_segment_size 0
		.amdhsa_uses_dynamic_stack 0
		.amdhsa_system_sgpr_private_segment_wavefront_offset 0
		.amdhsa_system_sgpr_workgroup_id_x 1
		.amdhsa_system_sgpr_workgroup_id_y 1
		.amdhsa_system_sgpr_workgroup_id_z 0
		.amdhsa_system_sgpr_workgroup_info 0
		.amdhsa_system_vgpr_workitem_id 0
		.amdhsa_next_free_vgpr 23
		.amdhsa_next_free_sgpr 32
		.amdhsa_accum_offset 24
		.amdhsa_reserve_vcc 1
		.amdhsa_reserve_flat_scratch 0
		.amdhsa_float_round_mode_32 0
		.amdhsa_float_round_mode_16_64 0
		.amdhsa_float_denorm_mode_32 3
		.amdhsa_float_denorm_mode_16_64 3
		.amdhsa_dx10_clamp 1
		.amdhsa_ieee_mode 1
		.amdhsa_fp16_overflow 0
		.amdhsa_tg_split 0
		.amdhsa_exception_fp_ieee_invalid_op 0
		.amdhsa_exception_fp_denorm_src 0
		.amdhsa_exception_fp_ieee_div_zero 0
		.amdhsa_exception_fp_ieee_overflow 0
		.amdhsa_exception_fp_ieee_underflow 0
		.amdhsa_exception_fp_ieee_inexact 0
		.amdhsa_exception_int_div_zero 0
	.end_amdhsa_kernel
	.section	.text._ZN5aiter35fused_qk_rmsnorm_group_quant_kernelIDF16_DB8_Li64ELi8ELi16ELb0ELb0ELb1ELb0ELb0ELb0EEEvPT0_PvPT_S6_S6_PKS5_S8_S8_S8_S8_ffiiiiiiiiiiiii,"axG",@progbits,_ZN5aiter35fused_qk_rmsnorm_group_quant_kernelIDF16_DB8_Li64ELi8ELi16ELb0ELb0ELb1ELb0ELb0ELb0EEEvPT0_PvPT_S6_S6_PKS5_S8_S8_S8_S8_ffiiiiiiiiiiiii,comdat
.Lfunc_end137:
	.size	_ZN5aiter35fused_qk_rmsnorm_group_quant_kernelIDF16_DB8_Li64ELi8ELi16ELb0ELb0ELb1ELb0ELb0ELb0EEEvPT0_PvPT_S6_S6_PKS5_S8_S8_S8_S8_ffiiiiiiiiiiiii, .Lfunc_end137-_ZN5aiter35fused_qk_rmsnorm_group_quant_kernelIDF16_DB8_Li64ELi8ELi16ELb0ELb0ELb1ELb0ELb0ELb0EEEvPT0_PvPT_S6_S6_PKS5_S8_S8_S8_S8_ffiiiiiiiiiiiii
                                        ; -- End function
	.section	.AMDGPU.csdata,"",@progbits
; Kernel info:
; codeLenInByte = 2428
; NumSgprs: 36
; NumVgprs: 23
; NumAgprs: 0
; TotalNumVgprs: 23
; ScratchSize: 0
; MemoryBound: 0
; FloatMode: 240
; IeeeMode: 1
; LDSByteSize: 0 bytes/workgroup (compile time only)
; SGPRBlocks: 4
; VGPRBlocks: 2
; NumSGPRsForWavesPerEU: 36
; NumVGPRsForWavesPerEU: 23
; AccumOffset: 24
; Occupancy: 8
; WaveLimiterHint : 0
; COMPUTE_PGM_RSRC2:SCRATCH_EN: 0
; COMPUTE_PGM_RSRC2:USER_SGPR: 6
; COMPUTE_PGM_RSRC2:TRAP_HANDLER: 0
; COMPUTE_PGM_RSRC2:TGID_X_EN: 1
; COMPUTE_PGM_RSRC2:TGID_Y_EN: 1
; COMPUTE_PGM_RSRC2:TGID_Z_EN: 0
; COMPUTE_PGM_RSRC2:TIDIG_COMP_CNT: 0
; COMPUTE_PGM_RSRC3_GFX90A:ACCUM_OFFSET: 5
; COMPUTE_PGM_RSRC3_GFX90A:TG_SPLIT: 0
	.section	.text._ZN5aiter35fused_qk_rmsnorm_group_quant_kernelItDB8_Li64ELi8ELi16ELb0ELb0ELb1ELb0ELb0ELb0EEEvPT0_PvPT_S6_S6_PKS5_S8_S8_S8_S8_ffiiiiiiiiiiiii,"axG",@progbits,_ZN5aiter35fused_qk_rmsnorm_group_quant_kernelItDB8_Li64ELi8ELi16ELb0ELb0ELb1ELb0ELb0ELb0EEEvPT0_PvPT_S6_S6_PKS5_S8_S8_S8_S8_ffiiiiiiiiiiiii,comdat
	.protected	_ZN5aiter35fused_qk_rmsnorm_group_quant_kernelItDB8_Li64ELi8ELi16ELb0ELb0ELb1ELb0ELb0ELb0EEEvPT0_PvPT_S6_S6_PKS5_S8_S8_S8_S8_ffiiiiiiiiiiiii ; -- Begin function _ZN5aiter35fused_qk_rmsnorm_group_quant_kernelItDB8_Li64ELi8ELi16ELb0ELb0ELb1ELb0ELb0ELb0EEEvPT0_PvPT_S6_S6_PKS5_S8_S8_S8_S8_ffiiiiiiiiiiiii
	.globl	_ZN5aiter35fused_qk_rmsnorm_group_quant_kernelItDB8_Li64ELi8ELi16ELb0ELb0ELb1ELb0ELb0ELb0EEEvPT0_PvPT_S6_S6_PKS5_S8_S8_S8_S8_ffiiiiiiiiiiiii
	.p2align	8
	.type	_ZN5aiter35fused_qk_rmsnorm_group_quant_kernelItDB8_Li64ELi8ELi16ELb0ELb0ELb1ELb0ELb0ELb0EEEvPT0_PvPT_S6_S6_PKS5_S8_S8_S8_S8_ffiiiiiiiiiiiii,@function
_ZN5aiter35fused_qk_rmsnorm_group_quant_kernelItDB8_Li64ELi8ELi16ELb0ELb0ELb1ELb0ELb0ELb0EEEvPT0_PvPT_S6_S6_PKS5_S8_S8_S8_S8_ffiiiiiiiiiiiii: ; @_ZN5aiter35fused_qk_rmsnorm_group_quant_kernelItDB8_Li64ELi8ELi16ELb0ELb0ELb1ELb0ELb0ELb0EEEvPT0_PvPT_S6_S6_PKS5_S8_S8_S8_S8_ffiiiiiiiiiiiii
; %bb.0:
	s_load_dwordx4 s[12:15], s[4:5], 0x50
	s_waitcnt lgkmcnt(0)
	s_cmp_ge_i32 s6, s14
	s_cbranch_scc1 .LBB138_8
; %bb.1:
	s_load_dwordx2 s[8:9], s[4:5], 0x48
	s_load_dwordx2 s[26:27], s[4:5], 0x30
	s_load_dwordx4 s[16:19], s[4:5], 0x60
	s_cmp_lg_u32 s7, 0
	s_cselect_b64 s[2:3], -1, 0
	s_cmp_eq_u32 s7, 0
	s_cselect_b64 vcc, -1, 0
	s_and_b64 s[0:1], vcc, exec
	s_waitcnt lgkmcnt(0)
	s_cselect_b32 s7, s15, s16
	s_add_i32 s0, s7, 1
	s_lshr_b32 s1, s0, 31
	s_add_i32 s0, s0, s1
	s_lshl_b32 s0, s0, 1
	v_lshlrev_b32_e32 v1, 3, v0
	s_and_b32 s22, s0, -4
	v_cmp_gt_i32_e64 s[0:1], s7, v1
	v_mov_b32_e32 v2, 0
	v_mov_b32_e32 v3, 0
	;; [unrolled: 1-line block ×8, first 2 shown]
	s_and_saveexec_b64 s[10:11], s[0:1]
	s_cbranch_execz .LBB138_3
; %bb.2:
	s_load_dwordx2 s[20:21], s[4:5], 0x28
	s_load_dwordx2 s[24:25], s[4:5], 0x40
	s_and_b64 s[28:29], vcc, exec
	s_cselect_b32 s14, s17, s18
	s_mov_b32 s23, 0x20000
	s_waitcnt lgkmcnt(0)
	s_cselect_b32 s17, s21, s27
	s_cselect_b32 s19, s20, s26
	s_mul_hi_i32 s21, s14, s6
	s_mul_i32 s20, s14, s6
	s_lshl_b64 s[20:21], s[20:21], 1
	s_add_u32 s28, s19, s20
	s_addc_u32 s14, s17, s21
	s_and_b64 s[20:21], vcc, exec
	s_cselect_b32 s20, s24, s8
	s_cselect_b32 s17, s25, s9
	v_lshlrev_b32_e32 v10, 4, v0
	s_and_b32 s29, s14, 0xffff
	s_mov_b32 s30, s22
	s_mov_b32 s31, s23
	s_and_b32 s21, s17, 0xffff
	buffer_load_dwordx4 v[6:9], v10, s[28:31], 0 offen glc slc
	buffer_load_dwordx4 v[2:5], v10, s[20:23], 0 offen
.LBB138_3:
	s_or_b64 exec, exec, s[10:11]
	s_waitcnt vmcnt(1)
	v_cvt_f32_u32_sdwa v13, v6 dst_sel:DWORD dst_unused:UNUSED_PAD src0_sel:WORD_1
	v_cvt_f32_u32_sdwa v12, v6 dst_sel:DWORD dst_unused:UNUSED_PAD src0_sel:WORD_0
	v_cvt_f32_u32_sdwa v6, v9 dst_sel:DWORD dst_unused:UNUSED_PAD src0_sel:WORD_1
	v_cvt_f32_u32_sdwa v9, v9 dst_sel:DWORD dst_unused:UNUSED_PAD src0_sel:WORD_0
	v_cvt_f32_u32_sdwa v14, v8 dst_sel:DWORD dst_unused:UNUSED_PAD src0_sel:WORD_1
	v_cvt_f32_u32_sdwa v10, v7 dst_sel:DWORD dst_unused:UNUSED_PAD src0_sel:WORD_0
	v_cvt_f32_u32_sdwa v11, v7 dst_sel:DWORD dst_unused:UNUSED_PAD src0_sel:WORD_1
	v_cvt_f32_u32_sdwa v8, v8 dst_sel:DWORD dst_unused:UNUSED_PAD src0_sel:WORD_0
	v_cndmask_b32_e64 v13, 0, v13, s[0:1]
	v_cndmask_b32_e64 v7, 0, v6, s[0:1]
	;; [unrolled: 1-line block ×5, first 2 shown]
	v_mul_f32_e32 v14, v13, v13
	v_cndmask_b32_e64 v10, 0, v10, s[0:1]
	v_fmac_f32_e32 v14, v12, v12
	v_cndmask_b32_e64 v11, 0, v11, s[0:1]
	v_fmac_f32_e32 v14, v10, v10
	;; [unrolled: 2-line block ×3, first 2 shown]
	v_fmac_f32_e32 v14, v8, v8
	v_fmac_f32_e32 v14, v9, v9
	;; [unrolled: 1-line block ×4, first 2 shown]
	v_bfrev_b32_e32 v16, 0.5
	s_load_dwordx2 s[24:25], s[4:5], 0x18
	v_mov_b32_dpp v15, v14 quad_perm:[1,0,3,2] row_mask:0xf bank_mask:0xf
	v_add_f32_e32 v14, v14, v15
	s_nop 1
	v_mov_b32_dpp v15, v14 quad_perm:[2,3,0,1] row_mask:0xf bank_mask:0xf
	v_add_f32_e32 v14, v14, v15
	s_nop 1
	v_mov_b32_dpp v15, v14 row_half_mirror row_mask:0xf bank_mask:0xf
	v_add_f32_e32 v14, v14, v15
	s_nop 1
	v_mov_b32_dpp v15, v14 row_mirror row_mask:0xf bank_mask:0xf
	v_add_f32_e32 v14, v14, v15
	s_nop 1
	v_mov_b32_dpp v15, v14 row_bcast:15 row_mask:0xf bank_mask:0xf
	v_add_f32_e32 v14, v14, v15
	s_nop 1
	v_mov_b32_dpp v15, v14 row_bcast:31 row_mask:0xf bank_mask:0xf
	v_add_f32_e32 v15, v14, v15
	v_mbcnt_lo_u32_b32 v14, -1, 0
	v_mbcnt_hi_u32_b32 v14, -1, v14
	v_lshl_or_b32 v14, v14, 2, v16
	ds_bpermute_b32 v15, v14, v15
	s_and_saveexec_b64 s[10:11], s[0:1]
	s_cbranch_execz .LBB138_5
; %bb.4:
	v_cvt_f32_u32_e32 v16, s7
	v_mov_b32_e32 v17, s13
	v_mov_b32_e32 v18, s12
	v_cndmask_b32_e32 v17, v17, v18, vcc
	s_waitcnt lgkmcnt(0)
	v_div_scale_f32 v19, s[20:21], v16, v16, v15
	v_rcp_f32_e32 v20, v19
	v_div_scale_f32 v18, vcc, v15, v16, v15
	s_mov_b32 s7, 0x800000
	v_fma_f32 v21, -v19, v20, 1.0
	v_fmac_f32_e32 v20, v21, v20
	v_mul_f32_e32 v21, v18, v20
	v_fma_f32 v22, -v19, v21, v18
	v_fmac_f32_e32 v21, v22, v20
	v_fma_f32 v18, -v19, v21, v18
	v_div_fmas_f32 v18, v18, v20, v21
	v_div_fixup_f32 v15, v18, v16, v15
	v_add_f32_e32 v15, v17, v15
	v_mul_f32_e32 v16, 0x4b800000, v15
	v_cmp_gt_f32_e32 vcc, s7, v15
	v_cndmask_b32_e32 v15, v15, v16, vcc
	v_rsq_f32_e32 v15, v15
	s_waitcnt vmcnt(0)
	v_cvt_f32_u32_sdwa v19, v2 dst_sel:DWORD dst_unused:UNUSED_PAD src0_sel:WORD_1
	v_cvt_f32_u32_sdwa v18, v2 dst_sel:DWORD dst_unused:UNUSED_PAD src0_sel:WORD_0
	v_cvt_f32_u32_sdwa v21, v3 dst_sel:DWORD dst_unused:UNUSED_PAD src0_sel:WORD_1
	v_mul_f32_e32 v16, 0x45800000, v15
	v_cndmask_b32_e32 v16, v15, v16, vcc
	v_mov_b32_e32 v17, v16
	;;#ASMSTART
	v_pk_mul_f32 v[12:13], v[12:13], v[16:17]
	;;#ASMEND
	;;#ASMSTART
	v_pk_mul_f32 v[10:11], v[10:11], v[16:17]
	;;#ASMEND
	;; [unrolled: 3-line block ×3, first 2 shown]
	v_cvt_f32_u32_sdwa v20, v3 dst_sel:DWORD dst_unused:UNUSED_PAD src0_sel:WORD_0
	;;#ASMSTART
	v_pk_mul_f32 v[2:3], v[6:7], v[16:17]
	;;#ASMEND
	v_cvt_f32_u32_sdwa v17, v4 dst_sel:DWORD dst_unused:UNUSED_PAD src0_sel:WORD_1
	v_cvt_f32_u32_sdwa v16, v4 dst_sel:DWORD dst_unused:UNUSED_PAD src0_sel:WORD_0
	v_pk_add_f32 v[6:7], v[18:19], 1.0 op_sel_hi:[1,0]
	v_cvt_f32_u32_sdwa v19, v5 dst_sel:DWORD dst_unused:UNUSED_PAD src0_sel:WORD_1
	v_cvt_f32_u32_sdwa v18, v5 dst_sel:DWORD dst_unused:UNUSED_PAD src0_sel:WORD_0
	;;#ASMSTART
	v_pk_mul_f32 v[12:13], v[12:13], v[6:7]
	;;#ASMEND
	v_pk_add_f32 v[6:7], v[20:21], 1.0 op_sel_hi:[1,0]
	v_pk_add_f32 v[4:5], v[16:17], 1.0 op_sel_hi:[1,0]
	;;#ASMSTART
	v_pk_mul_f32 v[10:11], v[10:11], v[6:7]
	;;#ASMEND
	;;#ASMSTART
	v_pk_mul_f32 v[8:9], v[8:9], v[4:5]
	;;#ASMEND
	v_pk_add_f32 v[4:5], v[18:19], 1.0 op_sel_hi:[1,0]
	;;#ASMSTART
	v_pk_mul_f32 v[6:7], v[2:3], v[4:5]
	;;#ASMEND
.LBB138_5:
	s_or_b64 exec, exec, s[10:11]
	s_load_dword s7, s[4:5], 0x80
	s_mov_b64 s[10:11], -1
	s_and_b64 vcc, exec, s[2:3]
	s_cbranch_vccnz .LBB138_9
; %bb.6:
	s_andn2_b64 vcc, exec, s[10:11]
	s_cbranch_vccz .LBB138_12
.LBB138_7:
	s_cmp_lt_i32 s16, 1
	s_cbranch_scc0 .LBB138_19
.LBB138_8:
	s_endpgm
.LBB138_9:
	s_and_saveexec_b64 s[2:3], s[0:1]
	s_cbranch_execz .LBB138_11
; %bb.10:
	s_waitcnt lgkmcnt(0)
	s_mul_hi_i32 s11, s7, s6
	s_mul_i32 s10, s7, s6
	s_lshl_b64 s[10:11], s[10:11], 1
	s_add_u32 s20, s24, s10
	s_addc_u32 s10, s25, s11
	s_and_b32 s21, s10, 0xffff
	s_mov_b32 s10, 0x7060302
	s_mov_b32 s23, 0x20000
	s_waitcnt vmcnt(0)
	v_perm_b32 v2, v13, v12, s10
	v_perm_b32 v3, v11, v10, s10
	;; [unrolled: 1-line block ×4, first 2 shown]
	v_lshlrev_b32_e32 v15, 4, v0
	buffer_store_dwordx4 v[2:5], v15, s[20:23], 0 offen
	;;#ASMSTART
	s_nop 0
	;;#ASMEND
.LBB138_11:
	s_or_b64 exec, exec, s[2:3]
	s_cbranch_execnz .LBB138_7
.LBB138_12:
	s_waitcnt vmcnt(0)
	v_mov_b32_e32 v2, 0
	s_and_saveexec_b64 s[2:3], s[0:1]
	s_cbranch_execz .LBB138_14
; %bb.13:
	v_and_b32_e32 v2, 0x7fffffff, v12
	v_and_b32_e32 v3, 0x7fffffff, v13
	v_mov_b32_e32 v4, 0x2edbe6ff
	;;#ASMSTART
	v_max3_f32 v2, v4, v2, v3

	;;#ASMEND
	v_and_b32_e32 v3, 0x7fffffff, v10
	v_and_b32_e32 v4, 0x7fffffff, v11
	;;#ASMSTART
	v_max3_f32 v2, v2, v3, v4

	;;#ASMEND
	v_and_b32_e32 v3, 0x7fffffff, v8
	v_and_b32_e32 v4, 0x7fffffff, v9
	;; [unrolled: 6-line block ×3, first 2 shown]
	;;#ASMSTART
	v_max3_f32 v2, v2, v3, v4

	;;#ASMEND
.LBB138_14:
	s_or_b64 exec, exec, s[2:3]
	s_load_dwordx4 s[20:23], s[4:5], 0x70
	;;#ASMSTART
	v_max_f32 v3, v2, v2 quad_perm:[1,0,3,2] row_mask:0xf bank_mask:0xf bound_ctrl:1
	;;#ASMEND
	;;#ASMSTART
	v_max_f32 v2, v3, v3 quad_perm:[2,3,0,1] row_mask:0xf bank_mask:0xf bound_ctrl:1
	;;#ASMEND
	;;#ASMSTART
	v_max_f32 v3, v2, v2 row_half_mirror row_mask:0xf bank_mask:0xf bound_ctrl:1
	;;#ASMEND
	;;#ASMSTART
	v_max_f32 v2, v3, v3 row_mirror row_mask:0xf bank_mask:0xf bound_ctrl:1
	;;#ASMEND
	v_and_b32_e32 v3, 15, v0
	v_cmp_eq_u32_e32 vcc, 0, v3
	v_cmp_gt_i32_e64 s[2:3], s15, v1
	v_mul_f32_e32 v2, 0x3b124925, v2
	s_and_b64 s[10:11], vcc, s[2:3]
	s_and_saveexec_b64 s[2:3], s[10:11]
	s_cbranch_execz .LBB138_16
; %bb.15:
	s_load_dwordx2 s[10:11], s[4:5], 0x8
	v_lshrrev_b32_e32 v3, 4, v0
	s_waitcnt lgkmcnt(0)
	s_mul_hi_i32 s29, s21, s6
	s_mul_i32 s28, s21, s6
	v_mad_i64_i32 v[4:5], s[22:23], s22, v3, 0
	s_lshl_b64 s[22:23], s[28:29], 2
	s_add_u32 s10, s10, s22
	s_addc_u32 s11, s11, s23
	v_lshlrev_b64 v[4:5], 2, v[4:5]
	v_mov_b32_e32 v3, s11
	v_add_co_u32_e32 v4, vcc, s10, v4
	v_addc_co_u32_e32 v5, vcc, v3, v5, vcc
	global_store_dword v[4:5], v2, off
.LBB138_16:
	s_or_b64 exec, exec, s[2:3]
	;;#ASMSTART
	v_rcp_f32 v2, v2
	;;#ASMEND
	s_and_saveexec_b64 s[10:11], s[0:1]
	s_cbranch_execz .LBB138_18
; %bb.17:
	v_mov_b32_e32 v3, v2
	;;#ASMSTART
	v_pk_mul_f32 v[4:5], v[12:13], v[2:3]
	;;#ASMEND
	s_load_dwordx2 s[0:1], s[4:5], 0x0
	v_mov_b32_e32 v12, 0xc3e00000
	v_mov_b32_e32 v13, 0x43e00000
	s_waitcnt lgkmcnt(0)
	;;#ASMSTART
	v_med3_f32 v4, v4, v12, v13
v_med3_f32 v5, v5, v12, v13
v_cvt_pk_fp8_f32 v15, v4, v5
	;;#ASMEND
	;;#ASMSTART
	v_pk_mul_f32 v[4:5], v[10:11], v[2:3]
	;;#ASMEND
	;;#ASMSTART
	v_med3_f32 v4, v4, v12, v13
v_med3_f32 v5, v5, v12, v13
v_cvt_pk_fp8_f32 v10, v4, v5
	;;#ASMEND
	s_mov_b32 s14, 0x5040100
	v_perm_b32 v5, v10, v15, s14
	s_movk_i32 s14, 0xff
	s_mul_i32 s3, s20, s6
	v_and_b32_e32 v4, 0xffffff00, v10
	v_and_b32_sdwa v10, v5, s14 dst_sel:DWORD dst_unused:UNUSED_PAD src0_sel:WORD_1 src1_sel:DWORD
	s_mul_hi_i32 s2, s20, s6
	s_mov_b32 s12, 0xffff
	s_add_u32 s0, s0, s3
	v_or_b32_sdwa v4, v10, v4 dst_sel:WORD_1 dst_unused:UNUSED_PAD src0_sel:DWORD src1_sel:DWORD
	s_addc_u32 s1, s1, s2
	s_add_i32 s2, s15, 3
	v_and_or_b32 v4, v5, s12, v4
	;;#ASMSTART
	v_pk_mul_f32 v[8:9], v[8:9], v[2:3]
	;;#ASMEND
	v_mov_b32_e32 v5, v8
	s_ashr_i32 s3, s2, 31
	;;#ASMSTART
	v_med3_f32 v5, v5, v12, v13
v_med3_f32 v9, v9, v12, v13
v_cvt_pk_fp8_f32 v8, v5, v9
	;;#ASMEND
	;;#ASMSTART
	v_pk_mul_f32 v[2:3], v[6:7], v[2:3]
	;;#ASMEND
	s_lshr_b32 s3, s3, 30
	;;#ASMSTART
	v_med3_f32 v2, v2, v12, v13
v_med3_f32 v3, v3, v12, v13
v_cvt_pk_fp8_f32 v5, v2, v3
	;;#ASMEND
	s_add_i32 s2, s2, s3
	v_lshlrev_b32_e32 v2, 16, v5
	s_and_b32 s2, s2, -4
	s_and_b32 s1, s1, 0xffff
	s_mov_b32 s3, 0x20000
	v_and_or_b32 v5, v8, s12, v2
	buffer_store_dwordx2 v[4:5], v1, s[0:3], 0 offen
	;;#ASMSTART
	s_nop 0
	;;#ASMEND
.LBB138_18:
	s_or_b64 exec, exec, s[10:11]
	s_cmp_lt_i32 s16, 1
	s_cbranch_scc1 .LBB138_8
.LBB138_19:
	s_load_dword s0, s[4:5], 0x94
	s_waitcnt lgkmcnt(0)
	s_cmp_lg_u32 s0, 1
	s_cbranch_scc1 .LBB138_8
; %bb.20:
	s_lshl_b32 s0, s16, 1
	s_add_i32 s0, s0, 2
	v_cmp_gt_u32_e32 vcc, s16, v1
	s_and_b32 s10, s0, -4
	s_waitcnt vmcnt(0)
	v_mov_b32_e32 v4, 0
	v_lshlrev_b32_e32 v12, 4, v0
	v_mov_b32_e32 v5, 0
	v_mov_b32_e32 v6, 0
	;; [unrolled: 1-line block ×7, first 2 shown]
	s_barrier
	s_and_saveexec_b64 s[0:1], vcc
	s_cbranch_execz .LBB138_22
; %bb.21:
	s_mul_hi_i32 s3, s18, s6
	s_mul_i32 s2, s18, s6
	s_and_b32 s9, s9, 0xffff
	s_lshl_b64 s[2:3], s[2:3], 1
	s_add_u32 s20, s26, s2
	s_mov_b32 s11, 0x20000
	s_addc_u32 s2, s27, s3
	s_and_b32 s21, s2, 0xffff
	s_mov_b32 s22, s10
	s_mov_b32 s23, s11
	buffer_load_dwordx4 v[4:7], v12, s[20:23], 0 offen glc slc
	buffer_load_dwordx4 v[0:3], v12, s[8:11], 0 offen
.LBB138_22:
	s_or_b64 exec, exec, s[0:1]
	s_waitcnt vmcnt(1)
	v_cvt_f32_u32_sdwa v11, v4 dst_sel:DWORD dst_unused:UNUSED_PAD src0_sel:WORD_1
	v_cvt_f32_u32_sdwa v10, v4 dst_sel:DWORD dst_unused:UNUSED_PAD src0_sel:WORD_0
	v_cvt_f32_u32_sdwa v4, v7 dst_sel:DWORD dst_unused:UNUSED_PAD src0_sel:WORD_1
	v_cvt_f32_u32_sdwa v7, v7 dst_sel:DWORD dst_unused:UNUSED_PAD src0_sel:WORD_0
	;; [unrolled: 2-line block ×4, first 2 shown]
	v_cndmask_b32_e32 v11, 0, v11, vcc
	v_cndmask_b32_e32 v5, 0, v4, vcc
	;; [unrolled: 1-line block ×5, first 2 shown]
	v_mul_f32_e32 v13, v11, v11
	v_cndmask_b32_e32 v8, 0, v8, vcc
	v_fmac_f32_e32 v13, v10, v10
	v_cndmask_b32_e32 v9, 0, v9, vcc
	v_fmac_f32_e32 v13, v8, v8
	;; [unrolled: 2-line block ×3, first 2 shown]
	v_fmac_f32_e32 v13, v6, v6
	v_fmac_f32_e32 v13, v7, v7
	;; [unrolled: 1-line block ×4, first 2 shown]
	s_nop 1
	v_mov_b32_dpp v15, v13 quad_perm:[1,0,3,2] row_mask:0xf bank_mask:0xf
	v_add_f32_e32 v13, v13, v15
	s_nop 1
	v_mov_b32_dpp v15, v13 quad_perm:[2,3,0,1] row_mask:0xf bank_mask:0xf
	v_add_f32_e32 v13, v13, v15
	s_nop 1
	v_mov_b32_dpp v15, v13 row_half_mirror row_mask:0xf bank_mask:0xf
	v_add_f32_e32 v13, v13, v15
	s_nop 1
	v_mov_b32_dpp v15, v13 row_mirror row_mask:0xf bank_mask:0xf
	v_add_f32_e32 v13, v13, v15
	s_nop 1
	v_mov_b32_dpp v15, v13 row_bcast:15 row_mask:0xf bank_mask:0xf
	v_add_f32_e32 v13, v13, v15
	s_nop 1
	v_mov_b32_dpp v15, v13 row_bcast:31 row_mask:0xf bank_mask:0xf
	v_add_f32_e32 v13, v13, v15
	ds_bpermute_b32 v13, v14, v13
	s_and_saveexec_b64 s[0:1], vcc
	s_cbranch_execz .LBB138_8
; %bb.23:
	v_cvt_f32_u32_e32 v14, s16
	s_mov_b32 s11, 0x20000
	s_waitcnt lgkmcnt(0)
	v_div_scale_f32 v15, s[0:1], v14, v14, v13
	v_rcp_f32_e32 v16, v15
	v_div_scale_f32 v17, vcc, v13, v14, v13
	s_mov_b32 s0, 0x800000
	v_fma_f32 v18, -v15, v16, 1.0
	v_fmac_f32_e32 v16, v18, v16
	v_mul_f32_e32 v18, v17, v16
	v_fma_f32 v19, -v15, v18, v17
	v_fmac_f32_e32 v18, v19, v16
	v_fma_f32 v15, -v15, v18, v17
	v_div_fmas_f32 v15, v15, v16, v18
	v_div_fixup_f32 v13, v15, v14, v13
	v_add_f32_e32 v13, s13, v13
	v_mul_f32_e32 v14, 0x4b800000, v13
	v_cmp_gt_f32_e32 vcc, s0, v13
	v_cndmask_b32_e32 v13, v13, v14, vcc
	v_rsq_f32_e32 v13, v13
	s_waitcnt vmcnt(0)
	v_cvt_f32_u32_sdwa v15, v0 dst_sel:DWORD dst_unused:UNUSED_PAD src0_sel:WORD_1
	v_cvt_f32_u32_sdwa v19, v1 dst_sel:DWORD dst_unused:UNUSED_PAD src0_sel:WORD_1
	v_cvt_f32_u32_sdwa v18, v1 dst_sel:DWORD dst_unused:UNUSED_PAD src0_sel:WORD_0
	v_mul_f32_e32 v14, 0x45800000, v13
	v_cndmask_b32_e32 v16, v13, v14, vcc
	v_cvt_f32_u32_sdwa v14, v0 dst_sel:DWORD dst_unused:UNUSED_PAD src0_sel:WORD_0
	v_mov_b32_e32 v17, v16
	;;#ASMSTART
	v_pk_mul_f32 v[10:11], v[10:11], v[16:17]
	;;#ASMEND
	;;#ASMSTART
	v_pk_mul_f32 v[8:9], v[8:9], v[16:17]
	;;#ASMEND
	;; [unrolled: 3-line block ×4, first 2 shown]
	v_pk_add_f32 v[4:5], v[14:15], 1.0 op_sel_hi:[1,0]
	v_cvt_f32_u32_sdwa v15, v2 dst_sel:DWORD dst_unused:UNUSED_PAD src0_sel:WORD_1
	v_cvt_f32_u32_sdwa v14, v2 dst_sel:DWORD dst_unused:UNUSED_PAD src0_sel:WORD_0
	v_cvt_f32_u32_sdwa v17, v3 dst_sel:DWORD dst_unused:UNUSED_PAD src0_sel:WORD_1
	v_cvt_f32_u32_sdwa v16, v3 dst_sel:DWORD dst_unused:UNUSED_PAD src0_sel:WORD_0
	s_mul_hi_i32 s1, s7, s6
	s_mul_i32 s0, s7, s6
	s_lshl_b64 s[0:1], s[0:1], 1
	s_add_u32 s8, s24, s0
	;;#ASMSTART
	v_pk_mul_f32 v[4:5], v[10:11], v[4:5]
	;;#ASMEND
	v_pk_add_f32 v[10:11], v[18:19], 1.0 op_sel_hi:[1,0]
	;;#ASMSTART
	v_pk_mul_f32 v[2:3], v[8:9], v[10:11]
	;;#ASMEND
	v_pk_add_f32 v[8:9], v[14:15], 1.0 op_sel_hi:[1,0]
	s_addc_u32 s0, s25, s1
	;;#ASMSTART
	v_pk_mul_f32 v[6:7], v[6:7], v[8:9]
	;;#ASMEND
	v_pk_add_f32 v[8:9], v[16:17], 1.0 op_sel_hi:[1,0]
	s_and_b32 s9, s0, 0xffff
	s_mov_b32 s0, 0x7060302
	;;#ASMSTART
	v_pk_mul_f32 v[8:9], v[0:1], v[8:9]
	;;#ASMEND
	v_perm_b32 v0, v5, v4, s0
	v_perm_b32 v1, v3, v2, s0
	;; [unrolled: 1-line block ×4, first 2 shown]
	buffer_store_dwordx4 v[0:3], v12, s[8:11], 0 offen
	;;#ASMSTART
	s_nop 0
	;;#ASMEND
	s_endpgm
	.section	.rodata,"a",@progbits
	.p2align	6, 0x0
	.amdhsa_kernel _ZN5aiter35fused_qk_rmsnorm_group_quant_kernelItDB8_Li64ELi8ELi16ELb0ELb0ELb1ELb0ELb0ELb0EEEvPT0_PvPT_S6_S6_PKS5_S8_S8_S8_S8_ffiiiiiiiiiiiii
		.amdhsa_group_segment_fixed_size 0
		.amdhsa_private_segment_fixed_size 0
		.amdhsa_kernarg_size 400
		.amdhsa_user_sgpr_count 6
		.amdhsa_user_sgpr_private_segment_buffer 1
		.amdhsa_user_sgpr_dispatch_ptr 0
		.amdhsa_user_sgpr_queue_ptr 0
		.amdhsa_user_sgpr_kernarg_segment_ptr 1
		.amdhsa_user_sgpr_dispatch_id 0
		.amdhsa_user_sgpr_flat_scratch_init 0
		.amdhsa_user_sgpr_kernarg_preload_length 0
		.amdhsa_user_sgpr_kernarg_preload_offset 0
		.amdhsa_user_sgpr_private_segment_size 0
		.amdhsa_uses_dynamic_stack 0
		.amdhsa_system_sgpr_private_segment_wavefront_offset 0
		.amdhsa_system_sgpr_workgroup_id_x 1
		.amdhsa_system_sgpr_workgroup_id_y 1
		.amdhsa_system_sgpr_workgroup_id_z 0
		.amdhsa_system_sgpr_workgroup_info 0
		.amdhsa_system_vgpr_workitem_id 0
		.amdhsa_next_free_vgpr 23
		.amdhsa_next_free_sgpr 32
		.amdhsa_accum_offset 24
		.amdhsa_reserve_vcc 1
		.amdhsa_reserve_flat_scratch 0
		.amdhsa_float_round_mode_32 0
		.amdhsa_float_round_mode_16_64 0
		.amdhsa_float_denorm_mode_32 3
		.amdhsa_float_denorm_mode_16_64 3
		.amdhsa_dx10_clamp 1
		.amdhsa_ieee_mode 1
		.amdhsa_fp16_overflow 0
		.amdhsa_tg_split 0
		.amdhsa_exception_fp_ieee_invalid_op 0
		.amdhsa_exception_fp_denorm_src 0
		.amdhsa_exception_fp_ieee_div_zero 0
		.amdhsa_exception_fp_ieee_overflow 0
		.amdhsa_exception_fp_ieee_underflow 0
		.amdhsa_exception_fp_ieee_inexact 0
		.amdhsa_exception_int_div_zero 0
	.end_amdhsa_kernel
	.section	.text._ZN5aiter35fused_qk_rmsnorm_group_quant_kernelItDB8_Li64ELi8ELi16ELb0ELb0ELb1ELb0ELb0ELb0EEEvPT0_PvPT_S6_S6_PKS5_S8_S8_S8_S8_ffiiiiiiiiiiiii,"axG",@progbits,_ZN5aiter35fused_qk_rmsnorm_group_quant_kernelItDB8_Li64ELi8ELi16ELb0ELb0ELb1ELb0ELb0ELb0EEEvPT0_PvPT_S6_S6_PKS5_S8_S8_S8_S8_ffiiiiiiiiiiiii,comdat
.Lfunc_end138:
	.size	_ZN5aiter35fused_qk_rmsnorm_group_quant_kernelItDB8_Li64ELi8ELi16ELb0ELb0ELb1ELb0ELb0ELb0EEEvPT0_PvPT_S6_S6_PKS5_S8_S8_S8_S8_ffiiiiiiiiiiiii, .Lfunc_end138-_ZN5aiter35fused_qk_rmsnorm_group_quant_kernelItDB8_Li64ELi8ELi16ELb0ELb0ELb1ELb0ELb0ELb0EEEvPT0_PvPT_S6_S6_PKS5_S8_S8_S8_S8_ffiiiiiiiiiiiii
                                        ; -- End function
	.section	.AMDGPU.csdata,"",@progbits
; Kernel info:
; codeLenInByte = 2444
; NumSgprs: 36
; NumVgprs: 23
; NumAgprs: 0
; TotalNumVgprs: 23
; ScratchSize: 0
; MemoryBound: 0
; FloatMode: 240
; IeeeMode: 1
; LDSByteSize: 0 bytes/workgroup (compile time only)
; SGPRBlocks: 4
; VGPRBlocks: 2
; NumSGPRsForWavesPerEU: 36
; NumVGPRsForWavesPerEU: 23
; AccumOffset: 24
; Occupancy: 8
; WaveLimiterHint : 0
; COMPUTE_PGM_RSRC2:SCRATCH_EN: 0
; COMPUTE_PGM_RSRC2:USER_SGPR: 6
; COMPUTE_PGM_RSRC2:TRAP_HANDLER: 0
; COMPUTE_PGM_RSRC2:TGID_X_EN: 1
; COMPUTE_PGM_RSRC2:TGID_Y_EN: 1
; COMPUTE_PGM_RSRC2:TGID_Z_EN: 0
; COMPUTE_PGM_RSRC2:TIDIG_COMP_CNT: 0
; COMPUTE_PGM_RSRC3_GFX90A:ACCUM_OFFSET: 5
; COMPUTE_PGM_RSRC3_GFX90A:TG_SPLIT: 0
	.section	.text._ZN5aiter35fused_qk_rmsnorm_group_quant_kernelIDF16_N4opus5fp4_tELi64ELi8ELi16ELb0ELb0ELb1ELb0ELb0ELb0EEEvPT0_PvPT_S7_S7_PKS6_S9_S9_S9_S9_ffiiiiiiiiiiiii,"axG",@progbits,_ZN5aiter35fused_qk_rmsnorm_group_quant_kernelIDF16_N4opus5fp4_tELi64ELi8ELi16ELb0ELb0ELb1ELb0ELb0ELb0EEEvPT0_PvPT_S7_S7_PKS6_S9_S9_S9_S9_ffiiiiiiiiiiiii,comdat
	.protected	_ZN5aiter35fused_qk_rmsnorm_group_quant_kernelIDF16_N4opus5fp4_tELi64ELi8ELi16ELb0ELb0ELb1ELb0ELb0ELb0EEEvPT0_PvPT_S7_S7_PKS6_S9_S9_S9_S9_ffiiiiiiiiiiiii ; -- Begin function _ZN5aiter35fused_qk_rmsnorm_group_quant_kernelIDF16_N4opus5fp4_tELi64ELi8ELi16ELb0ELb0ELb1ELb0ELb0ELb0EEEvPT0_PvPT_S7_S7_PKS6_S9_S9_S9_S9_ffiiiiiiiiiiiii
	.globl	_ZN5aiter35fused_qk_rmsnorm_group_quant_kernelIDF16_N4opus5fp4_tELi64ELi8ELi16ELb0ELb0ELb1ELb0ELb0ELb0EEEvPT0_PvPT_S7_S7_PKS6_S9_S9_S9_S9_ffiiiiiiiiiiiii
	.p2align	8
	.type	_ZN5aiter35fused_qk_rmsnorm_group_quant_kernelIDF16_N4opus5fp4_tELi64ELi8ELi16ELb0ELb0ELb1ELb0ELb0ELb0EEEvPT0_PvPT_S7_S7_PKS6_S9_S9_S9_S9_ffiiiiiiiiiiiii,@function
_ZN5aiter35fused_qk_rmsnorm_group_quant_kernelIDF16_N4opus5fp4_tELi64ELi8ELi16ELb0ELb0ELb1ELb0ELb0ELb0EEEvPT0_PvPT_S7_S7_PKS6_S9_S9_S9_S9_ffiiiiiiiiiiiii: ; @_ZN5aiter35fused_qk_rmsnorm_group_quant_kernelIDF16_N4opus5fp4_tELi64ELi8ELi16ELb0ELb0ELb1ELb0ELb0ELb0EEEvPT0_PvPT_S7_S7_PKS6_S9_S9_S9_S9_ffiiiiiiiiiiiii
; %bb.0:
	s_load_dwordx4 s[12:15], s[4:5], 0x50
	s_waitcnt lgkmcnt(0)
	s_cmp_ge_i32 s6, s14
	s_cbranch_scc1 .LBB139_10
; %bb.1:
	s_load_dwordx2 s[8:9], s[4:5], 0x48
	s_load_dwordx2 s[26:27], s[4:5], 0x30
	s_load_dwordx4 s[16:19], s[4:5], 0x60
	s_cmp_lg_u32 s7, 0
	s_cselect_b64 s[2:3], -1, 0
	s_cmp_eq_u32 s7, 0
	s_cselect_b64 vcc, -1, 0
	s_and_b64 s[0:1], vcc, exec
	s_waitcnt lgkmcnt(0)
	s_cselect_b32 s7, s15, s16
	s_add_i32 s0, s7, 1
	s_lshr_b32 s1, s0, 31
	s_add_i32 s0, s0, s1
	s_lshl_b32 s0, s0, 1
	v_lshlrev_b32_e32 v1, 3, v0
	s_and_b32 s22, s0, -4
	v_cmp_gt_i32_e64 s[0:1], s7, v1
	v_mov_b32_e32 v10, 0
	v_mov_b32_e32 v2, 0
	v_mov_b32_e32 v3, 0
	v_mov_b32_e32 v4, 0
	v_mov_b32_e32 v5, 0
	v_mov_b32_e32 v6, 0
	v_mov_b32_e32 v7, 0
	v_mov_b32_e32 v8, 0
	v_mov_b32_e32 v9, 0
	s_and_saveexec_b64 s[10:11], s[0:1]
	s_cbranch_execz .LBB139_3
; %bb.2:
	s_load_dwordx2 s[20:21], s[4:5], 0x28
	s_load_dwordx2 s[24:25], s[4:5], 0x40
	s_and_b64 s[28:29], vcc, exec
	s_cselect_b32 s14, s17, s18
	s_mov_b32 s23, 0x20000
	s_waitcnt lgkmcnt(0)
	s_cselect_b32 s17, s21, s27
	s_cselect_b32 s19, s20, s26
	s_mul_hi_i32 s21, s14, s6
	s_mul_i32 s20, s14, s6
	s_lshl_b64 s[20:21], s[20:21], 1
	s_add_u32 s28, s19, s20
	s_addc_u32 s14, s17, s21
	s_and_b64 s[20:21], vcc, exec
	s_cselect_b32 s20, s24, s8
	s_cselect_b32 s17, s25, s9
	v_lshlrev_b32_e32 v11, 4, v0
	s_and_b32 s29, s14, 0xffff
	s_mov_b32 s30, s22
	s_mov_b32 s31, s23
	s_and_b32 s21, s17, 0xffff
	buffer_load_dwordx4 v[6:9], v11, s[28:31], 0 offen glc slc
	buffer_load_dwordx4 v[2:5], v11, s[20:23], 0 offen
.LBB139_3:
	s_or_b64 exec, exec, s[10:11]
	v_mov_b32_e32 v11, 0
	v_mov_b32_e32 v16, 0
	;; [unrolled: 1-line block ×7, first 2 shown]
	s_and_saveexec_b64 s[10:11], s[0:1]
	s_cbranch_execz .LBB139_5
; %bb.4:
	s_waitcnt vmcnt(1)
	v_cvt_f32_f16_sdwa v11, v6 dst_sel:DWORD dst_unused:UNUSED_PAD src0_sel:WORD_1
	v_cvt_f32_f16_e32 v10, v6
	v_cvt_f32_f16_sdwa v17, v7 dst_sel:DWORD dst_unused:UNUSED_PAD src0_sel:WORD_1
	v_cvt_f32_f16_e32 v16, v7
	v_cvt_f32_f16_sdwa v15, v8 dst_sel:DWORD dst_unused:UNUSED_PAD src0_sel:WORD_1
	v_cvt_f32_f16_e32 v14, v8
	v_cvt_f32_f16_sdwa v13, v9 dst_sel:DWORD dst_unused:UNUSED_PAD src0_sel:WORD_1
	v_cvt_f32_f16_e32 v12, v9
.LBB139_5:
	s_or_b64 exec, exec, s[10:11]
	s_waitcnt vmcnt(1)
	v_mul_f32_e32 v6, v11, v11
	v_fmac_f32_e32 v6, v10, v10
	v_fmac_f32_e32 v6, v16, v16
	v_fmac_f32_e32 v6, v17, v17
	v_fmac_f32_e32 v6, v14, v14
	v_fmac_f32_e32 v6, v15, v15
	v_fmac_f32_e32 v6, v12, v12
	v_fmac_f32_e32 v6, v13, v13
	v_bfrev_b32_e32 v8, 0.5
	s_load_dwordx2 s[24:25], s[4:5], 0x18
	v_mov_b32_dpp v7, v6 quad_perm:[1,0,3,2] row_mask:0xf bank_mask:0xf
	v_add_f32_e32 v6, v6, v7
	s_nop 1
	v_mov_b32_dpp v7, v6 quad_perm:[2,3,0,1] row_mask:0xf bank_mask:0xf
	v_add_f32_e32 v6, v6, v7
	s_nop 1
	v_mov_b32_dpp v7, v6 row_half_mirror row_mask:0xf bank_mask:0xf
	v_add_f32_e32 v6, v6, v7
	s_nop 1
	v_mov_b32_dpp v7, v6 row_mirror row_mask:0xf bank_mask:0xf
	v_add_f32_e32 v6, v6, v7
	s_nop 1
	v_mov_b32_dpp v7, v6 row_bcast:15 row_mask:0xf bank_mask:0xf
	v_add_f32_e32 v6, v6, v7
	s_nop 1
	v_mov_b32_dpp v7, v6 row_bcast:31 row_mask:0xf bank_mask:0xf
	v_add_f32_e32 v6, v6, v7
	v_mbcnt_lo_u32_b32 v7, -1, 0
	v_mbcnt_hi_u32_b32 v7, -1, v7
	v_lshl_or_b32 v18, v7, 2, v8
	ds_bpermute_b32 v6, v18, v6
	s_and_saveexec_b64 s[10:11], s[0:1]
	s_cbranch_execz .LBB139_7
; %bb.6:
	v_cvt_f32_u32_e32 v7, s7
	v_mov_b32_e32 v8, s13
	v_mov_b32_e32 v9, s12
	v_cndmask_b32_e32 v8, v8, v9, vcc
	s_waitcnt lgkmcnt(0)
	v_div_scale_f32 v19, s[20:21], v7, v7, v6
	v_rcp_f32_e32 v20, v19
	v_div_scale_f32 v9, vcc, v6, v7, v6
	s_mov_b32 s7, 0x800000
	v_fma_f32 v21, -v19, v20, 1.0
	v_fmac_f32_e32 v20, v21, v20
	v_mul_f32_e32 v21, v9, v20
	v_fma_f32 v22, -v19, v21, v9
	v_fmac_f32_e32 v21, v22, v20
	v_fma_f32 v9, -v19, v21, v9
	v_div_fmas_f32 v9, v9, v20, v21
	v_div_fixup_f32 v6, v9, v7, v6
	v_add_f32_e32 v6, v8, v6
	v_mul_f32_e32 v7, 0x4b800000, v6
	v_cmp_gt_f32_e32 vcc, s7, v6
	v_cndmask_b32_e32 v6, v6, v7, vcc
	v_rsq_f32_e32 v6, v6
	s_waitcnt vmcnt(0)
	v_cvt_f32_f16_sdwa v21, v3 dst_sel:DWORD dst_unused:UNUSED_PAD src0_sel:WORD_1
	v_cvt_f32_f16_e32 v20, v3
	v_mul_f32_e32 v7, 0x45800000, v6
	v_cndmask_b32_e32 v6, v6, v7, vcc
	v_mov_b32_e32 v7, v6
	;;#ASMSTART
	v_pk_mul_f32 v[8:9], v[10:11], v[6:7]
	;;#ASMEND
	v_cvt_f32_f16_sdwa v11, v2 dst_sel:DWORD dst_unused:UNUSED_PAD src0_sel:WORD_1
	v_cvt_f32_f16_e32 v10, v2
	;;#ASMSTART
	v_pk_mul_f32 v[16:17], v[16:17], v[6:7]
	;;#ASMEND
	;;#ASMSTART
	v_pk_mul_f32 v[14:15], v[14:15], v[6:7]
	;;#ASMEND
	;;#ASMSTART
	v_pk_mul_f32 v[2:3], v[12:13], v[6:7]
	;;#ASMEND
	v_pk_add_f32 v[6:7], v[10:11], 1.0 op_sel_hi:[1,0]
	;;#ASMSTART
	v_pk_mul_f32 v[10:11], v[8:9], v[6:7]
	;;#ASMEND
	v_cvt_f32_f16_sdwa v9, v4 dst_sel:DWORD dst_unused:UNUSED_PAD src0_sel:WORD_1
	v_cvt_f32_f16_e32 v8, v4
	v_cvt_f32_f16_sdwa v13, v5 dst_sel:DWORD dst_unused:UNUSED_PAD src0_sel:WORD_1
	v_cvt_f32_f16_e32 v12, v5
	v_pk_add_f32 v[6:7], v[20:21], 1.0 op_sel_hi:[1,0]
	v_pk_add_f32 v[4:5], v[8:9], 1.0 op_sel_hi:[1,0]
	;;#ASMSTART
	v_pk_mul_f32 v[16:17], v[16:17], v[6:7]
	;;#ASMEND
	;;#ASMSTART
	v_pk_mul_f32 v[14:15], v[14:15], v[4:5]
	;;#ASMEND
	v_pk_add_f32 v[4:5], v[12:13], 1.0 op_sel_hi:[1,0]
	;;#ASMSTART
	v_pk_mul_f32 v[12:13], v[2:3], v[4:5]
	;;#ASMEND
.LBB139_7:
	s_or_b64 exec, exec, s[10:11]
	s_load_dword s7, s[4:5], 0x80
	s_mov_b64 s[10:11], -1
	s_and_b64 vcc, exec, s[2:3]
	s_cbranch_vccnz .LBB139_11
; %bb.8:
	s_andn2_b64 vcc, exec, s[10:11]
	s_cbranch_vccz .LBB139_14
.LBB139_9:
	s_cmp_lt_i32 s16, 1
	s_cbranch_scc0 .LBB139_21
.LBB139_10:
	s_endpgm
.LBB139_11:
	s_and_saveexec_b64 s[2:3], s[0:1]
	s_cbranch_execz .LBB139_13
; %bb.12:
	s_waitcnt lgkmcnt(0)
	s_mul_hi_i32 s11, s7, s6
	s_mul_i32 s10, s7, s6
	s_waitcnt vmcnt(0)
	v_cvt_f16_f32_e32 v2, v10
	v_cvt_f16_f32_e32 v3, v16
	;; [unrolled: 1-line block ×8, first 2 shown]
	s_lshl_b64 s[10:11], s[10:11], 1
	s_add_u32 s20, s24, s10
	s_addc_u32 s10, s25, s11
	s_and_b32 s21, s10, 0xffff
	s_mov_b32 s23, 0x20000
	v_pack_b32_f16 v5, v5, v6
	v_pack_b32_f16 v4, v4, v7
	;; [unrolled: 1-line block ×4, first 2 shown]
	v_lshlrev_b32_e32 v6, 4, v0
	buffer_store_dwordx4 v[2:5], v6, s[20:23], 0 offen
	;;#ASMSTART
	s_nop 0
	;;#ASMEND
.LBB139_13:
	s_or_b64 exec, exec, s[2:3]
	s_cbranch_execnz .LBB139_9
.LBB139_14:
	s_waitcnt vmcnt(0)
	v_mov_b32_e32 v2, 0
	s_and_saveexec_b64 s[2:3], s[0:1]
	s_cbranch_execz .LBB139_16
; %bb.15:
	v_and_b32_e32 v2, 0x7fffffff, v10
	v_and_b32_e32 v3, 0x7fffffff, v11
	v_mov_b32_e32 v4, 0x2edbe6ff
	;;#ASMSTART
	v_max3_f32 v2, v4, v2, v3

	;;#ASMEND
	v_and_b32_e32 v3, 0x7fffffff, v16
	v_and_b32_e32 v4, 0x7fffffff, v17
	;;#ASMSTART
	v_max3_f32 v2, v2, v3, v4

	;;#ASMEND
	v_and_b32_e32 v3, 0x7fffffff, v14
	v_and_b32_e32 v4, 0x7fffffff, v15
	;; [unrolled: 6-line block ×3, first 2 shown]
	;;#ASMSTART
	v_max3_f32 v2, v2, v3, v4

	;;#ASMEND
.LBB139_16:
	s_or_b64 exec, exec, s[2:3]
	s_load_dwordx4 s[20:23], s[4:5], 0x70
	;;#ASMSTART
	v_max_f32 v3, v2, v2 quad_perm:[1,0,3,2] row_mask:0xf bank_mask:0xf bound_ctrl:1
	;;#ASMEND
	;;#ASMSTART
	v_max_f32 v2, v3, v3 quad_perm:[2,3,0,1] row_mask:0xf bank_mask:0xf bound_ctrl:1
	;;#ASMEND
	;;#ASMSTART
	v_max_f32 v3, v2, v2 row_half_mirror row_mask:0xf bank_mask:0xf bound_ctrl:1
	;;#ASMEND
	;;#ASMSTART
	v_max_f32 v2, v3, v3 row_mirror row_mask:0xf bank_mask:0xf bound_ctrl:1
	;;#ASMEND
	v_and_b32_e32 v3, 15, v0
	v_cmp_eq_u32_e32 vcc, 0, v3
	v_cmp_gt_i32_e64 s[2:3], s15, v1
	s_and_b64 s[10:11], vcc, s[2:3]
	s_and_saveexec_b64 s[2:3], s[10:11]
	s_cbranch_execz .LBB139_18
; %bb.17:
	s_load_dwordx2 s[10:11], s[4:5], 0x8
	v_mul_f32_e32 v2, 0x3e2aaaab, v2
	v_lshrrev_b32_e32 v3, 23, v2
	v_and_b32_e32 v4, 0x7f800000, v2
	v_and_b32_e32 v2, 0x7fffff, v2
	v_cmp_ne_u32_e32 vcc, 0, v2
	s_waitcnt lgkmcnt(0)
	s_mul_i32 s17, s21, s6
	s_mov_b32 s12, 0x7f800000
	v_addc_co_u32_e32 v2, vcc, 0, v3, vcc
	s_mul_hi_i32 s14, s21, s6
	s_add_u32 s10, s10, s17
	v_cmp_ne_u32_e32 vcc, s12, v4
	s_addc_u32 s11, s11, s14
	v_lshrrev_b32_e32 v5, 4, v0
	v_cndmask_b32_e32 v4, -1, v2, vcc
	v_pk_mov_b32 v[2:3], s[10:11], s[10:11] op_sel:[0,1]
	v_mad_i64_i32 v[2:3], s[10:11], s22, v5, v[2:3]
	global_store_byte v[2:3], v4, off
.LBB139_18:
	s_or_b64 exec, exec, s[2:3]
	s_and_saveexec_b64 s[2:3], s[0:1]
	s_cbranch_execz .LBB139_20
; %bb.19:
	s_load_dwordx2 s[0:1], s[4:5], 0x0
	s_waitcnt lgkmcnt(0)
	s_mul_i32 s11, s20, s6
	s_mul_hi_i32 s10, s20, s6
	v_lshlrev_b32_e32 v2, 2, v0
	s_mov_b32 s23, 0x20000
	s_add_u32 s20, s0, s11
	s_addc_u32 s0, s1, s10
	s_lshr_b32 s1, s15, 31
	s_add_i32 s1, s15, s1
	s_ashr_i32 s1, s1, 1
	s_add_i32 s1, s1, 3
	s_ashr_i32 s10, s1, 31
	s_lshr_b32 s10, s10, 30
	s_add_i32 s1, s1, s10
	s_and_b32 s22, s1, -4
	s_and_b32 s21, s0, 0xffff
	v_mov_b32_e32 v3, 0
	buffer_store_dword v3, v2, s[20:23], 0 offen
	;;#ASMSTART
	s_nop 0
	;;#ASMEND
.LBB139_20:
	s_or_b64 exec, exec, s[2:3]
	s_cmp_lt_i32 s16, 1
	s_cbranch_scc1 .LBB139_10
.LBB139_21:
	s_load_dword s0, s[4:5], 0x94
	s_waitcnt lgkmcnt(0)
	s_cmp_lg_u32 s0, 1
	s_cbranch_scc1 .LBB139_10
; %bb.22:
	s_lshl_b32 s0, s16, 1
	s_add_i32 s0, s0, 2
	v_cmp_gt_u32_e32 vcc, s16, v1
	s_and_b32 s10, s0, -4
	v_mov_b32_e32 v8, 0
	v_lshlrev_b32_e32 v16, 4, v0
	s_waitcnt vmcnt(0)
	v_mov_b32_e32 v4, 0
	v_mov_b32_e32 v5, 0
	v_mov_b32_e32 v6, 0
	v_mov_b32_e32 v7, 0
	v_mov_b32_e32 v0, 0
	v_mov_b32_e32 v1, 0
	v_mov_b32_e32 v2, 0
	v_mov_b32_e32 v3, 0
	s_barrier
	s_and_saveexec_b64 s[0:1], vcc
	s_cbranch_execz .LBB139_24
; %bb.23:
	s_mul_hi_i32 s3, s18, s6
	s_mul_i32 s2, s18, s6
	s_and_b32 s9, s9, 0xffff
	s_lshl_b64 s[2:3], s[2:3], 1
	s_add_u32 s20, s26, s2
	s_mov_b32 s11, 0x20000
	s_addc_u32 s2, s27, s3
	s_and_b32 s21, s2, 0xffff
	s_mov_b32 s22, s10
	s_mov_b32 s23, s11
	buffer_load_dwordx4 v[4:7], v16, s[20:23], 0 offen glc slc
	buffer_load_dwordx4 v[0:3], v16, s[8:11], 0 offen
.LBB139_24:
	s_or_b64 exec, exec, s[0:1]
	v_mov_b32_e32 v9, 0
	v_mov_b32_e32 v12, 0
	;; [unrolled: 1-line block ×7, first 2 shown]
	s_and_saveexec_b64 s[0:1], vcc
	s_cbranch_execz .LBB139_26
; %bb.25:
	s_waitcnt vmcnt(1)
	v_cvt_f32_f16_sdwa v9, v4 dst_sel:DWORD dst_unused:UNUSED_PAD src0_sel:WORD_1
	v_cvt_f32_f16_e32 v8, v4
	v_cvt_f32_f16_sdwa v13, v5 dst_sel:DWORD dst_unused:UNUSED_PAD src0_sel:WORD_1
	v_cvt_f32_f16_e32 v12, v5
	;; [unrolled: 2-line block ×4, first 2 shown]
.LBB139_26:
	s_or_b64 exec, exec, s[0:1]
	s_waitcnt vmcnt(1)
	v_mul_f32_e32 v4, v9, v9
	v_fmac_f32_e32 v4, v8, v8
	v_fmac_f32_e32 v4, v12, v12
	;; [unrolled: 1-line block ×7, first 2 shown]
	s_nop 1
	v_mov_b32_dpp v5, v4 quad_perm:[1,0,3,2] row_mask:0xf bank_mask:0xf
	v_add_f32_e32 v4, v4, v5
	s_nop 1
	v_mov_b32_dpp v5, v4 quad_perm:[2,3,0,1] row_mask:0xf bank_mask:0xf
	v_add_f32_e32 v4, v4, v5
	s_nop 1
	v_mov_b32_dpp v5, v4 row_half_mirror row_mask:0xf bank_mask:0xf
	v_add_f32_e32 v4, v4, v5
	s_nop 1
	v_mov_b32_dpp v5, v4 row_mirror row_mask:0xf bank_mask:0xf
	v_add_f32_e32 v4, v4, v5
	s_nop 1
	v_mov_b32_dpp v5, v4 row_bcast:15 row_mask:0xf bank_mask:0xf
	v_add_f32_e32 v4, v4, v5
	s_nop 1
	v_mov_b32_dpp v5, v4 row_bcast:31 row_mask:0xf bank_mask:0xf
	v_add_f32_e32 v4, v4, v5
	ds_bpermute_b32 v4, v18, v4
	s_and_saveexec_b64 s[0:1], vcc
	s_cbranch_execz .LBB139_10
; %bb.27:
	v_cvt_f32_u32_e32 v5, s16
	s_mov_b32 s11, 0x20000
	s_waitcnt lgkmcnt(0)
	v_div_scale_f32 v6, s[0:1], v5, v5, v4
	v_rcp_f32_e32 v7, v6
	v_div_scale_f32 v17, vcc, v4, v5, v4
	s_mov_b32 s0, 0x800000
	v_fma_f32 v18, -v6, v7, 1.0
	v_fmac_f32_e32 v7, v18, v7
	v_mul_f32_e32 v18, v17, v7
	v_fma_f32 v19, -v6, v18, v17
	v_fmac_f32_e32 v18, v19, v7
	v_fma_f32 v6, -v6, v18, v17
	v_div_fmas_f32 v6, v6, v7, v18
	v_div_fixup_f32 v4, v6, v5, v4
	v_add_f32_e32 v4, s13, v4
	v_mul_f32_e32 v5, 0x4b800000, v4
	v_cmp_gt_f32_e32 vcc, s0, v4
	v_cndmask_b32_e32 v4, v4, v5, vcc
	v_rsq_f32_e32 v4, v4
	s_waitcnt vmcnt(0)
	v_cvt_f32_f16_sdwa v5, v0 dst_sel:DWORD dst_unused:UNUSED_PAD src0_sel:WORD_1
	v_cvt_f32_f16_sdwa v19, v1 dst_sel:DWORD dst_unused:UNUSED_PAD src0_sel:WORD_1
	v_cvt_f32_f16_e32 v18, v1
	v_mul_f32_e32 v6, 0x45800000, v4
	v_cndmask_b32_e32 v6, v4, v6, vcc
	v_cvt_f32_f16_e32 v4, v0
	v_mov_b32_e32 v7, v6
	;;#ASMSTART
	v_pk_mul_f32 v[8:9], v[8:9], v[6:7]
	;;#ASMEND
	;;#ASMSTART
	v_pk_mul_f32 v[12:13], v[12:13], v[6:7]
	;;#ASMEND
	v_pk_add_f32 v[4:5], v[4:5], 1.0 op_sel_hi:[1,0]
	;;#ASMSTART
	v_pk_mul_f32 v[14:15], v[14:15], v[6:7]
	;;#ASMEND
	;;#ASMSTART
	v_pk_mul_f32 v[0:1], v[10:11], v[6:7]
	;;#ASMEND
	;; [unrolled: 3-line block ×3, first 2 shown]
	v_cvt_f32_f16_sdwa v9, v2 dst_sel:DWORD dst_unused:UNUSED_PAD src0_sel:WORD_1
	v_cvt_f32_f16_e32 v8, v2
	v_cvt_f32_f16_sdwa v11, v3 dst_sel:DWORD dst_unused:UNUSED_PAD src0_sel:WORD_1
	v_cvt_f32_f16_e32 v10, v3
	v_pk_add_f32 v[6:7], v[18:19], 1.0 op_sel_hi:[1,0]
	;;#ASMSTART
	v_pk_mul_f32 v[2:3], v[12:13], v[6:7]
	;;#ASMEND
	v_pk_add_f32 v[6:7], v[8:9], 1.0 op_sel_hi:[1,0]
	;;#ASMSTART
	v_pk_mul_f32 v[6:7], v[14:15], v[6:7]
	;;#ASMEND
	;; [unrolled: 4-line block ×3, first 2 shown]
	s_mul_hi_i32 s1, s7, s6
	s_mul_i32 s0, s7, s6
	v_cvt_f16_f32_e32 v4, v4
	v_cvt_f16_f32_e32 v5, v5
	;; [unrolled: 1-line block ×8, first 2 shown]
	s_lshl_b64 s[0:1], s[0:1], 1
	s_add_u32 s8, s24, s0
	s_addc_u32 s0, s25, s1
	s_and_b32 s9, s0, 0xffff
	v_pack_b32_f16 v0, v4, v5
	v_pack_b32_f16 v1, v2, v3
	;; [unrolled: 1-line block ×4, first 2 shown]
	buffer_store_dwordx4 v[0:3], v16, s[8:11], 0 offen
	;;#ASMSTART
	s_nop 0
	;;#ASMEND
	s_endpgm
	.section	.rodata,"a",@progbits
	.p2align	6, 0x0
	.amdhsa_kernel _ZN5aiter35fused_qk_rmsnorm_group_quant_kernelIDF16_N4opus5fp4_tELi64ELi8ELi16ELb0ELb0ELb1ELb0ELb0ELb0EEEvPT0_PvPT_S7_S7_PKS6_S9_S9_S9_S9_ffiiiiiiiiiiiii
		.amdhsa_group_segment_fixed_size 0
		.amdhsa_private_segment_fixed_size 0
		.amdhsa_kernarg_size 400
		.amdhsa_user_sgpr_count 6
		.amdhsa_user_sgpr_private_segment_buffer 1
		.amdhsa_user_sgpr_dispatch_ptr 0
		.amdhsa_user_sgpr_queue_ptr 0
		.amdhsa_user_sgpr_kernarg_segment_ptr 1
		.amdhsa_user_sgpr_dispatch_id 0
		.amdhsa_user_sgpr_flat_scratch_init 0
		.amdhsa_user_sgpr_kernarg_preload_length 0
		.amdhsa_user_sgpr_kernarg_preload_offset 0
		.amdhsa_user_sgpr_private_segment_size 0
		.amdhsa_uses_dynamic_stack 0
		.amdhsa_system_sgpr_private_segment_wavefront_offset 0
		.amdhsa_system_sgpr_workgroup_id_x 1
		.amdhsa_system_sgpr_workgroup_id_y 1
		.amdhsa_system_sgpr_workgroup_id_z 0
		.amdhsa_system_sgpr_workgroup_info 0
		.amdhsa_system_vgpr_workitem_id 0
		.amdhsa_next_free_vgpr 23
		.amdhsa_next_free_sgpr 32
		.amdhsa_accum_offset 24
		.amdhsa_reserve_vcc 1
		.amdhsa_reserve_flat_scratch 0
		.amdhsa_float_round_mode_32 0
		.amdhsa_float_round_mode_16_64 0
		.amdhsa_float_denorm_mode_32 3
		.amdhsa_float_denorm_mode_16_64 3
		.amdhsa_dx10_clamp 1
		.amdhsa_ieee_mode 1
		.amdhsa_fp16_overflow 0
		.amdhsa_tg_split 0
		.amdhsa_exception_fp_ieee_invalid_op 0
		.amdhsa_exception_fp_denorm_src 0
		.amdhsa_exception_fp_ieee_div_zero 0
		.amdhsa_exception_fp_ieee_overflow 0
		.amdhsa_exception_fp_ieee_underflow 0
		.amdhsa_exception_fp_ieee_inexact 0
		.amdhsa_exception_int_div_zero 0
	.end_amdhsa_kernel
	.section	.text._ZN5aiter35fused_qk_rmsnorm_group_quant_kernelIDF16_N4opus5fp4_tELi64ELi8ELi16ELb0ELb0ELb1ELb0ELb0ELb0EEEvPT0_PvPT_S7_S7_PKS6_S9_S9_S9_S9_ffiiiiiiiiiiiii,"axG",@progbits,_ZN5aiter35fused_qk_rmsnorm_group_quant_kernelIDF16_N4opus5fp4_tELi64ELi8ELi16ELb0ELb0ELb1ELb0ELb0ELb0EEEvPT0_PvPT_S7_S7_PKS6_S9_S9_S9_S9_ffiiiiiiiiiiiii,comdat
.Lfunc_end139:
	.size	_ZN5aiter35fused_qk_rmsnorm_group_quant_kernelIDF16_N4opus5fp4_tELi64ELi8ELi16ELb0ELb0ELb1ELb0ELb0ELb0EEEvPT0_PvPT_S7_S7_PKS6_S9_S9_S9_S9_ffiiiiiiiiiiiii, .Lfunc_end139-_ZN5aiter35fused_qk_rmsnorm_group_quant_kernelIDF16_N4opus5fp4_tELi64ELi8ELi16ELb0ELb0ELb1ELb0ELb0ELb0EEEvPT0_PvPT_S7_S7_PKS6_S9_S9_S9_S9_ffiiiiiiiiiiiii
                                        ; -- End function
	.section	.AMDGPU.csdata,"",@progbits
; Kernel info:
; codeLenInByte = 2244
; NumSgprs: 36
; NumVgprs: 23
; NumAgprs: 0
; TotalNumVgprs: 23
; ScratchSize: 0
; MemoryBound: 0
; FloatMode: 240
; IeeeMode: 1
; LDSByteSize: 0 bytes/workgroup (compile time only)
; SGPRBlocks: 4
; VGPRBlocks: 2
; NumSGPRsForWavesPerEU: 36
; NumVGPRsForWavesPerEU: 23
; AccumOffset: 24
; Occupancy: 8
; WaveLimiterHint : 0
; COMPUTE_PGM_RSRC2:SCRATCH_EN: 0
; COMPUTE_PGM_RSRC2:USER_SGPR: 6
; COMPUTE_PGM_RSRC2:TRAP_HANDLER: 0
; COMPUTE_PGM_RSRC2:TGID_X_EN: 1
; COMPUTE_PGM_RSRC2:TGID_Y_EN: 1
; COMPUTE_PGM_RSRC2:TGID_Z_EN: 0
; COMPUTE_PGM_RSRC2:TIDIG_COMP_CNT: 0
; COMPUTE_PGM_RSRC3_GFX90A:ACCUM_OFFSET: 5
; COMPUTE_PGM_RSRC3_GFX90A:TG_SPLIT: 0
	.section	.text._ZN5aiter35fused_qk_rmsnorm_group_quant_kernelItN4opus5fp4_tELi64ELi8ELi16ELb0ELb0ELb1ELb0ELb0ELb0EEEvPT0_PvPT_S7_S7_PKS6_S9_S9_S9_S9_ffiiiiiiiiiiiii,"axG",@progbits,_ZN5aiter35fused_qk_rmsnorm_group_quant_kernelItN4opus5fp4_tELi64ELi8ELi16ELb0ELb0ELb1ELb0ELb0ELb0EEEvPT0_PvPT_S7_S7_PKS6_S9_S9_S9_S9_ffiiiiiiiiiiiii,comdat
	.protected	_ZN5aiter35fused_qk_rmsnorm_group_quant_kernelItN4opus5fp4_tELi64ELi8ELi16ELb0ELb0ELb1ELb0ELb0ELb0EEEvPT0_PvPT_S7_S7_PKS6_S9_S9_S9_S9_ffiiiiiiiiiiiii ; -- Begin function _ZN5aiter35fused_qk_rmsnorm_group_quant_kernelItN4opus5fp4_tELi64ELi8ELi16ELb0ELb0ELb1ELb0ELb0ELb0EEEvPT0_PvPT_S7_S7_PKS6_S9_S9_S9_S9_ffiiiiiiiiiiiii
	.globl	_ZN5aiter35fused_qk_rmsnorm_group_quant_kernelItN4opus5fp4_tELi64ELi8ELi16ELb0ELb0ELb1ELb0ELb0ELb0EEEvPT0_PvPT_S7_S7_PKS6_S9_S9_S9_S9_ffiiiiiiiiiiiii
	.p2align	8
	.type	_ZN5aiter35fused_qk_rmsnorm_group_quant_kernelItN4opus5fp4_tELi64ELi8ELi16ELb0ELb0ELb1ELb0ELb0ELb0EEEvPT0_PvPT_S7_S7_PKS6_S9_S9_S9_S9_ffiiiiiiiiiiiii,@function
_ZN5aiter35fused_qk_rmsnorm_group_quant_kernelItN4opus5fp4_tELi64ELi8ELi16ELb0ELb0ELb1ELb0ELb0ELb0EEEvPT0_PvPT_S7_S7_PKS6_S9_S9_S9_S9_ffiiiiiiiiiiiii: ; @_ZN5aiter35fused_qk_rmsnorm_group_quant_kernelItN4opus5fp4_tELi64ELi8ELi16ELb0ELb0ELb1ELb0ELb0ELb0EEEvPT0_PvPT_S7_S7_PKS6_S9_S9_S9_S9_ffiiiiiiiiiiiii
; %bb.0:
	s_load_dwordx4 s[12:15], s[4:5], 0x50
	s_waitcnt lgkmcnt(0)
	s_cmp_ge_i32 s6, s14
	s_cbranch_scc1 .LBB140_8
; %bb.1:
	s_load_dwordx2 s[8:9], s[4:5], 0x48
	s_load_dwordx2 s[26:27], s[4:5], 0x30
	s_load_dwordx4 s[16:19], s[4:5], 0x60
	s_cmp_lg_u32 s7, 0
	s_cselect_b64 s[2:3], -1, 0
	s_cmp_eq_u32 s7, 0
	s_cselect_b64 vcc, -1, 0
	s_and_b64 s[0:1], vcc, exec
	s_waitcnt lgkmcnt(0)
	s_cselect_b32 s7, s15, s16
	s_add_i32 s0, s7, 1
	s_lshr_b32 s1, s0, 31
	s_add_i32 s0, s0, s1
	s_lshl_b32 s0, s0, 1
	v_lshlrev_b32_e32 v1, 3, v0
	s_and_b32 s22, s0, -4
	v_cmp_gt_i32_e64 s[0:1], s7, v1
	v_mov_b32_e32 v2, 0
	v_mov_b32_e32 v3, 0
	;; [unrolled: 1-line block ×8, first 2 shown]
	s_and_saveexec_b64 s[10:11], s[0:1]
	s_cbranch_execz .LBB140_3
; %bb.2:
	s_load_dwordx2 s[20:21], s[4:5], 0x28
	s_load_dwordx2 s[24:25], s[4:5], 0x40
	s_and_b64 s[28:29], vcc, exec
	s_cselect_b32 s14, s17, s18
	s_mov_b32 s23, 0x20000
	s_waitcnt lgkmcnt(0)
	s_cselect_b32 s17, s21, s27
	s_cselect_b32 s19, s20, s26
	s_mul_hi_i32 s21, s14, s6
	s_mul_i32 s20, s14, s6
	s_lshl_b64 s[20:21], s[20:21], 1
	s_add_u32 s28, s19, s20
	s_addc_u32 s14, s17, s21
	s_and_b64 s[20:21], vcc, exec
	s_cselect_b32 s20, s24, s8
	s_cselect_b32 s17, s25, s9
	v_lshlrev_b32_e32 v10, 4, v0
	s_and_b32 s29, s14, 0xffff
	s_mov_b32 s30, s22
	s_mov_b32 s31, s23
	s_and_b32 s21, s17, 0xffff
	buffer_load_dwordx4 v[6:9], v10, s[28:31], 0 offen glc slc
	buffer_load_dwordx4 v[2:5], v10, s[20:23], 0 offen
.LBB140_3:
	s_or_b64 exec, exec, s[10:11]
	s_waitcnt vmcnt(1)
	v_cvt_f32_u32_sdwa v11, v6 dst_sel:DWORD dst_unused:UNUSED_PAD src0_sel:WORD_1
	v_cvt_f32_u32_sdwa v10, v6 dst_sel:DWORD dst_unused:UNUSED_PAD src0_sel:WORD_0
	v_cvt_f32_u32_sdwa v6, v9 dst_sel:DWORD dst_unused:UNUSED_PAD src0_sel:WORD_1
	v_cvt_f32_u32_sdwa v9, v9 dst_sel:DWORD dst_unused:UNUSED_PAD src0_sel:WORD_0
	v_cvt_f32_u32_sdwa v14, v8 dst_sel:DWORD dst_unused:UNUSED_PAD src0_sel:WORD_1
	v_cvt_f32_u32_sdwa v12, v7 dst_sel:DWORD dst_unused:UNUSED_PAD src0_sel:WORD_0
	v_cvt_f32_u32_sdwa v13, v7 dst_sel:DWORD dst_unused:UNUSED_PAD src0_sel:WORD_1
	v_cvt_f32_u32_sdwa v8, v8 dst_sel:DWORD dst_unused:UNUSED_PAD src0_sel:WORD_0
	v_cndmask_b32_e64 v11, 0, v11, s[0:1]
	v_cndmask_b32_e64 v7, 0, v6, s[0:1]
	;; [unrolled: 1-line block ×5, first 2 shown]
	v_mul_f32_e32 v14, v11, v11
	v_cndmask_b32_e64 v12, 0, v12, s[0:1]
	v_fmac_f32_e32 v14, v10, v10
	v_cndmask_b32_e64 v13, 0, v13, s[0:1]
	v_fmac_f32_e32 v14, v12, v12
	;; [unrolled: 2-line block ×3, first 2 shown]
	v_fmac_f32_e32 v14, v8, v8
	v_fmac_f32_e32 v14, v9, v9
	;; [unrolled: 1-line block ×4, first 2 shown]
	v_bfrev_b32_e32 v16, 0.5
	s_load_dwordx2 s[24:25], s[4:5], 0x18
	v_mov_b32_dpp v15, v14 quad_perm:[1,0,3,2] row_mask:0xf bank_mask:0xf
	v_add_f32_e32 v14, v14, v15
	s_nop 1
	v_mov_b32_dpp v15, v14 quad_perm:[2,3,0,1] row_mask:0xf bank_mask:0xf
	v_add_f32_e32 v14, v14, v15
	s_nop 1
	v_mov_b32_dpp v15, v14 row_half_mirror row_mask:0xf bank_mask:0xf
	v_add_f32_e32 v14, v14, v15
	s_nop 1
	v_mov_b32_dpp v15, v14 row_mirror row_mask:0xf bank_mask:0xf
	v_add_f32_e32 v14, v14, v15
	s_nop 1
	v_mov_b32_dpp v15, v14 row_bcast:15 row_mask:0xf bank_mask:0xf
	v_add_f32_e32 v14, v14, v15
	s_nop 1
	v_mov_b32_dpp v15, v14 row_bcast:31 row_mask:0xf bank_mask:0xf
	v_add_f32_e32 v15, v14, v15
	v_mbcnt_lo_u32_b32 v14, -1, 0
	v_mbcnt_hi_u32_b32 v14, -1, v14
	v_lshl_or_b32 v14, v14, 2, v16
	ds_bpermute_b32 v15, v14, v15
	s_and_saveexec_b64 s[10:11], s[0:1]
	s_cbranch_execz .LBB140_5
; %bb.4:
	v_cvt_f32_u32_e32 v16, s7
	v_mov_b32_e32 v17, s13
	v_mov_b32_e32 v18, s12
	v_cndmask_b32_e32 v17, v17, v18, vcc
	s_waitcnt lgkmcnt(0)
	v_div_scale_f32 v19, s[20:21], v16, v16, v15
	v_rcp_f32_e32 v20, v19
	v_div_scale_f32 v18, vcc, v15, v16, v15
	s_mov_b32 s7, 0x800000
	v_fma_f32 v21, -v19, v20, 1.0
	v_fmac_f32_e32 v20, v21, v20
	v_mul_f32_e32 v21, v18, v20
	v_fma_f32 v22, -v19, v21, v18
	v_fmac_f32_e32 v21, v22, v20
	v_fma_f32 v18, -v19, v21, v18
	v_div_fmas_f32 v18, v18, v20, v21
	v_div_fixup_f32 v15, v18, v16, v15
	v_add_f32_e32 v15, v17, v15
	v_mul_f32_e32 v16, 0x4b800000, v15
	v_cmp_gt_f32_e32 vcc, s7, v15
	v_cndmask_b32_e32 v15, v15, v16, vcc
	v_rsq_f32_e32 v15, v15
	s_waitcnt vmcnt(0)
	v_cvt_f32_u32_sdwa v19, v2 dst_sel:DWORD dst_unused:UNUSED_PAD src0_sel:WORD_1
	v_cvt_f32_u32_sdwa v18, v2 dst_sel:DWORD dst_unused:UNUSED_PAD src0_sel:WORD_0
	v_cvt_f32_u32_sdwa v21, v3 dst_sel:DWORD dst_unused:UNUSED_PAD src0_sel:WORD_1
	v_mul_f32_e32 v16, 0x45800000, v15
	v_cndmask_b32_e32 v16, v15, v16, vcc
	v_mov_b32_e32 v17, v16
	;;#ASMSTART
	v_pk_mul_f32 v[10:11], v[10:11], v[16:17]
	;;#ASMEND
	;;#ASMSTART
	v_pk_mul_f32 v[12:13], v[12:13], v[16:17]
	;;#ASMEND
	;; [unrolled: 3-line block ×3, first 2 shown]
	v_cvt_f32_u32_sdwa v20, v3 dst_sel:DWORD dst_unused:UNUSED_PAD src0_sel:WORD_0
	;;#ASMSTART
	v_pk_mul_f32 v[2:3], v[6:7], v[16:17]
	;;#ASMEND
	v_cvt_f32_u32_sdwa v17, v4 dst_sel:DWORD dst_unused:UNUSED_PAD src0_sel:WORD_1
	v_cvt_f32_u32_sdwa v16, v4 dst_sel:DWORD dst_unused:UNUSED_PAD src0_sel:WORD_0
	v_pk_add_f32 v[6:7], v[18:19], 1.0 op_sel_hi:[1,0]
	v_cvt_f32_u32_sdwa v19, v5 dst_sel:DWORD dst_unused:UNUSED_PAD src0_sel:WORD_1
	v_cvt_f32_u32_sdwa v18, v5 dst_sel:DWORD dst_unused:UNUSED_PAD src0_sel:WORD_0
	;;#ASMSTART
	v_pk_mul_f32 v[10:11], v[10:11], v[6:7]
	;;#ASMEND
	v_pk_add_f32 v[6:7], v[20:21], 1.0 op_sel_hi:[1,0]
	v_pk_add_f32 v[4:5], v[16:17], 1.0 op_sel_hi:[1,0]
	;;#ASMSTART
	v_pk_mul_f32 v[12:13], v[12:13], v[6:7]
	;;#ASMEND
	;;#ASMSTART
	v_pk_mul_f32 v[8:9], v[8:9], v[4:5]
	;;#ASMEND
	v_pk_add_f32 v[4:5], v[18:19], 1.0 op_sel_hi:[1,0]
	;;#ASMSTART
	v_pk_mul_f32 v[6:7], v[2:3], v[4:5]
	;;#ASMEND
.LBB140_5:
	s_or_b64 exec, exec, s[10:11]
	s_load_dword s7, s[4:5], 0x80
	s_mov_b64 s[10:11], -1
	s_and_b64 vcc, exec, s[2:3]
	s_cbranch_vccnz .LBB140_9
; %bb.6:
	s_andn2_b64 vcc, exec, s[10:11]
	s_cbranch_vccz .LBB140_12
.LBB140_7:
	s_cmp_lt_i32 s16, 1
	s_cbranch_scc0 .LBB140_19
.LBB140_8:
	s_endpgm
.LBB140_9:
	s_and_saveexec_b64 s[2:3], s[0:1]
	s_cbranch_execz .LBB140_11
; %bb.10:
	s_waitcnt lgkmcnt(0)
	s_mul_hi_i32 s11, s7, s6
	s_mul_i32 s10, s7, s6
	s_lshl_b64 s[10:11], s[10:11], 1
	s_add_u32 s20, s24, s10
	s_addc_u32 s10, s25, s11
	s_and_b32 s21, s10, 0xffff
	s_mov_b32 s10, 0x7060302
	s_mov_b32 s23, 0x20000
	s_waitcnt vmcnt(0)
	v_perm_b32 v2, v11, v10, s10
	v_perm_b32 v3, v13, v12, s10
	;; [unrolled: 1-line block ×4, first 2 shown]
	v_lshlrev_b32_e32 v15, 4, v0
	buffer_store_dwordx4 v[2:5], v15, s[20:23], 0 offen
	;;#ASMSTART
	s_nop 0
	;;#ASMEND
.LBB140_11:
	s_or_b64 exec, exec, s[2:3]
	s_cbranch_execnz .LBB140_7
.LBB140_12:
	s_waitcnt vmcnt(0)
	v_mov_b32_e32 v2, 0
	s_and_saveexec_b64 s[2:3], s[0:1]
	s_cbranch_execz .LBB140_14
; %bb.13:
	v_and_b32_e32 v2, 0x7fffffff, v10
	v_and_b32_e32 v3, 0x7fffffff, v11
	v_mov_b32_e32 v4, 0x2edbe6ff
	;;#ASMSTART
	v_max3_f32 v2, v4, v2, v3

	;;#ASMEND
	v_and_b32_e32 v3, 0x7fffffff, v12
	v_and_b32_e32 v4, 0x7fffffff, v13
	;;#ASMSTART
	v_max3_f32 v2, v2, v3, v4

	;;#ASMEND
	v_and_b32_e32 v3, 0x7fffffff, v8
	v_and_b32_e32 v4, 0x7fffffff, v9
	;; [unrolled: 6-line block ×3, first 2 shown]
	;;#ASMSTART
	v_max3_f32 v2, v2, v3, v4

	;;#ASMEND
.LBB140_14:
	s_or_b64 exec, exec, s[2:3]
	s_load_dwordx4 s[20:23], s[4:5], 0x70
	;;#ASMSTART
	v_max_f32 v3, v2, v2 quad_perm:[1,0,3,2] row_mask:0xf bank_mask:0xf bound_ctrl:1
	;;#ASMEND
	;;#ASMSTART
	v_max_f32 v2, v3, v3 quad_perm:[2,3,0,1] row_mask:0xf bank_mask:0xf bound_ctrl:1
	;;#ASMEND
	;;#ASMSTART
	v_max_f32 v3, v2, v2 row_half_mirror row_mask:0xf bank_mask:0xf bound_ctrl:1
	;;#ASMEND
	;;#ASMSTART
	v_max_f32 v2, v3, v3 row_mirror row_mask:0xf bank_mask:0xf bound_ctrl:1
	;;#ASMEND
	v_and_b32_e32 v3, 15, v0
	v_cmp_eq_u32_e32 vcc, 0, v3
	v_cmp_gt_i32_e64 s[2:3], s15, v1
	s_and_b64 s[10:11], vcc, s[2:3]
	s_and_saveexec_b64 s[2:3], s[10:11]
	s_cbranch_execz .LBB140_16
; %bb.15:
	s_load_dwordx2 s[10:11], s[4:5], 0x8
	v_mul_f32_e32 v2, 0x3e2aaaab, v2
	v_lshrrev_b32_e32 v3, 23, v2
	v_and_b32_e32 v4, 0x7f800000, v2
	v_and_b32_e32 v2, 0x7fffff, v2
	v_cmp_ne_u32_e32 vcc, 0, v2
	s_waitcnt lgkmcnt(0)
	s_mul_i32 s17, s21, s6
	s_mov_b32 s12, 0x7f800000
	v_addc_co_u32_e32 v2, vcc, 0, v3, vcc
	s_mul_hi_i32 s14, s21, s6
	s_add_u32 s10, s10, s17
	v_cmp_ne_u32_e32 vcc, s12, v4
	s_addc_u32 s11, s11, s14
	v_lshrrev_b32_e32 v5, 4, v0
	v_cndmask_b32_e32 v4, -1, v2, vcc
	v_pk_mov_b32 v[2:3], s[10:11], s[10:11] op_sel:[0,1]
	v_mad_i64_i32 v[2:3], s[10:11], s22, v5, v[2:3]
	global_store_byte v[2:3], v4, off
.LBB140_16:
	s_or_b64 exec, exec, s[2:3]
	s_and_saveexec_b64 s[2:3], s[0:1]
	s_cbranch_execz .LBB140_18
; %bb.17:
	s_load_dwordx2 s[0:1], s[4:5], 0x0
	s_waitcnt lgkmcnt(0)
	s_mul_i32 s11, s20, s6
	s_mul_hi_i32 s10, s20, s6
	v_lshlrev_b32_e32 v2, 2, v0
	s_mov_b32 s23, 0x20000
	s_add_u32 s20, s0, s11
	s_addc_u32 s0, s1, s10
	s_lshr_b32 s1, s15, 31
	s_add_i32 s1, s15, s1
	s_ashr_i32 s1, s1, 1
	s_add_i32 s1, s1, 3
	s_ashr_i32 s10, s1, 31
	s_lshr_b32 s10, s10, 30
	s_add_i32 s1, s1, s10
	s_and_b32 s22, s1, -4
	s_and_b32 s21, s0, 0xffff
	v_mov_b32_e32 v3, 0
	buffer_store_dword v3, v2, s[20:23], 0 offen
	;;#ASMSTART
	s_nop 0
	;;#ASMEND
.LBB140_18:
	s_or_b64 exec, exec, s[2:3]
	s_cmp_lt_i32 s16, 1
	s_cbranch_scc1 .LBB140_8
.LBB140_19:
	s_load_dword s0, s[4:5], 0x94
	s_waitcnt lgkmcnt(0)
	s_cmp_lg_u32 s0, 1
	s_cbranch_scc1 .LBB140_8
; %bb.20:
	s_lshl_b32 s0, s16, 1
	s_add_i32 s0, s0, 2
	v_cmp_gt_u32_e32 vcc, s16, v1
	s_and_b32 s10, s0, -4
	s_waitcnt vmcnt(0)
	v_mov_b32_e32 v4, 0
	v_lshlrev_b32_e32 v12, 4, v0
	v_mov_b32_e32 v5, 0
	v_mov_b32_e32 v6, 0
	;; [unrolled: 1-line block ×7, first 2 shown]
	s_barrier
	s_and_saveexec_b64 s[0:1], vcc
	s_cbranch_execz .LBB140_22
; %bb.21:
	s_mul_hi_i32 s3, s18, s6
	s_mul_i32 s2, s18, s6
	s_and_b32 s9, s9, 0xffff
	s_lshl_b64 s[2:3], s[2:3], 1
	s_add_u32 s20, s26, s2
	s_mov_b32 s11, 0x20000
	s_addc_u32 s2, s27, s3
	s_and_b32 s21, s2, 0xffff
	s_mov_b32 s22, s10
	s_mov_b32 s23, s11
	buffer_load_dwordx4 v[4:7], v12, s[20:23], 0 offen glc slc
	buffer_load_dwordx4 v[0:3], v12, s[8:11], 0 offen
.LBB140_22:
	s_or_b64 exec, exec, s[0:1]
	s_waitcnt vmcnt(1)
	v_cvt_f32_u32_sdwa v11, v4 dst_sel:DWORD dst_unused:UNUSED_PAD src0_sel:WORD_1
	v_cvt_f32_u32_sdwa v10, v4 dst_sel:DWORD dst_unused:UNUSED_PAD src0_sel:WORD_0
	v_cvt_f32_u32_sdwa v4, v7 dst_sel:DWORD dst_unused:UNUSED_PAD src0_sel:WORD_1
	v_cvt_f32_u32_sdwa v7, v7 dst_sel:DWORD dst_unused:UNUSED_PAD src0_sel:WORD_0
	;; [unrolled: 2-line block ×4, first 2 shown]
	v_cndmask_b32_e32 v11, 0, v11, vcc
	v_cndmask_b32_e32 v5, 0, v4, vcc
	;; [unrolled: 1-line block ×5, first 2 shown]
	v_mul_f32_e32 v13, v11, v11
	v_cndmask_b32_e32 v8, 0, v8, vcc
	v_fmac_f32_e32 v13, v10, v10
	v_cndmask_b32_e32 v9, 0, v9, vcc
	v_fmac_f32_e32 v13, v8, v8
	v_cndmask_b32_e32 v6, 0, v6, vcc
	v_fmac_f32_e32 v13, v9, v9
	v_fmac_f32_e32 v13, v6, v6
	v_fmac_f32_e32 v13, v7, v7
	;; [unrolled: 1-line block ×4, first 2 shown]
	s_nop 1
	v_mov_b32_dpp v15, v13 quad_perm:[1,0,3,2] row_mask:0xf bank_mask:0xf
	v_add_f32_e32 v13, v13, v15
	s_nop 1
	v_mov_b32_dpp v15, v13 quad_perm:[2,3,0,1] row_mask:0xf bank_mask:0xf
	v_add_f32_e32 v13, v13, v15
	s_nop 1
	v_mov_b32_dpp v15, v13 row_half_mirror row_mask:0xf bank_mask:0xf
	v_add_f32_e32 v13, v13, v15
	s_nop 1
	v_mov_b32_dpp v15, v13 row_mirror row_mask:0xf bank_mask:0xf
	v_add_f32_e32 v13, v13, v15
	s_nop 1
	v_mov_b32_dpp v15, v13 row_bcast:15 row_mask:0xf bank_mask:0xf
	v_add_f32_e32 v13, v13, v15
	s_nop 1
	v_mov_b32_dpp v15, v13 row_bcast:31 row_mask:0xf bank_mask:0xf
	v_add_f32_e32 v13, v13, v15
	ds_bpermute_b32 v13, v14, v13
	s_and_saveexec_b64 s[0:1], vcc
	s_cbranch_execz .LBB140_8
; %bb.23:
	v_cvt_f32_u32_e32 v14, s16
	s_mov_b32 s11, 0x20000
	s_waitcnt lgkmcnt(0)
	v_div_scale_f32 v15, s[0:1], v14, v14, v13
	v_rcp_f32_e32 v16, v15
	v_div_scale_f32 v17, vcc, v13, v14, v13
	s_mov_b32 s0, 0x800000
	v_fma_f32 v18, -v15, v16, 1.0
	v_fmac_f32_e32 v16, v18, v16
	v_mul_f32_e32 v18, v17, v16
	v_fma_f32 v19, -v15, v18, v17
	v_fmac_f32_e32 v18, v19, v16
	v_fma_f32 v15, -v15, v18, v17
	v_div_fmas_f32 v15, v15, v16, v18
	v_div_fixup_f32 v13, v15, v14, v13
	v_add_f32_e32 v13, s13, v13
	v_mul_f32_e32 v14, 0x4b800000, v13
	v_cmp_gt_f32_e32 vcc, s0, v13
	v_cndmask_b32_e32 v13, v13, v14, vcc
	v_rsq_f32_e32 v13, v13
	s_waitcnt vmcnt(0)
	v_cvt_f32_u32_sdwa v15, v0 dst_sel:DWORD dst_unused:UNUSED_PAD src0_sel:WORD_1
	v_cvt_f32_u32_sdwa v19, v1 dst_sel:DWORD dst_unused:UNUSED_PAD src0_sel:WORD_1
	v_cvt_f32_u32_sdwa v18, v1 dst_sel:DWORD dst_unused:UNUSED_PAD src0_sel:WORD_0
	v_mul_f32_e32 v14, 0x45800000, v13
	v_cndmask_b32_e32 v16, v13, v14, vcc
	v_cvt_f32_u32_sdwa v14, v0 dst_sel:DWORD dst_unused:UNUSED_PAD src0_sel:WORD_0
	v_mov_b32_e32 v17, v16
	;;#ASMSTART
	v_pk_mul_f32 v[10:11], v[10:11], v[16:17]
	;;#ASMEND
	;;#ASMSTART
	v_pk_mul_f32 v[8:9], v[8:9], v[16:17]
	;;#ASMEND
	;; [unrolled: 3-line block ×4, first 2 shown]
	v_pk_add_f32 v[4:5], v[14:15], 1.0 op_sel_hi:[1,0]
	v_cvt_f32_u32_sdwa v15, v2 dst_sel:DWORD dst_unused:UNUSED_PAD src0_sel:WORD_1
	v_cvt_f32_u32_sdwa v14, v2 dst_sel:DWORD dst_unused:UNUSED_PAD src0_sel:WORD_0
	v_cvt_f32_u32_sdwa v17, v3 dst_sel:DWORD dst_unused:UNUSED_PAD src0_sel:WORD_1
	v_cvt_f32_u32_sdwa v16, v3 dst_sel:DWORD dst_unused:UNUSED_PAD src0_sel:WORD_0
	s_mul_hi_i32 s1, s7, s6
	s_mul_i32 s0, s7, s6
	s_lshl_b64 s[0:1], s[0:1], 1
	s_add_u32 s8, s24, s0
	;;#ASMSTART
	v_pk_mul_f32 v[4:5], v[10:11], v[4:5]
	;;#ASMEND
	v_pk_add_f32 v[10:11], v[18:19], 1.0 op_sel_hi:[1,0]
	;;#ASMSTART
	v_pk_mul_f32 v[2:3], v[8:9], v[10:11]
	;;#ASMEND
	v_pk_add_f32 v[8:9], v[14:15], 1.0 op_sel_hi:[1,0]
	s_addc_u32 s0, s25, s1
	;;#ASMSTART
	v_pk_mul_f32 v[6:7], v[6:7], v[8:9]
	;;#ASMEND
	v_pk_add_f32 v[8:9], v[16:17], 1.0 op_sel_hi:[1,0]
	s_and_b32 s9, s0, 0xffff
	s_mov_b32 s0, 0x7060302
	;;#ASMSTART
	v_pk_mul_f32 v[8:9], v[0:1], v[8:9]
	;;#ASMEND
	v_perm_b32 v0, v5, v4, s0
	v_perm_b32 v1, v3, v2, s0
	;; [unrolled: 1-line block ×4, first 2 shown]
	buffer_store_dwordx4 v[0:3], v12, s[8:11], 0 offen
	;;#ASMSTART
	s_nop 0
	;;#ASMEND
	s_endpgm
	.section	.rodata,"a",@progbits
	.p2align	6, 0x0
	.amdhsa_kernel _ZN5aiter35fused_qk_rmsnorm_group_quant_kernelItN4opus5fp4_tELi64ELi8ELi16ELb0ELb0ELb1ELb0ELb0ELb0EEEvPT0_PvPT_S7_S7_PKS6_S9_S9_S9_S9_ffiiiiiiiiiiiii
		.amdhsa_group_segment_fixed_size 0
		.amdhsa_private_segment_fixed_size 0
		.amdhsa_kernarg_size 400
		.amdhsa_user_sgpr_count 6
		.amdhsa_user_sgpr_private_segment_buffer 1
		.amdhsa_user_sgpr_dispatch_ptr 0
		.amdhsa_user_sgpr_queue_ptr 0
		.amdhsa_user_sgpr_kernarg_segment_ptr 1
		.amdhsa_user_sgpr_dispatch_id 0
		.amdhsa_user_sgpr_flat_scratch_init 0
		.amdhsa_user_sgpr_kernarg_preload_length 0
		.amdhsa_user_sgpr_kernarg_preload_offset 0
		.amdhsa_user_sgpr_private_segment_size 0
		.amdhsa_uses_dynamic_stack 0
		.amdhsa_system_sgpr_private_segment_wavefront_offset 0
		.amdhsa_system_sgpr_workgroup_id_x 1
		.amdhsa_system_sgpr_workgroup_id_y 1
		.amdhsa_system_sgpr_workgroup_id_z 0
		.amdhsa_system_sgpr_workgroup_info 0
		.amdhsa_system_vgpr_workitem_id 0
		.amdhsa_next_free_vgpr 23
		.amdhsa_next_free_sgpr 32
		.amdhsa_accum_offset 24
		.amdhsa_reserve_vcc 1
		.amdhsa_reserve_flat_scratch 0
		.amdhsa_float_round_mode_32 0
		.amdhsa_float_round_mode_16_64 0
		.amdhsa_float_denorm_mode_32 3
		.amdhsa_float_denorm_mode_16_64 3
		.amdhsa_dx10_clamp 1
		.amdhsa_ieee_mode 1
		.amdhsa_fp16_overflow 0
		.amdhsa_tg_split 0
		.amdhsa_exception_fp_ieee_invalid_op 0
		.amdhsa_exception_fp_denorm_src 0
		.amdhsa_exception_fp_ieee_div_zero 0
		.amdhsa_exception_fp_ieee_overflow 0
		.amdhsa_exception_fp_ieee_underflow 0
		.amdhsa_exception_fp_ieee_inexact 0
		.amdhsa_exception_int_div_zero 0
	.end_amdhsa_kernel
	.section	.text._ZN5aiter35fused_qk_rmsnorm_group_quant_kernelItN4opus5fp4_tELi64ELi8ELi16ELb0ELb0ELb1ELb0ELb0ELb0EEEvPT0_PvPT_S7_S7_PKS6_S9_S9_S9_S9_ffiiiiiiiiiiiii,"axG",@progbits,_ZN5aiter35fused_qk_rmsnorm_group_quant_kernelItN4opus5fp4_tELi64ELi8ELi16ELb0ELb0ELb1ELb0ELb0ELb0EEEvPT0_PvPT_S7_S7_PKS6_S9_S9_S9_S9_ffiiiiiiiiiiiii,comdat
.Lfunc_end140:
	.size	_ZN5aiter35fused_qk_rmsnorm_group_quant_kernelItN4opus5fp4_tELi64ELi8ELi16ELb0ELb0ELb1ELb0ELb0ELb0EEEvPT0_PvPT_S7_S7_PKS6_S9_S9_S9_S9_ffiiiiiiiiiiiii, .Lfunc_end140-_ZN5aiter35fused_qk_rmsnorm_group_quant_kernelItN4opus5fp4_tELi64ELi8ELi16ELb0ELb0ELb1ELb0ELb0ELb0EEEvPT0_PvPT_S7_S7_PKS6_S9_S9_S9_S9_ffiiiiiiiiiiiii
                                        ; -- End function
	.section	.AMDGPU.csdata,"",@progbits
; Kernel info:
; codeLenInByte = 2260
; NumSgprs: 36
; NumVgprs: 23
; NumAgprs: 0
; TotalNumVgprs: 23
; ScratchSize: 0
; MemoryBound: 0
; FloatMode: 240
; IeeeMode: 1
; LDSByteSize: 0 bytes/workgroup (compile time only)
; SGPRBlocks: 4
; VGPRBlocks: 2
; NumSGPRsForWavesPerEU: 36
; NumVGPRsForWavesPerEU: 23
; AccumOffset: 24
; Occupancy: 8
; WaveLimiterHint : 0
; COMPUTE_PGM_RSRC2:SCRATCH_EN: 0
; COMPUTE_PGM_RSRC2:USER_SGPR: 6
; COMPUTE_PGM_RSRC2:TRAP_HANDLER: 0
; COMPUTE_PGM_RSRC2:TGID_X_EN: 1
; COMPUTE_PGM_RSRC2:TGID_Y_EN: 1
; COMPUTE_PGM_RSRC2:TGID_Z_EN: 0
; COMPUTE_PGM_RSRC2:TIDIG_COMP_CNT: 0
; COMPUTE_PGM_RSRC3_GFX90A:ACCUM_OFFSET: 5
; COMPUTE_PGM_RSRC3_GFX90A:TG_SPLIT: 0
	.section	.text._ZN5aiter35fused_qk_rmsnorm_group_quant_kernelIDF16_DB8_Li64ELi8ELi16ELb0ELb0ELb0ELb0ELb0ELb0EEEvPT0_PvPT_S6_S6_PKS5_S8_S8_S8_S8_ffiiiiiiiiiiiii,"axG",@progbits,_ZN5aiter35fused_qk_rmsnorm_group_quant_kernelIDF16_DB8_Li64ELi8ELi16ELb0ELb0ELb0ELb0ELb0ELb0EEEvPT0_PvPT_S6_S6_PKS5_S8_S8_S8_S8_ffiiiiiiiiiiiii,comdat
	.protected	_ZN5aiter35fused_qk_rmsnorm_group_quant_kernelIDF16_DB8_Li64ELi8ELi16ELb0ELb0ELb0ELb0ELb0ELb0EEEvPT0_PvPT_S6_S6_PKS5_S8_S8_S8_S8_ffiiiiiiiiiiiii ; -- Begin function _ZN5aiter35fused_qk_rmsnorm_group_quant_kernelIDF16_DB8_Li64ELi8ELi16ELb0ELb0ELb0ELb0ELb0ELb0EEEvPT0_PvPT_S6_S6_PKS5_S8_S8_S8_S8_ffiiiiiiiiiiiii
	.globl	_ZN5aiter35fused_qk_rmsnorm_group_quant_kernelIDF16_DB8_Li64ELi8ELi16ELb0ELb0ELb0ELb0ELb0ELb0EEEvPT0_PvPT_S6_S6_PKS5_S8_S8_S8_S8_ffiiiiiiiiiiiii
	.p2align	8
	.type	_ZN5aiter35fused_qk_rmsnorm_group_quant_kernelIDF16_DB8_Li64ELi8ELi16ELb0ELb0ELb0ELb0ELb0ELb0EEEvPT0_PvPT_S6_S6_PKS5_S8_S8_S8_S8_ffiiiiiiiiiiiii,@function
_ZN5aiter35fused_qk_rmsnorm_group_quant_kernelIDF16_DB8_Li64ELi8ELi16ELb0ELb0ELb0ELb0ELb0ELb0EEEvPT0_PvPT_S6_S6_PKS5_S8_S8_S8_S8_ffiiiiiiiiiiiii: ; @_ZN5aiter35fused_qk_rmsnorm_group_quant_kernelIDF16_DB8_Li64ELi8ELi16ELb0ELb0ELb0ELb0ELb0ELb0EEEvPT0_PvPT_S6_S6_PKS5_S8_S8_S8_S8_ffiiiiiiiiiiiii
; %bb.0:
	s_load_dwordx4 s[12:15], s[4:5], 0x50
	s_waitcnt lgkmcnt(0)
	s_cmp_ge_i32 s6, s14
	s_cbranch_scc1 .LBB141_10
; %bb.1:
	s_load_dwordx2 s[8:9], s[4:5], 0x48
	s_load_dwordx2 s[26:27], s[4:5], 0x30
	s_load_dwordx4 s[16:19], s[4:5], 0x60
	s_cmp_lg_u32 s7, 0
	s_cselect_b64 s[2:3], -1, 0
	s_cmp_eq_u32 s7, 0
	s_cselect_b64 vcc, -1, 0
	s_and_b64 s[0:1], vcc, exec
	s_waitcnt lgkmcnt(0)
	s_cselect_b32 s7, s15, s16
	s_add_i32 s0, s7, 1
	s_lshr_b32 s1, s0, 31
	s_add_i32 s0, s0, s1
	s_lshl_b32 s0, s0, 1
	v_lshlrev_b32_e32 v1, 3, v0
	s_and_b32 s22, s0, -4
	v_cmp_gt_i32_e64 s[0:1], s7, v1
	v_mov_b32_e32 v10, 0
	v_mov_b32_e32 v2, 0
	;; [unrolled: 1-line block ×9, first 2 shown]
	s_and_saveexec_b64 s[10:11], s[0:1]
	s_cbranch_execz .LBB141_3
; %bb.2:
	s_load_dwordx2 s[20:21], s[4:5], 0x28
	s_load_dwordx2 s[24:25], s[4:5], 0x40
	s_and_b64 s[28:29], vcc, exec
	s_cselect_b32 s14, s17, s18
	s_mov_b32 s23, 0x20000
	s_waitcnt lgkmcnt(0)
	s_cselect_b32 s17, s21, s27
	s_cselect_b32 s19, s20, s26
	s_mul_hi_i32 s21, s14, s6
	s_mul_i32 s20, s14, s6
	s_lshl_b64 s[20:21], s[20:21], 1
	s_add_u32 s28, s19, s20
	s_addc_u32 s14, s17, s21
	s_and_b64 s[20:21], vcc, exec
	s_cselect_b32 s20, s24, s8
	s_cselect_b32 s17, s25, s9
	v_lshlrev_b32_e32 v11, 4, v0
	s_and_b32 s29, s14, 0xffff
	s_mov_b32 s30, s22
	s_mov_b32 s31, s23
	s_and_b32 s21, s17, 0xffff
	buffer_load_dwordx4 v[6:9], v11, s[28:31], 0 offen glc slc
	buffer_load_dwordx4 v[2:5], v11, s[20:23], 0 offen
.LBB141_3:
	s_or_b64 exec, exec, s[10:11]
	v_mov_b32_e32 v11, 0
	v_mov_b32_e32 v16, 0
	;; [unrolled: 1-line block ×7, first 2 shown]
	s_and_saveexec_b64 s[10:11], s[0:1]
	s_cbranch_execz .LBB141_5
; %bb.4:
	s_waitcnt vmcnt(1)
	v_cvt_f32_f16_sdwa v11, v6 dst_sel:DWORD dst_unused:UNUSED_PAD src0_sel:WORD_1
	v_cvt_f32_f16_e32 v10, v6
	v_cvt_f32_f16_sdwa v17, v7 dst_sel:DWORD dst_unused:UNUSED_PAD src0_sel:WORD_1
	v_cvt_f32_f16_e32 v16, v7
	v_cvt_f32_f16_sdwa v15, v8 dst_sel:DWORD dst_unused:UNUSED_PAD src0_sel:WORD_1
	v_cvt_f32_f16_e32 v14, v8
	v_cvt_f32_f16_sdwa v13, v9 dst_sel:DWORD dst_unused:UNUSED_PAD src0_sel:WORD_1
	v_cvt_f32_f16_e32 v12, v9
.LBB141_5:
	s_or_b64 exec, exec, s[10:11]
	s_waitcnt vmcnt(1)
	v_mul_f32_e32 v6, v11, v11
	v_fmac_f32_e32 v6, v10, v10
	v_fmac_f32_e32 v6, v16, v16
	;; [unrolled: 1-line block ×7, first 2 shown]
	v_bfrev_b32_e32 v8, 0.5
	s_load_dwordx2 s[24:25], s[4:5], 0x18
	v_mov_b32_dpp v7, v6 quad_perm:[1,0,3,2] row_mask:0xf bank_mask:0xf
	v_add_f32_e32 v6, v6, v7
	s_nop 1
	v_mov_b32_dpp v7, v6 quad_perm:[2,3,0,1] row_mask:0xf bank_mask:0xf
	v_add_f32_e32 v6, v6, v7
	s_nop 1
	v_mov_b32_dpp v7, v6 row_half_mirror row_mask:0xf bank_mask:0xf
	v_add_f32_e32 v6, v6, v7
	s_nop 1
	v_mov_b32_dpp v7, v6 row_mirror row_mask:0xf bank_mask:0xf
	v_add_f32_e32 v6, v6, v7
	s_nop 1
	v_mov_b32_dpp v7, v6 row_bcast:15 row_mask:0xf bank_mask:0xf
	v_add_f32_e32 v6, v6, v7
	s_nop 1
	v_mov_b32_dpp v7, v6 row_bcast:31 row_mask:0xf bank_mask:0xf
	v_add_f32_e32 v6, v6, v7
	v_mbcnt_lo_u32_b32 v7, -1, 0
	v_mbcnt_hi_u32_b32 v7, -1, v7
	v_lshl_or_b32 v18, v7, 2, v8
	ds_bpermute_b32 v6, v18, v6
	s_and_saveexec_b64 s[10:11], s[0:1]
	s_cbranch_execz .LBB141_7
; %bb.6:
	v_cvt_f32_u32_e32 v7, s7
	v_mov_b32_e32 v8, s13
	v_mov_b32_e32 v9, s12
	v_cndmask_b32_e32 v8, v8, v9, vcc
	s_waitcnt lgkmcnt(0)
	v_div_scale_f32 v19, s[20:21], v7, v7, v6
	v_rcp_f32_e32 v20, v19
	v_div_scale_f32 v9, vcc, v6, v7, v6
	s_mov_b32 s7, 0x800000
	v_fma_f32 v21, -v19, v20, 1.0
	v_fmac_f32_e32 v20, v21, v20
	v_mul_f32_e32 v21, v9, v20
	v_fma_f32 v22, -v19, v21, v9
	v_fmac_f32_e32 v21, v22, v20
	v_fma_f32 v9, -v19, v21, v9
	v_div_fmas_f32 v9, v9, v20, v21
	v_div_fixup_f32 v6, v9, v7, v6
	v_add_f32_e32 v6, v8, v6
	v_mul_f32_e32 v7, 0x4b800000, v6
	v_cmp_gt_f32_e32 vcc, s7, v6
	v_cndmask_b32_e32 v6, v6, v7, vcc
	v_rsq_f32_e32 v6, v6
	s_waitcnt vmcnt(0)
	v_cvt_f32_f16_sdwa v21, v5 dst_sel:DWORD dst_unused:UNUSED_PAD src0_sel:WORD_1
	v_cvt_f32_f16_e32 v20, v5
	v_mul_f32_e32 v7, 0x45800000, v6
	v_cndmask_b32_e32 v6, v6, v7, vcc
	v_mov_b32_e32 v7, v6
	;;#ASMSTART
	v_pk_mul_f32 v[8:9], v[10:11], v[6:7]
	;;#ASMEND
	;;#ASMSTART
	v_pk_mul_f32 v[16:17], v[16:17], v[6:7]
	;;#ASMEND
	;; [unrolled: 3-line block ×4, first 2 shown]
	v_cvt_f32_f16_sdwa v11, v2 dst_sel:DWORD dst_unused:UNUSED_PAD src0_sel:WORD_1
	v_cvt_f32_f16_e32 v10, v2
	v_cvt_f32_f16_sdwa v13, v3 dst_sel:DWORD dst_unused:UNUSED_PAD src0_sel:WORD_1
	v_cvt_f32_f16_e32 v12, v3
	;; [unrolled: 2-line block ×3, first 2 shown]
	;;#ASMSTART
	v_pk_mul_f32 v[10:11], v[8:9], v[10:11]
	;;#ASMEND
	;;#ASMSTART
	v_pk_mul_f32 v[16:17], v[16:17], v[12:13]
	;;#ASMEND
	;; [unrolled: 3-line block ×4, first 2 shown]
.LBB141_7:
	s_or_b64 exec, exec, s[10:11]
	s_load_dword s7, s[4:5], 0x80
	s_mov_b64 s[10:11], -1
	s_and_b64 vcc, exec, s[2:3]
	s_cbranch_vccnz .LBB141_11
; %bb.8:
	s_andn2_b64 vcc, exec, s[10:11]
	s_cbranch_vccz .LBB141_14
.LBB141_9:
	s_cmp_lt_i32 s16, 1
	s_cbranch_scc0 .LBB141_21
.LBB141_10:
	s_endpgm
.LBB141_11:
	s_and_saveexec_b64 s[2:3], s[0:1]
	s_cbranch_execz .LBB141_13
; %bb.12:
	s_waitcnt lgkmcnt(0)
	s_mul_hi_i32 s11, s7, s6
	s_mul_i32 s10, s7, s6
	s_waitcnt vmcnt(0)
	v_cvt_f16_f32_e32 v2, v10
	v_cvt_f16_f32_e32 v3, v16
	;; [unrolled: 1-line block ×8, first 2 shown]
	s_lshl_b64 s[10:11], s[10:11], 1
	s_add_u32 s20, s24, s10
	s_addc_u32 s10, s25, s11
	s_and_b32 s21, s10, 0xffff
	s_mov_b32 s23, 0x20000
	v_pack_b32_f16 v5, v5, v6
	v_pack_b32_f16 v4, v4, v7
	;; [unrolled: 1-line block ×4, first 2 shown]
	v_lshlrev_b32_e32 v6, 4, v0
	buffer_store_dwordx4 v[2:5], v6, s[20:23], 0 offen
	;;#ASMSTART
	s_nop 0
	;;#ASMEND
.LBB141_13:
	s_or_b64 exec, exec, s[2:3]
	s_cbranch_execnz .LBB141_9
.LBB141_14:
	s_waitcnt vmcnt(0)
	v_mov_b32_e32 v2, 0
	s_and_saveexec_b64 s[2:3], s[0:1]
	s_cbranch_execz .LBB141_16
; %bb.15:
	v_and_b32_e32 v2, 0x7fffffff, v10
	v_and_b32_e32 v3, 0x7fffffff, v11
	v_mov_b32_e32 v4, 0x2edbe6ff
	;;#ASMSTART
	v_max3_f32 v2, v4, v2, v3

	;;#ASMEND
	v_and_b32_e32 v3, 0x7fffffff, v16
	v_and_b32_e32 v4, 0x7fffffff, v17
	;;#ASMSTART
	v_max3_f32 v2, v2, v3, v4

	;;#ASMEND
	v_and_b32_e32 v3, 0x7fffffff, v14
	v_and_b32_e32 v4, 0x7fffffff, v15
	;; [unrolled: 6-line block ×3, first 2 shown]
	;;#ASMSTART
	v_max3_f32 v2, v2, v3, v4

	;;#ASMEND
.LBB141_16:
	s_or_b64 exec, exec, s[2:3]
	s_load_dwordx4 s[20:23], s[4:5], 0x70
	;;#ASMSTART
	v_max_f32 v3, v2, v2 quad_perm:[1,0,3,2] row_mask:0xf bank_mask:0xf bound_ctrl:1
	;;#ASMEND
	;;#ASMSTART
	v_max_f32 v2, v3, v3 quad_perm:[2,3,0,1] row_mask:0xf bank_mask:0xf bound_ctrl:1
	;;#ASMEND
	;;#ASMSTART
	v_max_f32 v3, v2, v2 row_half_mirror row_mask:0xf bank_mask:0xf bound_ctrl:1
	;;#ASMEND
	;;#ASMSTART
	v_max_f32 v2, v3, v3 row_mirror row_mask:0xf bank_mask:0xf bound_ctrl:1
	;;#ASMEND
	v_and_b32_e32 v3, 15, v0
	v_cmp_eq_u32_e32 vcc, 0, v3
	v_cmp_gt_i32_e64 s[2:3], s15, v1
	v_mul_f32_e32 v2, 0x3b124925, v2
	s_and_b64 s[10:11], vcc, s[2:3]
	s_and_saveexec_b64 s[2:3], s[10:11]
	s_cbranch_execz .LBB141_18
; %bb.17:
	s_load_dwordx2 s[10:11], s[4:5], 0x8
	v_lshrrev_b32_e32 v3, 4, v0
	s_waitcnt lgkmcnt(0)
	s_mul_hi_i32 s29, s21, s6
	s_mul_i32 s28, s21, s6
	v_mad_i64_i32 v[4:5], s[22:23], s22, v3, 0
	s_lshl_b64 s[22:23], s[28:29], 2
	s_add_u32 s10, s10, s22
	s_addc_u32 s11, s11, s23
	v_lshlrev_b64 v[4:5], 2, v[4:5]
	v_mov_b32_e32 v3, s11
	v_add_co_u32_e32 v4, vcc, s10, v4
	v_addc_co_u32_e32 v5, vcc, v3, v5, vcc
	global_store_dword v[4:5], v2, off
.LBB141_18:
	s_or_b64 exec, exec, s[2:3]
	;;#ASMSTART
	v_rcp_f32 v2, v2
	;;#ASMEND
	s_and_saveexec_b64 s[10:11], s[0:1]
	s_cbranch_execz .LBB141_20
; %bb.19:
	v_mov_b32_e32 v3, v2
	;;#ASMSTART
	v_pk_mul_f32 v[4:5], v[10:11], v[2:3]
	;;#ASMEND
	s_load_dwordx2 s[0:1], s[4:5], 0x0
	v_mov_b32_e32 v8, 0xc3e00000
	v_mov_b32_e32 v9, 0x43e00000
	s_waitcnt lgkmcnt(0)
	;;#ASMSTART
	v_med3_f32 v4, v4, v8, v9
v_med3_f32 v5, v5, v8, v9
v_cvt_pk_fp8_f32 v6, v4, v5
	;;#ASMEND
	;;#ASMSTART
	v_pk_mul_f32 v[4:5], v[16:17], v[2:3]
	;;#ASMEND
	;;#ASMSTART
	v_med3_f32 v4, v4, v8, v9
v_med3_f32 v5, v5, v8, v9
v_cvt_pk_fp8_f32 v7, v4, v5
	;;#ASMEND
	s_mov_b32 s14, 0x5040100
	v_perm_b32 v5, v7, v6, s14
	s_movk_i32 s14, 0xff
	s_mul_i32 s3, s20, s6
	v_and_b32_e32 v4, 0xffffff00, v7
	v_and_b32_sdwa v6, v5, s14 dst_sel:DWORD dst_unused:UNUSED_PAD src0_sel:WORD_1 src1_sel:DWORD
	s_mul_hi_i32 s2, s20, s6
	s_mov_b32 s12, 0xffff
	s_add_u32 s0, s0, s3
	v_or_b32_sdwa v4, v6, v4 dst_sel:WORD_1 dst_unused:UNUSED_PAD src0_sel:DWORD src1_sel:DWORD
	s_addc_u32 s1, s1, s2
	s_add_i32 s2, s15, 3
	v_and_or_b32 v4, v5, s12, v4
	;;#ASMSTART
	v_pk_mul_f32 v[6:7], v[14:15], v[2:3]
	;;#ASMEND
	v_mov_b32_e32 v5, v7
	s_ashr_i32 s3, s2, 31
	;;#ASMSTART
	v_med3_f32 v6, v6, v8, v9
v_med3_f32 v5, v5, v8, v9
v_cvt_pk_fp8_f32 v7, v6, v5
	;;#ASMEND
	;;#ASMSTART
	v_pk_mul_f32 v[2:3], v[12:13], v[2:3]
	;;#ASMEND
	s_lshr_b32 s3, s3, 30
	;;#ASMSTART
	v_med3_f32 v2, v2, v8, v9
v_med3_f32 v3, v3, v8, v9
v_cvt_pk_fp8_f32 v5, v2, v3
	;;#ASMEND
	s_add_i32 s2, s2, s3
	v_lshlrev_b32_e32 v2, 16, v5
	s_and_b32 s2, s2, -4
	s_and_b32 s1, s1, 0xffff
	s_mov_b32 s3, 0x20000
	v_and_or_b32 v5, v7, s12, v2
	buffer_store_dwordx2 v[4:5], v1, s[0:3], 0 offen
	;;#ASMSTART
	s_nop 0
	;;#ASMEND
.LBB141_20:
	s_or_b64 exec, exec, s[10:11]
	s_cmp_lt_i32 s16, 1
	s_cbranch_scc1 .LBB141_10
.LBB141_21:
	s_load_dword s0, s[4:5], 0x94
	s_waitcnt lgkmcnt(0)
	s_cmp_lg_u32 s0, 1
	s_cbranch_scc1 .LBB141_10
; %bb.22:
	s_lshl_b32 s0, s16, 1
	s_add_i32 s0, s0, 2
	v_cmp_gt_u32_e32 vcc, s16, v1
	s_and_b32 s10, s0, -4
	v_mov_b32_e32 v8, 0
	v_lshlrev_b32_e32 v16, 4, v0
	s_waitcnt vmcnt(0)
	v_mov_b32_e32 v4, 0
	v_mov_b32_e32 v5, 0
	;; [unrolled: 1-line block ×8, first 2 shown]
	s_barrier
	s_and_saveexec_b64 s[0:1], vcc
	s_cbranch_execz .LBB141_24
; %bb.23:
	s_mul_hi_i32 s3, s18, s6
	s_mul_i32 s2, s18, s6
	s_and_b32 s9, s9, 0xffff
	s_lshl_b64 s[2:3], s[2:3], 1
	s_add_u32 s20, s26, s2
	s_mov_b32 s11, 0x20000
	s_addc_u32 s2, s27, s3
	s_and_b32 s21, s2, 0xffff
	s_mov_b32 s22, s10
	s_mov_b32 s23, s11
	buffer_load_dwordx4 v[4:7], v16, s[20:23], 0 offen glc slc
	buffer_load_dwordx4 v[0:3], v16, s[8:11], 0 offen
.LBB141_24:
	s_or_b64 exec, exec, s[0:1]
	v_mov_b32_e32 v9, 0
	v_mov_b32_e32 v14, 0
	;; [unrolled: 1-line block ×7, first 2 shown]
	s_and_saveexec_b64 s[0:1], vcc
	s_cbranch_execz .LBB141_26
; %bb.25:
	s_waitcnt vmcnt(1)
	v_cvt_f32_f16_sdwa v9, v4 dst_sel:DWORD dst_unused:UNUSED_PAD src0_sel:WORD_1
	v_cvt_f32_f16_e32 v8, v4
	v_cvt_f32_f16_sdwa v15, v5 dst_sel:DWORD dst_unused:UNUSED_PAD src0_sel:WORD_1
	v_cvt_f32_f16_e32 v14, v5
	v_cvt_f32_f16_sdwa v13, v6 dst_sel:DWORD dst_unused:UNUSED_PAD src0_sel:WORD_1
	v_cvt_f32_f16_e32 v12, v6
	v_cvt_f32_f16_sdwa v11, v7 dst_sel:DWORD dst_unused:UNUSED_PAD src0_sel:WORD_1
	v_cvt_f32_f16_e32 v10, v7
.LBB141_26:
	s_or_b64 exec, exec, s[0:1]
	s_waitcnt vmcnt(1)
	v_mul_f32_e32 v4, v9, v9
	v_fmac_f32_e32 v4, v8, v8
	v_fmac_f32_e32 v4, v14, v14
	;; [unrolled: 1-line block ×7, first 2 shown]
	s_nop 1
	v_mov_b32_dpp v5, v4 quad_perm:[1,0,3,2] row_mask:0xf bank_mask:0xf
	v_add_f32_e32 v4, v4, v5
	s_nop 1
	v_mov_b32_dpp v5, v4 quad_perm:[2,3,0,1] row_mask:0xf bank_mask:0xf
	v_add_f32_e32 v4, v4, v5
	s_nop 1
	v_mov_b32_dpp v5, v4 row_half_mirror row_mask:0xf bank_mask:0xf
	v_add_f32_e32 v4, v4, v5
	s_nop 1
	v_mov_b32_dpp v5, v4 row_mirror row_mask:0xf bank_mask:0xf
	v_add_f32_e32 v4, v4, v5
	s_nop 1
	v_mov_b32_dpp v5, v4 row_bcast:15 row_mask:0xf bank_mask:0xf
	v_add_f32_e32 v4, v4, v5
	s_nop 1
	v_mov_b32_dpp v5, v4 row_bcast:31 row_mask:0xf bank_mask:0xf
	v_add_f32_e32 v4, v4, v5
	ds_bpermute_b32 v4, v18, v4
	s_and_saveexec_b64 s[0:1], vcc
	s_cbranch_execz .LBB141_10
; %bb.27:
	v_cvt_f32_u32_e32 v5, s16
	s_mov_b32 s11, 0x20000
	s_waitcnt lgkmcnt(0)
	v_div_scale_f32 v6, s[0:1], v5, v5, v4
	v_rcp_f32_e32 v7, v6
	v_div_scale_f32 v17, vcc, v4, v5, v4
	s_mov_b32 s0, 0x800000
	v_fma_f32 v18, -v6, v7, 1.0
	v_fmac_f32_e32 v7, v18, v7
	v_mul_f32_e32 v18, v17, v7
	v_fma_f32 v19, -v6, v18, v17
	v_fmac_f32_e32 v18, v19, v7
	v_fma_f32 v6, -v6, v18, v17
	v_div_fmas_f32 v6, v6, v7, v18
	v_div_fixup_f32 v4, v6, v5, v4
	v_add_f32_e32 v4, s13, v4
	v_mul_f32_e32 v5, 0x4b800000, v4
	v_cmp_gt_f32_e32 vcc, s0, v4
	v_cndmask_b32_e32 v4, v4, v5, vcc
	v_rsq_f32_e32 v4, v4
	s_waitcnt vmcnt(0)
	v_cvt_f32_f16_sdwa v19, v3 dst_sel:DWORD dst_unused:UNUSED_PAD src0_sel:WORD_1
	v_cvt_f32_f16_e32 v18, v3
	s_mul_hi_i32 s1, s7, s6
	v_mul_f32_e32 v5, 0x45800000, v4
	v_cndmask_b32_e32 v4, v4, v5, vcc
	v_mov_b32_e32 v5, v4
	;;#ASMSTART
	v_pk_mul_f32 v[6:7], v[8:9], v[4:5]
	;;#ASMEND
	;;#ASMSTART
	v_pk_mul_f32 v[8:9], v[14:15], v[4:5]
	;;#ASMEND
	;; [unrolled: 3-line block ×4, first 2 shown]
	v_cvt_f32_f16_sdwa v11, v0 dst_sel:DWORD dst_unused:UNUSED_PAD src0_sel:WORD_1
	v_cvt_f32_f16_e32 v10, v0
	v_cvt_f32_f16_sdwa v15, v1 dst_sel:DWORD dst_unused:UNUSED_PAD src0_sel:WORD_1
	v_cvt_f32_f16_e32 v14, v1
	;; [unrolled: 2-line block ×3, first 2 shown]
	;;#ASMSTART
	v_pk_mul_f32 v[2:3], v[6:7], v[10:11]
	;;#ASMEND
	;;#ASMSTART
	v_pk_mul_f32 v[6:7], v[8:9], v[14:15]
	;;#ASMEND
	;; [unrolled: 3-line block ×4, first 2 shown]
	s_mul_i32 s0, s7, s6
	v_cvt_f16_f32_e32 v2, v2
	v_cvt_f16_f32_e32 v3, v3
	v_cvt_f16_f32_e32 v6, v6
	v_cvt_f16_f32_e32 v7, v7
	v_cvt_f16_f32_e32 v8, v0
	v_cvt_f16_f32_e32 v9, v1
	v_cvt_f16_f32_e32 v4, v4
	v_cvt_f16_f32_e32 v5, v5
	s_lshl_b64 s[0:1], s[0:1], 1
	s_add_u32 s8, s24, s0
	s_addc_u32 s0, s25, s1
	s_and_b32 s9, s0, 0xffff
	v_pack_b32_f16 v0, v2, v3
	v_pack_b32_f16 v1, v6, v7
	;; [unrolled: 1-line block ×4, first 2 shown]
	buffer_store_dwordx4 v[0:3], v16, s[8:11], 0 offen
	;;#ASMSTART
	s_nop 0
	;;#ASMEND
	s_endpgm
	.section	.rodata,"a",@progbits
	.p2align	6, 0x0
	.amdhsa_kernel _ZN5aiter35fused_qk_rmsnorm_group_quant_kernelIDF16_DB8_Li64ELi8ELi16ELb0ELb0ELb0ELb0ELb0ELb0EEEvPT0_PvPT_S6_S6_PKS5_S8_S8_S8_S8_ffiiiiiiiiiiiii
		.amdhsa_group_segment_fixed_size 0
		.amdhsa_private_segment_fixed_size 0
		.amdhsa_kernarg_size 400
		.amdhsa_user_sgpr_count 6
		.amdhsa_user_sgpr_private_segment_buffer 1
		.amdhsa_user_sgpr_dispatch_ptr 0
		.amdhsa_user_sgpr_queue_ptr 0
		.amdhsa_user_sgpr_kernarg_segment_ptr 1
		.amdhsa_user_sgpr_dispatch_id 0
		.amdhsa_user_sgpr_flat_scratch_init 0
		.amdhsa_user_sgpr_kernarg_preload_length 0
		.amdhsa_user_sgpr_kernarg_preload_offset 0
		.amdhsa_user_sgpr_private_segment_size 0
		.amdhsa_uses_dynamic_stack 0
		.amdhsa_system_sgpr_private_segment_wavefront_offset 0
		.amdhsa_system_sgpr_workgroup_id_x 1
		.amdhsa_system_sgpr_workgroup_id_y 1
		.amdhsa_system_sgpr_workgroup_id_z 0
		.amdhsa_system_sgpr_workgroup_info 0
		.amdhsa_system_vgpr_workitem_id 0
		.amdhsa_next_free_vgpr 23
		.amdhsa_next_free_sgpr 32
		.amdhsa_accum_offset 24
		.amdhsa_reserve_vcc 1
		.amdhsa_reserve_flat_scratch 0
		.amdhsa_float_round_mode_32 0
		.amdhsa_float_round_mode_16_64 0
		.amdhsa_float_denorm_mode_32 3
		.amdhsa_float_denorm_mode_16_64 3
		.amdhsa_dx10_clamp 1
		.amdhsa_ieee_mode 1
		.amdhsa_fp16_overflow 0
		.amdhsa_tg_split 0
		.amdhsa_exception_fp_ieee_invalid_op 0
		.amdhsa_exception_fp_denorm_src 0
		.amdhsa_exception_fp_ieee_div_zero 0
		.amdhsa_exception_fp_ieee_overflow 0
		.amdhsa_exception_fp_ieee_underflow 0
		.amdhsa_exception_fp_ieee_inexact 0
		.amdhsa_exception_int_div_zero 0
	.end_amdhsa_kernel
	.section	.text._ZN5aiter35fused_qk_rmsnorm_group_quant_kernelIDF16_DB8_Li64ELi8ELi16ELb0ELb0ELb0ELb0ELb0ELb0EEEvPT0_PvPT_S6_S6_PKS5_S8_S8_S8_S8_ffiiiiiiiiiiiii,"axG",@progbits,_ZN5aiter35fused_qk_rmsnorm_group_quant_kernelIDF16_DB8_Li64ELi8ELi16ELb0ELb0ELb0ELb0ELb0ELb0EEEvPT0_PvPT_S6_S6_PKS5_S8_S8_S8_S8_ffiiiiiiiiiiiii,comdat
.Lfunc_end141:
	.size	_ZN5aiter35fused_qk_rmsnorm_group_quant_kernelIDF16_DB8_Li64ELi8ELi16ELb0ELb0ELb0ELb0ELb0ELb0EEEvPT0_PvPT_S6_S6_PKS5_S8_S8_S8_S8_ffiiiiiiiiiiiii, .Lfunc_end141-_ZN5aiter35fused_qk_rmsnorm_group_quant_kernelIDF16_DB8_Li64ELi8ELi16ELb0ELb0ELb0ELb0ELb0ELb0EEEvPT0_PvPT_S6_S6_PKS5_S8_S8_S8_S8_ffiiiiiiiiiiiii
                                        ; -- End function
	.section	.AMDGPU.csdata,"",@progbits
; Kernel info:
; codeLenInByte = 2364
; NumSgprs: 36
; NumVgprs: 23
; NumAgprs: 0
; TotalNumVgprs: 23
; ScratchSize: 0
; MemoryBound: 0
; FloatMode: 240
; IeeeMode: 1
; LDSByteSize: 0 bytes/workgroup (compile time only)
; SGPRBlocks: 4
; VGPRBlocks: 2
; NumSGPRsForWavesPerEU: 36
; NumVGPRsForWavesPerEU: 23
; AccumOffset: 24
; Occupancy: 8
; WaveLimiterHint : 0
; COMPUTE_PGM_RSRC2:SCRATCH_EN: 0
; COMPUTE_PGM_RSRC2:USER_SGPR: 6
; COMPUTE_PGM_RSRC2:TRAP_HANDLER: 0
; COMPUTE_PGM_RSRC2:TGID_X_EN: 1
; COMPUTE_PGM_RSRC2:TGID_Y_EN: 1
; COMPUTE_PGM_RSRC2:TGID_Z_EN: 0
; COMPUTE_PGM_RSRC2:TIDIG_COMP_CNT: 0
; COMPUTE_PGM_RSRC3_GFX90A:ACCUM_OFFSET: 5
; COMPUTE_PGM_RSRC3_GFX90A:TG_SPLIT: 0
	.section	.text._ZN5aiter35fused_qk_rmsnorm_group_quant_kernelItDB8_Li64ELi8ELi16ELb0ELb0ELb0ELb0ELb0ELb0EEEvPT0_PvPT_S6_S6_PKS5_S8_S8_S8_S8_ffiiiiiiiiiiiii,"axG",@progbits,_ZN5aiter35fused_qk_rmsnorm_group_quant_kernelItDB8_Li64ELi8ELi16ELb0ELb0ELb0ELb0ELb0ELb0EEEvPT0_PvPT_S6_S6_PKS5_S8_S8_S8_S8_ffiiiiiiiiiiiii,comdat
	.protected	_ZN5aiter35fused_qk_rmsnorm_group_quant_kernelItDB8_Li64ELi8ELi16ELb0ELb0ELb0ELb0ELb0ELb0EEEvPT0_PvPT_S6_S6_PKS5_S8_S8_S8_S8_ffiiiiiiiiiiiii ; -- Begin function _ZN5aiter35fused_qk_rmsnorm_group_quant_kernelItDB8_Li64ELi8ELi16ELb0ELb0ELb0ELb0ELb0ELb0EEEvPT0_PvPT_S6_S6_PKS5_S8_S8_S8_S8_ffiiiiiiiiiiiii
	.globl	_ZN5aiter35fused_qk_rmsnorm_group_quant_kernelItDB8_Li64ELi8ELi16ELb0ELb0ELb0ELb0ELb0ELb0EEEvPT0_PvPT_S6_S6_PKS5_S8_S8_S8_S8_ffiiiiiiiiiiiii
	.p2align	8
	.type	_ZN5aiter35fused_qk_rmsnorm_group_quant_kernelItDB8_Li64ELi8ELi16ELb0ELb0ELb0ELb0ELb0ELb0EEEvPT0_PvPT_S6_S6_PKS5_S8_S8_S8_S8_ffiiiiiiiiiiiii,@function
_ZN5aiter35fused_qk_rmsnorm_group_quant_kernelItDB8_Li64ELi8ELi16ELb0ELb0ELb0ELb0ELb0ELb0EEEvPT0_PvPT_S6_S6_PKS5_S8_S8_S8_S8_ffiiiiiiiiiiiii: ; @_ZN5aiter35fused_qk_rmsnorm_group_quant_kernelItDB8_Li64ELi8ELi16ELb0ELb0ELb0ELb0ELb0ELb0EEEvPT0_PvPT_S6_S6_PKS5_S8_S8_S8_S8_ffiiiiiiiiiiiii
; %bb.0:
	s_load_dwordx4 s[12:15], s[4:5], 0x50
	s_waitcnt lgkmcnt(0)
	s_cmp_ge_i32 s6, s14
	s_cbranch_scc1 .LBB142_8
; %bb.1:
	s_load_dwordx2 s[8:9], s[4:5], 0x48
	s_load_dwordx2 s[26:27], s[4:5], 0x30
	s_load_dwordx4 s[16:19], s[4:5], 0x60
	s_cmp_lg_u32 s7, 0
	s_cselect_b64 s[2:3], -1, 0
	s_cmp_eq_u32 s7, 0
	s_cselect_b64 vcc, -1, 0
	s_and_b64 s[0:1], vcc, exec
	s_waitcnt lgkmcnt(0)
	s_cselect_b32 s7, s15, s16
	s_add_i32 s0, s7, 1
	s_lshr_b32 s1, s0, 31
	s_add_i32 s0, s0, s1
	s_lshl_b32 s0, s0, 1
	v_lshlrev_b32_e32 v1, 3, v0
	s_and_b32 s22, s0, -4
	v_cmp_gt_i32_e64 s[0:1], s7, v1
	v_mov_b32_e32 v2, 0
	v_mov_b32_e32 v3, 0
	v_mov_b32_e32 v4, 0
	v_mov_b32_e32 v5, 0
	v_mov_b32_e32 v6, 0
	v_mov_b32_e32 v7, 0
	v_mov_b32_e32 v8, 0
	v_mov_b32_e32 v9, 0
	s_and_saveexec_b64 s[10:11], s[0:1]
	s_cbranch_execz .LBB142_3
; %bb.2:
	s_load_dwordx2 s[20:21], s[4:5], 0x28
	s_load_dwordx2 s[24:25], s[4:5], 0x40
	s_and_b64 s[28:29], vcc, exec
	s_cselect_b32 s14, s17, s18
	s_mov_b32 s23, 0x20000
	s_waitcnt lgkmcnt(0)
	s_cselect_b32 s17, s21, s27
	s_cselect_b32 s19, s20, s26
	s_mul_hi_i32 s21, s14, s6
	s_mul_i32 s20, s14, s6
	s_lshl_b64 s[20:21], s[20:21], 1
	s_add_u32 s28, s19, s20
	s_addc_u32 s14, s17, s21
	s_and_b64 s[20:21], vcc, exec
	s_cselect_b32 s20, s24, s8
	s_cselect_b32 s17, s25, s9
	v_lshlrev_b32_e32 v10, 4, v0
	s_and_b32 s29, s14, 0xffff
	s_mov_b32 s30, s22
	s_mov_b32 s31, s23
	s_and_b32 s21, s17, 0xffff
	buffer_load_dwordx4 v[6:9], v10, s[28:31], 0 offen glc slc
	buffer_load_dwordx4 v[2:5], v10, s[20:23], 0 offen
.LBB142_3:
	s_or_b64 exec, exec, s[10:11]
	s_waitcnt vmcnt(1)
	v_cvt_f32_u32_sdwa v13, v6 dst_sel:DWORD dst_unused:UNUSED_PAD src0_sel:WORD_1
	v_cvt_f32_u32_sdwa v12, v6 dst_sel:DWORD dst_unused:UNUSED_PAD src0_sel:WORD_0
	v_cvt_f32_u32_sdwa v6, v9 dst_sel:DWORD dst_unused:UNUSED_PAD src0_sel:WORD_1
	v_cvt_f32_u32_sdwa v9, v9 dst_sel:DWORD dst_unused:UNUSED_PAD src0_sel:WORD_0
	;; [unrolled: 2-line block ×4, first 2 shown]
	v_cndmask_b32_e64 v13, 0, v13, s[0:1]
	v_cndmask_b32_e64 v7, 0, v6, s[0:1]
	;; [unrolled: 1-line block ×5, first 2 shown]
	v_mul_f32_e32 v14, v13, v13
	v_cndmask_b32_e64 v10, 0, v10, s[0:1]
	v_fmac_f32_e32 v14, v12, v12
	v_cndmask_b32_e64 v11, 0, v11, s[0:1]
	v_fmac_f32_e32 v14, v10, v10
	;; [unrolled: 2-line block ×3, first 2 shown]
	v_fmac_f32_e32 v14, v8, v8
	v_fmac_f32_e32 v14, v9, v9
	;; [unrolled: 1-line block ×4, first 2 shown]
	v_bfrev_b32_e32 v16, 0.5
	s_load_dwordx2 s[24:25], s[4:5], 0x18
	v_mov_b32_dpp v15, v14 quad_perm:[1,0,3,2] row_mask:0xf bank_mask:0xf
	v_add_f32_e32 v14, v14, v15
	s_nop 1
	v_mov_b32_dpp v15, v14 quad_perm:[2,3,0,1] row_mask:0xf bank_mask:0xf
	v_add_f32_e32 v14, v14, v15
	s_nop 1
	v_mov_b32_dpp v15, v14 row_half_mirror row_mask:0xf bank_mask:0xf
	v_add_f32_e32 v14, v14, v15
	s_nop 1
	v_mov_b32_dpp v15, v14 row_mirror row_mask:0xf bank_mask:0xf
	v_add_f32_e32 v14, v14, v15
	s_nop 1
	v_mov_b32_dpp v15, v14 row_bcast:15 row_mask:0xf bank_mask:0xf
	v_add_f32_e32 v14, v14, v15
	s_nop 1
	v_mov_b32_dpp v15, v14 row_bcast:31 row_mask:0xf bank_mask:0xf
	v_add_f32_e32 v15, v14, v15
	v_mbcnt_lo_u32_b32 v14, -1, 0
	v_mbcnt_hi_u32_b32 v14, -1, v14
	v_lshl_or_b32 v14, v14, 2, v16
	ds_bpermute_b32 v15, v14, v15
	s_and_saveexec_b64 s[10:11], s[0:1]
	s_cbranch_execz .LBB142_5
; %bb.4:
	v_cvt_f32_u32_e32 v16, s7
	v_mov_b32_e32 v17, s13
	v_mov_b32_e32 v18, s12
	v_cndmask_b32_e32 v17, v17, v18, vcc
	s_waitcnt lgkmcnt(0)
	v_div_scale_f32 v19, s[20:21], v16, v16, v15
	v_rcp_f32_e32 v20, v19
	v_div_scale_f32 v18, vcc, v15, v16, v15
	s_mov_b32 s7, 0x800000
	v_fma_f32 v21, -v19, v20, 1.0
	v_fmac_f32_e32 v20, v21, v20
	v_mul_f32_e32 v21, v18, v20
	v_fma_f32 v22, -v19, v21, v18
	v_fmac_f32_e32 v21, v22, v20
	v_fma_f32 v18, -v19, v21, v18
	v_div_fmas_f32 v18, v18, v20, v21
	v_div_fixup_f32 v15, v18, v16, v15
	v_add_f32_e32 v15, v17, v15
	v_mul_f32_e32 v16, 0x4b800000, v15
	v_cmp_gt_f32_e32 vcc, s7, v15
	v_cndmask_b32_e32 v15, v15, v16, vcc
	v_rsq_f32_e32 v15, v15
	s_waitcnt vmcnt(0)
	v_cvt_f32_u32_sdwa v19, v3 dst_sel:DWORD dst_unused:UNUSED_PAD src0_sel:WORD_1
	v_cvt_f32_u32_sdwa v18, v3 dst_sel:DWORD dst_unused:UNUSED_PAD src0_sel:WORD_0
	v_cvt_f32_u32_sdwa v3, v4 dst_sel:DWORD dst_unused:UNUSED_PAD src0_sel:WORD_1
	v_mul_f32_e32 v16, 0x45800000, v15
	v_cndmask_b32_e32 v16, v15, v16, vcc
	v_mov_b32_e32 v17, v16
	;;#ASMSTART
	v_pk_mul_f32 v[12:13], v[12:13], v[16:17]
	;;#ASMEND
	;;#ASMSTART
	v_pk_mul_f32 v[10:11], v[10:11], v[16:17]
	;;#ASMEND
	;; [unrolled: 3-line block ×4, first 2 shown]
	v_cvt_f32_u32_sdwa v17, v2 dst_sel:DWORD dst_unused:UNUSED_PAD src0_sel:WORD_1
	v_cvt_f32_u32_sdwa v16, v2 dst_sel:DWORD dst_unused:UNUSED_PAD src0_sel:WORD_0
	v_cvt_f32_u32_sdwa v2, v4 dst_sel:DWORD dst_unused:UNUSED_PAD src0_sel:WORD_0
	v_cvt_f32_u32_sdwa v21, v5 dst_sel:DWORD dst_unused:UNUSED_PAD src0_sel:WORD_1
	v_cvt_f32_u32_sdwa v20, v5 dst_sel:DWORD dst_unused:UNUSED_PAD src0_sel:WORD_0
	;;#ASMSTART
	v_pk_mul_f32 v[12:13], v[12:13], v[16:17]
	;;#ASMEND
	;;#ASMSTART
	v_pk_mul_f32 v[10:11], v[10:11], v[18:19]
	;;#ASMEND
	;; [unrolled: 3-line block ×4, first 2 shown]
.LBB142_5:
	s_or_b64 exec, exec, s[10:11]
	s_load_dword s7, s[4:5], 0x80
	s_mov_b64 s[10:11], -1
	s_and_b64 vcc, exec, s[2:3]
	s_cbranch_vccnz .LBB142_9
; %bb.6:
	s_andn2_b64 vcc, exec, s[10:11]
	s_cbranch_vccz .LBB142_12
.LBB142_7:
	s_cmp_lt_i32 s16, 1
	s_cbranch_scc0 .LBB142_19
.LBB142_8:
	s_endpgm
.LBB142_9:
	s_and_saveexec_b64 s[2:3], s[0:1]
	s_cbranch_execz .LBB142_11
; %bb.10:
	s_waitcnt lgkmcnt(0)
	s_mul_hi_i32 s11, s7, s6
	s_mul_i32 s10, s7, s6
	s_lshl_b64 s[10:11], s[10:11], 1
	s_add_u32 s20, s24, s10
	s_addc_u32 s10, s25, s11
	s_and_b32 s21, s10, 0xffff
	s_mov_b32 s10, 0x7060302
	s_mov_b32 s23, 0x20000
	s_waitcnt vmcnt(0)
	v_perm_b32 v2, v13, v12, s10
	v_perm_b32 v3, v11, v10, s10
	;; [unrolled: 1-line block ×4, first 2 shown]
	v_lshlrev_b32_e32 v15, 4, v0
	buffer_store_dwordx4 v[2:5], v15, s[20:23], 0 offen
	;;#ASMSTART
	s_nop 0
	;;#ASMEND
.LBB142_11:
	s_or_b64 exec, exec, s[2:3]
	s_cbranch_execnz .LBB142_7
.LBB142_12:
	s_waitcnt vmcnt(0)
	v_mov_b32_e32 v2, 0
	s_and_saveexec_b64 s[2:3], s[0:1]
	s_cbranch_execz .LBB142_14
; %bb.13:
	v_and_b32_e32 v2, 0x7fffffff, v12
	v_and_b32_e32 v3, 0x7fffffff, v13
	v_mov_b32_e32 v4, 0x2edbe6ff
	;;#ASMSTART
	v_max3_f32 v2, v4, v2, v3

	;;#ASMEND
	v_and_b32_e32 v3, 0x7fffffff, v10
	v_and_b32_e32 v4, 0x7fffffff, v11
	;;#ASMSTART
	v_max3_f32 v2, v2, v3, v4

	;;#ASMEND
	v_and_b32_e32 v3, 0x7fffffff, v8
	v_and_b32_e32 v4, 0x7fffffff, v9
	;;#ASMSTART
	v_max3_f32 v2, v2, v3, v4

	;;#ASMEND
	v_and_b32_e32 v3, 0x7fffffff, v6
	v_and_b32_e32 v4, 0x7fffffff, v7
	;;#ASMSTART
	v_max3_f32 v2, v2, v3, v4

	;;#ASMEND
.LBB142_14:
	s_or_b64 exec, exec, s[2:3]
	s_load_dwordx4 s[20:23], s[4:5], 0x70
	;;#ASMSTART
	v_max_f32 v3, v2, v2 quad_perm:[1,0,3,2] row_mask:0xf bank_mask:0xf bound_ctrl:1
	;;#ASMEND
	;;#ASMSTART
	v_max_f32 v2, v3, v3 quad_perm:[2,3,0,1] row_mask:0xf bank_mask:0xf bound_ctrl:1
	;;#ASMEND
	;;#ASMSTART
	v_max_f32 v3, v2, v2 row_half_mirror row_mask:0xf bank_mask:0xf bound_ctrl:1
	;;#ASMEND
	;;#ASMSTART
	v_max_f32 v2, v3, v3 row_mirror row_mask:0xf bank_mask:0xf bound_ctrl:1
	;;#ASMEND
	v_and_b32_e32 v3, 15, v0
	v_cmp_eq_u32_e32 vcc, 0, v3
	v_cmp_gt_i32_e64 s[2:3], s15, v1
	v_mul_f32_e32 v2, 0x3b124925, v2
	s_and_b64 s[10:11], vcc, s[2:3]
	s_and_saveexec_b64 s[2:3], s[10:11]
	s_cbranch_execz .LBB142_16
; %bb.15:
	s_load_dwordx2 s[10:11], s[4:5], 0x8
	v_lshrrev_b32_e32 v3, 4, v0
	s_waitcnt lgkmcnt(0)
	s_mul_hi_i32 s29, s21, s6
	s_mul_i32 s28, s21, s6
	v_mad_i64_i32 v[4:5], s[22:23], s22, v3, 0
	s_lshl_b64 s[22:23], s[28:29], 2
	s_add_u32 s10, s10, s22
	s_addc_u32 s11, s11, s23
	v_lshlrev_b64 v[4:5], 2, v[4:5]
	v_mov_b32_e32 v3, s11
	v_add_co_u32_e32 v4, vcc, s10, v4
	v_addc_co_u32_e32 v5, vcc, v3, v5, vcc
	global_store_dword v[4:5], v2, off
.LBB142_16:
	s_or_b64 exec, exec, s[2:3]
	;;#ASMSTART
	v_rcp_f32 v2, v2
	;;#ASMEND
	s_and_saveexec_b64 s[10:11], s[0:1]
	s_cbranch_execz .LBB142_18
; %bb.17:
	v_mov_b32_e32 v3, v2
	;;#ASMSTART
	v_pk_mul_f32 v[4:5], v[12:13], v[2:3]
	;;#ASMEND
	s_load_dwordx2 s[0:1], s[4:5], 0x0
	v_mov_b32_e32 v12, 0xc3e00000
	v_mov_b32_e32 v13, 0x43e00000
	s_waitcnt lgkmcnt(0)
	;;#ASMSTART
	v_med3_f32 v4, v4, v12, v13
v_med3_f32 v5, v5, v12, v13
v_cvt_pk_fp8_f32 v15, v4, v5
	;;#ASMEND
	;;#ASMSTART
	v_pk_mul_f32 v[4:5], v[10:11], v[2:3]
	;;#ASMEND
	;;#ASMSTART
	v_med3_f32 v4, v4, v12, v13
v_med3_f32 v5, v5, v12, v13
v_cvt_pk_fp8_f32 v10, v4, v5
	;;#ASMEND
	s_mov_b32 s14, 0x5040100
	v_perm_b32 v5, v10, v15, s14
	s_movk_i32 s14, 0xff
	s_mul_i32 s3, s20, s6
	v_and_b32_e32 v4, 0xffffff00, v10
	v_and_b32_sdwa v10, v5, s14 dst_sel:DWORD dst_unused:UNUSED_PAD src0_sel:WORD_1 src1_sel:DWORD
	s_mul_hi_i32 s2, s20, s6
	s_mov_b32 s12, 0xffff
	s_add_u32 s0, s0, s3
	v_or_b32_sdwa v4, v10, v4 dst_sel:WORD_1 dst_unused:UNUSED_PAD src0_sel:DWORD src1_sel:DWORD
	s_addc_u32 s1, s1, s2
	s_add_i32 s2, s15, 3
	v_and_or_b32 v4, v5, s12, v4
	;;#ASMSTART
	v_pk_mul_f32 v[8:9], v[8:9], v[2:3]
	;;#ASMEND
	v_mov_b32_e32 v5, v8
	s_ashr_i32 s3, s2, 31
	;;#ASMSTART
	v_med3_f32 v5, v5, v12, v13
v_med3_f32 v9, v9, v12, v13
v_cvt_pk_fp8_f32 v8, v5, v9
	;;#ASMEND
	;;#ASMSTART
	v_pk_mul_f32 v[2:3], v[6:7], v[2:3]
	;;#ASMEND
	s_lshr_b32 s3, s3, 30
	;;#ASMSTART
	v_med3_f32 v2, v2, v12, v13
v_med3_f32 v3, v3, v12, v13
v_cvt_pk_fp8_f32 v5, v2, v3
	;;#ASMEND
	s_add_i32 s2, s2, s3
	v_lshlrev_b32_e32 v2, 16, v5
	s_and_b32 s2, s2, -4
	s_and_b32 s1, s1, 0xffff
	s_mov_b32 s3, 0x20000
	v_and_or_b32 v5, v8, s12, v2
	buffer_store_dwordx2 v[4:5], v1, s[0:3], 0 offen
	;;#ASMSTART
	s_nop 0
	;;#ASMEND
.LBB142_18:
	s_or_b64 exec, exec, s[10:11]
	s_cmp_lt_i32 s16, 1
	s_cbranch_scc1 .LBB142_8
.LBB142_19:
	s_load_dword s0, s[4:5], 0x94
	s_waitcnt lgkmcnt(0)
	s_cmp_lg_u32 s0, 1
	s_cbranch_scc1 .LBB142_8
; %bb.20:
	s_lshl_b32 s0, s16, 1
	s_add_i32 s0, s0, 2
	v_cmp_gt_u32_e32 vcc, s16, v1
	s_and_b32 s10, s0, -4
	s_waitcnt vmcnt(0)
	v_mov_b32_e32 v4, 0
	v_lshlrev_b32_e32 v12, 4, v0
	v_mov_b32_e32 v5, 0
	v_mov_b32_e32 v6, 0
	;; [unrolled: 1-line block ×7, first 2 shown]
	s_barrier
	s_and_saveexec_b64 s[0:1], vcc
	s_cbranch_execz .LBB142_22
; %bb.21:
	s_mul_hi_i32 s3, s18, s6
	s_mul_i32 s2, s18, s6
	s_and_b32 s9, s9, 0xffff
	s_lshl_b64 s[2:3], s[2:3], 1
	s_add_u32 s20, s26, s2
	s_mov_b32 s11, 0x20000
	s_addc_u32 s2, s27, s3
	s_and_b32 s21, s2, 0xffff
	s_mov_b32 s22, s10
	s_mov_b32 s23, s11
	buffer_load_dwordx4 v[4:7], v12, s[20:23], 0 offen glc slc
	buffer_load_dwordx4 v[0:3], v12, s[8:11], 0 offen
.LBB142_22:
	s_or_b64 exec, exec, s[0:1]
	s_waitcnt vmcnt(1)
	v_cvt_f32_u32_sdwa v11, v4 dst_sel:DWORD dst_unused:UNUSED_PAD src0_sel:WORD_1
	v_cvt_f32_u32_sdwa v10, v4 dst_sel:DWORD dst_unused:UNUSED_PAD src0_sel:WORD_0
	v_cvt_f32_u32_sdwa v4, v7 dst_sel:DWORD dst_unused:UNUSED_PAD src0_sel:WORD_1
	v_cvt_f32_u32_sdwa v7, v7 dst_sel:DWORD dst_unused:UNUSED_PAD src0_sel:WORD_0
	;; [unrolled: 2-line block ×4, first 2 shown]
	v_cndmask_b32_e32 v11, 0, v11, vcc
	v_cndmask_b32_e32 v5, 0, v4, vcc
	;; [unrolled: 1-line block ×5, first 2 shown]
	v_mul_f32_e32 v13, v11, v11
	v_cndmask_b32_e32 v8, 0, v8, vcc
	v_fmac_f32_e32 v13, v10, v10
	v_cndmask_b32_e32 v9, 0, v9, vcc
	v_fmac_f32_e32 v13, v8, v8
	;; [unrolled: 2-line block ×3, first 2 shown]
	v_fmac_f32_e32 v13, v6, v6
	v_fmac_f32_e32 v13, v7, v7
	;; [unrolled: 1-line block ×4, first 2 shown]
	s_nop 1
	v_mov_b32_dpp v15, v13 quad_perm:[1,0,3,2] row_mask:0xf bank_mask:0xf
	v_add_f32_e32 v13, v13, v15
	s_nop 1
	v_mov_b32_dpp v15, v13 quad_perm:[2,3,0,1] row_mask:0xf bank_mask:0xf
	v_add_f32_e32 v13, v13, v15
	s_nop 1
	v_mov_b32_dpp v15, v13 row_half_mirror row_mask:0xf bank_mask:0xf
	v_add_f32_e32 v13, v13, v15
	s_nop 1
	v_mov_b32_dpp v15, v13 row_mirror row_mask:0xf bank_mask:0xf
	v_add_f32_e32 v13, v13, v15
	s_nop 1
	v_mov_b32_dpp v15, v13 row_bcast:15 row_mask:0xf bank_mask:0xf
	v_add_f32_e32 v13, v13, v15
	s_nop 1
	v_mov_b32_dpp v15, v13 row_bcast:31 row_mask:0xf bank_mask:0xf
	v_add_f32_e32 v13, v13, v15
	ds_bpermute_b32 v13, v14, v13
	s_and_saveexec_b64 s[0:1], vcc
	s_cbranch_execz .LBB142_8
; %bb.23:
	v_cvt_f32_u32_e32 v14, s16
	s_mov_b32 s11, 0x20000
	s_waitcnt lgkmcnt(0)
	v_div_scale_f32 v15, s[0:1], v14, v14, v13
	v_rcp_f32_e32 v16, v15
	v_div_scale_f32 v17, vcc, v13, v14, v13
	s_mov_b32 s0, 0x800000
	v_fma_f32 v18, -v15, v16, 1.0
	v_fmac_f32_e32 v16, v18, v16
	v_mul_f32_e32 v18, v17, v16
	v_fma_f32 v19, -v15, v18, v17
	v_fmac_f32_e32 v18, v19, v16
	v_fma_f32 v15, -v15, v18, v17
	v_div_fmas_f32 v15, v15, v16, v18
	v_div_fixup_f32 v13, v15, v14, v13
	v_add_f32_e32 v13, s13, v13
	v_mul_f32_e32 v14, 0x4b800000, v13
	v_cmp_gt_f32_e32 vcc, s0, v13
	v_cndmask_b32_e32 v13, v13, v14, vcc
	v_rsq_f32_e32 v13, v13
	s_mul_hi_i32 s1, s7, s6
	s_mul_i32 s0, s7, s6
	s_lshl_b64 s[0:1], s[0:1], 1
	v_mul_f32_e32 v14, 0x45800000, v13
	v_cndmask_b32_e32 v14, v13, v14, vcc
	s_add_u32 s8, s24, s0
	v_mov_b32_e32 v15, v14
	s_addc_u32 s0, s25, s1
	;;#ASMSTART
	v_pk_mul_f32 v[10:11], v[10:11], v[14:15]
	;;#ASMEND
	;;#ASMSTART
	v_pk_mul_f32 v[8:9], v[8:9], v[14:15]
	;;#ASMEND
	;; [unrolled: 3-line block ×4, first 2 shown]
	s_waitcnt vmcnt(0)
	v_cvt_f32_u32_sdwa v15, v0 dst_sel:DWORD dst_unused:UNUSED_PAD src0_sel:WORD_1
	v_cvt_f32_u32_sdwa v14, v0 dst_sel:DWORD dst_unused:UNUSED_PAD src0_sel:WORD_0
	v_cvt_f32_u32_sdwa v17, v1 dst_sel:DWORD dst_unused:UNUSED_PAD src0_sel:WORD_1
	v_cvt_f32_u32_sdwa v16, v1 dst_sel:DWORD dst_unused:UNUSED_PAD src0_sel:WORD_0
	;; [unrolled: 2-line block ×4, first 2 shown]
	;;#ASMSTART
	v_pk_mul_f32 v[2:3], v[10:11], v[14:15]
	;;#ASMEND
	s_and_b32 s9, s0, 0xffff
	s_mov_b32 s0, 0x7060302
	;;#ASMSTART
	v_pk_mul_f32 v[8:9], v[8:9], v[16:17]
	;;#ASMEND
	;;#ASMSTART
	v_pk_mul_f32 v[6:7], v[6:7], v[0:1]
	;;#ASMEND
	;; [unrolled: 3-line block ×3, first 2 shown]
	v_perm_b32 v0, v3, v2, s0
	v_perm_b32 v1, v9, v8, s0
	;; [unrolled: 1-line block ×4, first 2 shown]
	buffer_store_dwordx4 v[0:3], v12, s[8:11], 0 offen
	;;#ASMSTART
	s_nop 0
	;;#ASMEND
	s_endpgm
	.section	.rodata,"a",@progbits
	.p2align	6, 0x0
	.amdhsa_kernel _ZN5aiter35fused_qk_rmsnorm_group_quant_kernelItDB8_Li64ELi8ELi16ELb0ELb0ELb0ELb0ELb0ELb0EEEvPT0_PvPT_S6_S6_PKS5_S8_S8_S8_S8_ffiiiiiiiiiiiii
		.amdhsa_group_segment_fixed_size 0
		.amdhsa_private_segment_fixed_size 0
		.amdhsa_kernarg_size 400
		.amdhsa_user_sgpr_count 6
		.amdhsa_user_sgpr_private_segment_buffer 1
		.amdhsa_user_sgpr_dispatch_ptr 0
		.amdhsa_user_sgpr_queue_ptr 0
		.amdhsa_user_sgpr_kernarg_segment_ptr 1
		.amdhsa_user_sgpr_dispatch_id 0
		.amdhsa_user_sgpr_flat_scratch_init 0
		.amdhsa_user_sgpr_kernarg_preload_length 0
		.amdhsa_user_sgpr_kernarg_preload_offset 0
		.amdhsa_user_sgpr_private_segment_size 0
		.amdhsa_uses_dynamic_stack 0
		.amdhsa_system_sgpr_private_segment_wavefront_offset 0
		.amdhsa_system_sgpr_workgroup_id_x 1
		.amdhsa_system_sgpr_workgroup_id_y 1
		.amdhsa_system_sgpr_workgroup_id_z 0
		.amdhsa_system_sgpr_workgroup_info 0
		.amdhsa_system_vgpr_workitem_id 0
		.amdhsa_next_free_vgpr 23
		.amdhsa_next_free_sgpr 32
		.amdhsa_accum_offset 24
		.amdhsa_reserve_vcc 1
		.amdhsa_reserve_flat_scratch 0
		.amdhsa_float_round_mode_32 0
		.amdhsa_float_round_mode_16_64 0
		.amdhsa_float_denorm_mode_32 3
		.amdhsa_float_denorm_mode_16_64 3
		.amdhsa_dx10_clamp 1
		.amdhsa_ieee_mode 1
		.amdhsa_fp16_overflow 0
		.amdhsa_tg_split 0
		.amdhsa_exception_fp_ieee_invalid_op 0
		.amdhsa_exception_fp_denorm_src 0
		.amdhsa_exception_fp_ieee_div_zero 0
		.amdhsa_exception_fp_ieee_overflow 0
		.amdhsa_exception_fp_ieee_underflow 0
		.amdhsa_exception_fp_ieee_inexact 0
		.amdhsa_exception_int_div_zero 0
	.end_amdhsa_kernel
	.section	.text._ZN5aiter35fused_qk_rmsnorm_group_quant_kernelItDB8_Li64ELi8ELi16ELb0ELb0ELb0ELb0ELb0ELb0EEEvPT0_PvPT_S6_S6_PKS5_S8_S8_S8_S8_ffiiiiiiiiiiiii,"axG",@progbits,_ZN5aiter35fused_qk_rmsnorm_group_quant_kernelItDB8_Li64ELi8ELi16ELb0ELb0ELb0ELb0ELb0ELb0EEEvPT0_PvPT_S6_S6_PKS5_S8_S8_S8_S8_ffiiiiiiiiiiiii,comdat
.Lfunc_end142:
	.size	_ZN5aiter35fused_qk_rmsnorm_group_quant_kernelItDB8_Li64ELi8ELi16ELb0ELb0ELb0ELb0ELb0ELb0EEEvPT0_PvPT_S6_S6_PKS5_S8_S8_S8_S8_ffiiiiiiiiiiiii, .Lfunc_end142-_ZN5aiter35fused_qk_rmsnorm_group_quant_kernelItDB8_Li64ELi8ELi16ELb0ELb0ELb0ELb0ELb0ELb0EEEvPT0_PvPT_S6_S6_PKS5_S8_S8_S8_S8_ffiiiiiiiiiiiii
                                        ; -- End function
	.section	.AMDGPU.csdata,"",@progbits
; Kernel info:
; codeLenInByte = 2380
; NumSgprs: 36
; NumVgprs: 23
; NumAgprs: 0
; TotalNumVgprs: 23
; ScratchSize: 0
; MemoryBound: 0
; FloatMode: 240
; IeeeMode: 1
; LDSByteSize: 0 bytes/workgroup (compile time only)
; SGPRBlocks: 4
; VGPRBlocks: 2
; NumSGPRsForWavesPerEU: 36
; NumVGPRsForWavesPerEU: 23
; AccumOffset: 24
; Occupancy: 8
; WaveLimiterHint : 0
; COMPUTE_PGM_RSRC2:SCRATCH_EN: 0
; COMPUTE_PGM_RSRC2:USER_SGPR: 6
; COMPUTE_PGM_RSRC2:TRAP_HANDLER: 0
; COMPUTE_PGM_RSRC2:TGID_X_EN: 1
; COMPUTE_PGM_RSRC2:TGID_Y_EN: 1
; COMPUTE_PGM_RSRC2:TGID_Z_EN: 0
; COMPUTE_PGM_RSRC2:TIDIG_COMP_CNT: 0
; COMPUTE_PGM_RSRC3_GFX90A:ACCUM_OFFSET: 5
; COMPUTE_PGM_RSRC3_GFX90A:TG_SPLIT: 0
	.section	.text._ZN5aiter35fused_qk_rmsnorm_group_quant_kernelIDF16_N4opus5fp4_tELi64ELi8ELi16ELb0ELb0ELb0ELb0ELb0ELb0EEEvPT0_PvPT_S7_S7_PKS6_S9_S9_S9_S9_ffiiiiiiiiiiiii,"axG",@progbits,_ZN5aiter35fused_qk_rmsnorm_group_quant_kernelIDF16_N4opus5fp4_tELi64ELi8ELi16ELb0ELb0ELb0ELb0ELb0ELb0EEEvPT0_PvPT_S7_S7_PKS6_S9_S9_S9_S9_ffiiiiiiiiiiiii,comdat
	.protected	_ZN5aiter35fused_qk_rmsnorm_group_quant_kernelIDF16_N4opus5fp4_tELi64ELi8ELi16ELb0ELb0ELb0ELb0ELb0ELb0EEEvPT0_PvPT_S7_S7_PKS6_S9_S9_S9_S9_ffiiiiiiiiiiiii ; -- Begin function _ZN5aiter35fused_qk_rmsnorm_group_quant_kernelIDF16_N4opus5fp4_tELi64ELi8ELi16ELb0ELb0ELb0ELb0ELb0ELb0EEEvPT0_PvPT_S7_S7_PKS6_S9_S9_S9_S9_ffiiiiiiiiiiiii
	.globl	_ZN5aiter35fused_qk_rmsnorm_group_quant_kernelIDF16_N4opus5fp4_tELi64ELi8ELi16ELb0ELb0ELb0ELb0ELb0ELb0EEEvPT0_PvPT_S7_S7_PKS6_S9_S9_S9_S9_ffiiiiiiiiiiiii
	.p2align	8
	.type	_ZN5aiter35fused_qk_rmsnorm_group_quant_kernelIDF16_N4opus5fp4_tELi64ELi8ELi16ELb0ELb0ELb0ELb0ELb0ELb0EEEvPT0_PvPT_S7_S7_PKS6_S9_S9_S9_S9_ffiiiiiiiiiiiii,@function
_ZN5aiter35fused_qk_rmsnorm_group_quant_kernelIDF16_N4opus5fp4_tELi64ELi8ELi16ELb0ELb0ELb0ELb0ELb0ELb0EEEvPT0_PvPT_S7_S7_PKS6_S9_S9_S9_S9_ffiiiiiiiiiiiii: ; @_ZN5aiter35fused_qk_rmsnorm_group_quant_kernelIDF16_N4opus5fp4_tELi64ELi8ELi16ELb0ELb0ELb0ELb0ELb0ELb0EEEvPT0_PvPT_S7_S7_PKS6_S9_S9_S9_S9_ffiiiiiiiiiiiii
; %bb.0:
	s_load_dwordx4 s[12:15], s[4:5], 0x50
	s_waitcnt lgkmcnt(0)
	s_cmp_ge_i32 s6, s14
	s_cbranch_scc1 .LBB143_10
; %bb.1:
	s_load_dwordx2 s[8:9], s[4:5], 0x48
	s_load_dwordx2 s[26:27], s[4:5], 0x30
	s_load_dwordx4 s[16:19], s[4:5], 0x60
	s_cmp_lg_u32 s7, 0
	s_cselect_b64 s[2:3], -1, 0
	s_cmp_eq_u32 s7, 0
	s_cselect_b64 vcc, -1, 0
	s_and_b64 s[0:1], vcc, exec
	s_waitcnt lgkmcnt(0)
	s_cselect_b32 s7, s15, s16
	s_add_i32 s0, s7, 1
	s_lshr_b32 s1, s0, 31
	s_add_i32 s0, s0, s1
	s_lshl_b32 s0, s0, 1
	v_lshlrev_b32_e32 v1, 3, v0
	s_and_b32 s22, s0, -4
	v_cmp_gt_i32_e64 s[0:1], s7, v1
	v_mov_b32_e32 v10, 0
	v_mov_b32_e32 v2, 0
	;; [unrolled: 1-line block ×9, first 2 shown]
	s_and_saveexec_b64 s[10:11], s[0:1]
	s_cbranch_execz .LBB143_3
; %bb.2:
	s_load_dwordx2 s[20:21], s[4:5], 0x28
	s_load_dwordx2 s[24:25], s[4:5], 0x40
	s_and_b64 s[28:29], vcc, exec
	s_cselect_b32 s14, s17, s18
	s_mov_b32 s23, 0x20000
	s_waitcnt lgkmcnt(0)
	s_cselect_b32 s17, s21, s27
	s_cselect_b32 s19, s20, s26
	s_mul_hi_i32 s21, s14, s6
	s_mul_i32 s20, s14, s6
	s_lshl_b64 s[20:21], s[20:21], 1
	s_add_u32 s28, s19, s20
	s_addc_u32 s14, s17, s21
	s_and_b64 s[20:21], vcc, exec
	s_cselect_b32 s20, s24, s8
	s_cselect_b32 s17, s25, s9
	v_lshlrev_b32_e32 v11, 4, v0
	s_and_b32 s29, s14, 0xffff
	s_mov_b32 s30, s22
	s_mov_b32 s31, s23
	s_and_b32 s21, s17, 0xffff
	buffer_load_dwordx4 v[6:9], v11, s[28:31], 0 offen glc slc
	buffer_load_dwordx4 v[2:5], v11, s[20:23], 0 offen
.LBB143_3:
	s_or_b64 exec, exec, s[10:11]
	v_mov_b32_e32 v11, 0
	v_mov_b32_e32 v16, 0
	;; [unrolled: 1-line block ×7, first 2 shown]
	s_and_saveexec_b64 s[10:11], s[0:1]
	s_cbranch_execz .LBB143_5
; %bb.4:
	s_waitcnt vmcnt(1)
	v_cvt_f32_f16_sdwa v11, v6 dst_sel:DWORD dst_unused:UNUSED_PAD src0_sel:WORD_1
	v_cvt_f32_f16_e32 v10, v6
	v_cvt_f32_f16_sdwa v17, v7 dst_sel:DWORD dst_unused:UNUSED_PAD src0_sel:WORD_1
	v_cvt_f32_f16_e32 v16, v7
	;; [unrolled: 2-line block ×4, first 2 shown]
.LBB143_5:
	s_or_b64 exec, exec, s[10:11]
	s_waitcnt vmcnt(1)
	v_mul_f32_e32 v6, v11, v11
	v_fmac_f32_e32 v6, v10, v10
	v_fmac_f32_e32 v6, v16, v16
	v_fmac_f32_e32 v6, v17, v17
	v_fmac_f32_e32 v6, v12, v12
	v_fmac_f32_e32 v6, v13, v13
	v_fmac_f32_e32 v6, v14, v14
	v_fmac_f32_e32 v6, v15, v15
	v_bfrev_b32_e32 v8, 0.5
	s_load_dwordx2 s[24:25], s[4:5], 0x18
	v_mov_b32_dpp v7, v6 quad_perm:[1,0,3,2] row_mask:0xf bank_mask:0xf
	v_add_f32_e32 v6, v6, v7
	s_nop 1
	v_mov_b32_dpp v7, v6 quad_perm:[2,3,0,1] row_mask:0xf bank_mask:0xf
	v_add_f32_e32 v6, v6, v7
	s_nop 1
	v_mov_b32_dpp v7, v6 row_half_mirror row_mask:0xf bank_mask:0xf
	v_add_f32_e32 v6, v6, v7
	s_nop 1
	v_mov_b32_dpp v7, v6 row_mirror row_mask:0xf bank_mask:0xf
	v_add_f32_e32 v6, v6, v7
	s_nop 1
	v_mov_b32_dpp v7, v6 row_bcast:15 row_mask:0xf bank_mask:0xf
	v_add_f32_e32 v6, v6, v7
	s_nop 1
	v_mov_b32_dpp v7, v6 row_bcast:31 row_mask:0xf bank_mask:0xf
	v_add_f32_e32 v6, v6, v7
	v_mbcnt_lo_u32_b32 v7, -1, 0
	v_mbcnt_hi_u32_b32 v7, -1, v7
	v_lshl_or_b32 v18, v7, 2, v8
	ds_bpermute_b32 v6, v18, v6
	s_and_saveexec_b64 s[10:11], s[0:1]
	s_cbranch_execz .LBB143_7
; %bb.6:
	v_cvt_f32_u32_e32 v7, s7
	v_mov_b32_e32 v8, s13
	v_mov_b32_e32 v9, s12
	v_cndmask_b32_e32 v8, v8, v9, vcc
	s_waitcnt lgkmcnt(0)
	v_div_scale_f32 v19, s[20:21], v7, v7, v6
	v_rcp_f32_e32 v20, v19
	v_div_scale_f32 v9, vcc, v6, v7, v6
	s_mov_b32 s7, 0x800000
	v_fma_f32 v21, -v19, v20, 1.0
	v_fmac_f32_e32 v20, v21, v20
	v_mul_f32_e32 v21, v9, v20
	v_fma_f32 v22, -v19, v21, v9
	v_fmac_f32_e32 v21, v22, v20
	v_fma_f32 v9, -v19, v21, v9
	v_div_fmas_f32 v9, v9, v20, v21
	v_div_fixup_f32 v6, v9, v7, v6
	v_add_f32_e32 v6, v8, v6
	v_mul_f32_e32 v7, 0x4b800000, v6
	v_cmp_gt_f32_e32 vcc, s7, v6
	v_cndmask_b32_e32 v6, v6, v7, vcc
	v_rsq_f32_e32 v6, v6
	s_waitcnt vmcnt(0)
	v_cvt_f32_f16_sdwa v21, v5 dst_sel:DWORD dst_unused:UNUSED_PAD src0_sel:WORD_1
	v_cvt_f32_f16_e32 v20, v5
	v_mul_f32_e32 v7, 0x45800000, v6
	v_cndmask_b32_e32 v6, v6, v7, vcc
	v_mov_b32_e32 v7, v6
	;;#ASMSTART
	v_pk_mul_f32 v[8:9], v[10:11], v[6:7]
	;;#ASMEND
	;;#ASMSTART
	v_pk_mul_f32 v[16:17], v[16:17], v[6:7]
	;;#ASMEND
	;; [unrolled: 3-line block ×4, first 2 shown]
	v_cvt_f32_f16_sdwa v11, v2 dst_sel:DWORD dst_unused:UNUSED_PAD src0_sel:WORD_1
	v_cvt_f32_f16_e32 v10, v2
	v_cvt_f32_f16_sdwa v15, v3 dst_sel:DWORD dst_unused:UNUSED_PAD src0_sel:WORD_1
	v_cvt_f32_f16_e32 v14, v3
	;; [unrolled: 2-line block ×3, first 2 shown]
	;;#ASMSTART
	v_pk_mul_f32 v[10:11], v[8:9], v[10:11]
	;;#ASMEND
	;;#ASMSTART
	v_pk_mul_f32 v[16:17], v[16:17], v[14:15]
	;;#ASMEND
	;;#ASMSTART
	v_pk_mul_f32 v[12:13], v[12:13], v[2:3]
	;;#ASMEND
	;;#ASMSTART
	v_pk_mul_f32 v[14:15], v[6:7], v[20:21]
	;;#ASMEND
.LBB143_7:
	s_or_b64 exec, exec, s[10:11]
	s_load_dword s7, s[4:5], 0x80
	s_mov_b64 s[10:11], -1
	s_and_b64 vcc, exec, s[2:3]
	s_cbranch_vccnz .LBB143_11
; %bb.8:
	s_andn2_b64 vcc, exec, s[10:11]
	s_cbranch_vccz .LBB143_14
.LBB143_9:
	s_cmp_lt_i32 s16, 1
	s_cbranch_scc0 .LBB143_21
.LBB143_10:
	s_endpgm
.LBB143_11:
	s_and_saveexec_b64 s[2:3], s[0:1]
	s_cbranch_execz .LBB143_13
; %bb.12:
	s_waitcnt lgkmcnt(0)
	s_mul_hi_i32 s11, s7, s6
	s_mul_i32 s10, s7, s6
	s_waitcnt vmcnt(0)
	v_cvt_f16_f32_e32 v2, v10
	v_cvt_f16_f32_e32 v3, v16
	;; [unrolled: 1-line block ×8, first 2 shown]
	s_lshl_b64 s[10:11], s[10:11], 1
	s_add_u32 s20, s24, s10
	s_addc_u32 s10, s25, s11
	s_and_b32 s21, s10, 0xffff
	s_mov_b32 s23, 0x20000
	v_pack_b32_f16 v5, v5, v6
	v_pack_b32_f16 v4, v4, v7
	;; [unrolled: 1-line block ×4, first 2 shown]
	v_lshlrev_b32_e32 v6, 4, v0
	buffer_store_dwordx4 v[2:5], v6, s[20:23], 0 offen
	;;#ASMSTART
	s_nop 0
	;;#ASMEND
.LBB143_13:
	s_or_b64 exec, exec, s[2:3]
	s_cbranch_execnz .LBB143_9
.LBB143_14:
	s_waitcnt vmcnt(0)
	v_mov_b32_e32 v2, 0
	s_and_saveexec_b64 s[2:3], s[0:1]
	s_cbranch_execz .LBB143_16
; %bb.15:
	v_and_b32_e32 v2, 0x7fffffff, v10
	v_and_b32_e32 v3, 0x7fffffff, v11
	v_mov_b32_e32 v4, 0x2edbe6ff
	;;#ASMSTART
	v_max3_f32 v2, v4, v2, v3

	;;#ASMEND
	v_and_b32_e32 v3, 0x7fffffff, v16
	v_and_b32_e32 v4, 0x7fffffff, v17
	;;#ASMSTART
	v_max3_f32 v2, v2, v3, v4

	;;#ASMEND
	v_and_b32_e32 v3, 0x7fffffff, v12
	v_and_b32_e32 v4, 0x7fffffff, v13
	;; [unrolled: 6-line block ×3, first 2 shown]
	;;#ASMSTART
	v_max3_f32 v2, v2, v3, v4

	;;#ASMEND
.LBB143_16:
	s_or_b64 exec, exec, s[2:3]
	s_load_dwordx4 s[20:23], s[4:5], 0x70
	;;#ASMSTART
	v_max_f32 v3, v2, v2 quad_perm:[1,0,3,2] row_mask:0xf bank_mask:0xf bound_ctrl:1
	;;#ASMEND
	;;#ASMSTART
	v_max_f32 v2, v3, v3 quad_perm:[2,3,0,1] row_mask:0xf bank_mask:0xf bound_ctrl:1
	;;#ASMEND
	;;#ASMSTART
	v_max_f32 v3, v2, v2 row_half_mirror row_mask:0xf bank_mask:0xf bound_ctrl:1
	;;#ASMEND
	;;#ASMSTART
	v_max_f32 v2, v3, v3 row_mirror row_mask:0xf bank_mask:0xf bound_ctrl:1
	;;#ASMEND
	v_and_b32_e32 v3, 15, v0
	v_cmp_eq_u32_e32 vcc, 0, v3
	v_cmp_gt_i32_e64 s[2:3], s15, v1
	s_and_b64 s[10:11], vcc, s[2:3]
	s_and_saveexec_b64 s[2:3], s[10:11]
	s_cbranch_execz .LBB143_18
; %bb.17:
	s_load_dwordx2 s[10:11], s[4:5], 0x8
	v_mul_f32_e32 v2, 0x3e2aaaab, v2
	v_lshrrev_b32_e32 v3, 23, v2
	v_and_b32_e32 v4, 0x7f800000, v2
	v_and_b32_e32 v2, 0x7fffff, v2
	v_cmp_ne_u32_e32 vcc, 0, v2
	s_waitcnt lgkmcnt(0)
	s_mul_i32 s17, s21, s6
	s_mov_b32 s12, 0x7f800000
	v_addc_co_u32_e32 v2, vcc, 0, v3, vcc
	s_mul_hi_i32 s14, s21, s6
	s_add_u32 s10, s10, s17
	v_cmp_ne_u32_e32 vcc, s12, v4
	s_addc_u32 s11, s11, s14
	v_lshrrev_b32_e32 v5, 4, v0
	v_cndmask_b32_e32 v4, -1, v2, vcc
	v_pk_mov_b32 v[2:3], s[10:11], s[10:11] op_sel:[0,1]
	v_mad_i64_i32 v[2:3], s[10:11], s22, v5, v[2:3]
	global_store_byte v[2:3], v4, off
.LBB143_18:
	s_or_b64 exec, exec, s[2:3]
	s_and_saveexec_b64 s[2:3], s[0:1]
	s_cbranch_execz .LBB143_20
; %bb.19:
	s_load_dwordx2 s[0:1], s[4:5], 0x0
	s_waitcnt lgkmcnt(0)
	s_mul_i32 s11, s20, s6
	s_mul_hi_i32 s10, s20, s6
	v_lshlrev_b32_e32 v2, 2, v0
	s_mov_b32 s23, 0x20000
	s_add_u32 s20, s0, s11
	s_addc_u32 s0, s1, s10
	s_lshr_b32 s1, s15, 31
	s_add_i32 s1, s15, s1
	s_ashr_i32 s1, s1, 1
	s_add_i32 s1, s1, 3
	s_ashr_i32 s10, s1, 31
	s_lshr_b32 s10, s10, 30
	s_add_i32 s1, s1, s10
	s_and_b32 s22, s1, -4
	s_and_b32 s21, s0, 0xffff
	v_mov_b32_e32 v3, 0
	buffer_store_dword v3, v2, s[20:23], 0 offen
	;;#ASMSTART
	s_nop 0
	;;#ASMEND
.LBB143_20:
	s_or_b64 exec, exec, s[2:3]
	s_cmp_lt_i32 s16, 1
	s_cbranch_scc1 .LBB143_10
.LBB143_21:
	s_load_dword s0, s[4:5], 0x94
	s_waitcnt lgkmcnt(0)
	s_cmp_lg_u32 s0, 1
	s_cbranch_scc1 .LBB143_10
; %bb.22:
	s_lshl_b32 s0, s16, 1
	s_add_i32 s0, s0, 2
	v_cmp_gt_u32_e32 vcc, s16, v1
	s_and_b32 s10, s0, -4
	v_mov_b32_e32 v8, 0
	v_lshlrev_b32_e32 v16, 4, v0
	s_waitcnt vmcnt(0)
	v_mov_b32_e32 v4, 0
	v_mov_b32_e32 v5, 0
	;; [unrolled: 1-line block ×8, first 2 shown]
	s_barrier
	s_and_saveexec_b64 s[0:1], vcc
	s_cbranch_execz .LBB143_24
; %bb.23:
	s_mul_hi_i32 s3, s18, s6
	s_mul_i32 s2, s18, s6
	s_and_b32 s9, s9, 0xffff
	s_lshl_b64 s[2:3], s[2:3], 1
	s_add_u32 s20, s26, s2
	s_mov_b32 s11, 0x20000
	s_addc_u32 s2, s27, s3
	s_and_b32 s21, s2, 0xffff
	s_mov_b32 s22, s10
	s_mov_b32 s23, s11
	buffer_load_dwordx4 v[4:7], v16, s[20:23], 0 offen glc slc
	buffer_load_dwordx4 v[0:3], v16, s[8:11], 0 offen
.LBB143_24:
	s_or_b64 exec, exec, s[0:1]
	v_mov_b32_e32 v9, 0
	v_mov_b32_e32 v14, 0
	;; [unrolled: 1-line block ×7, first 2 shown]
	s_and_saveexec_b64 s[0:1], vcc
	s_cbranch_execz .LBB143_26
; %bb.25:
	s_waitcnt vmcnt(1)
	v_cvt_f32_f16_sdwa v9, v4 dst_sel:DWORD dst_unused:UNUSED_PAD src0_sel:WORD_1
	v_cvt_f32_f16_e32 v8, v4
	v_cvt_f32_f16_sdwa v15, v5 dst_sel:DWORD dst_unused:UNUSED_PAD src0_sel:WORD_1
	v_cvt_f32_f16_e32 v14, v5
	;; [unrolled: 2-line block ×4, first 2 shown]
.LBB143_26:
	s_or_b64 exec, exec, s[0:1]
	s_waitcnt vmcnt(1)
	v_mul_f32_e32 v4, v9, v9
	v_fmac_f32_e32 v4, v8, v8
	v_fmac_f32_e32 v4, v14, v14
	;; [unrolled: 1-line block ×7, first 2 shown]
	s_nop 1
	v_mov_b32_dpp v5, v4 quad_perm:[1,0,3,2] row_mask:0xf bank_mask:0xf
	v_add_f32_e32 v4, v4, v5
	s_nop 1
	v_mov_b32_dpp v5, v4 quad_perm:[2,3,0,1] row_mask:0xf bank_mask:0xf
	v_add_f32_e32 v4, v4, v5
	s_nop 1
	v_mov_b32_dpp v5, v4 row_half_mirror row_mask:0xf bank_mask:0xf
	v_add_f32_e32 v4, v4, v5
	s_nop 1
	v_mov_b32_dpp v5, v4 row_mirror row_mask:0xf bank_mask:0xf
	v_add_f32_e32 v4, v4, v5
	s_nop 1
	v_mov_b32_dpp v5, v4 row_bcast:15 row_mask:0xf bank_mask:0xf
	v_add_f32_e32 v4, v4, v5
	s_nop 1
	v_mov_b32_dpp v5, v4 row_bcast:31 row_mask:0xf bank_mask:0xf
	v_add_f32_e32 v4, v4, v5
	ds_bpermute_b32 v4, v18, v4
	s_and_saveexec_b64 s[0:1], vcc
	s_cbranch_execz .LBB143_10
; %bb.27:
	v_cvt_f32_u32_e32 v5, s16
	s_mov_b32 s11, 0x20000
	s_waitcnt lgkmcnt(0)
	v_div_scale_f32 v6, s[0:1], v5, v5, v4
	v_rcp_f32_e32 v7, v6
	v_div_scale_f32 v17, vcc, v4, v5, v4
	s_mov_b32 s0, 0x800000
	v_fma_f32 v18, -v6, v7, 1.0
	v_fmac_f32_e32 v7, v18, v7
	v_mul_f32_e32 v18, v17, v7
	v_fma_f32 v19, -v6, v18, v17
	v_fmac_f32_e32 v18, v19, v7
	v_fma_f32 v6, -v6, v18, v17
	v_div_fmas_f32 v6, v6, v7, v18
	v_div_fixup_f32 v4, v6, v5, v4
	v_add_f32_e32 v4, s13, v4
	v_mul_f32_e32 v5, 0x4b800000, v4
	v_cmp_gt_f32_e32 vcc, s0, v4
	v_cndmask_b32_e32 v4, v4, v5, vcc
	v_rsq_f32_e32 v4, v4
	s_waitcnt vmcnt(0)
	v_cvt_f32_f16_sdwa v19, v3 dst_sel:DWORD dst_unused:UNUSED_PAD src0_sel:WORD_1
	v_cvt_f32_f16_e32 v18, v3
	s_mul_hi_i32 s1, s7, s6
	v_mul_f32_e32 v5, 0x45800000, v4
	v_cndmask_b32_e32 v4, v4, v5, vcc
	v_mov_b32_e32 v5, v4
	;;#ASMSTART
	v_pk_mul_f32 v[6:7], v[8:9], v[4:5]
	;;#ASMEND
	;;#ASMSTART
	v_pk_mul_f32 v[8:9], v[14:15], v[4:5]
	;;#ASMEND
	;; [unrolled: 3-line block ×4, first 2 shown]
	v_cvt_f32_f16_sdwa v11, v0 dst_sel:DWORD dst_unused:UNUSED_PAD src0_sel:WORD_1
	v_cvt_f32_f16_e32 v10, v0
	v_cvt_f32_f16_sdwa v15, v1 dst_sel:DWORD dst_unused:UNUSED_PAD src0_sel:WORD_1
	v_cvt_f32_f16_e32 v14, v1
	;; [unrolled: 2-line block ×3, first 2 shown]
	;;#ASMSTART
	v_pk_mul_f32 v[2:3], v[6:7], v[10:11]
	;;#ASMEND
	;;#ASMSTART
	v_pk_mul_f32 v[6:7], v[8:9], v[14:15]
	;;#ASMEND
	;; [unrolled: 3-line block ×4, first 2 shown]
	s_mul_i32 s0, s7, s6
	v_cvt_f16_f32_e32 v2, v2
	v_cvt_f16_f32_e32 v3, v3
	;; [unrolled: 1-line block ×8, first 2 shown]
	s_lshl_b64 s[0:1], s[0:1], 1
	s_add_u32 s8, s24, s0
	s_addc_u32 s0, s25, s1
	s_and_b32 s9, s0, 0xffff
	v_pack_b32_f16 v0, v2, v3
	v_pack_b32_f16 v1, v6, v7
	;; [unrolled: 1-line block ×4, first 2 shown]
	buffer_store_dwordx4 v[0:3], v16, s[8:11], 0 offen
	;;#ASMSTART
	s_nop 0
	;;#ASMEND
	s_endpgm
	.section	.rodata,"a",@progbits
	.p2align	6, 0x0
	.amdhsa_kernel _ZN5aiter35fused_qk_rmsnorm_group_quant_kernelIDF16_N4opus5fp4_tELi64ELi8ELi16ELb0ELb0ELb0ELb0ELb0ELb0EEEvPT0_PvPT_S7_S7_PKS6_S9_S9_S9_S9_ffiiiiiiiiiiiii
		.amdhsa_group_segment_fixed_size 0
		.amdhsa_private_segment_fixed_size 0
		.amdhsa_kernarg_size 400
		.amdhsa_user_sgpr_count 6
		.amdhsa_user_sgpr_private_segment_buffer 1
		.amdhsa_user_sgpr_dispatch_ptr 0
		.amdhsa_user_sgpr_queue_ptr 0
		.amdhsa_user_sgpr_kernarg_segment_ptr 1
		.amdhsa_user_sgpr_dispatch_id 0
		.amdhsa_user_sgpr_flat_scratch_init 0
		.amdhsa_user_sgpr_kernarg_preload_length 0
		.amdhsa_user_sgpr_kernarg_preload_offset 0
		.amdhsa_user_sgpr_private_segment_size 0
		.amdhsa_uses_dynamic_stack 0
		.amdhsa_system_sgpr_private_segment_wavefront_offset 0
		.amdhsa_system_sgpr_workgroup_id_x 1
		.amdhsa_system_sgpr_workgroup_id_y 1
		.amdhsa_system_sgpr_workgroup_id_z 0
		.amdhsa_system_sgpr_workgroup_info 0
		.amdhsa_system_vgpr_workitem_id 0
		.amdhsa_next_free_vgpr 23
		.amdhsa_next_free_sgpr 32
		.amdhsa_accum_offset 24
		.amdhsa_reserve_vcc 1
		.amdhsa_reserve_flat_scratch 0
		.amdhsa_float_round_mode_32 0
		.amdhsa_float_round_mode_16_64 0
		.amdhsa_float_denorm_mode_32 3
		.amdhsa_float_denorm_mode_16_64 3
		.amdhsa_dx10_clamp 1
		.amdhsa_ieee_mode 1
		.amdhsa_fp16_overflow 0
		.amdhsa_tg_split 0
		.amdhsa_exception_fp_ieee_invalid_op 0
		.amdhsa_exception_fp_denorm_src 0
		.amdhsa_exception_fp_ieee_div_zero 0
		.amdhsa_exception_fp_ieee_overflow 0
		.amdhsa_exception_fp_ieee_underflow 0
		.amdhsa_exception_fp_ieee_inexact 0
		.amdhsa_exception_int_div_zero 0
	.end_amdhsa_kernel
	.section	.text._ZN5aiter35fused_qk_rmsnorm_group_quant_kernelIDF16_N4opus5fp4_tELi64ELi8ELi16ELb0ELb0ELb0ELb0ELb0ELb0EEEvPT0_PvPT_S7_S7_PKS6_S9_S9_S9_S9_ffiiiiiiiiiiiii,"axG",@progbits,_ZN5aiter35fused_qk_rmsnorm_group_quant_kernelIDF16_N4opus5fp4_tELi64ELi8ELi16ELb0ELb0ELb0ELb0ELb0ELb0EEEvPT0_PvPT_S7_S7_PKS6_S9_S9_S9_S9_ffiiiiiiiiiiiii,comdat
.Lfunc_end143:
	.size	_ZN5aiter35fused_qk_rmsnorm_group_quant_kernelIDF16_N4opus5fp4_tELi64ELi8ELi16ELb0ELb0ELb0ELb0ELb0ELb0EEEvPT0_PvPT_S7_S7_PKS6_S9_S9_S9_S9_ffiiiiiiiiiiiii, .Lfunc_end143-_ZN5aiter35fused_qk_rmsnorm_group_quant_kernelIDF16_N4opus5fp4_tELi64ELi8ELi16ELb0ELb0ELb0ELb0ELb0ELb0EEEvPT0_PvPT_S7_S7_PKS6_S9_S9_S9_S9_ffiiiiiiiiiiiii
                                        ; -- End function
	.section	.AMDGPU.csdata,"",@progbits
; Kernel info:
; codeLenInByte = 2180
; NumSgprs: 36
; NumVgprs: 23
; NumAgprs: 0
; TotalNumVgprs: 23
; ScratchSize: 0
; MemoryBound: 0
; FloatMode: 240
; IeeeMode: 1
; LDSByteSize: 0 bytes/workgroup (compile time only)
; SGPRBlocks: 4
; VGPRBlocks: 2
; NumSGPRsForWavesPerEU: 36
; NumVGPRsForWavesPerEU: 23
; AccumOffset: 24
; Occupancy: 8
; WaveLimiterHint : 0
; COMPUTE_PGM_RSRC2:SCRATCH_EN: 0
; COMPUTE_PGM_RSRC2:USER_SGPR: 6
; COMPUTE_PGM_RSRC2:TRAP_HANDLER: 0
; COMPUTE_PGM_RSRC2:TGID_X_EN: 1
; COMPUTE_PGM_RSRC2:TGID_Y_EN: 1
; COMPUTE_PGM_RSRC2:TGID_Z_EN: 0
; COMPUTE_PGM_RSRC2:TIDIG_COMP_CNT: 0
; COMPUTE_PGM_RSRC3_GFX90A:ACCUM_OFFSET: 5
; COMPUTE_PGM_RSRC3_GFX90A:TG_SPLIT: 0
	.section	.text._ZN5aiter35fused_qk_rmsnorm_group_quant_kernelItN4opus5fp4_tELi64ELi8ELi16ELb0ELb0ELb0ELb0ELb0ELb0EEEvPT0_PvPT_S7_S7_PKS6_S9_S9_S9_S9_ffiiiiiiiiiiiii,"axG",@progbits,_ZN5aiter35fused_qk_rmsnorm_group_quant_kernelItN4opus5fp4_tELi64ELi8ELi16ELb0ELb0ELb0ELb0ELb0ELb0EEEvPT0_PvPT_S7_S7_PKS6_S9_S9_S9_S9_ffiiiiiiiiiiiii,comdat
	.protected	_ZN5aiter35fused_qk_rmsnorm_group_quant_kernelItN4opus5fp4_tELi64ELi8ELi16ELb0ELb0ELb0ELb0ELb0ELb0EEEvPT0_PvPT_S7_S7_PKS6_S9_S9_S9_S9_ffiiiiiiiiiiiii ; -- Begin function _ZN5aiter35fused_qk_rmsnorm_group_quant_kernelItN4opus5fp4_tELi64ELi8ELi16ELb0ELb0ELb0ELb0ELb0ELb0EEEvPT0_PvPT_S7_S7_PKS6_S9_S9_S9_S9_ffiiiiiiiiiiiii
	.globl	_ZN5aiter35fused_qk_rmsnorm_group_quant_kernelItN4opus5fp4_tELi64ELi8ELi16ELb0ELb0ELb0ELb0ELb0ELb0EEEvPT0_PvPT_S7_S7_PKS6_S9_S9_S9_S9_ffiiiiiiiiiiiii
	.p2align	8
	.type	_ZN5aiter35fused_qk_rmsnorm_group_quant_kernelItN4opus5fp4_tELi64ELi8ELi16ELb0ELb0ELb0ELb0ELb0ELb0EEEvPT0_PvPT_S7_S7_PKS6_S9_S9_S9_S9_ffiiiiiiiiiiiii,@function
_ZN5aiter35fused_qk_rmsnorm_group_quant_kernelItN4opus5fp4_tELi64ELi8ELi16ELb0ELb0ELb0ELb0ELb0ELb0EEEvPT0_PvPT_S7_S7_PKS6_S9_S9_S9_S9_ffiiiiiiiiiiiii: ; @_ZN5aiter35fused_qk_rmsnorm_group_quant_kernelItN4opus5fp4_tELi64ELi8ELi16ELb0ELb0ELb0ELb0ELb0ELb0EEEvPT0_PvPT_S7_S7_PKS6_S9_S9_S9_S9_ffiiiiiiiiiiiii
; %bb.0:
	s_load_dwordx4 s[12:15], s[4:5], 0x50
	s_waitcnt lgkmcnt(0)
	s_cmp_ge_i32 s6, s14
	s_cbranch_scc1 .LBB144_8
; %bb.1:
	s_load_dwordx2 s[8:9], s[4:5], 0x48
	s_load_dwordx2 s[26:27], s[4:5], 0x30
	s_load_dwordx4 s[16:19], s[4:5], 0x60
	s_cmp_lg_u32 s7, 0
	s_cselect_b64 s[2:3], -1, 0
	s_cmp_eq_u32 s7, 0
	s_cselect_b64 vcc, -1, 0
	s_and_b64 s[0:1], vcc, exec
	s_waitcnt lgkmcnt(0)
	s_cselect_b32 s7, s15, s16
	s_add_i32 s0, s7, 1
	s_lshr_b32 s1, s0, 31
	s_add_i32 s0, s0, s1
	s_lshl_b32 s0, s0, 1
	v_lshlrev_b32_e32 v1, 3, v0
	s_and_b32 s22, s0, -4
	v_cmp_gt_i32_e64 s[0:1], s7, v1
	v_mov_b32_e32 v2, 0
	v_mov_b32_e32 v3, 0
	;; [unrolled: 1-line block ×8, first 2 shown]
	s_and_saveexec_b64 s[10:11], s[0:1]
	s_cbranch_execz .LBB144_3
; %bb.2:
	s_load_dwordx2 s[20:21], s[4:5], 0x28
	s_load_dwordx2 s[24:25], s[4:5], 0x40
	s_and_b64 s[28:29], vcc, exec
	s_cselect_b32 s14, s17, s18
	s_mov_b32 s23, 0x20000
	s_waitcnt lgkmcnt(0)
	s_cselect_b32 s17, s21, s27
	s_cselect_b32 s19, s20, s26
	s_mul_hi_i32 s21, s14, s6
	s_mul_i32 s20, s14, s6
	s_lshl_b64 s[20:21], s[20:21], 1
	s_add_u32 s28, s19, s20
	s_addc_u32 s14, s17, s21
	s_and_b64 s[20:21], vcc, exec
	s_cselect_b32 s20, s24, s8
	s_cselect_b32 s17, s25, s9
	v_lshlrev_b32_e32 v10, 4, v0
	s_and_b32 s29, s14, 0xffff
	s_mov_b32 s30, s22
	s_mov_b32 s31, s23
	s_and_b32 s21, s17, 0xffff
	buffer_load_dwordx4 v[6:9], v10, s[28:31], 0 offen glc slc
	buffer_load_dwordx4 v[2:5], v10, s[20:23], 0 offen
.LBB144_3:
	s_or_b64 exec, exec, s[10:11]
	s_waitcnt vmcnt(1)
	v_cvt_f32_u32_sdwa v13, v6 dst_sel:DWORD dst_unused:UNUSED_PAD src0_sel:WORD_1
	v_cvt_f32_u32_sdwa v12, v6 dst_sel:DWORD dst_unused:UNUSED_PAD src0_sel:WORD_0
	v_cvt_f32_u32_sdwa v6, v9 dst_sel:DWORD dst_unused:UNUSED_PAD src0_sel:WORD_1
	v_cvt_f32_u32_sdwa v9, v9 dst_sel:DWORD dst_unused:UNUSED_PAD src0_sel:WORD_0
	;; [unrolled: 2-line block ×4, first 2 shown]
	v_cndmask_b32_e64 v13, 0, v13, s[0:1]
	v_cndmask_b32_e64 v7, 0, v6, s[0:1]
	;; [unrolled: 1-line block ×5, first 2 shown]
	v_mul_f32_e32 v14, v13, v13
	v_cndmask_b32_e64 v10, 0, v10, s[0:1]
	v_fmac_f32_e32 v14, v12, v12
	v_cndmask_b32_e64 v11, 0, v11, s[0:1]
	v_fmac_f32_e32 v14, v10, v10
	;; [unrolled: 2-line block ×3, first 2 shown]
	v_fmac_f32_e32 v14, v8, v8
	v_fmac_f32_e32 v14, v9, v9
	;; [unrolled: 1-line block ×4, first 2 shown]
	v_bfrev_b32_e32 v16, 0.5
	s_load_dwordx2 s[24:25], s[4:5], 0x18
	v_mov_b32_dpp v15, v14 quad_perm:[1,0,3,2] row_mask:0xf bank_mask:0xf
	v_add_f32_e32 v14, v14, v15
	s_nop 1
	v_mov_b32_dpp v15, v14 quad_perm:[2,3,0,1] row_mask:0xf bank_mask:0xf
	v_add_f32_e32 v14, v14, v15
	s_nop 1
	v_mov_b32_dpp v15, v14 row_half_mirror row_mask:0xf bank_mask:0xf
	v_add_f32_e32 v14, v14, v15
	s_nop 1
	v_mov_b32_dpp v15, v14 row_mirror row_mask:0xf bank_mask:0xf
	v_add_f32_e32 v14, v14, v15
	s_nop 1
	v_mov_b32_dpp v15, v14 row_bcast:15 row_mask:0xf bank_mask:0xf
	v_add_f32_e32 v14, v14, v15
	s_nop 1
	v_mov_b32_dpp v15, v14 row_bcast:31 row_mask:0xf bank_mask:0xf
	v_add_f32_e32 v15, v14, v15
	v_mbcnt_lo_u32_b32 v14, -1, 0
	v_mbcnt_hi_u32_b32 v14, -1, v14
	v_lshl_or_b32 v14, v14, 2, v16
	ds_bpermute_b32 v15, v14, v15
	s_and_saveexec_b64 s[10:11], s[0:1]
	s_cbranch_execz .LBB144_5
; %bb.4:
	v_cvt_f32_u32_e32 v16, s7
	v_mov_b32_e32 v17, s13
	v_mov_b32_e32 v18, s12
	v_cndmask_b32_e32 v17, v17, v18, vcc
	s_waitcnt lgkmcnt(0)
	v_div_scale_f32 v19, s[20:21], v16, v16, v15
	v_rcp_f32_e32 v20, v19
	v_div_scale_f32 v18, vcc, v15, v16, v15
	s_mov_b32 s7, 0x800000
	v_fma_f32 v21, -v19, v20, 1.0
	v_fmac_f32_e32 v20, v21, v20
	v_mul_f32_e32 v21, v18, v20
	v_fma_f32 v22, -v19, v21, v18
	v_fmac_f32_e32 v21, v22, v20
	v_fma_f32 v18, -v19, v21, v18
	v_div_fmas_f32 v18, v18, v20, v21
	v_div_fixup_f32 v15, v18, v16, v15
	v_add_f32_e32 v15, v17, v15
	v_mul_f32_e32 v16, 0x4b800000, v15
	v_cmp_gt_f32_e32 vcc, s7, v15
	v_cndmask_b32_e32 v15, v15, v16, vcc
	v_rsq_f32_e32 v15, v15
	s_waitcnt vmcnt(0)
	v_cvt_f32_u32_sdwa v19, v3 dst_sel:DWORD dst_unused:UNUSED_PAD src0_sel:WORD_1
	v_cvt_f32_u32_sdwa v18, v3 dst_sel:DWORD dst_unused:UNUSED_PAD src0_sel:WORD_0
	v_cvt_f32_u32_sdwa v3, v4 dst_sel:DWORD dst_unused:UNUSED_PAD src0_sel:WORD_1
	v_mul_f32_e32 v16, 0x45800000, v15
	v_cndmask_b32_e32 v16, v15, v16, vcc
	v_mov_b32_e32 v17, v16
	;;#ASMSTART
	v_pk_mul_f32 v[12:13], v[12:13], v[16:17]
	;;#ASMEND
	;;#ASMSTART
	v_pk_mul_f32 v[10:11], v[10:11], v[16:17]
	;;#ASMEND
	;;#ASMSTART
	v_pk_mul_f32 v[8:9], v[8:9], v[16:17]
	;;#ASMEND
	;;#ASMSTART
	v_pk_mul_f32 v[6:7], v[6:7], v[16:17]
	;;#ASMEND
	v_cvt_f32_u32_sdwa v17, v2 dst_sel:DWORD dst_unused:UNUSED_PAD src0_sel:WORD_1
	v_cvt_f32_u32_sdwa v16, v2 dst_sel:DWORD dst_unused:UNUSED_PAD src0_sel:WORD_0
	v_cvt_f32_u32_sdwa v2, v4 dst_sel:DWORD dst_unused:UNUSED_PAD src0_sel:WORD_0
	v_cvt_f32_u32_sdwa v21, v5 dst_sel:DWORD dst_unused:UNUSED_PAD src0_sel:WORD_1
	v_cvt_f32_u32_sdwa v20, v5 dst_sel:DWORD dst_unused:UNUSED_PAD src0_sel:WORD_0
	;;#ASMSTART
	v_pk_mul_f32 v[12:13], v[12:13], v[16:17]
	;;#ASMEND
	;;#ASMSTART
	v_pk_mul_f32 v[10:11], v[10:11], v[18:19]
	;;#ASMEND
	;; [unrolled: 3-line block ×4, first 2 shown]
.LBB144_5:
	s_or_b64 exec, exec, s[10:11]
	s_load_dword s7, s[4:5], 0x80
	s_mov_b64 s[10:11], -1
	s_and_b64 vcc, exec, s[2:3]
	s_cbranch_vccnz .LBB144_9
; %bb.6:
	s_andn2_b64 vcc, exec, s[10:11]
	s_cbranch_vccz .LBB144_12
.LBB144_7:
	s_cmp_lt_i32 s16, 1
	s_cbranch_scc0 .LBB144_19
.LBB144_8:
	s_endpgm
.LBB144_9:
	s_and_saveexec_b64 s[2:3], s[0:1]
	s_cbranch_execz .LBB144_11
; %bb.10:
	s_waitcnt lgkmcnt(0)
	s_mul_hi_i32 s11, s7, s6
	s_mul_i32 s10, s7, s6
	s_lshl_b64 s[10:11], s[10:11], 1
	s_add_u32 s20, s24, s10
	s_addc_u32 s10, s25, s11
	s_and_b32 s21, s10, 0xffff
	s_mov_b32 s10, 0x7060302
	s_mov_b32 s23, 0x20000
	s_waitcnt vmcnt(0)
	v_perm_b32 v2, v13, v12, s10
	v_perm_b32 v3, v11, v10, s10
	;; [unrolled: 1-line block ×4, first 2 shown]
	v_lshlrev_b32_e32 v15, 4, v0
	buffer_store_dwordx4 v[2:5], v15, s[20:23], 0 offen
	;;#ASMSTART
	s_nop 0
	;;#ASMEND
.LBB144_11:
	s_or_b64 exec, exec, s[2:3]
	s_cbranch_execnz .LBB144_7
.LBB144_12:
	s_waitcnt vmcnt(0)
	v_mov_b32_e32 v2, 0
	s_and_saveexec_b64 s[2:3], s[0:1]
	s_cbranch_execz .LBB144_14
; %bb.13:
	v_and_b32_e32 v2, 0x7fffffff, v12
	v_and_b32_e32 v3, 0x7fffffff, v13
	v_mov_b32_e32 v4, 0x2edbe6ff
	;;#ASMSTART
	v_max3_f32 v2, v4, v2, v3

	;;#ASMEND
	v_and_b32_e32 v3, 0x7fffffff, v10
	v_and_b32_e32 v4, 0x7fffffff, v11
	;;#ASMSTART
	v_max3_f32 v2, v2, v3, v4

	;;#ASMEND
	v_and_b32_e32 v3, 0x7fffffff, v8
	v_and_b32_e32 v4, 0x7fffffff, v9
	;; [unrolled: 6-line block ×3, first 2 shown]
	;;#ASMSTART
	v_max3_f32 v2, v2, v3, v4

	;;#ASMEND
.LBB144_14:
	s_or_b64 exec, exec, s[2:3]
	s_load_dwordx4 s[20:23], s[4:5], 0x70
	;;#ASMSTART
	v_max_f32 v3, v2, v2 quad_perm:[1,0,3,2] row_mask:0xf bank_mask:0xf bound_ctrl:1
	;;#ASMEND
	;;#ASMSTART
	v_max_f32 v2, v3, v3 quad_perm:[2,3,0,1] row_mask:0xf bank_mask:0xf bound_ctrl:1
	;;#ASMEND
	;;#ASMSTART
	v_max_f32 v3, v2, v2 row_half_mirror row_mask:0xf bank_mask:0xf bound_ctrl:1
	;;#ASMEND
	;;#ASMSTART
	v_max_f32 v2, v3, v3 row_mirror row_mask:0xf bank_mask:0xf bound_ctrl:1
	;;#ASMEND
	v_and_b32_e32 v3, 15, v0
	v_cmp_eq_u32_e32 vcc, 0, v3
	v_cmp_gt_i32_e64 s[2:3], s15, v1
	s_and_b64 s[10:11], vcc, s[2:3]
	s_and_saveexec_b64 s[2:3], s[10:11]
	s_cbranch_execz .LBB144_16
; %bb.15:
	s_load_dwordx2 s[10:11], s[4:5], 0x8
	v_mul_f32_e32 v2, 0x3e2aaaab, v2
	v_lshrrev_b32_e32 v3, 23, v2
	v_and_b32_e32 v4, 0x7f800000, v2
	v_and_b32_e32 v2, 0x7fffff, v2
	v_cmp_ne_u32_e32 vcc, 0, v2
	s_waitcnt lgkmcnt(0)
	s_mul_i32 s17, s21, s6
	s_mov_b32 s12, 0x7f800000
	v_addc_co_u32_e32 v2, vcc, 0, v3, vcc
	s_mul_hi_i32 s14, s21, s6
	s_add_u32 s10, s10, s17
	v_cmp_ne_u32_e32 vcc, s12, v4
	s_addc_u32 s11, s11, s14
	v_lshrrev_b32_e32 v5, 4, v0
	v_cndmask_b32_e32 v4, -1, v2, vcc
	v_pk_mov_b32 v[2:3], s[10:11], s[10:11] op_sel:[0,1]
	v_mad_i64_i32 v[2:3], s[10:11], s22, v5, v[2:3]
	global_store_byte v[2:3], v4, off
.LBB144_16:
	s_or_b64 exec, exec, s[2:3]
	s_and_saveexec_b64 s[2:3], s[0:1]
	s_cbranch_execz .LBB144_18
; %bb.17:
	s_load_dwordx2 s[0:1], s[4:5], 0x0
	s_waitcnt lgkmcnt(0)
	s_mul_i32 s11, s20, s6
	s_mul_hi_i32 s10, s20, s6
	v_lshlrev_b32_e32 v2, 2, v0
	s_mov_b32 s23, 0x20000
	s_add_u32 s20, s0, s11
	s_addc_u32 s0, s1, s10
	s_lshr_b32 s1, s15, 31
	s_add_i32 s1, s15, s1
	s_ashr_i32 s1, s1, 1
	s_add_i32 s1, s1, 3
	s_ashr_i32 s10, s1, 31
	s_lshr_b32 s10, s10, 30
	s_add_i32 s1, s1, s10
	s_and_b32 s22, s1, -4
	s_and_b32 s21, s0, 0xffff
	v_mov_b32_e32 v3, 0
	buffer_store_dword v3, v2, s[20:23], 0 offen
	;;#ASMSTART
	s_nop 0
	;;#ASMEND
.LBB144_18:
	s_or_b64 exec, exec, s[2:3]
	s_cmp_lt_i32 s16, 1
	s_cbranch_scc1 .LBB144_8
.LBB144_19:
	s_load_dword s0, s[4:5], 0x94
	s_waitcnt lgkmcnt(0)
	s_cmp_lg_u32 s0, 1
	s_cbranch_scc1 .LBB144_8
; %bb.20:
	s_lshl_b32 s0, s16, 1
	s_add_i32 s0, s0, 2
	v_cmp_gt_u32_e32 vcc, s16, v1
	s_and_b32 s10, s0, -4
	s_waitcnt vmcnt(0)
	v_mov_b32_e32 v4, 0
	v_lshlrev_b32_e32 v12, 4, v0
	v_mov_b32_e32 v5, 0
	v_mov_b32_e32 v6, 0
	v_mov_b32_e32 v7, 0
	v_mov_b32_e32 v0, 0
	v_mov_b32_e32 v1, 0
	v_mov_b32_e32 v2, 0
	v_mov_b32_e32 v3, 0
	s_barrier
	s_and_saveexec_b64 s[0:1], vcc
	s_cbranch_execz .LBB144_22
; %bb.21:
	s_mul_hi_i32 s3, s18, s6
	s_mul_i32 s2, s18, s6
	s_and_b32 s9, s9, 0xffff
	s_lshl_b64 s[2:3], s[2:3], 1
	s_add_u32 s20, s26, s2
	s_mov_b32 s11, 0x20000
	s_addc_u32 s2, s27, s3
	s_and_b32 s21, s2, 0xffff
	s_mov_b32 s22, s10
	s_mov_b32 s23, s11
	buffer_load_dwordx4 v[4:7], v12, s[20:23], 0 offen glc slc
	buffer_load_dwordx4 v[0:3], v12, s[8:11], 0 offen
.LBB144_22:
	s_or_b64 exec, exec, s[0:1]
	s_waitcnt vmcnt(1)
	v_cvt_f32_u32_sdwa v11, v4 dst_sel:DWORD dst_unused:UNUSED_PAD src0_sel:WORD_1
	v_cvt_f32_u32_sdwa v10, v4 dst_sel:DWORD dst_unused:UNUSED_PAD src0_sel:WORD_0
	v_cvt_f32_u32_sdwa v4, v7 dst_sel:DWORD dst_unused:UNUSED_PAD src0_sel:WORD_1
	v_cvt_f32_u32_sdwa v7, v7 dst_sel:DWORD dst_unused:UNUSED_PAD src0_sel:WORD_0
	;; [unrolled: 2-line block ×4, first 2 shown]
	v_cndmask_b32_e32 v11, 0, v11, vcc
	v_cndmask_b32_e32 v5, 0, v4, vcc
	;; [unrolled: 1-line block ×5, first 2 shown]
	v_mul_f32_e32 v13, v11, v11
	v_cndmask_b32_e32 v8, 0, v8, vcc
	v_fmac_f32_e32 v13, v10, v10
	v_cndmask_b32_e32 v9, 0, v9, vcc
	v_fmac_f32_e32 v13, v8, v8
	;; [unrolled: 2-line block ×3, first 2 shown]
	v_fmac_f32_e32 v13, v6, v6
	v_fmac_f32_e32 v13, v7, v7
	;; [unrolled: 1-line block ×4, first 2 shown]
	s_nop 1
	v_mov_b32_dpp v15, v13 quad_perm:[1,0,3,2] row_mask:0xf bank_mask:0xf
	v_add_f32_e32 v13, v13, v15
	s_nop 1
	v_mov_b32_dpp v15, v13 quad_perm:[2,3,0,1] row_mask:0xf bank_mask:0xf
	v_add_f32_e32 v13, v13, v15
	s_nop 1
	v_mov_b32_dpp v15, v13 row_half_mirror row_mask:0xf bank_mask:0xf
	v_add_f32_e32 v13, v13, v15
	s_nop 1
	v_mov_b32_dpp v15, v13 row_mirror row_mask:0xf bank_mask:0xf
	v_add_f32_e32 v13, v13, v15
	s_nop 1
	v_mov_b32_dpp v15, v13 row_bcast:15 row_mask:0xf bank_mask:0xf
	v_add_f32_e32 v13, v13, v15
	s_nop 1
	v_mov_b32_dpp v15, v13 row_bcast:31 row_mask:0xf bank_mask:0xf
	v_add_f32_e32 v13, v13, v15
	ds_bpermute_b32 v13, v14, v13
	s_and_saveexec_b64 s[0:1], vcc
	s_cbranch_execz .LBB144_8
; %bb.23:
	v_cvt_f32_u32_e32 v14, s16
	s_mov_b32 s11, 0x20000
	s_waitcnt lgkmcnt(0)
	v_div_scale_f32 v15, s[0:1], v14, v14, v13
	v_rcp_f32_e32 v16, v15
	v_div_scale_f32 v17, vcc, v13, v14, v13
	s_mov_b32 s0, 0x800000
	v_fma_f32 v18, -v15, v16, 1.0
	v_fmac_f32_e32 v16, v18, v16
	v_mul_f32_e32 v18, v17, v16
	v_fma_f32 v19, -v15, v18, v17
	v_fmac_f32_e32 v18, v19, v16
	v_fma_f32 v15, -v15, v18, v17
	v_div_fmas_f32 v15, v15, v16, v18
	v_div_fixup_f32 v13, v15, v14, v13
	v_add_f32_e32 v13, s13, v13
	v_mul_f32_e32 v14, 0x4b800000, v13
	v_cmp_gt_f32_e32 vcc, s0, v13
	v_cndmask_b32_e32 v13, v13, v14, vcc
	v_rsq_f32_e32 v13, v13
	s_mul_hi_i32 s1, s7, s6
	s_mul_i32 s0, s7, s6
	s_lshl_b64 s[0:1], s[0:1], 1
	v_mul_f32_e32 v14, 0x45800000, v13
	v_cndmask_b32_e32 v14, v13, v14, vcc
	s_add_u32 s8, s24, s0
	v_mov_b32_e32 v15, v14
	s_addc_u32 s0, s25, s1
	;;#ASMSTART
	v_pk_mul_f32 v[10:11], v[10:11], v[14:15]
	;;#ASMEND
	;;#ASMSTART
	v_pk_mul_f32 v[8:9], v[8:9], v[14:15]
	;;#ASMEND
	;; [unrolled: 3-line block ×4, first 2 shown]
	s_waitcnt vmcnt(0)
	v_cvt_f32_u32_sdwa v15, v0 dst_sel:DWORD dst_unused:UNUSED_PAD src0_sel:WORD_1
	v_cvt_f32_u32_sdwa v14, v0 dst_sel:DWORD dst_unused:UNUSED_PAD src0_sel:WORD_0
	v_cvt_f32_u32_sdwa v17, v1 dst_sel:DWORD dst_unused:UNUSED_PAD src0_sel:WORD_1
	v_cvt_f32_u32_sdwa v16, v1 dst_sel:DWORD dst_unused:UNUSED_PAD src0_sel:WORD_0
	;; [unrolled: 2-line block ×4, first 2 shown]
	;;#ASMSTART
	v_pk_mul_f32 v[2:3], v[10:11], v[14:15]
	;;#ASMEND
	s_and_b32 s9, s0, 0xffff
	s_mov_b32 s0, 0x7060302
	;;#ASMSTART
	v_pk_mul_f32 v[8:9], v[8:9], v[16:17]
	;;#ASMEND
	;;#ASMSTART
	v_pk_mul_f32 v[6:7], v[6:7], v[0:1]
	;;#ASMEND
	;; [unrolled: 3-line block ×3, first 2 shown]
	v_perm_b32 v0, v3, v2, s0
	v_perm_b32 v1, v9, v8, s0
	;; [unrolled: 1-line block ×4, first 2 shown]
	buffer_store_dwordx4 v[0:3], v12, s[8:11], 0 offen
	;;#ASMSTART
	s_nop 0
	;;#ASMEND
	s_endpgm
	.section	.rodata,"a",@progbits
	.p2align	6, 0x0
	.amdhsa_kernel _ZN5aiter35fused_qk_rmsnorm_group_quant_kernelItN4opus5fp4_tELi64ELi8ELi16ELb0ELb0ELb0ELb0ELb0ELb0EEEvPT0_PvPT_S7_S7_PKS6_S9_S9_S9_S9_ffiiiiiiiiiiiii
		.amdhsa_group_segment_fixed_size 0
		.amdhsa_private_segment_fixed_size 0
		.amdhsa_kernarg_size 400
		.amdhsa_user_sgpr_count 6
		.amdhsa_user_sgpr_private_segment_buffer 1
		.amdhsa_user_sgpr_dispatch_ptr 0
		.amdhsa_user_sgpr_queue_ptr 0
		.amdhsa_user_sgpr_kernarg_segment_ptr 1
		.amdhsa_user_sgpr_dispatch_id 0
		.amdhsa_user_sgpr_flat_scratch_init 0
		.amdhsa_user_sgpr_kernarg_preload_length 0
		.amdhsa_user_sgpr_kernarg_preload_offset 0
		.amdhsa_user_sgpr_private_segment_size 0
		.amdhsa_uses_dynamic_stack 0
		.amdhsa_system_sgpr_private_segment_wavefront_offset 0
		.amdhsa_system_sgpr_workgroup_id_x 1
		.amdhsa_system_sgpr_workgroup_id_y 1
		.amdhsa_system_sgpr_workgroup_id_z 0
		.amdhsa_system_sgpr_workgroup_info 0
		.amdhsa_system_vgpr_workitem_id 0
		.amdhsa_next_free_vgpr 23
		.amdhsa_next_free_sgpr 32
		.amdhsa_accum_offset 24
		.amdhsa_reserve_vcc 1
		.amdhsa_reserve_flat_scratch 0
		.amdhsa_float_round_mode_32 0
		.amdhsa_float_round_mode_16_64 0
		.amdhsa_float_denorm_mode_32 3
		.amdhsa_float_denorm_mode_16_64 3
		.amdhsa_dx10_clamp 1
		.amdhsa_ieee_mode 1
		.amdhsa_fp16_overflow 0
		.amdhsa_tg_split 0
		.amdhsa_exception_fp_ieee_invalid_op 0
		.amdhsa_exception_fp_denorm_src 0
		.amdhsa_exception_fp_ieee_div_zero 0
		.amdhsa_exception_fp_ieee_overflow 0
		.amdhsa_exception_fp_ieee_underflow 0
		.amdhsa_exception_fp_ieee_inexact 0
		.amdhsa_exception_int_div_zero 0
	.end_amdhsa_kernel
	.section	.text._ZN5aiter35fused_qk_rmsnorm_group_quant_kernelItN4opus5fp4_tELi64ELi8ELi16ELb0ELb0ELb0ELb0ELb0ELb0EEEvPT0_PvPT_S7_S7_PKS6_S9_S9_S9_S9_ffiiiiiiiiiiiii,"axG",@progbits,_ZN5aiter35fused_qk_rmsnorm_group_quant_kernelItN4opus5fp4_tELi64ELi8ELi16ELb0ELb0ELb0ELb0ELb0ELb0EEEvPT0_PvPT_S7_S7_PKS6_S9_S9_S9_S9_ffiiiiiiiiiiiii,comdat
.Lfunc_end144:
	.size	_ZN5aiter35fused_qk_rmsnorm_group_quant_kernelItN4opus5fp4_tELi64ELi8ELi16ELb0ELb0ELb0ELb0ELb0ELb0EEEvPT0_PvPT_S7_S7_PKS6_S9_S9_S9_S9_ffiiiiiiiiiiiii, .Lfunc_end144-_ZN5aiter35fused_qk_rmsnorm_group_quant_kernelItN4opus5fp4_tELi64ELi8ELi16ELb0ELb0ELb0ELb0ELb0ELb0EEEvPT0_PvPT_S7_S7_PKS6_S9_S9_S9_S9_ffiiiiiiiiiiiii
                                        ; -- End function
	.section	.AMDGPU.csdata,"",@progbits
; Kernel info:
; codeLenInByte = 2196
; NumSgprs: 36
; NumVgprs: 23
; NumAgprs: 0
; TotalNumVgprs: 23
; ScratchSize: 0
; MemoryBound: 0
; FloatMode: 240
; IeeeMode: 1
; LDSByteSize: 0 bytes/workgroup (compile time only)
; SGPRBlocks: 4
; VGPRBlocks: 2
; NumSGPRsForWavesPerEU: 36
; NumVGPRsForWavesPerEU: 23
; AccumOffset: 24
; Occupancy: 8
; WaveLimiterHint : 0
; COMPUTE_PGM_RSRC2:SCRATCH_EN: 0
; COMPUTE_PGM_RSRC2:USER_SGPR: 6
; COMPUTE_PGM_RSRC2:TRAP_HANDLER: 0
; COMPUTE_PGM_RSRC2:TGID_X_EN: 1
; COMPUTE_PGM_RSRC2:TGID_Y_EN: 1
; COMPUTE_PGM_RSRC2:TGID_Z_EN: 0
; COMPUTE_PGM_RSRC2:TIDIG_COMP_CNT: 0
; COMPUTE_PGM_RSRC3_GFX90A:ACCUM_OFFSET: 5
; COMPUTE_PGM_RSRC3_GFX90A:TG_SPLIT: 0
	.section	.text._ZN5aiter35fused_qk_rmsnorm_group_quant_kernelIDF16_DB8_Li64ELi8ELi8ELb1ELb1ELb1ELb1ELb0ELb0EEEvPT0_PvPT_S6_S6_PKS5_S8_S8_S8_S8_ffiiiiiiiiiiiii,"axG",@progbits,_ZN5aiter35fused_qk_rmsnorm_group_quant_kernelIDF16_DB8_Li64ELi8ELi8ELb1ELb1ELb1ELb1ELb0ELb0EEEvPT0_PvPT_S6_S6_PKS5_S8_S8_S8_S8_ffiiiiiiiiiiiii,comdat
	.protected	_ZN5aiter35fused_qk_rmsnorm_group_quant_kernelIDF16_DB8_Li64ELi8ELi8ELb1ELb1ELb1ELb1ELb0ELb0EEEvPT0_PvPT_S6_S6_PKS5_S8_S8_S8_S8_ffiiiiiiiiiiiii ; -- Begin function _ZN5aiter35fused_qk_rmsnorm_group_quant_kernelIDF16_DB8_Li64ELi8ELi8ELb1ELb1ELb1ELb1ELb0ELb0EEEvPT0_PvPT_S6_S6_PKS5_S8_S8_S8_S8_ffiiiiiiiiiiiii
	.globl	_ZN5aiter35fused_qk_rmsnorm_group_quant_kernelIDF16_DB8_Li64ELi8ELi8ELb1ELb1ELb1ELb1ELb0ELb0EEEvPT0_PvPT_S6_S6_PKS5_S8_S8_S8_S8_ffiiiiiiiiiiiii
	.p2align	8
	.type	_ZN5aiter35fused_qk_rmsnorm_group_quant_kernelIDF16_DB8_Li64ELi8ELi8ELb1ELb1ELb1ELb1ELb0ELb0EEEvPT0_PvPT_S6_S6_PKS5_S8_S8_S8_S8_ffiiiiiiiiiiiii,@function
_ZN5aiter35fused_qk_rmsnorm_group_quant_kernelIDF16_DB8_Li64ELi8ELi8ELb1ELb1ELb1ELb1ELb0ELb0EEEvPT0_PvPT_S6_S6_PKS5_S8_S8_S8_S8_ffiiiiiiiiiiiii: ; @_ZN5aiter35fused_qk_rmsnorm_group_quant_kernelIDF16_DB8_Li64ELi8ELi8ELb1ELb1ELb1ELb1ELb0ELb0EEEvPT0_PvPT_S6_S6_PKS5_S8_S8_S8_S8_ffiiiiiiiiiiiii
; %bb.0:
	s_load_dwordx8 s[8:15], s[4:5], 0x50
	s_waitcnt lgkmcnt(0)
	s_cmp_ge_i32 s6, s10
	s_cbranch_scc1 .LBB145_15
; %bb.1:
	s_cmp_lg_u32 s7, 0
	s_cselect_b64 s[18:19], -1, 0
	s_cmp_eq_u32 s7, 0
	s_cselect_b64 s[20:21], -1, 0
	s_and_b64 s[0:1], s[20:21], exec
	s_cselect_b32 s7, s11, s12
	s_load_dwordx2 s[2:3], s[4:5], 0x30
	s_load_dwordx2 s[16:17], s[4:5], 0x48
	s_add_i32 s0, s7, 1
	s_lshr_b32 s1, s0, 31
	s_add_i32 s0, s0, s1
	s_lshl_b32 s0, s0, 1
	v_lshlrev_b32_e32 v1, 3, v0
	s_and_b32 s26, s0, -4
	v_cmp_gt_i32_e64 s[0:1], s7, v1
	v_mov_b32_e32 v2, 0
	v_mov_b32_e32 v3, 0
	v_mov_b32_e32 v4, 0
	v_mov_b32_e32 v5, 0
	v_mov_b32_e32 v6, 0
	v_mov_b32_e32 v7, 0
	v_mov_b32_e32 v8, 0
	v_mov_b32_e32 v9, 0
	s_and_saveexec_b64 s[10:11], s[0:1]
	s_cbranch_execz .LBB145_3
; %bb.2:
	s_load_dwordx2 s[22:23], s[4:5], 0x28
	s_load_dwordx2 s[24:25], s[4:5], 0x40
	s_and_b64 s[28:29], s[20:21], exec
	s_cselect_b32 s13, s13, s14
	v_lshlrev_b32_e32 v10, 4, v0
	s_waitcnt lgkmcnt(0)
	s_cselect_b32 s27, s23, s3
	s_cselect_b32 s28, s22, s2
	s_mul_hi_i32 s23, s13, s6
	s_mul_i32 s22, s13, s6
	s_lshl_b64 s[22:23], s[22:23], 1
	s_add_u32 s28, s28, s22
	s_addc_u32 s13, s27, s23
	s_and_b64 s[20:21], s[20:21], exec
	s_mov_b32 s27, 0x20000
	s_cselect_b32 s24, s24, s16
	s_cselect_b32 s20, s25, s17
	s_and_b32 s29, s13, 0xffff
	s_mov_b32 s30, s26
	s_mov_b32 s31, s27
	s_and_b32 s25, s20, 0xffff
	buffer_load_dwordx4 v[6:9], v10, s[28:31], 0 offen glc slc
	buffer_load_dwordx4 v[2:5], v10, s[24:27], 0 offen
.LBB145_3:
	s_or_b64 exec, exec, s[10:11]
	s_load_dwordx4 s[20:23], s[4:5], 0x7c
	s_and_b64 vcc, exec, s[18:19]
	s_cbranch_vccz .LBB145_7
; %bb.4:
	v_mov_b32_e32 v13, 0
	v_mov_b32_e32 v12, 0
	;; [unrolled: 1-line block ×8, first 2 shown]
	s_and_saveexec_b64 s[10:11], s[0:1]
	s_cbranch_execz .LBB145_6
; %bb.5:
	s_waitcnt vmcnt(1)
	v_cvt_f32_f16_sdwa v11, v6 dst_sel:DWORD dst_unused:UNUSED_PAD src0_sel:WORD_1
	v_cvt_f32_f16_e32 v10, v6
	v_cvt_f32_f16_sdwa v17, v7 dst_sel:DWORD dst_unused:UNUSED_PAD src0_sel:WORD_1
	v_cvt_f32_f16_e32 v16, v7
	;; [unrolled: 2-line block ×4, first 2 shown]
.LBB145_6:
	s_or_b64 exec, exec, s[10:11]
	s_mov_b32 s13, s9
	s_cbranch_execz .LBB145_8
	s_branch .LBB145_11
.LBB145_7:
                                        ; implicit-def: $vgpr13
                                        ; implicit-def: $vgpr15
                                        ; implicit-def: $vgpr17
                                        ; implicit-def: $vgpr11
	s_mov_b32 s13, s9
.LBB145_8:
	v_mov_b32_e32 v13, 0
	v_mov_b32_e32 v12, 0
	;; [unrolled: 1-line block ×8, first 2 shown]
	s_and_saveexec_b64 s[10:11], s[0:1]
	s_cbranch_execz .LBB145_10
; %bb.9:
	s_load_dwordx2 s[24:25], s[4:5], 0x38
	s_mul_hi_i32 s29, s15, s6
	s_mul_i32 s28, s15, s6
	s_lshl_b64 s[28:29], s[28:29], 1
	s_mov_b32 s27, 0x20000
	s_waitcnt lgkmcnt(0)
	s_add_u32 s24, s24, s28
	s_addc_u32 s13, s25, s29
	s_and_b32 s25, s13, 0xffff
	v_lshlrev_b32_e32 v24, 4, v0
	buffer_load_dwordx4 v[10:13], v24, s[24:27], 0 offen glc slc
	s_waitcnt vmcnt(2)
	v_cvt_f32_f16_sdwa v15, v6 dst_sel:DWORD dst_unused:UNUSED_PAD src0_sel:WORD_1
	v_cvt_f32_f16_e32 v14, v6
	v_cvt_f32_f16_sdwa v17, v7 dst_sel:DWORD dst_unused:UNUSED_PAD src0_sel:WORD_1
	v_cvt_f32_f16_e32 v16, v7
	;; [unrolled: 2-line block ×4, first 2 shown]
	s_load_dwordx2 s[24:25], s[4:5], 0x20
	s_mul_hi_i32 s23, s22, s6
	s_mul_i32 s22, s22, s6
	s_lshl_b64 s[22:23], s[22:23], 1
	s_waitcnt lgkmcnt(0)
	s_add_u32 s24, s24, s22
	s_addc_u32 s13, s25, s23
	s_and_b32 s25, s13, 0xffff
	s_waitcnt vmcnt(0)
	v_cvt_f32_f16_e32 v8, v10
	v_cvt_f32_f16_sdwa v9, v10 dst_sel:DWORD dst_unused:UNUSED_PAD src0_sel:WORD_1
	v_cvt_f32_f16_e32 v20, v11
	v_cvt_f32_f16_sdwa v21, v11 dst_sel:DWORD dst_unused:UNUSED_PAD src0_sel:WORD_1
	v_cvt_f32_f16_e32 v22, v12
	v_cvt_f32_f16_sdwa v23, v12 dst_sel:DWORD dst_unused:UNUSED_PAD src0_sel:WORD_1
	v_cvt_f32_f16_e32 v12, v13
	v_cvt_f32_f16_sdwa v13, v13 dst_sel:DWORD dst_unused:UNUSED_PAD src0_sel:WORD_1
	v_pk_add_f32 v[10:11], v[14:15], v[8:9]
	v_pk_add_f32 v[16:17], v[16:17], v[20:21]
	;; [unrolled: 1-line block ×4, first 2 shown]
	v_cvt_f16_f32_e32 v6, v11
	v_cvt_f16_f32_e32 v7, v17
	;; [unrolled: 1-line block ×8, first 2 shown]
	v_pack_b32_f16 v9, v18, v9
	v_pack_b32_f16 v8, v19, v8
	;; [unrolled: 1-line block ×4, first 2 shown]
	buffer_store_dwordx4 v[6:9], v24, s[24:27], 0 offen glc slc
	;;#ASMSTART
	s_nop 0
	;;#ASMEND
.LBB145_10:
	s_or_b64 exec, exec, s[10:11]
	s_mov_b32 s13, s8
.LBB145_11:
	s_waitcnt vmcnt(1)
	v_mul_f32_e32 v6, v11, v11
	v_fmac_f32_e32 v6, v10, v10
	v_fmac_f32_e32 v6, v16, v16
	;; [unrolled: 1-line block ×7, first 2 shown]
	v_bfrev_b32_e32 v8, 0.5
	s_load_dwordx2 s[10:11], s[4:5], 0x18
	v_mov_b32_dpp v7, v6 quad_perm:[1,0,3,2] row_mask:0xf bank_mask:0xf
	v_add_f32_e32 v6, v6, v7
	s_nop 1
	v_mov_b32_dpp v7, v6 quad_perm:[2,3,0,1] row_mask:0xf bank_mask:0xf
	v_add_f32_e32 v6, v6, v7
	s_nop 1
	v_mov_b32_dpp v7, v6 row_half_mirror row_mask:0xf bank_mask:0xf
	v_add_f32_e32 v6, v6, v7
	s_nop 1
	v_mov_b32_dpp v7, v6 row_mirror row_mask:0xf bank_mask:0xf
	v_add_f32_e32 v6, v6, v7
	s_nop 1
	v_mov_b32_dpp v7, v6 row_bcast:15 row_mask:0xf bank_mask:0xf
	v_add_f32_e32 v6, v6, v7
	s_nop 1
	v_mov_b32_dpp v7, v6 row_bcast:31 row_mask:0xf bank_mask:0xf
	v_add_f32_e32 v6, v6, v7
	v_mbcnt_lo_u32_b32 v7, -1, 0
	v_mbcnt_hi_u32_b32 v7, -1, v7
	v_lshl_or_b32 v18, v7, 2, v8
	ds_bpermute_b32 v6, v18, v6
	s_waitcnt lgkmcnt(0)
	s_and_saveexec_b64 s[22:23], s[0:1]
	s_cbranch_execnz .LBB145_16
; %bb.12:
	s_or_b64 exec, exec, s[22:23]
	s_mov_b64 s[22:23], -1
	s_and_b64 vcc, exec, s[18:19]
	s_cbranch_vccnz .LBB145_17
.LBB145_13:
	s_andn2_b64 vcc, exec, s[22:23]
	s_cbranch_vccz .LBB145_20
.LBB145_14:
	s_cmp_lt_i32 s12, 1
	s_cbranch_scc0 .LBB145_23
.LBB145_15:
	s_endpgm
.LBB145_16:
	v_cvt_f32_u32_e32 v7, s7
	s_mov_b32 s7, 0x800000
	v_div_scale_f32 v8, s[24:25], v7, v7, v6
	v_rcp_f32_e32 v9, v8
	v_div_scale_f32 v19, vcc, v6, v7, v6
	v_fma_f32 v20, -v8, v9, 1.0
	v_fmac_f32_e32 v9, v20, v9
	v_mul_f32_e32 v20, v19, v9
	v_fma_f32 v21, -v8, v20, v19
	v_fmac_f32_e32 v20, v21, v9
	v_fma_f32 v8, -v8, v20, v19
	v_div_fmas_f32 v8, v8, v9, v20
	v_div_fixup_f32 v6, v8, v7, v6
	v_add_f32_e32 v6, s13, v6
	v_mul_f32_e32 v7, 0x4b800000, v6
	v_cmp_gt_f32_e32 vcc, s7, v6
	v_cndmask_b32_e32 v6, v6, v7, vcc
	v_rsq_f32_e32 v6, v6
	s_waitcnt vmcnt(0)
	v_cvt_f32_f16_sdwa v7, v2 dst_sel:DWORD dst_unused:UNUSED_PAD src0_sel:WORD_1
	v_cvt_f32_f16_sdwa v21, v3 dst_sel:DWORD dst_unused:UNUSED_PAD src0_sel:WORD_1
	v_cvt_f32_f16_e32 v20, v3
	v_mul_f32_e32 v8, 0x45800000, v6
	v_cndmask_b32_e32 v8, v6, v8, vcc
	v_mov_b32_e32 v9, v8
	;;#ASMSTART
	v_pk_mul_f32 v[10:11], v[10:11], v[8:9]
	;;#ASMEND
	;;#ASMSTART
	v_pk_mul_f32 v[16:17], v[16:17], v[8:9]
	;;#ASMEND
	;; [unrolled: 3-line block ×3, first 2 shown]
	v_cvt_f32_f16_e32 v6, v2
	;;#ASMSTART
	v_pk_mul_f32 v[2:3], v[12:13], v[8:9]
	;;#ASMEND
	v_cvt_f32_f16_sdwa v9, v4 dst_sel:DWORD dst_unused:UNUSED_PAD src0_sel:WORD_1
	v_cvt_f32_f16_e32 v8, v4
	v_cvt_f32_f16_sdwa v13, v5 dst_sel:DWORD dst_unused:UNUSED_PAD src0_sel:WORD_1
	v_cvt_f32_f16_e32 v12, v5
	v_pk_add_f32 v[6:7], v[6:7], 1.0 op_sel_hi:[1,0]
	v_pk_add_f32 v[4:5], v[8:9], 1.0 op_sel_hi:[1,0]
	;;#ASMSTART
	v_pk_mul_f32 v[10:11], v[10:11], v[6:7]
	;;#ASMEND
	v_pk_add_f32 v[6:7], v[20:21], 1.0 op_sel_hi:[1,0]
	;;#ASMSTART
	v_pk_mul_f32 v[16:17], v[16:17], v[6:7]
	;;#ASMEND
	;;#ASMSTART
	v_pk_mul_f32 v[14:15], v[14:15], v[4:5]
	;;#ASMEND
	v_pk_add_f32 v[4:5], v[12:13], 1.0 op_sel_hi:[1,0]
	;;#ASMSTART
	v_pk_mul_f32 v[12:13], v[2:3], v[4:5]
	;;#ASMEND
	s_or_b64 exec, exec, s[22:23]
	s_mov_b64 s[22:23], -1
	s_and_b64 vcc, exec, s[18:19]
	s_cbranch_vccz .LBB145_13
.LBB145_17:
	s_and_saveexec_b64 s[18:19], s[0:1]
	s_cbranch_execz .LBB145_19
; %bb.18:
	s_mul_hi_i32 s23, s21, s6
	s_mul_i32 s22, s21, s6
	s_waitcnt vmcnt(0)
	v_cvt_f16_f32_e32 v2, v10
	v_cvt_f16_f32_e32 v3, v16
	;; [unrolled: 1-line block ×8, first 2 shown]
	s_lshl_b64 s[22:23], s[22:23], 1
	s_add_u32 s24, s10, s22
	s_addc_u32 s7, s11, s23
	s_and_b32 s25, s7, 0xffff
	s_mov_b32 s27, 0x20000
	v_pack_b32_f16 v5, v5, v6
	v_pack_b32_f16 v4, v4, v7
	;; [unrolled: 1-line block ×4, first 2 shown]
	v_lshlrev_b32_e32 v6, 4, v0
	buffer_store_dwordx4 v[2:5], v6, s[24:27], 0 offen
	;;#ASMSTART
	s_nop 0
	;;#ASMEND
.LBB145_19:
	s_or_b64 exec, exec, s[18:19]
	s_cbranch_execnz .LBB145_14
.LBB145_20:
	s_and_saveexec_b64 s[18:19], s[0:1]
	s_cbranch_execz .LBB145_22
; %bb.21:
	s_load_dwordx2 s[0:1], s[4:5], 0x10
	s_mul_hi_i32 s23, s20, s6
	s_mul_i32 s22, s20, s6
	s_waitcnt vmcnt(0)
	v_cvt_f16_f32_e32 v2, v10
	v_cvt_f16_f32_e32 v3, v16
	;; [unrolled: 1-line block ×8, first 2 shown]
	s_lshl_b64 s[22:23], s[22:23], 1
	s_waitcnt lgkmcnt(0)
	s_add_u32 s24, s0, s22
	s_addc_u32 s0, s1, s23
	s_mov_b32 s27, 0x20000
	s_and_b32 s25, s0, 0xffff
	v_pack_b32_f16 v5, v5, v6
	v_pack_b32_f16 v4, v4, v7
	;; [unrolled: 1-line block ×4, first 2 shown]
	v_lshlrev_b32_e32 v6, 4, v0
	buffer_store_dwordx4 v[2:5], v6, s[24:27], 0 offen
	;;#ASMSTART
	s_nop 0
	;;#ASMEND
.LBB145_22:
	s_or_b64 exec, exec, s[18:19]
	s_cmp_lt_i32 s12, 1
	s_cbranch_scc1 .LBB145_15
.LBB145_23:
	s_load_dword s0, s[4:5], 0x94
	s_waitcnt lgkmcnt(0)
	s_cmp_lg_u32 s0, 1
	s_cbranch_scc1 .LBB145_15
; %bb.24:
	s_lshl_b32 s0, s12, 1
	s_add_i32 s0, s0, 2
	v_cmp_gt_u32_e32 vcc, s12, v1
	s_and_b32 s18, s0, -4
	v_mov_b32_e32 v8, 0
	v_lshlrev_b32_e32 v16, 4, v0
	s_waitcnt vmcnt(0)
	v_mov_b32_e32 v4, 0
	v_mov_b32_e32 v5, 0
	;; [unrolled: 1-line block ×8, first 2 shown]
	s_barrier
	s_and_saveexec_b64 s[0:1], vcc
	s_cbranch_execz .LBB145_26
; %bb.25:
	s_mul_hi_i32 s5, s14, s6
	s_mul_i32 s4, s14, s6
	s_and_b32 s17, s17, 0xffff
	s_lshl_b64 s[4:5], s[4:5], 1
	s_add_u32 s24, s2, s4
	s_mov_b32 s19, 0x20000
	s_addc_u32 s2, s3, s5
	s_and_b32 s25, s2, 0xffff
	s_mov_b32 s26, s18
	s_mov_b32 s27, s19
	buffer_load_dwordx4 v[4:7], v16, s[24:27], 0 offen glc slc
	buffer_load_dwordx4 v[0:3], v16, s[16:19], 0 offen
.LBB145_26:
	s_or_b64 exec, exec, s[0:1]
	v_mov_b32_e32 v9, 0
	v_mov_b32_e32 v12, 0
	;; [unrolled: 1-line block ×7, first 2 shown]
	s_and_saveexec_b64 s[0:1], vcc
	s_cbranch_execz .LBB145_28
; %bb.27:
	s_waitcnt vmcnt(1)
	v_cvt_f32_f16_sdwa v9, v4 dst_sel:DWORD dst_unused:UNUSED_PAD src0_sel:WORD_1
	v_cvt_f32_f16_e32 v8, v4
	v_cvt_f32_f16_sdwa v13, v5 dst_sel:DWORD dst_unused:UNUSED_PAD src0_sel:WORD_1
	v_cvt_f32_f16_e32 v12, v5
	;; [unrolled: 2-line block ×4, first 2 shown]
.LBB145_28:
	s_or_b64 exec, exec, s[0:1]
	s_waitcnt vmcnt(1)
	v_mul_f32_e32 v4, v9, v9
	v_fmac_f32_e32 v4, v8, v8
	v_fmac_f32_e32 v4, v12, v12
	;; [unrolled: 1-line block ×7, first 2 shown]
	s_nop 1
	v_mov_b32_dpp v5, v4 quad_perm:[1,0,3,2] row_mask:0xf bank_mask:0xf
	v_add_f32_e32 v4, v4, v5
	s_nop 1
	v_mov_b32_dpp v5, v4 quad_perm:[2,3,0,1] row_mask:0xf bank_mask:0xf
	v_add_f32_e32 v4, v4, v5
	s_nop 1
	v_mov_b32_dpp v5, v4 row_half_mirror row_mask:0xf bank_mask:0xf
	v_add_f32_e32 v4, v4, v5
	s_nop 1
	v_mov_b32_dpp v5, v4 row_mirror row_mask:0xf bank_mask:0xf
	v_add_f32_e32 v4, v4, v5
	s_nop 1
	v_mov_b32_dpp v5, v4 row_bcast:15 row_mask:0xf bank_mask:0xf
	v_add_f32_e32 v4, v4, v5
	s_nop 1
	v_mov_b32_dpp v5, v4 row_bcast:31 row_mask:0xf bank_mask:0xf
	v_add_f32_e32 v4, v4, v5
	ds_bpermute_b32 v4, v18, v4
	s_and_saveexec_b64 s[0:1], vcc
	s_cbranch_execz .LBB145_15
; %bb.29:
	v_cvt_f32_u32_e32 v5, s12
	s_mov_b32 s19, 0x20000
	s_waitcnt lgkmcnt(0)
	v_div_scale_f32 v6, s[0:1], v5, v5, v4
	v_rcp_f32_e32 v7, v6
	v_div_scale_f32 v17, vcc, v4, v5, v4
	s_mov_b32 s0, 0x800000
	v_fma_f32 v18, -v6, v7, 1.0
	v_fmac_f32_e32 v7, v18, v7
	v_mul_f32_e32 v18, v17, v7
	v_fma_f32 v19, -v6, v18, v17
	v_fmac_f32_e32 v18, v19, v7
	v_fma_f32 v6, -v6, v18, v17
	v_div_fmas_f32 v6, v6, v7, v18
	v_div_fixup_f32 v4, v6, v5, v4
	v_add_f32_e32 v4, s9, v4
	v_mul_f32_e32 v5, 0x4b800000, v4
	v_cmp_gt_f32_e32 vcc, s0, v4
	v_cndmask_b32_e32 v4, v4, v5, vcc
	v_rsq_f32_e32 v4, v4
	s_waitcnt vmcnt(0)
	v_cvt_f32_f16_sdwa v5, v0 dst_sel:DWORD dst_unused:UNUSED_PAD src0_sel:WORD_1
	v_cvt_f32_f16_sdwa v19, v1 dst_sel:DWORD dst_unused:UNUSED_PAD src0_sel:WORD_1
	v_cvt_f32_f16_e32 v18, v1
	v_mul_f32_e32 v6, 0x45800000, v4
	v_cndmask_b32_e32 v6, v4, v6, vcc
	v_cvt_f32_f16_e32 v4, v0
	v_mov_b32_e32 v7, v6
	;;#ASMSTART
	v_pk_mul_f32 v[8:9], v[8:9], v[6:7]
	;;#ASMEND
	;;#ASMSTART
	v_pk_mul_f32 v[12:13], v[12:13], v[6:7]
	;;#ASMEND
	v_pk_add_f32 v[4:5], v[4:5], 1.0 op_sel_hi:[1,0]
	;;#ASMSTART
	v_pk_mul_f32 v[14:15], v[14:15], v[6:7]
	;;#ASMEND
	;;#ASMSTART
	v_pk_mul_f32 v[0:1], v[10:11], v[6:7]
	;;#ASMEND
	;; [unrolled: 3-line block ×3, first 2 shown]
	v_cvt_f32_f16_sdwa v9, v2 dst_sel:DWORD dst_unused:UNUSED_PAD src0_sel:WORD_1
	v_cvt_f32_f16_e32 v8, v2
	v_cvt_f32_f16_sdwa v11, v3 dst_sel:DWORD dst_unused:UNUSED_PAD src0_sel:WORD_1
	v_cvt_f32_f16_e32 v10, v3
	v_pk_add_f32 v[6:7], v[18:19], 1.0 op_sel_hi:[1,0]
	;;#ASMSTART
	v_pk_mul_f32 v[2:3], v[12:13], v[6:7]
	;;#ASMEND
	v_pk_add_f32 v[6:7], v[8:9], 1.0 op_sel_hi:[1,0]
	;;#ASMSTART
	v_pk_mul_f32 v[6:7], v[14:15], v[6:7]
	;;#ASMEND
	;; [unrolled: 4-line block ×3, first 2 shown]
	s_mul_hi_i32 s1, s21, s6
	s_mul_i32 s0, s21, s6
	v_cvt_f16_f32_e32 v4, v4
	v_cvt_f16_f32_e32 v5, v5
	v_cvt_f16_f32_e32 v2, v2
	v_cvt_f16_f32_e32 v3, v3
	v_cvt_f16_f32_e32 v6, v6
	v_cvt_f16_f32_e32 v7, v7
	v_cvt_f16_f32_e32 v8, v0
	v_cvt_f16_f32_e32 v9, v1
	s_lshl_b64 s[0:1], s[0:1], 1
	s_add_u32 s16, s10, s0
	s_addc_u32 s0, s11, s1
	s_and_b32 s17, s0, 0xffff
	v_pack_b32_f16 v0, v4, v5
	v_pack_b32_f16 v1, v2, v3
	;; [unrolled: 1-line block ×4, first 2 shown]
	buffer_store_dwordx4 v[0:3], v16, s[16:19], 0 offen
	;;#ASMSTART
	s_nop 0
	;;#ASMEND
	s_endpgm
	.section	.rodata,"a",@progbits
	.p2align	6, 0x0
	.amdhsa_kernel _ZN5aiter35fused_qk_rmsnorm_group_quant_kernelIDF16_DB8_Li64ELi8ELi8ELb1ELb1ELb1ELb1ELb0ELb0EEEvPT0_PvPT_S6_S6_PKS5_S8_S8_S8_S8_ffiiiiiiiiiiiii
		.amdhsa_group_segment_fixed_size 0
		.amdhsa_private_segment_fixed_size 0
		.amdhsa_kernarg_size 400
		.amdhsa_user_sgpr_count 6
		.amdhsa_user_sgpr_private_segment_buffer 1
		.amdhsa_user_sgpr_dispatch_ptr 0
		.amdhsa_user_sgpr_queue_ptr 0
		.amdhsa_user_sgpr_kernarg_segment_ptr 1
		.amdhsa_user_sgpr_dispatch_id 0
		.amdhsa_user_sgpr_flat_scratch_init 0
		.amdhsa_user_sgpr_kernarg_preload_length 0
		.amdhsa_user_sgpr_kernarg_preload_offset 0
		.amdhsa_user_sgpr_private_segment_size 0
		.amdhsa_uses_dynamic_stack 0
		.amdhsa_system_sgpr_private_segment_wavefront_offset 0
		.amdhsa_system_sgpr_workgroup_id_x 1
		.amdhsa_system_sgpr_workgroup_id_y 1
		.amdhsa_system_sgpr_workgroup_id_z 0
		.amdhsa_system_sgpr_workgroup_info 0
		.amdhsa_system_vgpr_workitem_id 0
		.amdhsa_next_free_vgpr 25
		.amdhsa_next_free_sgpr 32
		.amdhsa_accum_offset 28
		.amdhsa_reserve_vcc 1
		.amdhsa_reserve_flat_scratch 0
		.amdhsa_float_round_mode_32 0
		.amdhsa_float_round_mode_16_64 0
		.amdhsa_float_denorm_mode_32 3
		.amdhsa_float_denorm_mode_16_64 3
		.amdhsa_dx10_clamp 1
		.amdhsa_ieee_mode 1
		.amdhsa_fp16_overflow 0
		.amdhsa_tg_split 0
		.amdhsa_exception_fp_ieee_invalid_op 0
		.amdhsa_exception_fp_denorm_src 0
		.amdhsa_exception_fp_ieee_div_zero 0
		.amdhsa_exception_fp_ieee_overflow 0
		.amdhsa_exception_fp_ieee_underflow 0
		.amdhsa_exception_fp_ieee_inexact 0
		.amdhsa_exception_int_div_zero 0
	.end_amdhsa_kernel
	.section	.text._ZN5aiter35fused_qk_rmsnorm_group_quant_kernelIDF16_DB8_Li64ELi8ELi8ELb1ELb1ELb1ELb1ELb0ELb0EEEvPT0_PvPT_S6_S6_PKS5_S8_S8_S8_S8_ffiiiiiiiiiiiii,"axG",@progbits,_ZN5aiter35fused_qk_rmsnorm_group_quant_kernelIDF16_DB8_Li64ELi8ELi8ELb1ELb1ELb1ELb1ELb0ELb0EEEvPT0_PvPT_S6_S6_PKS5_S8_S8_S8_S8_ffiiiiiiiiiiiii,comdat
.Lfunc_end145:
	.size	_ZN5aiter35fused_qk_rmsnorm_group_quant_kernelIDF16_DB8_Li64ELi8ELi8ELb1ELb1ELb1ELb1ELb0ELb0EEEvPT0_PvPT_S6_S6_PKS5_S8_S8_S8_S8_ffiiiiiiiiiiiii, .Lfunc_end145-_ZN5aiter35fused_qk_rmsnorm_group_quant_kernelIDF16_DB8_Li64ELi8ELi8ELb1ELb1ELb1ELb1ELb0ELb0EEEvPT0_PvPT_S6_S6_PKS5_S8_S8_S8_S8_ffiiiiiiiiiiiii
                                        ; -- End function
	.section	.AMDGPU.csdata,"",@progbits
; Kernel info:
; codeLenInByte = 2352
; NumSgprs: 36
; NumVgprs: 25
; NumAgprs: 0
; TotalNumVgprs: 25
; ScratchSize: 0
; MemoryBound: 0
; FloatMode: 240
; IeeeMode: 1
; LDSByteSize: 0 bytes/workgroup (compile time only)
; SGPRBlocks: 4
; VGPRBlocks: 3
; NumSGPRsForWavesPerEU: 36
; NumVGPRsForWavesPerEU: 25
; AccumOffset: 28
; Occupancy: 8
; WaveLimiterHint : 0
; COMPUTE_PGM_RSRC2:SCRATCH_EN: 0
; COMPUTE_PGM_RSRC2:USER_SGPR: 6
; COMPUTE_PGM_RSRC2:TRAP_HANDLER: 0
; COMPUTE_PGM_RSRC2:TGID_X_EN: 1
; COMPUTE_PGM_RSRC2:TGID_Y_EN: 1
; COMPUTE_PGM_RSRC2:TGID_Z_EN: 0
; COMPUTE_PGM_RSRC2:TIDIG_COMP_CNT: 0
; COMPUTE_PGM_RSRC3_GFX90A:ACCUM_OFFSET: 6
; COMPUTE_PGM_RSRC3_GFX90A:TG_SPLIT: 0
	.section	.text._ZN5aiter35fused_qk_rmsnorm_group_quant_kernelItDB8_Li64ELi8ELi8ELb1ELb1ELb1ELb1ELb0ELb0EEEvPT0_PvPT_S6_S6_PKS5_S8_S8_S8_S8_ffiiiiiiiiiiiii,"axG",@progbits,_ZN5aiter35fused_qk_rmsnorm_group_quant_kernelItDB8_Li64ELi8ELi8ELb1ELb1ELb1ELb1ELb0ELb0EEEvPT0_PvPT_S6_S6_PKS5_S8_S8_S8_S8_ffiiiiiiiiiiiii,comdat
	.protected	_ZN5aiter35fused_qk_rmsnorm_group_quant_kernelItDB8_Li64ELi8ELi8ELb1ELb1ELb1ELb1ELb0ELb0EEEvPT0_PvPT_S6_S6_PKS5_S8_S8_S8_S8_ffiiiiiiiiiiiii ; -- Begin function _ZN5aiter35fused_qk_rmsnorm_group_quant_kernelItDB8_Li64ELi8ELi8ELb1ELb1ELb1ELb1ELb0ELb0EEEvPT0_PvPT_S6_S6_PKS5_S8_S8_S8_S8_ffiiiiiiiiiiiii
	.globl	_ZN5aiter35fused_qk_rmsnorm_group_quant_kernelItDB8_Li64ELi8ELi8ELb1ELb1ELb1ELb1ELb0ELb0EEEvPT0_PvPT_S6_S6_PKS5_S8_S8_S8_S8_ffiiiiiiiiiiiii
	.p2align	8
	.type	_ZN5aiter35fused_qk_rmsnorm_group_quant_kernelItDB8_Li64ELi8ELi8ELb1ELb1ELb1ELb1ELb0ELb0EEEvPT0_PvPT_S6_S6_PKS5_S8_S8_S8_S8_ffiiiiiiiiiiiii,@function
_ZN5aiter35fused_qk_rmsnorm_group_quant_kernelItDB8_Li64ELi8ELi8ELb1ELb1ELb1ELb1ELb0ELb0EEEvPT0_PvPT_S6_S6_PKS5_S8_S8_S8_S8_ffiiiiiiiiiiiii: ; @_ZN5aiter35fused_qk_rmsnorm_group_quant_kernelItDB8_Li64ELi8ELi8ELb1ELb1ELb1ELb1ELb0ELb0EEEvPT0_PvPT_S6_S6_PKS5_S8_S8_S8_S8_ffiiiiiiiiiiiii
; %bb.0:
	s_load_dwordx8 s[8:15], s[4:5], 0x50
	s_waitcnt lgkmcnt(0)
	s_cmp_ge_i32 s6, s10
	s_cbranch_scc1 .LBB146_15
; %bb.1:
	s_cmp_lg_u32 s7, 0
	s_cselect_b64 s[18:19], -1, 0
	s_cmp_eq_u32 s7, 0
	s_cselect_b64 s[20:21], -1, 0
	s_and_b64 s[0:1], s[20:21], exec
	s_cselect_b32 s7, s11, s12
	s_load_dwordx2 s[2:3], s[4:5], 0x30
	s_load_dwordx2 s[16:17], s[4:5], 0x48
	s_add_i32 s0, s7, 1
	s_lshr_b32 s1, s0, 31
	s_add_i32 s0, s0, s1
	s_lshl_b32 s0, s0, 1
	v_lshlrev_b32_e32 v1, 3, v0
	s_and_b32 s26, s0, -4
	v_cmp_gt_i32_e64 s[0:1], s7, v1
	v_mov_b32_e32 v10, 0
	v_mov_b32_e32 v11, 0
	;; [unrolled: 1-line block ×8, first 2 shown]
	s_and_saveexec_b64 s[10:11], s[0:1]
	s_cbranch_execz .LBB146_3
; %bb.2:
	s_load_dwordx2 s[22:23], s[4:5], 0x28
	s_load_dwordx2 s[24:25], s[4:5], 0x40
	s_and_b64 s[28:29], s[20:21], exec
	s_cselect_b32 s13, s13, s14
	v_lshlrev_b32_e32 v2, 4, v0
	s_waitcnt lgkmcnt(0)
	s_cselect_b32 s27, s23, s3
	s_cselect_b32 s28, s22, s2
	s_mul_hi_i32 s23, s13, s6
	s_mul_i32 s22, s13, s6
	s_lshl_b64 s[22:23], s[22:23], 1
	s_add_u32 s28, s28, s22
	s_addc_u32 s13, s27, s23
	s_and_b64 s[20:21], s[20:21], exec
	s_mov_b32 s27, 0x20000
	s_cselect_b32 s24, s24, s16
	s_cselect_b32 s20, s25, s17
	s_and_b32 s29, s13, 0xffff
	s_mov_b32 s30, s26
	s_mov_b32 s31, s27
	s_and_b32 s25, s20, 0xffff
	buffer_load_dwordx4 v[14:17], v2, s[28:31], 0 offen glc slc
	buffer_load_dwordx4 v[10:13], v2, s[24:27], 0 offen
.LBB146_3:
	s_or_b64 exec, exec, s[10:11]
	s_load_dwordx4 s[20:23], s[4:5], 0x7c
	s_and_b64 vcc, exec, s[18:19]
	s_cbranch_vccz .LBB146_7
; %bb.4:
	s_mov_b32 s36, 0
	s_mov_b32 s37, s36
	s_mov_b32 s38, s36
	s_mov_b32 s39, s36
	s_mov_b32 s40, s36
	s_mov_b32 s41, s36
	s_mov_b32 s42, s36
	s_mov_b32 s43, s36
	v_pk_mov_b32 v[2:3], s[36:37], s[36:37] op_sel:[0,1]
	v_pk_mov_b32 v[4:5], s[38:39], s[38:39] op_sel:[0,1]
	;; [unrolled: 1-line block ×4, first 2 shown]
	s_and_saveexec_b64 s[10:11], s[0:1]
	s_cbranch_execz .LBB146_6
; %bb.5:
	s_waitcnt vmcnt(1)
	v_cvt_f32_u32_sdwa v3, v14 dst_sel:DWORD dst_unused:UNUSED_PAD src0_sel:WORD_1
	v_cvt_f32_u32_sdwa v2, v14 dst_sel:DWORD dst_unused:UNUSED_PAD src0_sel:WORD_0
	v_cvt_f32_u32_sdwa v5, v15 dst_sel:DWORD dst_unused:UNUSED_PAD src0_sel:WORD_1
	v_cvt_f32_u32_sdwa v4, v15 dst_sel:DWORD dst_unused:UNUSED_PAD src0_sel:WORD_0
	;; [unrolled: 2-line block ×4, first 2 shown]
.LBB146_6:
	s_or_b64 exec, exec, s[10:11]
	s_mov_b32 s13, s9
	s_cbranch_execz .LBB146_8
	s_branch .LBB146_11
.LBB146_7:
                                        ; implicit-def: $vgpr2_vgpr3_vgpr4_vgpr5_vgpr6_vgpr7_vgpr8_vgpr9
	s_mov_b32 s13, s9
.LBB146_8:
	s_mov_b32 s36, 0
	s_mov_b32 s37, s36
	;; [unrolled: 1-line block ×8, first 2 shown]
	v_pk_mov_b32 v[2:3], s[36:37], s[36:37] op_sel:[0,1]
	v_pk_mov_b32 v[4:5], s[38:39], s[38:39] op_sel:[0,1]
	v_pk_mov_b32 v[6:7], s[40:41], s[40:41] op_sel:[0,1]
	v_pk_mov_b32 v[8:9], s[42:43], s[42:43] op_sel:[0,1]
	s_and_saveexec_b64 s[10:11], s[0:1]
	s_cbranch_execz .LBB146_10
; %bb.9:
	s_load_dwordx2 s[24:25], s[4:5], 0x38
	s_mul_hi_i32 s29, s15, s6
	s_mul_i32 s28, s15, s6
	s_lshl_b64 s[28:29], s[28:29], 1
	s_mov_b32 s27, 0x20000
	s_waitcnt lgkmcnt(0)
	s_add_u32 s24, s24, s28
	s_addc_u32 s13, s25, s29
	s_and_b32 s25, s13, 0xffff
	v_lshlrev_b32_e32 v26, 4, v0
	buffer_load_dwordx4 v[2:5], v26, s[24:27], 0 offen glc slc
	s_load_dwordx2 s[24:25], s[4:5], 0x20
	s_waitcnt vmcnt(2)
	v_cvt_f32_u32_sdwa v7, v14 dst_sel:DWORD dst_unused:UNUSED_PAD src0_sel:WORD_1
	v_cvt_f32_u32_sdwa v6, v14 dst_sel:DWORD dst_unused:UNUSED_PAD src0_sel:WORD_0
	v_cvt_f32_u32_sdwa v9, v15 dst_sel:DWORD dst_unused:UNUSED_PAD src0_sel:WORD_1
	v_cvt_f32_u32_sdwa v8, v15 dst_sel:DWORD dst_unused:UNUSED_PAD src0_sel:WORD_0
	;; [unrolled: 2-line block ×4, first 2 shown]
	s_mul_hi_i32 s23, s22, s6
	s_mul_i32 s22, s22, s6
	s_lshl_b64 s[22:23], s[22:23], 1
	s_waitcnt lgkmcnt(0)
	s_add_u32 s24, s24, s22
	s_mov_b32 s13, 0x7060302
	s_addc_u32 s15, s25, s23
	s_and_b32 s25, s15, 0xffff
	s_waitcnt vmcnt(0)
	v_cvt_f32_u32_sdwa v17, v2 dst_sel:DWORD dst_unused:UNUSED_PAD src0_sel:WORD_1
	v_cvt_f32_u32_sdwa v16, v2 dst_sel:DWORD dst_unused:UNUSED_PAD src0_sel:WORD_0
	v_cvt_f32_u32_sdwa v21, v3 dst_sel:DWORD dst_unused:UNUSED_PAD src0_sel:WORD_1
	v_cvt_f32_u32_sdwa v20, v3 dst_sel:DWORD dst_unused:UNUSED_PAD src0_sel:WORD_0
	;; [unrolled: 2-line block ×4, first 2 shown]
	v_pk_add_f32 v[2:3], v[6:7], v[16:17]
	v_pk_add_f32 v[4:5], v[8:9], v[20:21]
	;; [unrolled: 1-line block ×4, first 2 shown]
	v_perm_b32 v17, v9, v8, s13
	v_perm_b32 v16, v7, v6, s13
	;; [unrolled: 1-line block ×4, first 2 shown]
	buffer_store_dwordx4 v[14:17], v26, s[24:27], 0 offen glc slc
	;;#ASMSTART
	s_nop 0
	;;#ASMEND
.LBB146_10:
	s_or_b64 exec, exec, s[10:11]
	s_mov_b32 s13, s8
.LBB146_11:
	s_waitcnt vmcnt(1)
	v_mul_f32_e32 v14, v3, v3
	v_fmac_f32_e32 v14, v2, v2
	v_fmac_f32_e32 v14, v4, v4
	;; [unrolled: 1-line block ×7, first 2 shown]
	v_bfrev_b32_e32 v16, 0.5
	s_load_dwordx2 s[10:11], s[4:5], 0x18
	v_mov_b32_dpp v15, v14 quad_perm:[1,0,3,2] row_mask:0xf bank_mask:0xf
	v_add_f32_e32 v14, v14, v15
	s_nop 1
	v_mov_b32_dpp v15, v14 quad_perm:[2,3,0,1] row_mask:0xf bank_mask:0xf
	v_add_f32_e32 v14, v14, v15
	s_nop 1
	v_mov_b32_dpp v15, v14 row_half_mirror row_mask:0xf bank_mask:0xf
	v_add_f32_e32 v14, v14, v15
	s_nop 1
	v_mov_b32_dpp v15, v14 row_mirror row_mask:0xf bank_mask:0xf
	v_add_f32_e32 v14, v14, v15
	s_nop 1
	v_mov_b32_dpp v15, v14 row_bcast:15 row_mask:0xf bank_mask:0xf
	v_add_f32_e32 v14, v14, v15
	s_nop 1
	v_mov_b32_dpp v15, v14 row_bcast:31 row_mask:0xf bank_mask:0xf
	v_add_f32_e32 v15, v14, v15
	v_mbcnt_lo_u32_b32 v14, -1, 0
	v_mbcnt_hi_u32_b32 v14, -1, v14
	v_lshl_or_b32 v14, v14, 2, v16
	ds_bpermute_b32 v15, v14, v15
	s_waitcnt lgkmcnt(0)
	s_and_saveexec_b64 s[22:23], s[0:1]
	s_cbranch_execnz .LBB146_16
; %bb.12:
	s_or_b64 exec, exec, s[22:23]
	s_mov_b64 s[22:23], -1
	s_and_b64 vcc, exec, s[18:19]
	s_cbranch_vccnz .LBB146_17
.LBB146_13:
	s_andn2_b64 vcc, exec, s[22:23]
	s_cbranch_vccz .LBB146_20
.LBB146_14:
	s_cmp_lt_i32 s12, 1
	s_cbranch_scc0 .LBB146_23
.LBB146_15:
	s_endpgm
.LBB146_16:
	v_cvt_f32_u32_e32 v16, s7
	s_mov_b32 s7, 0x800000
	v_div_scale_f32 v17, s[24:25], v16, v16, v15
	v_rcp_f32_e32 v18, v17
	v_div_scale_f32 v19, vcc, v15, v16, v15
	v_fma_f32 v20, -v17, v18, 1.0
	v_fmac_f32_e32 v18, v20, v18
	v_mul_f32_e32 v20, v19, v18
	v_fma_f32 v21, -v17, v20, v19
	v_fmac_f32_e32 v20, v21, v18
	v_fma_f32 v17, -v17, v20, v19
	v_div_fmas_f32 v17, v17, v18, v20
	v_div_fixup_f32 v15, v17, v16, v15
	v_add_f32_e32 v15, s13, v15
	v_mul_f32_e32 v16, 0x4b800000, v15
	v_cmp_gt_f32_e32 vcc, s7, v15
	v_cndmask_b32_e32 v15, v15, v16, vcc
	v_rsq_f32_e32 v15, v15
	s_waitcnt vmcnt(0)
	v_cvt_f32_u32_sdwa v17, v10 dst_sel:DWORD dst_unused:UNUSED_PAD src0_sel:WORD_1
	v_cvt_f32_u32_sdwa v21, v11 dst_sel:DWORD dst_unused:UNUSED_PAD src0_sel:WORD_1
	v_cvt_f32_u32_sdwa v20, v11 dst_sel:DWORD dst_unused:UNUSED_PAD src0_sel:WORD_0
	v_mul_f32_e32 v16, 0x45800000, v15
	v_cndmask_b32_e32 v18, v15, v16, vcc
	v_cvt_f32_u32_sdwa v16, v10 dst_sel:DWORD dst_unused:UNUSED_PAD src0_sel:WORD_0
	v_mov_b32_e32 v19, v18
	;;#ASMSTART
	v_pk_mul_f32 v[2:3], v[2:3], v[18:19]
	;;#ASMEND
	;;#ASMSTART
	v_pk_mul_f32 v[4:5], v[4:5], v[18:19]
	;;#ASMEND
	v_pk_add_f32 v[10:11], v[16:17], 1.0 op_sel_hi:[1,0]
	v_cvt_f32_u32_sdwa v17, v12 dst_sel:DWORD dst_unused:UNUSED_PAD src0_sel:WORD_1
	v_cvt_f32_u32_sdwa v16, v12 dst_sel:DWORD dst_unused:UNUSED_PAD src0_sel:WORD_0
	;;#ASMSTART
	v_pk_mul_f32 v[6:7], v[6:7], v[18:19]
	;;#ASMEND
	;;#ASMSTART
	v_pk_mul_f32 v[8:9], v[8:9], v[18:19]
	;;#ASMEND
	v_cvt_f32_u32_sdwa v19, v13 dst_sel:DWORD dst_unused:UNUSED_PAD src0_sel:WORD_1
	v_cvt_f32_u32_sdwa v18, v13 dst_sel:DWORD dst_unused:UNUSED_PAD src0_sel:WORD_0
	;;#ASMSTART
	v_pk_mul_f32 v[2:3], v[2:3], v[10:11]
	;;#ASMEND
	v_pk_add_f32 v[10:11], v[20:21], 1.0 op_sel_hi:[1,0]
	;;#ASMSTART
	v_pk_mul_f32 v[4:5], v[4:5], v[10:11]
	;;#ASMEND
	v_pk_add_f32 v[10:11], v[16:17], 1.0 op_sel_hi:[1,0]
	;;#ASMSTART
	v_pk_mul_f32 v[6:7], v[6:7], v[10:11]
	;;#ASMEND
	v_pk_add_f32 v[10:11], v[18:19], 1.0 op_sel_hi:[1,0]
	;;#ASMSTART
	v_pk_mul_f32 v[8:9], v[8:9], v[10:11]
	;;#ASMEND
	s_or_b64 exec, exec, s[22:23]
	s_mov_b64 s[22:23], -1
	s_and_b64 vcc, exec, s[18:19]
	s_cbranch_vccz .LBB146_13
.LBB146_17:
	s_and_saveexec_b64 s[18:19], s[0:1]
	s_cbranch_execz .LBB146_19
; %bb.18:
	s_mul_hi_i32 s23, s21, s6
	s_mul_i32 s22, s21, s6
	s_lshl_b64 s[22:23], s[22:23], 1
	s_add_u32 s24, s10, s22
	s_addc_u32 s7, s11, s23
	s_and_b32 s25, s7, 0xffff
	s_mov_b32 s7, 0x7060302
	s_mov_b32 s27, 0x20000
	s_waitcnt vmcnt(0)
	v_perm_b32 v10, v3, v2, s7
	v_perm_b32 v11, v5, v4, s7
	;; [unrolled: 1-line block ×4, first 2 shown]
	v_lshlrev_b32_e32 v15, 4, v0
	buffer_store_dwordx4 v[10:13], v15, s[24:27], 0 offen
	;;#ASMSTART
	s_nop 0
	;;#ASMEND
.LBB146_19:
	s_or_b64 exec, exec, s[18:19]
	s_cbranch_execnz .LBB146_14
.LBB146_20:
	s_and_saveexec_b64 s[18:19], s[0:1]
	s_cbranch_execz .LBB146_22
; %bb.21:
	s_load_dwordx2 s[0:1], s[4:5], 0x10
	s_mul_hi_i32 s23, s20, s6
	s_mul_i32 s22, s20, s6
	s_lshl_b64 s[22:23], s[22:23], 1
	s_mov_b32 s27, 0x20000
	s_waitcnt lgkmcnt(0)
	s_add_u32 s24, s0, s22
	s_addc_u32 s0, s1, s23
	s_and_b32 s25, s0, 0xffff
	s_mov_b32 s0, 0x7060302
	v_perm_b32 v2, v3, v2, s0
	v_perm_b32 v3, v5, v4, s0
	;; [unrolled: 1-line block ×4, first 2 shown]
	v_lshlrev_b32_e32 v6, 4, v0
	buffer_store_dwordx4 v[2:5], v6, s[24:27], 0 offen
	;;#ASMSTART
	s_nop 0
	;;#ASMEND
.LBB146_22:
	s_or_b64 exec, exec, s[18:19]
	s_cmp_lt_i32 s12, 1
	s_cbranch_scc1 .LBB146_15
.LBB146_23:
	s_load_dword s0, s[4:5], 0x94
	s_waitcnt lgkmcnt(0)
	s_cmp_lg_u32 s0, 1
	s_cbranch_scc1 .LBB146_15
; %bb.24:
	s_lshl_b32 s0, s12, 1
	s_add_i32 s0, s0, 2
	v_cmp_gt_u32_e32 vcc, s12, v1
	s_and_b32 s18, s0, -4
	v_mov_b32_e32 v4, 0
	s_waitcnt vmcnt(0)
	v_lshlrev_b32_e32 v12, 4, v0
	v_mov_b32_e32 v5, 0
	v_mov_b32_e32 v6, 0
	;; [unrolled: 1-line block ×7, first 2 shown]
	s_barrier
	s_and_saveexec_b64 s[0:1], vcc
	s_cbranch_execz .LBB146_26
; %bb.25:
	s_mul_hi_i32 s5, s14, s6
	s_mul_i32 s4, s14, s6
	s_and_b32 s17, s17, 0xffff
	s_lshl_b64 s[4:5], s[4:5], 1
	s_add_u32 s24, s2, s4
	s_mov_b32 s19, 0x20000
	s_addc_u32 s2, s3, s5
	s_and_b32 s25, s2, 0xffff
	s_mov_b32 s26, s18
	s_mov_b32 s27, s19
	buffer_load_dwordx4 v[4:7], v12, s[24:27], 0 offen glc slc
	buffer_load_dwordx4 v[0:3], v12, s[16:19], 0 offen
.LBB146_26:
	s_or_b64 exec, exec, s[0:1]
	s_waitcnt vmcnt(1)
	v_cvt_f32_u32_sdwa v11, v4 dst_sel:DWORD dst_unused:UNUSED_PAD src0_sel:WORD_1
	v_cvt_f32_u32_sdwa v10, v4 dst_sel:DWORD dst_unused:UNUSED_PAD src0_sel:WORD_0
	v_cvt_f32_u32_sdwa v4, v7 dst_sel:DWORD dst_unused:UNUSED_PAD src0_sel:WORD_1
	v_cvt_f32_u32_sdwa v7, v7 dst_sel:DWORD dst_unused:UNUSED_PAD src0_sel:WORD_0
	;; [unrolled: 2-line block ×4, first 2 shown]
	v_cndmask_b32_e32 v11, 0, v11, vcc
	v_cndmask_b32_e32 v5, 0, v4, vcc
	;; [unrolled: 1-line block ×5, first 2 shown]
	v_mul_f32_e32 v13, v11, v11
	v_cndmask_b32_e32 v8, 0, v8, vcc
	v_fmac_f32_e32 v13, v10, v10
	v_cndmask_b32_e32 v9, 0, v9, vcc
	v_fmac_f32_e32 v13, v8, v8
	;; [unrolled: 2-line block ×3, first 2 shown]
	v_fmac_f32_e32 v13, v6, v6
	v_fmac_f32_e32 v13, v7, v7
	v_fmac_f32_e32 v13, v4, v4
	v_fmac_f32_e32 v13, v5, v5
	s_nop 1
	v_mov_b32_dpp v15, v13 quad_perm:[1,0,3,2] row_mask:0xf bank_mask:0xf
	v_add_f32_e32 v13, v13, v15
	s_nop 1
	v_mov_b32_dpp v15, v13 quad_perm:[2,3,0,1] row_mask:0xf bank_mask:0xf
	v_add_f32_e32 v13, v13, v15
	s_nop 1
	v_mov_b32_dpp v15, v13 row_half_mirror row_mask:0xf bank_mask:0xf
	v_add_f32_e32 v13, v13, v15
	s_nop 1
	v_mov_b32_dpp v15, v13 row_mirror row_mask:0xf bank_mask:0xf
	v_add_f32_e32 v13, v13, v15
	s_nop 1
	v_mov_b32_dpp v15, v13 row_bcast:15 row_mask:0xf bank_mask:0xf
	v_add_f32_e32 v13, v13, v15
	s_nop 1
	v_mov_b32_dpp v15, v13 row_bcast:31 row_mask:0xf bank_mask:0xf
	v_add_f32_e32 v13, v13, v15
	ds_bpermute_b32 v13, v14, v13
	s_and_saveexec_b64 s[0:1], vcc
	s_cbranch_execz .LBB146_15
; %bb.27:
	v_cvt_f32_u32_e32 v14, s12
	s_mov_b32 s19, 0x20000
	s_waitcnt lgkmcnt(0)
	v_div_scale_f32 v15, s[0:1], v14, v14, v13
	v_rcp_f32_e32 v16, v15
	v_div_scale_f32 v17, vcc, v13, v14, v13
	s_mov_b32 s0, 0x800000
	v_fma_f32 v18, -v15, v16, 1.0
	v_fmac_f32_e32 v16, v18, v16
	v_mul_f32_e32 v18, v17, v16
	v_fma_f32 v19, -v15, v18, v17
	v_fmac_f32_e32 v18, v19, v16
	v_fma_f32 v15, -v15, v18, v17
	v_div_fmas_f32 v15, v15, v16, v18
	v_div_fixup_f32 v13, v15, v14, v13
	v_add_f32_e32 v13, s9, v13
	v_mul_f32_e32 v14, 0x4b800000, v13
	v_cmp_gt_f32_e32 vcc, s0, v13
	v_cndmask_b32_e32 v13, v13, v14, vcc
	v_rsq_f32_e32 v13, v13
	s_waitcnt vmcnt(0)
	v_cvt_f32_u32_sdwa v15, v0 dst_sel:DWORD dst_unused:UNUSED_PAD src0_sel:WORD_1
	v_cvt_f32_u32_sdwa v19, v1 dst_sel:DWORD dst_unused:UNUSED_PAD src0_sel:WORD_1
	v_cvt_f32_u32_sdwa v18, v1 dst_sel:DWORD dst_unused:UNUSED_PAD src0_sel:WORD_0
	v_mul_f32_e32 v14, 0x45800000, v13
	v_cndmask_b32_e32 v16, v13, v14, vcc
	v_cvt_f32_u32_sdwa v14, v0 dst_sel:DWORD dst_unused:UNUSED_PAD src0_sel:WORD_0
	v_mov_b32_e32 v17, v16
	;;#ASMSTART
	v_pk_mul_f32 v[10:11], v[10:11], v[16:17]
	;;#ASMEND
	;;#ASMSTART
	v_pk_mul_f32 v[8:9], v[8:9], v[16:17]
	;;#ASMEND
	;; [unrolled: 3-line block ×4, first 2 shown]
	v_pk_add_f32 v[4:5], v[14:15], 1.0 op_sel_hi:[1,0]
	v_cvt_f32_u32_sdwa v15, v2 dst_sel:DWORD dst_unused:UNUSED_PAD src0_sel:WORD_1
	v_cvt_f32_u32_sdwa v14, v2 dst_sel:DWORD dst_unused:UNUSED_PAD src0_sel:WORD_0
	v_cvt_f32_u32_sdwa v17, v3 dst_sel:DWORD dst_unused:UNUSED_PAD src0_sel:WORD_1
	v_cvt_f32_u32_sdwa v16, v3 dst_sel:DWORD dst_unused:UNUSED_PAD src0_sel:WORD_0
	s_mul_hi_i32 s1, s21, s6
	s_mul_i32 s0, s21, s6
	s_lshl_b64 s[0:1], s[0:1], 1
	s_add_u32 s16, s10, s0
	;;#ASMSTART
	v_pk_mul_f32 v[4:5], v[10:11], v[4:5]
	;;#ASMEND
	v_pk_add_f32 v[10:11], v[18:19], 1.0 op_sel_hi:[1,0]
	;;#ASMSTART
	v_pk_mul_f32 v[2:3], v[8:9], v[10:11]
	;;#ASMEND
	v_pk_add_f32 v[8:9], v[14:15], 1.0 op_sel_hi:[1,0]
	s_addc_u32 s0, s11, s1
	;;#ASMSTART
	v_pk_mul_f32 v[6:7], v[6:7], v[8:9]
	;;#ASMEND
	v_pk_add_f32 v[8:9], v[16:17], 1.0 op_sel_hi:[1,0]
	s_and_b32 s17, s0, 0xffff
	s_mov_b32 s0, 0x7060302
	;;#ASMSTART
	v_pk_mul_f32 v[8:9], v[0:1], v[8:9]
	;;#ASMEND
	v_perm_b32 v0, v5, v4, s0
	v_perm_b32 v1, v3, v2, s0
	;; [unrolled: 1-line block ×4, first 2 shown]
	buffer_store_dwordx4 v[0:3], v12, s[16:19], 0 offen
	;;#ASMSTART
	s_nop 0
	;;#ASMEND
	s_endpgm
	.section	.rodata,"a",@progbits
	.p2align	6, 0x0
	.amdhsa_kernel _ZN5aiter35fused_qk_rmsnorm_group_quant_kernelItDB8_Li64ELi8ELi8ELb1ELb1ELb1ELb1ELb0ELb0EEEvPT0_PvPT_S6_S6_PKS5_S8_S8_S8_S8_ffiiiiiiiiiiiii
		.amdhsa_group_segment_fixed_size 0
		.amdhsa_private_segment_fixed_size 0
		.amdhsa_kernarg_size 400
		.amdhsa_user_sgpr_count 6
		.amdhsa_user_sgpr_private_segment_buffer 1
		.amdhsa_user_sgpr_dispatch_ptr 0
		.amdhsa_user_sgpr_queue_ptr 0
		.amdhsa_user_sgpr_kernarg_segment_ptr 1
		.amdhsa_user_sgpr_dispatch_id 0
		.amdhsa_user_sgpr_flat_scratch_init 0
		.amdhsa_user_sgpr_kernarg_preload_length 0
		.amdhsa_user_sgpr_kernarg_preload_offset 0
		.amdhsa_user_sgpr_private_segment_size 0
		.amdhsa_uses_dynamic_stack 0
		.amdhsa_system_sgpr_private_segment_wavefront_offset 0
		.amdhsa_system_sgpr_workgroup_id_x 1
		.amdhsa_system_sgpr_workgroup_id_y 1
		.amdhsa_system_sgpr_workgroup_id_z 0
		.amdhsa_system_sgpr_workgroup_info 0
		.amdhsa_system_vgpr_workitem_id 0
		.amdhsa_next_free_vgpr 27
		.amdhsa_next_free_sgpr 44
		.amdhsa_accum_offset 28
		.amdhsa_reserve_vcc 1
		.amdhsa_reserve_flat_scratch 0
		.amdhsa_float_round_mode_32 0
		.amdhsa_float_round_mode_16_64 0
		.amdhsa_float_denorm_mode_32 3
		.amdhsa_float_denorm_mode_16_64 3
		.amdhsa_dx10_clamp 1
		.amdhsa_ieee_mode 1
		.amdhsa_fp16_overflow 0
		.amdhsa_tg_split 0
		.amdhsa_exception_fp_ieee_invalid_op 0
		.amdhsa_exception_fp_denorm_src 0
		.amdhsa_exception_fp_ieee_div_zero 0
		.amdhsa_exception_fp_ieee_overflow 0
		.amdhsa_exception_fp_ieee_underflow 0
		.amdhsa_exception_fp_ieee_inexact 0
		.amdhsa_exception_int_div_zero 0
	.end_amdhsa_kernel
	.section	.text._ZN5aiter35fused_qk_rmsnorm_group_quant_kernelItDB8_Li64ELi8ELi8ELb1ELb1ELb1ELb1ELb0ELb0EEEvPT0_PvPT_S6_S6_PKS5_S8_S8_S8_S8_ffiiiiiiiiiiiii,"axG",@progbits,_ZN5aiter35fused_qk_rmsnorm_group_quant_kernelItDB8_Li64ELi8ELi8ELb1ELb1ELb1ELb1ELb0ELb0EEEvPT0_PvPT_S6_S6_PKS5_S8_S8_S8_S8_ffiiiiiiiiiiiii,comdat
.Lfunc_end146:
	.size	_ZN5aiter35fused_qk_rmsnorm_group_quant_kernelItDB8_Li64ELi8ELi8ELb1ELb1ELb1ELb1ELb0ELb0EEEvPT0_PvPT_S6_S6_PKS5_S8_S8_S8_S8_ffiiiiiiiiiiiii, .Lfunc_end146-_ZN5aiter35fused_qk_rmsnorm_group_quant_kernelItDB8_Li64ELi8ELi8ELb1ELb1ELb1ELb1ELb0ELb0EEEvPT0_PvPT_S6_S6_PKS5_S8_S8_S8_S8_ffiiiiiiiiiiiii
                                        ; -- End function
	.section	.AMDGPU.csdata,"",@progbits
; Kernel info:
; codeLenInByte = 2396
; NumSgprs: 48
; NumVgprs: 27
; NumAgprs: 0
; TotalNumVgprs: 27
; ScratchSize: 0
; MemoryBound: 0
; FloatMode: 240
; IeeeMode: 1
; LDSByteSize: 0 bytes/workgroup (compile time only)
; SGPRBlocks: 5
; VGPRBlocks: 3
; NumSGPRsForWavesPerEU: 48
; NumVGPRsForWavesPerEU: 27
; AccumOffset: 28
; Occupancy: 8
; WaveLimiterHint : 0
; COMPUTE_PGM_RSRC2:SCRATCH_EN: 0
; COMPUTE_PGM_RSRC2:USER_SGPR: 6
; COMPUTE_PGM_RSRC2:TRAP_HANDLER: 0
; COMPUTE_PGM_RSRC2:TGID_X_EN: 1
; COMPUTE_PGM_RSRC2:TGID_Y_EN: 1
; COMPUTE_PGM_RSRC2:TGID_Z_EN: 0
; COMPUTE_PGM_RSRC2:TIDIG_COMP_CNT: 0
; COMPUTE_PGM_RSRC3_GFX90A:ACCUM_OFFSET: 6
; COMPUTE_PGM_RSRC3_GFX90A:TG_SPLIT: 0
	.section	.text._ZN5aiter35fused_qk_rmsnorm_group_quant_kernelIDF16_N4opus5fp4_tELi64ELi8ELi8ELb1ELb1ELb1ELb1ELb0ELb0EEEvPT0_PvPT_S7_S7_PKS6_S9_S9_S9_S9_ffiiiiiiiiiiiii,"axG",@progbits,_ZN5aiter35fused_qk_rmsnorm_group_quant_kernelIDF16_N4opus5fp4_tELi64ELi8ELi8ELb1ELb1ELb1ELb1ELb0ELb0EEEvPT0_PvPT_S7_S7_PKS6_S9_S9_S9_S9_ffiiiiiiiiiiiii,comdat
	.protected	_ZN5aiter35fused_qk_rmsnorm_group_quant_kernelIDF16_N4opus5fp4_tELi64ELi8ELi8ELb1ELb1ELb1ELb1ELb0ELb0EEEvPT0_PvPT_S7_S7_PKS6_S9_S9_S9_S9_ffiiiiiiiiiiiii ; -- Begin function _ZN5aiter35fused_qk_rmsnorm_group_quant_kernelIDF16_N4opus5fp4_tELi64ELi8ELi8ELb1ELb1ELb1ELb1ELb0ELb0EEEvPT0_PvPT_S7_S7_PKS6_S9_S9_S9_S9_ffiiiiiiiiiiiii
	.globl	_ZN5aiter35fused_qk_rmsnorm_group_quant_kernelIDF16_N4opus5fp4_tELi64ELi8ELi8ELb1ELb1ELb1ELb1ELb0ELb0EEEvPT0_PvPT_S7_S7_PKS6_S9_S9_S9_S9_ffiiiiiiiiiiiii
	.p2align	8
	.type	_ZN5aiter35fused_qk_rmsnorm_group_quant_kernelIDF16_N4opus5fp4_tELi64ELi8ELi8ELb1ELb1ELb1ELb1ELb0ELb0EEEvPT0_PvPT_S7_S7_PKS6_S9_S9_S9_S9_ffiiiiiiiiiiiii,@function
_ZN5aiter35fused_qk_rmsnorm_group_quant_kernelIDF16_N4opus5fp4_tELi64ELi8ELi8ELb1ELb1ELb1ELb1ELb0ELb0EEEvPT0_PvPT_S7_S7_PKS6_S9_S9_S9_S9_ffiiiiiiiiiiiii: ; @_ZN5aiter35fused_qk_rmsnorm_group_quant_kernelIDF16_N4opus5fp4_tELi64ELi8ELi8ELb1ELb1ELb1ELb1ELb0ELb0EEEvPT0_PvPT_S7_S7_PKS6_S9_S9_S9_S9_ffiiiiiiiiiiiii
; %bb.0:
	s_load_dwordx8 s[8:15], s[4:5], 0x50
	s_waitcnt lgkmcnt(0)
	s_cmp_ge_i32 s6, s10
	s_cbranch_scc1 .LBB147_15
; %bb.1:
	s_cmp_lg_u32 s7, 0
	s_cselect_b64 s[18:19], -1, 0
	s_cmp_eq_u32 s7, 0
	s_cselect_b64 s[20:21], -1, 0
	s_and_b64 s[0:1], s[20:21], exec
	s_cselect_b32 s7, s11, s12
	s_load_dwordx2 s[2:3], s[4:5], 0x30
	s_load_dwordx2 s[16:17], s[4:5], 0x48
	s_add_i32 s0, s7, 1
	s_lshr_b32 s1, s0, 31
	s_add_i32 s0, s0, s1
	s_lshl_b32 s0, s0, 1
	v_lshlrev_b32_e32 v1, 3, v0
	s_and_b32 s26, s0, -4
	v_cmp_gt_i32_e64 s[0:1], s7, v1
	v_mov_b32_e32 v2, 0
	v_mov_b32_e32 v3, 0
	;; [unrolled: 1-line block ×8, first 2 shown]
	s_and_saveexec_b64 s[10:11], s[0:1]
	s_cbranch_execz .LBB147_3
; %bb.2:
	s_load_dwordx2 s[22:23], s[4:5], 0x28
	s_load_dwordx2 s[24:25], s[4:5], 0x40
	s_and_b64 s[28:29], s[20:21], exec
	s_cselect_b32 s13, s13, s14
	v_lshlrev_b32_e32 v10, 4, v0
	s_waitcnt lgkmcnt(0)
	s_cselect_b32 s27, s23, s3
	s_cselect_b32 s28, s22, s2
	s_mul_hi_i32 s23, s13, s6
	s_mul_i32 s22, s13, s6
	s_lshl_b64 s[22:23], s[22:23], 1
	s_add_u32 s28, s28, s22
	s_addc_u32 s13, s27, s23
	s_and_b64 s[20:21], s[20:21], exec
	s_mov_b32 s27, 0x20000
	s_cselect_b32 s24, s24, s16
	s_cselect_b32 s20, s25, s17
	s_and_b32 s29, s13, 0xffff
	s_mov_b32 s30, s26
	s_mov_b32 s31, s27
	s_and_b32 s25, s20, 0xffff
	buffer_load_dwordx4 v[6:9], v10, s[28:31], 0 offen glc slc
	buffer_load_dwordx4 v[2:5], v10, s[24:27], 0 offen
.LBB147_3:
	s_or_b64 exec, exec, s[10:11]
	s_load_dwordx4 s[20:23], s[4:5], 0x7c
	s_and_b64 vcc, exec, s[18:19]
	s_cbranch_vccz .LBB147_7
; %bb.4:
	v_mov_b32_e32 v13, 0
	v_mov_b32_e32 v12, 0
	;; [unrolled: 1-line block ×8, first 2 shown]
	s_and_saveexec_b64 s[10:11], s[0:1]
	s_cbranch_execz .LBB147_6
; %bb.5:
	s_waitcnt vmcnt(1)
	v_cvt_f32_f16_sdwa v11, v6 dst_sel:DWORD dst_unused:UNUSED_PAD src0_sel:WORD_1
	v_cvt_f32_f16_e32 v10, v6
	v_cvt_f32_f16_sdwa v17, v7 dst_sel:DWORD dst_unused:UNUSED_PAD src0_sel:WORD_1
	v_cvt_f32_f16_e32 v16, v7
	;; [unrolled: 2-line block ×4, first 2 shown]
.LBB147_6:
	s_or_b64 exec, exec, s[10:11]
	s_mov_b32 s13, s9
	s_cbranch_execz .LBB147_8
	s_branch .LBB147_11
.LBB147_7:
                                        ; implicit-def: $vgpr13
                                        ; implicit-def: $vgpr15
                                        ; implicit-def: $vgpr17
                                        ; implicit-def: $vgpr11
	s_mov_b32 s13, s9
.LBB147_8:
	v_mov_b32_e32 v13, 0
	v_mov_b32_e32 v12, 0
	;; [unrolled: 1-line block ×8, first 2 shown]
	s_and_saveexec_b64 s[10:11], s[0:1]
	s_cbranch_execz .LBB147_10
; %bb.9:
	s_load_dwordx2 s[24:25], s[4:5], 0x38
	s_mul_hi_i32 s29, s15, s6
	s_mul_i32 s28, s15, s6
	s_lshl_b64 s[28:29], s[28:29], 1
	s_mov_b32 s27, 0x20000
	s_waitcnt lgkmcnt(0)
	s_add_u32 s24, s24, s28
	s_addc_u32 s13, s25, s29
	s_and_b32 s25, s13, 0xffff
	v_lshlrev_b32_e32 v24, 4, v0
	buffer_load_dwordx4 v[10:13], v24, s[24:27], 0 offen glc slc
	s_waitcnt vmcnt(2)
	v_cvt_f32_f16_sdwa v15, v6 dst_sel:DWORD dst_unused:UNUSED_PAD src0_sel:WORD_1
	v_cvt_f32_f16_e32 v14, v6
	v_cvt_f32_f16_sdwa v17, v7 dst_sel:DWORD dst_unused:UNUSED_PAD src0_sel:WORD_1
	v_cvt_f32_f16_e32 v16, v7
	;; [unrolled: 2-line block ×4, first 2 shown]
	s_load_dwordx2 s[24:25], s[4:5], 0x20
	s_mul_hi_i32 s23, s22, s6
	s_mul_i32 s22, s22, s6
	s_lshl_b64 s[22:23], s[22:23], 1
	s_waitcnt lgkmcnt(0)
	s_add_u32 s24, s24, s22
	s_addc_u32 s13, s25, s23
	s_and_b32 s25, s13, 0xffff
	s_waitcnt vmcnt(0)
	v_cvt_f32_f16_e32 v8, v10
	v_cvt_f32_f16_sdwa v9, v10 dst_sel:DWORD dst_unused:UNUSED_PAD src0_sel:WORD_1
	v_cvt_f32_f16_e32 v20, v11
	v_cvt_f32_f16_sdwa v21, v11 dst_sel:DWORD dst_unused:UNUSED_PAD src0_sel:WORD_1
	v_cvt_f32_f16_e32 v22, v12
	v_cvt_f32_f16_sdwa v23, v12 dst_sel:DWORD dst_unused:UNUSED_PAD src0_sel:WORD_1
	v_cvt_f32_f16_e32 v12, v13
	v_cvt_f32_f16_sdwa v13, v13 dst_sel:DWORD dst_unused:UNUSED_PAD src0_sel:WORD_1
	v_pk_add_f32 v[10:11], v[14:15], v[8:9]
	v_pk_add_f32 v[16:17], v[16:17], v[20:21]
	;; [unrolled: 1-line block ×4, first 2 shown]
	v_cvt_f16_f32_e32 v6, v11
	v_cvt_f16_f32_e32 v7, v17
	;; [unrolled: 1-line block ×8, first 2 shown]
	v_pack_b32_f16 v9, v18, v9
	v_pack_b32_f16 v8, v19, v8
	;; [unrolled: 1-line block ×4, first 2 shown]
	buffer_store_dwordx4 v[6:9], v24, s[24:27], 0 offen glc slc
	;;#ASMSTART
	s_nop 0
	;;#ASMEND
.LBB147_10:
	s_or_b64 exec, exec, s[10:11]
	s_mov_b32 s13, s8
.LBB147_11:
	s_waitcnt vmcnt(1)
	v_mul_f32_e32 v6, v11, v11
	v_fmac_f32_e32 v6, v10, v10
	v_fmac_f32_e32 v6, v16, v16
	;; [unrolled: 1-line block ×7, first 2 shown]
	v_bfrev_b32_e32 v8, 0.5
	s_load_dwordx2 s[10:11], s[4:5], 0x18
	v_mov_b32_dpp v7, v6 quad_perm:[1,0,3,2] row_mask:0xf bank_mask:0xf
	v_add_f32_e32 v6, v6, v7
	s_nop 1
	v_mov_b32_dpp v7, v6 quad_perm:[2,3,0,1] row_mask:0xf bank_mask:0xf
	v_add_f32_e32 v6, v6, v7
	s_nop 1
	v_mov_b32_dpp v7, v6 row_half_mirror row_mask:0xf bank_mask:0xf
	v_add_f32_e32 v6, v6, v7
	s_nop 1
	v_mov_b32_dpp v7, v6 row_mirror row_mask:0xf bank_mask:0xf
	v_add_f32_e32 v6, v6, v7
	s_nop 1
	v_mov_b32_dpp v7, v6 row_bcast:15 row_mask:0xf bank_mask:0xf
	v_add_f32_e32 v6, v6, v7
	s_nop 1
	v_mov_b32_dpp v7, v6 row_bcast:31 row_mask:0xf bank_mask:0xf
	v_add_f32_e32 v6, v6, v7
	v_mbcnt_lo_u32_b32 v7, -1, 0
	v_mbcnt_hi_u32_b32 v7, -1, v7
	v_lshl_or_b32 v18, v7, 2, v8
	ds_bpermute_b32 v6, v18, v6
	s_waitcnt lgkmcnt(0)
	s_and_saveexec_b64 s[22:23], s[0:1]
	s_cbranch_execnz .LBB147_16
; %bb.12:
	s_or_b64 exec, exec, s[22:23]
	s_mov_b64 s[22:23], -1
	s_and_b64 vcc, exec, s[18:19]
	s_cbranch_vccnz .LBB147_17
.LBB147_13:
	s_andn2_b64 vcc, exec, s[22:23]
	s_cbranch_vccz .LBB147_20
.LBB147_14:
	s_cmp_lt_i32 s12, 1
	s_cbranch_scc0 .LBB147_23
.LBB147_15:
	s_endpgm
.LBB147_16:
	v_cvt_f32_u32_e32 v7, s7
	s_mov_b32 s7, 0x800000
	v_div_scale_f32 v8, s[24:25], v7, v7, v6
	v_rcp_f32_e32 v9, v8
	v_div_scale_f32 v19, vcc, v6, v7, v6
	v_fma_f32 v20, -v8, v9, 1.0
	v_fmac_f32_e32 v9, v20, v9
	v_mul_f32_e32 v20, v19, v9
	v_fma_f32 v21, -v8, v20, v19
	v_fmac_f32_e32 v20, v21, v9
	v_fma_f32 v8, -v8, v20, v19
	v_div_fmas_f32 v8, v8, v9, v20
	v_div_fixup_f32 v6, v8, v7, v6
	v_add_f32_e32 v6, s13, v6
	v_mul_f32_e32 v7, 0x4b800000, v6
	v_cmp_gt_f32_e32 vcc, s7, v6
	v_cndmask_b32_e32 v6, v6, v7, vcc
	v_rsq_f32_e32 v6, v6
	s_waitcnt vmcnt(0)
	v_cvt_f32_f16_sdwa v7, v2 dst_sel:DWORD dst_unused:UNUSED_PAD src0_sel:WORD_1
	v_cvt_f32_f16_sdwa v21, v3 dst_sel:DWORD dst_unused:UNUSED_PAD src0_sel:WORD_1
	v_cvt_f32_f16_e32 v20, v3
	v_mul_f32_e32 v8, 0x45800000, v6
	v_cndmask_b32_e32 v8, v6, v8, vcc
	v_mov_b32_e32 v9, v8
	;;#ASMSTART
	v_pk_mul_f32 v[10:11], v[10:11], v[8:9]
	;;#ASMEND
	;;#ASMSTART
	v_pk_mul_f32 v[16:17], v[16:17], v[8:9]
	;;#ASMEND
	;; [unrolled: 3-line block ×3, first 2 shown]
	v_cvt_f32_f16_e32 v6, v2
	;;#ASMSTART
	v_pk_mul_f32 v[2:3], v[12:13], v[8:9]
	;;#ASMEND
	v_cvt_f32_f16_sdwa v9, v4 dst_sel:DWORD dst_unused:UNUSED_PAD src0_sel:WORD_1
	v_cvt_f32_f16_e32 v8, v4
	v_cvt_f32_f16_sdwa v13, v5 dst_sel:DWORD dst_unused:UNUSED_PAD src0_sel:WORD_1
	v_cvt_f32_f16_e32 v12, v5
	v_pk_add_f32 v[6:7], v[6:7], 1.0 op_sel_hi:[1,0]
	v_pk_add_f32 v[4:5], v[8:9], 1.0 op_sel_hi:[1,0]
	;;#ASMSTART
	v_pk_mul_f32 v[10:11], v[10:11], v[6:7]
	;;#ASMEND
	v_pk_add_f32 v[6:7], v[20:21], 1.0 op_sel_hi:[1,0]
	;;#ASMSTART
	v_pk_mul_f32 v[16:17], v[16:17], v[6:7]
	;;#ASMEND
	;;#ASMSTART
	v_pk_mul_f32 v[14:15], v[14:15], v[4:5]
	;;#ASMEND
	v_pk_add_f32 v[4:5], v[12:13], 1.0 op_sel_hi:[1,0]
	;;#ASMSTART
	v_pk_mul_f32 v[12:13], v[2:3], v[4:5]
	;;#ASMEND
	s_or_b64 exec, exec, s[22:23]
	s_mov_b64 s[22:23], -1
	s_and_b64 vcc, exec, s[18:19]
	s_cbranch_vccz .LBB147_13
.LBB147_17:
	s_and_saveexec_b64 s[18:19], s[0:1]
	s_cbranch_execz .LBB147_19
; %bb.18:
	s_mul_hi_i32 s23, s21, s6
	s_mul_i32 s22, s21, s6
	s_waitcnt vmcnt(0)
	v_cvt_f16_f32_e32 v2, v10
	v_cvt_f16_f32_e32 v3, v16
	;; [unrolled: 1-line block ×8, first 2 shown]
	s_lshl_b64 s[22:23], s[22:23], 1
	s_add_u32 s24, s10, s22
	s_addc_u32 s7, s11, s23
	s_and_b32 s25, s7, 0xffff
	s_mov_b32 s27, 0x20000
	v_pack_b32_f16 v5, v5, v6
	v_pack_b32_f16 v4, v4, v7
	;; [unrolled: 1-line block ×4, first 2 shown]
	v_lshlrev_b32_e32 v6, 4, v0
	buffer_store_dwordx4 v[2:5], v6, s[24:27], 0 offen
	;;#ASMSTART
	s_nop 0
	;;#ASMEND
.LBB147_19:
	s_or_b64 exec, exec, s[18:19]
	s_cbranch_execnz .LBB147_14
.LBB147_20:
	s_and_saveexec_b64 s[18:19], s[0:1]
	s_cbranch_execz .LBB147_22
; %bb.21:
	s_load_dwordx2 s[0:1], s[4:5], 0x10
	s_mul_hi_i32 s23, s20, s6
	s_mul_i32 s22, s20, s6
	s_waitcnt vmcnt(0)
	v_cvt_f16_f32_e32 v2, v10
	v_cvt_f16_f32_e32 v3, v16
	;; [unrolled: 1-line block ×8, first 2 shown]
	s_lshl_b64 s[22:23], s[22:23], 1
	s_waitcnt lgkmcnt(0)
	s_add_u32 s24, s0, s22
	s_addc_u32 s0, s1, s23
	s_mov_b32 s27, 0x20000
	s_and_b32 s25, s0, 0xffff
	v_pack_b32_f16 v5, v5, v6
	v_pack_b32_f16 v4, v4, v7
	;; [unrolled: 1-line block ×4, first 2 shown]
	v_lshlrev_b32_e32 v6, 4, v0
	buffer_store_dwordx4 v[2:5], v6, s[24:27], 0 offen
	;;#ASMSTART
	s_nop 0
	;;#ASMEND
.LBB147_22:
	s_or_b64 exec, exec, s[18:19]
	s_cmp_lt_i32 s12, 1
	s_cbranch_scc1 .LBB147_15
.LBB147_23:
	s_load_dword s0, s[4:5], 0x94
	s_waitcnt lgkmcnt(0)
	s_cmp_lg_u32 s0, 1
	s_cbranch_scc1 .LBB147_15
; %bb.24:
	s_lshl_b32 s0, s12, 1
	s_add_i32 s0, s0, 2
	v_cmp_gt_u32_e32 vcc, s12, v1
	s_and_b32 s18, s0, -4
	v_mov_b32_e32 v8, 0
	v_lshlrev_b32_e32 v16, 4, v0
	s_waitcnt vmcnt(0)
	v_mov_b32_e32 v4, 0
	v_mov_b32_e32 v5, 0
	;; [unrolled: 1-line block ×8, first 2 shown]
	s_barrier
	s_and_saveexec_b64 s[0:1], vcc
	s_cbranch_execz .LBB147_26
; %bb.25:
	s_mul_hi_i32 s5, s14, s6
	s_mul_i32 s4, s14, s6
	s_and_b32 s17, s17, 0xffff
	s_lshl_b64 s[4:5], s[4:5], 1
	s_add_u32 s24, s2, s4
	s_mov_b32 s19, 0x20000
	s_addc_u32 s2, s3, s5
	s_and_b32 s25, s2, 0xffff
	s_mov_b32 s26, s18
	s_mov_b32 s27, s19
	buffer_load_dwordx4 v[4:7], v16, s[24:27], 0 offen glc slc
	buffer_load_dwordx4 v[0:3], v16, s[16:19], 0 offen
.LBB147_26:
	s_or_b64 exec, exec, s[0:1]
	v_mov_b32_e32 v9, 0
	v_mov_b32_e32 v12, 0
	;; [unrolled: 1-line block ×7, first 2 shown]
	s_and_saveexec_b64 s[0:1], vcc
	s_cbranch_execz .LBB147_28
; %bb.27:
	s_waitcnt vmcnt(1)
	v_cvt_f32_f16_sdwa v9, v4 dst_sel:DWORD dst_unused:UNUSED_PAD src0_sel:WORD_1
	v_cvt_f32_f16_e32 v8, v4
	v_cvt_f32_f16_sdwa v13, v5 dst_sel:DWORD dst_unused:UNUSED_PAD src0_sel:WORD_1
	v_cvt_f32_f16_e32 v12, v5
	;; [unrolled: 2-line block ×4, first 2 shown]
.LBB147_28:
	s_or_b64 exec, exec, s[0:1]
	s_waitcnt vmcnt(1)
	v_mul_f32_e32 v4, v9, v9
	v_fmac_f32_e32 v4, v8, v8
	v_fmac_f32_e32 v4, v12, v12
	;; [unrolled: 1-line block ×7, first 2 shown]
	s_nop 1
	v_mov_b32_dpp v5, v4 quad_perm:[1,0,3,2] row_mask:0xf bank_mask:0xf
	v_add_f32_e32 v4, v4, v5
	s_nop 1
	v_mov_b32_dpp v5, v4 quad_perm:[2,3,0,1] row_mask:0xf bank_mask:0xf
	v_add_f32_e32 v4, v4, v5
	s_nop 1
	v_mov_b32_dpp v5, v4 row_half_mirror row_mask:0xf bank_mask:0xf
	v_add_f32_e32 v4, v4, v5
	s_nop 1
	v_mov_b32_dpp v5, v4 row_mirror row_mask:0xf bank_mask:0xf
	v_add_f32_e32 v4, v4, v5
	s_nop 1
	v_mov_b32_dpp v5, v4 row_bcast:15 row_mask:0xf bank_mask:0xf
	v_add_f32_e32 v4, v4, v5
	s_nop 1
	v_mov_b32_dpp v5, v4 row_bcast:31 row_mask:0xf bank_mask:0xf
	v_add_f32_e32 v4, v4, v5
	ds_bpermute_b32 v4, v18, v4
	s_and_saveexec_b64 s[0:1], vcc
	s_cbranch_execz .LBB147_15
; %bb.29:
	v_cvt_f32_u32_e32 v5, s12
	s_mov_b32 s19, 0x20000
	s_waitcnt lgkmcnt(0)
	v_div_scale_f32 v6, s[0:1], v5, v5, v4
	v_rcp_f32_e32 v7, v6
	v_div_scale_f32 v17, vcc, v4, v5, v4
	s_mov_b32 s0, 0x800000
	v_fma_f32 v18, -v6, v7, 1.0
	v_fmac_f32_e32 v7, v18, v7
	v_mul_f32_e32 v18, v17, v7
	v_fma_f32 v19, -v6, v18, v17
	v_fmac_f32_e32 v18, v19, v7
	v_fma_f32 v6, -v6, v18, v17
	v_div_fmas_f32 v6, v6, v7, v18
	v_div_fixup_f32 v4, v6, v5, v4
	v_add_f32_e32 v4, s9, v4
	v_mul_f32_e32 v5, 0x4b800000, v4
	v_cmp_gt_f32_e32 vcc, s0, v4
	v_cndmask_b32_e32 v4, v4, v5, vcc
	v_rsq_f32_e32 v4, v4
	s_waitcnt vmcnt(0)
	v_cvt_f32_f16_sdwa v5, v0 dst_sel:DWORD dst_unused:UNUSED_PAD src0_sel:WORD_1
	v_cvt_f32_f16_sdwa v19, v1 dst_sel:DWORD dst_unused:UNUSED_PAD src0_sel:WORD_1
	v_cvt_f32_f16_e32 v18, v1
	v_mul_f32_e32 v6, 0x45800000, v4
	v_cndmask_b32_e32 v6, v4, v6, vcc
	v_cvt_f32_f16_e32 v4, v0
	v_mov_b32_e32 v7, v6
	;;#ASMSTART
	v_pk_mul_f32 v[8:9], v[8:9], v[6:7]
	;;#ASMEND
	;;#ASMSTART
	v_pk_mul_f32 v[12:13], v[12:13], v[6:7]
	;;#ASMEND
	v_pk_add_f32 v[4:5], v[4:5], 1.0 op_sel_hi:[1,0]
	;;#ASMSTART
	v_pk_mul_f32 v[14:15], v[14:15], v[6:7]
	;;#ASMEND
	;;#ASMSTART
	v_pk_mul_f32 v[0:1], v[10:11], v[6:7]
	;;#ASMEND
	;; [unrolled: 3-line block ×3, first 2 shown]
	v_cvt_f32_f16_sdwa v9, v2 dst_sel:DWORD dst_unused:UNUSED_PAD src0_sel:WORD_1
	v_cvt_f32_f16_e32 v8, v2
	v_cvt_f32_f16_sdwa v11, v3 dst_sel:DWORD dst_unused:UNUSED_PAD src0_sel:WORD_1
	v_cvt_f32_f16_e32 v10, v3
	v_pk_add_f32 v[6:7], v[18:19], 1.0 op_sel_hi:[1,0]
	;;#ASMSTART
	v_pk_mul_f32 v[2:3], v[12:13], v[6:7]
	;;#ASMEND
	v_pk_add_f32 v[6:7], v[8:9], 1.0 op_sel_hi:[1,0]
	;;#ASMSTART
	v_pk_mul_f32 v[6:7], v[14:15], v[6:7]
	;;#ASMEND
	;; [unrolled: 4-line block ×3, first 2 shown]
	s_mul_hi_i32 s1, s21, s6
	s_mul_i32 s0, s21, s6
	v_cvt_f16_f32_e32 v4, v4
	v_cvt_f16_f32_e32 v5, v5
	v_cvt_f16_f32_e32 v2, v2
	v_cvt_f16_f32_e32 v3, v3
	v_cvt_f16_f32_e32 v6, v6
	v_cvt_f16_f32_e32 v7, v7
	v_cvt_f16_f32_e32 v8, v0
	v_cvt_f16_f32_e32 v9, v1
	s_lshl_b64 s[0:1], s[0:1], 1
	s_add_u32 s16, s10, s0
	s_addc_u32 s0, s11, s1
	s_and_b32 s17, s0, 0xffff
	v_pack_b32_f16 v0, v4, v5
	v_pack_b32_f16 v1, v2, v3
	;; [unrolled: 1-line block ×4, first 2 shown]
	buffer_store_dwordx4 v[0:3], v16, s[16:19], 0 offen
	;;#ASMSTART
	s_nop 0
	;;#ASMEND
	s_endpgm
	.section	.rodata,"a",@progbits
	.p2align	6, 0x0
	.amdhsa_kernel _ZN5aiter35fused_qk_rmsnorm_group_quant_kernelIDF16_N4opus5fp4_tELi64ELi8ELi8ELb1ELb1ELb1ELb1ELb0ELb0EEEvPT0_PvPT_S7_S7_PKS6_S9_S9_S9_S9_ffiiiiiiiiiiiii
		.amdhsa_group_segment_fixed_size 0
		.amdhsa_private_segment_fixed_size 0
		.amdhsa_kernarg_size 400
		.amdhsa_user_sgpr_count 6
		.amdhsa_user_sgpr_private_segment_buffer 1
		.amdhsa_user_sgpr_dispatch_ptr 0
		.amdhsa_user_sgpr_queue_ptr 0
		.amdhsa_user_sgpr_kernarg_segment_ptr 1
		.amdhsa_user_sgpr_dispatch_id 0
		.amdhsa_user_sgpr_flat_scratch_init 0
		.amdhsa_user_sgpr_kernarg_preload_length 0
		.amdhsa_user_sgpr_kernarg_preload_offset 0
		.amdhsa_user_sgpr_private_segment_size 0
		.amdhsa_uses_dynamic_stack 0
		.amdhsa_system_sgpr_private_segment_wavefront_offset 0
		.amdhsa_system_sgpr_workgroup_id_x 1
		.amdhsa_system_sgpr_workgroup_id_y 1
		.amdhsa_system_sgpr_workgroup_id_z 0
		.amdhsa_system_sgpr_workgroup_info 0
		.amdhsa_system_vgpr_workitem_id 0
		.amdhsa_next_free_vgpr 25
		.amdhsa_next_free_sgpr 32
		.amdhsa_accum_offset 28
		.amdhsa_reserve_vcc 1
		.amdhsa_reserve_flat_scratch 0
		.amdhsa_float_round_mode_32 0
		.amdhsa_float_round_mode_16_64 0
		.amdhsa_float_denorm_mode_32 3
		.amdhsa_float_denorm_mode_16_64 3
		.amdhsa_dx10_clamp 1
		.amdhsa_ieee_mode 1
		.amdhsa_fp16_overflow 0
		.amdhsa_tg_split 0
		.amdhsa_exception_fp_ieee_invalid_op 0
		.amdhsa_exception_fp_denorm_src 0
		.amdhsa_exception_fp_ieee_div_zero 0
		.amdhsa_exception_fp_ieee_overflow 0
		.amdhsa_exception_fp_ieee_underflow 0
		.amdhsa_exception_fp_ieee_inexact 0
		.amdhsa_exception_int_div_zero 0
	.end_amdhsa_kernel
	.section	.text._ZN5aiter35fused_qk_rmsnorm_group_quant_kernelIDF16_N4opus5fp4_tELi64ELi8ELi8ELb1ELb1ELb1ELb1ELb0ELb0EEEvPT0_PvPT_S7_S7_PKS6_S9_S9_S9_S9_ffiiiiiiiiiiiii,"axG",@progbits,_ZN5aiter35fused_qk_rmsnorm_group_quant_kernelIDF16_N4opus5fp4_tELi64ELi8ELi8ELb1ELb1ELb1ELb1ELb0ELb0EEEvPT0_PvPT_S7_S7_PKS6_S9_S9_S9_S9_ffiiiiiiiiiiiii,comdat
.Lfunc_end147:
	.size	_ZN5aiter35fused_qk_rmsnorm_group_quant_kernelIDF16_N4opus5fp4_tELi64ELi8ELi8ELb1ELb1ELb1ELb1ELb0ELb0EEEvPT0_PvPT_S7_S7_PKS6_S9_S9_S9_S9_ffiiiiiiiiiiiii, .Lfunc_end147-_ZN5aiter35fused_qk_rmsnorm_group_quant_kernelIDF16_N4opus5fp4_tELi64ELi8ELi8ELb1ELb1ELb1ELb1ELb0ELb0EEEvPT0_PvPT_S7_S7_PKS6_S9_S9_S9_S9_ffiiiiiiiiiiiii
                                        ; -- End function
	.section	.AMDGPU.csdata,"",@progbits
; Kernel info:
; codeLenInByte = 2352
; NumSgprs: 36
; NumVgprs: 25
; NumAgprs: 0
; TotalNumVgprs: 25
; ScratchSize: 0
; MemoryBound: 0
; FloatMode: 240
; IeeeMode: 1
; LDSByteSize: 0 bytes/workgroup (compile time only)
; SGPRBlocks: 4
; VGPRBlocks: 3
; NumSGPRsForWavesPerEU: 36
; NumVGPRsForWavesPerEU: 25
; AccumOffset: 28
; Occupancy: 8
; WaveLimiterHint : 0
; COMPUTE_PGM_RSRC2:SCRATCH_EN: 0
; COMPUTE_PGM_RSRC2:USER_SGPR: 6
; COMPUTE_PGM_RSRC2:TRAP_HANDLER: 0
; COMPUTE_PGM_RSRC2:TGID_X_EN: 1
; COMPUTE_PGM_RSRC2:TGID_Y_EN: 1
; COMPUTE_PGM_RSRC2:TGID_Z_EN: 0
; COMPUTE_PGM_RSRC2:TIDIG_COMP_CNT: 0
; COMPUTE_PGM_RSRC3_GFX90A:ACCUM_OFFSET: 6
; COMPUTE_PGM_RSRC3_GFX90A:TG_SPLIT: 0
	.section	.text._ZN5aiter35fused_qk_rmsnorm_group_quant_kernelItN4opus5fp4_tELi64ELi8ELi8ELb1ELb1ELb1ELb1ELb0ELb0EEEvPT0_PvPT_S7_S7_PKS6_S9_S9_S9_S9_ffiiiiiiiiiiiii,"axG",@progbits,_ZN5aiter35fused_qk_rmsnorm_group_quant_kernelItN4opus5fp4_tELi64ELi8ELi8ELb1ELb1ELb1ELb1ELb0ELb0EEEvPT0_PvPT_S7_S7_PKS6_S9_S9_S9_S9_ffiiiiiiiiiiiii,comdat
	.protected	_ZN5aiter35fused_qk_rmsnorm_group_quant_kernelItN4opus5fp4_tELi64ELi8ELi8ELb1ELb1ELb1ELb1ELb0ELb0EEEvPT0_PvPT_S7_S7_PKS6_S9_S9_S9_S9_ffiiiiiiiiiiiii ; -- Begin function _ZN5aiter35fused_qk_rmsnorm_group_quant_kernelItN4opus5fp4_tELi64ELi8ELi8ELb1ELb1ELb1ELb1ELb0ELb0EEEvPT0_PvPT_S7_S7_PKS6_S9_S9_S9_S9_ffiiiiiiiiiiiii
	.globl	_ZN5aiter35fused_qk_rmsnorm_group_quant_kernelItN4opus5fp4_tELi64ELi8ELi8ELb1ELb1ELb1ELb1ELb0ELb0EEEvPT0_PvPT_S7_S7_PKS6_S9_S9_S9_S9_ffiiiiiiiiiiiii
	.p2align	8
	.type	_ZN5aiter35fused_qk_rmsnorm_group_quant_kernelItN4opus5fp4_tELi64ELi8ELi8ELb1ELb1ELb1ELb1ELb0ELb0EEEvPT0_PvPT_S7_S7_PKS6_S9_S9_S9_S9_ffiiiiiiiiiiiii,@function
_ZN5aiter35fused_qk_rmsnorm_group_quant_kernelItN4opus5fp4_tELi64ELi8ELi8ELb1ELb1ELb1ELb1ELb0ELb0EEEvPT0_PvPT_S7_S7_PKS6_S9_S9_S9_S9_ffiiiiiiiiiiiii: ; @_ZN5aiter35fused_qk_rmsnorm_group_quant_kernelItN4opus5fp4_tELi64ELi8ELi8ELb1ELb1ELb1ELb1ELb0ELb0EEEvPT0_PvPT_S7_S7_PKS6_S9_S9_S9_S9_ffiiiiiiiiiiiii
; %bb.0:
	s_load_dwordx8 s[8:15], s[4:5], 0x50
	s_waitcnt lgkmcnt(0)
	s_cmp_ge_i32 s6, s10
	s_cbranch_scc1 .LBB148_15
; %bb.1:
	s_cmp_lg_u32 s7, 0
	s_cselect_b64 s[18:19], -1, 0
	s_cmp_eq_u32 s7, 0
	s_cselect_b64 s[20:21], -1, 0
	s_and_b64 s[0:1], s[20:21], exec
	s_cselect_b32 s7, s11, s12
	s_load_dwordx2 s[2:3], s[4:5], 0x30
	s_load_dwordx2 s[16:17], s[4:5], 0x48
	s_add_i32 s0, s7, 1
	s_lshr_b32 s1, s0, 31
	s_add_i32 s0, s0, s1
	s_lshl_b32 s0, s0, 1
	v_lshlrev_b32_e32 v1, 3, v0
	s_and_b32 s26, s0, -4
	v_cmp_gt_i32_e64 s[0:1], s7, v1
	v_mov_b32_e32 v10, 0
	v_mov_b32_e32 v11, 0
	;; [unrolled: 1-line block ×8, first 2 shown]
	s_and_saveexec_b64 s[10:11], s[0:1]
	s_cbranch_execz .LBB148_3
; %bb.2:
	s_load_dwordx2 s[22:23], s[4:5], 0x28
	s_load_dwordx2 s[24:25], s[4:5], 0x40
	s_and_b64 s[28:29], s[20:21], exec
	s_cselect_b32 s13, s13, s14
	v_lshlrev_b32_e32 v2, 4, v0
	s_waitcnt lgkmcnt(0)
	s_cselect_b32 s27, s23, s3
	s_cselect_b32 s28, s22, s2
	s_mul_hi_i32 s23, s13, s6
	s_mul_i32 s22, s13, s6
	s_lshl_b64 s[22:23], s[22:23], 1
	s_add_u32 s28, s28, s22
	s_addc_u32 s13, s27, s23
	s_and_b64 s[20:21], s[20:21], exec
	s_mov_b32 s27, 0x20000
	s_cselect_b32 s24, s24, s16
	s_cselect_b32 s20, s25, s17
	s_and_b32 s29, s13, 0xffff
	s_mov_b32 s30, s26
	s_mov_b32 s31, s27
	s_and_b32 s25, s20, 0xffff
	buffer_load_dwordx4 v[14:17], v2, s[28:31], 0 offen glc slc
	buffer_load_dwordx4 v[10:13], v2, s[24:27], 0 offen
.LBB148_3:
	s_or_b64 exec, exec, s[10:11]
	s_load_dwordx4 s[20:23], s[4:5], 0x7c
	s_and_b64 vcc, exec, s[18:19]
	s_cbranch_vccz .LBB148_7
; %bb.4:
	s_mov_b32 s36, 0
	s_mov_b32 s37, s36
	;; [unrolled: 1-line block ×8, first 2 shown]
	v_pk_mov_b32 v[2:3], s[36:37], s[36:37] op_sel:[0,1]
	v_pk_mov_b32 v[4:5], s[38:39], s[38:39] op_sel:[0,1]
	;; [unrolled: 1-line block ×4, first 2 shown]
	s_and_saveexec_b64 s[10:11], s[0:1]
	s_cbranch_execz .LBB148_6
; %bb.5:
	s_waitcnt vmcnt(1)
	v_cvt_f32_u32_sdwa v3, v14 dst_sel:DWORD dst_unused:UNUSED_PAD src0_sel:WORD_1
	v_cvt_f32_u32_sdwa v2, v14 dst_sel:DWORD dst_unused:UNUSED_PAD src0_sel:WORD_0
	v_cvt_f32_u32_sdwa v5, v15 dst_sel:DWORD dst_unused:UNUSED_PAD src0_sel:WORD_1
	v_cvt_f32_u32_sdwa v4, v15 dst_sel:DWORD dst_unused:UNUSED_PAD src0_sel:WORD_0
	;; [unrolled: 2-line block ×4, first 2 shown]
.LBB148_6:
	s_or_b64 exec, exec, s[10:11]
	s_mov_b32 s13, s9
	s_cbranch_execz .LBB148_8
	s_branch .LBB148_11
.LBB148_7:
                                        ; implicit-def: $vgpr2_vgpr3_vgpr4_vgpr5_vgpr6_vgpr7_vgpr8_vgpr9
	s_mov_b32 s13, s9
.LBB148_8:
	s_mov_b32 s36, 0
	s_mov_b32 s37, s36
	;; [unrolled: 1-line block ×8, first 2 shown]
	v_pk_mov_b32 v[2:3], s[36:37], s[36:37] op_sel:[0,1]
	v_pk_mov_b32 v[4:5], s[38:39], s[38:39] op_sel:[0,1]
	;; [unrolled: 1-line block ×4, first 2 shown]
	s_and_saveexec_b64 s[10:11], s[0:1]
	s_cbranch_execz .LBB148_10
; %bb.9:
	s_load_dwordx2 s[24:25], s[4:5], 0x38
	s_mul_hi_i32 s29, s15, s6
	s_mul_i32 s28, s15, s6
	s_lshl_b64 s[28:29], s[28:29], 1
	s_mov_b32 s27, 0x20000
	s_waitcnt lgkmcnt(0)
	s_add_u32 s24, s24, s28
	s_addc_u32 s13, s25, s29
	s_and_b32 s25, s13, 0xffff
	v_lshlrev_b32_e32 v26, 4, v0
	buffer_load_dwordx4 v[2:5], v26, s[24:27], 0 offen glc slc
	s_load_dwordx2 s[24:25], s[4:5], 0x20
	s_waitcnt vmcnt(2)
	v_cvt_f32_u32_sdwa v7, v14 dst_sel:DWORD dst_unused:UNUSED_PAD src0_sel:WORD_1
	v_cvt_f32_u32_sdwa v6, v14 dst_sel:DWORD dst_unused:UNUSED_PAD src0_sel:WORD_0
	v_cvt_f32_u32_sdwa v9, v15 dst_sel:DWORD dst_unused:UNUSED_PAD src0_sel:WORD_1
	v_cvt_f32_u32_sdwa v8, v15 dst_sel:DWORD dst_unused:UNUSED_PAD src0_sel:WORD_0
	;; [unrolled: 2-line block ×4, first 2 shown]
	s_mul_hi_i32 s23, s22, s6
	s_mul_i32 s22, s22, s6
	s_lshl_b64 s[22:23], s[22:23], 1
	s_waitcnt lgkmcnt(0)
	s_add_u32 s24, s24, s22
	s_mov_b32 s13, 0x7060302
	s_addc_u32 s15, s25, s23
	s_and_b32 s25, s15, 0xffff
	s_waitcnt vmcnt(0)
	v_cvt_f32_u32_sdwa v17, v2 dst_sel:DWORD dst_unused:UNUSED_PAD src0_sel:WORD_1
	v_cvt_f32_u32_sdwa v16, v2 dst_sel:DWORD dst_unused:UNUSED_PAD src0_sel:WORD_0
	v_cvt_f32_u32_sdwa v21, v3 dst_sel:DWORD dst_unused:UNUSED_PAD src0_sel:WORD_1
	v_cvt_f32_u32_sdwa v20, v3 dst_sel:DWORD dst_unused:UNUSED_PAD src0_sel:WORD_0
	;; [unrolled: 2-line block ×4, first 2 shown]
	v_pk_add_f32 v[2:3], v[6:7], v[16:17]
	v_pk_add_f32 v[4:5], v[8:9], v[20:21]
	;; [unrolled: 1-line block ×4, first 2 shown]
	v_perm_b32 v17, v9, v8, s13
	v_perm_b32 v16, v7, v6, s13
	;; [unrolled: 1-line block ×4, first 2 shown]
	buffer_store_dwordx4 v[14:17], v26, s[24:27], 0 offen glc slc
	;;#ASMSTART
	s_nop 0
	;;#ASMEND
.LBB148_10:
	s_or_b64 exec, exec, s[10:11]
	s_mov_b32 s13, s8
.LBB148_11:
	s_waitcnt vmcnt(1)
	v_mul_f32_e32 v14, v3, v3
	v_fmac_f32_e32 v14, v2, v2
	v_fmac_f32_e32 v14, v4, v4
	;; [unrolled: 1-line block ×7, first 2 shown]
	v_bfrev_b32_e32 v16, 0.5
	s_load_dwordx2 s[10:11], s[4:5], 0x18
	v_mov_b32_dpp v15, v14 quad_perm:[1,0,3,2] row_mask:0xf bank_mask:0xf
	v_add_f32_e32 v14, v14, v15
	s_nop 1
	v_mov_b32_dpp v15, v14 quad_perm:[2,3,0,1] row_mask:0xf bank_mask:0xf
	v_add_f32_e32 v14, v14, v15
	s_nop 1
	v_mov_b32_dpp v15, v14 row_half_mirror row_mask:0xf bank_mask:0xf
	v_add_f32_e32 v14, v14, v15
	s_nop 1
	v_mov_b32_dpp v15, v14 row_mirror row_mask:0xf bank_mask:0xf
	v_add_f32_e32 v14, v14, v15
	s_nop 1
	v_mov_b32_dpp v15, v14 row_bcast:15 row_mask:0xf bank_mask:0xf
	v_add_f32_e32 v14, v14, v15
	s_nop 1
	v_mov_b32_dpp v15, v14 row_bcast:31 row_mask:0xf bank_mask:0xf
	v_add_f32_e32 v15, v14, v15
	v_mbcnt_lo_u32_b32 v14, -1, 0
	v_mbcnt_hi_u32_b32 v14, -1, v14
	v_lshl_or_b32 v14, v14, 2, v16
	ds_bpermute_b32 v15, v14, v15
	s_waitcnt lgkmcnt(0)
	s_and_saveexec_b64 s[22:23], s[0:1]
	s_cbranch_execnz .LBB148_16
; %bb.12:
	s_or_b64 exec, exec, s[22:23]
	s_mov_b64 s[22:23], -1
	s_and_b64 vcc, exec, s[18:19]
	s_cbranch_vccnz .LBB148_17
.LBB148_13:
	s_andn2_b64 vcc, exec, s[22:23]
	s_cbranch_vccz .LBB148_20
.LBB148_14:
	s_cmp_lt_i32 s12, 1
	s_cbranch_scc0 .LBB148_23
.LBB148_15:
	s_endpgm
.LBB148_16:
	v_cvt_f32_u32_e32 v16, s7
	s_mov_b32 s7, 0x800000
	v_div_scale_f32 v17, s[24:25], v16, v16, v15
	v_rcp_f32_e32 v18, v17
	v_div_scale_f32 v19, vcc, v15, v16, v15
	v_fma_f32 v20, -v17, v18, 1.0
	v_fmac_f32_e32 v18, v20, v18
	v_mul_f32_e32 v20, v19, v18
	v_fma_f32 v21, -v17, v20, v19
	v_fmac_f32_e32 v20, v21, v18
	v_fma_f32 v17, -v17, v20, v19
	v_div_fmas_f32 v17, v17, v18, v20
	v_div_fixup_f32 v15, v17, v16, v15
	v_add_f32_e32 v15, s13, v15
	v_mul_f32_e32 v16, 0x4b800000, v15
	v_cmp_gt_f32_e32 vcc, s7, v15
	v_cndmask_b32_e32 v15, v15, v16, vcc
	v_rsq_f32_e32 v15, v15
	s_waitcnt vmcnt(0)
	v_cvt_f32_u32_sdwa v17, v10 dst_sel:DWORD dst_unused:UNUSED_PAD src0_sel:WORD_1
	v_cvt_f32_u32_sdwa v21, v11 dst_sel:DWORD dst_unused:UNUSED_PAD src0_sel:WORD_1
	v_cvt_f32_u32_sdwa v20, v11 dst_sel:DWORD dst_unused:UNUSED_PAD src0_sel:WORD_0
	v_mul_f32_e32 v16, 0x45800000, v15
	v_cndmask_b32_e32 v18, v15, v16, vcc
	v_cvt_f32_u32_sdwa v16, v10 dst_sel:DWORD dst_unused:UNUSED_PAD src0_sel:WORD_0
	v_mov_b32_e32 v19, v18
	;;#ASMSTART
	v_pk_mul_f32 v[2:3], v[2:3], v[18:19]
	;;#ASMEND
	;;#ASMSTART
	v_pk_mul_f32 v[4:5], v[4:5], v[18:19]
	;;#ASMEND
	v_pk_add_f32 v[10:11], v[16:17], 1.0 op_sel_hi:[1,0]
	v_cvt_f32_u32_sdwa v17, v12 dst_sel:DWORD dst_unused:UNUSED_PAD src0_sel:WORD_1
	v_cvt_f32_u32_sdwa v16, v12 dst_sel:DWORD dst_unused:UNUSED_PAD src0_sel:WORD_0
	;;#ASMSTART
	v_pk_mul_f32 v[6:7], v[6:7], v[18:19]
	;;#ASMEND
	;;#ASMSTART
	v_pk_mul_f32 v[8:9], v[8:9], v[18:19]
	;;#ASMEND
	v_cvt_f32_u32_sdwa v19, v13 dst_sel:DWORD dst_unused:UNUSED_PAD src0_sel:WORD_1
	v_cvt_f32_u32_sdwa v18, v13 dst_sel:DWORD dst_unused:UNUSED_PAD src0_sel:WORD_0
	;;#ASMSTART
	v_pk_mul_f32 v[2:3], v[2:3], v[10:11]
	;;#ASMEND
	v_pk_add_f32 v[10:11], v[20:21], 1.0 op_sel_hi:[1,0]
	;;#ASMSTART
	v_pk_mul_f32 v[4:5], v[4:5], v[10:11]
	;;#ASMEND
	v_pk_add_f32 v[10:11], v[16:17], 1.0 op_sel_hi:[1,0]
	;;#ASMSTART
	v_pk_mul_f32 v[6:7], v[6:7], v[10:11]
	;;#ASMEND
	v_pk_add_f32 v[10:11], v[18:19], 1.0 op_sel_hi:[1,0]
	;;#ASMSTART
	v_pk_mul_f32 v[8:9], v[8:9], v[10:11]
	;;#ASMEND
	s_or_b64 exec, exec, s[22:23]
	s_mov_b64 s[22:23], -1
	s_and_b64 vcc, exec, s[18:19]
	s_cbranch_vccz .LBB148_13
.LBB148_17:
	s_and_saveexec_b64 s[18:19], s[0:1]
	s_cbranch_execz .LBB148_19
; %bb.18:
	s_mul_hi_i32 s23, s21, s6
	s_mul_i32 s22, s21, s6
	s_lshl_b64 s[22:23], s[22:23], 1
	s_add_u32 s24, s10, s22
	s_addc_u32 s7, s11, s23
	s_and_b32 s25, s7, 0xffff
	s_mov_b32 s7, 0x7060302
	s_mov_b32 s27, 0x20000
	s_waitcnt vmcnt(0)
	v_perm_b32 v10, v3, v2, s7
	v_perm_b32 v11, v5, v4, s7
	v_perm_b32 v12, v7, v6, s7
	v_perm_b32 v13, v9, v8, s7
	v_lshlrev_b32_e32 v15, 4, v0
	buffer_store_dwordx4 v[10:13], v15, s[24:27], 0 offen
	;;#ASMSTART
	s_nop 0
	;;#ASMEND
.LBB148_19:
	s_or_b64 exec, exec, s[18:19]
	s_cbranch_execnz .LBB148_14
.LBB148_20:
	s_and_saveexec_b64 s[18:19], s[0:1]
	s_cbranch_execz .LBB148_22
; %bb.21:
	s_load_dwordx2 s[0:1], s[4:5], 0x10
	s_mul_hi_i32 s23, s20, s6
	s_mul_i32 s22, s20, s6
	s_lshl_b64 s[22:23], s[22:23], 1
	s_mov_b32 s27, 0x20000
	s_waitcnt lgkmcnt(0)
	s_add_u32 s24, s0, s22
	s_addc_u32 s0, s1, s23
	s_and_b32 s25, s0, 0xffff
	s_mov_b32 s0, 0x7060302
	v_perm_b32 v2, v3, v2, s0
	v_perm_b32 v3, v5, v4, s0
	;; [unrolled: 1-line block ×4, first 2 shown]
	v_lshlrev_b32_e32 v6, 4, v0
	buffer_store_dwordx4 v[2:5], v6, s[24:27], 0 offen
	;;#ASMSTART
	s_nop 0
	;;#ASMEND
.LBB148_22:
	s_or_b64 exec, exec, s[18:19]
	s_cmp_lt_i32 s12, 1
	s_cbranch_scc1 .LBB148_15
.LBB148_23:
	s_load_dword s0, s[4:5], 0x94
	s_waitcnt lgkmcnt(0)
	s_cmp_lg_u32 s0, 1
	s_cbranch_scc1 .LBB148_15
; %bb.24:
	s_lshl_b32 s0, s12, 1
	s_add_i32 s0, s0, 2
	v_cmp_gt_u32_e32 vcc, s12, v1
	s_and_b32 s18, s0, -4
	v_mov_b32_e32 v4, 0
	s_waitcnt vmcnt(0)
	v_lshlrev_b32_e32 v12, 4, v0
	v_mov_b32_e32 v5, 0
	v_mov_b32_e32 v6, 0
	;; [unrolled: 1-line block ×7, first 2 shown]
	s_barrier
	s_and_saveexec_b64 s[0:1], vcc
	s_cbranch_execz .LBB148_26
; %bb.25:
	s_mul_hi_i32 s5, s14, s6
	s_mul_i32 s4, s14, s6
	s_and_b32 s17, s17, 0xffff
	s_lshl_b64 s[4:5], s[4:5], 1
	s_add_u32 s24, s2, s4
	s_mov_b32 s19, 0x20000
	s_addc_u32 s2, s3, s5
	s_and_b32 s25, s2, 0xffff
	s_mov_b32 s26, s18
	s_mov_b32 s27, s19
	buffer_load_dwordx4 v[4:7], v12, s[24:27], 0 offen glc slc
	buffer_load_dwordx4 v[0:3], v12, s[16:19], 0 offen
.LBB148_26:
	s_or_b64 exec, exec, s[0:1]
	s_waitcnt vmcnt(1)
	v_cvt_f32_u32_sdwa v11, v4 dst_sel:DWORD dst_unused:UNUSED_PAD src0_sel:WORD_1
	v_cvt_f32_u32_sdwa v10, v4 dst_sel:DWORD dst_unused:UNUSED_PAD src0_sel:WORD_0
	v_cvt_f32_u32_sdwa v4, v7 dst_sel:DWORD dst_unused:UNUSED_PAD src0_sel:WORD_1
	v_cvt_f32_u32_sdwa v7, v7 dst_sel:DWORD dst_unused:UNUSED_PAD src0_sel:WORD_0
	;; [unrolled: 2-line block ×4, first 2 shown]
	v_cndmask_b32_e32 v11, 0, v11, vcc
	v_cndmask_b32_e32 v5, 0, v4, vcc
	;; [unrolled: 1-line block ×5, first 2 shown]
	v_mul_f32_e32 v13, v11, v11
	v_cndmask_b32_e32 v8, 0, v8, vcc
	v_fmac_f32_e32 v13, v10, v10
	v_cndmask_b32_e32 v9, 0, v9, vcc
	v_fmac_f32_e32 v13, v8, v8
	;; [unrolled: 2-line block ×3, first 2 shown]
	v_fmac_f32_e32 v13, v6, v6
	v_fmac_f32_e32 v13, v7, v7
	;; [unrolled: 1-line block ×4, first 2 shown]
	s_nop 1
	v_mov_b32_dpp v15, v13 quad_perm:[1,0,3,2] row_mask:0xf bank_mask:0xf
	v_add_f32_e32 v13, v13, v15
	s_nop 1
	v_mov_b32_dpp v15, v13 quad_perm:[2,3,0,1] row_mask:0xf bank_mask:0xf
	v_add_f32_e32 v13, v13, v15
	s_nop 1
	v_mov_b32_dpp v15, v13 row_half_mirror row_mask:0xf bank_mask:0xf
	v_add_f32_e32 v13, v13, v15
	s_nop 1
	v_mov_b32_dpp v15, v13 row_mirror row_mask:0xf bank_mask:0xf
	v_add_f32_e32 v13, v13, v15
	s_nop 1
	v_mov_b32_dpp v15, v13 row_bcast:15 row_mask:0xf bank_mask:0xf
	v_add_f32_e32 v13, v13, v15
	s_nop 1
	v_mov_b32_dpp v15, v13 row_bcast:31 row_mask:0xf bank_mask:0xf
	v_add_f32_e32 v13, v13, v15
	ds_bpermute_b32 v13, v14, v13
	s_and_saveexec_b64 s[0:1], vcc
	s_cbranch_execz .LBB148_15
; %bb.27:
	v_cvt_f32_u32_e32 v14, s12
	s_mov_b32 s19, 0x20000
	s_waitcnt lgkmcnt(0)
	v_div_scale_f32 v15, s[0:1], v14, v14, v13
	v_rcp_f32_e32 v16, v15
	v_div_scale_f32 v17, vcc, v13, v14, v13
	s_mov_b32 s0, 0x800000
	v_fma_f32 v18, -v15, v16, 1.0
	v_fmac_f32_e32 v16, v18, v16
	v_mul_f32_e32 v18, v17, v16
	v_fma_f32 v19, -v15, v18, v17
	v_fmac_f32_e32 v18, v19, v16
	v_fma_f32 v15, -v15, v18, v17
	v_div_fmas_f32 v15, v15, v16, v18
	v_div_fixup_f32 v13, v15, v14, v13
	v_add_f32_e32 v13, s9, v13
	v_mul_f32_e32 v14, 0x4b800000, v13
	v_cmp_gt_f32_e32 vcc, s0, v13
	v_cndmask_b32_e32 v13, v13, v14, vcc
	v_rsq_f32_e32 v13, v13
	s_waitcnt vmcnt(0)
	v_cvt_f32_u32_sdwa v15, v0 dst_sel:DWORD dst_unused:UNUSED_PAD src0_sel:WORD_1
	v_cvt_f32_u32_sdwa v19, v1 dst_sel:DWORD dst_unused:UNUSED_PAD src0_sel:WORD_1
	v_cvt_f32_u32_sdwa v18, v1 dst_sel:DWORD dst_unused:UNUSED_PAD src0_sel:WORD_0
	v_mul_f32_e32 v14, 0x45800000, v13
	v_cndmask_b32_e32 v16, v13, v14, vcc
	v_cvt_f32_u32_sdwa v14, v0 dst_sel:DWORD dst_unused:UNUSED_PAD src0_sel:WORD_0
	v_mov_b32_e32 v17, v16
	;;#ASMSTART
	v_pk_mul_f32 v[10:11], v[10:11], v[16:17]
	;;#ASMEND
	;;#ASMSTART
	v_pk_mul_f32 v[8:9], v[8:9], v[16:17]
	;;#ASMEND
	;; [unrolled: 3-line block ×4, first 2 shown]
	v_pk_add_f32 v[4:5], v[14:15], 1.0 op_sel_hi:[1,0]
	v_cvt_f32_u32_sdwa v15, v2 dst_sel:DWORD dst_unused:UNUSED_PAD src0_sel:WORD_1
	v_cvt_f32_u32_sdwa v14, v2 dst_sel:DWORD dst_unused:UNUSED_PAD src0_sel:WORD_0
	v_cvt_f32_u32_sdwa v17, v3 dst_sel:DWORD dst_unused:UNUSED_PAD src0_sel:WORD_1
	v_cvt_f32_u32_sdwa v16, v3 dst_sel:DWORD dst_unused:UNUSED_PAD src0_sel:WORD_0
	s_mul_hi_i32 s1, s21, s6
	s_mul_i32 s0, s21, s6
	s_lshl_b64 s[0:1], s[0:1], 1
	s_add_u32 s16, s10, s0
	;;#ASMSTART
	v_pk_mul_f32 v[4:5], v[10:11], v[4:5]
	;;#ASMEND
	v_pk_add_f32 v[10:11], v[18:19], 1.0 op_sel_hi:[1,0]
	;;#ASMSTART
	v_pk_mul_f32 v[2:3], v[8:9], v[10:11]
	;;#ASMEND
	v_pk_add_f32 v[8:9], v[14:15], 1.0 op_sel_hi:[1,0]
	s_addc_u32 s0, s11, s1
	;;#ASMSTART
	v_pk_mul_f32 v[6:7], v[6:7], v[8:9]
	;;#ASMEND
	v_pk_add_f32 v[8:9], v[16:17], 1.0 op_sel_hi:[1,0]
	s_and_b32 s17, s0, 0xffff
	s_mov_b32 s0, 0x7060302
	;;#ASMSTART
	v_pk_mul_f32 v[8:9], v[0:1], v[8:9]
	;;#ASMEND
	v_perm_b32 v0, v5, v4, s0
	v_perm_b32 v1, v3, v2, s0
	;; [unrolled: 1-line block ×4, first 2 shown]
	buffer_store_dwordx4 v[0:3], v12, s[16:19], 0 offen
	;;#ASMSTART
	s_nop 0
	;;#ASMEND
	s_endpgm
	.section	.rodata,"a",@progbits
	.p2align	6, 0x0
	.amdhsa_kernel _ZN5aiter35fused_qk_rmsnorm_group_quant_kernelItN4opus5fp4_tELi64ELi8ELi8ELb1ELb1ELb1ELb1ELb0ELb0EEEvPT0_PvPT_S7_S7_PKS6_S9_S9_S9_S9_ffiiiiiiiiiiiii
		.amdhsa_group_segment_fixed_size 0
		.amdhsa_private_segment_fixed_size 0
		.amdhsa_kernarg_size 400
		.amdhsa_user_sgpr_count 6
		.amdhsa_user_sgpr_private_segment_buffer 1
		.amdhsa_user_sgpr_dispatch_ptr 0
		.amdhsa_user_sgpr_queue_ptr 0
		.amdhsa_user_sgpr_kernarg_segment_ptr 1
		.amdhsa_user_sgpr_dispatch_id 0
		.amdhsa_user_sgpr_flat_scratch_init 0
		.amdhsa_user_sgpr_kernarg_preload_length 0
		.amdhsa_user_sgpr_kernarg_preload_offset 0
		.amdhsa_user_sgpr_private_segment_size 0
		.amdhsa_uses_dynamic_stack 0
		.amdhsa_system_sgpr_private_segment_wavefront_offset 0
		.amdhsa_system_sgpr_workgroup_id_x 1
		.amdhsa_system_sgpr_workgroup_id_y 1
		.amdhsa_system_sgpr_workgroup_id_z 0
		.amdhsa_system_sgpr_workgroup_info 0
		.amdhsa_system_vgpr_workitem_id 0
		.amdhsa_next_free_vgpr 27
		.amdhsa_next_free_sgpr 44
		.amdhsa_accum_offset 28
		.amdhsa_reserve_vcc 1
		.amdhsa_reserve_flat_scratch 0
		.amdhsa_float_round_mode_32 0
		.amdhsa_float_round_mode_16_64 0
		.amdhsa_float_denorm_mode_32 3
		.amdhsa_float_denorm_mode_16_64 3
		.amdhsa_dx10_clamp 1
		.amdhsa_ieee_mode 1
		.amdhsa_fp16_overflow 0
		.amdhsa_tg_split 0
		.amdhsa_exception_fp_ieee_invalid_op 0
		.amdhsa_exception_fp_denorm_src 0
		.amdhsa_exception_fp_ieee_div_zero 0
		.amdhsa_exception_fp_ieee_overflow 0
		.amdhsa_exception_fp_ieee_underflow 0
		.amdhsa_exception_fp_ieee_inexact 0
		.amdhsa_exception_int_div_zero 0
	.end_amdhsa_kernel
	.section	.text._ZN5aiter35fused_qk_rmsnorm_group_quant_kernelItN4opus5fp4_tELi64ELi8ELi8ELb1ELb1ELb1ELb1ELb0ELb0EEEvPT0_PvPT_S7_S7_PKS6_S9_S9_S9_S9_ffiiiiiiiiiiiii,"axG",@progbits,_ZN5aiter35fused_qk_rmsnorm_group_quant_kernelItN4opus5fp4_tELi64ELi8ELi8ELb1ELb1ELb1ELb1ELb0ELb0EEEvPT0_PvPT_S7_S7_PKS6_S9_S9_S9_S9_ffiiiiiiiiiiiii,comdat
.Lfunc_end148:
	.size	_ZN5aiter35fused_qk_rmsnorm_group_quant_kernelItN4opus5fp4_tELi64ELi8ELi8ELb1ELb1ELb1ELb1ELb0ELb0EEEvPT0_PvPT_S7_S7_PKS6_S9_S9_S9_S9_ffiiiiiiiiiiiii, .Lfunc_end148-_ZN5aiter35fused_qk_rmsnorm_group_quant_kernelItN4opus5fp4_tELi64ELi8ELi8ELb1ELb1ELb1ELb1ELb0ELb0EEEvPT0_PvPT_S7_S7_PKS6_S9_S9_S9_S9_ffiiiiiiiiiiiii
                                        ; -- End function
	.section	.AMDGPU.csdata,"",@progbits
; Kernel info:
; codeLenInByte = 2396
; NumSgprs: 48
; NumVgprs: 27
; NumAgprs: 0
; TotalNumVgprs: 27
; ScratchSize: 0
; MemoryBound: 0
; FloatMode: 240
; IeeeMode: 1
; LDSByteSize: 0 bytes/workgroup (compile time only)
; SGPRBlocks: 5
; VGPRBlocks: 3
; NumSGPRsForWavesPerEU: 48
; NumVGPRsForWavesPerEU: 27
; AccumOffset: 28
; Occupancy: 8
; WaveLimiterHint : 0
; COMPUTE_PGM_RSRC2:SCRATCH_EN: 0
; COMPUTE_PGM_RSRC2:USER_SGPR: 6
; COMPUTE_PGM_RSRC2:TRAP_HANDLER: 0
; COMPUTE_PGM_RSRC2:TGID_X_EN: 1
; COMPUTE_PGM_RSRC2:TGID_Y_EN: 1
; COMPUTE_PGM_RSRC2:TGID_Z_EN: 0
; COMPUTE_PGM_RSRC2:TIDIG_COMP_CNT: 0
; COMPUTE_PGM_RSRC3_GFX90A:ACCUM_OFFSET: 6
; COMPUTE_PGM_RSRC3_GFX90A:TG_SPLIT: 0
	.section	.text._ZN5aiter35fused_qk_rmsnorm_group_quant_kernelIDF16_DB8_Li64ELi8ELi8ELb1ELb1ELb0ELb1ELb0ELb0EEEvPT0_PvPT_S6_S6_PKS5_S8_S8_S8_S8_ffiiiiiiiiiiiii,"axG",@progbits,_ZN5aiter35fused_qk_rmsnorm_group_quant_kernelIDF16_DB8_Li64ELi8ELi8ELb1ELb1ELb0ELb1ELb0ELb0EEEvPT0_PvPT_S6_S6_PKS5_S8_S8_S8_S8_ffiiiiiiiiiiiii,comdat
	.protected	_ZN5aiter35fused_qk_rmsnorm_group_quant_kernelIDF16_DB8_Li64ELi8ELi8ELb1ELb1ELb0ELb1ELb0ELb0EEEvPT0_PvPT_S6_S6_PKS5_S8_S8_S8_S8_ffiiiiiiiiiiiii ; -- Begin function _ZN5aiter35fused_qk_rmsnorm_group_quant_kernelIDF16_DB8_Li64ELi8ELi8ELb1ELb1ELb0ELb1ELb0ELb0EEEvPT0_PvPT_S6_S6_PKS5_S8_S8_S8_S8_ffiiiiiiiiiiiii
	.globl	_ZN5aiter35fused_qk_rmsnorm_group_quant_kernelIDF16_DB8_Li64ELi8ELi8ELb1ELb1ELb0ELb1ELb0ELb0EEEvPT0_PvPT_S6_S6_PKS5_S8_S8_S8_S8_ffiiiiiiiiiiiii
	.p2align	8
	.type	_ZN5aiter35fused_qk_rmsnorm_group_quant_kernelIDF16_DB8_Li64ELi8ELi8ELb1ELb1ELb0ELb1ELb0ELb0EEEvPT0_PvPT_S6_S6_PKS5_S8_S8_S8_S8_ffiiiiiiiiiiiii,@function
_ZN5aiter35fused_qk_rmsnorm_group_quant_kernelIDF16_DB8_Li64ELi8ELi8ELb1ELb1ELb0ELb1ELb0ELb0EEEvPT0_PvPT_S6_S6_PKS5_S8_S8_S8_S8_ffiiiiiiiiiiiii: ; @_ZN5aiter35fused_qk_rmsnorm_group_quant_kernelIDF16_DB8_Li64ELi8ELi8ELb1ELb1ELb0ELb1ELb0ELb0EEEvPT0_PvPT_S6_S6_PKS5_S8_S8_S8_S8_ffiiiiiiiiiiiii
; %bb.0:
	s_load_dwordx8 s[8:15], s[4:5], 0x50
	s_waitcnt lgkmcnt(0)
	s_cmp_ge_i32 s6, s10
	s_cbranch_scc1 .LBB149_15
; %bb.1:
	s_cmp_lg_u32 s7, 0
	s_cselect_b64 s[18:19], -1, 0
	s_cmp_eq_u32 s7, 0
	s_cselect_b64 s[20:21], -1, 0
	s_and_b64 s[0:1], s[20:21], exec
	s_cselect_b32 s7, s11, s12
	s_load_dwordx2 s[2:3], s[4:5], 0x30
	s_load_dwordx2 s[16:17], s[4:5], 0x48
	s_add_i32 s0, s7, 1
	s_lshr_b32 s1, s0, 31
	s_add_i32 s0, s0, s1
	s_lshl_b32 s0, s0, 1
	v_lshlrev_b32_e32 v1, 3, v0
	s_and_b32 s26, s0, -4
	v_cmp_gt_i32_e64 s[0:1], s7, v1
	v_mov_b32_e32 v2, 0
	v_mov_b32_e32 v3, 0
	v_mov_b32_e32 v4, 0
	v_mov_b32_e32 v5, 0
	v_mov_b32_e32 v6, 0
	v_mov_b32_e32 v7, 0
	v_mov_b32_e32 v8, 0
	v_mov_b32_e32 v9, 0
	s_and_saveexec_b64 s[10:11], s[0:1]
	s_cbranch_execz .LBB149_3
; %bb.2:
	s_load_dwordx2 s[22:23], s[4:5], 0x28
	s_load_dwordx2 s[24:25], s[4:5], 0x40
	s_and_b64 s[28:29], s[20:21], exec
	s_cselect_b32 s13, s13, s14
	v_lshlrev_b32_e32 v10, 4, v0
	s_waitcnt lgkmcnt(0)
	s_cselect_b32 s27, s23, s3
	s_cselect_b32 s28, s22, s2
	s_mul_hi_i32 s23, s13, s6
	s_mul_i32 s22, s13, s6
	s_lshl_b64 s[22:23], s[22:23], 1
	s_add_u32 s28, s28, s22
	s_addc_u32 s13, s27, s23
	s_and_b64 s[20:21], s[20:21], exec
	s_mov_b32 s27, 0x20000
	s_cselect_b32 s24, s24, s16
	s_cselect_b32 s20, s25, s17
	s_and_b32 s29, s13, 0xffff
	s_mov_b32 s30, s26
	s_mov_b32 s31, s27
	s_and_b32 s25, s20, 0xffff
	buffer_load_dwordx4 v[6:9], v10, s[28:31], 0 offen glc slc
	buffer_load_dwordx4 v[2:5], v10, s[24:27], 0 offen
.LBB149_3:
	s_or_b64 exec, exec, s[10:11]
	s_load_dwordx4 s[20:23], s[4:5], 0x7c
	s_and_b64 vcc, exec, s[18:19]
	s_cbranch_vccz .LBB149_7
; %bb.4:
	v_mov_b32_e32 v11, 0
	v_mov_b32_e32 v10, 0
	;; [unrolled: 1-line block ×8, first 2 shown]
	s_and_saveexec_b64 s[10:11], s[0:1]
	s_cbranch_execz .LBB149_6
; %bb.5:
	s_waitcnt vmcnt(1)
	v_cvt_f32_f16_sdwa v17, v6 dst_sel:DWORD dst_unused:UNUSED_PAD src0_sel:WORD_1
	v_cvt_f32_f16_e32 v16, v6
	v_cvt_f32_f16_sdwa v15, v7 dst_sel:DWORD dst_unused:UNUSED_PAD src0_sel:WORD_1
	v_cvt_f32_f16_e32 v14, v7
	;; [unrolled: 2-line block ×4, first 2 shown]
.LBB149_6:
	s_or_b64 exec, exec, s[10:11]
	s_mov_b32 s13, s9
	s_cbranch_execz .LBB149_8
	s_branch .LBB149_11
.LBB149_7:
                                        ; implicit-def: $vgpr11
                                        ; implicit-def: $vgpr13
                                        ; implicit-def: $vgpr15
                                        ; implicit-def: $vgpr17
	s_mov_b32 s13, s9
.LBB149_8:
	v_mov_b32_e32 v11, 0
	v_mov_b32_e32 v10, 0
	;; [unrolled: 1-line block ×8, first 2 shown]
	s_and_saveexec_b64 s[10:11], s[0:1]
	s_cbranch_execz .LBB149_10
; %bb.9:
	s_load_dwordx2 s[24:25], s[4:5], 0x38
	s_mul_hi_i32 s29, s15, s6
	s_mul_i32 s28, s15, s6
	s_lshl_b64 s[28:29], s[28:29], 1
	s_mov_b32 s27, 0x20000
	s_waitcnt lgkmcnt(0)
	s_add_u32 s24, s24, s28
	s_addc_u32 s13, s25, s29
	s_and_b32 s25, s13, 0xffff
	v_lshlrev_b32_e32 v26, 4, v0
	buffer_load_dwordx4 v[10:13], v26, s[24:27], 0 offen glc slc
	s_waitcnt vmcnt(2)
	v_cvt_f32_f16_sdwa v15, v6 dst_sel:DWORD dst_unused:UNUSED_PAD src0_sel:WORD_1
	v_cvt_f32_f16_e32 v14, v6
	v_cvt_f32_f16_sdwa v19, v7 dst_sel:DWORD dst_unused:UNUSED_PAD src0_sel:WORD_1
	v_cvt_f32_f16_e32 v18, v7
	;; [unrolled: 2-line block ×4, first 2 shown]
	s_load_dwordx2 s[24:25], s[4:5], 0x20
	s_mul_hi_i32 s23, s22, s6
	s_mul_i32 s22, s22, s6
	s_lshl_b64 s[22:23], s[22:23], 1
	s_waitcnt lgkmcnt(0)
	s_add_u32 s24, s24, s22
	s_addc_u32 s13, s25, s23
	s_and_b32 s25, s13, 0xffff
	s_waitcnt vmcnt(0)
	v_cvt_f32_f16_e32 v8, v10
	v_cvt_f32_f16_sdwa v9, v10 dst_sel:DWORD dst_unused:UNUSED_PAD src0_sel:WORD_1
	v_cvt_f32_f16_e32 v10, v11
	v_cvt_f32_f16_sdwa v11, v11 dst_sel:DWORD dst_unused:UNUSED_PAD src0_sel:WORD_1
	;; [unrolled: 2-line block ×4, first 2 shown]
	v_pk_add_f32 v[16:17], v[14:15], v[8:9]
	v_pk_add_f32 v[14:15], v[18:19], v[10:11]
	;; [unrolled: 1-line block ×4, first 2 shown]
	v_cvt_f16_f32_e32 v6, v17
	v_cvt_f16_f32_e32 v7, v15
	;; [unrolled: 1-line block ×8, first 2 shown]
	v_pack_b32_f16 v9, v18, v9
	v_pack_b32_f16 v8, v19, v8
	;; [unrolled: 1-line block ×4, first 2 shown]
	buffer_store_dwordx4 v[6:9], v26, s[24:27], 0 offen glc slc
	;;#ASMSTART
	s_nop 0
	;;#ASMEND
.LBB149_10:
	s_or_b64 exec, exec, s[10:11]
	s_mov_b32 s13, s8
.LBB149_11:
	s_waitcnt vmcnt(1)
	v_mul_f32_e32 v6, v17, v17
	v_fmac_f32_e32 v6, v16, v16
	v_fmac_f32_e32 v6, v14, v14
	;; [unrolled: 1-line block ×7, first 2 shown]
	v_bfrev_b32_e32 v8, 0.5
	s_load_dwordx2 s[10:11], s[4:5], 0x18
	v_mov_b32_dpp v7, v6 quad_perm:[1,0,3,2] row_mask:0xf bank_mask:0xf
	v_add_f32_e32 v6, v6, v7
	s_nop 1
	v_mov_b32_dpp v7, v6 quad_perm:[2,3,0,1] row_mask:0xf bank_mask:0xf
	v_add_f32_e32 v6, v6, v7
	s_nop 1
	v_mov_b32_dpp v7, v6 row_half_mirror row_mask:0xf bank_mask:0xf
	v_add_f32_e32 v6, v6, v7
	s_nop 1
	v_mov_b32_dpp v7, v6 row_mirror row_mask:0xf bank_mask:0xf
	v_add_f32_e32 v6, v6, v7
	s_nop 1
	v_mov_b32_dpp v7, v6 row_bcast:15 row_mask:0xf bank_mask:0xf
	v_add_f32_e32 v6, v6, v7
	s_nop 1
	v_mov_b32_dpp v7, v6 row_bcast:31 row_mask:0xf bank_mask:0xf
	v_add_f32_e32 v6, v6, v7
	v_mbcnt_lo_u32_b32 v7, -1, 0
	v_mbcnt_hi_u32_b32 v7, -1, v7
	v_lshl_or_b32 v18, v7, 2, v8
	ds_bpermute_b32 v6, v18, v6
	s_waitcnt lgkmcnt(0)
	s_and_saveexec_b64 s[22:23], s[0:1]
	s_cbranch_execnz .LBB149_16
; %bb.12:
	s_or_b64 exec, exec, s[22:23]
	s_mov_b64 s[22:23], -1
	s_and_b64 vcc, exec, s[18:19]
	s_cbranch_vccnz .LBB149_17
.LBB149_13:
	s_andn2_b64 vcc, exec, s[22:23]
	s_cbranch_vccz .LBB149_20
.LBB149_14:
	s_cmp_lt_i32 s12, 1
	s_cbranch_scc0 .LBB149_23
.LBB149_15:
	s_endpgm
.LBB149_16:
	v_cvt_f32_u32_e32 v7, s7
	s_mov_b32 s7, 0x800000
	s_waitcnt vmcnt(0)
	v_cvt_f32_f16_sdwa v23, v5 dst_sel:DWORD dst_unused:UNUSED_PAD src0_sel:WORD_1
	v_cvt_f32_f16_e32 v22, v5
	v_div_scale_f32 v8, s[24:25], v7, v7, v6
	v_rcp_f32_e32 v9, v8
	v_div_scale_f32 v19, vcc, v6, v7, v6
	v_fma_f32 v20, -v8, v9, 1.0
	v_fmac_f32_e32 v9, v20, v9
	v_mul_f32_e32 v20, v19, v9
	v_fma_f32 v21, -v8, v20, v19
	v_fmac_f32_e32 v20, v21, v9
	v_fma_f32 v8, -v8, v20, v19
	v_div_fmas_f32 v8, v8, v9, v20
	v_div_fixup_f32 v6, v8, v7, v6
	v_add_f32_e32 v6, s13, v6
	v_mul_f32_e32 v7, 0x4b800000, v6
	v_cmp_gt_f32_e32 vcc, s7, v6
	v_cndmask_b32_e32 v6, v6, v7, vcc
	v_rsq_f32_e32 v6, v6
	v_cvt_f32_f16_sdwa v21, v3 dst_sel:DWORD dst_unused:UNUSED_PAD src0_sel:WORD_1
	v_cvt_f32_f16_e32 v20, v3
	v_cvt_f32_f16_sdwa v3, v4 dst_sel:DWORD dst_unused:UNUSED_PAD src0_sel:WORD_1
	v_mul_f32_e32 v7, 0x45800000, v6
	v_cndmask_b32_e32 v6, v6, v7, vcc
	v_mov_b32_e32 v7, v6
	;;#ASMSTART
	v_pk_mul_f32 v[8:9], v[16:17], v[6:7]
	;;#ASMEND
	;;#ASMSTART
	v_pk_mul_f32 v[14:15], v[14:15], v[6:7]
	;;#ASMEND
	;; [unrolled: 3-line block ×4, first 2 shown]
	v_cvt_f32_f16_sdwa v11, v2 dst_sel:DWORD dst_unused:UNUSED_PAD src0_sel:WORD_1
	v_cvt_f32_f16_e32 v10, v2
	v_cvt_f32_f16_e32 v2, v4
	;;#ASMSTART
	v_pk_mul_f32 v[16:17], v[8:9], v[10:11]
	;;#ASMEND
	;;#ASMSTART
	v_pk_mul_f32 v[14:15], v[14:15], v[20:21]
	;;#ASMEND
	;; [unrolled: 3-line block ×4, first 2 shown]
	s_or_b64 exec, exec, s[22:23]
	s_mov_b64 s[22:23], -1
	s_and_b64 vcc, exec, s[18:19]
	s_cbranch_vccz .LBB149_13
.LBB149_17:
	s_and_saveexec_b64 s[18:19], s[0:1]
	s_cbranch_execz .LBB149_19
; %bb.18:
	s_mul_hi_i32 s23, s21, s6
	s_mul_i32 s22, s21, s6
	s_waitcnt vmcnt(0)
	v_cvt_f16_f32_e32 v2, v16
	v_cvt_f16_f32_e32 v3, v14
	;; [unrolled: 1-line block ×8, first 2 shown]
	s_lshl_b64 s[22:23], s[22:23], 1
	s_add_u32 s24, s10, s22
	s_addc_u32 s7, s11, s23
	s_and_b32 s25, s7, 0xffff
	s_mov_b32 s27, 0x20000
	v_pack_b32_f16 v5, v5, v6
	v_pack_b32_f16 v4, v4, v7
	;; [unrolled: 1-line block ×4, first 2 shown]
	v_lshlrev_b32_e32 v6, 4, v0
	buffer_store_dwordx4 v[2:5], v6, s[24:27], 0 offen
	;;#ASMSTART
	s_nop 0
	;;#ASMEND
.LBB149_19:
	s_or_b64 exec, exec, s[18:19]
	s_cbranch_execnz .LBB149_14
.LBB149_20:
	s_and_saveexec_b64 s[18:19], s[0:1]
	s_cbranch_execz .LBB149_22
; %bb.21:
	s_load_dwordx2 s[0:1], s[4:5], 0x10
	s_mul_hi_i32 s23, s20, s6
	s_mul_i32 s22, s20, s6
	s_waitcnt vmcnt(0)
	v_cvt_f16_f32_e32 v2, v16
	v_cvt_f16_f32_e32 v3, v14
	;; [unrolled: 1-line block ×8, first 2 shown]
	s_lshl_b64 s[22:23], s[22:23], 1
	s_waitcnt lgkmcnt(0)
	s_add_u32 s24, s0, s22
	s_addc_u32 s0, s1, s23
	s_mov_b32 s27, 0x20000
	s_and_b32 s25, s0, 0xffff
	v_pack_b32_f16 v5, v5, v6
	v_pack_b32_f16 v4, v4, v7
	;; [unrolled: 1-line block ×4, first 2 shown]
	v_lshlrev_b32_e32 v6, 4, v0
	buffer_store_dwordx4 v[2:5], v6, s[24:27], 0 offen
	;;#ASMSTART
	s_nop 0
	;;#ASMEND
.LBB149_22:
	s_or_b64 exec, exec, s[18:19]
	s_cmp_lt_i32 s12, 1
	s_cbranch_scc1 .LBB149_15
.LBB149_23:
	s_load_dword s0, s[4:5], 0x94
	s_waitcnt lgkmcnt(0)
	s_cmp_lg_u32 s0, 1
	s_cbranch_scc1 .LBB149_15
; %bb.24:
	s_lshl_b32 s0, s12, 1
	s_add_i32 s0, s0, 2
	v_cmp_gt_u32_e32 vcc, s12, v1
	s_and_b32 s18, s0, -4
	v_mov_b32_e32 v8, 0
	v_lshlrev_b32_e32 v16, 4, v0
	s_waitcnt vmcnt(0)
	v_mov_b32_e32 v4, 0
	v_mov_b32_e32 v5, 0
	v_mov_b32_e32 v6, 0
	v_mov_b32_e32 v7, 0
	v_mov_b32_e32 v0, 0
	v_mov_b32_e32 v1, 0
	v_mov_b32_e32 v2, 0
	v_mov_b32_e32 v3, 0
	s_barrier
	s_and_saveexec_b64 s[0:1], vcc
	s_cbranch_execz .LBB149_26
; %bb.25:
	s_mul_hi_i32 s5, s14, s6
	s_mul_i32 s4, s14, s6
	s_and_b32 s17, s17, 0xffff
	s_lshl_b64 s[4:5], s[4:5], 1
	s_add_u32 s24, s2, s4
	s_mov_b32 s19, 0x20000
	s_addc_u32 s2, s3, s5
	s_and_b32 s25, s2, 0xffff
	s_mov_b32 s26, s18
	s_mov_b32 s27, s19
	buffer_load_dwordx4 v[4:7], v16, s[24:27], 0 offen glc slc
	buffer_load_dwordx4 v[0:3], v16, s[16:19], 0 offen
.LBB149_26:
	s_or_b64 exec, exec, s[0:1]
	v_mov_b32_e32 v9, 0
	v_mov_b32_e32 v14, 0
	v_mov_b32_e32 v15, 0
	v_mov_b32_e32 v12, 0
	v_mov_b32_e32 v13, 0
	v_mov_b32_e32 v10, 0
	v_mov_b32_e32 v11, 0
	s_and_saveexec_b64 s[0:1], vcc
	s_cbranch_execz .LBB149_28
; %bb.27:
	s_waitcnt vmcnt(1)
	v_cvt_f32_f16_sdwa v9, v4 dst_sel:DWORD dst_unused:UNUSED_PAD src0_sel:WORD_1
	v_cvt_f32_f16_e32 v8, v4
	v_cvt_f32_f16_sdwa v15, v5 dst_sel:DWORD dst_unused:UNUSED_PAD src0_sel:WORD_1
	v_cvt_f32_f16_e32 v14, v5
	;; [unrolled: 2-line block ×4, first 2 shown]
.LBB149_28:
	s_or_b64 exec, exec, s[0:1]
	s_waitcnt vmcnt(1)
	v_mul_f32_e32 v4, v9, v9
	v_fmac_f32_e32 v4, v8, v8
	v_fmac_f32_e32 v4, v14, v14
	;; [unrolled: 1-line block ×7, first 2 shown]
	s_nop 1
	v_mov_b32_dpp v5, v4 quad_perm:[1,0,3,2] row_mask:0xf bank_mask:0xf
	v_add_f32_e32 v4, v4, v5
	s_nop 1
	v_mov_b32_dpp v5, v4 quad_perm:[2,3,0,1] row_mask:0xf bank_mask:0xf
	v_add_f32_e32 v4, v4, v5
	s_nop 1
	v_mov_b32_dpp v5, v4 row_half_mirror row_mask:0xf bank_mask:0xf
	v_add_f32_e32 v4, v4, v5
	s_nop 1
	v_mov_b32_dpp v5, v4 row_mirror row_mask:0xf bank_mask:0xf
	v_add_f32_e32 v4, v4, v5
	s_nop 1
	v_mov_b32_dpp v5, v4 row_bcast:15 row_mask:0xf bank_mask:0xf
	v_add_f32_e32 v4, v4, v5
	s_nop 1
	v_mov_b32_dpp v5, v4 row_bcast:31 row_mask:0xf bank_mask:0xf
	v_add_f32_e32 v4, v4, v5
	ds_bpermute_b32 v4, v18, v4
	s_and_saveexec_b64 s[0:1], vcc
	s_cbranch_execz .LBB149_15
; %bb.29:
	v_cvt_f32_u32_e32 v5, s12
	s_mov_b32 s19, 0x20000
	s_waitcnt lgkmcnt(0)
	v_div_scale_f32 v6, s[0:1], v5, v5, v4
	v_rcp_f32_e32 v7, v6
	v_div_scale_f32 v17, vcc, v4, v5, v4
	s_mov_b32 s0, 0x800000
	v_fma_f32 v18, -v6, v7, 1.0
	v_fmac_f32_e32 v7, v18, v7
	v_mul_f32_e32 v18, v17, v7
	v_fma_f32 v19, -v6, v18, v17
	v_fmac_f32_e32 v18, v19, v7
	v_fma_f32 v6, -v6, v18, v17
	v_div_fmas_f32 v6, v6, v7, v18
	v_div_fixup_f32 v4, v6, v5, v4
	v_add_f32_e32 v4, s9, v4
	v_mul_f32_e32 v5, 0x4b800000, v4
	v_cmp_gt_f32_e32 vcc, s0, v4
	v_cndmask_b32_e32 v4, v4, v5, vcc
	v_rsq_f32_e32 v4, v4
	s_waitcnt vmcnt(0)
	v_cvt_f32_f16_sdwa v19, v3 dst_sel:DWORD dst_unused:UNUSED_PAD src0_sel:WORD_1
	v_cvt_f32_f16_e32 v18, v3
	s_mul_hi_i32 s1, s21, s6
	v_mul_f32_e32 v5, 0x45800000, v4
	v_cndmask_b32_e32 v4, v4, v5, vcc
	v_mov_b32_e32 v5, v4
	;;#ASMSTART
	v_pk_mul_f32 v[6:7], v[8:9], v[4:5]
	;;#ASMEND
	;;#ASMSTART
	v_pk_mul_f32 v[8:9], v[14:15], v[4:5]
	;;#ASMEND
	;;#ASMSTART
	v_pk_mul_f32 v[12:13], v[12:13], v[4:5]
	;;#ASMEND
	;;#ASMSTART
	v_pk_mul_f32 v[4:5], v[10:11], v[4:5]
	;;#ASMEND
	v_cvt_f32_f16_sdwa v11, v0 dst_sel:DWORD dst_unused:UNUSED_PAD src0_sel:WORD_1
	v_cvt_f32_f16_e32 v10, v0
	v_cvt_f32_f16_sdwa v15, v1 dst_sel:DWORD dst_unused:UNUSED_PAD src0_sel:WORD_1
	v_cvt_f32_f16_e32 v14, v1
	;; [unrolled: 2-line block ×3, first 2 shown]
	;;#ASMSTART
	v_pk_mul_f32 v[2:3], v[6:7], v[10:11]
	;;#ASMEND
	;;#ASMSTART
	v_pk_mul_f32 v[6:7], v[8:9], v[14:15]
	;;#ASMEND
	;; [unrolled: 3-line block ×4, first 2 shown]
	s_mul_i32 s0, s21, s6
	v_cvt_f16_f32_e32 v2, v2
	v_cvt_f16_f32_e32 v3, v3
	;; [unrolled: 1-line block ×8, first 2 shown]
	s_lshl_b64 s[0:1], s[0:1], 1
	s_add_u32 s16, s10, s0
	s_addc_u32 s0, s11, s1
	s_and_b32 s17, s0, 0xffff
	v_pack_b32_f16 v0, v2, v3
	v_pack_b32_f16 v1, v6, v7
	;; [unrolled: 1-line block ×4, first 2 shown]
	buffer_store_dwordx4 v[0:3], v16, s[16:19], 0 offen
	;;#ASMSTART
	s_nop 0
	;;#ASMEND
	s_endpgm
	.section	.rodata,"a",@progbits
	.p2align	6, 0x0
	.amdhsa_kernel _ZN5aiter35fused_qk_rmsnorm_group_quant_kernelIDF16_DB8_Li64ELi8ELi8ELb1ELb1ELb0ELb1ELb0ELb0EEEvPT0_PvPT_S6_S6_PKS5_S8_S8_S8_S8_ffiiiiiiiiiiiii
		.amdhsa_group_segment_fixed_size 0
		.amdhsa_private_segment_fixed_size 0
		.amdhsa_kernarg_size 400
		.amdhsa_user_sgpr_count 6
		.amdhsa_user_sgpr_private_segment_buffer 1
		.amdhsa_user_sgpr_dispatch_ptr 0
		.amdhsa_user_sgpr_queue_ptr 0
		.amdhsa_user_sgpr_kernarg_segment_ptr 1
		.amdhsa_user_sgpr_dispatch_id 0
		.amdhsa_user_sgpr_flat_scratch_init 0
		.amdhsa_user_sgpr_kernarg_preload_length 0
		.amdhsa_user_sgpr_kernarg_preload_offset 0
		.amdhsa_user_sgpr_private_segment_size 0
		.amdhsa_uses_dynamic_stack 0
		.amdhsa_system_sgpr_private_segment_wavefront_offset 0
		.amdhsa_system_sgpr_workgroup_id_x 1
		.amdhsa_system_sgpr_workgroup_id_y 1
		.amdhsa_system_sgpr_workgroup_id_z 0
		.amdhsa_system_sgpr_workgroup_info 0
		.amdhsa_system_vgpr_workitem_id 0
		.amdhsa_next_free_vgpr 27
		.amdhsa_next_free_sgpr 32
		.amdhsa_accum_offset 28
		.amdhsa_reserve_vcc 1
		.amdhsa_reserve_flat_scratch 0
		.amdhsa_float_round_mode_32 0
		.amdhsa_float_round_mode_16_64 0
		.amdhsa_float_denorm_mode_32 3
		.amdhsa_float_denorm_mode_16_64 3
		.amdhsa_dx10_clamp 1
		.amdhsa_ieee_mode 1
		.amdhsa_fp16_overflow 0
		.amdhsa_tg_split 0
		.amdhsa_exception_fp_ieee_invalid_op 0
		.amdhsa_exception_fp_denorm_src 0
		.amdhsa_exception_fp_ieee_div_zero 0
		.amdhsa_exception_fp_ieee_overflow 0
		.amdhsa_exception_fp_ieee_underflow 0
		.amdhsa_exception_fp_ieee_inexact 0
		.amdhsa_exception_int_div_zero 0
	.end_amdhsa_kernel
	.section	.text._ZN5aiter35fused_qk_rmsnorm_group_quant_kernelIDF16_DB8_Li64ELi8ELi8ELb1ELb1ELb0ELb1ELb0ELb0EEEvPT0_PvPT_S6_S6_PKS5_S8_S8_S8_S8_ffiiiiiiiiiiiii,"axG",@progbits,_ZN5aiter35fused_qk_rmsnorm_group_quant_kernelIDF16_DB8_Li64ELi8ELi8ELb1ELb1ELb0ELb1ELb0ELb0EEEvPT0_PvPT_S6_S6_PKS5_S8_S8_S8_S8_ffiiiiiiiiiiiii,comdat
.Lfunc_end149:
	.size	_ZN5aiter35fused_qk_rmsnorm_group_quant_kernelIDF16_DB8_Li64ELi8ELi8ELb1ELb1ELb0ELb1ELb0ELb0EEEvPT0_PvPT_S6_S6_PKS5_S8_S8_S8_S8_ffiiiiiiiiiiiii, .Lfunc_end149-_ZN5aiter35fused_qk_rmsnorm_group_quant_kernelIDF16_DB8_Li64ELi8ELi8ELb1ELb1ELb0ELb1ELb0ELb0EEEvPT0_PvPT_S6_S6_PKS5_S8_S8_S8_S8_ffiiiiiiiiiiiii
                                        ; -- End function
	.section	.AMDGPU.csdata,"",@progbits
; Kernel info:
; codeLenInByte = 2288
; NumSgprs: 36
; NumVgprs: 27
; NumAgprs: 0
; TotalNumVgprs: 27
; ScratchSize: 0
; MemoryBound: 0
; FloatMode: 240
; IeeeMode: 1
; LDSByteSize: 0 bytes/workgroup (compile time only)
; SGPRBlocks: 4
; VGPRBlocks: 3
; NumSGPRsForWavesPerEU: 36
; NumVGPRsForWavesPerEU: 27
; AccumOffset: 28
; Occupancy: 8
; WaveLimiterHint : 0
; COMPUTE_PGM_RSRC2:SCRATCH_EN: 0
; COMPUTE_PGM_RSRC2:USER_SGPR: 6
; COMPUTE_PGM_RSRC2:TRAP_HANDLER: 0
; COMPUTE_PGM_RSRC2:TGID_X_EN: 1
; COMPUTE_PGM_RSRC2:TGID_Y_EN: 1
; COMPUTE_PGM_RSRC2:TGID_Z_EN: 0
; COMPUTE_PGM_RSRC2:TIDIG_COMP_CNT: 0
; COMPUTE_PGM_RSRC3_GFX90A:ACCUM_OFFSET: 6
; COMPUTE_PGM_RSRC3_GFX90A:TG_SPLIT: 0
	.section	.text._ZN5aiter35fused_qk_rmsnorm_group_quant_kernelItDB8_Li64ELi8ELi8ELb1ELb1ELb0ELb1ELb0ELb0EEEvPT0_PvPT_S6_S6_PKS5_S8_S8_S8_S8_ffiiiiiiiiiiiii,"axG",@progbits,_ZN5aiter35fused_qk_rmsnorm_group_quant_kernelItDB8_Li64ELi8ELi8ELb1ELb1ELb0ELb1ELb0ELb0EEEvPT0_PvPT_S6_S6_PKS5_S8_S8_S8_S8_ffiiiiiiiiiiiii,comdat
	.protected	_ZN5aiter35fused_qk_rmsnorm_group_quant_kernelItDB8_Li64ELi8ELi8ELb1ELb1ELb0ELb1ELb0ELb0EEEvPT0_PvPT_S6_S6_PKS5_S8_S8_S8_S8_ffiiiiiiiiiiiii ; -- Begin function _ZN5aiter35fused_qk_rmsnorm_group_quant_kernelItDB8_Li64ELi8ELi8ELb1ELb1ELb0ELb1ELb0ELb0EEEvPT0_PvPT_S6_S6_PKS5_S8_S8_S8_S8_ffiiiiiiiiiiiii
	.globl	_ZN5aiter35fused_qk_rmsnorm_group_quant_kernelItDB8_Li64ELi8ELi8ELb1ELb1ELb0ELb1ELb0ELb0EEEvPT0_PvPT_S6_S6_PKS5_S8_S8_S8_S8_ffiiiiiiiiiiiii
	.p2align	8
	.type	_ZN5aiter35fused_qk_rmsnorm_group_quant_kernelItDB8_Li64ELi8ELi8ELb1ELb1ELb0ELb1ELb0ELb0EEEvPT0_PvPT_S6_S6_PKS5_S8_S8_S8_S8_ffiiiiiiiiiiiii,@function
_ZN5aiter35fused_qk_rmsnorm_group_quant_kernelItDB8_Li64ELi8ELi8ELb1ELb1ELb0ELb1ELb0ELb0EEEvPT0_PvPT_S6_S6_PKS5_S8_S8_S8_S8_ffiiiiiiiiiiiii: ; @_ZN5aiter35fused_qk_rmsnorm_group_quant_kernelItDB8_Li64ELi8ELi8ELb1ELb1ELb0ELb1ELb0ELb0EEEvPT0_PvPT_S6_S6_PKS5_S8_S8_S8_S8_ffiiiiiiiiiiiii
; %bb.0:
	s_load_dwordx8 s[8:15], s[4:5], 0x50
	s_waitcnt lgkmcnt(0)
	s_cmp_ge_i32 s6, s10
	s_cbranch_scc1 .LBB150_15
; %bb.1:
	s_cmp_lg_u32 s7, 0
	s_cselect_b64 s[18:19], -1, 0
	s_cmp_eq_u32 s7, 0
	s_cselect_b64 s[20:21], -1, 0
	s_and_b64 s[0:1], s[20:21], exec
	s_cselect_b32 s7, s11, s12
	s_load_dwordx2 s[2:3], s[4:5], 0x30
	s_load_dwordx2 s[16:17], s[4:5], 0x48
	s_add_i32 s0, s7, 1
	s_lshr_b32 s1, s0, 31
	s_add_i32 s0, s0, s1
	s_lshl_b32 s0, s0, 1
	v_lshlrev_b32_e32 v1, 3, v0
	s_and_b32 s26, s0, -4
	v_cmp_gt_i32_e64 s[0:1], s7, v1
	v_mov_b32_e32 v10, 0
	v_mov_b32_e32 v11, 0
	;; [unrolled: 1-line block ×8, first 2 shown]
	s_and_saveexec_b64 s[10:11], s[0:1]
	s_cbranch_execz .LBB150_3
; %bb.2:
	s_load_dwordx2 s[22:23], s[4:5], 0x28
	s_load_dwordx2 s[24:25], s[4:5], 0x40
	s_and_b64 s[28:29], s[20:21], exec
	s_cselect_b32 s13, s13, s14
	v_lshlrev_b32_e32 v2, 4, v0
	s_waitcnt lgkmcnt(0)
	s_cselect_b32 s27, s23, s3
	s_cselect_b32 s28, s22, s2
	s_mul_hi_i32 s23, s13, s6
	s_mul_i32 s22, s13, s6
	s_lshl_b64 s[22:23], s[22:23], 1
	s_add_u32 s28, s28, s22
	s_addc_u32 s13, s27, s23
	s_and_b64 s[20:21], s[20:21], exec
	s_mov_b32 s27, 0x20000
	s_cselect_b32 s24, s24, s16
	s_cselect_b32 s20, s25, s17
	s_and_b32 s29, s13, 0xffff
	s_mov_b32 s30, s26
	s_mov_b32 s31, s27
	s_and_b32 s25, s20, 0xffff
	buffer_load_dwordx4 v[14:17], v2, s[28:31], 0 offen glc slc
	buffer_load_dwordx4 v[10:13], v2, s[24:27], 0 offen
.LBB150_3:
	s_or_b64 exec, exec, s[10:11]
	s_load_dwordx4 s[20:23], s[4:5], 0x7c
	s_and_b64 vcc, exec, s[18:19]
	s_cbranch_vccz .LBB150_7
; %bb.4:
	s_mov_b32 s36, 0
	s_mov_b32 s37, s36
	s_mov_b32 s38, s36
	s_mov_b32 s39, s36
	s_mov_b32 s40, s36
	s_mov_b32 s41, s36
	s_mov_b32 s42, s36
	s_mov_b32 s43, s36
	v_pk_mov_b32 v[2:3], s[36:37], s[36:37] op_sel:[0,1]
	v_pk_mov_b32 v[4:5], s[38:39], s[38:39] op_sel:[0,1]
	;; [unrolled: 1-line block ×4, first 2 shown]
	s_and_saveexec_b64 s[10:11], s[0:1]
	s_cbranch_execz .LBB150_6
; %bb.5:
	s_waitcnt vmcnt(1)
	v_cvt_f32_u32_sdwa v3, v14 dst_sel:DWORD dst_unused:UNUSED_PAD src0_sel:WORD_1
	v_cvt_f32_u32_sdwa v2, v14 dst_sel:DWORD dst_unused:UNUSED_PAD src0_sel:WORD_0
	v_cvt_f32_u32_sdwa v5, v15 dst_sel:DWORD dst_unused:UNUSED_PAD src0_sel:WORD_1
	v_cvt_f32_u32_sdwa v4, v15 dst_sel:DWORD dst_unused:UNUSED_PAD src0_sel:WORD_0
	;; [unrolled: 2-line block ×4, first 2 shown]
.LBB150_6:
	s_or_b64 exec, exec, s[10:11]
	s_mov_b32 s13, s9
	s_cbranch_execz .LBB150_8
	s_branch .LBB150_11
.LBB150_7:
                                        ; implicit-def: $vgpr2_vgpr3_vgpr4_vgpr5_vgpr6_vgpr7_vgpr8_vgpr9
	s_mov_b32 s13, s9
.LBB150_8:
	s_mov_b32 s36, 0
	s_mov_b32 s37, s36
	s_mov_b32 s38, s36
	s_mov_b32 s39, s36
	s_mov_b32 s40, s36
	s_mov_b32 s41, s36
	s_mov_b32 s42, s36
	s_mov_b32 s43, s36
	v_pk_mov_b32 v[2:3], s[36:37], s[36:37] op_sel:[0,1]
	v_pk_mov_b32 v[4:5], s[38:39], s[38:39] op_sel:[0,1]
	;; [unrolled: 1-line block ×4, first 2 shown]
	s_and_saveexec_b64 s[10:11], s[0:1]
	s_cbranch_execz .LBB150_10
; %bb.9:
	s_load_dwordx2 s[24:25], s[4:5], 0x38
	s_mul_hi_i32 s29, s15, s6
	s_mul_i32 s28, s15, s6
	s_lshl_b64 s[28:29], s[28:29], 1
	s_mov_b32 s27, 0x20000
	s_waitcnt lgkmcnt(0)
	s_add_u32 s24, s24, s28
	s_addc_u32 s13, s25, s29
	s_and_b32 s25, s13, 0xffff
	v_lshlrev_b32_e32 v26, 4, v0
	buffer_load_dwordx4 v[2:5], v26, s[24:27], 0 offen glc slc
	s_load_dwordx2 s[24:25], s[4:5], 0x20
	s_waitcnt vmcnt(2)
	v_cvt_f32_u32_sdwa v7, v14 dst_sel:DWORD dst_unused:UNUSED_PAD src0_sel:WORD_1
	v_cvt_f32_u32_sdwa v6, v14 dst_sel:DWORD dst_unused:UNUSED_PAD src0_sel:WORD_0
	v_cvt_f32_u32_sdwa v9, v15 dst_sel:DWORD dst_unused:UNUSED_PAD src0_sel:WORD_1
	v_cvt_f32_u32_sdwa v8, v15 dst_sel:DWORD dst_unused:UNUSED_PAD src0_sel:WORD_0
	;; [unrolled: 2-line block ×4, first 2 shown]
	s_mul_hi_i32 s23, s22, s6
	s_mul_i32 s22, s22, s6
	s_lshl_b64 s[22:23], s[22:23], 1
	s_waitcnt lgkmcnt(0)
	s_add_u32 s24, s24, s22
	s_mov_b32 s13, 0x7060302
	s_addc_u32 s15, s25, s23
	s_and_b32 s25, s15, 0xffff
	s_waitcnt vmcnt(0)
	v_cvt_f32_u32_sdwa v17, v2 dst_sel:DWORD dst_unused:UNUSED_PAD src0_sel:WORD_1
	v_cvt_f32_u32_sdwa v16, v2 dst_sel:DWORD dst_unused:UNUSED_PAD src0_sel:WORD_0
	v_cvt_f32_u32_sdwa v21, v3 dst_sel:DWORD dst_unused:UNUSED_PAD src0_sel:WORD_1
	v_cvt_f32_u32_sdwa v20, v3 dst_sel:DWORD dst_unused:UNUSED_PAD src0_sel:WORD_0
	;; [unrolled: 2-line block ×4, first 2 shown]
	v_pk_add_f32 v[2:3], v[6:7], v[16:17]
	v_pk_add_f32 v[4:5], v[8:9], v[20:21]
	;; [unrolled: 1-line block ×4, first 2 shown]
	v_perm_b32 v17, v9, v8, s13
	v_perm_b32 v16, v7, v6, s13
	;; [unrolled: 1-line block ×4, first 2 shown]
	buffer_store_dwordx4 v[14:17], v26, s[24:27], 0 offen glc slc
	;;#ASMSTART
	s_nop 0
	;;#ASMEND
.LBB150_10:
	s_or_b64 exec, exec, s[10:11]
	s_mov_b32 s13, s8
.LBB150_11:
	s_waitcnt vmcnt(1)
	v_mul_f32_e32 v14, v3, v3
	v_fmac_f32_e32 v14, v2, v2
	v_fmac_f32_e32 v14, v4, v4
	;; [unrolled: 1-line block ×7, first 2 shown]
	v_bfrev_b32_e32 v16, 0.5
	s_load_dwordx2 s[10:11], s[4:5], 0x18
	v_mov_b32_dpp v15, v14 quad_perm:[1,0,3,2] row_mask:0xf bank_mask:0xf
	v_add_f32_e32 v14, v14, v15
	s_nop 1
	v_mov_b32_dpp v15, v14 quad_perm:[2,3,0,1] row_mask:0xf bank_mask:0xf
	v_add_f32_e32 v14, v14, v15
	s_nop 1
	v_mov_b32_dpp v15, v14 row_half_mirror row_mask:0xf bank_mask:0xf
	v_add_f32_e32 v14, v14, v15
	s_nop 1
	v_mov_b32_dpp v15, v14 row_mirror row_mask:0xf bank_mask:0xf
	v_add_f32_e32 v14, v14, v15
	s_nop 1
	v_mov_b32_dpp v15, v14 row_bcast:15 row_mask:0xf bank_mask:0xf
	v_add_f32_e32 v14, v14, v15
	s_nop 1
	v_mov_b32_dpp v15, v14 row_bcast:31 row_mask:0xf bank_mask:0xf
	v_add_f32_e32 v15, v14, v15
	v_mbcnt_lo_u32_b32 v14, -1, 0
	v_mbcnt_hi_u32_b32 v14, -1, v14
	v_lshl_or_b32 v14, v14, 2, v16
	ds_bpermute_b32 v15, v14, v15
	s_waitcnt lgkmcnt(0)
	s_and_saveexec_b64 s[22:23], s[0:1]
	s_cbranch_execnz .LBB150_16
; %bb.12:
	s_or_b64 exec, exec, s[22:23]
	s_mov_b64 s[22:23], -1
	s_and_b64 vcc, exec, s[18:19]
	s_cbranch_vccnz .LBB150_17
.LBB150_13:
	s_andn2_b64 vcc, exec, s[22:23]
	s_cbranch_vccz .LBB150_20
.LBB150_14:
	s_cmp_lt_i32 s12, 1
	s_cbranch_scc0 .LBB150_23
.LBB150_15:
	s_endpgm
.LBB150_16:
	v_cvt_f32_u32_e32 v16, s7
	s_mov_b32 s7, 0x800000
	v_div_scale_f32 v17, s[24:25], v16, v16, v15
	v_rcp_f32_e32 v18, v17
	v_div_scale_f32 v19, vcc, v15, v16, v15
	v_fma_f32 v20, -v17, v18, 1.0
	v_fmac_f32_e32 v18, v20, v18
	v_mul_f32_e32 v20, v19, v18
	v_fma_f32 v21, -v17, v20, v19
	v_fmac_f32_e32 v20, v21, v18
	v_fma_f32 v17, -v17, v20, v19
	v_div_fmas_f32 v17, v17, v18, v20
	v_div_fixup_f32 v15, v17, v16, v15
	v_add_f32_e32 v15, s13, v15
	v_mul_f32_e32 v16, 0x4b800000, v15
	v_cmp_gt_f32_e32 vcc, s7, v15
	v_cndmask_b32_e32 v15, v15, v16, vcc
	v_rsq_f32_e32 v15, v15
	s_waitcnt vmcnt(0)
	v_cvt_f32_u32_sdwa v19, v11 dst_sel:DWORD dst_unused:UNUSED_PAD src0_sel:WORD_1
	v_cvt_f32_u32_sdwa v18, v11 dst_sel:DWORD dst_unused:UNUSED_PAD src0_sel:WORD_0
	v_cvt_f32_u32_sdwa v11, v12 dst_sel:DWORD dst_unused:UNUSED_PAD src0_sel:WORD_1
	v_mul_f32_e32 v16, 0x45800000, v15
	v_cndmask_b32_e32 v16, v15, v16, vcc
	v_mov_b32_e32 v17, v16
	;;#ASMSTART
	v_pk_mul_f32 v[2:3], v[2:3], v[16:17]
	;;#ASMEND
	;;#ASMSTART
	v_pk_mul_f32 v[4:5], v[4:5], v[16:17]
	;;#ASMEND
	;; [unrolled: 3-line block ×4, first 2 shown]
	v_cvt_f32_u32_sdwa v17, v10 dst_sel:DWORD dst_unused:UNUSED_PAD src0_sel:WORD_1
	v_cvt_f32_u32_sdwa v16, v10 dst_sel:DWORD dst_unused:UNUSED_PAD src0_sel:WORD_0
	v_cvt_f32_u32_sdwa v10, v12 dst_sel:DWORD dst_unused:UNUSED_PAD src0_sel:WORD_0
	v_cvt_f32_u32_sdwa v21, v13 dst_sel:DWORD dst_unused:UNUSED_PAD src0_sel:WORD_1
	v_cvt_f32_u32_sdwa v20, v13 dst_sel:DWORD dst_unused:UNUSED_PAD src0_sel:WORD_0
	;;#ASMSTART
	v_pk_mul_f32 v[2:3], v[2:3], v[16:17]
	;;#ASMEND
	;;#ASMSTART
	v_pk_mul_f32 v[4:5], v[4:5], v[18:19]
	;;#ASMEND
	;; [unrolled: 3-line block ×4, first 2 shown]
	s_or_b64 exec, exec, s[22:23]
	s_mov_b64 s[22:23], -1
	s_and_b64 vcc, exec, s[18:19]
	s_cbranch_vccz .LBB150_13
.LBB150_17:
	s_and_saveexec_b64 s[18:19], s[0:1]
	s_cbranch_execz .LBB150_19
; %bb.18:
	s_mul_hi_i32 s23, s21, s6
	s_mul_i32 s22, s21, s6
	s_lshl_b64 s[22:23], s[22:23], 1
	s_add_u32 s24, s10, s22
	s_addc_u32 s7, s11, s23
	s_and_b32 s25, s7, 0xffff
	s_mov_b32 s7, 0x7060302
	s_mov_b32 s27, 0x20000
	s_waitcnt vmcnt(0)
	v_perm_b32 v10, v3, v2, s7
	v_perm_b32 v11, v5, v4, s7
	;; [unrolled: 1-line block ×4, first 2 shown]
	v_lshlrev_b32_e32 v15, 4, v0
	buffer_store_dwordx4 v[10:13], v15, s[24:27], 0 offen
	;;#ASMSTART
	s_nop 0
	;;#ASMEND
.LBB150_19:
	s_or_b64 exec, exec, s[18:19]
	s_cbranch_execnz .LBB150_14
.LBB150_20:
	s_and_saveexec_b64 s[18:19], s[0:1]
	s_cbranch_execz .LBB150_22
; %bb.21:
	s_load_dwordx2 s[0:1], s[4:5], 0x10
	s_mul_hi_i32 s23, s20, s6
	s_mul_i32 s22, s20, s6
	s_lshl_b64 s[22:23], s[22:23], 1
	s_mov_b32 s27, 0x20000
	s_waitcnt lgkmcnt(0)
	s_add_u32 s24, s0, s22
	s_addc_u32 s0, s1, s23
	s_and_b32 s25, s0, 0xffff
	s_mov_b32 s0, 0x7060302
	v_perm_b32 v2, v3, v2, s0
	v_perm_b32 v3, v5, v4, s0
	;; [unrolled: 1-line block ×4, first 2 shown]
	v_lshlrev_b32_e32 v6, 4, v0
	buffer_store_dwordx4 v[2:5], v6, s[24:27], 0 offen
	;;#ASMSTART
	s_nop 0
	;;#ASMEND
.LBB150_22:
	s_or_b64 exec, exec, s[18:19]
	s_cmp_lt_i32 s12, 1
	s_cbranch_scc1 .LBB150_15
.LBB150_23:
	s_load_dword s0, s[4:5], 0x94
	s_waitcnt lgkmcnt(0)
	s_cmp_lg_u32 s0, 1
	s_cbranch_scc1 .LBB150_15
; %bb.24:
	s_lshl_b32 s0, s12, 1
	s_add_i32 s0, s0, 2
	v_cmp_gt_u32_e32 vcc, s12, v1
	s_and_b32 s18, s0, -4
	v_mov_b32_e32 v4, 0
	s_waitcnt vmcnt(0)
	v_lshlrev_b32_e32 v12, 4, v0
	v_mov_b32_e32 v5, 0
	v_mov_b32_e32 v6, 0
	;; [unrolled: 1-line block ×7, first 2 shown]
	s_barrier
	s_and_saveexec_b64 s[0:1], vcc
	s_cbranch_execz .LBB150_26
; %bb.25:
	s_mul_hi_i32 s5, s14, s6
	s_mul_i32 s4, s14, s6
	s_and_b32 s17, s17, 0xffff
	s_lshl_b64 s[4:5], s[4:5], 1
	s_add_u32 s24, s2, s4
	s_mov_b32 s19, 0x20000
	s_addc_u32 s2, s3, s5
	s_and_b32 s25, s2, 0xffff
	s_mov_b32 s26, s18
	s_mov_b32 s27, s19
	buffer_load_dwordx4 v[4:7], v12, s[24:27], 0 offen glc slc
	buffer_load_dwordx4 v[0:3], v12, s[16:19], 0 offen
.LBB150_26:
	s_or_b64 exec, exec, s[0:1]
	s_waitcnt vmcnt(1)
	v_cvt_f32_u32_sdwa v11, v4 dst_sel:DWORD dst_unused:UNUSED_PAD src0_sel:WORD_1
	v_cvt_f32_u32_sdwa v10, v4 dst_sel:DWORD dst_unused:UNUSED_PAD src0_sel:WORD_0
	v_cvt_f32_u32_sdwa v4, v7 dst_sel:DWORD dst_unused:UNUSED_PAD src0_sel:WORD_1
	v_cvt_f32_u32_sdwa v7, v7 dst_sel:DWORD dst_unused:UNUSED_PAD src0_sel:WORD_0
	;; [unrolled: 2-line block ×4, first 2 shown]
	v_cndmask_b32_e32 v11, 0, v11, vcc
	v_cndmask_b32_e32 v5, 0, v4, vcc
	;; [unrolled: 1-line block ×5, first 2 shown]
	v_mul_f32_e32 v13, v11, v11
	v_cndmask_b32_e32 v8, 0, v8, vcc
	v_fmac_f32_e32 v13, v10, v10
	v_cndmask_b32_e32 v9, 0, v9, vcc
	v_fmac_f32_e32 v13, v8, v8
	;; [unrolled: 2-line block ×3, first 2 shown]
	v_fmac_f32_e32 v13, v6, v6
	v_fmac_f32_e32 v13, v7, v7
	;; [unrolled: 1-line block ×4, first 2 shown]
	s_nop 1
	v_mov_b32_dpp v15, v13 quad_perm:[1,0,3,2] row_mask:0xf bank_mask:0xf
	v_add_f32_e32 v13, v13, v15
	s_nop 1
	v_mov_b32_dpp v15, v13 quad_perm:[2,3,0,1] row_mask:0xf bank_mask:0xf
	v_add_f32_e32 v13, v13, v15
	s_nop 1
	v_mov_b32_dpp v15, v13 row_half_mirror row_mask:0xf bank_mask:0xf
	v_add_f32_e32 v13, v13, v15
	s_nop 1
	v_mov_b32_dpp v15, v13 row_mirror row_mask:0xf bank_mask:0xf
	v_add_f32_e32 v13, v13, v15
	s_nop 1
	v_mov_b32_dpp v15, v13 row_bcast:15 row_mask:0xf bank_mask:0xf
	v_add_f32_e32 v13, v13, v15
	s_nop 1
	v_mov_b32_dpp v15, v13 row_bcast:31 row_mask:0xf bank_mask:0xf
	v_add_f32_e32 v13, v13, v15
	ds_bpermute_b32 v13, v14, v13
	s_and_saveexec_b64 s[0:1], vcc
	s_cbranch_execz .LBB150_15
; %bb.27:
	v_cvt_f32_u32_e32 v14, s12
	s_mov_b32 s19, 0x20000
	s_waitcnt lgkmcnt(0)
	v_div_scale_f32 v15, s[0:1], v14, v14, v13
	v_rcp_f32_e32 v16, v15
	v_div_scale_f32 v17, vcc, v13, v14, v13
	s_mov_b32 s0, 0x800000
	v_fma_f32 v18, -v15, v16, 1.0
	v_fmac_f32_e32 v16, v18, v16
	v_mul_f32_e32 v18, v17, v16
	v_fma_f32 v19, -v15, v18, v17
	v_fmac_f32_e32 v18, v19, v16
	v_fma_f32 v15, -v15, v18, v17
	v_div_fmas_f32 v15, v15, v16, v18
	v_div_fixup_f32 v13, v15, v14, v13
	v_add_f32_e32 v13, s9, v13
	v_mul_f32_e32 v14, 0x4b800000, v13
	v_cmp_gt_f32_e32 vcc, s0, v13
	v_cndmask_b32_e32 v13, v13, v14, vcc
	v_rsq_f32_e32 v13, v13
	s_mul_hi_i32 s1, s21, s6
	s_mul_i32 s0, s21, s6
	s_lshl_b64 s[0:1], s[0:1], 1
	v_mul_f32_e32 v14, 0x45800000, v13
	v_cndmask_b32_e32 v14, v13, v14, vcc
	s_add_u32 s16, s10, s0
	v_mov_b32_e32 v15, v14
	s_addc_u32 s0, s11, s1
	;;#ASMSTART
	v_pk_mul_f32 v[10:11], v[10:11], v[14:15]
	;;#ASMEND
	;;#ASMSTART
	v_pk_mul_f32 v[8:9], v[8:9], v[14:15]
	;;#ASMEND
	;; [unrolled: 3-line block ×4, first 2 shown]
	s_waitcnt vmcnt(0)
	v_cvt_f32_u32_sdwa v15, v0 dst_sel:DWORD dst_unused:UNUSED_PAD src0_sel:WORD_1
	v_cvt_f32_u32_sdwa v14, v0 dst_sel:DWORD dst_unused:UNUSED_PAD src0_sel:WORD_0
	v_cvt_f32_u32_sdwa v17, v1 dst_sel:DWORD dst_unused:UNUSED_PAD src0_sel:WORD_1
	v_cvt_f32_u32_sdwa v16, v1 dst_sel:DWORD dst_unused:UNUSED_PAD src0_sel:WORD_0
	;; [unrolled: 2-line block ×4, first 2 shown]
	;;#ASMSTART
	v_pk_mul_f32 v[2:3], v[10:11], v[14:15]
	;;#ASMEND
	s_and_b32 s17, s0, 0xffff
	s_mov_b32 s0, 0x7060302
	;;#ASMSTART
	v_pk_mul_f32 v[8:9], v[8:9], v[16:17]
	;;#ASMEND
	;;#ASMSTART
	v_pk_mul_f32 v[6:7], v[6:7], v[0:1]
	;;#ASMEND
	;; [unrolled: 3-line block ×3, first 2 shown]
	v_perm_b32 v0, v3, v2, s0
	v_perm_b32 v1, v9, v8, s0
	;; [unrolled: 1-line block ×4, first 2 shown]
	buffer_store_dwordx4 v[0:3], v12, s[16:19], 0 offen
	;;#ASMSTART
	s_nop 0
	;;#ASMEND
	s_endpgm
	.section	.rodata,"a",@progbits
	.p2align	6, 0x0
	.amdhsa_kernel _ZN5aiter35fused_qk_rmsnorm_group_quant_kernelItDB8_Li64ELi8ELi8ELb1ELb1ELb0ELb1ELb0ELb0EEEvPT0_PvPT_S6_S6_PKS5_S8_S8_S8_S8_ffiiiiiiiiiiiii
		.amdhsa_group_segment_fixed_size 0
		.amdhsa_private_segment_fixed_size 0
		.amdhsa_kernarg_size 400
		.amdhsa_user_sgpr_count 6
		.amdhsa_user_sgpr_private_segment_buffer 1
		.amdhsa_user_sgpr_dispatch_ptr 0
		.amdhsa_user_sgpr_queue_ptr 0
		.amdhsa_user_sgpr_kernarg_segment_ptr 1
		.amdhsa_user_sgpr_dispatch_id 0
		.amdhsa_user_sgpr_flat_scratch_init 0
		.amdhsa_user_sgpr_kernarg_preload_length 0
		.amdhsa_user_sgpr_kernarg_preload_offset 0
		.amdhsa_user_sgpr_private_segment_size 0
		.amdhsa_uses_dynamic_stack 0
		.amdhsa_system_sgpr_private_segment_wavefront_offset 0
		.amdhsa_system_sgpr_workgroup_id_x 1
		.amdhsa_system_sgpr_workgroup_id_y 1
		.amdhsa_system_sgpr_workgroup_id_z 0
		.amdhsa_system_sgpr_workgroup_info 0
		.amdhsa_system_vgpr_workitem_id 0
		.amdhsa_next_free_vgpr 27
		.amdhsa_next_free_sgpr 44
		.amdhsa_accum_offset 28
		.amdhsa_reserve_vcc 1
		.amdhsa_reserve_flat_scratch 0
		.amdhsa_float_round_mode_32 0
		.amdhsa_float_round_mode_16_64 0
		.amdhsa_float_denorm_mode_32 3
		.amdhsa_float_denorm_mode_16_64 3
		.amdhsa_dx10_clamp 1
		.amdhsa_ieee_mode 1
		.amdhsa_fp16_overflow 0
		.amdhsa_tg_split 0
		.amdhsa_exception_fp_ieee_invalid_op 0
		.amdhsa_exception_fp_denorm_src 0
		.amdhsa_exception_fp_ieee_div_zero 0
		.amdhsa_exception_fp_ieee_overflow 0
		.amdhsa_exception_fp_ieee_underflow 0
		.amdhsa_exception_fp_ieee_inexact 0
		.amdhsa_exception_int_div_zero 0
	.end_amdhsa_kernel
	.section	.text._ZN5aiter35fused_qk_rmsnorm_group_quant_kernelItDB8_Li64ELi8ELi8ELb1ELb1ELb0ELb1ELb0ELb0EEEvPT0_PvPT_S6_S6_PKS5_S8_S8_S8_S8_ffiiiiiiiiiiiii,"axG",@progbits,_ZN5aiter35fused_qk_rmsnorm_group_quant_kernelItDB8_Li64ELi8ELi8ELb1ELb1ELb0ELb1ELb0ELb0EEEvPT0_PvPT_S6_S6_PKS5_S8_S8_S8_S8_ffiiiiiiiiiiiii,comdat
.Lfunc_end150:
	.size	_ZN5aiter35fused_qk_rmsnorm_group_quant_kernelItDB8_Li64ELi8ELi8ELb1ELb1ELb0ELb1ELb0ELb0EEEvPT0_PvPT_S6_S6_PKS5_S8_S8_S8_S8_ffiiiiiiiiiiiii, .Lfunc_end150-_ZN5aiter35fused_qk_rmsnorm_group_quant_kernelItDB8_Li64ELi8ELi8ELb1ELb1ELb0ELb1ELb0ELb0EEEvPT0_PvPT_S6_S6_PKS5_S8_S8_S8_S8_ffiiiiiiiiiiiii
                                        ; -- End function
	.section	.AMDGPU.csdata,"",@progbits
; Kernel info:
; codeLenInByte = 2332
; NumSgprs: 48
; NumVgprs: 27
; NumAgprs: 0
; TotalNumVgprs: 27
; ScratchSize: 0
; MemoryBound: 0
; FloatMode: 240
; IeeeMode: 1
; LDSByteSize: 0 bytes/workgroup (compile time only)
; SGPRBlocks: 5
; VGPRBlocks: 3
; NumSGPRsForWavesPerEU: 48
; NumVGPRsForWavesPerEU: 27
; AccumOffset: 28
; Occupancy: 8
; WaveLimiterHint : 0
; COMPUTE_PGM_RSRC2:SCRATCH_EN: 0
; COMPUTE_PGM_RSRC2:USER_SGPR: 6
; COMPUTE_PGM_RSRC2:TRAP_HANDLER: 0
; COMPUTE_PGM_RSRC2:TGID_X_EN: 1
; COMPUTE_PGM_RSRC2:TGID_Y_EN: 1
; COMPUTE_PGM_RSRC2:TGID_Z_EN: 0
; COMPUTE_PGM_RSRC2:TIDIG_COMP_CNT: 0
; COMPUTE_PGM_RSRC3_GFX90A:ACCUM_OFFSET: 6
; COMPUTE_PGM_RSRC3_GFX90A:TG_SPLIT: 0
	.section	.text._ZN5aiter35fused_qk_rmsnorm_group_quant_kernelIDF16_N4opus5fp4_tELi64ELi8ELi8ELb1ELb1ELb0ELb1ELb0ELb0EEEvPT0_PvPT_S7_S7_PKS6_S9_S9_S9_S9_ffiiiiiiiiiiiii,"axG",@progbits,_ZN5aiter35fused_qk_rmsnorm_group_quant_kernelIDF16_N4opus5fp4_tELi64ELi8ELi8ELb1ELb1ELb0ELb1ELb0ELb0EEEvPT0_PvPT_S7_S7_PKS6_S9_S9_S9_S9_ffiiiiiiiiiiiii,comdat
	.protected	_ZN5aiter35fused_qk_rmsnorm_group_quant_kernelIDF16_N4opus5fp4_tELi64ELi8ELi8ELb1ELb1ELb0ELb1ELb0ELb0EEEvPT0_PvPT_S7_S7_PKS6_S9_S9_S9_S9_ffiiiiiiiiiiiii ; -- Begin function _ZN5aiter35fused_qk_rmsnorm_group_quant_kernelIDF16_N4opus5fp4_tELi64ELi8ELi8ELb1ELb1ELb0ELb1ELb0ELb0EEEvPT0_PvPT_S7_S7_PKS6_S9_S9_S9_S9_ffiiiiiiiiiiiii
	.globl	_ZN5aiter35fused_qk_rmsnorm_group_quant_kernelIDF16_N4opus5fp4_tELi64ELi8ELi8ELb1ELb1ELb0ELb1ELb0ELb0EEEvPT0_PvPT_S7_S7_PKS6_S9_S9_S9_S9_ffiiiiiiiiiiiii
	.p2align	8
	.type	_ZN5aiter35fused_qk_rmsnorm_group_quant_kernelIDF16_N4opus5fp4_tELi64ELi8ELi8ELb1ELb1ELb0ELb1ELb0ELb0EEEvPT0_PvPT_S7_S7_PKS6_S9_S9_S9_S9_ffiiiiiiiiiiiii,@function
_ZN5aiter35fused_qk_rmsnorm_group_quant_kernelIDF16_N4opus5fp4_tELi64ELi8ELi8ELb1ELb1ELb0ELb1ELb0ELb0EEEvPT0_PvPT_S7_S7_PKS6_S9_S9_S9_S9_ffiiiiiiiiiiiii: ; @_ZN5aiter35fused_qk_rmsnorm_group_quant_kernelIDF16_N4opus5fp4_tELi64ELi8ELi8ELb1ELb1ELb0ELb1ELb0ELb0EEEvPT0_PvPT_S7_S7_PKS6_S9_S9_S9_S9_ffiiiiiiiiiiiii
; %bb.0:
	s_load_dwordx8 s[8:15], s[4:5], 0x50
	s_waitcnt lgkmcnt(0)
	s_cmp_ge_i32 s6, s10
	s_cbranch_scc1 .LBB151_15
; %bb.1:
	s_cmp_lg_u32 s7, 0
	s_cselect_b64 s[18:19], -1, 0
	s_cmp_eq_u32 s7, 0
	s_cselect_b64 s[20:21], -1, 0
	s_and_b64 s[0:1], s[20:21], exec
	s_cselect_b32 s7, s11, s12
	s_load_dwordx2 s[2:3], s[4:5], 0x30
	s_load_dwordx2 s[16:17], s[4:5], 0x48
	s_add_i32 s0, s7, 1
	s_lshr_b32 s1, s0, 31
	s_add_i32 s0, s0, s1
	s_lshl_b32 s0, s0, 1
	v_lshlrev_b32_e32 v1, 3, v0
	s_and_b32 s26, s0, -4
	v_cmp_gt_i32_e64 s[0:1], s7, v1
	v_mov_b32_e32 v2, 0
	v_mov_b32_e32 v3, 0
	;; [unrolled: 1-line block ×8, first 2 shown]
	s_and_saveexec_b64 s[10:11], s[0:1]
	s_cbranch_execz .LBB151_3
; %bb.2:
	s_load_dwordx2 s[22:23], s[4:5], 0x28
	s_load_dwordx2 s[24:25], s[4:5], 0x40
	s_and_b64 s[28:29], s[20:21], exec
	s_cselect_b32 s13, s13, s14
	v_lshlrev_b32_e32 v10, 4, v0
	s_waitcnt lgkmcnt(0)
	s_cselect_b32 s27, s23, s3
	s_cselect_b32 s28, s22, s2
	s_mul_hi_i32 s23, s13, s6
	s_mul_i32 s22, s13, s6
	s_lshl_b64 s[22:23], s[22:23], 1
	s_add_u32 s28, s28, s22
	s_addc_u32 s13, s27, s23
	s_and_b64 s[20:21], s[20:21], exec
	s_mov_b32 s27, 0x20000
	s_cselect_b32 s24, s24, s16
	s_cselect_b32 s20, s25, s17
	s_and_b32 s29, s13, 0xffff
	s_mov_b32 s30, s26
	s_mov_b32 s31, s27
	s_and_b32 s25, s20, 0xffff
	buffer_load_dwordx4 v[6:9], v10, s[28:31], 0 offen glc slc
	buffer_load_dwordx4 v[2:5], v10, s[24:27], 0 offen
.LBB151_3:
	s_or_b64 exec, exec, s[10:11]
	s_load_dwordx4 s[20:23], s[4:5], 0x7c
	s_and_b64 vcc, exec, s[18:19]
	s_cbranch_vccz .LBB151_7
; %bb.4:
	v_mov_b32_e32 v11, 0
	v_mov_b32_e32 v10, 0
	;; [unrolled: 1-line block ×8, first 2 shown]
	s_and_saveexec_b64 s[10:11], s[0:1]
	s_cbranch_execz .LBB151_6
; %bb.5:
	s_waitcnt vmcnt(1)
	v_cvt_f32_f16_sdwa v17, v6 dst_sel:DWORD dst_unused:UNUSED_PAD src0_sel:WORD_1
	v_cvt_f32_f16_e32 v16, v6
	v_cvt_f32_f16_sdwa v15, v7 dst_sel:DWORD dst_unused:UNUSED_PAD src0_sel:WORD_1
	v_cvt_f32_f16_e32 v14, v7
	;; [unrolled: 2-line block ×4, first 2 shown]
.LBB151_6:
	s_or_b64 exec, exec, s[10:11]
	s_mov_b32 s13, s9
	s_cbranch_execz .LBB151_8
	s_branch .LBB151_11
.LBB151_7:
                                        ; implicit-def: $vgpr11
                                        ; implicit-def: $vgpr13
                                        ; implicit-def: $vgpr15
                                        ; implicit-def: $vgpr17
	s_mov_b32 s13, s9
.LBB151_8:
	v_mov_b32_e32 v11, 0
	v_mov_b32_e32 v10, 0
	;; [unrolled: 1-line block ×8, first 2 shown]
	s_and_saveexec_b64 s[10:11], s[0:1]
	s_cbranch_execz .LBB151_10
; %bb.9:
	s_load_dwordx2 s[24:25], s[4:5], 0x38
	s_mul_hi_i32 s29, s15, s6
	s_mul_i32 s28, s15, s6
	s_lshl_b64 s[28:29], s[28:29], 1
	s_mov_b32 s27, 0x20000
	s_waitcnt lgkmcnt(0)
	s_add_u32 s24, s24, s28
	s_addc_u32 s13, s25, s29
	s_and_b32 s25, s13, 0xffff
	v_lshlrev_b32_e32 v26, 4, v0
	buffer_load_dwordx4 v[10:13], v26, s[24:27], 0 offen glc slc
	s_waitcnt vmcnt(2)
	v_cvt_f32_f16_sdwa v15, v6 dst_sel:DWORD dst_unused:UNUSED_PAD src0_sel:WORD_1
	v_cvt_f32_f16_e32 v14, v6
	v_cvt_f32_f16_sdwa v19, v7 dst_sel:DWORD dst_unused:UNUSED_PAD src0_sel:WORD_1
	v_cvt_f32_f16_e32 v18, v7
	;; [unrolled: 2-line block ×4, first 2 shown]
	s_load_dwordx2 s[24:25], s[4:5], 0x20
	s_mul_hi_i32 s23, s22, s6
	s_mul_i32 s22, s22, s6
	s_lshl_b64 s[22:23], s[22:23], 1
	s_waitcnt lgkmcnt(0)
	s_add_u32 s24, s24, s22
	s_addc_u32 s13, s25, s23
	s_and_b32 s25, s13, 0xffff
	s_waitcnt vmcnt(0)
	v_cvt_f32_f16_e32 v8, v10
	v_cvt_f32_f16_sdwa v9, v10 dst_sel:DWORD dst_unused:UNUSED_PAD src0_sel:WORD_1
	v_cvt_f32_f16_e32 v10, v11
	v_cvt_f32_f16_sdwa v11, v11 dst_sel:DWORD dst_unused:UNUSED_PAD src0_sel:WORD_1
	;; [unrolled: 2-line block ×4, first 2 shown]
	v_pk_add_f32 v[16:17], v[14:15], v[8:9]
	v_pk_add_f32 v[14:15], v[18:19], v[10:11]
	;; [unrolled: 1-line block ×4, first 2 shown]
	v_cvt_f16_f32_e32 v6, v17
	v_cvt_f16_f32_e32 v7, v15
	;; [unrolled: 1-line block ×8, first 2 shown]
	v_pack_b32_f16 v9, v18, v9
	v_pack_b32_f16 v8, v19, v8
	;; [unrolled: 1-line block ×4, first 2 shown]
	buffer_store_dwordx4 v[6:9], v26, s[24:27], 0 offen glc slc
	;;#ASMSTART
	s_nop 0
	;;#ASMEND
.LBB151_10:
	s_or_b64 exec, exec, s[10:11]
	s_mov_b32 s13, s8
.LBB151_11:
	s_waitcnt vmcnt(1)
	v_mul_f32_e32 v6, v17, v17
	v_fmac_f32_e32 v6, v16, v16
	v_fmac_f32_e32 v6, v14, v14
	;; [unrolled: 1-line block ×7, first 2 shown]
	v_bfrev_b32_e32 v8, 0.5
	s_load_dwordx2 s[10:11], s[4:5], 0x18
	v_mov_b32_dpp v7, v6 quad_perm:[1,0,3,2] row_mask:0xf bank_mask:0xf
	v_add_f32_e32 v6, v6, v7
	s_nop 1
	v_mov_b32_dpp v7, v6 quad_perm:[2,3,0,1] row_mask:0xf bank_mask:0xf
	v_add_f32_e32 v6, v6, v7
	s_nop 1
	v_mov_b32_dpp v7, v6 row_half_mirror row_mask:0xf bank_mask:0xf
	v_add_f32_e32 v6, v6, v7
	s_nop 1
	v_mov_b32_dpp v7, v6 row_mirror row_mask:0xf bank_mask:0xf
	v_add_f32_e32 v6, v6, v7
	s_nop 1
	v_mov_b32_dpp v7, v6 row_bcast:15 row_mask:0xf bank_mask:0xf
	v_add_f32_e32 v6, v6, v7
	s_nop 1
	v_mov_b32_dpp v7, v6 row_bcast:31 row_mask:0xf bank_mask:0xf
	v_add_f32_e32 v6, v6, v7
	v_mbcnt_lo_u32_b32 v7, -1, 0
	v_mbcnt_hi_u32_b32 v7, -1, v7
	v_lshl_or_b32 v18, v7, 2, v8
	ds_bpermute_b32 v6, v18, v6
	s_waitcnt lgkmcnt(0)
	s_and_saveexec_b64 s[22:23], s[0:1]
	s_cbranch_execnz .LBB151_16
; %bb.12:
	s_or_b64 exec, exec, s[22:23]
	s_mov_b64 s[22:23], -1
	s_and_b64 vcc, exec, s[18:19]
	s_cbranch_vccnz .LBB151_17
.LBB151_13:
	s_andn2_b64 vcc, exec, s[22:23]
	s_cbranch_vccz .LBB151_20
.LBB151_14:
	s_cmp_lt_i32 s12, 1
	s_cbranch_scc0 .LBB151_23
.LBB151_15:
	s_endpgm
.LBB151_16:
	v_cvt_f32_u32_e32 v7, s7
	s_mov_b32 s7, 0x800000
	s_waitcnt vmcnt(0)
	v_cvt_f32_f16_sdwa v23, v5 dst_sel:DWORD dst_unused:UNUSED_PAD src0_sel:WORD_1
	v_cvt_f32_f16_e32 v22, v5
	v_div_scale_f32 v8, s[24:25], v7, v7, v6
	v_rcp_f32_e32 v9, v8
	v_div_scale_f32 v19, vcc, v6, v7, v6
	v_fma_f32 v20, -v8, v9, 1.0
	v_fmac_f32_e32 v9, v20, v9
	v_mul_f32_e32 v20, v19, v9
	v_fma_f32 v21, -v8, v20, v19
	v_fmac_f32_e32 v20, v21, v9
	v_fma_f32 v8, -v8, v20, v19
	v_div_fmas_f32 v8, v8, v9, v20
	v_div_fixup_f32 v6, v8, v7, v6
	v_add_f32_e32 v6, s13, v6
	v_mul_f32_e32 v7, 0x4b800000, v6
	v_cmp_gt_f32_e32 vcc, s7, v6
	v_cndmask_b32_e32 v6, v6, v7, vcc
	v_rsq_f32_e32 v6, v6
	v_cvt_f32_f16_sdwa v21, v3 dst_sel:DWORD dst_unused:UNUSED_PAD src0_sel:WORD_1
	v_cvt_f32_f16_e32 v20, v3
	v_cvt_f32_f16_sdwa v3, v4 dst_sel:DWORD dst_unused:UNUSED_PAD src0_sel:WORD_1
	v_mul_f32_e32 v7, 0x45800000, v6
	v_cndmask_b32_e32 v6, v6, v7, vcc
	v_mov_b32_e32 v7, v6
	;;#ASMSTART
	v_pk_mul_f32 v[8:9], v[16:17], v[6:7]
	;;#ASMEND
	;;#ASMSTART
	v_pk_mul_f32 v[14:15], v[14:15], v[6:7]
	;;#ASMEND
	;; [unrolled: 3-line block ×4, first 2 shown]
	v_cvt_f32_f16_sdwa v11, v2 dst_sel:DWORD dst_unused:UNUSED_PAD src0_sel:WORD_1
	v_cvt_f32_f16_e32 v10, v2
	v_cvt_f32_f16_e32 v2, v4
	;;#ASMSTART
	v_pk_mul_f32 v[16:17], v[8:9], v[10:11]
	;;#ASMEND
	;;#ASMSTART
	v_pk_mul_f32 v[14:15], v[14:15], v[20:21]
	;;#ASMEND
	;; [unrolled: 3-line block ×4, first 2 shown]
	s_or_b64 exec, exec, s[22:23]
	s_mov_b64 s[22:23], -1
	s_and_b64 vcc, exec, s[18:19]
	s_cbranch_vccz .LBB151_13
.LBB151_17:
	s_and_saveexec_b64 s[18:19], s[0:1]
	s_cbranch_execz .LBB151_19
; %bb.18:
	s_mul_hi_i32 s23, s21, s6
	s_mul_i32 s22, s21, s6
	s_waitcnt vmcnt(0)
	v_cvt_f16_f32_e32 v2, v16
	v_cvt_f16_f32_e32 v3, v14
	;; [unrolled: 1-line block ×8, first 2 shown]
	s_lshl_b64 s[22:23], s[22:23], 1
	s_add_u32 s24, s10, s22
	s_addc_u32 s7, s11, s23
	s_and_b32 s25, s7, 0xffff
	s_mov_b32 s27, 0x20000
	v_pack_b32_f16 v5, v5, v6
	v_pack_b32_f16 v4, v4, v7
	;; [unrolled: 1-line block ×4, first 2 shown]
	v_lshlrev_b32_e32 v6, 4, v0
	buffer_store_dwordx4 v[2:5], v6, s[24:27], 0 offen
	;;#ASMSTART
	s_nop 0
	;;#ASMEND
.LBB151_19:
	s_or_b64 exec, exec, s[18:19]
	s_cbranch_execnz .LBB151_14
.LBB151_20:
	s_and_saveexec_b64 s[18:19], s[0:1]
	s_cbranch_execz .LBB151_22
; %bb.21:
	s_load_dwordx2 s[0:1], s[4:5], 0x10
	s_mul_hi_i32 s23, s20, s6
	s_mul_i32 s22, s20, s6
	s_waitcnt vmcnt(0)
	v_cvt_f16_f32_e32 v2, v16
	v_cvt_f16_f32_e32 v3, v14
	;; [unrolled: 1-line block ×8, first 2 shown]
	s_lshl_b64 s[22:23], s[22:23], 1
	s_waitcnt lgkmcnt(0)
	s_add_u32 s24, s0, s22
	s_addc_u32 s0, s1, s23
	s_mov_b32 s27, 0x20000
	s_and_b32 s25, s0, 0xffff
	v_pack_b32_f16 v5, v5, v6
	v_pack_b32_f16 v4, v4, v7
	;; [unrolled: 1-line block ×4, first 2 shown]
	v_lshlrev_b32_e32 v6, 4, v0
	buffer_store_dwordx4 v[2:5], v6, s[24:27], 0 offen
	;;#ASMSTART
	s_nop 0
	;;#ASMEND
.LBB151_22:
	s_or_b64 exec, exec, s[18:19]
	s_cmp_lt_i32 s12, 1
	s_cbranch_scc1 .LBB151_15
.LBB151_23:
	s_load_dword s0, s[4:5], 0x94
	s_waitcnt lgkmcnt(0)
	s_cmp_lg_u32 s0, 1
	s_cbranch_scc1 .LBB151_15
; %bb.24:
	s_lshl_b32 s0, s12, 1
	s_add_i32 s0, s0, 2
	v_cmp_gt_u32_e32 vcc, s12, v1
	s_and_b32 s18, s0, -4
	v_mov_b32_e32 v8, 0
	v_lshlrev_b32_e32 v16, 4, v0
	s_waitcnt vmcnt(0)
	v_mov_b32_e32 v4, 0
	v_mov_b32_e32 v5, 0
	;; [unrolled: 1-line block ×8, first 2 shown]
	s_barrier
	s_and_saveexec_b64 s[0:1], vcc
	s_cbranch_execz .LBB151_26
; %bb.25:
	s_mul_hi_i32 s5, s14, s6
	s_mul_i32 s4, s14, s6
	s_and_b32 s17, s17, 0xffff
	s_lshl_b64 s[4:5], s[4:5], 1
	s_add_u32 s24, s2, s4
	s_mov_b32 s19, 0x20000
	s_addc_u32 s2, s3, s5
	s_and_b32 s25, s2, 0xffff
	s_mov_b32 s26, s18
	s_mov_b32 s27, s19
	buffer_load_dwordx4 v[4:7], v16, s[24:27], 0 offen glc slc
	buffer_load_dwordx4 v[0:3], v16, s[16:19], 0 offen
.LBB151_26:
	s_or_b64 exec, exec, s[0:1]
	v_mov_b32_e32 v9, 0
	v_mov_b32_e32 v14, 0
	;; [unrolled: 1-line block ×7, first 2 shown]
	s_and_saveexec_b64 s[0:1], vcc
	s_cbranch_execz .LBB151_28
; %bb.27:
	s_waitcnt vmcnt(1)
	v_cvt_f32_f16_sdwa v9, v4 dst_sel:DWORD dst_unused:UNUSED_PAD src0_sel:WORD_1
	v_cvt_f32_f16_e32 v8, v4
	v_cvt_f32_f16_sdwa v15, v5 dst_sel:DWORD dst_unused:UNUSED_PAD src0_sel:WORD_1
	v_cvt_f32_f16_e32 v14, v5
	;; [unrolled: 2-line block ×4, first 2 shown]
.LBB151_28:
	s_or_b64 exec, exec, s[0:1]
	s_waitcnt vmcnt(1)
	v_mul_f32_e32 v4, v9, v9
	v_fmac_f32_e32 v4, v8, v8
	v_fmac_f32_e32 v4, v14, v14
	;; [unrolled: 1-line block ×7, first 2 shown]
	s_nop 1
	v_mov_b32_dpp v5, v4 quad_perm:[1,0,3,2] row_mask:0xf bank_mask:0xf
	v_add_f32_e32 v4, v4, v5
	s_nop 1
	v_mov_b32_dpp v5, v4 quad_perm:[2,3,0,1] row_mask:0xf bank_mask:0xf
	v_add_f32_e32 v4, v4, v5
	s_nop 1
	v_mov_b32_dpp v5, v4 row_half_mirror row_mask:0xf bank_mask:0xf
	v_add_f32_e32 v4, v4, v5
	s_nop 1
	v_mov_b32_dpp v5, v4 row_mirror row_mask:0xf bank_mask:0xf
	v_add_f32_e32 v4, v4, v5
	s_nop 1
	v_mov_b32_dpp v5, v4 row_bcast:15 row_mask:0xf bank_mask:0xf
	v_add_f32_e32 v4, v4, v5
	s_nop 1
	v_mov_b32_dpp v5, v4 row_bcast:31 row_mask:0xf bank_mask:0xf
	v_add_f32_e32 v4, v4, v5
	ds_bpermute_b32 v4, v18, v4
	s_and_saveexec_b64 s[0:1], vcc
	s_cbranch_execz .LBB151_15
; %bb.29:
	v_cvt_f32_u32_e32 v5, s12
	s_mov_b32 s19, 0x20000
	s_waitcnt lgkmcnt(0)
	v_div_scale_f32 v6, s[0:1], v5, v5, v4
	v_rcp_f32_e32 v7, v6
	v_div_scale_f32 v17, vcc, v4, v5, v4
	s_mov_b32 s0, 0x800000
	v_fma_f32 v18, -v6, v7, 1.0
	v_fmac_f32_e32 v7, v18, v7
	v_mul_f32_e32 v18, v17, v7
	v_fma_f32 v19, -v6, v18, v17
	v_fmac_f32_e32 v18, v19, v7
	v_fma_f32 v6, -v6, v18, v17
	v_div_fmas_f32 v6, v6, v7, v18
	v_div_fixup_f32 v4, v6, v5, v4
	v_add_f32_e32 v4, s9, v4
	v_mul_f32_e32 v5, 0x4b800000, v4
	v_cmp_gt_f32_e32 vcc, s0, v4
	v_cndmask_b32_e32 v4, v4, v5, vcc
	v_rsq_f32_e32 v4, v4
	s_waitcnt vmcnt(0)
	v_cvt_f32_f16_sdwa v19, v3 dst_sel:DWORD dst_unused:UNUSED_PAD src0_sel:WORD_1
	v_cvt_f32_f16_e32 v18, v3
	s_mul_hi_i32 s1, s21, s6
	v_mul_f32_e32 v5, 0x45800000, v4
	v_cndmask_b32_e32 v4, v4, v5, vcc
	v_mov_b32_e32 v5, v4
	;;#ASMSTART
	v_pk_mul_f32 v[6:7], v[8:9], v[4:5]
	;;#ASMEND
	;;#ASMSTART
	v_pk_mul_f32 v[8:9], v[14:15], v[4:5]
	;;#ASMEND
	;; [unrolled: 3-line block ×4, first 2 shown]
	v_cvt_f32_f16_sdwa v11, v0 dst_sel:DWORD dst_unused:UNUSED_PAD src0_sel:WORD_1
	v_cvt_f32_f16_e32 v10, v0
	v_cvt_f32_f16_sdwa v15, v1 dst_sel:DWORD dst_unused:UNUSED_PAD src0_sel:WORD_1
	v_cvt_f32_f16_e32 v14, v1
	;; [unrolled: 2-line block ×3, first 2 shown]
	;;#ASMSTART
	v_pk_mul_f32 v[2:3], v[6:7], v[10:11]
	;;#ASMEND
	;;#ASMSTART
	v_pk_mul_f32 v[6:7], v[8:9], v[14:15]
	;;#ASMEND
	;; [unrolled: 3-line block ×4, first 2 shown]
	s_mul_i32 s0, s21, s6
	v_cvt_f16_f32_e32 v2, v2
	v_cvt_f16_f32_e32 v3, v3
	;; [unrolled: 1-line block ×8, first 2 shown]
	s_lshl_b64 s[0:1], s[0:1], 1
	s_add_u32 s16, s10, s0
	s_addc_u32 s0, s11, s1
	s_and_b32 s17, s0, 0xffff
	v_pack_b32_f16 v0, v2, v3
	v_pack_b32_f16 v1, v6, v7
	;; [unrolled: 1-line block ×4, first 2 shown]
	buffer_store_dwordx4 v[0:3], v16, s[16:19], 0 offen
	;;#ASMSTART
	s_nop 0
	;;#ASMEND
	s_endpgm
	.section	.rodata,"a",@progbits
	.p2align	6, 0x0
	.amdhsa_kernel _ZN5aiter35fused_qk_rmsnorm_group_quant_kernelIDF16_N4opus5fp4_tELi64ELi8ELi8ELb1ELb1ELb0ELb1ELb0ELb0EEEvPT0_PvPT_S7_S7_PKS6_S9_S9_S9_S9_ffiiiiiiiiiiiii
		.amdhsa_group_segment_fixed_size 0
		.amdhsa_private_segment_fixed_size 0
		.amdhsa_kernarg_size 400
		.amdhsa_user_sgpr_count 6
		.amdhsa_user_sgpr_private_segment_buffer 1
		.amdhsa_user_sgpr_dispatch_ptr 0
		.amdhsa_user_sgpr_queue_ptr 0
		.amdhsa_user_sgpr_kernarg_segment_ptr 1
		.amdhsa_user_sgpr_dispatch_id 0
		.amdhsa_user_sgpr_flat_scratch_init 0
		.amdhsa_user_sgpr_kernarg_preload_length 0
		.amdhsa_user_sgpr_kernarg_preload_offset 0
		.amdhsa_user_sgpr_private_segment_size 0
		.amdhsa_uses_dynamic_stack 0
		.amdhsa_system_sgpr_private_segment_wavefront_offset 0
		.amdhsa_system_sgpr_workgroup_id_x 1
		.amdhsa_system_sgpr_workgroup_id_y 1
		.amdhsa_system_sgpr_workgroup_id_z 0
		.amdhsa_system_sgpr_workgroup_info 0
		.amdhsa_system_vgpr_workitem_id 0
		.amdhsa_next_free_vgpr 27
		.amdhsa_next_free_sgpr 32
		.amdhsa_accum_offset 28
		.amdhsa_reserve_vcc 1
		.amdhsa_reserve_flat_scratch 0
		.amdhsa_float_round_mode_32 0
		.amdhsa_float_round_mode_16_64 0
		.amdhsa_float_denorm_mode_32 3
		.amdhsa_float_denorm_mode_16_64 3
		.amdhsa_dx10_clamp 1
		.amdhsa_ieee_mode 1
		.amdhsa_fp16_overflow 0
		.amdhsa_tg_split 0
		.amdhsa_exception_fp_ieee_invalid_op 0
		.amdhsa_exception_fp_denorm_src 0
		.amdhsa_exception_fp_ieee_div_zero 0
		.amdhsa_exception_fp_ieee_overflow 0
		.amdhsa_exception_fp_ieee_underflow 0
		.amdhsa_exception_fp_ieee_inexact 0
		.amdhsa_exception_int_div_zero 0
	.end_amdhsa_kernel
	.section	.text._ZN5aiter35fused_qk_rmsnorm_group_quant_kernelIDF16_N4opus5fp4_tELi64ELi8ELi8ELb1ELb1ELb0ELb1ELb0ELb0EEEvPT0_PvPT_S7_S7_PKS6_S9_S9_S9_S9_ffiiiiiiiiiiiii,"axG",@progbits,_ZN5aiter35fused_qk_rmsnorm_group_quant_kernelIDF16_N4opus5fp4_tELi64ELi8ELi8ELb1ELb1ELb0ELb1ELb0ELb0EEEvPT0_PvPT_S7_S7_PKS6_S9_S9_S9_S9_ffiiiiiiiiiiiii,comdat
.Lfunc_end151:
	.size	_ZN5aiter35fused_qk_rmsnorm_group_quant_kernelIDF16_N4opus5fp4_tELi64ELi8ELi8ELb1ELb1ELb0ELb1ELb0ELb0EEEvPT0_PvPT_S7_S7_PKS6_S9_S9_S9_S9_ffiiiiiiiiiiiii, .Lfunc_end151-_ZN5aiter35fused_qk_rmsnorm_group_quant_kernelIDF16_N4opus5fp4_tELi64ELi8ELi8ELb1ELb1ELb0ELb1ELb0ELb0EEEvPT0_PvPT_S7_S7_PKS6_S9_S9_S9_S9_ffiiiiiiiiiiiii
                                        ; -- End function
	.section	.AMDGPU.csdata,"",@progbits
; Kernel info:
; codeLenInByte = 2288
; NumSgprs: 36
; NumVgprs: 27
; NumAgprs: 0
; TotalNumVgprs: 27
; ScratchSize: 0
; MemoryBound: 0
; FloatMode: 240
; IeeeMode: 1
; LDSByteSize: 0 bytes/workgroup (compile time only)
; SGPRBlocks: 4
; VGPRBlocks: 3
; NumSGPRsForWavesPerEU: 36
; NumVGPRsForWavesPerEU: 27
; AccumOffset: 28
; Occupancy: 8
; WaveLimiterHint : 0
; COMPUTE_PGM_RSRC2:SCRATCH_EN: 0
; COMPUTE_PGM_RSRC2:USER_SGPR: 6
; COMPUTE_PGM_RSRC2:TRAP_HANDLER: 0
; COMPUTE_PGM_RSRC2:TGID_X_EN: 1
; COMPUTE_PGM_RSRC2:TGID_Y_EN: 1
; COMPUTE_PGM_RSRC2:TGID_Z_EN: 0
; COMPUTE_PGM_RSRC2:TIDIG_COMP_CNT: 0
; COMPUTE_PGM_RSRC3_GFX90A:ACCUM_OFFSET: 6
; COMPUTE_PGM_RSRC3_GFX90A:TG_SPLIT: 0
	.section	.text._ZN5aiter35fused_qk_rmsnorm_group_quant_kernelItN4opus5fp4_tELi64ELi8ELi8ELb1ELb1ELb0ELb1ELb0ELb0EEEvPT0_PvPT_S7_S7_PKS6_S9_S9_S9_S9_ffiiiiiiiiiiiii,"axG",@progbits,_ZN5aiter35fused_qk_rmsnorm_group_quant_kernelItN4opus5fp4_tELi64ELi8ELi8ELb1ELb1ELb0ELb1ELb0ELb0EEEvPT0_PvPT_S7_S7_PKS6_S9_S9_S9_S9_ffiiiiiiiiiiiii,comdat
	.protected	_ZN5aiter35fused_qk_rmsnorm_group_quant_kernelItN4opus5fp4_tELi64ELi8ELi8ELb1ELb1ELb0ELb1ELb0ELb0EEEvPT0_PvPT_S7_S7_PKS6_S9_S9_S9_S9_ffiiiiiiiiiiiii ; -- Begin function _ZN5aiter35fused_qk_rmsnorm_group_quant_kernelItN4opus5fp4_tELi64ELi8ELi8ELb1ELb1ELb0ELb1ELb0ELb0EEEvPT0_PvPT_S7_S7_PKS6_S9_S9_S9_S9_ffiiiiiiiiiiiii
	.globl	_ZN5aiter35fused_qk_rmsnorm_group_quant_kernelItN4opus5fp4_tELi64ELi8ELi8ELb1ELb1ELb0ELb1ELb0ELb0EEEvPT0_PvPT_S7_S7_PKS6_S9_S9_S9_S9_ffiiiiiiiiiiiii
	.p2align	8
	.type	_ZN5aiter35fused_qk_rmsnorm_group_quant_kernelItN4opus5fp4_tELi64ELi8ELi8ELb1ELb1ELb0ELb1ELb0ELb0EEEvPT0_PvPT_S7_S7_PKS6_S9_S9_S9_S9_ffiiiiiiiiiiiii,@function
_ZN5aiter35fused_qk_rmsnorm_group_quant_kernelItN4opus5fp4_tELi64ELi8ELi8ELb1ELb1ELb0ELb1ELb0ELb0EEEvPT0_PvPT_S7_S7_PKS6_S9_S9_S9_S9_ffiiiiiiiiiiiii: ; @_ZN5aiter35fused_qk_rmsnorm_group_quant_kernelItN4opus5fp4_tELi64ELi8ELi8ELb1ELb1ELb0ELb1ELb0ELb0EEEvPT0_PvPT_S7_S7_PKS6_S9_S9_S9_S9_ffiiiiiiiiiiiii
; %bb.0:
	s_load_dwordx8 s[8:15], s[4:5], 0x50
	s_waitcnt lgkmcnt(0)
	s_cmp_ge_i32 s6, s10
	s_cbranch_scc1 .LBB152_15
; %bb.1:
	s_cmp_lg_u32 s7, 0
	s_cselect_b64 s[18:19], -1, 0
	s_cmp_eq_u32 s7, 0
	s_cselect_b64 s[20:21], -1, 0
	s_and_b64 s[0:1], s[20:21], exec
	s_cselect_b32 s7, s11, s12
	s_load_dwordx2 s[2:3], s[4:5], 0x30
	s_load_dwordx2 s[16:17], s[4:5], 0x48
	s_add_i32 s0, s7, 1
	s_lshr_b32 s1, s0, 31
	s_add_i32 s0, s0, s1
	s_lshl_b32 s0, s0, 1
	v_lshlrev_b32_e32 v1, 3, v0
	s_and_b32 s26, s0, -4
	v_cmp_gt_i32_e64 s[0:1], s7, v1
	v_mov_b32_e32 v10, 0
	v_mov_b32_e32 v11, 0
	;; [unrolled: 1-line block ×8, first 2 shown]
	s_and_saveexec_b64 s[10:11], s[0:1]
	s_cbranch_execz .LBB152_3
; %bb.2:
	s_load_dwordx2 s[22:23], s[4:5], 0x28
	s_load_dwordx2 s[24:25], s[4:5], 0x40
	s_and_b64 s[28:29], s[20:21], exec
	s_cselect_b32 s13, s13, s14
	v_lshlrev_b32_e32 v2, 4, v0
	s_waitcnt lgkmcnt(0)
	s_cselect_b32 s27, s23, s3
	s_cselect_b32 s28, s22, s2
	s_mul_hi_i32 s23, s13, s6
	s_mul_i32 s22, s13, s6
	s_lshl_b64 s[22:23], s[22:23], 1
	s_add_u32 s28, s28, s22
	s_addc_u32 s13, s27, s23
	s_and_b64 s[20:21], s[20:21], exec
	s_mov_b32 s27, 0x20000
	s_cselect_b32 s24, s24, s16
	s_cselect_b32 s20, s25, s17
	s_and_b32 s29, s13, 0xffff
	s_mov_b32 s30, s26
	s_mov_b32 s31, s27
	s_and_b32 s25, s20, 0xffff
	buffer_load_dwordx4 v[14:17], v2, s[28:31], 0 offen glc slc
	buffer_load_dwordx4 v[10:13], v2, s[24:27], 0 offen
.LBB152_3:
	s_or_b64 exec, exec, s[10:11]
	s_load_dwordx4 s[20:23], s[4:5], 0x7c
	s_and_b64 vcc, exec, s[18:19]
	s_cbranch_vccz .LBB152_7
; %bb.4:
	s_mov_b32 s36, 0
	s_mov_b32 s37, s36
	s_mov_b32 s38, s36
	s_mov_b32 s39, s36
	s_mov_b32 s40, s36
	s_mov_b32 s41, s36
	s_mov_b32 s42, s36
	s_mov_b32 s43, s36
	v_pk_mov_b32 v[2:3], s[36:37], s[36:37] op_sel:[0,1]
	v_pk_mov_b32 v[4:5], s[38:39], s[38:39] op_sel:[0,1]
	;; [unrolled: 1-line block ×4, first 2 shown]
	s_and_saveexec_b64 s[10:11], s[0:1]
	s_cbranch_execz .LBB152_6
; %bb.5:
	s_waitcnt vmcnt(1)
	v_cvt_f32_u32_sdwa v3, v14 dst_sel:DWORD dst_unused:UNUSED_PAD src0_sel:WORD_1
	v_cvt_f32_u32_sdwa v2, v14 dst_sel:DWORD dst_unused:UNUSED_PAD src0_sel:WORD_0
	v_cvt_f32_u32_sdwa v5, v15 dst_sel:DWORD dst_unused:UNUSED_PAD src0_sel:WORD_1
	v_cvt_f32_u32_sdwa v4, v15 dst_sel:DWORD dst_unused:UNUSED_PAD src0_sel:WORD_0
	;; [unrolled: 2-line block ×4, first 2 shown]
.LBB152_6:
	s_or_b64 exec, exec, s[10:11]
	s_mov_b32 s13, s9
	s_cbranch_execz .LBB152_8
	s_branch .LBB152_11
.LBB152_7:
                                        ; implicit-def: $vgpr2_vgpr3_vgpr4_vgpr5_vgpr6_vgpr7_vgpr8_vgpr9
	s_mov_b32 s13, s9
.LBB152_8:
	s_mov_b32 s36, 0
	s_mov_b32 s37, s36
	;; [unrolled: 1-line block ×8, first 2 shown]
	v_pk_mov_b32 v[2:3], s[36:37], s[36:37] op_sel:[0,1]
	v_pk_mov_b32 v[4:5], s[38:39], s[38:39] op_sel:[0,1]
	v_pk_mov_b32 v[6:7], s[40:41], s[40:41] op_sel:[0,1]
	v_pk_mov_b32 v[8:9], s[42:43], s[42:43] op_sel:[0,1]
	s_and_saveexec_b64 s[10:11], s[0:1]
	s_cbranch_execz .LBB152_10
; %bb.9:
	s_load_dwordx2 s[24:25], s[4:5], 0x38
	s_mul_hi_i32 s29, s15, s6
	s_mul_i32 s28, s15, s6
	s_lshl_b64 s[28:29], s[28:29], 1
	s_mov_b32 s27, 0x20000
	s_waitcnt lgkmcnt(0)
	s_add_u32 s24, s24, s28
	s_addc_u32 s13, s25, s29
	s_and_b32 s25, s13, 0xffff
	v_lshlrev_b32_e32 v26, 4, v0
	buffer_load_dwordx4 v[2:5], v26, s[24:27], 0 offen glc slc
	s_load_dwordx2 s[24:25], s[4:5], 0x20
	s_waitcnt vmcnt(2)
	v_cvt_f32_u32_sdwa v7, v14 dst_sel:DWORD dst_unused:UNUSED_PAD src0_sel:WORD_1
	v_cvt_f32_u32_sdwa v6, v14 dst_sel:DWORD dst_unused:UNUSED_PAD src0_sel:WORD_0
	v_cvt_f32_u32_sdwa v9, v15 dst_sel:DWORD dst_unused:UNUSED_PAD src0_sel:WORD_1
	v_cvt_f32_u32_sdwa v8, v15 dst_sel:DWORD dst_unused:UNUSED_PAD src0_sel:WORD_0
	;; [unrolled: 2-line block ×4, first 2 shown]
	s_mul_hi_i32 s23, s22, s6
	s_mul_i32 s22, s22, s6
	s_lshl_b64 s[22:23], s[22:23], 1
	s_waitcnt lgkmcnt(0)
	s_add_u32 s24, s24, s22
	s_mov_b32 s13, 0x7060302
	s_addc_u32 s15, s25, s23
	s_and_b32 s25, s15, 0xffff
	s_waitcnt vmcnt(0)
	v_cvt_f32_u32_sdwa v17, v2 dst_sel:DWORD dst_unused:UNUSED_PAD src0_sel:WORD_1
	v_cvt_f32_u32_sdwa v16, v2 dst_sel:DWORD dst_unused:UNUSED_PAD src0_sel:WORD_0
	v_cvt_f32_u32_sdwa v21, v3 dst_sel:DWORD dst_unused:UNUSED_PAD src0_sel:WORD_1
	v_cvt_f32_u32_sdwa v20, v3 dst_sel:DWORD dst_unused:UNUSED_PAD src0_sel:WORD_0
	;; [unrolled: 2-line block ×4, first 2 shown]
	v_pk_add_f32 v[2:3], v[6:7], v[16:17]
	v_pk_add_f32 v[4:5], v[8:9], v[20:21]
	;; [unrolled: 1-line block ×4, first 2 shown]
	v_perm_b32 v17, v9, v8, s13
	v_perm_b32 v16, v7, v6, s13
	;; [unrolled: 1-line block ×4, first 2 shown]
	buffer_store_dwordx4 v[14:17], v26, s[24:27], 0 offen glc slc
	;;#ASMSTART
	s_nop 0
	;;#ASMEND
.LBB152_10:
	s_or_b64 exec, exec, s[10:11]
	s_mov_b32 s13, s8
.LBB152_11:
	s_waitcnt vmcnt(1)
	v_mul_f32_e32 v14, v3, v3
	v_fmac_f32_e32 v14, v2, v2
	v_fmac_f32_e32 v14, v4, v4
	;; [unrolled: 1-line block ×7, first 2 shown]
	v_bfrev_b32_e32 v16, 0.5
	s_load_dwordx2 s[10:11], s[4:5], 0x18
	v_mov_b32_dpp v15, v14 quad_perm:[1,0,3,2] row_mask:0xf bank_mask:0xf
	v_add_f32_e32 v14, v14, v15
	s_nop 1
	v_mov_b32_dpp v15, v14 quad_perm:[2,3,0,1] row_mask:0xf bank_mask:0xf
	v_add_f32_e32 v14, v14, v15
	s_nop 1
	v_mov_b32_dpp v15, v14 row_half_mirror row_mask:0xf bank_mask:0xf
	v_add_f32_e32 v14, v14, v15
	s_nop 1
	v_mov_b32_dpp v15, v14 row_mirror row_mask:0xf bank_mask:0xf
	v_add_f32_e32 v14, v14, v15
	s_nop 1
	v_mov_b32_dpp v15, v14 row_bcast:15 row_mask:0xf bank_mask:0xf
	v_add_f32_e32 v14, v14, v15
	s_nop 1
	v_mov_b32_dpp v15, v14 row_bcast:31 row_mask:0xf bank_mask:0xf
	v_add_f32_e32 v15, v14, v15
	v_mbcnt_lo_u32_b32 v14, -1, 0
	v_mbcnt_hi_u32_b32 v14, -1, v14
	v_lshl_or_b32 v14, v14, 2, v16
	ds_bpermute_b32 v15, v14, v15
	s_waitcnt lgkmcnt(0)
	s_and_saveexec_b64 s[22:23], s[0:1]
	s_cbranch_execnz .LBB152_16
; %bb.12:
	s_or_b64 exec, exec, s[22:23]
	s_mov_b64 s[22:23], -1
	s_and_b64 vcc, exec, s[18:19]
	s_cbranch_vccnz .LBB152_17
.LBB152_13:
	s_andn2_b64 vcc, exec, s[22:23]
	s_cbranch_vccz .LBB152_20
.LBB152_14:
	s_cmp_lt_i32 s12, 1
	s_cbranch_scc0 .LBB152_23
.LBB152_15:
	s_endpgm
.LBB152_16:
	v_cvt_f32_u32_e32 v16, s7
	s_mov_b32 s7, 0x800000
	v_div_scale_f32 v17, s[24:25], v16, v16, v15
	v_rcp_f32_e32 v18, v17
	v_div_scale_f32 v19, vcc, v15, v16, v15
	v_fma_f32 v20, -v17, v18, 1.0
	v_fmac_f32_e32 v18, v20, v18
	v_mul_f32_e32 v20, v19, v18
	v_fma_f32 v21, -v17, v20, v19
	v_fmac_f32_e32 v20, v21, v18
	v_fma_f32 v17, -v17, v20, v19
	v_div_fmas_f32 v17, v17, v18, v20
	v_div_fixup_f32 v15, v17, v16, v15
	v_add_f32_e32 v15, s13, v15
	v_mul_f32_e32 v16, 0x4b800000, v15
	v_cmp_gt_f32_e32 vcc, s7, v15
	v_cndmask_b32_e32 v15, v15, v16, vcc
	v_rsq_f32_e32 v15, v15
	s_waitcnt vmcnt(0)
	v_cvt_f32_u32_sdwa v19, v11 dst_sel:DWORD dst_unused:UNUSED_PAD src0_sel:WORD_1
	v_cvt_f32_u32_sdwa v18, v11 dst_sel:DWORD dst_unused:UNUSED_PAD src0_sel:WORD_0
	v_cvt_f32_u32_sdwa v11, v12 dst_sel:DWORD dst_unused:UNUSED_PAD src0_sel:WORD_1
	v_mul_f32_e32 v16, 0x45800000, v15
	v_cndmask_b32_e32 v16, v15, v16, vcc
	v_mov_b32_e32 v17, v16
	;;#ASMSTART
	v_pk_mul_f32 v[2:3], v[2:3], v[16:17]
	;;#ASMEND
	;;#ASMSTART
	v_pk_mul_f32 v[4:5], v[4:5], v[16:17]
	;;#ASMEND
	;; [unrolled: 3-line block ×4, first 2 shown]
	v_cvt_f32_u32_sdwa v17, v10 dst_sel:DWORD dst_unused:UNUSED_PAD src0_sel:WORD_1
	v_cvt_f32_u32_sdwa v16, v10 dst_sel:DWORD dst_unused:UNUSED_PAD src0_sel:WORD_0
	v_cvt_f32_u32_sdwa v10, v12 dst_sel:DWORD dst_unused:UNUSED_PAD src0_sel:WORD_0
	v_cvt_f32_u32_sdwa v21, v13 dst_sel:DWORD dst_unused:UNUSED_PAD src0_sel:WORD_1
	v_cvt_f32_u32_sdwa v20, v13 dst_sel:DWORD dst_unused:UNUSED_PAD src0_sel:WORD_0
	;;#ASMSTART
	v_pk_mul_f32 v[2:3], v[2:3], v[16:17]
	;;#ASMEND
	;;#ASMSTART
	v_pk_mul_f32 v[4:5], v[4:5], v[18:19]
	;;#ASMEND
	;; [unrolled: 3-line block ×4, first 2 shown]
	s_or_b64 exec, exec, s[22:23]
	s_mov_b64 s[22:23], -1
	s_and_b64 vcc, exec, s[18:19]
	s_cbranch_vccz .LBB152_13
.LBB152_17:
	s_and_saveexec_b64 s[18:19], s[0:1]
	s_cbranch_execz .LBB152_19
; %bb.18:
	s_mul_hi_i32 s23, s21, s6
	s_mul_i32 s22, s21, s6
	s_lshl_b64 s[22:23], s[22:23], 1
	s_add_u32 s24, s10, s22
	s_addc_u32 s7, s11, s23
	s_and_b32 s25, s7, 0xffff
	s_mov_b32 s7, 0x7060302
	s_mov_b32 s27, 0x20000
	s_waitcnt vmcnt(0)
	v_perm_b32 v10, v3, v2, s7
	v_perm_b32 v11, v5, v4, s7
	;; [unrolled: 1-line block ×4, first 2 shown]
	v_lshlrev_b32_e32 v15, 4, v0
	buffer_store_dwordx4 v[10:13], v15, s[24:27], 0 offen
	;;#ASMSTART
	s_nop 0
	;;#ASMEND
.LBB152_19:
	s_or_b64 exec, exec, s[18:19]
	s_cbranch_execnz .LBB152_14
.LBB152_20:
	s_and_saveexec_b64 s[18:19], s[0:1]
	s_cbranch_execz .LBB152_22
; %bb.21:
	s_load_dwordx2 s[0:1], s[4:5], 0x10
	s_mul_hi_i32 s23, s20, s6
	s_mul_i32 s22, s20, s6
	s_lshl_b64 s[22:23], s[22:23], 1
	s_mov_b32 s27, 0x20000
	s_waitcnt lgkmcnt(0)
	s_add_u32 s24, s0, s22
	s_addc_u32 s0, s1, s23
	s_and_b32 s25, s0, 0xffff
	s_mov_b32 s0, 0x7060302
	v_perm_b32 v2, v3, v2, s0
	v_perm_b32 v3, v5, v4, s0
	;; [unrolled: 1-line block ×4, first 2 shown]
	v_lshlrev_b32_e32 v6, 4, v0
	buffer_store_dwordx4 v[2:5], v6, s[24:27], 0 offen
	;;#ASMSTART
	s_nop 0
	;;#ASMEND
.LBB152_22:
	s_or_b64 exec, exec, s[18:19]
	s_cmp_lt_i32 s12, 1
	s_cbranch_scc1 .LBB152_15
.LBB152_23:
	s_load_dword s0, s[4:5], 0x94
	s_waitcnt lgkmcnt(0)
	s_cmp_lg_u32 s0, 1
	s_cbranch_scc1 .LBB152_15
; %bb.24:
	s_lshl_b32 s0, s12, 1
	s_add_i32 s0, s0, 2
	v_cmp_gt_u32_e32 vcc, s12, v1
	s_and_b32 s18, s0, -4
	v_mov_b32_e32 v4, 0
	s_waitcnt vmcnt(0)
	v_lshlrev_b32_e32 v12, 4, v0
	v_mov_b32_e32 v5, 0
	v_mov_b32_e32 v6, 0
	;; [unrolled: 1-line block ×7, first 2 shown]
	s_barrier
	s_and_saveexec_b64 s[0:1], vcc
	s_cbranch_execz .LBB152_26
; %bb.25:
	s_mul_hi_i32 s5, s14, s6
	s_mul_i32 s4, s14, s6
	s_and_b32 s17, s17, 0xffff
	s_lshl_b64 s[4:5], s[4:5], 1
	s_add_u32 s24, s2, s4
	s_mov_b32 s19, 0x20000
	s_addc_u32 s2, s3, s5
	s_and_b32 s25, s2, 0xffff
	s_mov_b32 s26, s18
	s_mov_b32 s27, s19
	buffer_load_dwordx4 v[4:7], v12, s[24:27], 0 offen glc slc
	buffer_load_dwordx4 v[0:3], v12, s[16:19], 0 offen
.LBB152_26:
	s_or_b64 exec, exec, s[0:1]
	s_waitcnt vmcnt(1)
	v_cvt_f32_u32_sdwa v11, v4 dst_sel:DWORD dst_unused:UNUSED_PAD src0_sel:WORD_1
	v_cvt_f32_u32_sdwa v10, v4 dst_sel:DWORD dst_unused:UNUSED_PAD src0_sel:WORD_0
	v_cvt_f32_u32_sdwa v4, v7 dst_sel:DWORD dst_unused:UNUSED_PAD src0_sel:WORD_1
	v_cvt_f32_u32_sdwa v7, v7 dst_sel:DWORD dst_unused:UNUSED_PAD src0_sel:WORD_0
	;; [unrolled: 2-line block ×4, first 2 shown]
	v_cndmask_b32_e32 v11, 0, v11, vcc
	v_cndmask_b32_e32 v5, 0, v4, vcc
	;; [unrolled: 1-line block ×5, first 2 shown]
	v_mul_f32_e32 v13, v11, v11
	v_cndmask_b32_e32 v8, 0, v8, vcc
	v_fmac_f32_e32 v13, v10, v10
	v_cndmask_b32_e32 v9, 0, v9, vcc
	v_fmac_f32_e32 v13, v8, v8
	;; [unrolled: 2-line block ×3, first 2 shown]
	v_fmac_f32_e32 v13, v6, v6
	v_fmac_f32_e32 v13, v7, v7
	;; [unrolled: 1-line block ×4, first 2 shown]
	s_nop 1
	v_mov_b32_dpp v15, v13 quad_perm:[1,0,3,2] row_mask:0xf bank_mask:0xf
	v_add_f32_e32 v13, v13, v15
	s_nop 1
	v_mov_b32_dpp v15, v13 quad_perm:[2,3,0,1] row_mask:0xf bank_mask:0xf
	v_add_f32_e32 v13, v13, v15
	s_nop 1
	v_mov_b32_dpp v15, v13 row_half_mirror row_mask:0xf bank_mask:0xf
	v_add_f32_e32 v13, v13, v15
	s_nop 1
	v_mov_b32_dpp v15, v13 row_mirror row_mask:0xf bank_mask:0xf
	v_add_f32_e32 v13, v13, v15
	s_nop 1
	v_mov_b32_dpp v15, v13 row_bcast:15 row_mask:0xf bank_mask:0xf
	v_add_f32_e32 v13, v13, v15
	s_nop 1
	v_mov_b32_dpp v15, v13 row_bcast:31 row_mask:0xf bank_mask:0xf
	v_add_f32_e32 v13, v13, v15
	ds_bpermute_b32 v13, v14, v13
	s_and_saveexec_b64 s[0:1], vcc
	s_cbranch_execz .LBB152_15
; %bb.27:
	v_cvt_f32_u32_e32 v14, s12
	s_mov_b32 s19, 0x20000
	s_waitcnt lgkmcnt(0)
	v_div_scale_f32 v15, s[0:1], v14, v14, v13
	v_rcp_f32_e32 v16, v15
	v_div_scale_f32 v17, vcc, v13, v14, v13
	s_mov_b32 s0, 0x800000
	v_fma_f32 v18, -v15, v16, 1.0
	v_fmac_f32_e32 v16, v18, v16
	v_mul_f32_e32 v18, v17, v16
	v_fma_f32 v19, -v15, v18, v17
	v_fmac_f32_e32 v18, v19, v16
	v_fma_f32 v15, -v15, v18, v17
	v_div_fmas_f32 v15, v15, v16, v18
	v_div_fixup_f32 v13, v15, v14, v13
	v_add_f32_e32 v13, s9, v13
	v_mul_f32_e32 v14, 0x4b800000, v13
	v_cmp_gt_f32_e32 vcc, s0, v13
	v_cndmask_b32_e32 v13, v13, v14, vcc
	v_rsq_f32_e32 v13, v13
	s_mul_hi_i32 s1, s21, s6
	s_mul_i32 s0, s21, s6
	s_lshl_b64 s[0:1], s[0:1], 1
	v_mul_f32_e32 v14, 0x45800000, v13
	v_cndmask_b32_e32 v14, v13, v14, vcc
	s_add_u32 s16, s10, s0
	v_mov_b32_e32 v15, v14
	s_addc_u32 s0, s11, s1
	;;#ASMSTART
	v_pk_mul_f32 v[10:11], v[10:11], v[14:15]
	;;#ASMEND
	;;#ASMSTART
	v_pk_mul_f32 v[8:9], v[8:9], v[14:15]
	;;#ASMEND
	;; [unrolled: 3-line block ×4, first 2 shown]
	s_waitcnt vmcnt(0)
	v_cvt_f32_u32_sdwa v15, v0 dst_sel:DWORD dst_unused:UNUSED_PAD src0_sel:WORD_1
	v_cvt_f32_u32_sdwa v14, v0 dst_sel:DWORD dst_unused:UNUSED_PAD src0_sel:WORD_0
	v_cvt_f32_u32_sdwa v17, v1 dst_sel:DWORD dst_unused:UNUSED_PAD src0_sel:WORD_1
	v_cvt_f32_u32_sdwa v16, v1 dst_sel:DWORD dst_unused:UNUSED_PAD src0_sel:WORD_0
	;; [unrolled: 2-line block ×4, first 2 shown]
	;;#ASMSTART
	v_pk_mul_f32 v[2:3], v[10:11], v[14:15]
	;;#ASMEND
	s_and_b32 s17, s0, 0xffff
	s_mov_b32 s0, 0x7060302
	;;#ASMSTART
	v_pk_mul_f32 v[8:9], v[8:9], v[16:17]
	;;#ASMEND
	;;#ASMSTART
	v_pk_mul_f32 v[6:7], v[6:7], v[0:1]
	;;#ASMEND
	;;#ASMSTART
	v_pk_mul_f32 v[4:5], v[4:5], v[18:19]
	;;#ASMEND
	v_perm_b32 v0, v3, v2, s0
	v_perm_b32 v1, v9, v8, s0
	;; [unrolled: 1-line block ×4, first 2 shown]
	buffer_store_dwordx4 v[0:3], v12, s[16:19], 0 offen
	;;#ASMSTART
	s_nop 0
	;;#ASMEND
	s_endpgm
	.section	.rodata,"a",@progbits
	.p2align	6, 0x0
	.amdhsa_kernel _ZN5aiter35fused_qk_rmsnorm_group_quant_kernelItN4opus5fp4_tELi64ELi8ELi8ELb1ELb1ELb0ELb1ELb0ELb0EEEvPT0_PvPT_S7_S7_PKS6_S9_S9_S9_S9_ffiiiiiiiiiiiii
		.amdhsa_group_segment_fixed_size 0
		.amdhsa_private_segment_fixed_size 0
		.amdhsa_kernarg_size 400
		.amdhsa_user_sgpr_count 6
		.amdhsa_user_sgpr_private_segment_buffer 1
		.amdhsa_user_sgpr_dispatch_ptr 0
		.amdhsa_user_sgpr_queue_ptr 0
		.amdhsa_user_sgpr_kernarg_segment_ptr 1
		.amdhsa_user_sgpr_dispatch_id 0
		.amdhsa_user_sgpr_flat_scratch_init 0
		.amdhsa_user_sgpr_kernarg_preload_length 0
		.amdhsa_user_sgpr_kernarg_preload_offset 0
		.amdhsa_user_sgpr_private_segment_size 0
		.amdhsa_uses_dynamic_stack 0
		.amdhsa_system_sgpr_private_segment_wavefront_offset 0
		.amdhsa_system_sgpr_workgroup_id_x 1
		.amdhsa_system_sgpr_workgroup_id_y 1
		.amdhsa_system_sgpr_workgroup_id_z 0
		.amdhsa_system_sgpr_workgroup_info 0
		.amdhsa_system_vgpr_workitem_id 0
		.amdhsa_next_free_vgpr 27
		.amdhsa_next_free_sgpr 44
		.amdhsa_accum_offset 28
		.amdhsa_reserve_vcc 1
		.amdhsa_reserve_flat_scratch 0
		.amdhsa_float_round_mode_32 0
		.amdhsa_float_round_mode_16_64 0
		.amdhsa_float_denorm_mode_32 3
		.amdhsa_float_denorm_mode_16_64 3
		.amdhsa_dx10_clamp 1
		.amdhsa_ieee_mode 1
		.amdhsa_fp16_overflow 0
		.amdhsa_tg_split 0
		.amdhsa_exception_fp_ieee_invalid_op 0
		.amdhsa_exception_fp_denorm_src 0
		.amdhsa_exception_fp_ieee_div_zero 0
		.amdhsa_exception_fp_ieee_overflow 0
		.amdhsa_exception_fp_ieee_underflow 0
		.amdhsa_exception_fp_ieee_inexact 0
		.amdhsa_exception_int_div_zero 0
	.end_amdhsa_kernel
	.section	.text._ZN5aiter35fused_qk_rmsnorm_group_quant_kernelItN4opus5fp4_tELi64ELi8ELi8ELb1ELb1ELb0ELb1ELb0ELb0EEEvPT0_PvPT_S7_S7_PKS6_S9_S9_S9_S9_ffiiiiiiiiiiiii,"axG",@progbits,_ZN5aiter35fused_qk_rmsnorm_group_quant_kernelItN4opus5fp4_tELi64ELi8ELi8ELb1ELb1ELb0ELb1ELb0ELb0EEEvPT0_PvPT_S7_S7_PKS6_S9_S9_S9_S9_ffiiiiiiiiiiiii,comdat
.Lfunc_end152:
	.size	_ZN5aiter35fused_qk_rmsnorm_group_quant_kernelItN4opus5fp4_tELi64ELi8ELi8ELb1ELb1ELb0ELb1ELb0ELb0EEEvPT0_PvPT_S7_S7_PKS6_S9_S9_S9_S9_ffiiiiiiiiiiiii, .Lfunc_end152-_ZN5aiter35fused_qk_rmsnorm_group_quant_kernelItN4opus5fp4_tELi64ELi8ELi8ELb1ELb1ELb0ELb1ELb0ELb0EEEvPT0_PvPT_S7_S7_PKS6_S9_S9_S9_S9_ffiiiiiiiiiiiii
                                        ; -- End function
	.section	.AMDGPU.csdata,"",@progbits
; Kernel info:
; codeLenInByte = 2332
; NumSgprs: 48
; NumVgprs: 27
; NumAgprs: 0
; TotalNumVgprs: 27
; ScratchSize: 0
; MemoryBound: 0
; FloatMode: 240
; IeeeMode: 1
; LDSByteSize: 0 bytes/workgroup (compile time only)
; SGPRBlocks: 5
; VGPRBlocks: 3
; NumSGPRsForWavesPerEU: 48
; NumVGPRsForWavesPerEU: 27
; AccumOffset: 28
; Occupancy: 8
; WaveLimiterHint : 0
; COMPUTE_PGM_RSRC2:SCRATCH_EN: 0
; COMPUTE_PGM_RSRC2:USER_SGPR: 6
; COMPUTE_PGM_RSRC2:TRAP_HANDLER: 0
; COMPUTE_PGM_RSRC2:TGID_X_EN: 1
; COMPUTE_PGM_RSRC2:TGID_Y_EN: 1
; COMPUTE_PGM_RSRC2:TGID_Z_EN: 0
; COMPUTE_PGM_RSRC2:TIDIG_COMP_CNT: 0
; COMPUTE_PGM_RSRC3_GFX90A:ACCUM_OFFSET: 6
; COMPUTE_PGM_RSRC3_GFX90A:TG_SPLIT: 0
	.section	.text._ZN5aiter35fused_qk_rmsnorm_group_quant_kernelIDF16_DB8_Li64ELi8ELi8ELb0ELb1ELb1ELb1ELb0ELb0EEEvPT0_PvPT_S6_S6_PKS5_S8_S8_S8_S8_ffiiiiiiiiiiiii,"axG",@progbits,_ZN5aiter35fused_qk_rmsnorm_group_quant_kernelIDF16_DB8_Li64ELi8ELi8ELb0ELb1ELb1ELb1ELb0ELb0EEEvPT0_PvPT_S6_S6_PKS5_S8_S8_S8_S8_ffiiiiiiiiiiiii,comdat
	.protected	_ZN5aiter35fused_qk_rmsnorm_group_quant_kernelIDF16_DB8_Li64ELi8ELi8ELb0ELb1ELb1ELb1ELb0ELb0EEEvPT0_PvPT_S6_S6_PKS5_S8_S8_S8_S8_ffiiiiiiiiiiiii ; -- Begin function _ZN5aiter35fused_qk_rmsnorm_group_quant_kernelIDF16_DB8_Li64ELi8ELi8ELb0ELb1ELb1ELb1ELb0ELb0EEEvPT0_PvPT_S6_S6_PKS5_S8_S8_S8_S8_ffiiiiiiiiiiiii
	.globl	_ZN5aiter35fused_qk_rmsnorm_group_quant_kernelIDF16_DB8_Li64ELi8ELi8ELb0ELb1ELb1ELb1ELb0ELb0EEEvPT0_PvPT_S6_S6_PKS5_S8_S8_S8_S8_ffiiiiiiiiiiiii
	.p2align	8
	.type	_ZN5aiter35fused_qk_rmsnorm_group_quant_kernelIDF16_DB8_Li64ELi8ELi8ELb0ELb1ELb1ELb1ELb0ELb0EEEvPT0_PvPT_S6_S6_PKS5_S8_S8_S8_S8_ffiiiiiiiiiiiii,@function
_ZN5aiter35fused_qk_rmsnorm_group_quant_kernelIDF16_DB8_Li64ELi8ELi8ELb0ELb1ELb1ELb1ELb0ELb0EEEvPT0_PvPT_S6_S6_PKS5_S8_S8_S8_S8_ffiiiiiiiiiiiii: ; @_ZN5aiter35fused_qk_rmsnorm_group_quant_kernelIDF16_DB8_Li64ELi8ELi8ELb0ELb1ELb1ELb1ELb0ELb0EEEvPT0_PvPT_S6_S6_PKS5_S8_S8_S8_S8_ffiiiiiiiiiiiii
; %bb.0:
	s_load_dwordx4 s[12:15], s[4:5], 0x50
	s_waitcnt lgkmcnt(0)
	s_cmp_ge_i32 s6, s14
	s_cbranch_scc1 .LBB153_10
; %bb.1:
	s_load_dwordx2 s[24:25], s[4:5], 0x30
	s_load_dwordx2 s[8:9], s[4:5], 0x48
	s_load_dwordx4 s[16:19], s[4:5], 0x60
	s_cmp_lg_u32 s7, 0
	s_cselect_b64 s[10:11], -1, 0
	s_cmp_eq_u32 s7, 0
	s_cselect_b64 vcc, -1, 0
	s_and_b64 s[0:1], vcc, exec
	s_waitcnt lgkmcnt(0)
	s_cselect_b32 s7, s15, s16
	s_add_i32 s0, s7, 1
	s_lshr_b32 s1, s0, 31
	s_add_i32 s0, s0, s1
	s_lshl_b32 s0, s0, 1
	v_lshlrev_b32_e32 v1, 3, v0
	s_and_b32 s22, s0, -4
	v_cmp_gt_i32_e64 s[0:1], s7, v1
	v_mov_b32_e32 v10, 0
	v_mov_b32_e32 v2, 0
	;; [unrolled: 1-line block ×9, first 2 shown]
	s_and_saveexec_b64 s[2:3], s[0:1]
	s_cbranch_execz .LBB153_3
; %bb.2:
	s_load_dwordx2 s[14:15], s[4:5], 0x28
	s_load_dwordx2 s[20:21], s[4:5], 0x40
	s_and_b64 s[26:27], vcc, exec
	s_cselect_b32 s17, s17, s18
	v_lshlrev_b32_e32 v11, 4, v0
	s_waitcnt lgkmcnt(0)
	s_cselect_b32 s19, s15, s25
	s_cselect_b32 s23, s14, s24
	s_mul_hi_i32 s15, s17, s6
	s_mul_i32 s14, s17, s6
	s_lshl_b64 s[14:15], s[14:15], 1
	s_add_u32 s28, s23, s14
	s_addc_u32 s17, s19, s15
	s_and_b64 s[14:15], vcc, exec
	s_mov_b32 s23, 0x20000
	s_cselect_b32 s20, s20, s8
	s_cselect_b32 s14, s21, s9
	s_and_b32 s29, s17, 0xffff
	s_mov_b32 s30, s22
	s_mov_b32 s31, s23
	s_and_b32 s21, s14, 0xffff
	buffer_load_dwordx4 v[6:9], v11, s[28:31], 0 offen glc slc
	buffer_load_dwordx4 v[2:5], v11, s[20:23], 0 offen
.LBB153_3:
	s_or_b64 exec, exec, s[2:3]
	v_mov_b32_e32 v11, 0
	v_mov_b32_e32 v14, 0
	v_mov_b32_e32 v15, 0
	v_mov_b32_e32 v16, 0
	v_mov_b32_e32 v17, 0
	v_mov_b32_e32 v12, 0
	v_mov_b32_e32 v13, 0
	s_and_saveexec_b64 s[2:3], s[0:1]
	s_cbranch_execz .LBB153_5
; %bb.4:
	s_waitcnt vmcnt(1)
	v_cvt_f32_f16_sdwa v11, v6 dst_sel:DWORD dst_unused:UNUSED_PAD src0_sel:WORD_1
	v_cvt_f32_f16_e32 v10, v6
	v_cvt_f32_f16_sdwa v15, v7 dst_sel:DWORD dst_unused:UNUSED_PAD src0_sel:WORD_1
	v_cvt_f32_f16_e32 v14, v7
	;; [unrolled: 2-line block ×4, first 2 shown]
.LBB153_5:
	s_or_b64 exec, exec, s[2:3]
	s_waitcnt vmcnt(1)
	v_mul_f32_e32 v6, v11, v11
	v_fmac_f32_e32 v6, v10, v10
	v_fmac_f32_e32 v6, v14, v14
	;; [unrolled: 1-line block ×7, first 2 shown]
	v_bfrev_b32_e32 v8, 0.5
	s_load_dwordx2 s[2:3], s[4:5], 0x18
	v_mov_b32_dpp v7, v6 quad_perm:[1,0,3,2] row_mask:0xf bank_mask:0xf
	v_add_f32_e32 v6, v6, v7
	s_nop 1
	v_mov_b32_dpp v7, v6 quad_perm:[2,3,0,1] row_mask:0xf bank_mask:0xf
	v_add_f32_e32 v6, v6, v7
	s_nop 1
	v_mov_b32_dpp v7, v6 row_half_mirror row_mask:0xf bank_mask:0xf
	v_add_f32_e32 v6, v6, v7
	s_nop 1
	v_mov_b32_dpp v7, v6 row_mirror row_mask:0xf bank_mask:0xf
	v_add_f32_e32 v6, v6, v7
	s_nop 1
	v_mov_b32_dpp v7, v6 row_bcast:15 row_mask:0xf bank_mask:0xf
	v_add_f32_e32 v6, v6, v7
	s_nop 1
	v_mov_b32_dpp v7, v6 row_bcast:31 row_mask:0xf bank_mask:0xf
	v_add_f32_e32 v6, v6, v7
	v_mbcnt_lo_u32_b32 v7, -1, 0
	v_mbcnt_hi_u32_b32 v7, -1, v7
	v_lshl_or_b32 v18, v7, 2, v8
	ds_bpermute_b32 v6, v18, v6
	s_and_saveexec_b64 s[14:15], s[0:1]
	s_cbranch_execz .LBB153_7
; %bb.6:
	v_cvt_f32_u32_e32 v7, s7
	v_mov_b32_e32 v8, s13
	v_mov_b32_e32 v9, s12
	v_cndmask_b32_e32 v8, v8, v9, vcc
	s_waitcnt lgkmcnt(0)
	v_div_scale_f32 v19, s[20:21], v7, v7, v6
	v_rcp_f32_e32 v20, v19
	v_div_scale_f32 v9, vcc, v6, v7, v6
	s_mov_b32 s7, 0x800000
	v_fma_f32 v21, -v19, v20, 1.0
	v_fmac_f32_e32 v20, v21, v20
	v_mul_f32_e32 v21, v9, v20
	v_fma_f32 v22, -v19, v21, v9
	v_fmac_f32_e32 v21, v22, v20
	v_fma_f32 v9, -v19, v21, v9
	v_div_fmas_f32 v9, v9, v20, v21
	v_div_fixup_f32 v6, v9, v7, v6
	v_add_f32_e32 v6, v8, v6
	v_mul_f32_e32 v7, 0x4b800000, v6
	v_cmp_gt_f32_e32 vcc, s7, v6
	v_cndmask_b32_e32 v6, v6, v7, vcc
	v_rsq_f32_e32 v6, v6
	s_waitcnt vmcnt(0)
	v_cvt_f32_f16_sdwa v21, v3 dst_sel:DWORD dst_unused:UNUSED_PAD src0_sel:WORD_1
	v_cvt_f32_f16_e32 v20, v3
	v_mul_f32_e32 v7, 0x45800000, v6
	v_cndmask_b32_e32 v6, v6, v7, vcc
	v_mov_b32_e32 v7, v6
	;;#ASMSTART
	v_pk_mul_f32 v[8:9], v[10:11], v[6:7]
	;;#ASMEND
	v_cvt_f32_f16_sdwa v11, v2 dst_sel:DWORD dst_unused:UNUSED_PAD src0_sel:WORD_1
	v_cvt_f32_f16_e32 v10, v2
	;;#ASMSTART
	v_pk_mul_f32 v[14:15], v[14:15], v[6:7]
	;;#ASMEND
	;;#ASMSTART
	v_pk_mul_f32 v[16:17], v[16:17], v[6:7]
	;;#ASMEND
	;; [unrolled: 3-line block ×3, first 2 shown]
	v_pk_add_f32 v[6:7], v[10:11], 1.0 op_sel_hi:[1,0]
	;;#ASMSTART
	v_pk_mul_f32 v[10:11], v[8:9], v[6:7]
	;;#ASMEND
	v_cvt_f32_f16_sdwa v9, v4 dst_sel:DWORD dst_unused:UNUSED_PAD src0_sel:WORD_1
	v_cvt_f32_f16_e32 v8, v4
	v_cvt_f32_f16_sdwa v13, v5 dst_sel:DWORD dst_unused:UNUSED_PAD src0_sel:WORD_1
	v_cvt_f32_f16_e32 v12, v5
	v_pk_add_f32 v[6:7], v[20:21], 1.0 op_sel_hi:[1,0]
	v_pk_add_f32 v[4:5], v[8:9], 1.0 op_sel_hi:[1,0]
	;;#ASMSTART
	v_pk_mul_f32 v[14:15], v[14:15], v[6:7]
	;;#ASMEND
	;;#ASMSTART
	v_pk_mul_f32 v[16:17], v[16:17], v[4:5]
	;;#ASMEND
	v_pk_add_f32 v[4:5], v[12:13], 1.0 op_sel_hi:[1,0]
	;;#ASMSTART
	v_pk_mul_f32 v[12:13], v[2:3], v[4:5]
	;;#ASMEND
.LBB153_7:
	s_or_b64 exec, exec, s[14:15]
	s_load_dwordx2 s[14:15], s[4:5], 0x7c
	s_mov_b64 s[20:21], -1
	s_and_b64 vcc, exec, s[10:11]
	s_cbranch_vccnz .LBB153_11
; %bb.8:
	s_andn2_b64 vcc, exec, s[20:21]
	s_cbranch_vccz .LBB153_14
.LBB153_9:
	s_cmp_lt_i32 s16, 1
	s_cbranch_scc0 .LBB153_17
.LBB153_10:
	s_endpgm
.LBB153_11:
	s_and_saveexec_b64 s[10:11], s[0:1]
	s_cbranch_execz .LBB153_13
; %bb.12:
	s_waitcnt lgkmcnt(0)
	s_mul_hi_i32 s21, s15, s6
	s_mul_i32 s20, s15, s6
	s_waitcnt vmcnt(0)
	v_cvt_f16_f32_e32 v2, v10
	v_cvt_f16_f32_e32 v3, v14
	;; [unrolled: 1-line block ×8, first 2 shown]
	s_lshl_b64 s[20:21], s[20:21], 1
	s_add_u32 s20, s2, s20
	s_addc_u32 s7, s3, s21
	s_and_b32 s21, s7, 0xffff
	s_mov_b32 s23, 0x20000
	v_pack_b32_f16 v5, v5, v6
	v_pack_b32_f16 v4, v4, v7
	;; [unrolled: 1-line block ×4, first 2 shown]
	v_lshlrev_b32_e32 v6, 4, v0
	buffer_store_dwordx4 v[2:5], v6, s[20:23], 0 offen
	;;#ASMSTART
	s_nop 0
	;;#ASMEND
.LBB153_13:
	s_or_b64 exec, exec, s[10:11]
	s_cbranch_execnz .LBB153_9
.LBB153_14:
	s_and_saveexec_b64 s[10:11], s[0:1]
	s_cbranch_execz .LBB153_16
; %bb.15:
	s_load_dwordx2 s[0:1], s[4:5], 0x10
	s_waitcnt lgkmcnt(0)
	s_mul_hi_i32 s21, s14, s6
	s_mul_i32 s20, s14, s6
	s_waitcnt vmcnt(0)
	v_cvt_f16_f32_e32 v2, v10
	v_cvt_f16_f32_e32 v3, v14
	;; [unrolled: 1-line block ×8, first 2 shown]
	s_lshl_b64 s[20:21], s[20:21], 1
	s_add_u32 s20, s0, s20
	s_addc_u32 s0, s1, s21
	s_mov_b32 s23, 0x20000
	s_and_b32 s21, s0, 0xffff
	v_pack_b32_f16 v5, v5, v6
	v_pack_b32_f16 v4, v4, v7
	v_pack_b32_f16 v3, v3, v8
	v_pack_b32_f16 v2, v2, v9
	v_lshlrev_b32_e32 v6, 4, v0
	buffer_store_dwordx4 v[2:5], v6, s[20:23], 0 offen
	;;#ASMSTART
	s_nop 0
	;;#ASMEND
.LBB153_16:
	s_or_b64 exec, exec, s[10:11]
	s_cmp_lt_i32 s16, 1
	s_cbranch_scc1 .LBB153_10
.LBB153_17:
	s_load_dword s0, s[4:5], 0x94
	s_waitcnt lgkmcnt(0)
	s_cmp_lg_u32 s0, 1
	s_cbranch_scc1 .LBB153_10
; %bb.18:
	s_lshl_b32 s0, s16, 1
	s_add_i32 s0, s0, 2
	v_cmp_gt_u32_e32 vcc, s16, v1
	s_and_b32 s10, s0, -4
	v_mov_b32_e32 v8, 0
	v_lshlrev_b32_e32 v16, 4, v0
	s_waitcnt vmcnt(0)
	v_mov_b32_e32 v4, 0
	v_mov_b32_e32 v5, 0
	;; [unrolled: 1-line block ×8, first 2 shown]
	s_barrier
	s_and_saveexec_b64 s[0:1], vcc
	s_cbranch_execz .LBB153_20
; %bb.19:
	s_mul_hi_i32 s5, s18, s6
	s_mul_i32 s4, s18, s6
	s_and_b32 s9, s9, 0xffff
	s_lshl_b64 s[4:5], s[4:5], 1
	s_add_u32 s20, s24, s4
	s_mov_b32 s11, 0x20000
	s_addc_u32 s4, s25, s5
	s_and_b32 s21, s4, 0xffff
	s_mov_b32 s22, s10
	s_mov_b32 s23, s11
	buffer_load_dwordx4 v[4:7], v16, s[20:23], 0 offen glc slc
	buffer_load_dwordx4 v[0:3], v16, s[8:11], 0 offen
.LBB153_20:
	s_or_b64 exec, exec, s[0:1]
	v_mov_b32_e32 v9, 0
	v_mov_b32_e32 v12, 0
	;; [unrolled: 1-line block ×7, first 2 shown]
	s_and_saveexec_b64 s[0:1], vcc
	s_cbranch_execz .LBB153_22
; %bb.21:
	s_waitcnt vmcnt(1)
	v_cvt_f32_f16_sdwa v9, v4 dst_sel:DWORD dst_unused:UNUSED_PAD src0_sel:WORD_1
	v_cvt_f32_f16_e32 v8, v4
	v_cvt_f32_f16_sdwa v13, v5 dst_sel:DWORD dst_unused:UNUSED_PAD src0_sel:WORD_1
	v_cvt_f32_f16_e32 v12, v5
	;; [unrolled: 2-line block ×4, first 2 shown]
.LBB153_22:
	s_or_b64 exec, exec, s[0:1]
	s_waitcnt vmcnt(1)
	v_mul_f32_e32 v4, v9, v9
	v_fmac_f32_e32 v4, v8, v8
	v_fmac_f32_e32 v4, v12, v12
	;; [unrolled: 1-line block ×7, first 2 shown]
	s_nop 1
	v_mov_b32_dpp v5, v4 quad_perm:[1,0,3,2] row_mask:0xf bank_mask:0xf
	v_add_f32_e32 v4, v4, v5
	s_nop 1
	v_mov_b32_dpp v5, v4 quad_perm:[2,3,0,1] row_mask:0xf bank_mask:0xf
	v_add_f32_e32 v4, v4, v5
	s_nop 1
	v_mov_b32_dpp v5, v4 row_half_mirror row_mask:0xf bank_mask:0xf
	v_add_f32_e32 v4, v4, v5
	s_nop 1
	v_mov_b32_dpp v5, v4 row_mirror row_mask:0xf bank_mask:0xf
	v_add_f32_e32 v4, v4, v5
	s_nop 1
	v_mov_b32_dpp v5, v4 row_bcast:15 row_mask:0xf bank_mask:0xf
	v_add_f32_e32 v4, v4, v5
	s_nop 1
	v_mov_b32_dpp v5, v4 row_bcast:31 row_mask:0xf bank_mask:0xf
	v_add_f32_e32 v4, v4, v5
	ds_bpermute_b32 v4, v18, v4
	s_and_saveexec_b64 s[0:1], vcc
	s_cbranch_execz .LBB153_10
; %bb.23:
	v_cvt_f32_u32_e32 v5, s16
	s_mov_b32 s11, 0x20000
	s_waitcnt lgkmcnt(0)
	v_div_scale_f32 v6, s[0:1], v5, v5, v4
	v_rcp_f32_e32 v7, v6
	v_div_scale_f32 v17, vcc, v4, v5, v4
	s_mov_b32 s0, 0x800000
	v_fma_f32 v18, -v6, v7, 1.0
	v_fmac_f32_e32 v7, v18, v7
	v_mul_f32_e32 v18, v17, v7
	v_fma_f32 v19, -v6, v18, v17
	v_fmac_f32_e32 v18, v19, v7
	v_fma_f32 v6, -v6, v18, v17
	v_div_fmas_f32 v6, v6, v7, v18
	v_div_fixup_f32 v4, v6, v5, v4
	v_add_f32_e32 v4, s13, v4
	v_mul_f32_e32 v5, 0x4b800000, v4
	v_cmp_gt_f32_e32 vcc, s0, v4
	v_cndmask_b32_e32 v4, v4, v5, vcc
	v_rsq_f32_e32 v4, v4
	s_waitcnt vmcnt(0)
	v_cvt_f32_f16_sdwa v5, v0 dst_sel:DWORD dst_unused:UNUSED_PAD src0_sel:WORD_1
	v_cvt_f32_f16_sdwa v19, v1 dst_sel:DWORD dst_unused:UNUSED_PAD src0_sel:WORD_1
	v_cvt_f32_f16_e32 v18, v1
	v_mul_f32_e32 v6, 0x45800000, v4
	v_cndmask_b32_e32 v6, v4, v6, vcc
	v_cvt_f32_f16_e32 v4, v0
	v_mov_b32_e32 v7, v6
	;;#ASMSTART
	v_pk_mul_f32 v[8:9], v[8:9], v[6:7]
	;;#ASMEND
	;;#ASMSTART
	v_pk_mul_f32 v[12:13], v[12:13], v[6:7]
	;;#ASMEND
	v_pk_add_f32 v[4:5], v[4:5], 1.0 op_sel_hi:[1,0]
	;;#ASMSTART
	v_pk_mul_f32 v[14:15], v[14:15], v[6:7]
	;;#ASMEND
	;;#ASMSTART
	v_pk_mul_f32 v[0:1], v[10:11], v[6:7]
	;;#ASMEND
	;; [unrolled: 3-line block ×3, first 2 shown]
	v_cvt_f32_f16_sdwa v9, v2 dst_sel:DWORD dst_unused:UNUSED_PAD src0_sel:WORD_1
	v_cvt_f32_f16_e32 v8, v2
	v_cvt_f32_f16_sdwa v11, v3 dst_sel:DWORD dst_unused:UNUSED_PAD src0_sel:WORD_1
	v_cvt_f32_f16_e32 v10, v3
	v_pk_add_f32 v[6:7], v[18:19], 1.0 op_sel_hi:[1,0]
	;;#ASMSTART
	v_pk_mul_f32 v[2:3], v[12:13], v[6:7]
	;;#ASMEND
	v_pk_add_f32 v[6:7], v[8:9], 1.0 op_sel_hi:[1,0]
	;;#ASMSTART
	v_pk_mul_f32 v[6:7], v[14:15], v[6:7]
	;;#ASMEND
	;; [unrolled: 4-line block ×3, first 2 shown]
	s_mul_hi_i32 s1, s15, s6
	s_mul_i32 s0, s15, s6
	v_cvt_f16_f32_e32 v4, v4
	v_cvt_f16_f32_e32 v5, v5
	;; [unrolled: 1-line block ×8, first 2 shown]
	s_lshl_b64 s[0:1], s[0:1], 1
	s_add_u32 s8, s2, s0
	s_addc_u32 s0, s3, s1
	s_and_b32 s9, s0, 0xffff
	v_pack_b32_f16 v0, v4, v5
	v_pack_b32_f16 v1, v2, v3
	;; [unrolled: 1-line block ×4, first 2 shown]
	buffer_store_dwordx4 v[0:3], v16, s[8:11], 0 offen
	;;#ASMSTART
	s_nop 0
	;;#ASMEND
	s_endpgm
	.section	.rodata,"a",@progbits
	.p2align	6, 0x0
	.amdhsa_kernel _ZN5aiter35fused_qk_rmsnorm_group_quant_kernelIDF16_DB8_Li64ELi8ELi8ELb0ELb1ELb1ELb1ELb0ELb0EEEvPT0_PvPT_S6_S6_PKS5_S8_S8_S8_S8_ffiiiiiiiiiiiii
		.amdhsa_group_segment_fixed_size 0
		.amdhsa_private_segment_fixed_size 0
		.amdhsa_kernarg_size 400
		.amdhsa_user_sgpr_count 6
		.amdhsa_user_sgpr_private_segment_buffer 1
		.amdhsa_user_sgpr_dispatch_ptr 0
		.amdhsa_user_sgpr_queue_ptr 0
		.amdhsa_user_sgpr_kernarg_segment_ptr 1
		.amdhsa_user_sgpr_dispatch_id 0
		.amdhsa_user_sgpr_flat_scratch_init 0
		.amdhsa_user_sgpr_kernarg_preload_length 0
		.amdhsa_user_sgpr_kernarg_preload_offset 0
		.amdhsa_user_sgpr_private_segment_size 0
		.amdhsa_uses_dynamic_stack 0
		.amdhsa_system_sgpr_private_segment_wavefront_offset 0
		.amdhsa_system_sgpr_workgroup_id_x 1
		.amdhsa_system_sgpr_workgroup_id_y 1
		.amdhsa_system_sgpr_workgroup_id_z 0
		.amdhsa_system_sgpr_workgroup_info 0
		.amdhsa_system_vgpr_workitem_id 0
		.amdhsa_next_free_vgpr 23
		.amdhsa_next_free_sgpr 32
		.amdhsa_accum_offset 24
		.amdhsa_reserve_vcc 1
		.amdhsa_reserve_flat_scratch 0
		.amdhsa_float_round_mode_32 0
		.amdhsa_float_round_mode_16_64 0
		.amdhsa_float_denorm_mode_32 3
		.amdhsa_float_denorm_mode_16_64 3
		.amdhsa_dx10_clamp 1
		.amdhsa_ieee_mode 1
		.amdhsa_fp16_overflow 0
		.amdhsa_tg_split 0
		.amdhsa_exception_fp_ieee_invalid_op 0
		.amdhsa_exception_fp_denorm_src 0
		.amdhsa_exception_fp_ieee_div_zero 0
		.amdhsa_exception_fp_ieee_overflow 0
		.amdhsa_exception_fp_ieee_underflow 0
		.amdhsa_exception_fp_ieee_inexact 0
		.amdhsa_exception_int_div_zero 0
	.end_amdhsa_kernel
	.section	.text._ZN5aiter35fused_qk_rmsnorm_group_quant_kernelIDF16_DB8_Li64ELi8ELi8ELb0ELb1ELb1ELb1ELb0ELb0EEEvPT0_PvPT_S6_S6_PKS5_S8_S8_S8_S8_ffiiiiiiiiiiiii,"axG",@progbits,_ZN5aiter35fused_qk_rmsnorm_group_quant_kernelIDF16_DB8_Li64ELi8ELi8ELb0ELb1ELb1ELb1ELb0ELb0EEEvPT0_PvPT_S6_S6_PKS5_S8_S8_S8_S8_ffiiiiiiiiiiiii,comdat
.Lfunc_end153:
	.size	_ZN5aiter35fused_qk_rmsnorm_group_quant_kernelIDF16_DB8_Li64ELi8ELi8ELb0ELb1ELb1ELb1ELb0ELb0EEEvPT0_PvPT_S6_S6_PKS5_S8_S8_S8_S8_ffiiiiiiiiiiiii, .Lfunc_end153-_ZN5aiter35fused_qk_rmsnorm_group_quant_kernelIDF16_DB8_Li64ELi8ELi8ELb0ELb1ELb1ELb1ELb0ELb0EEEvPT0_PvPT_S6_S6_PKS5_S8_S8_S8_S8_ffiiiiiiiiiiiii
                                        ; -- End function
	.section	.AMDGPU.csdata,"",@progbits
; Kernel info:
; codeLenInByte = 1976
; NumSgprs: 36
; NumVgprs: 23
; NumAgprs: 0
; TotalNumVgprs: 23
; ScratchSize: 0
; MemoryBound: 0
; FloatMode: 240
; IeeeMode: 1
; LDSByteSize: 0 bytes/workgroup (compile time only)
; SGPRBlocks: 4
; VGPRBlocks: 2
; NumSGPRsForWavesPerEU: 36
; NumVGPRsForWavesPerEU: 23
; AccumOffset: 24
; Occupancy: 8
; WaveLimiterHint : 0
; COMPUTE_PGM_RSRC2:SCRATCH_EN: 0
; COMPUTE_PGM_RSRC2:USER_SGPR: 6
; COMPUTE_PGM_RSRC2:TRAP_HANDLER: 0
; COMPUTE_PGM_RSRC2:TGID_X_EN: 1
; COMPUTE_PGM_RSRC2:TGID_Y_EN: 1
; COMPUTE_PGM_RSRC2:TGID_Z_EN: 0
; COMPUTE_PGM_RSRC2:TIDIG_COMP_CNT: 0
; COMPUTE_PGM_RSRC3_GFX90A:ACCUM_OFFSET: 5
; COMPUTE_PGM_RSRC3_GFX90A:TG_SPLIT: 0
	.section	.text._ZN5aiter35fused_qk_rmsnorm_group_quant_kernelItDB8_Li64ELi8ELi8ELb0ELb1ELb1ELb1ELb0ELb0EEEvPT0_PvPT_S6_S6_PKS5_S8_S8_S8_S8_ffiiiiiiiiiiiii,"axG",@progbits,_ZN5aiter35fused_qk_rmsnorm_group_quant_kernelItDB8_Li64ELi8ELi8ELb0ELb1ELb1ELb1ELb0ELb0EEEvPT0_PvPT_S6_S6_PKS5_S8_S8_S8_S8_ffiiiiiiiiiiiii,comdat
	.protected	_ZN5aiter35fused_qk_rmsnorm_group_quant_kernelItDB8_Li64ELi8ELi8ELb0ELb1ELb1ELb1ELb0ELb0EEEvPT0_PvPT_S6_S6_PKS5_S8_S8_S8_S8_ffiiiiiiiiiiiii ; -- Begin function _ZN5aiter35fused_qk_rmsnorm_group_quant_kernelItDB8_Li64ELi8ELi8ELb0ELb1ELb1ELb1ELb0ELb0EEEvPT0_PvPT_S6_S6_PKS5_S8_S8_S8_S8_ffiiiiiiiiiiiii
	.globl	_ZN5aiter35fused_qk_rmsnorm_group_quant_kernelItDB8_Li64ELi8ELi8ELb0ELb1ELb1ELb1ELb0ELb0EEEvPT0_PvPT_S6_S6_PKS5_S8_S8_S8_S8_ffiiiiiiiiiiiii
	.p2align	8
	.type	_ZN5aiter35fused_qk_rmsnorm_group_quant_kernelItDB8_Li64ELi8ELi8ELb0ELb1ELb1ELb1ELb0ELb0EEEvPT0_PvPT_S6_S6_PKS5_S8_S8_S8_S8_ffiiiiiiiiiiiii,@function
_ZN5aiter35fused_qk_rmsnorm_group_quant_kernelItDB8_Li64ELi8ELi8ELb0ELb1ELb1ELb1ELb0ELb0EEEvPT0_PvPT_S6_S6_PKS5_S8_S8_S8_S8_ffiiiiiiiiiiiii: ; @_ZN5aiter35fused_qk_rmsnorm_group_quant_kernelItDB8_Li64ELi8ELi8ELb0ELb1ELb1ELb1ELb0ELb0EEEvPT0_PvPT_S6_S6_PKS5_S8_S8_S8_S8_ffiiiiiiiiiiiii
; %bb.0:
	s_load_dwordx4 s[12:15], s[4:5], 0x50
	s_waitcnt lgkmcnt(0)
	s_cmp_ge_i32 s6, s14
	s_cbranch_scc1 .LBB154_8
; %bb.1:
	s_load_dwordx2 s[24:25], s[4:5], 0x30
	s_load_dwordx2 s[8:9], s[4:5], 0x48
	s_load_dwordx4 s[16:19], s[4:5], 0x60
	s_cmp_lg_u32 s7, 0
	s_cselect_b64 s[10:11], -1, 0
	s_cmp_eq_u32 s7, 0
	s_cselect_b64 vcc, -1, 0
	s_and_b64 s[0:1], vcc, exec
	s_waitcnt lgkmcnt(0)
	s_cselect_b32 s7, s15, s16
	s_add_i32 s0, s7, 1
	s_lshr_b32 s1, s0, 31
	s_add_i32 s0, s0, s1
	s_lshl_b32 s0, s0, 1
	v_lshlrev_b32_e32 v1, 3, v0
	s_and_b32 s22, s0, -4
	v_cmp_gt_i32_e64 s[0:1], s7, v1
	v_mov_b32_e32 v2, 0
	v_mov_b32_e32 v3, 0
	;; [unrolled: 1-line block ×8, first 2 shown]
	s_and_saveexec_b64 s[2:3], s[0:1]
	s_cbranch_execz .LBB154_3
; %bb.2:
	s_load_dwordx2 s[14:15], s[4:5], 0x28
	s_load_dwordx2 s[20:21], s[4:5], 0x40
	s_and_b64 s[26:27], vcc, exec
	s_cselect_b32 s17, s17, s18
	v_lshlrev_b32_e32 v10, 4, v0
	s_waitcnt lgkmcnt(0)
	s_cselect_b32 s19, s15, s25
	s_cselect_b32 s23, s14, s24
	s_mul_hi_i32 s15, s17, s6
	s_mul_i32 s14, s17, s6
	s_lshl_b64 s[14:15], s[14:15], 1
	s_add_u32 s28, s23, s14
	s_addc_u32 s17, s19, s15
	s_and_b64 s[14:15], vcc, exec
	s_mov_b32 s23, 0x20000
	s_cselect_b32 s20, s20, s8
	s_cselect_b32 s14, s21, s9
	s_and_b32 s29, s17, 0xffff
	s_mov_b32 s30, s22
	s_mov_b32 s31, s23
	s_and_b32 s21, s14, 0xffff
	buffer_load_dwordx4 v[6:9], v10, s[28:31], 0 offen glc slc
	buffer_load_dwordx4 v[2:5], v10, s[20:23], 0 offen
.LBB154_3:
	s_or_b64 exec, exec, s[2:3]
	s_waitcnt vmcnt(1)
	v_cvt_f32_u32_sdwa v14, v6 dst_sel:DWORD dst_unused:UNUSED_PAD src0_sel:WORD_0
	v_cvt_f32_u32_sdwa v15, v6 dst_sel:DWORD dst_unused:UNUSED_PAD src0_sel:WORD_1
	v_cvt_f32_u32_sdwa v6, v9 dst_sel:DWORD dst_unused:UNUSED_PAD src0_sel:WORD_1
	v_cvt_f32_u32_sdwa v9, v9 dst_sel:DWORD dst_unused:UNUSED_PAD src0_sel:WORD_0
	v_cvt_f32_u32_sdwa v10, v8 dst_sel:DWORD dst_unused:UNUSED_PAD src0_sel:WORD_1
	v_cvt_f32_u32_sdwa v8, v8 dst_sel:DWORD dst_unused:UNUSED_PAD src0_sel:WORD_0
	v_cvt_f32_u32_sdwa v12, v7 dst_sel:DWORD dst_unused:UNUSED_PAD src0_sel:WORD_0
	v_cvt_f32_u32_sdwa v13, v7 dst_sel:DWORD dst_unused:UNUSED_PAD src0_sel:WORD_1
	v_cndmask_b32_e64 v7, 0, v6, s[0:1]
	v_cndmask_b32_e64 v6, 0, v9, s[0:1]
	;; [unrolled: 1-line block ×6, first 2 shown]
	v_mul_f32_e32 v14, v9, v9
	v_cndmask_b32_e64 v12, 0, v12, s[0:1]
	v_fmac_f32_e32 v14, v8, v8
	v_cndmask_b32_e64 v13, 0, v13, s[0:1]
	v_fmac_f32_e32 v14, v12, v12
	v_fmac_f32_e32 v14, v13, v13
	;; [unrolled: 1-line block ×6, first 2 shown]
	v_bfrev_b32_e32 v16, 0.5
	s_load_dwordx2 s[2:3], s[4:5], 0x18
	v_mov_b32_dpp v15, v14 quad_perm:[1,0,3,2] row_mask:0xf bank_mask:0xf
	v_add_f32_e32 v14, v14, v15
	s_nop 1
	v_mov_b32_dpp v15, v14 quad_perm:[2,3,0,1] row_mask:0xf bank_mask:0xf
	v_add_f32_e32 v14, v14, v15
	s_nop 1
	v_mov_b32_dpp v15, v14 row_half_mirror row_mask:0xf bank_mask:0xf
	v_add_f32_e32 v14, v14, v15
	s_nop 1
	v_mov_b32_dpp v15, v14 row_mirror row_mask:0xf bank_mask:0xf
	v_add_f32_e32 v14, v14, v15
	s_nop 1
	v_mov_b32_dpp v15, v14 row_bcast:15 row_mask:0xf bank_mask:0xf
	v_add_f32_e32 v14, v14, v15
	s_nop 1
	v_mov_b32_dpp v15, v14 row_bcast:31 row_mask:0xf bank_mask:0xf
	v_add_f32_e32 v15, v14, v15
	v_mbcnt_lo_u32_b32 v14, -1, 0
	v_mbcnt_hi_u32_b32 v14, -1, v14
	v_lshl_or_b32 v14, v14, 2, v16
	ds_bpermute_b32 v15, v14, v15
	s_and_saveexec_b64 s[14:15], s[0:1]
	s_cbranch_execz .LBB154_5
; %bb.4:
	v_cvt_f32_u32_e32 v16, s7
	v_mov_b32_e32 v17, s13
	v_mov_b32_e32 v18, s12
	v_cndmask_b32_e32 v17, v17, v18, vcc
	s_waitcnt lgkmcnt(0)
	v_div_scale_f32 v19, s[20:21], v16, v16, v15
	v_rcp_f32_e32 v20, v19
	v_div_scale_f32 v18, vcc, v15, v16, v15
	s_mov_b32 s7, 0x800000
	v_fma_f32 v21, -v19, v20, 1.0
	v_fmac_f32_e32 v20, v21, v20
	v_mul_f32_e32 v21, v18, v20
	v_fma_f32 v22, -v19, v21, v18
	v_fmac_f32_e32 v21, v22, v20
	v_fma_f32 v18, -v19, v21, v18
	v_div_fmas_f32 v18, v18, v20, v21
	v_div_fixup_f32 v15, v18, v16, v15
	v_add_f32_e32 v15, v17, v15
	v_mul_f32_e32 v16, 0x4b800000, v15
	v_cmp_gt_f32_e32 vcc, s7, v15
	v_cndmask_b32_e32 v15, v15, v16, vcc
	v_rsq_f32_e32 v15, v15
	s_waitcnt vmcnt(0)
	v_cvt_f32_u32_sdwa v19, v2 dst_sel:DWORD dst_unused:UNUSED_PAD src0_sel:WORD_1
	v_cvt_f32_u32_sdwa v18, v2 dst_sel:DWORD dst_unused:UNUSED_PAD src0_sel:WORD_0
	v_cvt_f32_u32_sdwa v21, v3 dst_sel:DWORD dst_unused:UNUSED_PAD src0_sel:WORD_1
	v_mul_f32_e32 v16, 0x45800000, v15
	v_cndmask_b32_e32 v16, v15, v16, vcc
	v_mov_b32_e32 v17, v16
	;;#ASMSTART
	v_pk_mul_f32 v[8:9], v[8:9], v[16:17]
	;;#ASMEND
	;;#ASMSTART
	v_pk_mul_f32 v[12:13], v[12:13], v[16:17]
	;;#ASMEND
	;; [unrolled: 3-line block ×3, first 2 shown]
	v_cvt_f32_u32_sdwa v20, v3 dst_sel:DWORD dst_unused:UNUSED_PAD src0_sel:WORD_0
	;;#ASMSTART
	v_pk_mul_f32 v[2:3], v[6:7], v[16:17]
	;;#ASMEND
	v_cvt_f32_u32_sdwa v17, v4 dst_sel:DWORD dst_unused:UNUSED_PAD src0_sel:WORD_1
	v_cvt_f32_u32_sdwa v16, v4 dst_sel:DWORD dst_unused:UNUSED_PAD src0_sel:WORD_0
	v_pk_add_f32 v[6:7], v[18:19], 1.0 op_sel_hi:[1,0]
	v_cvt_f32_u32_sdwa v19, v5 dst_sel:DWORD dst_unused:UNUSED_PAD src0_sel:WORD_1
	v_cvt_f32_u32_sdwa v18, v5 dst_sel:DWORD dst_unused:UNUSED_PAD src0_sel:WORD_0
	;;#ASMSTART
	v_pk_mul_f32 v[8:9], v[8:9], v[6:7]
	;;#ASMEND
	v_pk_add_f32 v[6:7], v[20:21], 1.0 op_sel_hi:[1,0]
	v_pk_add_f32 v[4:5], v[16:17], 1.0 op_sel_hi:[1,0]
	;;#ASMSTART
	v_pk_mul_f32 v[12:13], v[12:13], v[6:7]
	;;#ASMEND
	;;#ASMSTART
	v_pk_mul_f32 v[10:11], v[10:11], v[4:5]
	;;#ASMEND
	v_pk_add_f32 v[4:5], v[18:19], 1.0 op_sel_hi:[1,0]
	;;#ASMSTART
	v_pk_mul_f32 v[6:7], v[2:3], v[4:5]
	;;#ASMEND
.LBB154_5:
	s_or_b64 exec, exec, s[14:15]
	s_load_dwordx2 s[14:15], s[4:5], 0x7c
	s_mov_b64 s[20:21], -1
	s_and_b64 vcc, exec, s[10:11]
	s_cbranch_vccnz .LBB154_9
; %bb.6:
	s_andn2_b64 vcc, exec, s[20:21]
	s_cbranch_vccz .LBB154_12
.LBB154_7:
	s_cmp_lt_i32 s16, 1
	s_cbranch_scc0 .LBB154_15
.LBB154_8:
	s_endpgm
.LBB154_9:
	s_and_saveexec_b64 s[10:11], s[0:1]
	s_cbranch_execz .LBB154_11
; %bb.10:
	s_waitcnt lgkmcnt(0)
	s_mul_hi_i32 s21, s15, s6
	s_mul_i32 s20, s15, s6
	s_lshl_b64 s[20:21], s[20:21], 1
	s_add_u32 s20, s2, s20
	s_addc_u32 s7, s3, s21
	s_and_b32 s21, s7, 0xffff
	s_mov_b32 s7, 0x7060302
	s_mov_b32 s23, 0x20000
	s_waitcnt vmcnt(0)
	v_perm_b32 v2, v9, v8, s7
	v_perm_b32 v3, v13, v12, s7
	;; [unrolled: 1-line block ×4, first 2 shown]
	v_lshlrev_b32_e32 v15, 4, v0
	buffer_store_dwordx4 v[2:5], v15, s[20:23], 0 offen
	;;#ASMSTART
	s_nop 0
	;;#ASMEND
.LBB154_11:
	s_or_b64 exec, exec, s[10:11]
	s_cbranch_execnz .LBB154_7
.LBB154_12:
	s_and_saveexec_b64 s[10:11], s[0:1]
	s_cbranch_execz .LBB154_14
; %bb.13:
	s_load_dwordx2 s[0:1], s[4:5], 0x10
	s_waitcnt lgkmcnt(0)
	s_mul_hi_i32 s21, s14, s6
	s_mul_i32 s20, s14, s6
	s_lshl_b64 s[20:21], s[20:21], 1
	s_mov_b32 s23, 0x20000
	s_add_u32 s20, s0, s20
	s_addc_u32 s0, s1, s21
	s_and_b32 s21, s0, 0xffff
	s_mov_b32 s0, 0x7060302
	s_waitcnt vmcnt(0)
	v_perm_b32 v2, v9, v8, s0
	v_perm_b32 v3, v13, v12, s0
	;; [unrolled: 1-line block ×4, first 2 shown]
	v_lshlrev_b32_e32 v6, 4, v0
	buffer_store_dwordx4 v[2:5], v6, s[20:23], 0 offen
	;;#ASMSTART
	s_nop 0
	;;#ASMEND
.LBB154_14:
	s_or_b64 exec, exec, s[10:11]
	s_cmp_lt_i32 s16, 1
	s_cbranch_scc1 .LBB154_8
.LBB154_15:
	s_load_dword s0, s[4:5], 0x94
	s_waitcnt lgkmcnt(0)
	s_cmp_lg_u32 s0, 1
	s_cbranch_scc1 .LBB154_8
; %bb.16:
	s_lshl_b32 s0, s16, 1
	s_add_i32 s0, s0, 2
	v_cmp_gt_u32_e32 vcc, s16, v1
	s_and_b32 s10, s0, -4
	s_waitcnt vmcnt(0)
	v_mov_b32_e32 v4, 0
	v_lshlrev_b32_e32 v12, 4, v0
	v_mov_b32_e32 v5, 0
	v_mov_b32_e32 v6, 0
	;; [unrolled: 1-line block ×7, first 2 shown]
	s_barrier
	s_and_saveexec_b64 s[0:1], vcc
	s_cbranch_execz .LBB154_18
; %bb.17:
	s_mul_hi_i32 s5, s18, s6
	s_mul_i32 s4, s18, s6
	s_and_b32 s9, s9, 0xffff
	s_lshl_b64 s[4:5], s[4:5], 1
	s_add_u32 s20, s24, s4
	s_mov_b32 s11, 0x20000
	s_addc_u32 s4, s25, s5
	s_and_b32 s21, s4, 0xffff
	s_mov_b32 s22, s10
	s_mov_b32 s23, s11
	buffer_load_dwordx4 v[4:7], v12, s[20:23], 0 offen glc slc
	buffer_load_dwordx4 v[0:3], v12, s[8:11], 0 offen
.LBB154_18:
	s_or_b64 exec, exec, s[0:1]
	s_waitcnt vmcnt(1)
	v_cvt_f32_u32_sdwa v11, v4 dst_sel:DWORD dst_unused:UNUSED_PAD src0_sel:WORD_1
	v_cvt_f32_u32_sdwa v10, v4 dst_sel:DWORD dst_unused:UNUSED_PAD src0_sel:WORD_0
	v_cvt_f32_u32_sdwa v4, v7 dst_sel:DWORD dst_unused:UNUSED_PAD src0_sel:WORD_1
	v_cvt_f32_u32_sdwa v7, v7 dst_sel:DWORD dst_unused:UNUSED_PAD src0_sel:WORD_0
	;; [unrolled: 2-line block ×4, first 2 shown]
	v_cndmask_b32_e32 v11, 0, v11, vcc
	v_cndmask_b32_e32 v5, 0, v4, vcc
	;; [unrolled: 1-line block ×5, first 2 shown]
	v_mul_f32_e32 v13, v11, v11
	v_cndmask_b32_e32 v8, 0, v8, vcc
	v_fmac_f32_e32 v13, v10, v10
	v_cndmask_b32_e32 v9, 0, v9, vcc
	v_fmac_f32_e32 v13, v8, v8
	;; [unrolled: 2-line block ×3, first 2 shown]
	v_fmac_f32_e32 v13, v6, v6
	v_fmac_f32_e32 v13, v7, v7
	;; [unrolled: 1-line block ×4, first 2 shown]
	s_nop 1
	v_mov_b32_dpp v15, v13 quad_perm:[1,0,3,2] row_mask:0xf bank_mask:0xf
	v_add_f32_e32 v13, v13, v15
	s_nop 1
	v_mov_b32_dpp v15, v13 quad_perm:[2,3,0,1] row_mask:0xf bank_mask:0xf
	v_add_f32_e32 v13, v13, v15
	s_nop 1
	v_mov_b32_dpp v15, v13 row_half_mirror row_mask:0xf bank_mask:0xf
	v_add_f32_e32 v13, v13, v15
	s_nop 1
	v_mov_b32_dpp v15, v13 row_mirror row_mask:0xf bank_mask:0xf
	v_add_f32_e32 v13, v13, v15
	s_nop 1
	v_mov_b32_dpp v15, v13 row_bcast:15 row_mask:0xf bank_mask:0xf
	v_add_f32_e32 v13, v13, v15
	s_nop 1
	v_mov_b32_dpp v15, v13 row_bcast:31 row_mask:0xf bank_mask:0xf
	v_add_f32_e32 v13, v13, v15
	ds_bpermute_b32 v13, v14, v13
	s_and_saveexec_b64 s[0:1], vcc
	s_cbranch_execz .LBB154_8
; %bb.19:
	v_cvt_f32_u32_e32 v14, s16
	s_mov_b32 s11, 0x20000
	s_waitcnt lgkmcnt(0)
	v_div_scale_f32 v15, s[0:1], v14, v14, v13
	v_rcp_f32_e32 v16, v15
	v_div_scale_f32 v17, vcc, v13, v14, v13
	s_mov_b32 s0, 0x800000
	v_fma_f32 v18, -v15, v16, 1.0
	v_fmac_f32_e32 v16, v18, v16
	v_mul_f32_e32 v18, v17, v16
	v_fma_f32 v19, -v15, v18, v17
	v_fmac_f32_e32 v18, v19, v16
	v_fma_f32 v15, -v15, v18, v17
	v_div_fmas_f32 v15, v15, v16, v18
	v_div_fixup_f32 v13, v15, v14, v13
	v_add_f32_e32 v13, s13, v13
	v_mul_f32_e32 v14, 0x4b800000, v13
	v_cmp_gt_f32_e32 vcc, s0, v13
	v_cndmask_b32_e32 v13, v13, v14, vcc
	v_rsq_f32_e32 v13, v13
	s_waitcnt vmcnt(0)
	v_cvt_f32_u32_sdwa v15, v0 dst_sel:DWORD dst_unused:UNUSED_PAD src0_sel:WORD_1
	v_cvt_f32_u32_sdwa v19, v1 dst_sel:DWORD dst_unused:UNUSED_PAD src0_sel:WORD_1
	v_cvt_f32_u32_sdwa v18, v1 dst_sel:DWORD dst_unused:UNUSED_PAD src0_sel:WORD_0
	v_mul_f32_e32 v14, 0x45800000, v13
	v_cndmask_b32_e32 v16, v13, v14, vcc
	v_cvt_f32_u32_sdwa v14, v0 dst_sel:DWORD dst_unused:UNUSED_PAD src0_sel:WORD_0
	v_mov_b32_e32 v17, v16
	;;#ASMSTART
	v_pk_mul_f32 v[10:11], v[10:11], v[16:17]
	;;#ASMEND
	;;#ASMSTART
	v_pk_mul_f32 v[8:9], v[8:9], v[16:17]
	;;#ASMEND
	;; [unrolled: 3-line block ×4, first 2 shown]
	v_pk_add_f32 v[4:5], v[14:15], 1.0 op_sel_hi:[1,0]
	v_cvt_f32_u32_sdwa v15, v2 dst_sel:DWORD dst_unused:UNUSED_PAD src0_sel:WORD_1
	v_cvt_f32_u32_sdwa v14, v2 dst_sel:DWORD dst_unused:UNUSED_PAD src0_sel:WORD_0
	v_cvt_f32_u32_sdwa v17, v3 dst_sel:DWORD dst_unused:UNUSED_PAD src0_sel:WORD_1
	v_cvt_f32_u32_sdwa v16, v3 dst_sel:DWORD dst_unused:UNUSED_PAD src0_sel:WORD_0
	s_mul_hi_i32 s1, s15, s6
	s_mul_i32 s0, s15, s6
	s_lshl_b64 s[0:1], s[0:1], 1
	s_add_u32 s8, s2, s0
	;;#ASMSTART
	v_pk_mul_f32 v[4:5], v[10:11], v[4:5]
	;;#ASMEND
	v_pk_add_f32 v[10:11], v[18:19], 1.0 op_sel_hi:[1,0]
	;;#ASMSTART
	v_pk_mul_f32 v[2:3], v[8:9], v[10:11]
	;;#ASMEND
	v_pk_add_f32 v[8:9], v[14:15], 1.0 op_sel_hi:[1,0]
	s_addc_u32 s0, s3, s1
	;;#ASMSTART
	v_pk_mul_f32 v[6:7], v[6:7], v[8:9]
	;;#ASMEND
	v_pk_add_f32 v[8:9], v[16:17], 1.0 op_sel_hi:[1,0]
	s_and_b32 s9, s0, 0xffff
	s_mov_b32 s0, 0x7060302
	;;#ASMSTART
	v_pk_mul_f32 v[8:9], v[0:1], v[8:9]
	;;#ASMEND
	v_perm_b32 v0, v5, v4, s0
	v_perm_b32 v1, v3, v2, s0
	;; [unrolled: 1-line block ×4, first 2 shown]
	buffer_store_dwordx4 v[0:3], v12, s[8:11], 0 offen
	;;#ASMSTART
	s_nop 0
	;;#ASMEND
	s_endpgm
	.section	.rodata,"a",@progbits
	.p2align	6, 0x0
	.amdhsa_kernel _ZN5aiter35fused_qk_rmsnorm_group_quant_kernelItDB8_Li64ELi8ELi8ELb0ELb1ELb1ELb1ELb0ELb0EEEvPT0_PvPT_S6_S6_PKS5_S8_S8_S8_S8_ffiiiiiiiiiiiii
		.amdhsa_group_segment_fixed_size 0
		.amdhsa_private_segment_fixed_size 0
		.amdhsa_kernarg_size 400
		.amdhsa_user_sgpr_count 6
		.amdhsa_user_sgpr_private_segment_buffer 1
		.amdhsa_user_sgpr_dispatch_ptr 0
		.amdhsa_user_sgpr_queue_ptr 0
		.amdhsa_user_sgpr_kernarg_segment_ptr 1
		.amdhsa_user_sgpr_dispatch_id 0
		.amdhsa_user_sgpr_flat_scratch_init 0
		.amdhsa_user_sgpr_kernarg_preload_length 0
		.amdhsa_user_sgpr_kernarg_preload_offset 0
		.amdhsa_user_sgpr_private_segment_size 0
		.amdhsa_uses_dynamic_stack 0
		.amdhsa_system_sgpr_private_segment_wavefront_offset 0
		.amdhsa_system_sgpr_workgroup_id_x 1
		.amdhsa_system_sgpr_workgroup_id_y 1
		.amdhsa_system_sgpr_workgroup_id_z 0
		.amdhsa_system_sgpr_workgroup_info 0
		.amdhsa_system_vgpr_workitem_id 0
		.amdhsa_next_free_vgpr 23
		.amdhsa_next_free_sgpr 32
		.amdhsa_accum_offset 24
		.amdhsa_reserve_vcc 1
		.amdhsa_reserve_flat_scratch 0
		.amdhsa_float_round_mode_32 0
		.amdhsa_float_round_mode_16_64 0
		.amdhsa_float_denorm_mode_32 3
		.amdhsa_float_denorm_mode_16_64 3
		.amdhsa_dx10_clamp 1
		.amdhsa_ieee_mode 1
		.amdhsa_fp16_overflow 0
		.amdhsa_tg_split 0
		.amdhsa_exception_fp_ieee_invalid_op 0
		.amdhsa_exception_fp_denorm_src 0
		.amdhsa_exception_fp_ieee_div_zero 0
		.amdhsa_exception_fp_ieee_overflow 0
		.amdhsa_exception_fp_ieee_underflow 0
		.amdhsa_exception_fp_ieee_inexact 0
		.amdhsa_exception_int_div_zero 0
	.end_amdhsa_kernel
	.section	.text._ZN5aiter35fused_qk_rmsnorm_group_quant_kernelItDB8_Li64ELi8ELi8ELb0ELb1ELb1ELb1ELb0ELb0EEEvPT0_PvPT_S6_S6_PKS5_S8_S8_S8_S8_ffiiiiiiiiiiiii,"axG",@progbits,_ZN5aiter35fused_qk_rmsnorm_group_quant_kernelItDB8_Li64ELi8ELi8ELb0ELb1ELb1ELb1ELb0ELb0EEEvPT0_PvPT_S6_S6_PKS5_S8_S8_S8_S8_ffiiiiiiiiiiiii,comdat
.Lfunc_end154:
	.size	_ZN5aiter35fused_qk_rmsnorm_group_quant_kernelItDB8_Li64ELi8ELi8ELb0ELb1ELb1ELb1ELb0ELb0EEEvPT0_PvPT_S6_S6_PKS5_S8_S8_S8_S8_ffiiiiiiiiiiiii, .Lfunc_end154-_ZN5aiter35fused_qk_rmsnorm_group_quant_kernelItDB8_Li64ELi8ELi8ELb0ELb1ELb1ELb1ELb0ELb0EEEvPT0_PvPT_S6_S6_PKS5_S8_S8_S8_S8_ffiiiiiiiiiiiii
                                        ; -- End function
	.section	.AMDGPU.csdata,"",@progbits
; Kernel info:
; codeLenInByte = 1968
; NumSgprs: 36
; NumVgprs: 23
; NumAgprs: 0
; TotalNumVgprs: 23
; ScratchSize: 0
; MemoryBound: 0
; FloatMode: 240
; IeeeMode: 1
; LDSByteSize: 0 bytes/workgroup (compile time only)
; SGPRBlocks: 4
; VGPRBlocks: 2
; NumSGPRsForWavesPerEU: 36
; NumVGPRsForWavesPerEU: 23
; AccumOffset: 24
; Occupancy: 8
; WaveLimiterHint : 0
; COMPUTE_PGM_RSRC2:SCRATCH_EN: 0
; COMPUTE_PGM_RSRC2:USER_SGPR: 6
; COMPUTE_PGM_RSRC2:TRAP_HANDLER: 0
; COMPUTE_PGM_RSRC2:TGID_X_EN: 1
; COMPUTE_PGM_RSRC2:TGID_Y_EN: 1
; COMPUTE_PGM_RSRC2:TGID_Z_EN: 0
; COMPUTE_PGM_RSRC2:TIDIG_COMP_CNT: 0
; COMPUTE_PGM_RSRC3_GFX90A:ACCUM_OFFSET: 5
; COMPUTE_PGM_RSRC3_GFX90A:TG_SPLIT: 0
	.section	.text._ZN5aiter35fused_qk_rmsnorm_group_quant_kernelIDF16_N4opus5fp4_tELi64ELi8ELi8ELb0ELb1ELb1ELb1ELb0ELb0EEEvPT0_PvPT_S7_S7_PKS6_S9_S9_S9_S9_ffiiiiiiiiiiiii,"axG",@progbits,_ZN5aiter35fused_qk_rmsnorm_group_quant_kernelIDF16_N4opus5fp4_tELi64ELi8ELi8ELb0ELb1ELb1ELb1ELb0ELb0EEEvPT0_PvPT_S7_S7_PKS6_S9_S9_S9_S9_ffiiiiiiiiiiiii,comdat
	.protected	_ZN5aiter35fused_qk_rmsnorm_group_quant_kernelIDF16_N4opus5fp4_tELi64ELi8ELi8ELb0ELb1ELb1ELb1ELb0ELb0EEEvPT0_PvPT_S7_S7_PKS6_S9_S9_S9_S9_ffiiiiiiiiiiiii ; -- Begin function _ZN5aiter35fused_qk_rmsnorm_group_quant_kernelIDF16_N4opus5fp4_tELi64ELi8ELi8ELb0ELb1ELb1ELb1ELb0ELb0EEEvPT0_PvPT_S7_S7_PKS6_S9_S9_S9_S9_ffiiiiiiiiiiiii
	.globl	_ZN5aiter35fused_qk_rmsnorm_group_quant_kernelIDF16_N4opus5fp4_tELi64ELi8ELi8ELb0ELb1ELb1ELb1ELb0ELb0EEEvPT0_PvPT_S7_S7_PKS6_S9_S9_S9_S9_ffiiiiiiiiiiiii
	.p2align	8
	.type	_ZN5aiter35fused_qk_rmsnorm_group_quant_kernelIDF16_N4opus5fp4_tELi64ELi8ELi8ELb0ELb1ELb1ELb1ELb0ELb0EEEvPT0_PvPT_S7_S7_PKS6_S9_S9_S9_S9_ffiiiiiiiiiiiii,@function
_ZN5aiter35fused_qk_rmsnorm_group_quant_kernelIDF16_N4opus5fp4_tELi64ELi8ELi8ELb0ELb1ELb1ELb1ELb0ELb0EEEvPT0_PvPT_S7_S7_PKS6_S9_S9_S9_S9_ffiiiiiiiiiiiii: ; @_ZN5aiter35fused_qk_rmsnorm_group_quant_kernelIDF16_N4opus5fp4_tELi64ELi8ELi8ELb0ELb1ELb1ELb1ELb0ELb0EEEvPT0_PvPT_S7_S7_PKS6_S9_S9_S9_S9_ffiiiiiiiiiiiii
; %bb.0:
	s_load_dwordx4 s[12:15], s[4:5], 0x50
	s_waitcnt lgkmcnt(0)
	s_cmp_ge_i32 s6, s14
	s_cbranch_scc1 .LBB155_10
; %bb.1:
	s_load_dwordx2 s[24:25], s[4:5], 0x30
	s_load_dwordx2 s[8:9], s[4:5], 0x48
	s_load_dwordx4 s[16:19], s[4:5], 0x60
	s_cmp_lg_u32 s7, 0
	s_cselect_b64 s[10:11], -1, 0
	s_cmp_eq_u32 s7, 0
	s_cselect_b64 vcc, -1, 0
	s_and_b64 s[0:1], vcc, exec
	s_waitcnt lgkmcnt(0)
	s_cselect_b32 s7, s15, s16
	s_add_i32 s0, s7, 1
	s_lshr_b32 s1, s0, 31
	s_add_i32 s0, s0, s1
	s_lshl_b32 s0, s0, 1
	v_lshlrev_b32_e32 v1, 3, v0
	s_and_b32 s22, s0, -4
	v_cmp_gt_i32_e64 s[0:1], s7, v1
	v_mov_b32_e32 v10, 0
	v_mov_b32_e32 v2, 0
	;; [unrolled: 1-line block ×9, first 2 shown]
	s_and_saveexec_b64 s[2:3], s[0:1]
	s_cbranch_execz .LBB155_3
; %bb.2:
	s_load_dwordx2 s[14:15], s[4:5], 0x28
	s_load_dwordx2 s[20:21], s[4:5], 0x40
	s_and_b64 s[26:27], vcc, exec
	s_cselect_b32 s17, s17, s18
	v_lshlrev_b32_e32 v11, 4, v0
	s_waitcnt lgkmcnt(0)
	s_cselect_b32 s19, s15, s25
	s_cselect_b32 s23, s14, s24
	s_mul_hi_i32 s15, s17, s6
	s_mul_i32 s14, s17, s6
	s_lshl_b64 s[14:15], s[14:15], 1
	s_add_u32 s28, s23, s14
	s_addc_u32 s17, s19, s15
	s_and_b64 s[14:15], vcc, exec
	s_mov_b32 s23, 0x20000
	s_cselect_b32 s20, s20, s8
	s_cselect_b32 s14, s21, s9
	s_and_b32 s29, s17, 0xffff
	s_mov_b32 s30, s22
	s_mov_b32 s31, s23
	s_and_b32 s21, s14, 0xffff
	buffer_load_dwordx4 v[6:9], v11, s[28:31], 0 offen glc slc
	buffer_load_dwordx4 v[2:5], v11, s[20:23], 0 offen
.LBB155_3:
	s_or_b64 exec, exec, s[2:3]
	v_mov_b32_e32 v11, 0
	v_mov_b32_e32 v14, 0
	v_mov_b32_e32 v15, 0
	v_mov_b32_e32 v16, 0
	v_mov_b32_e32 v17, 0
	v_mov_b32_e32 v12, 0
	v_mov_b32_e32 v13, 0
	s_and_saveexec_b64 s[2:3], s[0:1]
	s_cbranch_execz .LBB155_5
; %bb.4:
	s_waitcnt vmcnt(1)
	v_cvt_f32_f16_sdwa v11, v6 dst_sel:DWORD dst_unused:UNUSED_PAD src0_sel:WORD_1
	v_cvt_f32_f16_e32 v10, v6
	v_cvt_f32_f16_sdwa v15, v7 dst_sel:DWORD dst_unused:UNUSED_PAD src0_sel:WORD_1
	v_cvt_f32_f16_e32 v14, v7
	;; [unrolled: 2-line block ×4, first 2 shown]
.LBB155_5:
	s_or_b64 exec, exec, s[2:3]
	s_waitcnt vmcnt(1)
	v_mul_f32_e32 v6, v11, v11
	v_fmac_f32_e32 v6, v10, v10
	v_fmac_f32_e32 v6, v14, v14
	;; [unrolled: 1-line block ×7, first 2 shown]
	v_bfrev_b32_e32 v8, 0.5
	s_load_dwordx2 s[2:3], s[4:5], 0x18
	v_mov_b32_dpp v7, v6 quad_perm:[1,0,3,2] row_mask:0xf bank_mask:0xf
	v_add_f32_e32 v6, v6, v7
	s_nop 1
	v_mov_b32_dpp v7, v6 quad_perm:[2,3,0,1] row_mask:0xf bank_mask:0xf
	v_add_f32_e32 v6, v6, v7
	s_nop 1
	v_mov_b32_dpp v7, v6 row_half_mirror row_mask:0xf bank_mask:0xf
	v_add_f32_e32 v6, v6, v7
	s_nop 1
	v_mov_b32_dpp v7, v6 row_mirror row_mask:0xf bank_mask:0xf
	v_add_f32_e32 v6, v6, v7
	s_nop 1
	v_mov_b32_dpp v7, v6 row_bcast:15 row_mask:0xf bank_mask:0xf
	v_add_f32_e32 v6, v6, v7
	s_nop 1
	v_mov_b32_dpp v7, v6 row_bcast:31 row_mask:0xf bank_mask:0xf
	v_add_f32_e32 v6, v6, v7
	v_mbcnt_lo_u32_b32 v7, -1, 0
	v_mbcnt_hi_u32_b32 v7, -1, v7
	v_lshl_or_b32 v18, v7, 2, v8
	ds_bpermute_b32 v6, v18, v6
	s_and_saveexec_b64 s[14:15], s[0:1]
	s_cbranch_execz .LBB155_7
; %bb.6:
	v_cvt_f32_u32_e32 v7, s7
	v_mov_b32_e32 v8, s13
	v_mov_b32_e32 v9, s12
	v_cndmask_b32_e32 v8, v8, v9, vcc
	s_waitcnt lgkmcnt(0)
	v_div_scale_f32 v19, s[20:21], v7, v7, v6
	v_rcp_f32_e32 v20, v19
	v_div_scale_f32 v9, vcc, v6, v7, v6
	s_mov_b32 s7, 0x800000
	v_fma_f32 v21, -v19, v20, 1.0
	v_fmac_f32_e32 v20, v21, v20
	v_mul_f32_e32 v21, v9, v20
	v_fma_f32 v22, -v19, v21, v9
	v_fmac_f32_e32 v21, v22, v20
	v_fma_f32 v9, -v19, v21, v9
	v_div_fmas_f32 v9, v9, v20, v21
	v_div_fixup_f32 v6, v9, v7, v6
	v_add_f32_e32 v6, v8, v6
	v_mul_f32_e32 v7, 0x4b800000, v6
	v_cmp_gt_f32_e32 vcc, s7, v6
	v_cndmask_b32_e32 v6, v6, v7, vcc
	v_rsq_f32_e32 v6, v6
	s_waitcnt vmcnt(0)
	v_cvt_f32_f16_sdwa v21, v3 dst_sel:DWORD dst_unused:UNUSED_PAD src0_sel:WORD_1
	v_cvt_f32_f16_e32 v20, v3
	v_mul_f32_e32 v7, 0x45800000, v6
	v_cndmask_b32_e32 v6, v6, v7, vcc
	v_mov_b32_e32 v7, v6
	;;#ASMSTART
	v_pk_mul_f32 v[8:9], v[10:11], v[6:7]
	;;#ASMEND
	v_cvt_f32_f16_sdwa v11, v2 dst_sel:DWORD dst_unused:UNUSED_PAD src0_sel:WORD_1
	v_cvt_f32_f16_e32 v10, v2
	;;#ASMSTART
	v_pk_mul_f32 v[14:15], v[14:15], v[6:7]
	;;#ASMEND
	;;#ASMSTART
	v_pk_mul_f32 v[16:17], v[16:17], v[6:7]
	;;#ASMEND
	;;#ASMSTART
	v_pk_mul_f32 v[2:3], v[12:13], v[6:7]
	;;#ASMEND
	v_pk_add_f32 v[6:7], v[10:11], 1.0 op_sel_hi:[1,0]
	;;#ASMSTART
	v_pk_mul_f32 v[10:11], v[8:9], v[6:7]
	;;#ASMEND
	v_cvt_f32_f16_sdwa v9, v4 dst_sel:DWORD dst_unused:UNUSED_PAD src0_sel:WORD_1
	v_cvt_f32_f16_e32 v8, v4
	v_cvt_f32_f16_sdwa v13, v5 dst_sel:DWORD dst_unused:UNUSED_PAD src0_sel:WORD_1
	v_cvt_f32_f16_e32 v12, v5
	v_pk_add_f32 v[6:7], v[20:21], 1.0 op_sel_hi:[1,0]
	v_pk_add_f32 v[4:5], v[8:9], 1.0 op_sel_hi:[1,0]
	;;#ASMSTART
	v_pk_mul_f32 v[14:15], v[14:15], v[6:7]
	;;#ASMEND
	;;#ASMSTART
	v_pk_mul_f32 v[16:17], v[16:17], v[4:5]
	;;#ASMEND
	v_pk_add_f32 v[4:5], v[12:13], 1.0 op_sel_hi:[1,0]
	;;#ASMSTART
	v_pk_mul_f32 v[12:13], v[2:3], v[4:5]
	;;#ASMEND
.LBB155_7:
	s_or_b64 exec, exec, s[14:15]
	s_load_dwordx2 s[14:15], s[4:5], 0x7c
	s_mov_b64 s[20:21], -1
	s_and_b64 vcc, exec, s[10:11]
	s_cbranch_vccnz .LBB155_11
; %bb.8:
	s_andn2_b64 vcc, exec, s[20:21]
	s_cbranch_vccz .LBB155_14
.LBB155_9:
	s_cmp_lt_i32 s16, 1
	s_cbranch_scc0 .LBB155_17
.LBB155_10:
	s_endpgm
.LBB155_11:
	s_and_saveexec_b64 s[10:11], s[0:1]
	s_cbranch_execz .LBB155_13
; %bb.12:
	s_waitcnt lgkmcnt(0)
	s_mul_hi_i32 s21, s15, s6
	s_mul_i32 s20, s15, s6
	s_waitcnt vmcnt(0)
	v_cvt_f16_f32_e32 v2, v10
	v_cvt_f16_f32_e32 v3, v14
	;; [unrolled: 1-line block ×8, first 2 shown]
	s_lshl_b64 s[20:21], s[20:21], 1
	s_add_u32 s20, s2, s20
	s_addc_u32 s7, s3, s21
	s_and_b32 s21, s7, 0xffff
	s_mov_b32 s23, 0x20000
	v_pack_b32_f16 v5, v5, v6
	v_pack_b32_f16 v4, v4, v7
	;; [unrolled: 1-line block ×4, first 2 shown]
	v_lshlrev_b32_e32 v6, 4, v0
	buffer_store_dwordx4 v[2:5], v6, s[20:23], 0 offen
	;;#ASMSTART
	s_nop 0
	;;#ASMEND
.LBB155_13:
	s_or_b64 exec, exec, s[10:11]
	s_cbranch_execnz .LBB155_9
.LBB155_14:
	s_and_saveexec_b64 s[10:11], s[0:1]
	s_cbranch_execz .LBB155_16
; %bb.15:
	s_load_dwordx2 s[0:1], s[4:5], 0x10
	s_waitcnt lgkmcnt(0)
	s_mul_hi_i32 s21, s14, s6
	s_mul_i32 s20, s14, s6
	s_waitcnt vmcnt(0)
	v_cvt_f16_f32_e32 v2, v10
	v_cvt_f16_f32_e32 v3, v14
	;; [unrolled: 1-line block ×8, first 2 shown]
	s_lshl_b64 s[20:21], s[20:21], 1
	s_add_u32 s20, s0, s20
	s_addc_u32 s0, s1, s21
	s_mov_b32 s23, 0x20000
	s_and_b32 s21, s0, 0xffff
	v_pack_b32_f16 v5, v5, v6
	v_pack_b32_f16 v4, v4, v7
	;; [unrolled: 1-line block ×4, first 2 shown]
	v_lshlrev_b32_e32 v6, 4, v0
	buffer_store_dwordx4 v[2:5], v6, s[20:23], 0 offen
	;;#ASMSTART
	s_nop 0
	;;#ASMEND
.LBB155_16:
	s_or_b64 exec, exec, s[10:11]
	s_cmp_lt_i32 s16, 1
	s_cbranch_scc1 .LBB155_10
.LBB155_17:
	s_load_dword s0, s[4:5], 0x94
	s_waitcnt lgkmcnt(0)
	s_cmp_lg_u32 s0, 1
	s_cbranch_scc1 .LBB155_10
; %bb.18:
	s_lshl_b32 s0, s16, 1
	s_add_i32 s0, s0, 2
	v_cmp_gt_u32_e32 vcc, s16, v1
	s_and_b32 s10, s0, -4
	v_mov_b32_e32 v8, 0
	v_lshlrev_b32_e32 v16, 4, v0
	s_waitcnt vmcnt(0)
	v_mov_b32_e32 v4, 0
	v_mov_b32_e32 v5, 0
	v_mov_b32_e32 v6, 0
	v_mov_b32_e32 v7, 0
	v_mov_b32_e32 v0, 0
	v_mov_b32_e32 v1, 0
	v_mov_b32_e32 v2, 0
	v_mov_b32_e32 v3, 0
	s_barrier
	s_and_saveexec_b64 s[0:1], vcc
	s_cbranch_execz .LBB155_20
; %bb.19:
	s_mul_hi_i32 s5, s18, s6
	s_mul_i32 s4, s18, s6
	s_and_b32 s9, s9, 0xffff
	s_lshl_b64 s[4:5], s[4:5], 1
	s_add_u32 s20, s24, s4
	s_mov_b32 s11, 0x20000
	s_addc_u32 s4, s25, s5
	s_and_b32 s21, s4, 0xffff
	s_mov_b32 s22, s10
	s_mov_b32 s23, s11
	buffer_load_dwordx4 v[4:7], v16, s[20:23], 0 offen glc slc
	buffer_load_dwordx4 v[0:3], v16, s[8:11], 0 offen
.LBB155_20:
	s_or_b64 exec, exec, s[0:1]
	v_mov_b32_e32 v9, 0
	v_mov_b32_e32 v12, 0
	;; [unrolled: 1-line block ×7, first 2 shown]
	s_and_saveexec_b64 s[0:1], vcc
	s_cbranch_execz .LBB155_22
; %bb.21:
	s_waitcnt vmcnt(1)
	v_cvt_f32_f16_sdwa v9, v4 dst_sel:DWORD dst_unused:UNUSED_PAD src0_sel:WORD_1
	v_cvt_f32_f16_e32 v8, v4
	v_cvt_f32_f16_sdwa v13, v5 dst_sel:DWORD dst_unused:UNUSED_PAD src0_sel:WORD_1
	v_cvt_f32_f16_e32 v12, v5
	;; [unrolled: 2-line block ×4, first 2 shown]
.LBB155_22:
	s_or_b64 exec, exec, s[0:1]
	s_waitcnt vmcnt(1)
	v_mul_f32_e32 v4, v9, v9
	v_fmac_f32_e32 v4, v8, v8
	v_fmac_f32_e32 v4, v12, v12
	;; [unrolled: 1-line block ×7, first 2 shown]
	s_nop 1
	v_mov_b32_dpp v5, v4 quad_perm:[1,0,3,2] row_mask:0xf bank_mask:0xf
	v_add_f32_e32 v4, v4, v5
	s_nop 1
	v_mov_b32_dpp v5, v4 quad_perm:[2,3,0,1] row_mask:0xf bank_mask:0xf
	v_add_f32_e32 v4, v4, v5
	s_nop 1
	v_mov_b32_dpp v5, v4 row_half_mirror row_mask:0xf bank_mask:0xf
	v_add_f32_e32 v4, v4, v5
	s_nop 1
	v_mov_b32_dpp v5, v4 row_mirror row_mask:0xf bank_mask:0xf
	v_add_f32_e32 v4, v4, v5
	s_nop 1
	v_mov_b32_dpp v5, v4 row_bcast:15 row_mask:0xf bank_mask:0xf
	v_add_f32_e32 v4, v4, v5
	s_nop 1
	v_mov_b32_dpp v5, v4 row_bcast:31 row_mask:0xf bank_mask:0xf
	v_add_f32_e32 v4, v4, v5
	ds_bpermute_b32 v4, v18, v4
	s_and_saveexec_b64 s[0:1], vcc
	s_cbranch_execz .LBB155_10
; %bb.23:
	v_cvt_f32_u32_e32 v5, s16
	s_mov_b32 s11, 0x20000
	s_waitcnt lgkmcnt(0)
	v_div_scale_f32 v6, s[0:1], v5, v5, v4
	v_rcp_f32_e32 v7, v6
	v_div_scale_f32 v17, vcc, v4, v5, v4
	s_mov_b32 s0, 0x800000
	v_fma_f32 v18, -v6, v7, 1.0
	v_fmac_f32_e32 v7, v18, v7
	v_mul_f32_e32 v18, v17, v7
	v_fma_f32 v19, -v6, v18, v17
	v_fmac_f32_e32 v18, v19, v7
	v_fma_f32 v6, -v6, v18, v17
	v_div_fmas_f32 v6, v6, v7, v18
	v_div_fixup_f32 v4, v6, v5, v4
	v_add_f32_e32 v4, s13, v4
	v_mul_f32_e32 v5, 0x4b800000, v4
	v_cmp_gt_f32_e32 vcc, s0, v4
	v_cndmask_b32_e32 v4, v4, v5, vcc
	v_rsq_f32_e32 v4, v4
	s_waitcnt vmcnt(0)
	v_cvt_f32_f16_sdwa v5, v0 dst_sel:DWORD dst_unused:UNUSED_PAD src0_sel:WORD_1
	v_cvt_f32_f16_sdwa v19, v1 dst_sel:DWORD dst_unused:UNUSED_PAD src0_sel:WORD_1
	v_cvt_f32_f16_e32 v18, v1
	v_mul_f32_e32 v6, 0x45800000, v4
	v_cndmask_b32_e32 v6, v4, v6, vcc
	v_cvt_f32_f16_e32 v4, v0
	v_mov_b32_e32 v7, v6
	;;#ASMSTART
	v_pk_mul_f32 v[8:9], v[8:9], v[6:7]
	;;#ASMEND
	;;#ASMSTART
	v_pk_mul_f32 v[12:13], v[12:13], v[6:7]
	;;#ASMEND
	v_pk_add_f32 v[4:5], v[4:5], 1.0 op_sel_hi:[1,0]
	;;#ASMSTART
	v_pk_mul_f32 v[14:15], v[14:15], v[6:7]
	;;#ASMEND
	;;#ASMSTART
	v_pk_mul_f32 v[0:1], v[10:11], v[6:7]
	;;#ASMEND
	;; [unrolled: 3-line block ×3, first 2 shown]
	v_cvt_f32_f16_sdwa v9, v2 dst_sel:DWORD dst_unused:UNUSED_PAD src0_sel:WORD_1
	v_cvt_f32_f16_e32 v8, v2
	v_cvt_f32_f16_sdwa v11, v3 dst_sel:DWORD dst_unused:UNUSED_PAD src0_sel:WORD_1
	v_cvt_f32_f16_e32 v10, v3
	v_pk_add_f32 v[6:7], v[18:19], 1.0 op_sel_hi:[1,0]
	;;#ASMSTART
	v_pk_mul_f32 v[2:3], v[12:13], v[6:7]
	;;#ASMEND
	v_pk_add_f32 v[6:7], v[8:9], 1.0 op_sel_hi:[1,0]
	;;#ASMSTART
	v_pk_mul_f32 v[6:7], v[14:15], v[6:7]
	;;#ASMEND
	;; [unrolled: 4-line block ×3, first 2 shown]
	s_mul_hi_i32 s1, s15, s6
	s_mul_i32 s0, s15, s6
	v_cvt_f16_f32_e32 v4, v4
	v_cvt_f16_f32_e32 v5, v5
	;; [unrolled: 1-line block ×8, first 2 shown]
	s_lshl_b64 s[0:1], s[0:1], 1
	s_add_u32 s8, s2, s0
	s_addc_u32 s0, s3, s1
	s_and_b32 s9, s0, 0xffff
	v_pack_b32_f16 v0, v4, v5
	v_pack_b32_f16 v1, v2, v3
	;; [unrolled: 1-line block ×4, first 2 shown]
	buffer_store_dwordx4 v[0:3], v16, s[8:11], 0 offen
	;;#ASMSTART
	s_nop 0
	;;#ASMEND
	s_endpgm
	.section	.rodata,"a",@progbits
	.p2align	6, 0x0
	.amdhsa_kernel _ZN5aiter35fused_qk_rmsnorm_group_quant_kernelIDF16_N4opus5fp4_tELi64ELi8ELi8ELb0ELb1ELb1ELb1ELb0ELb0EEEvPT0_PvPT_S7_S7_PKS6_S9_S9_S9_S9_ffiiiiiiiiiiiii
		.amdhsa_group_segment_fixed_size 0
		.amdhsa_private_segment_fixed_size 0
		.amdhsa_kernarg_size 400
		.amdhsa_user_sgpr_count 6
		.amdhsa_user_sgpr_private_segment_buffer 1
		.amdhsa_user_sgpr_dispatch_ptr 0
		.amdhsa_user_sgpr_queue_ptr 0
		.amdhsa_user_sgpr_kernarg_segment_ptr 1
		.amdhsa_user_sgpr_dispatch_id 0
		.amdhsa_user_sgpr_flat_scratch_init 0
		.amdhsa_user_sgpr_kernarg_preload_length 0
		.amdhsa_user_sgpr_kernarg_preload_offset 0
		.amdhsa_user_sgpr_private_segment_size 0
		.amdhsa_uses_dynamic_stack 0
		.amdhsa_system_sgpr_private_segment_wavefront_offset 0
		.amdhsa_system_sgpr_workgroup_id_x 1
		.amdhsa_system_sgpr_workgroup_id_y 1
		.amdhsa_system_sgpr_workgroup_id_z 0
		.amdhsa_system_sgpr_workgroup_info 0
		.amdhsa_system_vgpr_workitem_id 0
		.amdhsa_next_free_vgpr 23
		.amdhsa_next_free_sgpr 32
		.amdhsa_accum_offset 24
		.amdhsa_reserve_vcc 1
		.amdhsa_reserve_flat_scratch 0
		.amdhsa_float_round_mode_32 0
		.amdhsa_float_round_mode_16_64 0
		.amdhsa_float_denorm_mode_32 3
		.amdhsa_float_denorm_mode_16_64 3
		.amdhsa_dx10_clamp 1
		.amdhsa_ieee_mode 1
		.amdhsa_fp16_overflow 0
		.amdhsa_tg_split 0
		.amdhsa_exception_fp_ieee_invalid_op 0
		.amdhsa_exception_fp_denorm_src 0
		.amdhsa_exception_fp_ieee_div_zero 0
		.amdhsa_exception_fp_ieee_overflow 0
		.amdhsa_exception_fp_ieee_underflow 0
		.amdhsa_exception_fp_ieee_inexact 0
		.amdhsa_exception_int_div_zero 0
	.end_amdhsa_kernel
	.section	.text._ZN5aiter35fused_qk_rmsnorm_group_quant_kernelIDF16_N4opus5fp4_tELi64ELi8ELi8ELb0ELb1ELb1ELb1ELb0ELb0EEEvPT0_PvPT_S7_S7_PKS6_S9_S9_S9_S9_ffiiiiiiiiiiiii,"axG",@progbits,_ZN5aiter35fused_qk_rmsnorm_group_quant_kernelIDF16_N4opus5fp4_tELi64ELi8ELi8ELb0ELb1ELb1ELb1ELb0ELb0EEEvPT0_PvPT_S7_S7_PKS6_S9_S9_S9_S9_ffiiiiiiiiiiiii,comdat
.Lfunc_end155:
	.size	_ZN5aiter35fused_qk_rmsnorm_group_quant_kernelIDF16_N4opus5fp4_tELi64ELi8ELi8ELb0ELb1ELb1ELb1ELb0ELb0EEEvPT0_PvPT_S7_S7_PKS6_S9_S9_S9_S9_ffiiiiiiiiiiiii, .Lfunc_end155-_ZN5aiter35fused_qk_rmsnorm_group_quant_kernelIDF16_N4opus5fp4_tELi64ELi8ELi8ELb0ELb1ELb1ELb1ELb0ELb0EEEvPT0_PvPT_S7_S7_PKS6_S9_S9_S9_S9_ffiiiiiiiiiiiii
                                        ; -- End function
	.section	.AMDGPU.csdata,"",@progbits
; Kernel info:
; codeLenInByte = 1976
; NumSgprs: 36
; NumVgprs: 23
; NumAgprs: 0
; TotalNumVgprs: 23
; ScratchSize: 0
; MemoryBound: 0
; FloatMode: 240
; IeeeMode: 1
; LDSByteSize: 0 bytes/workgroup (compile time only)
; SGPRBlocks: 4
; VGPRBlocks: 2
; NumSGPRsForWavesPerEU: 36
; NumVGPRsForWavesPerEU: 23
; AccumOffset: 24
; Occupancy: 8
; WaveLimiterHint : 0
; COMPUTE_PGM_RSRC2:SCRATCH_EN: 0
; COMPUTE_PGM_RSRC2:USER_SGPR: 6
; COMPUTE_PGM_RSRC2:TRAP_HANDLER: 0
; COMPUTE_PGM_RSRC2:TGID_X_EN: 1
; COMPUTE_PGM_RSRC2:TGID_Y_EN: 1
; COMPUTE_PGM_RSRC2:TGID_Z_EN: 0
; COMPUTE_PGM_RSRC2:TIDIG_COMP_CNT: 0
; COMPUTE_PGM_RSRC3_GFX90A:ACCUM_OFFSET: 5
; COMPUTE_PGM_RSRC3_GFX90A:TG_SPLIT: 0
	.section	.text._ZN5aiter35fused_qk_rmsnorm_group_quant_kernelItN4opus5fp4_tELi64ELi8ELi8ELb0ELb1ELb1ELb1ELb0ELb0EEEvPT0_PvPT_S7_S7_PKS6_S9_S9_S9_S9_ffiiiiiiiiiiiii,"axG",@progbits,_ZN5aiter35fused_qk_rmsnorm_group_quant_kernelItN4opus5fp4_tELi64ELi8ELi8ELb0ELb1ELb1ELb1ELb0ELb0EEEvPT0_PvPT_S7_S7_PKS6_S9_S9_S9_S9_ffiiiiiiiiiiiii,comdat
	.protected	_ZN5aiter35fused_qk_rmsnorm_group_quant_kernelItN4opus5fp4_tELi64ELi8ELi8ELb0ELb1ELb1ELb1ELb0ELb0EEEvPT0_PvPT_S7_S7_PKS6_S9_S9_S9_S9_ffiiiiiiiiiiiii ; -- Begin function _ZN5aiter35fused_qk_rmsnorm_group_quant_kernelItN4opus5fp4_tELi64ELi8ELi8ELb0ELb1ELb1ELb1ELb0ELb0EEEvPT0_PvPT_S7_S7_PKS6_S9_S9_S9_S9_ffiiiiiiiiiiiii
	.globl	_ZN5aiter35fused_qk_rmsnorm_group_quant_kernelItN4opus5fp4_tELi64ELi8ELi8ELb0ELb1ELb1ELb1ELb0ELb0EEEvPT0_PvPT_S7_S7_PKS6_S9_S9_S9_S9_ffiiiiiiiiiiiii
	.p2align	8
	.type	_ZN5aiter35fused_qk_rmsnorm_group_quant_kernelItN4opus5fp4_tELi64ELi8ELi8ELb0ELb1ELb1ELb1ELb0ELb0EEEvPT0_PvPT_S7_S7_PKS6_S9_S9_S9_S9_ffiiiiiiiiiiiii,@function
_ZN5aiter35fused_qk_rmsnorm_group_quant_kernelItN4opus5fp4_tELi64ELi8ELi8ELb0ELb1ELb1ELb1ELb0ELb0EEEvPT0_PvPT_S7_S7_PKS6_S9_S9_S9_S9_ffiiiiiiiiiiiii: ; @_ZN5aiter35fused_qk_rmsnorm_group_quant_kernelItN4opus5fp4_tELi64ELi8ELi8ELb0ELb1ELb1ELb1ELb0ELb0EEEvPT0_PvPT_S7_S7_PKS6_S9_S9_S9_S9_ffiiiiiiiiiiiii
; %bb.0:
	s_load_dwordx4 s[12:15], s[4:5], 0x50
	s_waitcnt lgkmcnt(0)
	s_cmp_ge_i32 s6, s14
	s_cbranch_scc1 .LBB156_8
; %bb.1:
	s_load_dwordx2 s[24:25], s[4:5], 0x30
	s_load_dwordx2 s[8:9], s[4:5], 0x48
	s_load_dwordx4 s[16:19], s[4:5], 0x60
	s_cmp_lg_u32 s7, 0
	s_cselect_b64 s[10:11], -1, 0
	s_cmp_eq_u32 s7, 0
	s_cselect_b64 vcc, -1, 0
	s_and_b64 s[0:1], vcc, exec
	s_waitcnt lgkmcnt(0)
	s_cselect_b32 s7, s15, s16
	s_add_i32 s0, s7, 1
	s_lshr_b32 s1, s0, 31
	s_add_i32 s0, s0, s1
	s_lshl_b32 s0, s0, 1
	v_lshlrev_b32_e32 v1, 3, v0
	s_and_b32 s22, s0, -4
	v_cmp_gt_i32_e64 s[0:1], s7, v1
	v_mov_b32_e32 v2, 0
	v_mov_b32_e32 v3, 0
	;; [unrolled: 1-line block ×8, first 2 shown]
	s_and_saveexec_b64 s[2:3], s[0:1]
	s_cbranch_execz .LBB156_3
; %bb.2:
	s_load_dwordx2 s[14:15], s[4:5], 0x28
	s_load_dwordx2 s[20:21], s[4:5], 0x40
	s_and_b64 s[26:27], vcc, exec
	s_cselect_b32 s17, s17, s18
	v_lshlrev_b32_e32 v10, 4, v0
	s_waitcnt lgkmcnt(0)
	s_cselect_b32 s19, s15, s25
	s_cselect_b32 s23, s14, s24
	s_mul_hi_i32 s15, s17, s6
	s_mul_i32 s14, s17, s6
	s_lshl_b64 s[14:15], s[14:15], 1
	s_add_u32 s28, s23, s14
	s_addc_u32 s17, s19, s15
	s_and_b64 s[14:15], vcc, exec
	s_mov_b32 s23, 0x20000
	s_cselect_b32 s20, s20, s8
	s_cselect_b32 s14, s21, s9
	s_and_b32 s29, s17, 0xffff
	s_mov_b32 s30, s22
	s_mov_b32 s31, s23
	s_and_b32 s21, s14, 0xffff
	buffer_load_dwordx4 v[6:9], v10, s[28:31], 0 offen glc slc
	buffer_load_dwordx4 v[2:5], v10, s[20:23], 0 offen
.LBB156_3:
	s_or_b64 exec, exec, s[2:3]
	s_waitcnt vmcnt(1)
	v_cvt_f32_u32_sdwa v14, v6 dst_sel:DWORD dst_unused:UNUSED_PAD src0_sel:WORD_0
	v_cvt_f32_u32_sdwa v15, v6 dst_sel:DWORD dst_unused:UNUSED_PAD src0_sel:WORD_1
	v_cvt_f32_u32_sdwa v6, v9 dst_sel:DWORD dst_unused:UNUSED_PAD src0_sel:WORD_1
	v_cvt_f32_u32_sdwa v9, v9 dst_sel:DWORD dst_unused:UNUSED_PAD src0_sel:WORD_0
	v_cvt_f32_u32_sdwa v10, v8 dst_sel:DWORD dst_unused:UNUSED_PAD src0_sel:WORD_1
	v_cvt_f32_u32_sdwa v8, v8 dst_sel:DWORD dst_unused:UNUSED_PAD src0_sel:WORD_0
	v_cvt_f32_u32_sdwa v12, v7 dst_sel:DWORD dst_unused:UNUSED_PAD src0_sel:WORD_0
	v_cvt_f32_u32_sdwa v13, v7 dst_sel:DWORD dst_unused:UNUSED_PAD src0_sel:WORD_1
	v_cndmask_b32_e64 v7, 0, v6, s[0:1]
	v_cndmask_b32_e64 v6, 0, v9, s[0:1]
	;; [unrolled: 1-line block ×6, first 2 shown]
	v_mul_f32_e32 v14, v9, v9
	v_cndmask_b32_e64 v12, 0, v12, s[0:1]
	v_fmac_f32_e32 v14, v8, v8
	v_cndmask_b32_e64 v13, 0, v13, s[0:1]
	v_fmac_f32_e32 v14, v12, v12
	v_fmac_f32_e32 v14, v13, v13
	;; [unrolled: 1-line block ×6, first 2 shown]
	v_bfrev_b32_e32 v16, 0.5
	s_load_dwordx2 s[2:3], s[4:5], 0x18
	v_mov_b32_dpp v15, v14 quad_perm:[1,0,3,2] row_mask:0xf bank_mask:0xf
	v_add_f32_e32 v14, v14, v15
	s_nop 1
	v_mov_b32_dpp v15, v14 quad_perm:[2,3,0,1] row_mask:0xf bank_mask:0xf
	v_add_f32_e32 v14, v14, v15
	s_nop 1
	v_mov_b32_dpp v15, v14 row_half_mirror row_mask:0xf bank_mask:0xf
	v_add_f32_e32 v14, v14, v15
	s_nop 1
	v_mov_b32_dpp v15, v14 row_mirror row_mask:0xf bank_mask:0xf
	v_add_f32_e32 v14, v14, v15
	s_nop 1
	v_mov_b32_dpp v15, v14 row_bcast:15 row_mask:0xf bank_mask:0xf
	v_add_f32_e32 v14, v14, v15
	s_nop 1
	v_mov_b32_dpp v15, v14 row_bcast:31 row_mask:0xf bank_mask:0xf
	v_add_f32_e32 v15, v14, v15
	v_mbcnt_lo_u32_b32 v14, -1, 0
	v_mbcnt_hi_u32_b32 v14, -1, v14
	v_lshl_or_b32 v14, v14, 2, v16
	ds_bpermute_b32 v15, v14, v15
	s_and_saveexec_b64 s[14:15], s[0:1]
	s_cbranch_execz .LBB156_5
; %bb.4:
	v_cvt_f32_u32_e32 v16, s7
	v_mov_b32_e32 v17, s13
	v_mov_b32_e32 v18, s12
	v_cndmask_b32_e32 v17, v17, v18, vcc
	s_waitcnt lgkmcnt(0)
	v_div_scale_f32 v19, s[20:21], v16, v16, v15
	v_rcp_f32_e32 v20, v19
	v_div_scale_f32 v18, vcc, v15, v16, v15
	s_mov_b32 s7, 0x800000
	v_fma_f32 v21, -v19, v20, 1.0
	v_fmac_f32_e32 v20, v21, v20
	v_mul_f32_e32 v21, v18, v20
	v_fma_f32 v22, -v19, v21, v18
	v_fmac_f32_e32 v21, v22, v20
	v_fma_f32 v18, -v19, v21, v18
	v_div_fmas_f32 v18, v18, v20, v21
	v_div_fixup_f32 v15, v18, v16, v15
	v_add_f32_e32 v15, v17, v15
	v_mul_f32_e32 v16, 0x4b800000, v15
	v_cmp_gt_f32_e32 vcc, s7, v15
	v_cndmask_b32_e32 v15, v15, v16, vcc
	v_rsq_f32_e32 v15, v15
	s_waitcnt vmcnt(0)
	v_cvt_f32_u32_sdwa v19, v2 dst_sel:DWORD dst_unused:UNUSED_PAD src0_sel:WORD_1
	v_cvt_f32_u32_sdwa v18, v2 dst_sel:DWORD dst_unused:UNUSED_PAD src0_sel:WORD_0
	v_cvt_f32_u32_sdwa v21, v3 dst_sel:DWORD dst_unused:UNUSED_PAD src0_sel:WORD_1
	v_mul_f32_e32 v16, 0x45800000, v15
	v_cndmask_b32_e32 v16, v15, v16, vcc
	v_mov_b32_e32 v17, v16
	;;#ASMSTART
	v_pk_mul_f32 v[8:9], v[8:9], v[16:17]
	;;#ASMEND
	;;#ASMSTART
	v_pk_mul_f32 v[12:13], v[12:13], v[16:17]
	;;#ASMEND
	;; [unrolled: 3-line block ×3, first 2 shown]
	v_cvt_f32_u32_sdwa v20, v3 dst_sel:DWORD dst_unused:UNUSED_PAD src0_sel:WORD_0
	;;#ASMSTART
	v_pk_mul_f32 v[2:3], v[6:7], v[16:17]
	;;#ASMEND
	v_cvt_f32_u32_sdwa v17, v4 dst_sel:DWORD dst_unused:UNUSED_PAD src0_sel:WORD_1
	v_cvt_f32_u32_sdwa v16, v4 dst_sel:DWORD dst_unused:UNUSED_PAD src0_sel:WORD_0
	v_pk_add_f32 v[6:7], v[18:19], 1.0 op_sel_hi:[1,0]
	v_cvt_f32_u32_sdwa v19, v5 dst_sel:DWORD dst_unused:UNUSED_PAD src0_sel:WORD_1
	v_cvt_f32_u32_sdwa v18, v5 dst_sel:DWORD dst_unused:UNUSED_PAD src0_sel:WORD_0
	;;#ASMSTART
	v_pk_mul_f32 v[8:9], v[8:9], v[6:7]
	;;#ASMEND
	v_pk_add_f32 v[6:7], v[20:21], 1.0 op_sel_hi:[1,0]
	v_pk_add_f32 v[4:5], v[16:17], 1.0 op_sel_hi:[1,0]
	;;#ASMSTART
	v_pk_mul_f32 v[12:13], v[12:13], v[6:7]
	;;#ASMEND
	;;#ASMSTART
	v_pk_mul_f32 v[10:11], v[10:11], v[4:5]
	;;#ASMEND
	v_pk_add_f32 v[4:5], v[18:19], 1.0 op_sel_hi:[1,0]
	;;#ASMSTART
	v_pk_mul_f32 v[6:7], v[2:3], v[4:5]
	;;#ASMEND
.LBB156_5:
	s_or_b64 exec, exec, s[14:15]
	s_load_dwordx2 s[14:15], s[4:5], 0x7c
	s_mov_b64 s[20:21], -1
	s_and_b64 vcc, exec, s[10:11]
	s_cbranch_vccnz .LBB156_9
; %bb.6:
	s_andn2_b64 vcc, exec, s[20:21]
	s_cbranch_vccz .LBB156_12
.LBB156_7:
	s_cmp_lt_i32 s16, 1
	s_cbranch_scc0 .LBB156_15
.LBB156_8:
	s_endpgm
.LBB156_9:
	s_and_saveexec_b64 s[10:11], s[0:1]
	s_cbranch_execz .LBB156_11
; %bb.10:
	s_waitcnt lgkmcnt(0)
	s_mul_hi_i32 s21, s15, s6
	s_mul_i32 s20, s15, s6
	s_lshl_b64 s[20:21], s[20:21], 1
	s_add_u32 s20, s2, s20
	s_addc_u32 s7, s3, s21
	s_and_b32 s21, s7, 0xffff
	s_mov_b32 s7, 0x7060302
	s_mov_b32 s23, 0x20000
	s_waitcnt vmcnt(0)
	v_perm_b32 v2, v9, v8, s7
	v_perm_b32 v3, v13, v12, s7
	;; [unrolled: 1-line block ×4, first 2 shown]
	v_lshlrev_b32_e32 v15, 4, v0
	buffer_store_dwordx4 v[2:5], v15, s[20:23], 0 offen
	;;#ASMSTART
	s_nop 0
	;;#ASMEND
.LBB156_11:
	s_or_b64 exec, exec, s[10:11]
	s_cbranch_execnz .LBB156_7
.LBB156_12:
	s_and_saveexec_b64 s[10:11], s[0:1]
	s_cbranch_execz .LBB156_14
; %bb.13:
	s_load_dwordx2 s[0:1], s[4:5], 0x10
	s_waitcnt lgkmcnt(0)
	s_mul_hi_i32 s21, s14, s6
	s_mul_i32 s20, s14, s6
	s_lshl_b64 s[20:21], s[20:21], 1
	s_mov_b32 s23, 0x20000
	s_add_u32 s20, s0, s20
	s_addc_u32 s0, s1, s21
	s_and_b32 s21, s0, 0xffff
	s_mov_b32 s0, 0x7060302
	s_waitcnt vmcnt(0)
	v_perm_b32 v2, v9, v8, s0
	v_perm_b32 v3, v13, v12, s0
	;; [unrolled: 1-line block ×4, first 2 shown]
	v_lshlrev_b32_e32 v6, 4, v0
	buffer_store_dwordx4 v[2:5], v6, s[20:23], 0 offen
	;;#ASMSTART
	s_nop 0
	;;#ASMEND
.LBB156_14:
	s_or_b64 exec, exec, s[10:11]
	s_cmp_lt_i32 s16, 1
	s_cbranch_scc1 .LBB156_8
.LBB156_15:
	s_load_dword s0, s[4:5], 0x94
	s_waitcnt lgkmcnt(0)
	s_cmp_lg_u32 s0, 1
	s_cbranch_scc1 .LBB156_8
; %bb.16:
	s_lshl_b32 s0, s16, 1
	s_add_i32 s0, s0, 2
	v_cmp_gt_u32_e32 vcc, s16, v1
	s_and_b32 s10, s0, -4
	s_waitcnt vmcnt(0)
	v_mov_b32_e32 v4, 0
	v_lshlrev_b32_e32 v12, 4, v0
	v_mov_b32_e32 v5, 0
	v_mov_b32_e32 v6, 0
	;; [unrolled: 1-line block ×7, first 2 shown]
	s_barrier
	s_and_saveexec_b64 s[0:1], vcc
	s_cbranch_execz .LBB156_18
; %bb.17:
	s_mul_hi_i32 s5, s18, s6
	s_mul_i32 s4, s18, s6
	s_and_b32 s9, s9, 0xffff
	s_lshl_b64 s[4:5], s[4:5], 1
	s_add_u32 s20, s24, s4
	s_mov_b32 s11, 0x20000
	s_addc_u32 s4, s25, s5
	s_and_b32 s21, s4, 0xffff
	s_mov_b32 s22, s10
	s_mov_b32 s23, s11
	buffer_load_dwordx4 v[4:7], v12, s[20:23], 0 offen glc slc
	buffer_load_dwordx4 v[0:3], v12, s[8:11], 0 offen
.LBB156_18:
	s_or_b64 exec, exec, s[0:1]
	s_waitcnt vmcnt(1)
	v_cvt_f32_u32_sdwa v11, v4 dst_sel:DWORD dst_unused:UNUSED_PAD src0_sel:WORD_1
	v_cvt_f32_u32_sdwa v10, v4 dst_sel:DWORD dst_unused:UNUSED_PAD src0_sel:WORD_0
	v_cvt_f32_u32_sdwa v4, v7 dst_sel:DWORD dst_unused:UNUSED_PAD src0_sel:WORD_1
	v_cvt_f32_u32_sdwa v7, v7 dst_sel:DWORD dst_unused:UNUSED_PAD src0_sel:WORD_0
	;; [unrolled: 2-line block ×4, first 2 shown]
	v_cndmask_b32_e32 v11, 0, v11, vcc
	v_cndmask_b32_e32 v5, 0, v4, vcc
	v_cndmask_b32_e32 v4, 0, v7, vcc
	v_cndmask_b32_e32 v7, 0, v13, vcc
	v_cndmask_b32_e32 v10, 0, v10, vcc
	v_mul_f32_e32 v13, v11, v11
	v_cndmask_b32_e32 v8, 0, v8, vcc
	v_fmac_f32_e32 v13, v10, v10
	v_cndmask_b32_e32 v9, 0, v9, vcc
	v_fmac_f32_e32 v13, v8, v8
	;; [unrolled: 2-line block ×3, first 2 shown]
	v_fmac_f32_e32 v13, v6, v6
	v_fmac_f32_e32 v13, v7, v7
	v_fmac_f32_e32 v13, v4, v4
	v_fmac_f32_e32 v13, v5, v5
	s_nop 1
	v_mov_b32_dpp v15, v13 quad_perm:[1,0,3,2] row_mask:0xf bank_mask:0xf
	v_add_f32_e32 v13, v13, v15
	s_nop 1
	v_mov_b32_dpp v15, v13 quad_perm:[2,3,0,1] row_mask:0xf bank_mask:0xf
	v_add_f32_e32 v13, v13, v15
	s_nop 1
	v_mov_b32_dpp v15, v13 row_half_mirror row_mask:0xf bank_mask:0xf
	v_add_f32_e32 v13, v13, v15
	s_nop 1
	v_mov_b32_dpp v15, v13 row_mirror row_mask:0xf bank_mask:0xf
	v_add_f32_e32 v13, v13, v15
	s_nop 1
	v_mov_b32_dpp v15, v13 row_bcast:15 row_mask:0xf bank_mask:0xf
	v_add_f32_e32 v13, v13, v15
	s_nop 1
	v_mov_b32_dpp v15, v13 row_bcast:31 row_mask:0xf bank_mask:0xf
	v_add_f32_e32 v13, v13, v15
	ds_bpermute_b32 v13, v14, v13
	s_and_saveexec_b64 s[0:1], vcc
	s_cbranch_execz .LBB156_8
; %bb.19:
	v_cvt_f32_u32_e32 v14, s16
	s_mov_b32 s11, 0x20000
	s_waitcnt lgkmcnt(0)
	v_div_scale_f32 v15, s[0:1], v14, v14, v13
	v_rcp_f32_e32 v16, v15
	v_div_scale_f32 v17, vcc, v13, v14, v13
	s_mov_b32 s0, 0x800000
	v_fma_f32 v18, -v15, v16, 1.0
	v_fmac_f32_e32 v16, v18, v16
	v_mul_f32_e32 v18, v17, v16
	v_fma_f32 v19, -v15, v18, v17
	v_fmac_f32_e32 v18, v19, v16
	v_fma_f32 v15, -v15, v18, v17
	v_div_fmas_f32 v15, v15, v16, v18
	v_div_fixup_f32 v13, v15, v14, v13
	v_add_f32_e32 v13, s13, v13
	v_mul_f32_e32 v14, 0x4b800000, v13
	v_cmp_gt_f32_e32 vcc, s0, v13
	v_cndmask_b32_e32 v13, v13, v14, vcc
	v_rsq_f32_e32 v13, v13
	s_waitcnt vmcnt(0)
	v_cvt_f32_u32_sdwa v15, v0 dst_sel:DWORD dst_unused:UNUSED_PAD src0_sel:WORD_1
	v_cvt_f32_u32_sdwa v19, v1 dst_sel:DWORD dst_unused:UNUSED_PAD src0_sel:WORD_1
	v_cvt_f32_u32_sdwa v18, v1 dst_sel:DWORD dst_unused:UNUSED_PAD src0_sel:WORD_0
	v_mul_f32_e32 v14, 0x45800000, v13
	v_cndmask_b32_e32 v16, v13, v14, vcc
	v_cvt_f32_u32_sdwa v14, v0 dst_sel:DWORD dst_unused:UNUSED_PAD src0_sel:WORD_0
	v_mov_b32_e32 v17, v16
	;;#ASMSTART
	v_pk_mul_f32 v[10:11], v[10:11], v[16:17]
	;;#ASMEND
	;;#ASMSTART
	v_pk_mul_f32 v[8:9], v[8:9], v[16:17]
	;;#ASMEND
	;; [unrolled: 3-line block ×4, first 2 shown]
	v_pk_add_f32 v[4:5], v[14:15], 1.0 op_sel_hi:[1,0]
	v_cvt_f32_u32_sdwa v15, v2 dst_sel:DWORD dst_unused:UNUSED_PAD src0_sel:WORD_1
	v_cvt_f32_u32_sdwa v14, v2 dst_sel:DWORD dst_unused:UNUSED_PAD src0_sel:WORD_0
	v_cvt_f32_u32_sdwa v17, v3 dst_sel:DWORD dst_unused:UNUSED_PAD src0_sel:WORD_1
	v_cvt_f32_u32_sdwa v16, v3 dst_sel:DWORD dst_unused:UNUSED_PAD src0_sel:WORD_0
	s_mul_hi_i32 s1, s15, s6
	s_mul_i32 s0, s15, s6
	s_lshl_b64 s[0:1], s[0:1], 1
	s_add_u32 s8, s2, s0
	;;#ASMSTART
	v_pk_mul_f32 v[4:5], v[10:11], v[4:5]
	;;#ASMEND
	v_pk_add_f32 v[10:11], v[18:19], 1.0 op_sel_hi:[1,0]
	;;#ASMSTART
	v_pk_mul_f32 v[2:3], v[8:9], v[10:11]
	;;#ASMEND
	v_pk_add_f32 v[8:9], v[14:15], 1.0 op_sel_hi:[1,0]
	s_addc_u32 s0, s3, s1
	;;#ASMSTART
	v_pk_mul_f32 v[6:7], v[6:7], v[8:9]
	;;#ASMEND
	v_pk_add_f32 v[8:9], v[16:17], 1.0 op_sel_hi:[1,0]
	s_and_b32 s9, s0, 0xffff
	s_mov_b32 s0, 0x7060302
	;;#ASMSTART
	v_pk_mul_f32 v[8:9], v[0:1], v[8:9]
	;;#ASMEND
	v_perm_b32 v0, v5, v4, s0
	v_perm_b32 v1, v3, v2, s0
	;; [unrolled: 1-line block ×4, first 2 shown]
	buffer_store_dwordx4 v[0:3], v12, s[8:11], 0 offen
	;;#ASMSTART
	s_nop 0
	;;#ASMEND
	s_endpgm
	.section	.rodata,"a",@progbits
	.p2align	6, 0x0
	.amdhsa_kernel _ZN5aiter35fused_qk_rmsnorm_group_quant_kernelItN4opus5fp4_tELi64ELi8ELi8ELb0ELb1ELb1ELb1ELb0ELb0EEEvPT0_PvPT_S7_S7_PKS6_S9_S9_S9_S9_ffiiiiiiiiiiiii
		.amdhsa_group_segment_fixed_size 0
		.amdhsa_private_segment_fixed_size 0
		.amdhsa_kernarg_size 400
		.amdhsa_user_sgpr_count 6
		.amdhsa_user_sgpr_private_segment_buffer 1
		.amdhsa_user_sgpr_dispatch_ptr 0
		.amdhsa_user_sgpr_queue_ptr 0
		.amdhsa_user_sgpr_kernarg_segment_ptr 1
		.amdhsa_user_sgpr_dispatch_id 0
		.amdhsa_user_sgpr_flat_scratch_init 0
		.amdhsa_user_sgpr_kernarg_preload_length 0
		.amdhsa_user_sgpr_kernarg_preload_offset 0
		.amdhsa_user_sgpr_private_segment_size 0
		.amdhsa_uses_dynamic_stack 0
		.amdhsa_system_sgpr_private_segment_wavefront_offset 0
		.amdhsa_system_sgpr_workgroup_id_x 1
		.amdhsa_system_sgpr_workgroup_id_y 1
		.amdhsa_system_sgpr_workgroup_id_z 0
		.amdhsa_system_sgpr_workgroup_info 0
		.amdhsa_system_vgpr_workitem_id 0
		.amdhsa_next_free_vgpr 23
		.amdhsa_next_free_sgpr 32
		.amdhsa_accum_offset 24
		.amdhsa_reserve_vcc 1
		.amdhsa_reserve_flat_scratch 0
		.amdhsa_float_round_mode_32 0
		.amdhsa_float_round_mode_16_64 0
		.amdhsa_float_denorm_mode_32 3
		.amdhsa_float_denorm_mode_16_64 3
		.amdhsa_dx10_clamp 1
		.amdhsa_ieee_mode 1
		.amdhsa_fp16_overflow 0
		.amdhsa_tg_split 0
		.amdhsa_exception_fp_ieee_invalid_op 0
		.amdhsa_exception_fp_denorm_src 0
		.amdhsa_exception_fp_ieee_div_zero 0
		.amdhsa_exception_fp_ieee_overflow 0
		.amdhsa_exception_fp_ieee_underflow 0
		.amdhsa_exception_fp_ieee_inexact 0
		.amdhsa_exception_int_div_zero 0
	.end_amdhsa_kernel
	.section	.text._ZN5aiter35fused_qk_rmsnorm_group_quant_kernelItN4opus5fp4_tELi64ELi8ELi8ELb0ELb1ELb1ELb1ELb0ELb0EEEvPT0_PvPT_S7_S7_PKS6_S9_S9_S9_S9_ffiiiiiiiiiiiii,"axG",@progbits,_ZN5aiter35fused_qk_rmsnorm_group_quant_kernelItN4opus5fp4_tELi64ELi8ELi8ELb0ELb1ELb1ELb1ELb0ELb0EEEvPT0_PvPT_S7_S7_PKS6_S9_S9_S9_S9_ffiiiiiiiiiiiii,comdat
.Lfunc_end156:
	.size	_ZN5aiter35fused_qk_rmsnorm_group_quant_kernelItN4opus5fp4_tELi64ELi8ELi8ELb0ELb1ELb1ELb1ELb0ELb0EEEvPT0_PvPT_S7_S7_PKS6_S9_S9_S9_S9_ffiiiiiiiiiiiii, .Lfunc_end156-_ZN5aiter35fused_qk_rmsnorm_group_quant_kernelItN4opus5fp4_tELi64ELi8ELi8ELb0ELb1ELb1ELb1ELb0ELb0EEEvPT0_PvPT_S7_S7_PKS6_S9_S9_S9_S9_ffiiiiiiiiiiiii
                                        ; -- End function
	.section	.AMDGPU.csdata,"",@progbits
; Kernel info:
; codeLenInByte = 1968
; NumSgprs: 36
; NumVgprs: 23
; NumAgprs: 0
; TotalNumVgprs: 23
; ScratchSize: 0
; MemoryBound: 0
; FloatMode: 240
; IeeeMode: 1
; LDSByteSize: 0 bytes/workgroup (compile time only)
; SGPRBlocks: 4
; VGPRBlocks: 2
; NumSGPRsForWavesPerEU: 36
; NumVGPRsForWavesPerEU: 23
; AccumOffset: 24
; Occupancy: 8
; WaveLimiterHint : 0
; COMPUTE_PGM_RSRC2:SCRATCH_EN: 0
; COMPUTE_PGM_RSRC2:USER_SGPR: 6
; COMPUTE_PGM_RSRC2:TRAP_HANDLER: 0
; COMPUTE_PGM_RSRC2:TGID_X_EN: 1
; COMPUTE_PGM_RSRC2:TGID_Y_EN: 1
; COMPUTE_PGM_RSRC2:TGID_Z_EN: 0
; COMPUTE_PGM_RSRC2:TIDIG_COMP_CNT: 0
; COMPUTE_PGM_RSRC3_GFX90A:ACCUM_OFFSET: 5
; COMPUTE_PGM_RSRC3_GFX90A:TG_SPLIT: 0
	.section	.text._ZN5aiter35fused_qk_rmsnorm_group_quant_kernelIDF16_DB8_Li64ELi8ELi8ELb0ELb1ELb0ELb1ELb0ELb0EEEvPT0_PvPT_S6_S6_PKS5_S8_S8_S8_S8_ffiiiiiiiiiiiii,"axG",@progbits,_ZN5aiter35fused_qk_rmsnorm_group_quant_kernelIDF16_DB8_Li64ELi8ELi8ELb0ELb1ELb0ELb1ELb0ELb0EEEvPT0_PvPT_S6_S6_PKS5_S8_S8_S8_S8_ffiiiiiiiiiiiii,comdat
	.protected	_ZN5aiter35fused_qk_rmsnorm_group_quant_kernelIDF16_DB8_Li64ELi8ELi8ELb0ELb1ELb0ELb1ELb0ELb0EEEvPT0_PvPT_S6_S6_PKS5_S8_S8_S8_S8_ffiiiiiiiiiiiii ; -- Begin function _ZN5aiter35fused_qk_rmsnorm_group_quant_kernelIDF16_DB8_Li64ELi8ELi8ELb0ELb1ELb0ELb1ELb0ELb0EEEvPT0_PvPT_S6_S6_PKS5_S8_S8_S8_S8_ffiiiiiiiiiiiii
	.globl	_ZN5aiter35fused_qk_rmsnorm_group_quant_kernelIDF16_DB8_Li64ELi8ELi8ELb0ELb1ELb0ELb1ELb0ELb0EEEvPT0_PvPT_S6_S6_PKS5_S8_S8_S8_S8_ffiiiiiiiiiiiii
	.p2align	8
	.type	_ZN5aiter35fused_qk_rmsnorm_group_quant_kernelIDF16_DB8_Li64ELi8ELi8ELb0ELb1ELb0ELb1ELb0ELb0EEEvPT0_PvPT_S6_S6_PKS5_S8_S8_S8_S8_ffiiiiiiiiiiiii,@function
_ZN5aiter35fused_qk_rmsnorm_group_quant_kernelIDF16_DB8_Li64ELi8ELi8ELb0ELb1ELb0ELb1ELb0ELb0EEEvPT0_PvPT_S6_S6_PKS5_S8_S8_S8_S8_ffiiiiiiiiiiiii: ; @_ZN5aiter35fused_qk_rmsnorm_group_quant_kernelIDF16_DB8_Li64ELi8ELi8ELb0ELb1ELb0ELb1ELb0ELb0EEEvPT0_PvPT_S6_S6_PKS5_S8_S8_S8_S8_ffiiiiiiiiiiiii
; %bb.0:
	s_load_dwordx4 s[12:15], s[4:5], 0x50
	s_waitcnt lgkmcnt(0)
	s_cmp_ge_i32 s6, s14
	s_cbranch_scc1 .LBB157_10
; %bb.1:
	s_load_dwordx2 s[24:25], s[4:5], 0x30
	s_load_dwordx2 s[8:9], s[4:5], 0x48
	s_load_dwordx4 s[16:19], s[4:5], 0x60
	s_cmp_lg_u32 s7, 0
	s_cselect_b64 s[10:11], -1, 0
	s_cmp_eq_u32 s7, 0
	s_cselect_b64 vcc, -1, 0
	s_and_b64 s[0:1], vcc, exec
	s_waitcnt lgkmcnt(0)
	s_cselect_b32 s7, s15, s16
	s_add_i32 s0, s7, 1
	s_lshr_b32 s1, s0, 31
	s_add_i32 s0, s0, s1
	s_lshl_b32 s0, s0, 1
	v_lshlrev_b32_e32 v1, 3, v0
	s_and_b32 s22, s0, -4
	v_cmp_gt_i32_e64 s[0:1], s7, v1
	v_mov_b32_e32 v10, 0
	v_mov_b32_e32 v2, 0
	;; [unrolled: 1-line block ×9, first 2 shown]
	s_and_saveexec_b64 s[2:3], s[0:1]
	s_cbranch_execz .LBB157_3
; %bb.2:
	s_load_dwordx2 s[14:15], s[4:5], 0x28
	s_load_dwordx2 s[20:21], s[4:5], 0x40
	s_and_b64 s[26:27], vcc, exec
	s_cselect_b32 s17, s17, s18
	v_lshlrev_b32_e32 v11, 4, v0
	s_waitcnt lgkmcnt(0)
	s_cselect_b32 s19, s15, s25
	s_cselect_b32 s23, s14, s24
	s_mul_hi_i32 s15, s17, s6
	s_mul_i32 s14, s17, s6
	s_lshl_b64 s[14:15], s[14:15], 1
	s_add_u32 s28, s23, s14
	s_addc_u32 s17, s19, s15
	s_and_b64 s[14:15], vcc, exec
	s_mov_b32 s23, 0x20000
	s_cselect_b32 s20, s20, s8
	s_cselect_b32 s14, s21, s9
	s_and_b32 s29, s17, 0xffff
	s_mov_b32 s30, s22
	s_mov_b32 s31, s23
	s_and_b32 s21, s14, 0xffff
	buffer_load_dwordx4 v[6:9], v11, s[28:31], 0 offen glc slc
	buffer_load_dwordx4 v[2:5], v11, s[20:23], 0 offen
.LBB157_3:
	s_or_b64 exec, exec, s[2:3]
	v_mov_b32_e32 v11, 0
	v_mov_b32_e32 v12, 0
	;; [unrolled: 1-line block ×7, first 2 shown]
	s_and_saveexec_b64 s[2:3], s[0:1]
	s_cbranch_execz .LBB157_5
; %bb.4:
	s_waitcnt vmcnt(1)
	v_cvt_f32_f16_sdwa v11, v6 dst_sel:DWORD dst_unused:UNUSED_PAD src0_sel:WORD_1
	v_cvt_f32_f16_e32 v10, v6
	v_cvt_f32_f16_sdwa v13, v7 dst_sel:DWORD dst_unused:UNUSED_PAD src0_sel:WORD_1
	v_cvt_f32_f16_e32 v12, v7
	;; [unrolled: 2-line block ×4, first 2 shown]
.LBB157_5:
	s_or_b64 exec, exec, s[2:3]
	s_waitcnt vmcnt(1)
	v_mul_f32_e32 v6, v11, v11
	v_fmac_f32_e32 v6, v10, v10
	v_fmac_f32_e32 v6, v12, v12
	;; [unrolled: 1-line block ×7, first 2 shown]
	v_bfrev_b32_e32 v8, 0.5
	s_load_dwordx2 s[2:3], s[4:5], 0x18
	v_mov_b32_dpp v7, v6 quad_perm:[1,0,3,2] row_mask:0xf bank_mask:0xf
	v_add_f32_e32 v6, v6, v7
	s_nop 1
	v_mov_b32_dpp v7, v6 quad_perm:[2,3,0,1] row_mask:0xf bank_mask:0xf
	v_add_f32_e32 v6, v6, v7
	s_nop 1
	v_mov_b32_dpp v7, v6 row_half_mirror row_mask:0xf bank_mask:0xf
	v_add_f32_e32 v6, v6, v7
	s_nop 1
	v_mov_b32_dpp v7, v6 row_mirror row_mask:0xf bank_mask:0xf
	v_add_f32_e32 v6, v6, v7
	s_nop 1
	v_mov_b32_dpp v7, v6 row_bcast:15 row_mask:0xf bank_mask:0xf
	v_add_f32_e32 v6, v6, v7
	s_nop 1
	v_mov_b32_dpp v7, v6 row_bcast:31 row_mask:0xf bank_mask:0xf
	v_add_f32_e32 v6, v6, v7
	v_mbcnt_lo_u32_b32 v7, -1, 0
	v_mbcnt_hi_u32_b32 v7, -1, v7
	v_lshl_or_b32 v18, v7, 2, v8
	ds_bpermute_b32 v6, v18, v6
	s_and_saveexec_b64 s[14:15], s[0:1]
	s_cbranch_execz .LBB157_7
; %bb.6:
	v_cvt_f32_u32_e32 v7, s7
	v_mov_b32_e32 v8, s13
	v_mov_b32_e32 v9, s12
	v_cndmask_b32_e32 v8, v8, v9, vcc
	s_waitcnt lgkmcnt(0)
	v_div_scale_f32 v19, s[20:21], v7, v7, v6
	v_rcp_f32_e32 v20, v19
	v_div_scale_f32 v9, vcc, v6, v7, v6
	s_mov_b32 s7, 0x800000
	v_fma_f32 v21, -v19, v20, 1.0
	v_fmac_f32_e32 v20, v21, v20
	v_mul_f32_e32 v21, v9, v20
	v_fma_f32 v22, -v19, v21, v9
	v_fmac_f32_e32 v21, v22, v20
	v_fma_f32 v9, -v19, v21, v9
	v_div_fmas_f32 v9, v9, v20, v21
	v_div_fixup_f32 v6, v9, v7, v6
	v_add_f32_e32 v6, v8, v6
	v_mul_f32_e32 v7, 0x4b800000, v6
	v_cmp_gt_f32_e32 vcc, s7, v6
	v_cndmask_b32_e32 v6, v6, v7, vcc
	v_rsq_f32_e32 v6, v6
	s_waitcnt vmcnt(0)
	v_cvt_f32_f16_sdwa v21, v5 dst_sel:DWORD dst_unused:UNUSED_PAD src0_sel:WORD_1
	v_cvt_f32_f16_e32 v20, v5
	v_mul_f32_e32 v7, 0x45800000, v6
	v_cndmask_b32_e32 v6, v6, v7, vcc
	v_mov_b32_e32 v7, v6
	;;#ASMSTART
	v_pk_mul_f32 v[8:9], v[10:11], v[6:7]
	;;#ASMEND
	;;#ASMSTART
	v_pk_mul_f32 v[12:13], v[12:13], v[6:7]
	;;#ASMEND
	;; [unrolled: 3-line block ×4, first 2 shown]
	v_cvt_f32_f16_sdwa v11, v2 dst_sel:DWORD dst_unused:UNUSED_PAD src0_sel:WORD_1
	v_cvt_f32_f16_e32 v10, v2
	v_cvt_f32_f16_sdwa v17, v3 dst_sel:DWORD dst_unused:UNUSED_PAD src0_sel:WORD_1
	v_cvt_f32_f16_e32 v16, v3
	;; [unrolled: 2-line block ×3, first 2 shown]
	;;#ASMSTART
	v_pk_mul_f32 v[10:11], v[8:9], v[10:11]
	;;#ASMEND
	;;#ASMSTART
	v_pk_mul_f32 v[12:13], v[12:13], v[16:17]
	;;#ASMEND
	;; [unrolled: 3-line block ×4, first 2 shown]
.LBB157_7:
	s_or_b64 exec, exec, s[14:15]
	s_load_dwordx2 s[14:15], s[4:5], 0x7c
	s_mov_b64 s[20:21], -1
	s_and_b64 vcc, exec, s[10:11]
	s_cbranch_vccnz .LBB157_11
; %bb.8:
	s_andn2_b64 vcc, exec, s[20:21]
	s_cbranch_vccz .LBB157_14
.LBB157_9:
	s_cmp_lt_i32 s16, 1
	s_cbranch_scc0 .LBB157_17
.LBB157_10:
	s_endpgm
.LBB157_11:
	s_and_saveexec_b64 s[10:11], s[0:1]
	s_cbranch_execz .LBB157_13
; %bb.12:
	s_waitcnt lgkmcnt(0)
	s_mul_hi_i32 s21, s15, s6
	s_mul_i32 s20, s15, s6
	s_waitcnt vmcnt(0)
	v_cvt_f16_f32_e32 v2, v10
	v_cvt_f16_f32_e32 v3, v12
	;; [unrolled: 1-line block ×8, first 2 shown]
	s_lshl_b64 s[20:21], s[20:21], 1
	s_add_u32 s20, s2, s20
	s_addc_u32 s7, s3, s21
	s_and_b32 s21, s7, 0xffff
	s_mov_b32 s23, 0x20000
	v_pack_b32_f16 v5, v5, v6
	v_pack_b32_f16 v4, v4, v7
	;; [unrolled: 1-line block ×4, first 2 shown]
	v_lshlrev_b32_e32 v6, 4, v0
	buffer_store_dwordx4 v[2:5], v6, s[20:23], 0 offen
	;;#ASMSTART
	s_nop 0
	;;#ASMEND
.LBB157_13:
	s_or_b64 exec, exec, s[10:11]
	s_cbranch_execnz .LBB157_9
.LBB157_14:
	s_and_saveexec_b64 s[10:11], s[0:1]
	s_cbranch_execz .LBB157_16
; %bb.15:
	s_load_dwordx2 s[0:1], s[4:5], 0x10
	s_waitcnt lgkmcnt(0)
	s_mul_hi_i32 s21, s14, s6
	s_mul_i32 s20, s14, s6
	s_waitcnt vmcnt(0)
	v_cvt_f16_f32_e32 v2, v10
	v_cvt_f16_f32_e32 v3, v12
	;; [unrolled: 1-line block ×8, first 2 shown]
	s_lshl_b64 s[20:21], s[20:21], 1
	s_add_u32 s20, s0, s20
	s_addc_u32 s0, s1, s21
	s_mov_b32 s23, 0x20000
	s_and_b32 s21, s0, 0xffff
	v_pack_b32_f16 v5, v5, v6
	v_pack_b32_f16 v4, v4, v7
	;; [unrolled: 1-line block ×4, first 2 shown]
	v_lshlrev_b32_e32 v6, 4, v0
	buffer_store_dwordx4 v[2:5], v6, s[20:23], 0 offen
	;;#ASMSTART
	s_nop 0
	;;#ASMEND
.LBB157_16:
	s_or_b64 exec, exec, s[10:11]
	s_cmp_lt_i32 s16, 1
	s_cbranch_scc1 .LBB157_10
.LBB157_17:
	s_load_dword s0, s[4:5], 0x94
	s_waitcnt lgkmcnt(0)
	s_cmp_lg_u32 s0, 1
	s_cbranch_scc1 .LBB157_10
; %bb.18:
	s_lshl_b32 s0, s16, 1
	s_add_i32 s0, s0, 2
	v_cmp_gt_u32_e32 vcc, s16, v1
	s_and_b32 s10, s0, -4
	v_mov_b32_e32 v8, 0
	v_lshlrev_b32_e32 v16, 4, v0
	s_waitcnt vmcnt(0)
	v_mov_b32_e32 v4, 0
	v_mov_b32_e32 v5, 0
	;; [unrolled: 1-line block ×8, first 2 shown]
	s_barrier
	s_and_saveexec_b64 s[0:1], vcc
	s_cbranch_execz .LBB157_20
; %bb.19:
	s_mul_hi_i32 s5, s18, s6
	s_mul_i32 s4, s18, s6
	s_and_b32 s9, s9, 0xffff
	s_lshl_b64 s[4:5], s[4:5], 1
	s_add_u32 s20, s24, s4
	s_mov_b32 s11, 0x20000
	s_addc_u32 s4, s25, s5
	s_and_b32 s21, s4, 0xffff
	s_mov_b32 s22, s10
	s_mov_b32 s23, s11
	buffer_load_dwordx4 v[4:7], v16, s[20:23], 0 offen glc slc
	buffer_load_dwordx4 v[0:3], v16, s[8:11], 0 offen
.LBB157_20:
	s_or_b64 exec, exec, s[0:1]
	v_mov_b32_e32 v9, 0
	v_mov_b32_e32 v14, 0
	;; [unrolled: 1-line block ×7, first 2 shown]
	s_and_saveexec_b64 s[0:1], vcc
	s_cbranch_execz .LBB157_22
; %bb.21:
	s_waitcnt vmcnt(1)
	v_cvt_f32_f16_sdwa v9, v4 dst_sel:DWORD dst_unused:UNUSED_PAD src0_sel:WORD_1
	v_cvt_f32_f16_e32 v8, v4
	v_cvt_f32_f16_sdwa v15, v5 dst_sel:DWORD dst_unused:UNUSED_PAD src0_sel:WORD_1
	v_cvt_f32_f16_e32 v14, v5
	;; [unrolled: 2-line block ×4, first 2 shown]
.LBB157_22:
	s_or_b64 exec, exec, s[0:1]
	s_waitcnt vmcnt(1)
	v_mul_f32_e32 v4, v9, v9
	v_fmac_f32_e32 v4, v8, v8
	v_fmac_f32_e32 v4, v14, v14
	;; [unrolled: 1-line block ×7, first 2 shown]
	s_nop 1
	v_mov_b32_dpp v5, v4 quad_perm:[1,0,3,2] row_mask:0xf bank_mask:0xf
	v_add_f32_e32 v4, v4, v5
	s_nop 1
	v_mov_b32_dpp v5, v4 quad_perm:[2,3,0,1] row_mask:0xf bank_mask:0xf
	v_add_f32_e32 v4, v4, v5
	s_nop 1
	v_mov_b32_dpp v5, v4 row_half_mirror row_mask:0xf bank_mask:0xf
	v_add_f32_e32 v4, v4, v5
	s_nop 1
	v_mov_b32_dpp v5, v4 row_mirror row_mask:0xf bank_mask:0xf
	v_add_f32_e32 v4, v4, v5
	s_nop 1
	v_mov_b32_dpp v5, v4 row_bcast:15 row_mask:0xf bank_mask:0xf
	v_add_f32_e32 v4, v4, v5
	s_nop 1
	v_mov_b32_dpp v5, v4 row_bcast:31 row_mask:0xf bank_mask:0xf
	v_add_f32_e32 v4, v4, v5
	ds_bpermute_b32 v4, v18, v4
	s_and_saveexec_b64 s[0:1], vcc
	s_cbranch_execz .LBB157_10
; %bb.23:
	v_cvt_f32_u32_e32 v5, s16
	s_mov_b32 s11, 0x20000
	s_waitcnt lgkmcnt(0)
	v_div_scale_f32 v6, s[0:1], v5, v5, v4
	v_rcp_f32_e32 v7, v6
	v_div_scale_f32 v17, vcc, v4, v5, v4
	s_mov_b32 s0, 0x800000
	v_fma_f32 v18, -v6, v7, 1.0
	v_fmac_f32_e32 v7, v18, v7
	v_mul_f32_e32 v18, v17, v7
	v_fma_f32 v19, -v6, v18, v17
	v_fmac_f32_e32 v18, v19, v7
	v_fma_f32 v6, -v6, v18, v17
	v_div_fmas_f32 v6, v6, v7, v18
	v_div_fixup_f32 v4, v6, v5, v4
	v_add_f32_e32 v4, s13, v4
	v_mul_f32_e32 v5, 0x4b800000, v4
	v_cmp_gt_f32_e32 vcc, s0, v4
	v_cndmask_b32_e32 v4, v4, v5, vcc
	v_rsq_f32_e32 v4, v4
	s_waitcnt vmcnt(0)
	v_cvt_f32_f16_sdwa v19, v3 dst_sel:DWORD dst_unused:UNUSED_PAD src0_sel:WORD_1
	v_cvt_f32_f16_e32 v18, v3
	s_mul_hi_i32 s1, s15, s6
	v_mul_f32_e32 v5, 0x45800000, v4
	v_cndmask_b32_e32 v4, v4, v5, vcc
	v_mov_b32_e32 v5, v4
	;;#ASMSTART
	v_pk_mul_f32 v[6:7], v[8:9], v[4:5]
	;;#ASMEND
	;;#ASMSTART
	v_pk_mul_f32 v[8:9], v[14:15], v[4:5]
	;;#ASMEND
	;; [unrolled: 3-line block ×4, first 2 shown]
	v_cvt_f32_f16_sdwa v11, v0 dst_sel:DWORD dst_unused:UNUSED_PAD src0_sel:WORD_1
	v_cvt_f32_f16_e32 v10, v0
	v_cvt_f32_f16_sdwa v15, v1 dst_sel:DWORD dst_unused:UNUSED_PAD src0_sel:WORD_1
	v_cvt_f32_f16_e32 v14, v1
	;; [unrolled: 2-line block ×3, first 2 shown]
	;;#ASMSTART
	v_pk_mul_f32 v[2:3], v[6:7], v[10:11]
	;;#ASMEND
	;;#ASMSTART
	v_pk_mul_f32 v[6:7], v[8:9], v[14:15]
	;;#ASMEND
	;; [unrolled: 3-line block ×4, first 2 shown]
	s_mul_i32 s0, s15, s6
	v_cvt_f16_f32_e32 v2, v2
	v_cvt_f16_f32_e32 v3, v3
	;; [unrolled: 1-line block ×8, first 2 shown]
	s_lshl_b64 s[0:1], s[0:1], 1
	s_add_u32 s8, s2, s0
	s_addc_u32 s0, s3, s1
	s_and_b32 s9, s0, 0xffff
	v_pack_b32_f16 v0, v2, v3
	v_pack_b32_f16 v1, v6, v7
	v_pack_b32_f16 v2, v8, v9
	v_pack_b32_f16 v3, v4, v5
	buffer_store_dwordx4 v[0:3], v16, s[8:11], 0 offen
	;;#ASMSTART
	s_nop 0
	;;#ASMEND
	s_endpgm
	.section	.rodata,"a",@progbits
	.p2align	6, 0x0
	.amdhsa_kernel _ZN5aiter35fused_qk_rmsnorm_group_quant_kernelIDF16_DB8_Li64ELi8ELi8ELb0ELb1ELb0ELb1ELb0ELb0EEEvPT0_PvPT_S6_S6_PKS5_S8_S8_S8_S8_ffiiiiiiiiiiiii
		.amdhsa_group_segment_fixed_size 0
		.amdhsa_private_segment_fixed_size 0
		.amdhsa_kernarg_size 400
		.amdhsa_user_sgpr_count 6
		.amdhsa_user_sgpr_private_segment_buffer 1
		.amdhsa_user_sgpr_dispatch_ptr 0
		.amdhsa_user_sgpr_queue_ptr 0
		.amdhsa_user_sgpr_kernarg_segment_ptr 1
		.amdhsa_user_sgpr_dispatch_id 0
		.amdhsa_user_sgpr_flat_scratch_init 0
		.amdhsa_user_sgpr_kernarg_preload_length 0
		.amdhsa_user_sgpr_kernarg_preload_offset 0
		.amdhsa_user_sgpr_private_segment_size 0
		.amdhsa_uses_dynamic_stack 0
		.amdhsa_system_sgpr_private_segment_wavefront_offset 0
		.amdhsa_system_sgpr_workgroup_id_x 1
		.amdhsa_system_sgpr_workgroup_id_y 1
		.amdhsa_system_sgpr_workgroup_id_z 0
		.amdhsa_system_sgpr_workgroup_info 0
		.amdhsa_system_vgpr_workitem_id 0
		.amdhsa_next_free_vgpr 23
		.amdhsa_next_free_sgpr 32
		.amdhsa_accum_offset 24
		.amdhsa_reserve_vcc 1
		.amdhsa_reserve_flat_scratch 0
		.amdhsa_float_round_mode_32 0
		.amdhsa_float_round_mode_16_64 0
		.amdhsa_float_denorm_mode_32 3
		.amdhsa_float_denorm_mode_16_64 3
		.amdhsa_dx10_clamp 1
		.amdhsa_ieee_mode 1
		.amdhsa_fp16_overflow 0
		.amdhsa_tg_split 0
		.amdhsa_exception_fp_ieee_invalid_op 0
		.amdhsa_exception_fp_denorm_src 0
		.amdhsa_exception_fp_ieee_div_zero 0
		.amdhsa_exception_fp_ieee_overflow 0
		.amdhsa_exception_fp_ieee_underflow 0
		.amdhsa_exception_fp_ieee_inexact 0
		.amdhsa_exception_int_div_zero 0
	.end_amdhsa_kernel
	.section	.text._ZN5aiter35fused_qk_rmsnorm_group_quant_kernelIDF16_DB8_Li64ELi8ELi8ELb0ELb1ELb0ELb1ELb0ELb0EEEvPT0_PvPT_S6_S6_PKS5_S8_S8_S8_S8_ffiiiiiiiiiiiii,"axG",@progbits,_ZN5aiter35fused_qk_rmsnorm_group_quant_kernelIDF16_DB8_Li64ELi8ELi8ELb0ELb1ELb0ELb1ELb0ELb0EEEvPT0_PvPT_S6_S6_PKS5_S8_S8_S8_S8_ffiiiiiiiiiiiii,comdat
.Lfunc_end157:
	.size	_ZN5aiter35fused_qk_rmsnorm_group_quant_kernelIDF16_DB8_Li64ELi8ELi8ELb0ELb1ELb0ELb1ELb0ELb0EEEvPT0_PvPT_S6_S6_PKS5_S8_S8_S8_S8_ffiiiiiiiiiiiii, .Lfunc_end157-_ZN5aiter35fused_qk_rmsnorm_group_quant_kernelIDF16_DB8_Li64ELi8ELi8ELb0ELb1ELb0ELb1ELb0ELb0EEEvPT0_PvPT_S6_S6_PKS5_S8_S8_S8_S8_ffiiiiiiiiiiiii
                                        ; -- End function
	.section	.AMDGPU.csdata,"",@progbits
; Kernel info:
; codeLenInByte = 1912
; NumSgprs: 36
; NumVgprs: 23
; NumAgprs: 0
; TotalNumVgprs: 23
; ScratchSize: 0
; MemoryBound: 0
; FloatMode: 240
; IeeeMode: 1
; LDSByteSize: 0 bytes/workgroup (compile time only)
; SGPRBlocks: 4
; VGPRBlocks: 2
; NumSGPRsForWavesPerEU: 36
; NumVGPRsForWavesPerEU: 23
; AccumOffset: 24
; Occupancy: 8
; WaveLimiterHint : 0
; COMPUTE_PGM_RSRC2:SCRATCH_EN: 0
; COMPUTE_PGM_RSRC2:USER_SGPR: 6
; COMPUTE_PGM_RSRC2:TRAP_HANDLER: 0
; COMPUTE_PGM_RSRC2:TGID_X_EN: 1
; COMPUTE_PGM_RSRC2:TGID_Y_EN: 1
; COMPUTE_PGM_RSRC2:TGID_Z_EN: 0
; COMPUTE_PGM_RSRC2:TIDIG_COMP_CNT: 0
; COMPUTE_PGM_RSRC3_GFX90A:ACCUM_OFFSET: 5
; COMPUTE_PGM_RSRC3_GFX90A:TG_SPLIT: 0
	.section	.text._ZN5aiter35fused_qk_rmsnorm_group_quant_kernelItDB8_Li64ELi8ELi8ELb0ELb1ELb0ELb1ELb0ELb0EEEvPT0_PvPT_S6_S6_PKS5_S8_S8_S8_S8_ffiiiiiiiiiiiii,"axG",@progbits,_ZN5aiter35fused_qk_rmsnorm_group_quant_kernelItDB8_Li64ELi8ELi8ELb0ELb1ELb0ELb1ELb0ELb0EEEvPT0_PvPT_S6_S6_PKS5_S8_S8_S8_S8_ffiiiiiiiiiiiii,comdat
	.protected	_ZN5aiter35fused_qk_rmsnorm_group_quant_kernelItDB8_Li64ELi8ELi8ELb0ELb1ELb0ELb1ELb0ELb0EEEvPT0_PvPT_S6_S6_PKS5_S8_S8_S8_S8_ffiiiiiiiiiiiii ; -- Begin function _ZN5aiter35fused_qk_rmsnorm_group_quant_kernelItDB8_Li64ELi8ELi8ELb0ELb1ELb0ELb1ELb0ELb0EEEvPT0_PvPT_S6_S6_PKS5_S8_S8_S8_S8_ffiiiiiiiiiiiii
	.globl	_ZN5aiter35fused_qk_rmsnorm_group_quant_kernelItDB8_Li64ELi8ELi8ELb0ELb1ELb0ELb1ELb0ELb0EEEvPT0_PvPT_S6_S6_PKS5_S8_S8_S8_S8_ffiiiiiiiiiiiii
	.p2align	8
	.type	_ZN5aiter35fused_qk_rmsnorm_group_quant_kernelItDB8_Li64ELi8ELi8ELb0ELb1ELb0ELb1ELb0ELb0EEEvPT0_PvPT_S6_S6_PKS5_S8_S8_S8_S8_ffiiiiiiiiiiiii,@function
_ZN5aiter35fused_qk_rmsnorm_group_quant_kernelItDB8_Li64ELi8ELi8ELb0ELb1ELb0ELb1ELb0ELb0EEEvPT0_PvPT_S6_S6_PKS5_S8_S8_S8_S8_ffiiiiiiiiiiiii: ; @_ZN5aiter35fused_qk_rmsnorm_group_quant_kernelItDB8_Li64ELi8ELi8ELb0ELb1ELb0ELb1ELb0ELb0EEEvPT0_PvPT_S6_S6_PKS5_S8_S8_S8_S8_ffiiiiiiiiiiiii
; %bb.0:
	s_load_dwordx4 s[12:15], s[4:5], 0x50
	s_waitcnt lgkmcnt(0)
	s_cmp_ge_i32 s6, s14
	s_cbranch_scc1 .LBB158_8
; %bb.1:
	s_load_dwordx2 s[24:25], s[4:5], 0x30
	s_load_dwordx2 s[8:9], s[4:5], 0x48
	s_load_dwordx4 s[16:19], s[4:5], 0x60
	s_cmp_lg_u32 s7, 0
	s_cselect_b64 s[10:11], -1, 0
	s_cmp_eq_u32 s7, 0
	s_cselect_b64 vcc, -1, 0
	s_and_b64 s[0:1], vcc, exec
	s_waitcnt lgkmcnt(0)
	s_cselect_b32 s7, s15, s16
	s_add_i32 s0, s7, 1
	s_lshr_b32 s1, s0, 31
	s_add_i32 s0, s0, s1
	s_lshl_b32 s0, s0, 1
	v_lshlrev_b32_e32 v1, 3, v0
	s_and_b32 s22, s0, -4
	v_cmp_gt_i32_e64 s[0:1], s7, v1
	v_mov_b32_e32 v2, 0
	v_mov_b32_e32 v3, 0
	;; [unrolled: 1-line block ×8, first 2 shown]
	s_and_saveexec_b64 s[2:3], s[0:1]
	s_cbranch_execz .LBB158_3
; %bb.2:
	s_load_dwordx2 s[14:15], s[4:5], 0x28
	s_load_dwordx2 s[20:21], s[4:5], 0x40
	s_and_b64 s[26:27], vcc, exec
	s_cselect_b32 s17, s17, s18
	v_lshlrev_b32_e32 v10, 4, v0
	s_waitcnt lgkmcnt(0)
	s_cselect_b32 s19, s15, s25
	s_cselect_b32 s23, s14, s24
	s_mul_hi_i32 s15, s17, s6
	s_mul_i32 s14, s17, s6
	s_lshl_b64 s[14:15], s[14:15], 1
	s_add_u32 s28, s23, s14
	s_addc_u32 s17, s19, s15
	s_and_b64 s[14:15], vcc, exec
	s_mov_b32 s23, 0x20000
	s_cselect_b32 s20, s20, s8
	s_cselect_b32 s14, s21, s9
	s_and_b32 s29, s17, 0xffff
	s_mov_b32 s30, s22
	s_mov_b32 s31, s23
	s_and_b32 s21, s14, 0xffff
	buffer_load_dwordx4 v[6:9], v10, s[28:31], 0 offen glc slc
	buffer_load_dwordx4 v[2:5], v10, s[20:23], 0 offen
.LBB158_3:
	s_or_b64 exec, exec, s[2:3]
	s_waitcnt vmcnt(1)
	v_cvt_f32_u32_sdwa v13, v6 dst_sel:DWORD dst_unused:UNUSED_PAD src0_sel:WORD_1
	v_cvt_f32_u32_sdwa v12, v6 dst_sel:DWORD dst_unused:UNUSED_PAD src0_sel:WORD_0
	v_cvt_f32_u32_sdwa v6, v9 dst_sel:DWORD dst_unused:UNUSED_PAD src0_sel:WORD_1
	v_cvt_f32_u32_sdwa v9, v9 dst_sel:DWORD dst_unused:UNUSED_PAD src0_sel:WORD_0
	;; [unrolled: 2-line block ×4, first 2 shown]
	v_cndmask_b32_e64 v13, 0, v13, s[0:1]
	v_cndmask_b32_e64 v7, 0, v6, s[0:1]
	v_cndmask_b32_e64 v6, 0, v9, s[0:1]
	v_cndmask_b32_e64 v9, 0, v14, s[0:1]
	v_cndmask_b32_e64 v12, 0, v12, s[0:1]
	v_mul_f32_e32 v14, v13, v13
	v_cndmask_b32_e64 v10, 0, v10, s[0:1]
	v_fmac_f32_e32 v14, v12, v12
	v_cndmask_b32_e64 v11, 0, v11, s[0:1]
	v_fmac_f32_e32 v14, v10, v10
	;; [unrolled: 2-line block ×3, first 2 shown]
	v_fmac_f32_e32 v14, v8, v8
	v_fmac_f32_e32 v14, v9, v9
	v_fmac_f32_e32 v14, v6, v6
	v_fmac_f32_e32 v14, v7, v7
	v_bfrev_b32_e32 v16, 0.5
	s_load_dwordx2 s[2:3], s[4:5], 0x18
	v_mov_b32_dpp v15, v14 quad_perm:[1,0,3,2] row_mask:0xf bank_mask:0xf
	v_add_f32_e32 v14, v14, v15
	s_nop 1
	v_mov_b32_dpp v15, v14 quad_perm:[2,3,0,1] row_mask:0xf bank_mask:0xf
	v_add_f32_e32 v14, v14, v15
	s_nop 1
	v_mov_b32_dpp v15, v14 row_half_mirror row_mask:0xf bank_mask:0xf
	v_add_f32_e32 v14, v14, v15
	s_nop 1
	v_mov_b32_dpp v15, v14 row_mirror row_mask:0xf bank_mask:0xf
	v_add_f32_e32 v14, v14, v15
	s_nop 1
	v_mov_b32_dpp v15, v14 row_bcast:15 row_mask:0xf bank_mask:0xf
	v_add_f32_e32 v14, v14, v15
	s_nop 1
	v_mov_b32_dpp v15, v14 row_bcast:31 row_mask:0xf bank_mask:0xf
	v_add_f32_e32 v15, v14, v15
	v_mbcnt_lo_u32_b32 v14, -1, 0
	v_mbcnt_hi_u32_b32 v14, -1, v14
	v_lshl_or_b32 v14, v14, 2, v16
	ds_bpermute_b32 v15, v14, v15
	s_and_saveexec_b64 s[14:15], s[0:1]
	s_cbranch_execz .LBB158_5
; %bb.4:
	v_cvt_f32_u32_e32 v16, s7
	v_mov_b32_e32 v17, s13
	v_mov_b32_e32 v18, s12
	v_cndmask_b32_e32 v17, v17, v18, vcc
	s_waitcnt lgkmcnt(0)
	v_div_scale_f32 v19, s[20:21], v16, v16, v15
	v_rcp_f32_e32 v20, v19
	v_div_scale_f32 v18, vcc, v15, v16, v15
	s_mov_b32 s7, 0x800000
	v_fma_f32 v21, -v19, v20, 1.0
	v_fmac_f32_e32 v20, v21, v20
	v_mul_f32_e32 v21, v18, v20
	v_fma_f32 v22, -v19, v21, v18
	v_fmac_f32_e32 v21, v22, v20
	v_fma_f32 v18, -v19, v21, v18
	v_div_fmas_f32 v18, v18, v20, v21
	v_div_fixup_f32 v15, v18, v16, v15
	v_add_f32_e32 v15, v17, v15
	v_mul_f32_e32 v16, 0x4b800000, v15
	v_cmp_gt_f32_e32 vcc, s7, v15
	v_cndmask_b32_e32 v15, v15, v16, vcc
	v_rsq_f32_e32 v15, v15
	s_waitcnt vmcnt(0)
	v_cvt_f32_u32_sdwa v19, v3 dst_sel:DWORD dst_unused:UNUSED_PAD src0_sel:WORD_1
	v_cvt_f32_u32_sdwa v18, v3 dst_sel:DWORD dst_unused:UNUSED_PAD src0_sel:WORD_0
	v_cvt_f32_u32_sdwa v3, v4 dst_sel:DWORD dst_unused:UNUSED_PAD src0_sel:WORD_1
	v_mul_f32_e32 v16, 0x45800000, v15
	v_cndmask_b32_e32 v16, v15, v16, vcc
	v_mov_b32_e32 v17, v16
	;;#ASMSTART
	v_pk_mul_f32 v[12:13], v[12:13], v[16:17]
	;;#ASMEND
	;;#ASMSTART
	v_pk_mul_f32 v[10:11], v[10:11], v[16:17]
	;;#ASMEND
	;;#ASMSTART
	v_pk_mul_f32 v[8:9], v[8:9], v[16:17]
	;;#ASMEND
	;;#ASMSTART
	v_pk_mul_f32 v[6:7], v[6:7], v[16:17]
	;;#ASMEND
	v_cvt_f32_u32_sdwa v17, v2 dst_sel:DWORD dst_unused:UNUSED_PAD src0_sel:WORD_1
	v_cvt_f32_u32_sdwa v16, v2 dst_sel:DWORD dst_unused:UNUSED_PAD src0_sel:WORD_0
	v_cvt_f32_u32_sdwa v2, v4 dst_sel:DWORD dst_unused:UNUSED_PAD src0_sel:WORD_0
	v_cvt_f32_u32_sdwa v21, v5 dst_sel:DWORD dst_unused:UNUSED_PAD src0_sel:WORD_1
	v_cvt_f32_u32_sdwa v20, v5 dst_sel:DWORD dst_unused:UNUSED_PAD src0_sel:WORD_0
	;;#ASMSTART
	v_pk_mul_f32 v[12:13], v[12:13], v[16:17]
	;;#ASMEND
	;;#ASMSTART
	v_pk_mul_f32 v[10:11], v[10:11], v[18:19]
	;;#ASMEND
	;; [unrolled: 3-line block ×4, first 2 shown]
.LBB158_5:
	s_or_b64 exec, exec, s[14:15]
	s_load_dwordx2 s[14:15], s[4:5], 0x7c
	s_mov_b64 s[20:21], -1
	s_and_b64 vcc, exec, s[10:11]
	s_cbranch_vccnz .LBB158_9
; %bb.6:
	s_andn2_b64 vcc, exec, s[20:21]
	s_cbranch_vccz .LBB158_12
.LBB158_7:
	s_cmp_lt_i32 s16, 1
	s_cbranch_scc0 .LBB158_15
.LBB158_8:
	s_endpgm
.LBB158_9:
	s_and_saveexec_b64 s[10:11], s[0:1]
	s_cbranch_execz .LBB158_11
; %bb.10:
	s_waitcnt lgkmcnt(0)
	s_mul_hi_i32 s21, s15, s6
	s_mul_i32 s20, s15, s6
	s_lshl_b64 s[20:21], s[20:21], 1
	s_add_u32 s20, s2, s20
	s_addc_u32 s7, s3, s21
	s_and_b32 s21, s7, 0xffff
	s_mov_b32 s7, 0x7060302
	s_mov_b32 s23, 0x20000
	s_waitcnt vmcnt(0)
	v_perm_b32 v2, v13, v12, s7
	v_perm_b32 v3, v11, v10, s7
	;; [unrolled: 1-line block ×4, first 2 shown]
	v_lshlrev_b32_e32 v15, 4, v0
	buffer_store_dwordx4 v[2:5], v15, s[20:23], 0 offen
	;;#ASMSTART
	s_nop 0
	;;#ASMEND
.LBB158_11:
	s_or_b64 exec, exec, s[10:11]
	s_cbranch_execnz .LBB158_7
.LBB158_12:
	s_and_saveexec_b64 s[10:11], s[0:1]
	s_cbranch_execz .LBB158_14
; %bb.13:
	s_load_dwordx2 s[0:1], s[4:5], 0x10
	s_waitcnt lgkmcnt(0)
	s_mul_hi_i32 s21, s14, s6
	s_mul_i32 s20, s14, s6
	s_lshl_b64 s[20:21], s[20:21], 1
	s_mov_b32 s23, 0x20000
	s_add_u32 s20, s0, s20
	s_addc_u32 s0, s1, s21
	s_and_b32 s21, s0, 0xffff
	s_mov_b32 s0, 0x7060302
	s_waitcnt vmcnt(0)
	v_perm_b32 v2, v13, v12, s0
	v_perm_b32 v3, v11, v10, s0
	;; [unrolled: 1-line block ×4, first 2 shown]
	v_lshlrev_b32_e32 v6, 4, v0
	buffer_store_dwordx4 v[2:5], v6, s[20:23], 0 offen
	;;#ASMSTART
	s_nop 0
	;;#ASMEND
.LBB158_14:
	s_or_b64 exec, exec, s[10:11]
	s_cmp_lt_i32 s16, 1
	s_cbranch_scc1 .LBB158_8
.LBB158_15:
	s_load_dword s0, s[4:5], 0x94
	s_waitcnt lgkmcnt(0)
	s_cmp_lg_u32 s0, 1
	s_cbranch_scc1 .LBB158_8
; %bb.16:
	s_lshl_b32 s0, s16, 1
	s_add_i32 s0, s0, 2
	v_cmp_gt_u32_e32 vcc, s16, v1
	s_and_b32 s10, s0, -4
	s_waitcnt vmcnt(0)
	v_mov_b32_e32 v4, 0
	v_lshlrev_b32_e32 v12, 4, v0
	v_mov_b32_e32 v5, 0
	v_mov_b32_e32 v6, 0
	;; [unrolled: 1-line block ×7, first 2 shown]
	s_barrier
	s_and_saveexec_b64 s[0:1], vcc
	s_cbranch_execz .LBB158_18
; %bb.17:
	s_mul_hi_i32 s5, s18, s6
	s_mul_i32 s4, s18, s6
	s_and_b32 s9, s9, 0xffff
	s_lshl_b64 s[4:5], s[4:5], 1
	s_add_u32 s20, s24, s4
	s_mov_b32 s11, 0x20000
	s_addc_u32 s4, s25, s5
	s_and_b32 s21, s4, 0xffff
	s_mov_b32 s22, s10
	s_mov_b32 s23, s11
	buffer_load_dwordx4 v[4:7], v12, s[20:23], 0 offen glc slc
	buffer_load_dwordx4 v[0:3], v12, s[8:11], 0 offen
.LBB158_18:
	s_or_b64 exec, exec, s[0:1]
	s_waitcnt vmcnt(1)
	v_cvt_f32_u32_sdwa v11, v4 dst_sel:DWORD dst_unused:UNUSED_PAD src0_sel:WORD_1
	v_cvt_f32_u32_sdwa v10, v4 dst_sel:DWORD dst_unused:UNUSED_PAD src0_sel:WORD_0
	v_cvt_f32_u32_sdwa v4, v7 dst_sel:DWORD dst_unused:UNUSED_PAD src0_sel:WORD_1
	v_cvt_f32_u32_sdwa v7, v7 dst_sel:DWORD dst_unused:UNUSED_PAD src0_sel:WORD_0
	;; [unrolled: 2-line block ×4, first 2 shown]
	v_cndmask_b32_e32 v11, 0, v11, vcc
	v_cndmask_b32_e32 v5, 0, v4, vcc
	;; [unrolled: 1-line block ×5, first 2 shown]
	v_mul_f32_e32 v13, v11, v11
	v_cndmask_b32_e32 v8, 0, v8, vcc
	v_fmac_f32_e32 v13, v10, v10
	v_cndmask_b32_e32 v9, 0, v9, vcc
	v_fmac_f32_e32 v13, v8, v8
	;; [unrolled: 2-line block ×3, first 2 shown]
	v_fmac_f32_e32 v13, v6, v6
	v_fmac_f32_e32 v13, v7, v7
	;; [unrolled: 1-line block ×4, first 2 shown]
	s_nop 1
	v_mov_b32_dpp v15, v13 quad_perm:[1,0,3,2] row_mask:0xf bank_mask:0xf
	v_add_f32_e32 v13, v13, v15
	s_nop 1
	v_mov_b32_dpp v15, v13 quad_perm:[2,3,0,1] row_mask:0xf bank_mask:0xf
	v_add_f32_e32 v13, v13, v15
	s_nop 1
	v_mov_b32_dpp v15, v13 row_half_mirror row_mask:0xf bank_mask:0xf
	v_add_f32_e32 v13, v13, v15
	s_nop 1
	v_mov_b32_dpp v15, v13 row_mirror row_mask:0xf bank_mask:0xf
	v_add_f32_e32 v13, v13, v15
	s_nop 1
	v_mov_b32_dpp v15, v13 row_bcast:15 row_mask:0xf bank_mask:0xf
	v_add_f32_e32 v13, v13, v15
	s_nop 1
	v_mov_b32_dpp v15, v13 row_bcast:31 row_mask:0xf bank_mask:0xf
	v_add_f32_e32 v13, v13, v15
	ds_bpermute_b32 v13, v14, v13
	s_and_saveexec_b64 s[0:1], vcc
	s_cbranch_execz .LBB158_8
; %bb.19:
	v_cvt_f32_u32_e32 v14, s16
	s_mov_b32 s11, 0x20000
	s_waitcnt lgkmcnt(0)
	v_div_scale_f32 v15, s[0:1], v14, v14, v13
	v_rcp_f32_e32 v16, v15
	v_div_scale_f32 v17, vcc, v13, v14, v13
	s_mov_b32 s0, 0x800000
	v_fma_f32 v18, -v15, v16, 1.0
	v_fmac_f32_e32 v16, v18, v16
	v_mul_f32_e32 v18, v17, v16
	v_fma_f32 v19, -v15, v18, v17
	v_fmac_f32_e32 v18, v19, v16
	v_fma_f32 v15, -v15, v18, v17
	v_div_fmas_f32 v15, v15, v16, v18
	v_div_fixup_f32 v13, v15, v14, v13
	v_add_f32_e32 v13, s13, v13
	v_mul_f32_e32 v14, 0x4b800000, v13
	v_cmp_gt_f32_e32 vcc, s0, v13
	v_cndmask_b32_e32 v13, v13, v14, vcc
	v_rsq_f32_e32 v13, v13
	s_mul_hi_i32 s1, s15, s6
	s_mul_i32 s0, s15, s6
	s_lshl_b64 s[0:1], s[0:1], 1
	v_mul_f32_e32 v14, 0x45800000, v13
	v_cndmask_b32_e32 v14, v13, v14, vcc
	s_add_u32 s8, s2, s0
	v_mov_b32_e32 v15, v14
	s_addc_u32 s0, s3, s1
	;;#ASMSTART
	v_pk_mul_f32 v[10:11], v[10:11], v[14:15]
	;;#ASMEND
	;;#ASMSTART
	v_pk_mul_f32 v[8:9], v[8:9], v[14:15]
	;;#ASMEND
	;; [unrolled: 3-line block ×4, first 2 shown]
	s_waitcnt vmcnt(0)
	v_cvt_f32_u32_sdwa v15, v0 dst_sel:DWORD dst_unused:UNUSED_PAD src0_sel:WORD_1
	v_cvt_f32_u32_sdwa v14, v0 dst_sel:DWORD dst_unused:UNUSED_PAD src0_sel:WORD_0
	v_cvt_f32_u32_sdwa v17, v1 dst_sel:DWORD dst_unused:UNUSED_PAD src0_sel:WORD_1
	v_cvt_f32_u32_sdwa v16, v1 dst_sel:DWORD dst_unused:UNUSED_PAD src0_sel:WORD_0
	;; [unrolled: 2-line block ×4, first 2 shown]
	;;#ASMSTART
	v_pk_mul_f32 v[2:3], v[10:11], v[14:15]
	;;#ASMEND
	s_and_b32 s9, s0, 0xffff
	s_mov_b32 s0, 0x7060302
	;;#ASMSTART
	v_pk_mul_f32 v[8:9], v[8:9], v[16:17]
	;;#ASMEND
	;;#ASMSTART
	v_pk_mul_f32 v[6:7], v[6:7], v[0:1]
	;;#ASMEND
	;; [unrolled: 3-line block ×3, first 2 shown]
	v_perm_b32 v0, v3, v2, s0
	v_perm_b32 v1, v9, v8, s0
	;; [unrolled: 1-line block ×4, first 2 shown]
	buffer_store_dwordx4 v[0:3], v12, s[8:11], 0 offen
	;;#ASMSTART
	s_nop 0
	;;#ASMEND
	s_endpgm
	.section	.rodata,"a",@progbits
	.p2align	6, 0x0
	.amdhsa_kernel _ZN5aiter35fused_qk_rmsnorm_group_quant_kernelItDB8_Li64ELi8ELi8ELb0ELb1ELb0ELb1ELb0ELb0EEEvPT0_PvPT_S6_S6_PKS5_S8_S8_S8_S8_ffiiiiiiiiiiiii
		.amdhsa_group_segment_fixed_size 0
		.amdhsa_private_segment_fixed_size 0
		.amdhsa_kernarg_size 400
		.amdhsa_user_sgpr_count 6
		.amdhsa_user_sgpr_private_segment_buffer 1
		.amdhsa_user_sgpr_dispatch_ptr 0
		.amdhsa_user_sgpr_queue_ptr 0
		.amdhsa_user_sgpr_kernarg_segment_ptr 1
		.amdhsa_user_sgpr_dispatch_id 0
		.amdhsa_user_sgpr_flat_scratch_init 0
		.amdhsa_user_sgpr_kernarg_preload_length 0
		.amdhsa_user_sgpr_kernarg_preload_offset 0
		.amdhsa_user_sgpr_private_segment_size 0
		.amdhsa_uses_dynamic_stack 0
		.amdhsa_system_sgpr_private_segment_wavefront_offset 0
		.amdhsa_system_sgpr_workgroup_id_x 1
		.amdhsa_system_sgpr_workgroup_id_y 1
		.amdhsa_system_sgpr_workgroup_id_z 0
		.amdhsa_system_sgpr_workgroup_info 0
		.amdhsa_system_vgpr_workitem_id 0
		.amdhsa_next_free_vgpr 23
		.amdhsa_next_free_sgpr 32
		.amdhsa_accum_offset 24
		.amdhsa_reserve_vcc 1
		.amdhsa_reserve_flat_scratch 0
		.amdhsa_float_round_mode_32 0
		.amdhsa_float_round_mode_16_64 0
		.amdhsa_float_denorm_mode_32 3
		.amdhsa_float_denorm_mode_16_64 3
		.amdhsa_dx10_clamp 1
		.amdhsa_ieee_mode 1
		.amdhsa_fp16_overflow 0
		.amdhsa_tg_split 0
		.amdhsa_exception_fp_ieee_invalid_op 0
		.amdhsa_exception_fp_denorm_src 0
		.amdhsa_exception_fp_ieee_div_zero 0
		.amdhsa_exception_fp_ieee_overflow 0
		.amdhsa_exception_fp_ieee_underflow 0
		.amdhsa_exception_fp_ieee_inexact 0
		.amdhsa_exception_int_div_zero 0
	.end_amdhsa_kernel
	.section	.text._ZN5aiter35fused_qk_rmsnorm_group_quant_kernelItDB8_Li64ELi8ELi8ELb0ELb1ELb0ELb1ELb0ELb0EEEvPT0_PvPT_S6_S6_PKS5_S8_S8_S8_S8_ffiiiiiiiiiiiii,"axG",@progbits,_ZN5aiter35fused_qk_rmsnorm_group_quant_kernelItDB8_Li64ELi8ELi8ELb0ELb1ELb0ELb1ELb0ELb0EEEvPT0_PvPT_S6_S6_PKS5_S8_S8_S8_S8_ffiiiiiiiiiiiii,comdat
.Lfunc_end158:
	.size	_ZN5aiter35fused_qk_rmsnorm_group_quant_kernelItDB8_Li64ELi8ELi8ELb0ELb1ELb0ELb1ELb0ELb0EEEvPT0_PvPT_S6_S6_PKS5_S8_S8_S8_S8_ffiiiiiiiiiiiii, .Lfunc_end158-_ZN5aiter35fused_qk_rmsnorm_group_quant_kernelItDB8_Li64ELi8ELi8ELb0ELb1ELb0ELb1ELb0ELb0EEEvPT0_PvPT_S6_S6_PKS5_S8_S8_S8_S8_ffiiiiiiiiiiiii
                                        ; -- End function
	.section	.AMDGPU.csdata,"",@progbits
; Kernel info:
; codeLenInByte = 1904
; NumSgprs: 36
; NumVgprs: 23
; NumAgprs: 0
; TotalNumVgprs: 23
; ScratchSize: 0
; MemoryBound: 0
; FloatMode: 240
; IeeeMode: 1
; LDSByteSize: 0 bytes/workgroup (compile time only)
; SGPRBlocks: 4
; VGPRBlocks: 2
; NumSGPRsForWavesPerEU: 36
; NumVGPRsForWavesPerEU: 23
; AccumOffset: 24
; Occupancy: 8
; WaveLimiterHint : 0
; COMPUTE_PGM_RSRC2:SCRATCH_EN: 0
; COMPUTE_PGM_RSRC2:USER_SGPR: 6
; COMPUTE_PGM_RSRC2:TRAP_HANDLER: 0
; COMPUTE_PGM_RSRC2:TGID_X_EN: 1
; COMPUTE_PGM_RSRC2:TGID_Y_EN: 1
; COMPUTE_PGM_RSRC2:TGID_Z_EN: 0
; COMPUTE_PGM_RSRC2:TIDIG_COMP_CNT: 0
; COMPUTE_PGM_RSRC3_GFX90A:ACCUM_OFFSET: 5
; COMPUTE_PGM_RSRC3_GFX90A:TG_SPLIT: 0
	.section	.text._ZN5aiter35fused_qk_rmsnorm_group_quant_kernelIDF16_N4opus5fp4_tELi64ELi8ELi8ELb0ELb1ELb0ELb1ELb0ELb0EEEvPT0_PvPT_S7_S7_PKS6_S9_S9_S9_S9_ffiiiiiiiiiiiii,"axG",@progbits,_ZN5aiter35fused_qk_rmsnorm_group_quant_kernelIDF16_N4opus5fp4_tELi64ELi8ELi8ELb0ELb1ELb0ELb1ELb0ELb0EEEvPT0_PvPT_S7_S7_PKS6_S9_S9_S9_S9_ffiiiiiiiiiiiii,comdat
	.protected	_ZN5aiter35fused_qk_rmsnorm_group_quant_kernelIDF16_N4opus5fp4_tELi64ELi8ELi8ELb0ELb1ELb0ELb1ELb0ELb0EEEvPT0_PvPT_S7_S7_PKS6_S9_S9_S9_S9_ffiiiiiiiiiiiii ; -- Begin function _ZN5aiter35fused_qk_rmsnorm_group_quant_kernelIDF16_N4opus5fp4_tELi64ELi8ELi8ELb0ELb1ELb0ELb1ELb0ELb0EEEvPT0_PvPT_S7_S7_PKS6_S9_S9_S9_S9_ffiiiiiiiiiiiii
	.globl	_ZN5aiter35fused_qk_rmsnorm_group_quant_kernelIDF16_N4opus5fp4_tELi64ELi8ELi8ELb0ELb1ELb0ELb1ELb0ELb0EEEvPT0_PvPT_S7_S7_PKS6_S9_S9_S9_S9_ffiiiiiiiiiiiii
	.p2align	8
	.type	_ZN5aiter35fused_qk_rmsnorm_group_quant_kernelIDF16_N4opus5fp4_tELi64ELi8ELi8ELb0ELb1ELb0ELb1ELb0ELb0EEEvPT0_PvPT_S7_S7_PKS6_S9_S9_S9_S9_ffiiiiiiiiiiiii,@function
_ZN5aiter35fused_qk_rmsnorm_group_quant_kernelIDF16_N4opus5fp4_tELi64ELi8ELi8ELb0ELb1ELb0ELb1ELb0ELb0EEEvPT0_PvPT_S7_S7_PKS6_S9_S9_S9_S9_ffiiiiiiiiiiiii: ; @_ZN5aiter35fused_qk_rmsnorm_group_quant_kernelIDF16_N4opus5fp4_tELi64ELi8ELi8ELb0ELb1ELb0ELb1ELb0ELb0EEEvPT0_PvPT_S7_S7_PKS6_S9_S9_S9_S9_ffiiiiiiiiiiiii
; %bb.0:
	s_load_dwordx4 s[12:15], s[4:5], 0x50
	s_waitcnt lgkmcnt(0)
	s_cmp_ge_i32 s6, s14
	s_cbranch_scc1 .LBB159_10
; %bb.1:
	s_load_dwordx2 s[24:25], s[4:5], 0x30
	s_load_dwordx2 s[8:9], s[4:5], 0x48
	s_load_dwordx4 s[16:19], s[4:5], 0x60
	s_cmp_lg_u32 s7, 0
	s_cselect_b64 s[10:11], -1, 0
	s_cmp_eq_u32 s7, 0
	s_cselect_b64 vcc, -1, 0
	s_and_b64 s[0:1], vcc, exec
	s_waitcnt lgkmcnt(0)
	s_cselect_b32 s7, s15, s16
	s_add_i32 s0, s7, 1
	s_lshr_b32 s1, s0, 31
	s_add_i32 s0, s0, s1
	s_lshl_b32 s0, s0, 1
	v_lshlrev_b32_e32 v1, 3, v0
	s_and_b32 s22, s0, -4
	v_cmp_gt_i32_e64 s[0:1], s7, v1
	v_mov_b32_e32 v10, 0
	v_mov_b32_e32 v2, 0
	;; [unrolled: 1-line block ×9, first 2 shown]
	s_and_saveexec_b64 s[2:3], s[0:1]
	s_cbranch_execz .LBB159_3
; %bb.2:
	s_load_dwordx2 s[14:15], s[4:5], 0x28
	s_load_dwordx2 s[20:21], s[4:5], 0x40
	s_and_b64 s[26:27], vcc, exec
	s_cselect_b32 s17, s17, s18
	v_lshlrev_b32_e32 v11, 4, v0
	s_waitcnt lgkmcnt(0)
	s_cselect_b32 s19, s15, s25
	s_cselect_b32 s23, s14, s24
	s_mul_hi_i32 s15, s17, s6
	s_mul_i32 s14, s17, s6
	s_lshl_b64 s[14:15], s[14:15], 1
	s_add_u32 s28, s23, s14
	s_addc_u32 s17, s19, s15
	s_and_b64 s[14:15], vcc, exec
	s_mov_b32 s23, 0x20000
	s_cselect_b32 s20, s20, s8
	s_cselect_b32 s14, s21, s9
	s_and_b32 s29, s17, 0xffff
	s_mov_b32 s30, s22
	s_mov_b32 s31, s23
	s_and_b32 s21, s14, 0xffff
	buffer_load_dwordx4 v[6:9], v11, s[28:31], 0 offen glc slc
	buffer_load_dwordx4 v[2:5], v11, s[20:23], 0 offen
.LBB159_3:
	s_or_b64 exec, exec, s[2:3]
	v_mov_b32_e32 v11, 0
	v_mov_b32_e32 v12, 0
	;; [unrolled: 1-line block ×7, first 2 shown]
	s_and_saveexec_b64 s[2:3], s[0:1]
	s_cbranch_execz .LBB159_5
; %bb.4:
	s_waitcnt vmcnt(1)
	v_cvt_f32_f16_sdwa v11, v6 dst_sel:DWORD dst_unused:UNUSED_PAD src0_sel:WORD_1
	v_cvt_f32_f16_e32 v10, v6
	v_cvt_f32_f16_sdwa v13, v7 dst_sel:DWORD dst_unused:UNUSED_PAD src0_sel:WORD_1
	v_cvt_f32_f16_e32 v12, v7
	;; [unrolled: 2-line block ×4, first 2 shown]
.LBB159_5:
	s_or_b64 exec, exec, s[2:3]
	s_waitcnt vmcnt(1)
	v_mul_f32_e32 v6, v11, v11
	v_fmac_f32_e32 v6, v10, v10
	v_fmac_f32_e32 v6, v12, v12
	;; [unrolled: 1-line block ×7, first 2 shown]
	v_bfrev_b32_e32 v8, 0.5
	s_load_dwordx2 s[2:3], s[4:5], 0x18
	v_mov_b32_dpp v7, v6 quad_perm:[1,0,3,2] row_mask:0xf bank_mask:0xf
	v_add_f32_e32 v6, v6, v7
	s_nop 1
	v_mov_b32_dpp v7, v6 quad_perm:[2,3,0,1] row_mask:0xf bank_mask:0xf
	v_add_f32_e32 v6, v6, v7
	s_nop 1
	v_mov_b32_dpp v7, v6 row_half_mirror row_mask:0xf bank_mask:0xf
	v_add_f32_e32 v6, v6, v7
	s_nop 1
	v_mov_b32_dpp v7, v6 row_mirror row_mask:0xf bank_mask:0xf
	v_add_f32_e32 v6, v6, v7
	s_nop 1
	v_mov_b32_dpp v7, v6 row_bcast:15 row_mask:0xf bank_mask:0xf
	v_add_f32_e32 v6, v6, v7
	s_nop 1
	v_mov_b32_dpp v7, v6 row_bcast:31 row_mask:0xf bank_mask:0xf
	v_add_f32_e32 v6, v6, v7
	v_mbcnt_lo_u32_b32 v7, -1, 0
	v_mbcnt_hi_u32_b32 v7, -1, v7
	v_lshl_or_b32 v18, v7, 2, v8
	ds_bpermute_b32 v6, v18, v6
	s_and_saveexec_b64 s[14:15], s[0:1]
	s_cbranch_execz .LBB159_7
; %bb.6:
	v_cvt_f32_u32_e32 v7, s7
	v_mov_b32_e32 v8, s13
	v_mov_b32_e32 v9, s12
	v_cndmask_b32_e32 v8, v8, v9, vcc
	s_waitcnt lgkmcnt(0)
	v_div_scale_f32 v19, s[20:21], v7, v7, v6
	v_rcp_f32_e32 v20, v19
	v_div_scale_f32 v9, vcc, v6, v7, v6
	s_mov_b32 s7, 0x800000
	v_fma_f32 v21, -v19, v20, 1.0
	v_fmac_f32_e32 v20, v21, v20
	v_mul_f32_e32 v21, v9, v20
	v_fma_f32 v22, -v19, v21, v9
	v_fmac_f32_e32 v21, v22, v20
	v_fma_f32 v9, -v19, v21, v9
	v_div_fmas_f32 v9, v9, v20, v21
	v_div_fixup_f32 v6, v9, v7, v6
	v_add_f32_e32 v6, v8, v6
	v_mul_f32_e32 v7, 0x4b800000, v6
	v_cmp_gt_f32_e32 vcc, s7, v6
	v_cndmask_b32_e32 v6, v6, v7, vcc
	v_rsq_f32_e32 v6, v6
	s_waitcnt vmcnt(0)
	v_cvt_f32_f16_sdwa v21, v5 dst_sel:DWORD dst_unused:UNUSED_PAD src0_sel:WORD_1
	v_cvt_f32_f16_e32 v20, v5
	v_mul_f32_e32 v7, 0x45800000, v6
	v_cndmask_b32_e32 v6, v6, v7, vcc
	v_mov_b32_e32 v7, v6
	;;#ASMSTART
	v_pk_mul_f32 v[8:9], v[10:11], v[6:7]
	;;#ASMEND
	;;#ASMSTART
	v_pk_mul_f32 v[12:13], v[12:13], v[6:7]
	;;#ASMEND
	;; [unrolled: 3-line block ×4, first 2 shown]
	v_cvt_f32_f16_sdwa v11, v2 dst_sel:DWORD dst_unused:UNUSED_PAD src0_sel:WORD_1
	v_cvt_f32_f16_e32 v10, v2
	v_cvt_f32_f16_sdwa v17, v3 dst_sel:DWORD dst_unused:UNUSED_PAD src0_sel:WORD_1
	v_cvt_f32_f16_e32 v16, v3
	;; [unrolled: 2-line block ×3, first 2 shown]
	;;#ASMSTART
	v_pk_mul_f32 v[10:11], v[8:9], v[10:11]
	;;#ASMEND
	;;#ASMSTART
	v_pk_mul_f32 v[12:13], v[12:13], v[16:17]
	;;#ASMEND
	;; [unrolled: 3-line block ×4, first 2 shown]
.LBB159_7:
	s_or_b64 exec, exec, s[14:15]
	s_load_dwordx2 s[14:15], s[4:5], 0x7c
	s_mov_b64 s[20:21], -1
	s_and_b64 vcc, exec, s[10:11]
	s_cbranch_vccnz .LBB159_11
; %bb.8:
	s_andn2_b64 vcc, exec, s[20:21]
	s_cbranch_vccz .LBB159_14
.LBB159_9:
	s_cmp_lt_i32 s16, 1
	s_cbranch_scc0 .LBB159_17
.LBB159_10:
	s_endpgm
.LBB159_11:
	s_and_saveexec_b64 s[10:11], s[0:1]
	s_cbranch_execz .LBB159_13
; %bb.12:
	s_waitcnt lgkmcnt(0)
	s_mul_hi_i32 s21, s15, s6
	s_mul_i32 s20, s15, s6
	s_waitcnt vmcnt(0)
	v_cvt_f16_f32_e32 v2, v10
	v_cvt_f16_f32_e32 v3, v12
	;; [unrolled: 1-line block ×8, first 2 shown]
	s_lshl_b64 s[20:21], s[20:21], 1
	s_add_u32 s20, s2, s20
	s_addc_u32 s7, s3, s21
	s_and_b32 s21, s7, 0xffff
	s_mov_b32 s23, 0x20000
	v_pack_b32_f16 v5, v5, v6
	v_pack_b32_f16 v4, v4, v7
	;; [unrolled: 1-line block ×4, first 2 shown]
	v_lshlrev_b32_e32 v6, 4, v0
	buffer_store_dwordx4 v[2:5], v6, s[20:23], 0 offen
	;;#ASMSTART
	s_nop 0
	;;#ASMEND
.LBB159_13:
	s_or_b64 exec, exec, s[10:11]
	s_cbranch_execnz .LBB159_9
.LBB159_14:
	s_and_saveexec_b64 s[10:11], s[0:1]
	s_cbranch_execz .LBB159_16
; %bb.15:
	s_load_dwordx2 s[0:1], s[4:5], 0x10
	s_waitcnt lgkmcnt(0)
	s_mul_hi_i32 s21, s14, s6
	s_mul_i32 s20, s14, s6
	s_waitcnt vmcnt(0)
	v_cvt_f16_f32_e32 v2, v10
	v_cvt_f16_f32_e32 v3, v12
	;; [unrolled: 1-line block ×8, first 2 shown]
	s_lshl_b64 s[20:21], s[20:21], 1
	s_add_u32 s20, s0, s20
	s_addc_u32 s0, s1, s21
	s_mov_b32 s23, 0x20000
	s_and_b32 s21, s0, 0xffff
	v_pack_b32_f16 v5, v5, v6
	v_pack_b32_f16 v4, v4, v7
	;; [unrolled: 1-line block ×4, first 2 shown]
	v_lshlrev_b32_e32 v6, 4, v0
	buffer_store_dwordx4 v[2:5], v6, s[20:23], 0 offen
	;;#ASMSTART
	s_nop 0
	;;#ASMEND
.LBB159_16:
	s_or_b64 exec, exec, s[10:11]
	s_cmp_lt_i32 s16, 1
	s_cbranch_scc1 .LBB159_10
.LBB159_17:
	s_load_dword s0, s[4:5], 0x94
	s_waitcnt lgkmcnt(0)
	s_cmp_lg_u32 s0, 1
	s_cbranch_scc1 .LBB159_10
; %bb.18:
	s_lshl_b32 s0, s16, 1
	s_add_i32 s0, s0, 2
	v_cmp_gt_u32_e32 vcc, s16, v1
	s_and_b32 s10, s0, -4
	v_mov_b32_e32 v8, 0
	v_lshlrev_b32_e32 v16, 4, v0
	s_waitcnt vmcnt(0)
	v_mov_b32_e32 v4, 0
	v_mov_b32_e32 v5, 0
	;; [unrolled: 1-line block ×8, first 2 shown]
	s_barrier
	s_and_saveexec_b64 s[0:1], vcc
	s_cbranch_execz .LBB159_20
; %bb.19:
	s_mul_hi_i32 s5, s18, s6
	s_mul_i32 s4, s18, s6
	s_and_b32 s9, s9, 0xffff
	s_lshl_b64 s[4:5], s[4:5], 1
	s_add_u32 s20, s24, s4
	s_mov_b32 s11, 0x20000
	s_addc_u32 s4, s25, s5
	s_and_b32 s21, s4, 0xffff
	s_mov_b32 s22, s10
	s_mov_b32 s23, s11
	buffer_load_dwordx4 v[4:7], v16, s[20:23], 0 offen glc slc
	buffer_load_dwordx4 v[0:3], v16, s[8:11], 0 offen
.LBB159_20:
	s_or_b64 exec, exec, s[0:1]
	v_mov_b32_e32 v9, 0
	v_mov_b32_e32 v14, 0
	;; [unrolled: 1-line block ×7, first 2 shown]
	s_and_saveexec_b64 s[0:1], vcc
	s_cbranch_execz .LBB159_22
; %bb.21:
	s_waitcnt vmcnt(1)
	v_cvt_f32_f16_sdwa v9, v4 dst_sel:DWORD dst_unused:UNUSED_PAD src0_sel:WORD_1
	v_cvt_f32_f16_e32 v8, v4
	v_cvt_f32_f16_sdwa v15, v5 dst_sel:DWORD dst_unused:UNUSED_PAD src0_sel:WORD_1
	v_cvt_f32_f16_e32 v14, v5
	;; [unrolled: 2-line block ×4, first 2 shown]
.LBB159_22:
	s_or_b64 exec, exec, s[0:1]
	s_waitcnt vmcnt(1)
	v_mul_f32_e32 v4, v9, v9
	v_fmac_f32_e32 v4, v8, v8
	v_fmac_f32_e32 v4, v14, v14
	;; [unrolled: 1-line block ×7, first 2 shown]
	s_nop 1
	v_mov_b32_dpp v5, v4 quad_perm:[1,0,3,2] row_mask:0xf bank_mask:0xf
	v_add_f32_e32 v4, v4, v5
	s_nop 1
	v_mov_b32_dpp v5, v4 quad_perm:[2,3,0,1] row_mask:0xf bank_mask:0xf
	v_add_f32_e32 v4, v4, v5
	s_nop 1
	v_mov_b32_dpp v5, v4 row_half_mirror row_mask:0xf bank_mask:0xf
	v_add_f32_e32 v4, v4, v5
	s_nop 1
	v_mov_b32_dpp v5, v4 row_mirror row_mask:0xf bank_mask:0xf
	v_add_f32_e32 v4, v4, v5
	s_nop 1
	v_mov_b32_dpp v5, v4 row_bcast:15 row_mask:0xf bank_mask:0xf
	v_add_f32_e32 v4, v4, v5
	s_nop 1
	v_mov_b32_dpp v5, v4 row_bcast:31 row_mask:0xf bank_mask:0xf
	v_add_f32_e32 v4, v4, v5
	ds_bpermute_b32 v4, v18, v4
	s_and_saveexec_b64 s[0:1], vcc
	s_cbranch_execz .LBB159_10
; %bb.23:
	v_cvt_f32_u32_e32 v5, s16
	s_mov_b32 s11, 0x20000
	s_waitcnt lgkmcnt(0)
	v_div_scale_f32 v6, s[0:1], v5, v5, v4
	v_rcp_f32_e32 v7, v6
	v_div_scale_f32 v17, vcc, v4, v5, v4
	s_mov_b32 s0, 0x800000
	v_fma_f32 v18, -v6, v7, 1.0
	v_fmac_f32_e32 v7, v18, v7
	v_mul_f32_e32 v18, v17, v7
	v_fma_f32 v19, -v6, v18, v17
	v_fmac_f32_e32 v18, v19, v7
	v_fma_f32 v6, -v6, v18, v17
	v_div_fmas_f32 v6, v6, v7, v18
	v_div_fixup_f32 v4, v6, v5, v4
	v_add_f32_e32 v4, s13, v4
	v_mul_f32_e32 v5, 0x4b800000, v4
	v_cmp_gt_f32_e32 vcc, s0, v4
	v_cndmask_b32_e32 v4, v4, v5, vcc
	v_rsq_f32_e32 v4, v4
	s_waitcnt vmcnt(0)
	v_cvt_f32_f16_sdwa v19, v3 dst_sel:DWORD dst_unused:UNUSED_PAD src0_sel:WORD_1
	v_cvt_f32_f16_e32 v18, v3
	s_mul_hi_i32 s1, s15, s6
	v_mul_f32_e32 v5, 0x45800000, v4
	v_cndmask_b32_e32 v4, v4, v5, vcc
	v_mov_b32_e32 v5, v4
	;;#ASMSTART
	v_pk_mul_f32 v[6:7], v[8:9], v[4:5]
	;;#ASMEND
	;;#ASMSTART
	v_pk_mul_f32 v[8:9], v[14:15], v[4:5]
	;;#ASMEND
	;; [unrolled: 3-line block ×4, first 2 shown]
	v_cvt_f32_f16_sdwa v11, v0 dst_sel:DWORD dst_unused:UNUSED_PAD src0_sel:WORD_1
	v_cvt_f32_f16_e32 v10, v0
	v_cvt_f32_f16_sdwa v15, v1 dst_sel:DWORD dst_unused:UNUSED_PAD src0_sel:WORD_1
	v_cvt_f32_f16_e32 v14, v1
	v_cvt_f32_f16_sdwa v1, v2 dst_sel:DWORD dst_unused:UNUSED_PAD src0_sel:WORD_1
	v_cvt_f32_f16_e32 v0, v2
	;;#ASMSTART
	v_pk_mul_f32 v[2:3], v[6:7], v[10:11]
	;;#ASMEND
	;;#ASMSTART
	v_pk_mul_f32 v[6:7], v[8:9], v[14:15]
	;;#ASMEND
	;; [unrolled: 3-line block ×4, first 2 shown]
	s_mul_i32 s0, s15, s6
	v_cvt_f16_f32_e32 v2, v2
	v_cvt_f16_f32_e32 v3, v3
	;; [unrolled: 1-line block ×8, first 2 shown]
	s_lshl_b64 s[0:1], s[0:1], 1
	s_add_u32 s8, s2, s0
	s_addc_u32 s0, s3, s1
	s_and_b32 s9, s0, 0xffff
	v_pack_b32_f16 v0, v2, v3
	v_pack_b32_f16 v1, v6, v7
	;; [unrolled: 1-line block ×4, first 2 shown]
	buffer_store_dwordx4 v[0:3], v16, s[8:11], 0 offen
	;;#ASMSTART
	s_nop 0
	;;#ASMEND
	s_endpgm
	.section	.rodata,"a",@progbits
	.p2align	6, 0x0
	.amdhsa_kernel _ZN5aiter35fused_qk_rmsnorm_group_quant_kernelIDF16_N4opus5fp4_tELi64ELi8ELi8ELb0ELb1ELb0ELb1ELb0ELb0EEEvPT0_PvPT_S7_S7_PKS6_S9_S9_S9_S9_ffiiiiiiiiiiiii
		.amdhsa_group_segment_fixed_size 0
		.amdhsa_private_segment_fixed_size 0
		.amdhsa_kernarg_size 400
		.amdhsa_user_sgpr_count 6
		.amdhsa_user_sgpr_private_segment_buffer 1
		.amdhsa_user_sgpr_dispatch_ptr 0
		.amdhsa_user_sgpr_queue_ptr 0
		.amdhsa_user_sgpr_kernarg_segment_ptr 1
		.amdhsa_user_sgpr_dispatch_id 0
		.amdhsa_user_sgpr_flat_scratch_init 0
		.amdhsa_user_sgpr_kernarg_preload_length 0
		.amdhsa_user_sgpr_kernarg_preload_offset 0
		.amdhsa_user_sgpr_private_segment_size 0
		.amdhsa_uses_dynamic_stack 0
		.amdhsa_system_sgpr_private_segment_wavefront_offset 0
		.amdhsa_system_sgpr_workgroup_id_x 1
		.amdhsa_system_sgpr_workgroup_id_y 1
		.amdhsa_system_sgpr_workgroup_id_z 0
		.amdhsa_system_sgpr_workgroup_info 0
		.amdhsa_system_vgpr_workitem_id 0
		.amdhsa_next_free_vgpr 23
		.amdhsa_next_free_sgpr 32
		.amdhsa_accum_offset 24
		.amdhsa_reserve_vcc 1
		.amdhsa_reserve_flat_scratch 0
		.amdhsa_float_round_mode_32 0
		.amdhsa_float_round_mode_16_64 0
		.amdhsa_float_denorm_mode_32 3
		.amdhsa_float_denorm_mode_16_64 3
		.amdhsa_dx10_clamp 1
		.amdhsa_ieee_mode 1
		.amdhsa_fp16_overflow 0
		.amdhsa_tg_split 0
		.amdhsa_exception_fp_ieee_invalid_op 0
		.amdhsa_exception_fp_denorm_src 0
		.amdhsa_exception_fp_ieee_div_zero 0
		.amdhsa_exception_fp_ieee_overflow 0
		.amdhsa_exception_fp_ieee_underflow 0
		.amdhsa_exception_fp_ieee_inexact 0
		.amdhsa_exception_int_div_zero 0
	.end_amdhsa_kernel
	.section	.text._ZN5aiter35fused_qk_rmsnorm_group_quant_kernelIDF16_N4opus5fp4_tELi64ELi8ELi8ELb0ELb1ELb0ELb1ELb0ELb0EEEvPT0_PvPT_S7_S7_PKS6_S9_S9_S9_S9_ffiiiiiiiiiiiii,"axG",@progbits,_ZN5aiter35fused_qk_rmsnorm_group_quant_kernelIDF16_N4opus5fp4_tELi64ELi8ELi8ELb0ELb1ELb0ELb1ELb0ELb0EEEvPT0_PvPT_S7_S7_PKS6_S9_S9_S9_S9_ffiiiiiiiiiiiii,comdat
.Lfunc_end159:
	.size	_ZN5aiter35fused_qk_rmsnorm_group_quant_kernelIDF16_N4opus5fp4_tELi64ELi8ELi8ELb0ELb1ELb0ELb1ELb0ELb0EEEvPT0_PvPT_S7_S7_PKS6_S9_S9_S9_S9_ffiiiiiiiiiiiii, .Lfunc_end159-_ZN5aiter35fused_qk_rmsnorm_group_quant_kernelIDF16_N4opus5fp4_tELi64ELi8ELi8ELb0ELb1ELb0ELb1ELb0ELb0EEEvPT0_PvPT_S7_S7_PKS6_S9_S9_S9_S9_ffiiiiiiiiiiiii
                                        ; -- End function
	.section	.AMDGPU.csdata,"",@progbits
; Kernel info:
; codeLenInByte = 1912
; NumSgprs: 36
; NumVgprs: 23
; NumAgprs: 0
; TotalNumVgprs: 23
; ScratchSize: 0
; MemoryBound: 0
; FloatMode: 240
; IeeeMode: 1
; LDSByteSize: 0 bytes/workgroup (compile time only)
; SGPRBlocks: 4
; VGPRBlocks: 2
; NumSGPRsForWavesPerEU: 36
; NumVGPRsForWavesPerEU: 23
; AccumOffset: 24
; Occupancy: 8
; WaveLimiterHint : 0
; COMPUTE_PGM_RSRC2:SCRATCH_EN: 0
; COMPUTE_PGM_RSRC2:USER_SGPR: 6
; COMPUTE_PGM_RSRC2:TRAP_HANDLER: 0
; COMPUTE_PGM_RSRC2:TGID_X_EN: 1
; COMPUTE_PGM_RSRC2:TGID_Y_EN: 1
; COMPUTE_PGM_RSRC2:TGID_Z_EN: 0
; COMPUTE_PGM_RSRC2:TIDIG_COMP_CNT: 0
; COMPUTE_PGM_RSRC3_GFX90A:ACCUM_OFFSET: 5
; COMPUTE_PGM_RSRC3_GFX90A:TG_SPLIT: 0
	.section	.text._ZN5aiter35fused_qk_rmsnorm_group_quant_kernelItN4opus5fp4_tELi64ELi8ELi8ELb0ELb1ELb0ELb1ELb0ELb0EEEvPT0_PvPT_S7_S7_PKS6_S9_S9_S9_S9_ffiiiiiiiiiiiii,"axG",@progbits,_ZN5aiter35fused_qk_rmsnorm_group_quant_kernelItN4opus5fp4_tELi64ELi8ELi8ELb0ELb1ELb0ELb1ELb0ELb0EEEvPT0_PvPT_S7_S7_PKS6_S9_S9_S9_S9_ffiiiiiiiiiiiii,comdat
	.protected	_ZN5aiter35fused_qk_rmsnorm_group_quant_kernelItN4opus5fp4_tELi64ELi8ELi8ELb0ELb1ELb0ELb1ELb0ELb0EEEvPT0_PvPT_S7_S7_PKS6_S9_S9_S9_S9_ffiiiiiiiiiiiii ; -- Begin function _ZN5aiter35fused_qk_rmsnorm_group_quant_kernelItN4opus5fp4_tELi64ELi8ELi8ELb0ELb1ELb0ELb1ELb0ELb0EEEvPT0_PvPT_S7_S7_PKS6_S9_S9_S9_S9_ffiiiiiiiiiiiii
	.globl	_ZN5aiter35fused_qk_rmsnorm_group_quant_kernelItN4opus5fp4_tELi64ELi8ELi8ELb0ELb1ELb0ELb1ELb0ELb0EEEvPT0_PvPT_S7_S7_PKS6_S9_S9_S9_S9_ffiiiiiiiiiiiii
	.p2align	8
	.type	_ZN5aiter35fused_qk_rmsnorm_group_quant_kernelItN4opus5fp4_tELi64ELi8ELi8ELb0ELb1ELb0ELb1ELb0ELb0EEEvPT0_PvPT_S7_S7_PKS6_S9_S9_S9_S9_ffiiiiiiiiiiiii,@function
_ZN5aiter35fused_qk_rmsnorm_group_quant_kernelItN4opus5fp4_tELi64ELi8ELi8ELb0ELb1ELb0ELb1ELb0ELb0EEEvPT0_PvPT_S7_S7_PKS6_S9_S9_S9_S9_ffiiiiiiiiiiiii: ; @_ZN5aiter35fused_qk_rmsnorm_group_quant_kernelItN4opus5fp4_tELi64ELi8ELi8ELb0ELb1ELb0ELb1ELb0ELb0EEEvPT0_PvPT_S7_S7_PKS6_S9_S9_S9_S9_ffiiiiiiiiiiiii
; %bb.0:
	s_load_dwordx4 s[12:15], s[4:5], 0x50
	s_waitcnt lgkmcnt(0)
	s_cmp_ge_i32 s6, s14
	s_cbranch_scc1 .LBB160_8
; %bb.1:
	s_load_dwordx2 s[24:25], s[4:5], 0x30
	s_load_dwordx2 s[8:9], s[4:5], 0x48
	s_load_dwordx4 s[16:19], s[4:5], 0x60
	s_cmp_lg_u32 s7, 0
	s_cselect_b64 s[10:11], -1, 0
	s_cmp_eq_u32 s7, 0
	s_cselect_b64 vcc, -1, 0
	s_and_b64 s[0:1], vcc, exec
	s_waitcnt lgkmcnt(0)
	s_cselect_b32 s7, s15, s16
	s_add_i32 s0, s7, 1
	s_lshr_b32 s1, s0, 31
	s_add_i32 s0, s0, s1
	s_lshl_b32 s0, s0, 1
	v_lshlrev_b32_e32 v1, 3, v0
	s_and_b32 s22, s0, -4
	v_cmp_gt_i32_e64 s[0:1], s7, v1
	v_mov_b32_e32 v2, 0
	v_mov_b32_e32 v3, 0
	;; [unrolled: 1-line block ×8, first 2 shown]
	s_and_saveexec_b64 s[2:3], s[0:1]
	s_cbranch_execz .LBB160_3
; %bb.2:
	s_load_dwordx2 s[14:15], s[4:5], 0x28
	s_load_dwordx2 s[20:21], s[4:5], 0x40
	s_and_b64 s[26:27], vcc, exec
	s_cselect_b32 s17, s17, s18
	v_lshlrev_b32_e32 v10, 4, v0
	s_waitcnt lgkmcnt(0)
	s_cselect_b32 s19, s15, s25
	s_cselect_b32 s23, s14, s24
	s_mul_hi_i32 s15, s17, s6
	s_mul_i32 s14, s17, s6
	s_lshl_b64 s[14:15], s[14:15], 1
	s_add_u32 s28, s23, s14
	s_addc_u32 s17, s19, s15
	s_and_b64 s[14:15], vcc, exec
	s_mov_b32 s23, 0x20000
	s_cselect_b32 s20, s20, s8
	s_cselect_b32 s14, s21, s9
	s_and_b32 s29, s17, 0xffff
	s_mov_b32 s30, s22
	s_mov_b32 s31, s23
	s_and_b32 s21, s14, 0xffff
	buffer_load_dwordx4 v[6:9], v10, s[28:31], 0 offen glc slc
	buffer_load_dwordx4 v[2:5], v10, s[20:23], 0 offen
.LBB160_3:
	s_or_b64 exec, exec, s[2:3]
	s_waitcnt vmcnt(1)
	v_cvt_f32_u32_sdwa v13, v6 dst_sel:DWORD dst_unused:UNUSED_PAD src0_sel:WORD_1
	v_cvt_f32_u32_sdwa v12, v6 dst_sel:DWORD dst_unused:UNUSED_PAD src0_sel:WORD_0
	v_cvt_f32_u32_sdwa v6, v9 dst_sel:DWORD dst_unused:UNUSED_PAD src0_sel:WORD_1
	v_cvt_f32_u32_sdwa v9, v9 dst_sel:DWORD dst_unused:UNUSED_PAD src0_sel:WORD_0
	;; [unrolled: 2-line block ×4, first 2 shown]
	v_cndmask_b32_e64 v13, 0, v13, s[0:1]
	v_cndmask_b32_e64 v7, 0, v6, s[0:1]
	;; [unrolled: 1-line block ×5, first 2 shown]
	v_mul_f32_e32 v14, v13, v13
	v_cndmask_b32_e64 v10, 0, v10, s[0:1]
	v_fmac_f32_e32 v14, v12, v12
	v_cndmask_b32_e64 v11, 0, v11, s[0:1]
	v_fmac_f32_e32 v14, v10, v10
	;; [unrolled: 2-line block ×3, first 2 shown]
	v_fmac_f32_e32 v14, v8, v8
	v_fmac_f32_e32 v14, v9, v9
	v_fmac_f32_e32 v14, v6, v6
	v_fmac_f32_e32 v14, v7, v7
	v_bfrev_b32_e32 v16, 0.5
	s_load_dwordx2 s[2:3], s[4:5], 0x18
	v_mov_b32_dpp v15, v14 quad_perm:[1,0,3,2] row_mask:0xf bank_mask:0xf
	v_add_f32_e32 v14, v14, v15
	s_nop 1
	v_mov_b32_dpp v15, v14 quad_perm:[2,3,0,1] row_mask:0xf bank_mask:0xf
	v_add_f32_e32 v14, v14, v15
	s_nop 1
	v_mov_b32_dpp v15, v14 row_half_mirror row_mask:0xf bank_mask:0xf
	v_add_f32_e32 v14, v14, v15
	s_nop 1
	v_mov_b32_dpp v15, v14 row_mirror row_mask:0xf bank_mask:0xf
	v_add_f32_e32 v14, v14, v15
	s_nop 1
	v_mov_b32_dpp v15, v14 row_bcast:15 row_mask:0xf bank_mask:0xf
	v_add_f32_e32 v14, v14, v15
	s_nop 1
	v_mov_b32_dpp v15, v14 row_bcast:31 row_mask:0xf bank_mask:0xf
	v_add_f32_e32 v15, v14, v15
	v_mbcnt_lo_u32_b32 v14, -1, 0
	v_mbcnt_hi_u32_b32 v14, -1, v14
	v_lshl_or_b32 v14, v14, 2, v16
	ds_bpermute_b32 v15, v14, v15
	s_and_saveexec_b64 s[14:15], s[0:1]
	s_cbranch_execz .LBB160_5
; %bb.4:
	v_cvt_f32_u32_e32 v16, s7
	v_mov_b32_e32 v17, s13
	v_mov_b32_e32 v18, s12
	v_cndmask_b32_e32 v17, v17, v18, vcc
	s_waitcnt lgkmcnt(0)
	v_div_scale_f32 v19, s[20:21], v16, v16, v15
	v_rcp_f32_e32 v20, v19
	v_div_scale_f32 v18, vcc, v15, v16, v15
	s_mov_b32 s7, 0x800000
	v_fma_f32 v21, -v19, v20, 1.0
	v_fmac_f32_e32 v20, v21, v20
	v_mul_f32_e32 v21, v18, v20
	v_fma_f32 v22, -v19, v21, v18
	v_fmac_f32_e32 v21, v22, v20
	v_fma_f32 v18, -v19, v21, v18
	v_div_fmas_f32 v18, v18, v20, v21
	v_div_fixup_f32 v15, v18, v16, v15
	v_add_f32_e32 v15, v17, v15
	v_mul_f32_e32 v16, 0x4b800000, v15
	v_cmp_gt_f32_e32 vcc, s7, v15
	v_cndmask_b32_e32 v15, v15, v16, vcc
	v_rsq_f32_e32 v15, v15
	s_waitcnt vmcnt(0)
	v_cvt_f32_u32_sdwa v19, v3 dst_sel:DWORD dst_unused:UNUSED_PAD src0_sel:WORD_1
	v_cvt_f32_u32_sdwa v18, v3 dst_sel:DWORD dst_unused:UNUSED_PAD src0_sel:WORD_0
	v_cvt_f32_u32_sdwa v3, v4 dst_sel:DWORD dst_unused:UNUSED_PAD src0_sel:WORD_1
	v_mul_f32_e32 v16, 0x45800000, v15
	v_cndmask_b32_e32 v16, v15, v16, vcc
	v_mov_b32_e32 v17, v16
	;;#ASMSTART
	v_pk_mul_f32 v[12:13], v[12:13], v[16:17]
	;;#ASMEND
	;;#ASMSTART
	v_pk_mul_f32 v[10:11], v[10:11], v[16:17]
	;;#ASMEND
	;; [unrolled: 3-line block ×4, first 2 shown]
	v_cvt_f32_u32_sdwa v17, v2 dst_sel:DWORD dst_unused:UNUSED_PAD src0_sel:WORD_1
	v_cvt_f32_u32_sdwa v16, v2 dst_sel:DWORD dst_unused:UNUSED_PAD src0_sel:WORD_0
	v_cvt_f32_u32_sdwa v2, v4 dst_sel:DWORD dst_unused:UNUSED_PAD src0_sel:WORD_0
	v_cvt_f32_u32_sdwa v21, v5 dst_sel:DWORD dst_unused:UNUSED_PAD src0_sel:WORD_1
	v_cvt_f32_u32_sdwa v20, v5 dst_sel:DWORD dst_unused:UNUSED_PAD src0_sel:WORD_0
	;;#ASMSTART
	v_pk_mul_f32 v[12:13], v[12:13], v[16:17]
	;;#ASMEND
	;;#ASMSTART
	v_pk_mul_f32 v[10:11], v[10:11], v[18:19]
	;;#ASMEND
	;; [unrolled: 3-line block ×4, first 2 shown]
.LBB160_5:
	s_or_b64 exec, exec, s[14:15]
	s_load_dwordx2 s[14:15], s[4:5], 0x7c
	s_mov_b64 s[20:21], -1
	s_and_b64 vcc, exec, s[10:11]
	s_cbranch_vccnz .LBB160_9
; %bb.6:
	s_andn2_b64 vcc, exec, s[20:21]
	s_cbranch_vccz .LBB160_12
.LBB160_7:
	s_cmp_lt_i32 s16, 1
	s_cbranch_scc0 .LBB160_15
.LBB160_8:
	s_endpgm
.LBB160_9:
	s_and_saveexec_b64 s[10:11], s[0:1]
	s_cbranch_execz .LBB160_11
; %bb.10:
	s_waitcnt lgkmcnt(0)
	s_mul_hi_i32 s21, s15, s6
	s_mul_i32 s20, s15, s6
	s_lshl_b64 s[20:21], s[20:21], 1
	s_add_u32 s20, s2, s20
	s_addc_u32 s7, s3, s21
	s_and_b32 s21, s7, 0xffff
	s_mov_b32 s7, 0x7060302
	s_mov_b32 s23, 0x20000
	s_waitcnt vmcnt(0)
	v_perm_b32 v2, v13, v12, s7
	v_perm_b32 v3, v11, v10, s7
	;; [unrolled: 1-line block ×4, first 2 shown]
	v_lshlrev_b32_e32 v15, 4, v0
	buffer_store_dwordx4 v[2:5], v15, s[20:23], 0 offen
	;;#ASMSTART
	s_nop 0
	;;#ASMEND
.LBB160_11:
	s_or_b64 exec, exec, s[10:11]
	s_cbranch_execnz .LBB160_7
.LBB160_12:
	s_and_saveexec_b64 s[10:11], s[0:1]
	s_cbranch_execz .LBB160_14
; %bb.13:
	s_load_dwordx2 s[0:1], s[4:5], 0x10
	s_waitcnt lgkmcnt(0)
	s_mul_hi_i32 s21, s14, s6
	s_mul_i32 s20, s14, s6
	s_lshl_b64 s[20:21], s[20:21], 1
	s_mov_b32 s23, 0x20000
	s_add_u32 s20, s0, s20
	s_addc_u32 s0, s1, s21
	s_and_b32 s21, s0, 0xffff
	s_mov_b32 s0, 0x7060302
	s_waitcnt vmcnt(0)
	v_perm_b32 v2, v13, v12, s0
	v_perm_b32 v3, v11, v10, s0
	;; [unrolled: 1-line block ×4, first 2 shown]
	v_lshlrev_b32_e32 v6, 4, v0
	buffer_store_dwordx4 v[2:5], v6, s[20:23], 0 offen
	;;#ASMSTART
	s_nop 0
	;;#ASMEND
.LBB160_14:
	s_or_b64 exec, exec, s[10:11]
	s_cmp_lt_i32 s16, 1
	s_cbranch_scc1 .LBB160_8
.LBB160_15:
	s_load_dword s0, s[4:5], 0x94
	s_waitcnt lgkmcnt(0)
	s_cmp_lg_u32 s0, 1
	s_cbranch_scc1 .LBB160_8
; %bb.16:
	s_lshl_b32 s0, s16, 1
	s_add_i32 s0, s0, 2
	v_cmp_gt_u32_e32 vcc, s16, v1
	s_and_b32 s10, s0, -4
	s_waitcnt vmcnt(0)
	v_mov_b32_e32 v4, 0
	v_lshlrev_b32_e32 v12, 4, v0
	v_mov_b32_e32 v5, 0
	v_mov_b32_e32 v6, 0
	;; [unrolled: 1-line block ×7, first 2 shown]
	s_barrier
	s_and_saveexec_b64 s[0:1], vcc
	s_cbranch_execz .LBB160_18
; %bb.17:
	s_mul_hi_i32 s5, s18, s6
	s_mul_i32 s4, s18, s6
	s_and_b32 s9, s9, 0xffff
	s_lshl_b64 s[4:5], s[4:5], 1
	s_add_u32 s20, s24, s4
	s_mov_b32 s11, 0x20000
	s_addc_u32 s4, s25, s5
	s_and_b32 s21, s4, 0xffff
	s_mov_b32 s22, s10
	s_mov_b32 s23, s11
	buffer_load_dwordx4 v[4:7], v12, s[20:23], 0 offen glc slc
	buffer_load_dwordx4 v[0:3], v12, s[8:11], 0 offen
.LBB160_18:
	s_or_b64 exec, exec, s[0:1]
	s_waitcnt vmcnt(1)
	v_cvt_f32_u32_sdwa v11, v4 dst_sel:DWORD dst_unused:UNUSED_PAD src0_sel:WORD_1
	v_cvt_f32_u32_sdwa v10, v4 dst_sel:DWORD dst_unused:UNUSED_PAD src0_sel:WORD_0
	v_cvt_f32_u32_sdwa v4, v7 dst_sel:DWORD dst_unused:UNUSED_PAD src0_sel:WORD_1
	v_cvt_f32_u32_sdwa v7, v7 dst_sel:DWORD dst_unused:UNUSED_PAD src0_sel:WORD_0
	;; [unrolled: 2-line block ×4, first 2 shown]
	v_cndmask_b32_e32 v11, 0, v11, vcc
	v_cndmask_b32_e32 v5, 0, v4, vcc
	;; [unrolled: 1-line block ×5, first 2 shown]
	v_mul_f32_e32 v13, v11, v11
	v_cndmask_b32_e32 v8, 0, v8, vcc
	v_fmac_f32_e32 v13, v10, v10
	v_cndmask_b32_e32 v9, 0, v9, vcc
	v_fmac_f32_e32 v13, v8, v8
	;; [unrolled: 2-line block ×3, first 2 shown]
	v_fmac_f32_e32 v13, v6, v6
	v_fmac_f32_e32 v13, v7, v7
	;; [unrolled: 1-line block ×4, first 2 shown]
	s_nop 1
	v_mov_b32_dpp v15, v13 quad_perm:[1,0,3,2] row_mask:0xf bank_mask:0xf
	v_add_f32_e32 v13, v13, v15
	s_nop 1
	v_mov_b32_dpp v15, v13 quad_perm:[2,3,0,1] row_mask:0xf bank_mask:0xf
	v_add_f32_e32 v13, v13, v15
	s_nop 1
	v_mov_b32_dpp v15, v13 row_half_mirror row_mask:0xf bank_mask:0xf
	v_add_f32_e32 v13, v13, v15
	s_nop 1
	v_mov_b32_dpp v15, v13 row_mirror row_mask:0xf bank_mask:0xf
	v_add_f32_e32 v13, v13, v15
	s_nop 1
	v_mov_b32_dpp v15, v13 row_bcast:15 row_mask:0xf bank_mask:0xf
	v_add_f32_e32 v13, v13, v15
	s_nop 1
	v_mov_b32_dpp v15, v13 row_bcast:31 row_mask:0xf bank_mask:0xf
	v_add_f32_e32 v13, v13, v15
	ds_bpermute_b32 v13, v14, v13
	s_and_saveexec_b64 s[0:1], vcc
	s_cbranch_execz .LBB160_8
; %bb.19:
	v_cvt_f32_u32_e32 v14, s16
	s_mov_b32 s11, 0x20000
	s_waitcnt lgkmcnt(0)
	v_div_scale_f32 v15, s[0:1], v14, v14, v13
	v_rcp_f32_e32 v16, v15
	v_div_scale_f32 v17, vcc, v13, v14, v13
	s_mov_b32 s0, 0x800000
	v_fma_f32 v18, -v15, v16, 1.0
	v_fmac_f32_e32 v16, v18, v16
	v_mul_f32_e32 v18, v17, v16
	v_fma_f32 v19, -v15, v18, v17
	v_fmac_f32_e32 v18, v19, v16
	v_fma_f32 v15, -v15, v18, v17
	v_div_fmas_f32 v15, v15, v16, v18
	v_div_fixup_f32 v13, v15, v14, v13
	v_add_f32_e32 v13, s13, v13
	v_mul_f32_e32 v14, 0x4b800000, v13
	v_cmp_gt_f32_e32 vcc, s0, v13
	v_cndmask_b32_e32 v13, v13, v14, vcc
	v_rsq_f32_e32 v13, v13
	s_mul_hi_i32 s1, s15, s6
	s_mul_i32 s0, s15, s6
	s_lshl_b64 s[0:1], s[0:1], 1
	v_mul_f32_e32 v14, 0x45800000, v13
	v_cndmask_b32_e32 v14, v13, v14, vcc
	s_add_u32 s8, s2, s0
	v_mov_b32_e32 v15, v14
	s_addc_u32 s0, s3, s1
	;;#ASMSTART
	v_pk_mul_f32 v[10:11], v[10:11], v[14:15]
	;;#ASMEND
	;;#ASMSTART
	v_pk_mul_f32 v[8:9], v[8:9], v[14:15]
	;;#ASMEND
	;; [unrolled: 3-line block ×4, first 2 shown]
	s_waitcnt vmcnt(0)
	v_cvt_f32_u32_sdwa v15, v0 dst_sel:DWORD dst_unused:UNUSED_PAD src0_sel:WORD_1
	v_cvt_f32_u32_sdwa v14, v0 dst_sel:DWORD dst_unused:UNUSED_PAD src0_sel:WORD_0
	v_cvt_f32_u32_sdwa v17, v1 dst_sel:DWORD dst_unused:UNUSED_PAD src0_sel:WORD_1
	v_cvt_f32_u32_sdwa v16, v1 dst_sel:DWORD dst_unused:UNUSED_PAD src0_sel:WORD_0
	v_cvt_f32_u32_sdwa v1, v2 dst_sel:DWORD dst_unused:UNUSED_PAD src0_sel:WORD_1
	v_cvt_f32_u32_sdwa v0, v2 dst_sel:DWORD dst_unused:UNUSED_PAD src0_sel:WORD_0
	v_cvt_f32_u32_sdwa v19, v3 dst_sel:DWORD dst_unused:UNUSED_PAD src0_sel:WORD_1
	v_cvt_f32_u32_sdwa v18, v3 dst_sel:DWORD dst_unused:UNUSED_PAD src0_sel:WORD_0
	;;#ASMSTART
	v_pk_mul_f32 v[2:3], v[10:11], v[14:15]
	;;#ASMEND
	s_and_b32 s9, s0, 0xffff
	s_mov_b32 s0, 0x7060302
	;;#ASMSTART
	v_pk_mul_f32 v[8:9], v[8:9], v[16:17]
	;;#ASMEND
	;;#ASMSTART
	v_pk_mul_f32 v[6:7], v[6:7], v[0:1]
	;;#ASMEND
	;; [unrolled: 3-line block ×3, first 2 shown]
	v_perm_b32 v0, v3, v2, s0
	v_perm_b32 v1, v9, v8, s0
	;; [unrolled: 1-line block ×4, first 2 shown]
	buffer_store_dwordx4 v[0:3], v12, s[8:11], 0 offen
	;;#ASMSTART
	s_nop 0
	;;#ASMEND
	s_endpgm
	.section	.rodata,"a",@progbits
	.p2align	6, 0x0
	.amdhsa_kernel _ZN5aiter35fused_qk_rmsnorm_group_quant_kernelItN4opus5fp4_tELi64ELi8ELi8ELb0ELb1ELb0ELb1ELb0ELb0EEEvPT0_PvPT_S7_S7_PKS6_S9_S9_S9_S9_ffiiiiiiiiiiiii
		.amdhsa_group_segment_fixed_size 0
		.amdhsa_private_segment_fixed_size 0
		.amdhsa_kernarg_size 400
		.amdhsa_user_sgpr_count 6
		.amdhsa_user_sgpr_private_segment_buffer 1
		.amdhsa_user_sgpr_dispatch_ptr 0
		.amdhsa_user_sgpr_queue_ptr 0
		.amdhsa_user_sgpr_kernarg_segment_ptr 1
		.amdhsa_user_sgpr_dispatch_id 0
		.amdhsa_user_sgpr_flat_scratch_init 0
		.amdhsa_user_sgpr_kernarg_preload_length 0
		.amdhsa_user_sgpr_kernarg_preload_offset 0
		.amdhsa_user_sgpr_private_segment_size 0
		.amdhsa_uses_dynamic_stack 0
		.amdhsa_system_sgpr_private_segment_wavefront_offset 0
		.amdhsa_system_sgpr_workgroup_id_x 1
		.amdhsa_system_sgpr_workgroup_id_y 1
		.amdhsa_system_sgpr_workgroup_id_z 0
		.amdhsa_system_sgpr_workgroup_info 0
		.amdhsa_system_vgpr_workitem_id 0
		.amdhsa_next_free_vgpr 23
		.amdhsa_next_free_sgpr 32
		.amdhsa_accum_offset 24
		.amdhsa_reserve_vcc 1
		.amdhsa_reserve_flat_scratch 0
		.amdhsa_float_round_mode_32 0
		.amdhsa_float_round_mode_16_64 0
		.amdhsa_float_denorm_mode_32 3
		.amdhsa_float_denorm_mode_16_64 3
		.amdhsa_dx10_clamp 1
		.amdhsa_ieee_mode 1
		.amdhsa_fp16_overflow 0
		.amdhsa_tg_split 0
		.amdhsa_exception_fp_ieee_invalid_op 0
		.amdhsa_exception_fp_denorm_src 0
		.amdhsa_exception_fp_ieee_div_zero 0
		.amdhsa_exception_fp_ieee_overflow 0
		.amdhsa_exception_fp_ieee_underflow 0
		.amdhsa_exception_fp_ieee_inexact 0
		.amdhsa_exception_int_div_zero 0
	.end_amdhsa_kernel
	.section	.text._ZN5aiter35fused_qk_rmsnorm_group_quant_kernelItN4opus5fp4_tELi64ELi8ELi8ELb0ELb1ELb0ELb1ELb0ELb0EEEvPT0_PvPT_S7_S7_PKS6_S9_S9_S9_S9_ffiiiiiiiiiiiii,"axG",@progbits,_ZN5aiter35fused_qk_rmsnorm_group_quant_kernelItN4opus5fp4_tELi64ELi8ELi8ELb0ELb1ELb0ELb1ELb0ELb0EEEvPT0_PvPT_S7_S7_PKS6_S9_S9_S9_S9_ffiiiiiiiiiiiii,comdat
.Lfunc_end160:
	.size	_ZN5aiter35fused_qk_rmsnorm_group_quant_kernelItN4opus5fp4_tELi64ELi8ELi8ELb0ELb1ELb0ELb1ELb0ELb0EEEvPT0_PvPT_S7_S7_PKS6_S9_S9_S9_S9_ffiiiiiiiiiiiii, .Lfunc_end160-_ZN5aiter35fused_qk_rmsnorm_group_quant_kernelItN4opus5fp4_tELi64ELi8ELi8ELb0ELb1ELb0ELb1ELb0ELb0EEEvPT0_PvPT_S7_S7_PKS6_S9_S9_S9_S9_ffiiiiiiiiiiiii
                                        ; -- End function
	.section	.AMDGPU.csdata,"",@progbits
; Kernel info:
; codeLenInByte = 1904
; NumSgprs: 36
; NumVgprs: 23
; NumAgprs: 0
; TotalNumVgprs: 23
; ScratchSize: 0
; MemoryBound: 0
; FloatMode: 240
; IeeeMode: 1
; LDSByteSize: 0 bytes/workgroup (compile time only)
; SGPRBlocks: 4
; VGPRBlocks: 2
; NumSGPRsForWavesPerEU: 36
; NumVGPRsForWavesPerEU: 23
; AccumOffset: 24
; Occupancy: 8
; WaveLimiterHint : 0
; COMPUTE_PGM_RSRC2:SCRATCH_EN: 0
; COMPUTE_PGM_RSRC2:USER_SGPR: 6
; COMPUTE_PGM_RSRC2:TRAP_HANDLER: 0
; COMPUTE_PGM_RSRC2:TGID_X_EN: 1
; COMPUTE_PGM_RSRC2:TGID_Y_EN: 1
; COMPUTE_PGM_RSRC2:TGID_Z_EN: 0
; COMPUTE_PGM_RSRC2:TIDIG_COMP_CNT: 0
; COMPUTE_PGM_RSRC3_GFX90A:ACCUM_OFFSET: 5
; COMPUTE_PGM_RSRC3_GFX90A:TG_SPLIT: 0
	.section	.text._ZN5aiter35fused_qk_rmsnorm_group_quant_kernelIDF16_DB8_Li64ELi8ELi8ELb1ELb1ELb1ELb0ELb0ELb0EEEvPT0_PvPT_S6_S6_PKS5_S8_S8_S8_S8_ffiiiiiiiiiiiii,"axG",@progbits,_ZN5aiter35fused_qk_rmsnorm_group_quant_kernelIDF16_DB8_Li64ELi8ELi8ELb1ELb1ELb1ELb0ELb0ELb0EEEvPT0_PvPT_S6_S6_PKS5_S8_S8_S8_S8_ffiiiiiiiiiiiii,comdat
	.protected	_ZN5aiter35fused_qk_rmsnorm_group_quant_kernelIDF16_DB8_Li64ELi8ELi8ELb1ELb1ELb1ELb0ELb0ELb0EEEvPT0_PvPT_S6_S6_PKS5_S8_S8_S8_S8_ffiiiiiiiiiiiii ; -- Begin function _ZN5aiter35fused_qk_rmsnorm_group_quant_kernelIDF16_DB8_Li64ELi8ELi8ELb1ELb1ELb1ELb0ELb0ELb0EEEvPT0_PvPT_S6_S6_PKS5_S8_S8_S8_S8_ffiiiiiiiiiiiii
	.globl	_ZN5aiter35fused_qk_rmsnorm_group_quant_kernelIDF16_DB8_Li64ELi8ELi8ELb1ELb1ELb1ELb0ELb0ELb0EEEvPT0_PvPT_S6_S6_PKS5_S8_S8_S8_S8_ffiiiiiiiiiiiii
	.p2align	8
	.type	_ZN5aiter35fused_qk_rmsnorm_group_quant_kernelIDF16_DB8_Li64ELi8ELi8ELb1ELb1ELb1ELb0ELb0ELb0EEEvPT0_PvPT_S6_S6_PKS5_S8_S8_S8_S8_ffiiiiiiiiiiiii,@function
_ZN5aiter35fused_qk_rmsnorm_group_quant_kernelIDF16_DB8_Li64ELi8ELi8ELb1ELb1ELb1ELb0ELb0ELb0EEEvPT0_PvPT_S6_S6_PKS5_S8_S8_S8_S8_ffiiiiiiiiiiiii: ; @_ZN5aiter35fused_qk_rmsnorm_group_quant_kernelIDF16_DB8_Li64ELi8ELi8ELb1ELb1ELb1ELb0ELb0ELb0EEEvPT0_PvPT_S6_S6_PKS5_S8_S8_S8_S8_ffiiiiiiiiiiiii
; %bb.0:
	s_load_dwordx8 s[16:23], s[4:5], 0x50
	s_waitcnt lgkmcnt(0)
	s_cmp_ge_i32 s6, s18
	s_cbranch_scc1 .LBB161_15
; %bb.1:
	s_cmp_lg_u32 s7, 0
	s_cselect_b64 s[2:3], -1, 0
	s_cmp_eq_u32 s7, 0
	s_cselect_b64 s[26:27], -1, 0
	s_and_b64 s[0:1], s[26:27], exec
	s_load_dwordx2 s[24:25], s[4:5], 0x48
	s_load_dwordx2 s[34:35], s[4:5], 0x30
	s_load_dwordx8 s[8:15], s[4:5], 0x70
	s_cselect_b32 s7, s19, s20
	s_add_i32 s0, s7, 1
	s_lshr_b32 s1, s0, 31
	s_add_i32 s0, s0, s1
	s_lshl_b32 s0, s0, 1
	v_lshlrev_b32_e32 v1, 3, v0
	s_and_b32 s30, s0, -4
	v_cmp_gt_i32_e64 s[0:1], s7, v1
	v_mov_b32_e32 v20, 0
	v_mov_b32_e32 v21, 0
	v_mov_b32_e32 v22, 0
	v_mov_b32_e32 v23, 0
	v_mov_b32_e32 v24, 0
	v_mov_b32_e32 v25, 0
	v_mov_b32_e32 v26, 0
	v_mov_b32_e32 v27, 0
	s_waitcnt lgkmcnt(0)
	s_and_saveexec_b64 s[14:15], s[0:1]
	s_cbranch_execz .LBB161_3
; %bb.2:
	s_load_dwordx2 s[28:29], s[4:5], 0x28
	s_load_dwordx2 s[38:39], s[4:5], 0x40
	s_and_b64 s[36:37], s[26:27], exec
	s_cselect_b32 s18, s21, s22
	v_lshlrev_b32_e32 v2, 4, v0
	s_waitcnt lgkmcnt(0)
	s_cselect_b32 s21, s29, s35
	s_cselect_b32 s31, s28, s34
	s_mul_hi_i32 s29, s18, s6
	s_mul_i32 s28, s18, s6
	s_lshl_b64 s[28:29], s[28:29], 1
	s_add_u32 s36, s31, s28
	s_addc_u32 s18, s21, s29
	s_and_b64 s[26:27], s[26:27], exec
	s_mov_b32 s31, 0x20000
	s_cselect_b32 s28, s38, s24
	s_cselect_b32 s21, s39, s25
	s_and_b32 s37, s18, 0xffff
	s_mov_b32 s38, s30
	s_mov_b32 s39, s31
	s_and_b32 s29, s21, 0xffff
	buffer_load_dwordx4 v[24:27], v2, s[36:39], 0 offen glc slc
	buffer_load_dwordx4 v[20:23], v2, s[28:31], 0 offen
.LBB161_3:
	s_or_b64 exec, exec, s[14:15]
	s_and_b64 vcc, exec, s[2:3]
	s_cbranch_vccz .LBB161_7
; %bb.4:
	v_mov_b32_e32 v29, 0
	v_mov_b32_e32 v28, 0
	;; [unrolled: 1-line block ×8, first 2 shown]
	s_and_saveexec_b64 s[14:15], s[0:1]
	s_cbranch_execz .LBB161_6
; %bb.5:
	s_waitcnt vmcnt(1)
	v_cvt_f32_f16_sdwa v11, v24 dst_sel:DWORD dst_unused:UNUSED_PAD src0_sel:WORD_1
	v_cvt_f32_f16_e32 v10, v24
	v_cvt_f32_f16_sdwa v15, v25 dst_sel:DWORD dst_unused:UNUSED_PAD src0_sel:WORD_1
	v_cvt_f32_f16_e32 v14, v25
	;; [unrolled: 2-line block ×4, first 2 shown]
.LBB161_6:
	s_or_b64 exec, exec, s[14:15]
	s_mov_b32 s18, s17
	s_cbranch_execz .LBB161_8
	s_branch .LBB161_11
.LBB161_7:
                                        ; implicit-def: $vgpr10_vgpr11_vgpr12_vgpr13_vgpr14_vgpr15_vgpr16_vgpr17
                                        ; implicit-def: $vgpr29
                                        ; implicit-def: $vgpr12_vgpr13_vgpr14_vgpr15_vgpr16_vgpr17_vgpr18_vgpr19
                                        ; implicit-def: $vgpr2_vgpr3_vgpr4_vgpr5_vgpr6_vgpr7_vgpr8_vgpr9
	s_mov_b32 s18, s17
.LBB161_8:
	v_mov_b32_e32 v29, 0
	v_mov_b32_e32 v28, 0
	;; [unrolled: 1-line block ×8, first 2 shown]
	s_and_saveexec_b64 s[14:15], s[0:1]
	s_cbranch_execz .LBB161_10
; %bb.9:
	s_load_dwordx2 s[26:27], s[4:5], 0x38
	s_mul_hi_i32 s29, s23, s6
	s_mul_i32 s28, s23, s6
	s_lshl_b64 s[28:29], s[28:29], 1
	s_mov_b32 s31, 0x20000
	s_waitcnt lgkmcnt(0)
	s_add_u32 s28, s26, s28
	s_addc_u32 s18, s27, s29
	s_and_b32 s29, s18, 0xffff
	v_lshlrev_b32_e32 v30, 4, v0
	buffer_load_dwordx4 v[2:5], v30, s[28:31], 0 offen glc slc
	s_waitcnt vmcnt(2)
	v_cvt_f32_f16_sdwa v7, v24 dst_sel:DWORD dst_unused:UNUSED_PAD src0_sel:WORD_1
	v_cvt_f32_f16_e32 v6, v24
	v_cvt_f32_f16_sdwa v9, v25 dst_sel:DWORD dst_unused:UNUSED_PAD src0_sel:WORD_1
	v_cvt_f32_f16_e32 v8, v25
	;; [unrolled: 2-line block ×4, first 2 shown]
	s_load_dwordx2 s[26:27], s[4:5], 0x20
	s_mul_hi_i32 s29, s13, s6
	s_mul_i32 s28, s13, s6
	s_lshl_b64 s[28:29], s[28:29], 1
	s_waitcnt lgkmcnt(0)
	s_add_u32 s28, s26, s28
	s_addc_u32 s13, s27, s29
	s_and_b32 s29, s13, 0xffff
	s_waitcnt vmcnt(0)
	v_cvt_f32_f16_e32 v10, v2
	v_cvt_f32_f16_sdwa v11, v2 dst_sel:DWORD dst_unused:UNUSED_PAD src0_sel:WORD_1
	v_cvt_f32_f16_e32 v2, v3
	v_cvt_f32_f16_sdwa v3, v3 dst_sel:DWORD dst_unused:UNUSED_PAD src0_sel:WORD_1
	v_cvt_f32_f16_e32 v18, v4
	v_cvt_f32_f16_sdwa v19, v4 dst_sel:DWORD dst_unused:UNUSED_PAD src0_sel:WORD_1
	v_cvt_f32_f16_e32 v4, v5
	v_cvt_f32_f16_sdwa v5, v5 dst_sel:DWORD dst_unused:UNUSED_PAD src0_sel:WORD_1
	v_pk_add_f32 v[10:11], v[6:7], v[10:11]
	v_pk_add_f32 v[14:15], v[8:9], v[2:3]
	;; [unrolled: 1-line block ×4, first 2 shown]
	v_cvt_f16_f32_e32 v2, v11
	v_cvt_f16_f32_e32 v3, v15
	;; [unrolled: 1-line block ×8, first 2 shown]
	v_pack_b32_f16 v5, v8, v5
	v_pack_b32_f16 v4, v9, v4
	;; [unrolled: 1-line block ×4, first 2 shown]
	buffer_store_dwordx4 v[2:5], v30, s[28:31], 0 offen glc slc
	;;#ASMSTART
	s_nop 0
	;;#ASMEND
.LBB161_10:
	s_or_b64 exec, exec, s[14:15]
	s_mov_b32 s18, s16
.LBB161_11:
	v_mul_f32_e32 v2, v11, v11
	v_fmac_f32_e32 v2, v10, v10
	v_fmac_f32_e32 v2, v14, v14
	;; [unrolled: 1-line block ×7, first 2 shown]
	v_bfrev_b32_e32 v4, 0.5
	s_load_dwordx2 s[14:15], s[4:5], 0x18
	v_mov_b32_dpp v3, v2 quad_perm:[1,0,3,2] row_mask:0xf bank_mask:0xf
	v_add_f32_e32 v2, v2, v3
	s_nop 1
	v_mov_b32_dpp v3, v2 quad_perm:[2,3,0,1] row_mask:0xf bank_mask:0xf
	v_add_f32_e32 v2, v2, v3
	s_nop 1
	v_mov_b32_dpp v3, v2 row_half_mirror row_mask:0xf bank_mask:0xf
	v_add_f32_e32 v2, v2, v3
	s_nop 1
	v_mov_b32_dpp v3, v2 row_mirror row_mask:0xf bank_mask:0xf
	v_add_f32_e32 v2, v2, v3
	s_nop 1
	v_mov_b32_dpp v3, v2 row_bcast:15 row_mask:0xf bank_mask:0xf
	v_add_f32_e32 v2, v2, v3
	s_nop 1
	v_mov_b32_dpp v3, v2 row_bcast:31 row_mask:0xf bank_mask:0xf
	v_add_f32_e32 v2, v2, v3
	v_mbcnt_lo_u32_b32 v3, -1, 0
	v_mbcnt_hi_u32_b32 v3, -1, v3
	v_lshl_or_b32 v16, v3, 2, v4
	ds_bpermute_b32 v2, v16, v2
	s_and_saveexec_b64 s[26:27], s[0:1]
	s_cbranch_execnz .LBB161_16
; %bb.12:
	s_or_b64 exec, exec, s[26:27]
	s_mov_b64 s[26:27], -1
	s_and_b64 vcc, exec, s[2:3]
	s_cbranch_vccnz .LBB161_17
.LBB161_13:
	s_andn2_b64 vcc, exec, s[26:27]
	s_cbranch_vccz .LBB161_20
.LBB161_14:
	s_cmp_lt_i32 s20, 1
	s_cbranch_scc0 .LBB161_29
.LBB161_15:
	s_endpgm
.LBB161_16:
	v_cvt_f32_u32_e32 v3, s7
	s_mov_b32 s7, 0x800000
	s_waitcnt vmcnt(0)
	v_cvt_f32_f16_sdwa v19, v23 dst_sel:DWORD dst_unused:UNUSED_PAD src0_sel:WORD_1
	v_cvt_f32_f16_e32 v18, v23
	s_waitcnt lgkmcnt(0)
	v_div_scale_f32 v4, s[28:29], v3, v3, v2
	v_rcp_f32_e32 v5, v4
	v_div_scale_f32 v8, vcc, v2, v3, v2
	v_fma_f32 v9, -v4, v5, 1.0
	v_fmac_f32_e32 v5, v9, v5
	v_mul_f32_e32 v9, v8, v5
	v_fma_f32 v12, -v4, v9, v8
	v_fmac_f32_e32 v9, v12, v5
	v_fma_f32 v4, -v4, v9, v8
	v_div_fmas_f32 v4, v4, v5, v9
	v_div_fixup_f32 v2, v4, v3, v2
	v_add_f32_e32 v2, s18, v2
	v_mul_f32_e32 v3, 0x4b800000, v2
	v_cmp_gt_f32_e32 vcc, s7, v2
	v_cndmask_b32_e32 v2, v2, v3, vcc
	v_rsq_f32_e32 v2, v2
	v_cvt_f32_f16_sdwa v3, v20 dst_sel:DWORD dst_unused:UNUSED_PAD src0_sel:WORD_1
	v_mul_f32_e32 v4, 0x45800000, v2
	v_cndmask_b32_e32 v4, v2, v4, vcc
	v_cvt_f32_f16_e32 v2, v20
	v_mov_b32_e32 v5, v4
	;;#ASMSTART
	v_pk_mul_f32 v[8:9], v[10:11], v[4:5]
	;;#ASMEND
	;;#ASMSTART
	v_pk_mul_f32 v[12:13], v[14:15], v[4:5]
	;;#ASMEND
	v_cvt_f32_f16_sdwa v15, v21 dst_sel:DWORD dst_unused:UNUSED_PAD src0_sel:WORD_1
	v_cvt_f32_f16_e32 v14, v21
	;;#ASMSTART
	v_pk_mul_f32 v[6:7], v[6:7], v[4:5]
	;;#ASMEND
	;;#ASMSTART
	v_pk_mul_f32 v[4:5], v[28:29], v[4:5]
	;;#ASMEND
	v_pk_add_f32 v[2:3], v[2:3], 1.0 op_sel_hi:[1,0]
	;;#ASMSTART
	v_pk_mul_f32 v[10:11], v[8:9], v[2:3]
	;;#ASMEND
	v_cvt_f32_f16_sdwa v9, v22 dst_sel:DWORD dst_unused:UNUSED_PAD src0_sel:WORD_1
	v_cvt_f32_f16_e32 v8, v22
	v_pk_add_f32 v[2:3], v[14:15], 1.0 op_sel_hi:[1,0]
	;;#ASMSTART
	v_pk_mul_f32 v[14:15], v[12:13], v[2:3]
	;;#ASMEND
	v_pk_add_f32 v[2:3], v[8:9], 1.0 op_sel_hi:[1,0]
	;;#ASMSTART
	v_pk_mul_f32 v[6:7], v[6:7], v[2:3]
	;;#ASMEND
	;; [unrolled: 4-line block ×3, first 2 shown]
	s_or_b64 exec, exec, s[26:27]
	s_mov_b64 s[26:27], -1
	s_and_b64 vcc, exec, s[2:3]
	s_cbranch_vccz .LBB161_13
.LBB161_17:
	s_and_saveexec_b64 s[2:3], s[0:1]
	s_cbranch_execz .LBB161_19
; %bb.18:
	s_mul_hi_i32 s27, s12, s6
	s_mul_i32 s26, s12, s6
	s_waitcnt lgkmcnt(0)
	v_cvt_f16_f32_e32 v2, v10
	v_cvt_f16_f32_e32 v3, v14
	;; [unrolled: 1-line block ×8, first 2 shown]
	s_lshl_b64 s[26:27], s[26:27], 1
	s_add_u32 s28, s14, s26
	s_addc_u32 s7, s15, s27
	s_and_b32 s29, s7, 0xffff
	s_mov_b32 s31, 0x20000
	v_pack_b32_f16 v5, v5, v8
	v_pack_b32_f16 v4, v4, v9
	;; [unrolled: 1-line block ×4, first 2 shown]
	v_lshlrev_b32_e32 v8, 4, v0
	buffer_store_dwordx4 v[2:5], v8, s[28:31], 0 offen
	;;#ASMSTART
	s_nop 0
	;;#ASMEND
.LBB161_19:
	s_or_b64 exec, exec, s[2:3]
	s_cbranch_execnz .LBB161_14
.LBB161_20:
	s_waitcnt lgkmcnt(0)
	v_mov_b32_e32 v2, 0
	s_and_saveexec_b64 s[2:3], s[0:1]
	s_cbranch_execz .LBB161_22
; %bb.21:
	s_load_dwordx2 s[26:27], s[4:5], 0x10
	s_mul_hi_i32 s29, s11, s6
	s_mul_i32 s28, s11, s6
	v_cvt_f16_f32_e32 v2, v10
	v_cvt_f16_f32_e32 v3, v14
	;; [unrolled: 1-line block ×8, first 2 shown]
	s_lshl_b64 s[28:29], s[28:29], 1
	s_waitcnt lgkmcnt(0)
	s_add_u32 s28, s26, s28
	s_addc_u32 s7, s27, s29
	s_mov_b32 s31, 0x20000
	s_and_b32 s29, s7, 0xffff
	v_pack_b32_f16 v5, v5, v8
	v_pack_b32_f16 v4, v4, v9
	v_pack_b32_f16 v3, v3, v12
	v_pack_b32_f16 v2, v2, v13
	v_lshlrev_b32_e32 v8, 4, v0
	buffer_store_dwordx4 v[2:5], v8, s[28:31], 0 offen
	;;#ASMSTART
	s_nop 0
	;;#ASMEND
	s_nop 0
	v_mov_b32_e32 v2, 0x2edbe6ff
.LBB161_22:
	s_or_b64 exec, exec, s[2:3]
	s_and_saveexec_b64 s[2:3], s[0:1]
	s_cbranch_execz .LBB161_24
; %bb.23:
	v_and_b32_e32 v3, 0x7fffffff, v10
	v_and_b32_e32 v4, 0x7fffffff, v11
	;;#ASMSTART
	v_max3_f32 v2, v2, v3, v4

	;;#ASMEND
	v_and_b32_e32 v3, 0x7fffffff, v14
	v_and_b32_e32 v4, 0x7fffffff, v15
	;;#ASMSTART
	v_max3_f32 v2, v2, v3, v4

	;;#ASMEND
	;; [unrolled: 6-line block ×4, first 2 shown]
.LBB161_24:
	s_or_b64 exec, exec, s[2:3]
	;;#ASMSTART
	v_max_f32 v3, v2, v2 quad_perm:[1,0,3,2] row_mask:0xf bank_mask:0xf bound_ctrl:1
	;;#ASMEND
	;;#ASMSTART
	v_max_f32 v2, v3, v3 quad_perm:[2,3,0,1] row_mask:0xf bank_mask:0xf bound_ctrl:1
	;;#ASMEND
	;;#ASMSTART
	v_max_f32 v3, v2, v2 row_half_mirror row_mask:0xf bank_mask:0xf bound_ctrl:1
	;;#ASMEND
	v_mul_f32_e32 v2, 0x3b124925, v3
	v_and_b32_e32 v3, 7, v0
	v_cmp_eq_u32_e32 vcc, 0, v3
	v_cmp_gt_i32_e64 s[2:3], s19, v1
	s_and_b64 s[26:27], vcc, s[2:3]
	s_and_saveexec_b64 s[2:3], s[26:27]
	s_cbranch_execz .LBB161_26
; %bb.25:
	s_load_dwordx2 s[26:27], s[4:5], 0x8
	v_lshrrev_b32_e32 v3, 3, v0
	s_mul_hi_i32 s29, s9, s6
	s_mul_i32 s28, s9, s6
	v_mad_i64_i32 v[4:5], s[10:11], s10, v3, 0
	s_lshl_b64 s[10:11], s[28:29], 2
	s_waitcnt lgkmcnt(0)
	s_add_u32 s7, s26, s10
	s_addc_u32 s9, s27, s11
	v_lshlrev_b64 v[4:5], 2, v[4:5]
	v_mov_b32_e32 v3, s9
	v_add_co_u32_e32 v4, vcc, s7, v4
	v_addc_co_u32_e32 v5, vcc, v3, v5, vcc
	global_store_dword v[4:5], v2, off
.LBB161_26:
	s_or_b64 exec, exec, s[2:3]
	;;#ASMSTART
	v_rcp_f32 v2, v2
	;;#ASMEND
	s_and_saveexec_b64 s[10:11], s[0:1]
	s_cbranch_execz .LBB161_28
; %bb.27:
	v_mov_b32_e32 v3, v2
	;;#ASMSTART
	v_pk_mul_f32 v[4:5], v[10:11], v[2:3]
	;;#ASMEND
	s_load_dwordx2 s[0:1], s[4:5], 0x0
	v_mov_b32_e32 v8, 0xc3e00000
	v_mov_b32_e32 v9, 0x43e00000
	;;#ASMSTART
	v_med3_f32 v4, v4, v8, v9
v_med3_f32 v5, v5, v8, v9
v_cvt_pk_fp8_f32 v10, v4, v5
	;;#ASMEND
	;;#ASMSTART
	v_pk_mul_f32 v[4:5], v[14:15], v[2:3]
	;;#ASMEND
	s_mul_hi_i32 s2, s8, s6
	s_mul_i32 s3, s8, s6
	;;#ASMSTART
	v_med3_f32 v4, v4, v8, v9
v_med3_f32 v5, v5, v8, v9
v_cvt_pk_fp8_f32 v11, v4, v5
	;;#ASMEND
	s_mov_b32 s8, 0x5040100
	v_perm_b32 v5, v11, v10, s8
	s_movk_i32 s8, 0xff
	v_and_b32_e32 v4, 0xffffff00, v11
	v_and_b32_sdwa v10, v5, s8 dst_sel:DWORD dst_unused:UNUSED_PAD src0_sel:WORD_1 src1_sel:DWORD
	s_mov_b32 s7, 0xffff
	s_waitcnt lgkmcnt(0)
	s_add_u32 s0, s0, s3
	v_or_b32_sdwa v4, v10, v4 dst_sel:WORD_1 dst_unused:UNUSED_PAD src0_sel:DWORD src1_sel:DWORD
	s_addc_u32 s1, s1, s2
	s_add_i32 s2, s19, 3
	v_and_or_b32 v4, v5, s7, v4
	;;#ASMSTART
	v_pk_mul_f32 v[6:7], v[6:7], v[2:3]
	;;#ASMEND
	v_mov_b32_e32 v5, v7
	s_ashr_i32 s3, s2, 31
	;;#ASMSTART
	v_med3_f32 v6, v6, v8, v9
v_med3_f32 v5, v5, v8, v9
v_cvt_pk_fp8_f32 v7, v6, v5
	;;#ASMEND
	;;#ASMSTART
	v_pk_mul_f32 v[2:3], v[28:29], v[2:3]
	;;#ASMEND
	s_lshr_b32 s3, s3, 30
	;;#ASMSTART
	v_med3_f32 v2, v2, v8, v9
v_med3_f32 v3, v3, v8, v9
v_cvt_pk_fp8_f32 v5, v2, v3
	;;#ASMEND
	s_add_i32 s2, s2, s3
	v_lshlrev_b32_e32 v2, 16, v5
	s_and_b32 s2, s2, -4
	s_and_b32 s1, s1, 0xffff
	s_mov_b32 s3, 0x20000
	v_and_or_b32 v5, v7, s7, v2
	buffer_store_dwordx2 v[4:5], v1, s[0:3], 0 offen
	;;#ASMSTART
	s_nop 0
	;;#ASMEND
.LBB161_28:
	s_or_b64 exec, exec, s[10:11]
	s_cmp_lt_i32 s20, 1
	s_cbranch_scc1 .LBB161_15
.LBB161_29:
	s_load_dword s0, s[4:5], 0x94
	s_waitcnt lgkmcnt(0)
	s_cmp_lg_u32 s0, 1
	s_cbranch_scc1 .LBB161_15
; %bb.30:
	s_lshl_b32 s0, s20, 1
	s_add_i32 s0, s0, 2
	v_cmp_gt_u32_e32 vcc, s20, v1
	s_and_b32 s26, s0, -4
	v_mov_b32_e32 v8, 0
	v_lshlrev_b32_e32 v17, 4, v0
	v_mov_b32_e32 v4, 0
	v_mov_b32_e32 v5, 0
	;; [unrolled: 1-line block ×8, first 2 shown]
	s_barrier
	s_and_saveexec_b64 s[0:1], vcc
	s_cbranch_execz .LBB161_32
; %bb.31:
	s_mul_hi_i32 s3, s22, s6
	s_mul_i32 s2, s22, s6
	s_and_b32 s25, s25, 0xffff
	s_lshl_b64 s[2:3], s[2:3], 1
	s_add_u32 s8, s34, s2
	s_mov_b32 s27, 0x20000
	s_addc_u32 s2, s35, s3
	s_and_b32 s9, s2, 0xffff
	s_mov_b32 s10, s26
	s_mov_b32 s11, s27
	buffer_load_dwordx4 v[4:7], v17, s[8:11], 0 offen glc slc
	buffer_load_dwordx4 v[0:3], v17, s[24:27], 0 offen
.LBB161_32:
	s_or_b64 exec, exec, s[0:1]
	v_mov_b32_e32 v9, 0
	v_mov_b32_e32 v12, 0
	;; [unrolled: 1-line block ×7, first 2 shown]
	s_and_saveexec_b64 s[0:1], vcc
	s_cbranch_execz .LBB161_34
; %bb.33:
	s_waitcnt vmcnt(1)
	v_cvt_f32_f16_sdwa v9, v4 dst_sel:DWORD dst_unused:UNUSED_PAD src0_sel:WORD_1
	v_cvt_f32_f16_e32 v8, v4
	v_cvt_f32_f16_sdwa v13, v5 dst_sel:DWORD dst_unused:UNUSED_PAD src0_sel:WORD_1
	v_cvt_f32_f16_e32 v12, v5
	;; [unrolled: 2-line block ×4, first 2 shown]
.LBB161_34:
	s_or_b64 exec, exec, s[0:1]
	s_waitcnt vmcnt(1)
	v_mul_f32_e32 v4, v9, v9
	v_fmac_f32_e32 v4, v8, v8
	v_fmac_f32_e32 v4, v12, v12
	;; [unrolled: 1-line block ×7, first 2 shown]
	s_nop 1
	v_mov_b32_dpp v5, v4 quad_perm:[1,0,3,2] row_mask:0xf bank_mask:0xf
	v_add_f32_e32 v4, v4, v5
	s_nop 1
	v_mov_b32_dpp v5, v4 quad_perm:[2,3,0,1] row_mask:0xf bank_mask:0xf
	v_add_f32_e32 v4, v4, v5
	s_nop 1
	v_mov_b32_dpp v5, v4 row_half_mirror row_mask:0xf bank_mask:0xf
	v_add_f32_e32 v4, v4, v5
	s_nop 1
	v_mov_b32_dpp v5, v4 row_mirror row_mask:0xf bank_mask:0xf
	v_add_f32_e32 v4, v4, v5
	s_nop 1
	v_mov_b32_dpp v5, v4 row_bcast:15 row_mask:0xf bank_mask:0xf
	v_add_f32_e32 v4, v4, v5
	s_nop 1
	v_mov_b32_dpp v5, v4 row_bcast:31 row_mask:0xf bank_mask:0xf
	v_add_f32_e32 v4, v4, v5
	ds_bpermute_b32 v4, v16, v4
	s_and_saveexec_b64 s[0:1], vcc
	s_cbranch_execz .LBB161_15
; %bb.35:
	v_cvt_f32_u32_e32 v5, s20
	s_mov_b32 s27, 0x20000
	s_waitcnt lgkmcnt(0)
	v_div_scale_f32 v6, s[0:1], v5, v5, v4
	v_rcp_f32_e32 v7, v6
	v_div_scale_f32 v16, vcc, v4, v5, v4
	s_mov_b32 s0, 0x800000
	v_fma_f32 v18, -v6, v7, 1.0
	v_fmac_f32_e32 v7, v18, v7
	v_mul_f32_e32 v18, v16, v7
	v_fma_f32 v19, -v6, v18, v16
	v_fmac_f32_e32 v18, v19, v7
	v_fma_f32 v6, -v6, v18, v16
	v_div_fmas_f32 v6, v6, v7, v18
	v_div_fixup_f32 v4, v6, v5, v4
	v_add_f32_e32 v4, s17, v4
	v_mul_f32_e32 v5, 0x4b800000, v4
	v_cmp_gt_f32_e32 vcc, s0, v4
	v_cndmask_b32_e32 v4, v4, v5, vcc
	v_rsq_f32_e32 v4, v4
	s_waitcnt vmcnt(0)
	v_cvt_f32_f16_sdwa v5, v0 dst_sel:DWORD dst_unused:UNUSED_PAD src0_sel:WORD_1
	v_cvt_f32_f16_sdwa v19, v1 dst_sel:DWORD dst_unused:UNUSED_PAD src0_sel:WORD_1
	v_cvt_f32_f16_e32 v18, v1
	v_mul_f32_e32 v6, 0x45800000, v4
	v_cndmask_b32_e32 v6, v4, v6, vcc
	v_cvt_f32_f16_e32 v4, v0
	v_mov_b32_e32 v7, v6
	;;#ASMSTART
	v_pk_mul_f32 v[8:9], v[8:9], v[6:7]
	;;#ASMEND
	;;#ASMSTART
	v_pk_mul_f32 v[12:13], v[12:13], v[6:7]
	;;#ASMEND
	v_pk_add_f32 v[4:5], v[4:5], 1.0 op_sel_hi:[1,0]
	;;#ASMSTART
	v_pk_mul_f32 v[14:15], v[14:15], v[6:7]
	;;#ASMEND
	;;#ASMSTART
	v_pk_mul_f32 v[0:1], v[10:11], v[6:7]
	;;#ASMEND
	;;#ASMSTART
	v_pk_mul_f32 v[4:5], v[8:9], v[4:5]
	;;#ASMEND
	v_cvt_f32_f16_sdwa v9, v2 dst_sel:DWORD dst_unused:UNUSED_PAD src0_sel:WORD_1
	v_cvt_f32_f16_e32 v8, v2
	v_cvt_f32_f16_sdwa v11, v3 dst_sel:DWORD dst_unused:UNUSED_PAD src0_sel:WORD_1
	v_cvt_f32_f16_e32 v10, v3
	v_pk_add_f32 v[6:7], v[18:19], 1.0 op_sel_hi:[1,0]
	;;#ASMSTART
	v_pk_mul_f32 v[2:3], v[12:13], v[6:7]
	;;#ASMEND
	v_pk_add_f32 v[6:7], v[8:9], 1.0 op_sel_hi:[1,0]
	;;#ASMSTART
	v_pk_mul_f32 v[6:7], v[14:15], v[6:7]
	;;#ASMEND
	;; [unrolled: 4-line block ×3, first 2 shown]
	s_mul_hi_i32 s1, s12, s6
	s_mul_i32 s0, s12, s6
	v_cvt_f16_f32_e32 v4, v4
	v_cvt_f16_f32_e32 v5, v5
	;; [unrolled: 1-line block ×8, first 2 shown]
	s_lshl_b64 s[0:1], s[0:1], 1
	s_add_u32 s24, s14, s0
	s_addc_u32 s0, s15, s1
	s_and_b32 s25, s0, 0xffff
	v_pack_b32_f16 v0, v4, v5
	v_pack_b32_f16 v1, v2, v3
	;; [unrolled: 1-line block ×4, first 2 shown]
	buffer_store_dwordx4 v[0:3], v17, s[24:27], 0 offen
	;;#ASMSTART
	s_nop 0
	;;#ASMEND
	s_endpgm
	.section	.rodata,"a",@progbits
	.p2align	6, 0x0
	.amdhsa_kernel _ZN5aiter35fused_qk_rmsnorm_group_quant_kernelIDF16_DB8_Li64ELi8ELi8ELb1ELb1ELb1ELb0ELb0ELb0EEEvPT0_PvPT_S6_S6_PKS5_S8_S8_S8_S8_ffiiiiiiiiiiiii
		.amdhsa_group_segment_fixed_size 0
		.amdhsa_private_segment_fixed_size 0
		.amdhsa_kernarg_size 400
		.amdhsa_user_sgpr_count 6
		.amdhsa_user_sgpr_private_segment_buffer 1
		.amdhsa_user_sgpr_dispatch_ptr 0
		.amdhsa_user_sgpr_queue_ptr 0
		.amdhsa_user_sgpr_kernarg_segment_ptr 1
		.amdhsa_user_sgpr_dispatch_id 0
		.amdhsa_user_sgpr_flat_scratch_init 0
		.amdhsa_user_sgpr_kernarg_preload_length 0
		.amdhsa_user_sgpr_kernarg_preload_offset 0
		.amdhsa_user_sgpr_private_segment_size 0
		.amdhsa_uses_dynamic_stack 0
		.amdhsa_system_sgpr_private_segment_wavefront_offset 0
		.amdhsa_system_sgpr_workgroup_id_x 1
		.amdhsa_system_sgpr_workgroup_id_y 1
		.amdhsa_system_sgpr_workgroup_id_z 0
		.amdhsa_system_sgpr_workgroup_info 0
		.amdhsa_system_vgpr_workitem_id 0
		.amdhsa_next_free_vgpr 31
		.amdhsa_next_free_sgpr 40
		.amdhsa_accum_offset 32
		.amdhsa_reserve_vcc 1
		.amdhsa_reserve_flat_scratch 0
		.amdhsa_float_round_mode_32 0
		.amdhsa_float_round_mode_16_64 0
		.amdhsa_float_denorm_mode_32 3
		.amdhsa_float_denorm_mode_16_64 3
		.amdhsa_dx10_clamp 1
		.amdhsa_ieee_mode 1
		.amdhsa_fp16_overflow 0
		.amdhsa_tg_split 0
		.amdhsa_exception_fp_ieee_invalid_op 0
		.amdhsa_exception_fp_denorm_src 0
		.amdhsa_exception_fp_ieee_div_zero 0
		.amdhsa_exception_fp_ieee_overflow 0
		.amdhsa_exception_fp_ieee_underflow 0
		.amdhsa_exception_fp_ieee_inexact 0
		.amdhsa_exception_int_div_zero 0
	.end_amdhsa_kernel
	.section	.text._ZN5aiter35fused_qk_rmsnorm_group_quant_kernelIDF16_DB8_Li64ELi8ELi8ELb1ELb1ELb1ELb0ELb0ELb0EEEvPT0_PvPT_S6_S6_PKS5_S8_S8_S8_S8_ffiiiiiiiiiiiii,"axG",@progbits,_ZN5aiter35fused_qk_rmsnorm_group_quant_kernelIDF16_DB8_Li64ELi8ELi8ELb1ELb1ELb1ELb0ELb0ELb0EEEvPT0_PvPT_S6_S6_PKS5_S8_S8_S8_S8_ffiiiiiiiiiiiii,comdat
.Lfunc_end161:
	.size	_ZN5aiter35fused_qk_rmsnorm_group_quant_kernelIDF16_DB8_Li64ELi8ELi8ELb1ELb1ELb1ELb0ELb0ELb0EEEvPT0_PvPT_S6_S6_PKS5_S8_S8_S8_S8_ffiiiiiiiiiiiii, .Lfunc_end161-_ZN5aiter35fused_qk_rmsnorm_group_quant_kernelIDF16_DB8_Li64ELi8ELi8ELb1ELb1ELb1ELb0ELb0ELb0EEEvPT0_PvPT_S6_S6_PKS5_S8_S8_S8_S8_ffiiiiiiiiiiiii
                                        ; -- End function
	.section	.AMDGPU.csdata,"",@progbits
; Kernel info:
; codeLenInByte = 2932
; NumSgprs: 44
; NumVgprs: 31
; NumAgprs: 0
; TotalNumVgprs: 31
; ScratchSize: 0
; MemoryBound: 0
; FloatMode: 240
; IeeeMode: 1
; LDSByteSize: 0 bytes/workgroup (compile time only)
; SGPRBlocks: 5
; VGPRBlocks: 3
; NumSGPRsForWavesPerEU: 44
; NumVGPRsForWavesPerEU: 31
; AccumOffset: 32
; Occupancy: 8
; WaveLimiterHint : 0
; COMPUTE_PGM_RSRC2:SCRATCH_EN: 0
; COMPUTE_PGM_RSRC2:USER_SGPR: 6
; COMPUTE_PGM_RSRC2:TRAP_HANDLER: 0
; COMPUTE_PGM_RSRC2:TGID_X_EN: 1
; COMPUTE_PGM_RSRC2:TGID_Y_EN: 1
; COMPUTE_PGM_RSRC2:TGID_Z_EN: 0
; COMPUTE_PGM_RSRC2:TIDIG_COMP_CNT: 0
; COMPUTE_PGM_RSRC3_GFX90A:ACCUM_OFFSET: 7
; COMPUTE_PGM_RSRC3_GFX90A:TG_SPLIT: 0
	.section	.text._ZN5aiter35fused_qk_rmsnorm_group_quant_kernelItDB8_Li64ELi8ELi8ELb1ELb1ELb1ELb0ELb0ELb0EEEvPT0_PvPT_S6_S6_PKS5_S8_S8_S8_S8_ffiiiiiiiiiiiii,"axG",@progbits,_ZN5aiter35fused_qk_rmsnorm_group_quant_kernelItDB8_Li64ELi8ELi8ELb1ELb1ELb1ELb0ELb0ELb0EEEvPT0_PvPT_S6_S6_PKS5_S8_S8_S8_S8_ffiiiiiiiiiiiii,comdat
	.protected	_ZN5aiter35fused_qk_rmsnorm_group_quant_kernelItDB8_Li64ELi8ELi8ELb1ELb1ELb1ELb0ELb0ELb0EEEvPT0_PvPT_S6_S6_PKS5_S8_S8_S8_S8_ffiiiiiiiiiiiii ; -- Begin function _ZN5aiter35fused_qk_rmsnorm_group_quant_kernelItDB8_Li64ELi8ELi8ELb1ELb1ELb1ELb0ELb0ELb0EEEvPT0_PvPT_S6_S6_PKS5_S8_S8_S8_S8_ffiiiiiiiiiiiii
	.globl	_ZN5aiter35fused_qk_rmsnorm_group_quant_kernelItDB8_Li64ELi8ELi8ELb1ELb1ELb1ELb0ELb0ELb0EEEvPT0_PvPT_S6_S6_PKS5_S8_S8_S8_S8_ffiiiiiiiiiiiii
	.p2align	8
	.type	_ZN5aiter35fused_qk_rmsnorm_group_quant_kernelItDB8_Li64ELi8ELi8ELb1ELb1ELb1ELb0ELb0ELb0EEEvPT0_PvPT_S6_S6_PKS5_S8_S8_S8_S8_ffiiiiiiiiiiiii,@function
_ZN5aiter35fused_qk_rmsnorm_group_quant_kernelItDB8_Li64ELi8ELi8ELb1ELb1ELb1ELb0ELb0ELb0EEEvPT0_PvPT_S6_S6_PKS5_S8_S8_S8_S8_ffiiiiiiiiiiiii: ; @_ZN5aiter35fused_qk_rmsnorm_group_quant_kernelItDB8_Li64ELi8ELi8ELb1ELb1ELb1ELb0ELb0ELb0EEEvPT0_PvPT_S6_S6_PKS5_S8_S8_S8_S8_ffiiiiiiiiiiiii
; %bb.0:
	s_load_dwordx8 s[16:23], s[4:5], 0x50
	s_waitcnt lgkmcnt(0)
	s_cmp_ge_i32 s6, s18
	s_cbranch_scc1 .LBB162_15
; %bb.1:
	s_cmp_lg_u32 s7, 0
	s_cselect_b64 s[2:3], -1, 0
	s_cmp_eq_u32 s7, 0
	s_cselect_b64 s[26:27], -1, 0
	s_and_b64 s[0:1], s[26:27], exec
	s_load_dwordx2 s[24:25], s[4:5], 0x48
	s_load_dwordx2 s[34:35], s[4:5], 0x30
	s_load_dwordx8 s[8:15], s[4:5], 0x70
	s_cselect_b32 s7, s19, s20
	s_add_i32 s0, s7, 1
	s_lshr_b32 s1, s0, 31
	s_add_i32 s0, s0, s1
	s_lshl_b32 s0, s0, 1
	v_lshlrev_b32_e32 v1, 3, v0
	s_and_b32 s30, s0, -4
	v_cmp_gt_i32_e64 s[0:1], s7, v1
	v_mov_b32_e32 v10, 0
	v_mov_b32_e32 v11, 0
	;; [unrolled: 1-line block ×8, first 2 shown]
	s_waitcnt lgkmcnt(0)
	s_and_saveexec_b64 s[14:15], s[0:1]
	s_cbranch_execz .LBB162_3
; %bb.2:
	s_load_dwordx2 s[28:29], s[4:5], 0x28
	s_load_dwordx2 s[38:39], s[4:5], 0x40
	s_and_b64 s[36:37], s[26:27], exec
	s_cselect_b32 s18, s21, s22
	v_lshlrev_b32_e32 v2, 4, v0
	s_waitcnt lgkmcnt(0)
	s_cselect_b32 s21, s29, s35
	s_cselect_b32 s31, s28, s34
	s_mul_hi_i32 s29, s18, s6
	s_mul_i32 s28, s18, s6
	s_lshl_b64 s[28:29], s[28:29], 1
	s_add_u32 s36, s31, s28
	s_addc_u32 s18, s21, s29
	s_and_b64 s[26:27], s[26:27], exec
	s_mov_b32 s31, 0x20000
	s_cselect_b32 s28, s38, s24
	s_cselect_b32 s21, s39, s25
	s_and_b32 s37, s18, 0xffff
	s_mov_b32 s38, s30
	s_mov_b32 s39, s31
	s_and_b32 s29, s21, 0xffff
	buffer_load_dwordx4 v[14:17], v2, s[36:39], 0 offen glc slc
	buffer_load_dwordx4 v[10:13], v2, s[28:31], 0 offen
.LBB162_3:
	s_or_b64 exec, exec, s[14:15]
	s_and_b64 vcc, exec, s[2:3]
	s_cbranch_vccz .LBB162_7
; %bb.4:
	s_mov_b32 s36, 0
	s_mov_b32 s37, s36
	;; [unrolled: 1-line block ×8, first 2 shown]
	v_pk_mov_b32 v[2:3], s[36:37], s[36:37] op_sel:[0,1]
	v_pk_mov_b32 v[4:5], s[38:39], s[38:39] op_sel:[0,1]
	;; [unrolled: 1-line block ×4, first 2 shown]
	s_and_saveexec_b64 s[14:15], s[0:1]
	s_cbranch_execz .LBB162_6
; %bb.5:
	s_waitcnt vmcnt(1)
	v_cvt_f32_u32_sdwa v3, v14 dst_sel:DWORD dst_unused:UNUSED_PAD src0_sel:WORD_1
	v_cvt_f32_u32_sdwa v2, v14 dst_sel:DWORD dst_unused:UNUSED_PAD src0_sel:WORD_0
	v_cvt_f32_u32_sdwa v5, v15 dst_sel:DWORD dst_unused:UNUSED_PAD src0_sel:WORD_1
	v_cvt_f32_u32_sdwa v4, v15 dst_sel:DWORD dst_unused:UNUSED_PAD src0_sel:WORD_0
	;; [unrolled: 2-line block ×4, first 2 shown]
.LBB162_6:
	s_or_b64 exec, exec, s[14:15]
	s_mov_b32 s18, s17
	s_cbranch_execz .LBB162_8
	s_branch .LBB162_11
.LBB162_7:
                                        ; implicit-def: $vgpr2_vgpr3_vgpr4_vgpr5_vgpr6_vgpr7_vgpr8_vgpr9
	s_mov_b32 s18, s17
.LBB162_8:
	s_mov_b32 s36, 0
	s_mov_b32 s37, s36
	;; [unrolled: 1-line block ×8, first 2 shown]
	v_pk_mov_b32 v[2:3], s[36:37], s[36:37] op_sel:[0,1]
	v_pk_mov_b32 v[4:5], s[38:39], s[38:39] op_sel:[0,1]
	;; [unrolled: 1-line block ×4, first 2 shown]
	s_and_saveexec_b64 s[14:15], s[0:1]
	s_cbranch_execz .LBB162_10
; %bb.9:
	s_load_dwordx2 s[26:27], s[4:5], 0x38
	s_mul_hi_i32 s29, s23, s6
	s_mul_i32 s28, s23, s6
	s_lshl_b64 s[28:29], s[28:29], 1
	s_mov_b32 s31, 0x20000
	s_waitcnt lgkmcnt(0)
	s_add_u32 s28, s26, s28
	s_addc_u32 s18, s27, s29
	s_and_b32 s29, s18, 0xffff
	v_lshlrev_b32_e32 v26, 4, v0
	buffer_load_dwordx4 v[2:5], v26, s[28:31], 0 offen glc slc
	s_load_dwordx2 s[26:27], s[4:5], 0x20
	s_waitcnt vmcnt(2)
	v_cvt_f32_u32_sdwa v7, v14 dst_sel:DWORD dst_unused:UNUSED_PAD src0_sel:WORD_1
	v_cvt_f32_u32_sdwa v6, v14 dst_sel:DWORD dst_unused:UNUSED_PAD src0_sel:WORD_0
	v_cvt_f32_u32_sdwa v9, v15 dst_sel:DWORD dst_unused:UNUSED_PAD src0_sel:WORD_1
	v_cvt_f32_u32_sdwa v8, v15 dst_sel:DWORD dst_unused:UNUSED_PAD src0_sel:WORD_0
	;; [unrolled: 2-line block ×4, first 2 shown]
	s_mul_hi_i32 s29, s13, s6
	s_mul_i32 s28, s13, s6
	s_lshl_b64 s[28:29], s[28:29], 1
	s_waitcnt lgkmcnt(0)
	s_add_u32 s28, s26, s28
	s_mov_b32 s13, 0x7060302
	s_addc_u32 s18, s27, s29
	s_and_b32 s29, s18, 0xffff
	s_waitcnt vmcnt(0)
	v_cvt_f32_u32_sdwa v17, v2 dst_sel:DWORD dst_unused:UNUSED_PAD src0_sel:WORD_1
	v_cvt_f32_u32_sdwa v16, v2 dst_sel:DWORD dst_unused:UNUSED_PAD src0_sel:WORD_0
	v_cvt_f32_u32_sdwa v21, v3 dst_sel:DWORD dst_unused:UNUSED_PAD src0_sel:WORD_1
	v_cvt_f32_u32_sdwa v20, v3 dst_sel:DWORD dst_unused:UNUSED_PAD src0_sel:WORD_0
	;; [unrolled: 2-line block ×4, first 2 shown]
	v_pk_add_f32 v[2:3], v[6:7], v[16:17]
	v_pk_add_f32 v[4:5], v[8:9], v[20:21]
	;; [unrolled: 1-line block ×4, first 2 shown]
	v_perm_b32 v17, v9, v8, s13
	v_perm_b32 v16, v7, v6, s13
	;; [unrolled: 1-line block ×4, first 2 shown]
	buffer_store_dwordx4 v[14:17], v26, s[28:31], 0 offen glc slc
	;;#ASMSTART
	s_nop 0
	;;#ASMEND
.LBB162_10:
	s_or_b64 exec, exec, s[14:15]
	s_mov_b32 s18, s16
.LBB162_11:
	s_waitcnt vmcnt(1)
	v_mul_f32_e32 v14, v3, v3
	v_fmac_f32_e32 v14, v2, v2
	v_fmac_f32_e32 v14, v4, v4
	v_fmac_f32_e32 v14, v5, v5
	v_fmac_f32_e32 v14, v6, v6
	v_fmac_f32_e32 v14, v7, v7
	v_fmac_f32_e32 v14, v8, v8
	v_fmac_f32_e32 v14, v9, v9
	v_bfrev_b32_e32 v16, 0.5
	s_load_dwordx2 s[14:15], s[4:5], 0x18
	v_mov_b32_dpp v15, v14 quad_perm:[1,0,3,2] row_mask:0xf bank_mask:0xf
	v_add_f32_e32 v14, v14, v15
	s_nop 1
	v_mov_b32_dpp v15, v14 quad_perm:[2,3,0,1] row_mask:0xf bank_mask:0xf
	v_add_f32_e32 v14, v14, v15
	s_nop 1
	v_mov_b32_dpp v15, v14 row_half_mirror row_mask:0xf bank_mask:0xf
	v_add_f32_e32 v14, v14, v15
	s_nop 1
	v_mov_b32_dpp v15, v14 row_mirror row_mask:0xf bank_mask:0xf
	v_add_f32_e32 v14, v14, v15
	s_nop 1
	v_mov_b32_dpp v15, v14 row_bcast:15 row_mask:0xf bank_mask:0xf
	v_add_f32_e32 v14, v14, v15
	s_nop 1
	v_mov_b32_dpp v15, v14 row_bcast:31 row_mask:0xf bank_mask:0xf
	v_add_f32_e32 v15, v14, v15
	v_mbcnt_lo_u32_b32 v14, -1, 0
	v_mbcnt_hi_u32_b32 v14, -1, v14
	v_lshl_or_b32 v14, v14, 2, v16
	ds_bpermute_b32 v15, v14, v15
	s_and_saveexec_b64 s[26:27], s[0:1]
	s_cbranch_execnz .LBB162_16
; %bb.12:
	s_or_b64 exec, exec, s[26:27]
	s_mov_b64 s[26:27], -1
	s_and_b64 vcc, exec, s[2:3]
	s_cbranch_vccnz .LBB162_17
.LBB162_13:
	s_andn2_b64 vcc, exec, s[26:27]
	s_cbranch_vccz .LBB162_20
.LBB162_14:
	s_cmp_lt_i32 s20, 1
	s_cbranch_scc0 .LBB162_29
.LBB162_15:
	s_endpgm
.LBB162_16:
	v_cvt_f32_u32_e32 v16, s7
	s_mov_b32 s7, 0x800000
	s_waitcnt lgkmcnt(0)
	v_div_scale_f32 v17, s[28:29], v16, v16, v15
	v_rcp_f32_e32 v18, v17
	v_div_scale_f32 v19, vcc, v15, v16, v15
	v_fma_f32 v20, -v17, v18, 1.0
	v_fmac_f32_e32 v18, v20, v18
	v_mul_f32_e32 v20, v19, v18
	v_fma_f32 v21, -v17, v20, v19
	v_fmac_f32_e32 v20, v21, v18
	v_fma_f32 v17, -v17, v20, v19
	v_div_fmas_f32 v17, v17, v18, v20
	v_div_fixup_f32 v15, v17, v16, v15
	v_add_f32_e32 v15, s18, v15
	v_mul_f32_e32 v16, 0x4b800000, v15
	v_cmp_gt_f32_e32 vcc, s7, v15
	v_cndmask_b32_e32 v15, v15, v16, vcc
	v_rsq_f32_e32 v15, v15
	s_waitcnt vmcnt(0)
	v_cvt_f32_u32_sdwa v17, v10 dst_sel:DWORD dst_unused:UNUSED_PAD src0_sel:WORD_1
	v_cvt_f32_u32_sdwa v21, v11 dst_sel:DWORD dst_unused:UNUSED_PAD src0_sel:WORD_1
	v_cvt_f32_u32_sdwa v20, v11 dst_sel:DWORD dst_unused:UNUSED_PAD src0_sel:WORD_0
	v_mul_f32_e32 v16, 0x45800000, v15
	v_cndmask_b32_e32 v18, v15, v16, vcc
	v_cvt_f32_u32_sdwa v16, v10 dst_sel:DWORD dst_unused:UNUSED_PAD src0_sel:WORD_0
	v_mov_b32_e32 v19, v18
	;;#ASMSTART
	v_pk_mul_f32 v[2:3], v[2:3], v[18:19]
	;;#ASMEND
	;;#ASMSTART
	v_pk_mul_f32 v[4:5], v[4:5], v[18:19]
	;;#ASMEND
	v_pk_add_f32 v[10:11], v[16:17], 1.0 op_sel_hi:[1,0]
	v_cvt_f32_u32_sdwa v17, v12 dst_sel:DWORD dst_unused:UNUSED_PAD src0_sel:WORD_1
	v_cvt_f32_u32_sdwa v16, v12 dst_sel:DWORD dst_unused:UNUSED_PAD src0_sel:WORD_0
	;;#ASMSTART
	v_pk_mul_f32 v[6:7], v[6:7], v[18:19]
	;;#ASMEND
	;;#ASMSTART
	v_pk_mul_f32 v[8:9], v[8:9], v[18:19]
	;;#ASMEND
	v_cvt_f32_u32_sdwa v19, v13 dst_sel:DWORD dst_unused:UNUSED_PAD src0_sel:WORD_1
	v_cvt_f32_u32_sdwa v18, v13 dst_sel:DWORD dst_unused:UNUSED_PAD src0_sel:WORD_0
	;;#ASMSTART
	v_pk_mul_f32 v[2:3], v[2:3], v[10:11]
	;;#ASMEND
	v_pk_add_f32 v[10:11], v[20:21], 1.0 op_sel_hi:[1,0]
	;;#ASMSTART
	v_pk_mul_f32 v[4:5], v[4:5], v[10:11]
	;;#ASMEND
	v_pk_add_f32 v[10:11], v[16:17], 1.0 op_sel_hi:[1,0]
	;;#ASMSTART
	v_pk_mul_f32 v[6:7], v[6:7], v[10:11]
	;;#ASMEND
	v_pk_add_f32 v[10:11], v[18:19], 1.0 op_sel_hi:[1,0]
	;;#ASMSTART
	v_pk_mul_f32 v[8:9], v[8:9], v[10:11]
	;;#ASMEND
	s_or_b64 exec, exec, s[26:27]
	s_mov_b64 s[26:27], -1
	s_and_b64 vcc, exec, s[2:3]
	s_cbranch_vccz .LBB162_13
.LBB162_17:
	s_and_saveexec_b64 s[2:3], s[0:1]
	s_cbranch_execz .LBB162_19
; %bb.18:
	s_mul_hi_i32 s27, s12, s6
	s_mul_i32 s26, s12, s6
	s_lshl_b64 s[26:27], s[26:27], 1
	s_waitcnt lgkmcnt(0)
	s_add_u32 s28, s14, s26
	s_addc_u32 s7, s15, s27
	s_and_b32 s29, s7, 0xffff
	s_mov_b32 s7, 0x7060302
	s_mov_b32 s31, 0x20000
	s_waitcnt vmcnt(0)
	v_perm_b32 v10, v3, v2, s7
	v_perm_b32 v11, v5, v4, s7
	;; [unrolled: 1-line block ×4, first 2 shown]
	v_lshlrev_b32_e32 v15, 4, v0
	buffer_store_dwordx4 v[10:13], v15, s[28:31], 0 offen
	;;#ASMSTART
	s_nop 0
	;;#ASMEND
.LBB162_19:
	s_or_b64 exec, exec, s[2:3]
	s_cbranch_execnz .LBB162_14
.LBB162_20:
	s_waitcnt vmcnt(0)
	v_mov_b32_e32 v10, 0
	s_and_saveexec_b64 s[2:3], s[0:1]
	s_cbranch_execz .LBB162_22
; %bb.21:
	s_load_dwordx2 s[26:27], s[4:5], 0x10
	s_mul_hi_i32 s29, s11, s6
	s_mul_i32 s28, s11, s6
	s_lshl_b64 s[28:29], s[28:29], 1
	s_mov_b32 s31, 0x20000
	s_waitcnt lgkmcnt(0)
	s_add_u32 s28, s26, s28
	s_addc_u32 s7, s27, s29
	s_and_b32 s29, s7, 0xffff
	s_mov_b32 s7, 0x7060302
	v_perm_b32 v10, v3, v2, s7
	v_perm_b32 v11, v5, v4, s7
	;; [unrolled: 1-line block ×4, first 2 shown]
	v_lshlrev_b32_e32 v15, 4, v0
	buffer_store_dwordx4 v[10:13], v15, s[28:31], 0 offen
	;;#ASMSTART
	s_nop 0
	;;#ASMEND
	s_nop 0
	v_mov_b32_e32 v10, 0x2edbe6ff
.LBB162_22:
	s_or_b64 exec, exec, s[2:3]
	s_and_saveexec_b64 s[2:3], s[0:1]
	s_cbranch_execz .LBB162_24
; %bb.23:
	v_and_b32_e32 v11, 0x7fffffff, v2
	v_and_b32_e32 v12, 0x7fffffff, v3
	;;#ASMSTART
	v_max3_f32 v10, v10, v11, v12

	;;#ASMEND
	v_and_b32_e32 v11, 0x7fffffff, v4
	v_and_b32_e32 v12, 0x7fffffff, v5
	;;#ASMSTART
	v_max3_f32 v10, v10, v11, v12

	;;#ASMEND
	;; [unrolled: 6-line block ×4, first 2 shown]
.LBB162_24:
	s_or_b64 exec, exec, s[2:3]
	;;#ASMSTART
	v_max_f32 v11, v10, v10 quad_perm:[1,0,3,2] row_mask:0xf bank_mask:0xf bound_ctrl:1
	;;#ASMEND
	;;#ASMSTART
	v_max_f32 v10, v11, v11 quad_perm:[2,3,0,1] row_mask:0xf bank_mask:0xf bound_ctrl:1
	;;#ASMEND
	;;#ASMSTART
	v_max_f32 v11, v10, v10 row_half_mirror row_mask:0xf bank_mask:0xf bound_ctrl:1
	;;#ASMEND
	v_mul_f32_e32 v10, 0x3b124925, v11
	v_and_b32_e32 v11, 7, v0
	v_cmp_eq_u32_e32 vcc, 0, v11
	v_cmp_gt_i32_e64 s[2:3], s19, v1
	s_and_b64 s[26:27], vcc, s[2:3]
	s_and_saveexec_b64 s[2:3], s[26:27]
	s_cbranch_execz .LBB162_26
; %bb.25:
	s_load_dwordx2 s[26:27], s[4:5], 0x8
	v_lshrrev_b32_e32 v11, 3, v0
	s_mul_hi_i32 s29, s9, s6
	s_mul_i32 s28, s9, s6
	v_mad_i64_i32 v[12:13], s[10:11], s10, v11, 0
	s_lshl_b64 s[10:11], s[28:29], 2
	s_waitcnt lgkmcnt(0)
	s_add_u32 s7, s26, s10
	s_addc_u32 s9, s27, s11
	v_lshlrev_b64 v[12:13], 2, v[12:13]
	v_mov_b32_e32 v11, s9
	v_add_co_u32_e32 v12, vcc, s7, v12
	v_addc_co_u32_e32 v13, vcc, v11, v13, vcc
	global_store_dword v[12:13], v10, off
.LBB162_26:
	s_or_b64 exec, exec, s[2:3]
	;;#ASMSTART
	v_rcp_f32 v10, v10
	;;#ASMEND
	s_and_saveexec_b64 s[10:11], s[0:1]
	s_cbranch_execz .LBB162_28
; %bb.27:
	v_mov_b32_e32 v11, v10
	;;#ASMSTART
	v_pk_mul_f32 v[2:3], v[2:3], v[10:11]
	;;#ASMEND
	v_mov_b32_e32 v12, 0xc3e00000
	v_mov_b32_e32 v13, 0x43e00000
	s_waitcnt lgkmcnt(0)
	;;#ASMSTART
	v_med3_f32 v2, v2, v12, v13
v_med3_f32 v3, v3, v12, v13
v_cvt_pk_fp8_f32 v15, v2, v3
	;;#ASMEND
	s_load_dwordx2 s[0:1], s[4:5], 0x0
	;;#ASMSTART
	v_pk_mul_f32 v[2:3], v[4:5], v[10:11]
	;;#ASMEND
	s_mul_hi_i32 s2, s8, s6
	s_mul_i32 s3, s8, s6
	;;#ASMSTART
	v_med3_f32 v2, v2, v12, v13
v_med3_f32 v3, v3, v12, v13
v_cvt_pk_fp8_f32 v4, v2, v3
	;;#ASMEND
	s_mov_b32 s8, 0x5040100
	v_perm_b32 v3, v4, v15, s8
	s_movk_i32 s8, 0xff
	v_and_b32_e32 v2, 0xffffff00, v4
	v_and_b32_sdwa v4, v3, s8 dst_sel:DWORD dst_unused:UNUSED_PAD src0_sel:WORD_1 src1_sel:DWORD
	s_mov_b32 s7, 0xffff
	v_or_b32_sdwa v2, v4, v2 dst_sel:WORD_1 dst_unused:UNUSED_PAD src0_sel:DWORD src1_sel:DWORD
	s_waitcnt lgkmcnt(0)
	s_add_u32 s0, s0, s3
	v_and_or_b32 v2, v3, s7, v2
	;;#ASMSTART
	v_pk_mul_f32 v[4:5], v[6:7], v[10:11]
	;;#ASMEND
	v_mov_b32_e32 v3, v5
	s_addc_u32 s1, s1, s2
	s_add_i32 s2, s19, 3
	;;#ASMSTART
	v_med3_f32 v4, v4, v12, v13
v_med3_f32 v3, v3, v12, v13
v_cvt_pk_fp8_f32 v6, v4, v3
	;;#ASMEND
	s_ashr_i32 s3, s2, 31
	;;#ASMSTART
	v_pk_mul_f32 v[4:5], v[8:9], v[10:11]
	;;#ASMEND
	v_mov_b32_e32 v3, v5
	s_lshr_b32 s3, s3, 30
	;;#ASMSTART
	v_med3_f32 v4, v4, v12, v13
v_med3_f32 v3, v3, v12, v13
v_cvt_pk_fp8_f32 v5, v4, v3
	;;#ASMEND
	s_add_i32 s2, s2, s3
	v_lshlrev_b32_e32 v3, 16, v5
	s_and_b32 s2, s2, -4
	s_and_b32 s1, s1, 0xffff
	s_mov_b32 s3, 0x20000
	v_and_or_b32 v3, v6, s7, v3
	buffer_store_dwordx2 v[2:3], v1, s[0:3], 0 offen
	;;#ASMSTART
	s_nop 0
	;;#ASMEND
.LBB162_28:
	s_or_b64 exec, exec, s[10:11]
	s_cmp_lt_i32 s20, 1
	s_cbranch_scc1 .LBB162_15
.LBB162_29:
	s_load_dword s0, s[4:5], 0x94
	s_waitcnt lgkmcnt(0)
	s_cmp_lg_u32 s0, 1
	s_cbranch_scc1 .LBB162_15
; %bb.30:
	s_lshl_b32 s0, s20, 1
	s_add_i32 s0, s0, 2
	v_cmp_gt_u32_e32 vcc, s20, v1
	s_and_b32 s26, s0, -4
	v_mov_b32_e32 v4, 0
	s_waitcnt vmcnt(0)
	v_lshlrev_b32_e32 v12, 4, v0
	v_mov_b32_e32 v5, 0
	v_mov_b32_e32 v6, 0
	;; [unrolled: 1-line block ×7, first 2 shown]
	s_barrier
	s_and_saveexec_b64 s[0:1], vcc
	s_cbranch_execz .LBB162_32
; %bb.31:
	s_mul_hi_i32 s3, s22, s6
	s_mul_i32 s2, s22, s6
	s_and_b32 s25, s25, 0xffff
	s_lshl_b64 s[2:3], s[2:3], 1
	s_add_u32 s8, s34, s2
	s_mov_b32 s27, 0x20000
	s_addc_u32 s2, s35, s3
	s_and_b32 s9, s2, 0xffff
	s_mov_b32 s10, s26
	s_mov_b32 s11, s27
	buffer_load_dwordx4 v[4:7], v12, s[8:11], 0 offen glc slc
	buffer_load_dwordx4 v[0:3], v12, s[24:27], 0 offen
.LBB162_32:
	s_or_b64 exec, exec, s[0:1]
	s_waitcnt vmcnt(1)
	v_cvt_f32_u32_sdwa v11, v4 dst_sel:DWORD dst_unused:UNUSED_PAD src0_sel:WORD_1
	v_cvt_f32_u32_sdwa v10, v4 dst_sel:DWORD dst_unused:UNUSED_PAD src0_sel:WORD_0
	v_cvt_f32_u32_sdwa v4, v7 dst_sel:DWORD dst_unused:UNUSED_PAD src0_sel:WORD_1
	v_cvt_f32_u32_sdwa v7, v7 dst_sel:DWORD dst_unused:UNUSED_PAD src0_sel:WORD_0
	;; [unrolled: 2-line block ×4, first 2 shown]
	v_cndmask_b32_e32 v11, 0, v11, vcc
	v_cndmask_b32_e32 v5, 0, v4, vcc
	;; [unrolled: 1-line block ×5, first 2 shown]
	v_mul_f32_e32 v13, v11, v11
	v_cndmask_b32_e32 v8, 0, v8, vcc
	v_fmac_f32_e32 v13, v10, v10
	v_cndmask_b32_e32 v9, 0, v9, vcc
	v_fmac_f32_e32 v13, v8, v8
	;; [unrolled: 2-line block ×3, first 2 shown]
	v_fmac_f32_e32 v13, v6, v6
	v_fmac_f32_e32 v13, v7, v7
	;; [unrolled: 1-line block ×4, first 2 shown]
	s_nop 1
	v_mov_b32_dpp v15, v13 quad_perm:[1,0,3,2] row_mask:0xf bank_mask:0xf
	v_add_f32_e32 v13, v13, v15
	s_nop 1
	v_mov_b32_dpp v15, v13 quad_perm:[2,3,0,1] row_mask:0xf bank_mask:0xf
	v_add_f32_e32 v13, v13, v15
	s_nop 1
	v_mov_b32_dpp v15, v13 row_half_mirror row_mask:0xf bank_mask:0xf
	v_add_f32_e32 v13, v13, v15
	s_nop 1
	v_mov_b32_dpp v15, v13 row_mirror row_mask:0xf bank_mask:0xf
	v_add_f32_e32 v13, v13, v15
	s_nop 1
	v_mov_b32_dpp v15, v13 row_bcast:15 row_mask:0xf bank_mask:0xf
	v_add_f32_e32 v13, v13, v15
	s_nop 1
	v_mov_b32_dpp v15, v13 row_bcast:31 row_mask:0xf bank_mask:0xf
	v_add_f32_e32 v13, v13, v15
	ds_bpermute_b32 v13, v14, v13
	s_and_saveexec_b64 s[0:1], vcc
	s_cbranch_execz .LBB162_15
; %bb.33:
	v_cvt_f32_u32_e32 v14, s20
	s_mov_b32 s27, 0x20000
	s_waitcnt lgkmcnt(0)
	v_div_scale_f32 v15, s[0:1], v14, v14, v13
	v_rcp_f32_e32 v16, v15
	v_div_scale_f32 v17, vcc, v13, v14, v13
	s_mov_b32 s0, 0x800000
	v_fma_f32 v18, -v15, v16, 1.0
	v_fmac_f32_e32 v16, v18, v16
	v_mul_f32_e32 v18, v17, v16
	v_fma_f32 v19, -v15, v18, v17
	v_fmac_f32_e32 v18, v19, v16
	v_fma_f32 v15, -v15, v18, v17
	v_div_fmas_f32 v15, v15, v16, v18
	v_div_fixup_f32 v13, v15, v14, v13
	v_add_f32_e32 v13, s17, v13
	v_mul_f32_e32 v14, 0x4b800000, v13
	v_cmp_gt_f32_e32 vcc, s0, v13
	v_cndmask_b32_e32 v13, v13, v14, vcc
	v_rsq_f32_e32 v13, v13
	s_waitcnt vmcnt(0)
	v_cvt_f32_u32_sdwa v15, v0 dst_sel:DWORD dst_unused:UNUSED_PAD src0_sel:WORD_1
	v_cvt_f32_u32_sdwa v19, v1 dst_sel:DWORD dst_unused:UNUSED_PAD src0_sel:WORD_1
	v_cvt_f32_u32_sdwa v18, v1 dst_sel:DWORD dst_unused:UNUSED_PAD src0_sel:WORD_0
	v_mul_f32_e32 v14, 0x45800000, v13
	v_cndmask_b32_e32 v16, v13, v14, vcc
	v_cvt_f32_u32_sdwa v14, v0 dst_sel:DWORD dst_unused:UNUSED_PAD src0_sel:WORD_0
	v_mov_b32_e32 v17, v16
	;;#ASMSTART
	v_pk_mul_f32 v[10:11], v[10:11], v[16:17]
	;;#ASMEND
	;;#ASMSTART
	v_pk_mul_f32 v[8:9], v[8:9], v[16:17]
	;;#ASMEND
	;; [unrolled: 3-line block ×4, first 2 shown]
	v_pk_add_f32 v[4:5], v[14:15], 1.0 op_sel_hi:[1,0]
	v_cvt_f32_u32_sdwa v15, v2 dst_sel:DWORD dst_unused:UNUSED_PAD src0_sel:WORD_1
	v_cvt_f32_u32_sdwa v14, v2 dst_sel:DWORD dst_unused:UNUSED_PAD src0_sel:WORD_0
	v_cvt_f32_u32_sdwa v17, v3 dst_sel:DWORD dst_unused:UNUSED_PAD src0_sel:WORD_1
	v_cvt_f32_u32_sdwa v16, v3 dst_sel:DWORD dst_unused:UNUSED_PAD src0_sel:WORD_0
	s_mul_hi_i32 s1, s12, s6
	s_mul_i32 s0, s12, s6
	s_lshl_b64 s[0:1], s[0:1], 1
	s_add_u32 s24, s14, s0
	;;#ASMSTART
	v_pk_mul_f32 v[4:5], v[10:11], v[4:5]
	;;#ASMEND
	v_pk_add_f32 v[10:11], v[18:19], 1.0 op_sel_hi:[1,0]
	;;#ASMSTART
	v_pk_mul_f32 v[2:3], v[8:9], v[10:11]
	;;#ASMEND
	v_pk_add_f32 v[8:9], v[14:15], 1.0 op_sel_hi:[1,0]
	s_addc_u32 s0, s15, s1
	;;#ASMSTART
	v_pk_mul_f32 v[6:7], v[6:7], v[8:9]
	;;#ASMEND
	v_pk_add_f32 v[8:9], v[16:17], 1.0 op_sel_hi:[1,0]
	s_and_b32 s25, s0, 0xffff
	s_mov_b32 s0, 0x7060302
	;;#ASMSTART
	v_pk_mul_f32 v[8:9], v[0:1], v[8:9]
	;;#ASMEND
	v_perm_b32 v0, v5, v4, s0
	v_perm_b32 v1, v3, v2, s0
	;; [unrolled: 1-line block ×4, first 2 shown]
	buffer_store_dwordx4 v[0:3], v12, s[24:27], 0 offen
	;;#ASMSTART
	s_nop 0
	;;#ASMEND
	s_endpgm
	.section	.rodata,"a",@progbits
	.p2align	6, 0x0
	.amdhsa_kernel _ZN5aiter35fused_qk_rmsnorm_group_quant_kernelItDB8_Li64ELi8ELi8ELb1ELb1ELb1ELb0ELb0ELb0EEEvPT0_PvPT_S6_S6_PKS5_S8_S8_S8_S8_ffiiiiiiiiiiiii
		.amdhsa_group_segment_fixed_size 0
		.amdhsa_private_segment_fixed_size 0
		.amdhsa_kernarg_size 400
		.amdhsa_user_sgpr_count 6
		.amdhsa_user_sgpr_private_segment_buffer 1
		.amdhsa_user_sgpr_dispatch_ptr 0
		.amdhsa_user_sgpr_queue_ptr 0
		.amdhsa_user_sgpr_kernarg_segment_ptr 1
		.amdhsa_user_sgpr_dispatch_id 0
		.amdhsa_user_sgpr_flat_scratch_init 0
		.amdhsa_user_sgpr_kernarg_preload_length 0
		.amdhsa_user_sgpr_kernarg_preload_offset 0
		.amdhsa_user_sgpr_private_segment_size 0
		.amdhsa_uses_dynamic_stack 0
		.amdhsa_system_sgpr_private_segment_wavefront_offset 0
		.amdhsa_system_sgpr_workgroup_id_x 1
		.amdhsa_system_sgpr_workgroup_id_y 1
		.amdhsa_system_sgpr_workgroup_id_z 0
		.amdhsa_system_sgpr_workgroup_info 0
		.amdhsa_system_vgpr_workitem_id 0
		.amdhsa_next_free_vgpr 27
		.amdhsa_next_free_sgpr 44
		.amdhsa_accum_offset 28
		.amdhsa_reserve_vcc 1
		.amdhsa_reserve_flat_scratch 0
		.amdhsa_float_round_mode_32 0
		.amdhsa_float_round_mode_16_64 0
		.amdhsa_float_denorm_mode_32 3
		.amdhsa_float_denorm_mode_16_64 3
		.amdhsa_dx10_clamp 1
		.amdhsa_ieee_mode 1
		.amdhsa_fp16_overflow 0
		.amdhsa_tg_split 0
		.amdhsa_exception_fp_ieee_invalid_op 0
		.amdhsa_exception_fp_denorm_src 0
		.amdhsa_exception_fp_ieee_div_zero 0
		.amdhsa_exception_fp_ieee_overflow 0
		.amdhsa_exception_fp_ieee_underflow 0
		.amdhsa_exception_fp_ieee_inexact 0
		.amdhsa_exception_int_div_zero 0
	.end_amdhsa_kernel
	.section	.text._ZN5aiter35fused_qk_rmsnorm_group_quant_kernelItDB8_Li64ELi8ELi8ELb1ELb1ELb1ELb0ELb0ELb0EEEvPT0_PvPT_S6_S6_PKS5_S8_S8_S8_S8_ffiiiiiiiiiiiii,"axG",@progbits,_ZN5aiter35fused_qk_rmsnorm_group_quant_kernelItDB8_Li64ELi8ELi8ELb1ELb1ELb1ELb0ELb0ELb0EEEvPT0_PvPT_S6_S6_PKS5_S8_S8_S8_S8_ffiiiiiiiiiiiii,comdat
.Lfunc_end162:
	.size	_ZN5aiter35fused_qk_rmsnorm_group_quant_kernelItDB8_Li64ELi8ELi8ELb1ELb1ELb1ELb0ELb0ELb0EEEvPT0_PvPT_S6_S6_PKS5_S8_S8_S8_S8_ffiiiiiiiiiiiii, .Lfunc_end162-_ZN5aiter35fused_qk_rmsnorm_group_quant_kernelItDB8_Li64ELi8ELi8ELb1ELb1ELb1ELb0ELb0ELb0EEEvPT0_PvPT_S6_S6_PKS5_S8_S8_S8_S8_ffiiiiiiiiiiiii
                                        ; -- End function
	.section	.AMDGPU.csdata,"",@progbits
; Kernel info:
; codeLenInByte = 3000
; NumSgprs: 48
; NumVgprs: 27
; NumAgprs: 0
; TotalNumVgprs: 27
; ScratchSize: 0
; MemoryBound: 0
; FloatMode: 240
; IeeeMode: 1
; LDSByteSize: 0 bytes/workgroup (compile time only)
; SGPRBlocks: 5
; VGPRBlocks: 3
; NumSGPRsForWavesPerEU: 48
; NumVGPRsForWavesPerEU: 27
; AccumOffset: 28
; Occupancy: 8
; WaveLimiterHint : 0
; COMPUTE_PGM_RSRC2:SCRATCH_EN: 0
; COMPUTE_PGM_RSRC2:USER_SGPR: 6
; COMPUTE_PGM_RSRC2:TRAP_HANDLER: 0
; COMPUTE_PGM_RSRC2:TGID_X_EN: 1
; COMPUTE_PGM_RSRC2:TGID_Y_EN: 1
; COMPUTE_PGM_RSRC2:TGID_Z_EN: 0
; COMPUTE_PGM_RSRC2:TIDIG_COMP_CNT: 0
; COMPUTE_PGM_RSRC3_GFX90A:ACCUM_OFFSET: 6
; COMPUTE_PGM_RSRC3_GFX90A:TG_SPLIT: 0
	.section	.text._ZN5aiter35fused_qk_rmsnorm_group_quant_kernelIDF16_N4opus5fp4_tELi64ELi8ELi8ELb1ELb1ELb1ELb0ELb0ELb0EEEvPT0_PvPT_S7_S7_PKS6_S9_S9_S9_S9_ffiiiiiiiiiiiii,"axG",@progbits,_ZN5aiter35fused_qk_rmsnorm_group_quant_kernelIDF16_N4opus5fp4_tELi64ELi8ELi8ELb1ELb1ELb1ELb0ELb0ELb0EEEvPT0_PvPT_S7_S7_PKS6_S9_S9_S9_S9_ffiiiiiiiiiiiii,comdat
	.protected	_ZN5aiter35fused_qk_rmsnorm_group_quant_kernelIDF16_N4opus5fp4_tELi64ELi8ELi8ELb1ELb1ELb1ELb0ELb0ELb0EEEvPT0_PvPT_S7_S7_PKS6_S9_S9_S9_S9_ffiiiiiiiiiiiii ; -- Begin function _ZN5aiter35fused_qk_rmsnorm_group_quant_kernelIDF16_N4opus5fp4_tELi64ELi8ELi8ELb1ELb1ELb1ELb0ELb0ELb0EEEvPT0_PvPT_S7_S7_PKS6_S9_S9_S9_S9_ffiiiiiiiiiiiii
	.globl	_ZN5aiter35fused_qk_rmsnorm_group_quant_kernelIDF16_N4opus5fp4_tELi64ELi8ELi8ELb1ELb1ELb1ELb0ELb0ELb0EEEvPT0_PvPT_S7_S7_PKS6_S9_S9_S9_S9_ffiiiiiiiiiiiii
	.p2align	8
	.type	_ZN5aiter35fused_qk_rmsnorm_group_quant_kernelIDF16_N4opus5fp4_tELi64ELi8ELi8ELb1ELb1ELb1ELb0ELb0ELb0EEEvPT0_PvPT_S7_S7_PKS6_S9_S9_S9_S9_ffiiiiiiiiiiiii,@function
_ZN5aiter35fused_qk_rmsnorm_group_quant_kernelIDF16_N4opus5fp4_tELi64ELi8ELi8ELb1ELb1ELb1ELb0ELb0ELb0EEEvPT0_PvPT_S7_S7_PKS6_S9_S9_S9_S9_ffiiiiiiiiiiiii: ; @_ZN5aiter35fused_qk_rmsnorm_group_quant_kernelIDF16_N4opus5fp4_tELi64ELi8ELi8ELb1ELb1ELb1ELb0ELb0ELb0EEEvPT0_PvPT_S7_S7_PKS6_S9_S9_S9_S9_ffiiiiiiiiiiiii
; %bb.0:
	s_load_dwordx8 s[16:23], s[4:5], 0x50
	s_waitcnt lgkmcnt(0)
	s_cmp_ge_i32 s6, s18
	s_cbranch_scc1 .LBB163_15
; %bb.1:
	s_cmp_lg_u32 s7, 0
	s_cselect_b64 s[2:3], -1, 0
	s_cmp_eq_u32 s7, 0
	s_cselect_b64 s[26:27], -1, 0
	s_and_b64 s[0:1], s[26:27], exec
	s_load_dwordx2 s[24:25], s[4:5], 0x48
	s_load_dwordx2 s[34:35], s[4:5], 0x30
	s_load_dwordx8 s[8:15], s[4:5], 0x70
	s_cselect_b32 s7, s19, s20
	s_add_i32 s0, s7, 1
	s_lshr_b32 s1, s0, 31
	s_add_i32 s0, s0, s1
	s_lshl_b32 s0, s0, 1
	v_lshlrev_b32_e32 v1, 3, v0
	s_and_b32 s30, s0, -4
	v_cmp_gt_i32_e64 s[0:1], s7, v1
	v_mov_b32_e32 v2, 0
	v_mov_b32_e32 v3, 0
	;; [unrolled: 1-line block ×8, first 2 shown]
	s_waitcnt lgkmcnt(0)
	s_and_saveexec_b64 s[14:15], s[0:1]
	s_cbranch_execz .LBB163_3
; %bb.2:
	s_load_dwordx2 s[28:29], s[4:5], 0x28
	s_load_dwordx2 s[38:39], s[4:5], 0x40
	s_and_b64 s[36:37], s[26:27], exec
	s_cselect_b32 s18, s21, s22
	v_lshlrev_b32_e32 v10, 4, v0
	s_waitcnt lgkmcnt(0)
	s_cselect_b32 s21, s29, s35
	s_cselect_b32 s31, s28, s34
	s_mul_hi_i32 s29, s18, s6
	s_mul_i32 s28, s18, s6
	s_lshl_b64 s[28:29], s[28:29], 1
	s_add_u32 s36, s31, s28
	s_addc_u32 s18, s21, s29
	s_and_b64 s[26:27], s[26:27], exec
	s_mov_b32 s31, 0x20000
	s_cselect_b32 s28, s38, s24
	s_cselect_b32 s21, s39, s25
	s_and_b32 s37, s18, 0xffff
	s_mov_b32 s38, s30
	s_mov_b32 s39, s31
	s_and_b32 s29, s21, 0xffff
	buffer_load_dwordx4 v[6:9], v10, s[36:39], 0 offen glc slc
	buffer_load_dwordx4 v[2:5], v10, s[28:31], 0 offen
.LBB163_3:
	s_or_b64 exec, exec, s[14:15]
	s_and_b64 vcc, exec, s[2:3]
	s_cbranch_vccz .LBB163_7
; %bb.4:
	v_mov_b32_e32 v11, 0
	v_mov_b32_e32 v10, 0
	;; [unrolled: 1-line block ×8, first 2 shown]
	s_and_saveexec_b64 s[14:15], s[0:1]
	s_cbranch_execz .LBB163_6
; %bb.5:
	s_waitcnt vmcnt(1)
	v_cvt_f32_f16_sdwa v13, v6 dst_sel:DWORD dst_unused:UNUSED_PAD src0_sel:WORD_1
	v_cvt_f32_f16_e32 v12, v6
	v_cvt_f32_f16_sdwa v17, v7 dst_sel:DWORD dst_unused:UNUSED_PAD src0_sel:WORD_1
	v_cvt_f32_f16_e32 v16, v7
	;; [unrolled: 2-line block ×4, first 2 shown]
.LBB163_6:
	s_or_b64 exec, exec, s[14:15]
	s_mov_b32 s18, s17
	s_cbranch_execz .LBB163_8
	s_branch .LBB163_11
.LBB163_7:
                                        ; implicit-def: $vgpr11
                                        ; implicit-def: $vgpr15
                                        ; implicit-def: $vgpr17
                                        ; implicit-def: $vgpr13
	s_mov_b32 s18, s17
.LBB163_8:
	v_mov_b32_e32 v11, 0
	v_mov_b32_e32 v10, 0
	;; [unrolled: 1-line block ×8, first 2 shown]
	s_and_saveexec_b64 s[14:15], s[0:1]
	s_cbranch_execz .LBB163_10
; %bb.9:
	s_load_dwordx2 s[26:27], s[4:5], 0x38
	s_mul_hi_i32 s29, s23, s6
	s_mul_i32 s28, s23, s6
	s_lshl_b64 s[28:29], s[28:29], 1
	s_mov_b32 s31, 0x20000
	s_waitcnt lgkmcnt(0)
	s_add_u32 s28, s26, s28
	s_addc_u32 s18, s27, s29
	s_and_b32 s29, s18, 0xffff
	v_lshlrev_b32_e32 v24, 4, v0
	buffer_load_dwordx4 v[10:13], v24, s[28:31], 0 offen glc slc
	s_waitcnt vmcnt(2)
	v_cvt_f32_f16_sdwa v15, v6 dst_sel:DWORD dst_unused:UNUSED_PAD src0_sel:WORD_1
	v_cvt_f32_f16_e32 v14, v6
	v_cvt_f32_f16_sdwa v17, v7 dst_sel:DWORD dst_unused:UNUSED_PAD src0_sel:WORD_1
	v_cvt_f32_f16_e32 v16, v7
	;; [unrolled: 2-line block ×4, first 2 shown]
	s_load_dwordx2 s[26:27], s[4:5], 0x20
	s_mul_hi_i32 s29, s13, s6
	s_mul_i32 s28, s13, s6
	s_lshl_b64 s[28:29], s[28:29], 1
	s_waitcnt lgkmcnt(0)
	s_add_u32 s28, s26, s28
	s_addc_u32 s13, s27, s29
	s_and_b32 s29, s13, 0xffff
	s_waitcnt vmcnt(0)
	v_cvt_f32_f16_e32 v8, v10
	v_cvt_f32_f16_sdwa v9, v10 dst_sel:DWORD dst_unused:UNUSED_PAD src0_sel:WORD_1
	v_cvt_f32_f16_e32 v10, v11
	v_cvt_f32_f16_sdwa v11, v11 dst_sel:DWORD dst_unused:UNUSED_PAD src0_sel:WORD_1
	;; [unrolled: 2-line block ×4, first 2 shown]
	v_pk_add_f32 v[12:13], v[14:15], v[8:9]
	v_pk_add_f32 v[16:17], v[16:17], v[10:11]
	;; [unrolled: 1-line block ×4, first 2 shown]
	v_cvt_f16_f32_e32 v6, v13
	v_cvt_f16_f32_e32 v7, v17
	;; [unrolled: 1-line block ×8, first 2 shown]
	v_pack_b32_f16 v9, v18, v9
	v_pack_b32_f16 v8, v19, v8
	;; [unrolled: 1-line block ×4, first 2 shown]
	buffer_store_dwordx4 v[6:9], v24, s[28:31], 0 offen glc slc
	;;#ASMSTART
	s_nop 0
	;;#ASMEND
.LBB163_10:
	s_or_b64 exec, exec, s[14:15]
	s_mov_b32 s18, s16
.LBB163_11:
	s_waitcnt vmcnt(1)
	v_mul_f32_e32 v6, v13, v13
	v_fmac_f32_e32 v6, v12, v12
	v_fmac_f32_e32 v6, v16, v16
	;; [unrolled: 1-line block ×7, first 2 shown]
	v_bfrev_b32_e32 v8, 0.5
	s_load_dwordx2 s[14:15], s[4:5], 0x18
	v_mov_b32_dpp v7, v6 quad_perm:[1,0,3,2] row_mask:0xf bank_mask:0xf
	v_add_f32_e32 v6, v6, v7
	s_nop 1
	v_mov_b32_dpp v7, v6 quad_perm:[2,3,0,1] row_mask:0xf bank_mask:0xf
	v_add_f32_e32 v6, v6, v7
	s_nop 1
	v_mov_b32_dpp v7, v6 row_half_mirror row_mask:0xf bank_mask:0xf
	v_add_f32_e32 v6, v6, v7
	s_nop 1
	v_mov_b32_dpp v7, v6 row_mirror row_mask:0xf bank_mask:0xf
	v_add_f32_e32 v6, v6, v7
	s_nop 1
	v_mov_b32_dpp v7, v6 row_bcast:15 row_mask:0xf bank_mask:0xf
	v_add_f32_e32 v6, v6, v7
	s_nop 1
	v_mov_b32_dpp v7, v6 row_bcast:31 row_mask:0xf bank_mask:0xf
	v_add_f32_e32 v6, v6, v7
	v_mbcnt_lo_u32_b32 v7, -1, 0
	v_mbcnt_hi_u32_b32 v7, -1, v7
	v_lshl_or_b32 v18, v7, 2, v8
	ds_bpermute_b32 v6, v18, v6
	s_and_saveexec_b64 s[26:27], s[0:1]
	s_cbranch_execnz .LBB163_16
; %bb.12:
	s_or_b64 exec, exec, s[26:27]
	s_mov_b64 s[26:27], -1
	s_and_b64 vcc, exec, s[2:3]
	s_cbranch_vccnz .LBB163_17
.LBB163_13:
	s_andn2_b64 vcc, exec, s[26:27]
	s_cbranch_vccz .LBB163_20
.LBB163_14:
	s_cmp_lt_i32 s20, 1
	s_cbranch_scc0 .LBB163_29
.LBB163_15:
	s_endpgm
.LBB163_16:
	v_cvt_f32_u32_e32 v7, s7
	s_mov_b32 s7, 0x800000
	s_waitcnt lgkmcnt(0)
	v_div_scale_f32 v8, s[28:29], v7, v7, v6
	v_rcp_f32_e32 v9, v8
	v_div_scale_f32 v19, vcc, v6, v7, v6
	v_fma_f32 v20, -v8, v9, 1.0
	v_fmac_f32_e32 v9, v20, v9
	v_mul_f32_e32 v20, v19, v9
	v_fma_f32 v21, -v8, v20, v19
	v_fmac_f32_e32 v20, v21, v9
	v_fma_f32 v8, -v8, v20, v19
	v_div_fmas_f32 v8, v8, v9, v20
	v_div_fixup_f32 v6, v8, v7, v6
	v_add_f32_e32 v6, s18, v6
	v_mul_f32_e32 v7, 0x4b800000, v6
	v_cmp_gt_f32_e32 vcc, s7, v6
	v_cndmask_b32_e32 v6, v6, v7, vcc
	v_rsq_f32_e32 v6, v6
	s_waitcnt vmcnt(0)
	v_cvt_f32_f16_sdwa v7, v2 dst_sel:DWORD dst_unused:UNUSED_PAD src0_sel:WORD_1
	v_cvt_f32_f16_sdwa v21, v3 dst_sel:DWORD dst_unused:UNUSED_PAD src0_sel:WORD_1
	v_cvt_f32_f16_e32 v20, v3
	v_mul_f32_e32 v8, 0x45800000, v6
	v_cndmask_b32_e32 v8, v6, v8, vcc
	v_mov_b32_e32 v9, v8
	;;#ASMSTART
	v_pk_mul_f32 v[12:13], v[12:13], v[8:9]
	;;#ASMEND
	;;#ASMSTART
	v_pk_mul_f32 v[16:17], v[16:17], v[8:9]
	;;#ASMEND
	;; [unrolled: 3-line block ×3, first 2 shown]
	v_cvt_f32_f16_e32 v6, v2
	;;#ASMSTART
	v_pk_mul_f32 v[2:3], v[10:11], v[8:9]
	;;#ASMEND
	v_cvt_f32_f16_sdwa v9, v4 dst_sel:DWORD dst_unused:UNUSED_PAD src0_sel:WORD_1
	v_cvt_f32_f16_e32 v8, v4
	v_cvt_f32_f16_sdwa v11, v5 dst_sel:DWORD dst_unused:UNUSED_PAD src0_sel:WORD_1
	v_cvt_f32_f16_e32 v10, v5
	v_pk_add_f32 v[6:7], v[6:7], 1.0 op_sel_hi:[1,0]
	v_pk_add_f32 v[4:5], v[8:9], 1.0 op_sel_hi:[1,0]
	;;#ASMSTART
	v_pk_mul_f32 v[12:13], v[12:13], v[6:7]
	;;#ASMEND
	v_pk_add_f32 v[6:7], v[20:21], 1.0 op_sel_hi:[1,0]
	;;#ASMSTART
	v_pk_mul_f32 v[16:17], v[16:17], v[6:7]
	;;#ASMEND
	;;#ASMSTART
	v_pk_mul_f32 v[14:15], v[14:15], v[4:5]
	;;#ASMEND
	v_pk_add_f32 v[4:5], v[10:11], 1.0 op_sel_hi:[1,0]
	;;#ASMSTART
	v_pk_mul_f32 v[10:11], v[2:3], v[4:5]
	;;#ASMEND
	s_or_b64 exec, exec, s[26:27]
	s_mov_b64 s[26:27], -1
	s_and_b64 vcc, exec, s[2:3]
	s_cbranch_vccz .LBB163_13
.LBB163_17:
	s_and_saveexec_b64 s[2:3], s[0:1]
	s_cbranch_execz .LBB163_19
; %bb.18:
	s_mul_hi_i32 s27, s12, s6
	s_mul_i32 s26, s12, s6
	s_waitcnt vmcnt(0)
	v_cvt_f16_f32_e32 v2, v12
	v_cvt_f16_f32_e32 v3, v16
	;; [unrolled: 1-line block ×4, first 2 shown]
	s_waitcnt lgkmcnt(0)
	v_cvt_f16_f32_e32 v6, v11
	v_cvt_f16_f32_e32 v7, v15
	;; [unrolled: 1-line block ×4, first 2 shown]
	s_lshl_b64 s[26:27], s[26:27], 1
	s_add_u32 s28, s14, s26
	s_addc_u32 s7, s15, s27
	s_and_b32 s29, s7, 0xffff
	s_mov_b32 s31, 0x20000
	v_pack_b32_f16 v5, v5, v6
	v_pack_b32_f16 v4, v4, v7
	;; [unrolled: 1-line block ×4, first 2 shown]
	v_lshlrev_b32_e32 v6, 4, v0
	buffer_store_dwordx4 v[2:5], v6, s[28:31], 0 offen
	;;#ASMSTART
	s_nop 0
	;;#ASMEND
.LBB163_19:
	s_or_b64 exec, exec, s[2:3]
	s_cbranch_execnz .LBB163_14
.LBB163_20:
	s_waitcnt vmcnt(0)
	v_mov_b32_e32 v2, 0
	s_and_saveexec_b64 s[2:3], s[0:1]
	s_cbranch_execz .LBB163_22
; %bb.21:
	s_load_dwordx2 s[26:27], s[4:5], 0x10
	s_mul_hi_i32 s29, s11, s6
	s_mul_i32 s28, s11, s6
	v_cvt_f16_f32_e32 v2, v12
	v_cvt_f16_f32_e32 v3, v16
	;; [unrolled: 1-line block ×4, first 2 shown]
	s_waitcnt lgkmcnt(0)
	v_cvt_f16_f32_e32 v6, v11
	v_cvt_f16_f32_e32 v7, v15
	;; [unrolled: 1-line block ×4, first 2 shown]
	s_lshl_b64 s[28:29], s[28:29], 1
	s_add_u32 s28, s26, s28
	s_addc_u32 s7, s27, s29
	s_mov_b32 s31, 0x20000
	s_and_b32 s29, s7, 0xffff
	v_pack_b32_f16 v5, v5, v6
	v_pack_b32_f16 v4, v4, v7
	;; [unrolled: 1-line block ×4, first 2 shown]
	v_lshlrev_b32_e32 v6, 4, v0
	buffer_store_dwordx4 v[2:5], v6, s[28:31], 0 offen
	;;#ASMSTART
	s_nop 0
	;;#ASMEND
	s_nop 0
	v_mov_b32_e32 v2, 0x2edbe6ff
.LBB163_22:
	s_or_b64 exec, exec, s[2:3]
	s_and_saveexec_b64 s[2:3], s[0:1]
	s_cbranch_execz .LBB163_24
; %bb.23:
	v_and_b32_e32 v3, 0x7fffffff, v12
	v_and_b32_e32 v4, 0x7fffffff, v13
	;;#ASMSTART
	v_max3_f32 v2, v2, v3, v4

	;;#ASMEND
	v_and_b32_e32 v3, 0x7fffffff, v16
	v_and_b32_e32 v4, 0x7fffffff, v17
	;;#ASMSTART
	v_max3_f32 v2, v2, v3, v4

	;;#ASMEND
	;; [unrolled: 6-line block ×4, first 2 shown]
.LBB163_24:
	s_or_b64 exec, exec, s[2:3]
	;;#ASMSTART
	v_max_f32 v3, v2, v2 quad_perm:[1,0,3,2] row_mask:0xf bank_mask:0xf bound_ctrl:1
	;;#ASMEND
	;;#ASMSTART
	v_max_f32 v4, v3, v3 quad_perm:[2,3,0,1] row_mask:0xf bank_mask:0xf bound_ctrl:1
	;;#ASMEND
	v_and_b32_e32 v3, 7, v0
	v_cmp_eq_u32_e32 vcc, 0, v3
	v_cmp_gt_i32_e64 s[2:3], s19, v1
	s_and_b64 s[26:27], vcc, s[2:3]
	;;#ASMSTART
	v_max_f32 v2, v4, v4 row_half_mirror row_mask:0xf bank_mask:0xf bound_ctrl:1
	;;#ASMEND
	s_and_saveexec_b64 s[2:3], s[26:27]
	s_cbranch_execz .LBB163_26
; %bb.25:
	s_load_dwordx2 s[26:27], s[4:5], 0x8
	v_mul_f32_e32 v2, 0x3e2aaaab, v2
	v_lshrrev_b32_e32 v3, 23, v2
	v_and_b32_e32 v4, 0x7f800000, v2
	v_and_b32_e32 v2, 0x7fffff, v2
	v_cmp_ne_u32_e32 vcc, 0, v2
	s_mul_hi_i32 s11, s9, s6
	s_mul_i32 s9, s9, s6
	s_mov_b32 s7, 0x7f800000
	v_addc_co_u32_e32 v2, vcc, 0, v3, vcc
	s_waitcnt lgkmcnt(0)
	s_add_u32 s26, s26, s9
	v_cmp_ne_u32_e32 vcc, s7, v4
	s_addc_u32 s27, s27, s11
	v_lshrrev_b32_e32 v5, 3, v0
	v_cndmask_b32_e32 v4, -1, v2, vcc
	v_pk_mov_b32 v[2:3], s[26:27], s[26:27] op_sel:[0,1]
	v_mad_i64_i32 v[2:3], s[10:11], s10, v5, v[2:3]
	global_store_byte v[2:3], v4, off
.LBB163_26:
	s_or_b64 exec, exec, s[2:3]
	s_and_saveexec_b64 s[2:3], s[0:1]
	s_cbranch_execz .LBB163_28
; %bb.27:
	s_load_dwordx2 s[0:1], s[4:5], 0x0
	s_mul_hi_i32 s7, s8, s6
	s_mul_i32 s8, s8, s6
	v_lshlrev_b32_e32 v2, 2, v0
	s_mov_b32 s11, 0x20000
	s_waitcnt lgkmcnt(0)
	s_add_u32 s8, s0, s8
	s_addc_u32 s0, s1, s7
	s_lshr_b32 s1, s19, 31
	s_add_i32 s1, s19, s1
	s_ashr_i32 s1, s1, 1
	s_add_i32 s1, s1, 3
	s_ashr_i32 s7, s1, 31
	s_lshr_b32 s7, s7, 30
	s_add_i32 s1, s1, s7
	s_and_b32 s10, s1, -4
	s_and_b32 s9, s0, 0xffff
	v_mov_b32_e32 v3, 0
	buffer_store_dword v3, v2, s[8:11], 0 offen
	;;#ASMSTART
	s_nop 0
	;;#ASMEND
.LBB163_28:
	s_or_b64 exec, exec, s[2:3]
	s_cmp_lt_i32 s20, 1
	s_cbranch_scc1 .LBB163_15
.LBB163_29:
	s_load_dword s0, s[4:5], 0x94
	s_waitcnt lgkmcnt(0)
	s_cmp_lg_u32 s0, 1
	s_cbranch_scc1 .LBB163_15
; %bb.30:
	s_lshl_b32 s0, s20, 1
	s_add_i32 s0, s0, 2
	v_cmp_gt_u32_e32 vcc, s20, v1
	s_and_b32 s26, s0, -4
	v_mov_b32_e32 v8, 0
	v_lshlrev_b32_e32 v16, 4, v0
	s_waitcnt vmcnt(0)
	v_mov_b32_e32 v4, 0
	v_mov_b32_e32 v5, 0
	;; [unrolled: 1-line block ×8, first 2 shown]
	s_barrier
	s_and_saveexec_b64 s[0:1], vcc
	s_cbranch_execz .LBB163_32
; %bb.31:
	s_mul_hi_i32 s3, s22, s6
	s_mul_i32 s2, s22, s6
	s_and_b32 s25, s25, 0xffff
	s_lshl_b64 s[2:3], s[2:3], 1
	s_add_u32 s8, s34, s2
	s_mov_b32 s27, 0x20000
	s_addc_u32 s2, s35, s3
	s_and_b32 s9, s2, 0xffff
	s_mov_b32 s10, s26
	s_mov_b32 s11, s27
	buffer_load_dwordx4 v[4:7], v16, s[8:11], 0 offen glc slc
	buffer_load_dwordx4 v[0:3], v16, s[24:27], 0 offen
.LBB163_32:
	s_or_b64 exec, exec, s[0:1]
	v_mov_b32_e32 v9, 0
	v_mov_b32_e32 v12, 0
	;; [unrolled: 1-line block ×7, first 2 shown]
	s_and_saveexec_b64 s[0:1], vcc
	s_cbranch_execz .LBB163_34
; %bb.33:
	s_waitcnt vmcnt(1)
	v_cvt_f32_f16_sdwa v9, v4 dst_sel:DWORD dst_unused:UNUSED_PAD src0_sel:WORD_1
	v_cvt_f32_f16_e32 v8, v4
	v_cvt_f32_f16_sdwa v13, v5 dst_sel:DWORD dst_unused:UNUSED_PAD src0_sel:WORD_1
	v_cvt_f32_f16_e32 v12, v5
	;; [unrolled: 2-line block ×4, first 2 shown]
.LBB163_34:
	s_or_b64 exec, exec, s[0:1]
	s_waitcnt vmcnt(1)
	v_mul_f32_e32 v4, v9, v9
	v_fmac_f32_e32 v4, v8, v8
	v_fmac_f32_e32 v4, v12, v12
	;; [unrolled: 1-line block ×7, first 2 shown]
	s_nop 1
	v_mov_b32_dpp v5, v4 quad_perm:[1,0,3,2] row_mask:0xf bank_mask:0xf
	v_add_f32_e32 v4, v4, v5
	s_nop 1
	v_mov_b32_dpp v5, v4 quad_perm:[2,3,0,1] row_mask:0xf bank_mask:0xf
	v_add_f32_e32 v4, v4, v5
	s_nop 1
	v_mov_b32_dpp v5, v4 row_half_mirror row_mask:0xf bank_mask:0xf
	v_add_f32_e32 v4, v4, v5
	s_nop 1
	v_mov_b32_dpp v5, v4 row_mirror row_mask:0xf bank_mask:0xf
	v_add_f32_e32 v4, v4, v5
	s_nop 1
	v_mov_b32_dpp v5, v4 row_bcast:15 row_mask:0xf bank_mask:0xf
	v_add_f32_e32 v4, v4, v5
	s_nop 1
	v_mov_b32_dpp v5, v4 row_bcast:31 row_mask:0xf bank_mask:0xf
	v_add_f32_e32 v4, v4, v5
	ds_bpermute_b32 v4, v18, v4
	s_and_saveexec_b64 s[0:1], vcc
	s_cbranch_execz .LBB163_15
; %bb.35:
	v_cvt_f32_u32_e32 v5, s20
	s_mov_b32 s27, 0x20000
	s_waitcnt lgkmcnt(0)
	v_div_scale_f32 v6, s[0:1], v5, v5, v4
	v_rcp_f32_e32 v7, v6
	v_div_scale_f32 v17, vcc, v4, v5, v4
	s_mov_b32 s0, 0x800000
	v_fma_f32 v18, -v6, v7, 1.0
	v_fmac_f32_e32 v7, v18, v7
	v_mul_f32_e32 v18, v17, v7
	v_fma_f32 v19, -v6, v18, v17
	v_fmac_f32_e32 v18, v19, v7
	v_fma_f32 v6, -v6, v18, v17
	v_div_fmas_f32 v6, v6, v7, v18
	v_div_fixup_f32 v4, v6, v5, v4
	v_add_f32_e32 v4, s17, v4
	v_mul_f32_e32 v5, 0x4b800000, v4
	v_cmp_gt_f32_e32 vcc, s0, v4
	v_cndmask_b32_e32 v4, v4, v5, vcc
	v_rsq_f32_e32 v4, v4
	s_waitcnt vmcnt(0)
	v_cvt_f32_f16_sdwa v5, v0 dst_sel:DWORD dst_unused:UNUSED_PAD src0_sel:WORD_1
	v_cvt_f32_f16_sdwa v19, v1 dst_sel:DWORD dst_unused:UNUSED_PAD src0_sel:WORD_1
	v_cvt_f32_f16_e32 v18, v1
	v_mul_f32_e32 v6, 0x45800000, v4
	v_cndmask_b32_e32 v6, v4, v6, vcc
	v_cvt_f32_f16_e32 v4, v0
	v_mov_b32_e32 v7, v6
	;;#ASMSTART
	v_pk_mul_f32 v[8:9], v[8:9], v[6:7]
	;;#ASMEND
	;;#ASMSTART
	v_pk_mul_f32 v[12:13], v[12:13], v[6:7]
	;;#ASMEND
	v_pk_add_f32 v[4:5], v[4:5], 1.0 op_sel_hi:[1,0]
	;;#ASMSTART
	v_pk_mul_f32 v[14:15], v[14:15], v[6:7]
	;;#ASMEND
	;;#ASMSTART
	v_pk_mul_f32 v[0:1], v[10:11], v[6:7]
	;;#ASMEND
	;; [unrolled: 3-line block ×3, first 2 shown]
	v_cvt_f32_f16_sdwa v9, v2 dst_sel:DWORD dst_unused:UNUSED_PAD src0_sel:WORD_1
	v_cvt_f32_f16_e32 v8, v2
	v_cvt_f32_f16_sdwa v11, v3 dst_sel:DWORD dst_unused:UNUSED_PAD src0_sel:WORD_1
	v_cvt_f32_f16_e32 v10, v3
	v_pk_add_f32 v[6:7], v[18:19], 1.0 op_sel_hi:[1,0]
	;;#ASMSTART
	v_pk_mul_f32 v[2:3], v[12:13], v[6:7]
	;;#ASMEND
	v_pk_add_f32 v[6:7], v[8:9], 1.0 op_sel_hi:[1,0]
	;;#ASMSTART
	v_pk_mul_f32 v[6:7], v[14:15], v[6:7]
	;;#ASMEND
	;; [unrolled: 4-line block ×3, first 2 shown]
	s_mul_hi_i32 s1, s12, s6
	s_mul_i32 s0, s12, s6
	v_cvt_f16_f32_e32 v4, v4
	v_cvt_f16_f32_e32 v5, v5
	;; [unrolled: 1-line block ×8, first 2 shown]
	s_lshl_b64 s[0:1], s[0:1], 1
	s_add_u32 s24, s14, s0
	s_addc_u32 s0, s15, s1
	s_and_b32 s25, s0, 0xffff
	v_pack_b32_f16 v0, v4, v5
	v_pack_b32_f16 v1, v2, v3
	;; [unrolled: 1-line block ×4, first 2 shown]
	buffer_store_dwordx4 v[0:3], v16, s[24:27], 0 offen
	;;#ASMSTART
	s_nop 0
	;;#ASMEND
	s_endpgm
	.section	.rodata,"a",@progbits
	.p2align	6, 0x0
	.amdhsa_kernel _ZN5aiter35fused_qk_rmsnorm_group_quant_kernelIDF16_N4opus5fp4_tELi64ELi8ELi8ELb1ELb1ELb1ELb0ELb0ELb0EEEvPT0_PvPT_S7_S7_PKS6_S9_S9_S9_S9_ffiiiiiiiiiiiii
		.amdhsa_group_segment_fixed_size 0
		.amdhsa_private_segment_fixed_size 0
		.amdhsa_kernarg_size 400
		.amdhsa_user_sgpr_count 6
		.amdhsa_user_sgpr_private_segment_buffer 1
		.amdhsa_user_sgpr_dispatch_ptr 0
		.amdhsa_user_sgpr_queue_ptr 0
		.amdhsa_user_sgpr_kernarg_segment_ptr 1
		.amdhsa_user_sgpr_dispatch_id 0
		.amdhsa_user_sgpr_flat_scratch_init 0
		.amdhsa_user_sgpr_kernarg_preload_length 0
		.amdhsa_user_sgpr_kernarg_preload_offset 0
		.amdhsa_user_sgpr_private_segment_size 0
		.amdhsa_uses_dynamic_stack 0
		.amdhsa_system_sgpr_private_segment_wavefront_offset 0
		.amdhsa_system_sgpr_workgroup_id_x 1
		.amdhsa_system_sgpr_workgroup_id_y 1
		.amdhsa_system_sgpr_workgroup_id_z 0
		.amdhsa_system_sgpr_workgroup_info 0
		.amdhsa_system_vgpr_workitem_id 0
		.amdhsa_next_free_vgpr 25
		.amdhsa_next_free_sgpr 40
		.amdhsa_accum_offset 28
		.amdhsa_reserve_vcc 1
		.amdhsa_reserve_flat_scratch 0
		.amdhsa_float_round_mode_32 0
		.amdhsa_float_round_mode_16_64 0
		.amdhsa_float_denorm_mode_32 3
		.amdhsa_float_denorm_mode_16_64 3
		.amdhsa_dx10_clamp 1
		.amdhsa_ieee_mode 1
		.amdhsa_fp16_overflow 0
		.amdhsa_tg_split 0
		.amdhsa_exception_fp_ieee_invalid_op 0
		.amdhsa_exception_fp_denorm_src 0
		.amdhsa_exception_fp_ieee_div_zero 0
		.amdhsa_exception_fp_ieee_overflow 0
		.amdhsa_exception_fp_ieee_underflow 0
		.amdhsa_exception_fp_ieee_inexact 0
		.amdhsa_exception_int_div_zero 0
	.end_amdhsa_kernel
	.section	.text._ZN5aiter35fused_qk_rmsnorm_group_quant_kernelIDF16_N4opus5fp4_tELi64ELi8ELi8ELb1ELb1ELb1ELb0ELb0ELb0EEEvPT0_PvPT_S7_S7_PKS6_S9_S9_S9_S9_ffiiiiiiiiiiiii,"axG",@progbits,_ZN5aiter35fused_qk_rmsnorm_group_quant_kernelIDF16_N4opus5fp4_tELi64ELi8ELi8ELb1ELb1ELb1ELb0ELb0ELb0EEEvPT0_PvPT_S7_S7_PKS6_S9_S9_S9_S9_ffiiiiiiiiiiiii,comdat
.Lfunc_end163:
	.size	_ZN5aiter35fused_qk_rmsnorm_group_quant_kernelIDF16_N4opus5fp4_tELi64ELi8ELi8ELb1ELb1ELb1ELb0ELb0ELb0EEEvPT0_PvPT_S7_S7_PKS6_S9_S9_S9_S9_ffiiiiiiiiiiiii, .Lfunc_end163-_ZN5aiter35fused_qk_rmsnorm_group_quant_kernelIDF16_N4opus5fp4_tELi64ELi8ELi8ELb1ELb1ELb1ELb0ELb0ELb0EEEvPT0_PvPT_S7_S7_PKS6_S9_S9_S9_S9_ffiiiiiiiiiiiii
                                        ; -- End function
	.section	.AMDGPU.csdata,"",@progbits
; Kernel info:
; codeLenInByte = 2760
; NumSgprs: 44
; NumVgprs: 25
; NumAgprs: 0
; TotalNumVgprs: 25
; ScratchSize: 0
; MemoryBound: 0
; FloatMode: 240
; IeeeMode: 1
; LDSByteSize: 0 bytes/workgroup (compile time only)
; SGPRBlocks: 5
; VGPRBlocks: 3
; NumSGPRsForWavesPerEU: 44
; NumVGPRsForWavesPerEU: 25
; AccumOffset: 28
; Occupancy: 8
; WaveLimiterHint : 0
; COMPUTE_PGM_RSRC2:SCRATCH_EN: 0
; COMPUTE_PGM_RSRC2:USER_SGPR: 6
; COMPUTE_PGM_RSRC2:TRAP_HANDLER: 0
; COMPUTE_PGM_RSRC2:TGID_X_EN: 1
; COMPUTE_PGM_RSRC2:TGID_Y_EN: 1
; COMPUTE_PGM_RSRC2:TGID_Z_EN: 0
; COMPUTE_PGM_RSRC2:TIDIG_COMP_CNT: 0
; COMPUTE_PGM_RSRC3_GFX90A:ACCUM_OFFSET: 6
; COMPUTE_PGM_RSRC3_GFX90A:TG_SPLIT: 0
	.section	.text._ZN5aiter35fused_qk_rmsnorm_group_quant_kernelItN4opus5fp4_tELi64ELi8ELi8ELb1ELb1ELb1ELb0ELb0ELb0EEEvPT0_PvPT_S7_S7_PKS6_S9_S9_S9_S9_ffiiiiiiiiiiiii,"axG",@progbits,_ZN5aiter35fused_qk_rmsnorm_group_quant_kernelItN4opus5fp4_tELi64ELi8ELi8ELb1ELb1ELb1ELb0ELb0ELb0EEEvPT0_PvPT_S7_S7_PKS6_S9_S9_S9_S9_ffiiiiiiiiiiiii,comdat
	.protected	_ZN5aiter35fused_qk_rmsnorm_group_quant_kernelItN4opus5fp4_tELi64ELi8ELi8ELb1ELb1ELb1ELb0ELb0ELb0EEEvPT0_PvPT_S7_S7_PKS6_S9_S9_S9_S9_ffiiiiiiiiiiiii ; -- Begin function _ZN5aiter35fused_qk_rmsnorm_group_quant_kernelItN4opus5fp4_tELi64ELi8ELi8ELb1ELb1ELb1ELb0ELb0ELb0EEEvPT0_PvPT_S7_S7_PKS6_S9_S9_S9_S9_ffiiiiiiiiiiiii
	.globl	_ZN5aiter35fused_qk_rmsnorm_group_quant_kernelItN4opus5fp4_tELi64ELi8ELi8ELb1ELb1ELb1ELb0ELb0ELb0EEEvPT0_PvPT_S7_S7_PKS6_S9_S9_S9_S9_ffiiiiiiiiiiiii
	.p2align	8
	.type	_ZN5aiter35fused_qk_rmsnorm_group_quant_kernelItN4opus5fp4_tELi64ELi8ELi8ELb1ELb1ELb1ELb0ELb0ELb0EEEvPT0_PvPT_S7_S7_PKS6_S9_S9_S9_S9_ffiiiiiiiiiiiii,@function
_ZN5aiter35fused_qk_rmsnorm_group_quant_kernelItN4opus5fp4_tELi64ELi8ELi8ELb1ELb1ELb1ELb0ELb0ELb0EEEvPT0_PvPT_S7_S7_PKS6_S9_S9_S9_S9_ffiiiiiiiiiiiii: ; @_ZN5aiter35fused_qk_rmsnorm_group_quant_kernelItN4opus5fp4_tELi64ELi8ELi8ELb1ELb1ELb1ELb0ELb0ELb0EEEvPT0_PvPT_S7_S7_PKS6_S9_S9_S9_S9_ffiiiiiiiiiiiii
; %bb.0:
	s_load_dwordx8 s[16:23], s[4:5], 0x50
	s_waitcnt lgkmcnt(0)
	s_cmp_ge_i32 s6, s18
	s_cbranch_scc1 .LBB164_15
; %bb.1:
	s_cmp_lg_u32 s7, 0
	s_cselect_b64 s[2:3], -1, 0
	s_cmp_eq_u32 s7, 0
	s_cselect_b64 s[26:27], -1, 0
	s_and_b64 s[0:1], s[26:27], exec
	s_load_dwordx2 s[24:25], s[4:5], 0x48
	s_load_dwordx2 s[34:35], s[4:5], 0x30
	s_load_dwordx8 s[8:15], s[4:5], 0x70
	s_cselect_b32 s7, s19, s20
	s_add_i32 s0, s7, 1
	s_lshr_b32 s1, s0, 31
	s_add_i32 s0, s0, s1
	s_lshl_b32 s0, s0, 1
	v_lshlrev_b32_e32 v1, 3, v0
	s_and_b32 s30, s0, -4
	v_cmp_gt_i32_e64 s[0:1], s7, v1
	v_mov_b32_e32 v10, 0
	v_mov_b32_e32 v11, 0
	;; [unrolled: 1-line block ×8, first 2 shown]
	s_waitcnt lgkmcnt(0)
	s_and_saveexec_b64 s[14:15], s[0:1]
	s_cbranch_execz .LBB164_3
; %bb.2:
	s_load_dwordx2 s[28:29], s[4:5], 0x28
	s_load_dwordx2 s[38:39], s[4:5], 0x40
	s_and_b64 s[36:37], s[26:27], exec
	s_cselect_b32 s18, s21, s22
	v_lshlrev_b32_e32 v2, 4, v0
	s_waitcnt lgkmcnt(0)
	s_cselect_b32 s21, s29, s35
	s_cselect_b32 s31, s28, s34
	s_mul_hi_i32 s29, s18, s6
	s_mul_i32 s28, s18, s6
	s_lshl_b64 s[28:29], s[28:29], 1
	s_add_u32 s36, s31, s28
	s_addc_u32 s18, s21, s29
	s_and_b64 s[26:27], s[26:27], exec
	s_mov_b32 s31, 0x20000
	s_cselect_b32 s28, s38, s24
	s_cselect_b32 s21, s39, s25
	s_and_b32 s37, s18, 0xffff
	s_mov_b32 s38, s30
	s_mov_b32 s39, s31
	s_and_b32 s29, s21, 0xffff
	buffer_load_dwordx4 v[14:17], v2, s[36:39], 0 offen glc slc
	buffer_load_dwordx4 v[10:13], v2, s[28:31], 0 offen
.LBB164_3:
	s_or_b64 exec, exec, s[14:15]
	s_and_b64 vcc, exec, s[2:3]
	s_cbranch_vccz .LBB164_7
; %bb.4:
	s_mov_b32 s36, 0
	s_mov_b32 s37, s36
	;; [unrolled: 1-line block ×8, first 2 shown]
	v_pk_mov_b32 v[2:3], s[36:37], s[36:37] op_sel:[0,1]
	v_pk_mov_b32 v[4:5], s[38:39], s[38:39] op_sel:[0,1]
	v_pk_mov_b32 v[6:7], s[40:41], s[40:41] op_sel:[0,1]
	v_pk_mov_b32 v[8:9], s[42:43], s[42:43] op_sel:[0,1]
	s_and_saveexec_b64 s[14:15], s[0:1]
	s_cbranch_execz .LBB164_6
; %bb.5:
	s_waitcnt vmcnt(1)
	v_cvt_f32_u32_sdwa v3, v14 dst_sel:DWORD dst_unused:UNUSED_PAD src0_sel:WORD_1
	v_cvt_f32_u32_sdwa v2, v14 dst_sel:DWORD dst_unused:UNUSED_PAD src0_sel:WORD_0
	v_cvt_f32_u32_sdwa v5, v15 dst_sel:DWORD dst_unused:UNUSED_PAD src0_sel:WORD_1
	v_cvt_f32_u32_sdwa v4, v15 dst_sel:DWORD dst_unused:UNUSED_PAD src0_sel:WORD_0
	;; [unrolled: 2-line block ×4, first 2 shown]
.LBB164_6:
	s_or_b64 exec, exec, s[14:15]
	s_mov_b32 s18, s17
	s_cbranch_execz .LBB164_8
	s_branch .LBB164_11
.LBB164_7:
                                        ; implicit-def: $vgpr2_vgpr3_vgpr4_vgpr5_vgpr6_vgpr7_vgpr8_vgpr9
	s_mov_b32 s18, s17
.LBB164_8:
	s_mov_b32 s36, 0
	s_mov_b32 s37, s36
	s_mov_b32 s38, s36
	s_mov_b32 s39, s36
	s_mov_b32 s40, s36
	s_mov_b32 s41, s36
	s_mov_b32 s42, s36
	s_mov_b32 s43, s36
	v_pk_mov_b32 v[2:3], s[36:37], s[36:37] op_sel:[0,1]
	v_pk_mov_b32 v[4:5], s[38:39], s[38:39] op_sel:[0,1]
	;; [unrolled: 1-line block ×4, first 2 shown]
	s_and_saveexec_b64 s[14:15], s[0:1]
	s_cbranch_execz .LBB164_10
; %bb.9:
	s_load_dwordx2 s[26:27], s[4:5], 0x38
	s_mul_hi_i32 s29, s23, s6
	s_mul_i32 s28, s23, s6
	s_lshl_b64 s[28:29], s[28:29], 1
	s_mov_b32 s31, 0x20000
	s_waitcnt lgkmcnt(0)
	s_add_u32 s28, s26, s28
	s_addc_u32 s18, s27, s29
	s_and_b32 s29, s18, 0xffff
	v_lshlrev_b32_e32 v26, 4, v0
	buffer_load_dwordx4 v[2:5], v26, s[28:31], 0 offen glc slc
	s_load_dwordx2 s[26:27], s[4:5], 0x20
	s_waitcnt vmcnt(2)
	v_cvt_f32_u32_sdwa v7, v14 dst_sel:DWORD dst_unused:UNUSED_PAD src0_sel:WORD_1
	v_cvt_f32_u32_sdwa v6, v14 dst_sel:DWORD dst_unused:UNUSED_PAD src0_sel:WORD_0
	v_cvt_f32_u32_sdwa v9, v15 dst_sel:DWORD dst_unused:UNUSED_PAD src0_sel:WORD_1
	v_cvt_f32_u32_sdwa v8, v15 dst_sel:DWORD dst_unused:UNUSED_PAD src0_sel:WORD_0
	;; [unrolled: 2-line block ×4, first 2 shown]
	s_mul_hi_i32 s29, s13, s6
	s_mul_i32 s28, s13, s6
	s_lshl_b64 s[28:29], s[28:29], 1
	s_waitcnt lgkmcnt(0)
	s_add_u32 s28, s26, s28
	s_mov_b32 s13, 0x7060302
	s_addc_u32 s18, s27, s29
	s_and_b32 s29, s18, 0xffff
	s_waitcnt vmcnt(0)
	v_cvt_f32_u32_sdwa v17, v2 dst_sel:DWORD dst_unused:UNUSED_PAD src0_sel:WORD_1
	v_cvt_f32_u32_sdwa v16, v2 dst_sel:DWORD dst_unused:UNUSED_PAD src0_sel:WORD_0
	v_cvt_f32_u32_sdwa v21, v3 dst_sel:DWORD dst_unused:UNUSED_PAD src0_sel:WORD_1
	v_cvt_f32_u32_sdwa v20, v3 dst_sel:DWORD dst_unused:UNUSED_PAD src0_sel:WORD_0
	;; [unrolled: 2-line block ×4, first 2 shown]
	v_pk_add_f32 v[2:3], v[6:7], v[16:17]
	v_pk_add_f32 v[4:5], v[8:9], v[20:21]
	;; [unrolled: 1-line block ×4, first 2 shown]
	v_perm_b32 v17, v9, v8, s13
	v_perm_b32 v16, v7, v6, s13
	;; [unrolled: 1-line block ×4, first 2 shown]
	buffer_store_dwordx4 v[14:17], v26, s[28:31], 0 offen glc slc
	;;#ASMSTART
	s_nop 0
	;;#ASMEND
.LBB164_10:
	s_or_b64 exec, exec, s[14:15]
	s_mov_b32 s18, s16
.LBB164_11:
	s_waitcnt vmcnt(1)
	v_mul_f32_e32 v14, v3, v3
	v_fmac_f32_e32 v14, v2, v2
	v_fmac_f32_e32 v14, v4, v4
	;; [unrolled: 1-line block ×7, first 2 shown]
	v_bfrev_b32_e32 v16, 0.5
	s_load_dwordx2 s[14:15], s[4:5], 0x18
	v_mov_b32_dpp v15, v14 quad_perm:[1,0,3,2] row_mask:0xf bank_mask:0xf
	v_add_f32_e32 v14, v14, v15
	s_nop 1
	v_mov_b32_dpp v15, v14 quad_perm:[2,3,0,1] row_mask:0xf bank_mask:0xf
	v_add_f32_e32 v14, v14, v15
	s_nop 1
	v_mov_b32_dpp v15, v14 row_half_mirror row_mask:0xf bank_mask:0xf
	v_add_f32_e32 v14, v14, v15
	s_nop 1
	v_mov_b32_dpp v15, v14 row_mirror row_mask:0xf bank_mask:0xf
	v_add_f32_e32 v14, v14, v15
	s_nop 1
	v_mov_b32_dpp v15, v14 row_bcast:15 row_mask:0xf bank_mask:0xf
	v_add_f32_e32 v14, v14, v15
	s_nop 1
	v_mov_b32_dpp v15, v14 row_bcast:31 row_mask:0xf bank_mask:0xf
	v_add_f32_e32 v15, v14, v15
	v_mbcnt_lo_u32_b32 v14, -1, 0
	v_mbcnt_hi_u32_b32 v14, -1, v14
	v_lshl_or_b32 v14, v14, 2, v16
	ds_bpermute_b32 v15, v14, v15
	s_and_saveexec_b64 s[26:27], s[0:1]
	s_cbranch_execnz .LBB164_16
; %bb.12:
	s_or_b64 exec, exec, s[26:27]
	s_mov_b64 s[26:27], -1
	s_and_b64 vcc, exec, s[2:3]
	s_cbranch_vccnz .LBB164_17
.LBB164_13:
	s_andn2_b64 vcc, exec, s[26:27]
	s_cbranch_vccz .LBB164_20
.LBB164_14:
	s_cmp_lt_i32 s20, 1
	s_cbranch_scc0 .LBB164_29
.LBB164_15:
	s_endpgm
.LBB164_16:
	v_cvt_f32_u32_e32 v16, s7
	s_mov_b32 s7, 0x800000
	s_waitcnt lgkmcnt(0)
	v_div_scale_f32 v17, s[28:29], v16, v16, v15
	v_rcp_f32_e32 v18, v17
	v_div_scale_f32 v19, vcc, v15, v16, v15
	v_fma_f32 v20, -v17, v18, 1.0
	v_fmac_f32_e32 v18, v20, v18
	v_mul_f32_e32 v20, v19, v18
	v_fma_f32 v21, -v17, v20, v19
	v_fmac_f32_e32 v20, v21, v18
	v_fma_f32 v17, -v17, v20, v19
	v_div_fmas_f32 v17, v17, v18, v20
	v_div_fixup_f32 v15, v17, v16, v15
	v_add_f32_e32 v15, s18, v15
	v_mul_f32_e32 v16, 0x4b800000, v15
	v_cmp_gt_f32_e32 vcc, s7, v15
	v_cndmask_b32_e32 v15, v15, v16, vcc
	v_rsq_f32_e32 v15, v15
	s_waitcnt vmcnt(0)
	v_cvt_f32_u32_sdwa v17, v10 dst_sel:DWORD dst_unused:UNUSED_PAD src0_sel:WORD_1
	v_cvt_f32_u32_sdwa v21, v11 dst_sel:DWORD dst_unused:UNUSED_PAD src0_sel:WORD_1
	v_cvt_f32_u32_sdwa v20, v11 dst_sel:DWORD dst_unused:UNUSED_PAD src0_sel:WORD_0
	v_mul_f32_e32 v16, 0x45800000, v15
	v_cndmask_b32_e32 v18, v15, v16, vcc
	v_cvt_f32_u32_sdwa v16, v10 dst_sel:DWORD dst_unused:UNUSED_PAD src0_sel:WORD_0
	v_mov_b32_e32 v19, v18
	;;#ASMSTART
	v_pk_mul_f32 v[2:3], v[2:3], v[18:19]
	;;#ASMEND
	;;#ASMSTART
	v_pk_mul_f32 v[4:5], v[4:5], v[18:19]
	;;#ASMEND
	v_pk_add_f32 v[10:11], v[16:17], 1.0 op_sel_hi:[1,0]
	v_cvt_f32_u32_sdwa v17, v12 dst_sel:DWORD dst_unused:UNUSED_PAD src0_sel:WORD_1
	v_cvt_f32_u32_sdwa v16, v12 dst_sel:DWORD dst_unused:UNUSED_PAD src0_sel:WORD_0
	;;#ASMSTART
	v_pk_mul_f32 v[6:7], v[6:7], v[18:19]
	;;#ASMEND
	;;#ASMSTART
	v_pk_mul_f32 v[8:9], v[8:9], v[18:19]
	;;#ASMEND
	v_cvt_f32_u32_sdwa v19, v13 dst_sel:DWORD dst_unused:UNUSED_PAD src0_sel:WORD_1
	v_cvt_f32_u32_sdwa v18, v13 dst_sel:DWORD dst_unused:UNUSED_PAD src0_sel:WORD_0
	;;#ASMSTART
	v_pk_mul_f32 v[2:3], v[2:3], v[10:11]
	;;#ASMEND
	v_pk_add_f32 v[10:11], v[20:21], 1.0 op_sel_hi:[1,0]
	;;#ASMSTART
	v_pk_mul_f32 v[4:5], v[4:5], v[10:11]
	;;#ASMEND
	v_pk_add_f32 v[10:11], v[16:17], 1.0 op_sel_hi:[1,0]
	;; [unrolled: 4-line block ×3, first 2 shown]
	;;#ASMSTART
	v_pk_mul_f32 v[8:9], v[8:9], v[10:11]
	;;#ASMEND
	s_or_b64 exec, exec, s[26:27]
	s_mov_b64 s[26:27], -1
	s_and_b64 vcc, exec, s[2:3]
	s_cbranch_vccz .LBB164_13
.LBB164_17:
	s_and_saveexec_b64 s[2:3], s[0:1]
	s_cbranch_execz .LBB164_19
; %bb.18:
	s_mul_hi_i32 s27, s12, s6
	s_mul_i32 s26, s12, s6
	s_lshl_b64 s[26:27], s[26:27], 1
	s_waitcnt lgkmcnt(0)
	s_add_u32 s28, s14, s26
	s_addc_u32 s7, s15, s27
	s_and_b32 s29, s7, 0xffff
	s_mov_b32 s7, 0x7060302
	s_mov_b32 s31, 0x20000
	s_waitcnt vmcnt(0)
	v_perm_b32 v10, v3, v2, s7
	v_perm_b32 v11, v5, v4, s7
	v_perm_b32 v12, v7, v6, s7
	v_perm_b32 v13, v9, v8, s7
	v_lshlrev_b32_e32 v15, 4, v0
	buffer_store_dwordx4 v[10:13], v15, s[28:31], 0 offen
	;;#ASMSTART
	s_nop 0
	;;#ASMEND
.LBB164_19:
	s_or_b64 exec, exec, s[2:3]
	s_cbranch_execnz .LBB164_14
.LBB164_20:
	s_waitcnt vmcnt(0)
	v_mov_b32_e32 v10, 0
	s_and_saveexec_b64 s[2:3], s[0:1]
	s_cbranch_execz .LBB164_22
; %bb.21:
	s_load_dwordx2 s[26:27], s[4:5], 0x10
	s_mul_hi_i32 s29, s11, s6
	s_mul_i32 s28, s11, s6
	s_lshl_b64 s[28:29], s[28:29], 1
	s_mov_b32 s31, 0x20000
	s_waitcnt lgkmcnt(0)
	s_add_u32 s28, s26, s28
	s_addc_u32 s7, s27, s29
	s_and_b32 s29, s7, 0xffff
	s_mov_b32 s7, 0x7060302
	v_perm_b32 v10, v3, v2, s7
	v_perm_b32 v11, v5, v4, s7
	;; [unrolled: 1-line block ×4, first 2 shown]
	v_lshlrev_b32_e32 v15, 4, v0
	buffer_store_dwordx4 v[10:13], v15, s[28:31], 0 offen
	;;#ASMSTART
	s_nop 0
	;;#ASMEND
	s_nop 0
	v_mov_b32_e32 v10, 0x2edbe6ff
.LBB164_22:
	s_or_b64 exec, exec, s[2:3]
	s_and_saveexec_b64 s[2:3], s[0:1]
	s_cbranch_execz .LBB164_24
; %bb.23:
	v_and_b32_e32 v2, 0x7fffffff, v2
	v_and_b32_e32 v3, 0x7fffffff, v3
	;;#ASMSTART
	v_max3_f32 v2, v10, v2, v3

	;;#ASMEND
	v_and_b32_e32 v3, 0x7fffffff, v4
	v_and_b32_e32 v4, 0x7fffffff, v5
	;;#ASMSTART
	v_max3_f32 v2, v2, v3, v4

	;;#ASMEND
	;; [unrolled: 6-line block ×4, first 2 shown]
.LBB164_24:
	s_or_b64 exec, exec, s[2:3]
	;;#ASMSTART
	v_max_f32 v2, v10, v10 quad_perm:[1,0,3,2] row_mask:0xf bank_mask:0xf bound_ctrl:1
	;;#ASMEND
	;;#ASMSTART
	v_max_f32 v3, v2, v2 quad_perm:[2,3,0,1] row_mask:0xf bank_mask:0xf bound_ctrl:1
	;;#ASMEND
	;;#ASMSTART
	v_max_f32 v2, v3, v3 row_half_mirror row_mask:0xf bank_mask:0xf bound_ctrl:1
	;;#ASMEND
	v_and_b32_e32 v3, 7, v0
	v_cmp_eq_u32_e32 vcc, 0, v3
	v_cmp_gt_i32_e64 s[2:3], s19, v1
	s_and_b64 s[26:27], vcc, s[2:3]
	s_and_saveexec_b64 s[2:3], s[26:27]
	s_cbranch_execz .LBB164_26
; %bb.25:
	s_load_dwordx2 s[26:27], s[4:5], 0x8
	v_mul_f32_e32 v2, 0x3e2aaaab, v2
	v_lshrrev_b32_e32 v3, 23, v2
	v_and_b32_e32 v4, 0x7f800000, v2
	v_and_b32_e32 v2, 0x7fffff, v2
	v_cmp_ne_u32_e32 vcc, 0, v2
	s_mul_hi_i32 s11, s9, s6
	s_mul_i32 s9, s9, s6
	s_mov_b32 s7, 0x7f800000
	v_addc_co_u32_e32 v2, vcc, 0, v3, vcc
	s_waitcnt lgkmcnt(0)
	s_add_u32 s26, s26, s9
	v_cmp_ne_u32_e32 vcc, s7, v4
	s_addc_u32 s27, s27, s11
	v_lshrrev_b32_e32 v5, 3, v0
	v_cndmask_b32_e32 v4, -1, v2, vcc
	v_pk_mov_b32 v[2:3], s[26:27], s[26:27] op_sel:[0,1]
	v_mad_i64_i32 v[2:3], s[10:11], s10, v5, v[2:3]
	global_store_byte v[2:3], v4, off
.LBB164_26:
	s_or_b64 exec, exec, s[2:3]
	s_and_saveexec_b64 s[2:3], s[0:1]
	s_cbranch_execz .LBB164_28
; %bb.27:
	s_load_dwordx2 s[0:1], s[4:5], 0x0
	s_mul_hi_i32 s7, s8, s6
	s_mul_i32 s8, s8, s6
	v_lshlrev_b32_e32 v2, 2, v0
	s_mov_b32 s11, 0x20000
	s_waitcnt lgkmcnt(0)
	s_add_u32 s8, s0, s8
	s_addc_u32 s0, s1, s7
	s_lshr_b32 s1, s19, 31
	s_add_i32 s1, s19, s1
	s_ashr_i32 s1, s1, 1
	s_add_i32 s1, s1, 3
	s_ashr_i32 s7, s1, 31
	s_lshr_b32 s7, s7, 30
	s_add_i32 s1, s1, s7
	s_and_b32 s10, s1, -4
	s_and_b32 s9, s0, 0xffff
	v_mov_b32_e32 v3, 0
	buffer_store_dword v3, v2, s[8:11], 0 offen
	;;#ASMSTART
	s_nop 0
	;;#ASMEND
.LBB164_28:
	s_or_b64 exec, exec, s[2:3]
	s_cmp_lt_i32 s20, 1
	s_cbranch_scc1 .LBB164_15
.LBB164_29:
	s_load_dword s0, s[4:5], 0x94
	s_waitcnt lgkmcnt(0)
	s_cmp_lg_u32 s0, 1
	s_cbranch_scc1 .LBB164_15
; %bb.30:
	s_lshl_b32 s0, s20, 1
	s_add_i32 s0, s0, 2
	v_cmp_gt_u32_e32 vcc, s20, v1
	s_and_b32 s26, s0, -4
	v_mov_b32_e32 v4, 0
	s_waitcnt vmcnt(0)
	v_lshlrev_b32_e32 v12, 4, v0
	v_mov_b32_e32 v5, 0
	v_mov_b32_e32 v6, 0
	;; [unrolled: 1-line block ×7, first 2 shown]
	s_barrier
	s_and_saveexec_b64 s[0:1], vcc
	s_cbranch_execz .LBB164_32
; %bb.31:
	s_mul_hi_i32 s3, s22, s6
	s_mul_i32 s2, s22, s6
	s_and_b32 s25, s25, 0xffff
	s_lshl_b64 s[2:3], s[2:3], 1
	s_add_u32 s8, s34, s2
	s_mov_b32 s27, 0x20000
	s_addc_u32 s2, s35, s3
	s_and_b32 s9, s2, 0xffff
	s_mov_b32 s10, s26
	s_mov_b32 s11, s27
	buffer_load_dwordx4 v[4:7], v12, s[8:11], 0 offen glc slc
	buffer_load_dwordx4 v[0:3], v12, s[24:27], 0 offen
.LBB164_32:
	s_or_b64 exec, exec, s[0:1]
	s_waitcnt vmcnt(1)
	v_cvt_f32_u32_sdwa v11, v4 dst_sel:DWORD dst_unused:UNUSED_PAD src0_sel:WORD_1
	v_cvt_f32_u32_sdwa v10, v4 dst_sel:DWORD dst_unused:UNUSED_PAD src0_sel:WORD_0
	v_cvt_f32_u32_sdwa v4, v7 dst_sel:DWORD dst_unused:UNUSED_PAD src0_sel:WORD_1
	v_cvt_f32_u32_sdwa v7, v7 dst_sel:DWORD dst_unused:UNUSED_PAD src0_sel:WORD_0
	;; [unrolled: 2-line block ×4, first 2 shown]
	v_cndmask_b32_e32 v11, 0, v11, vcc
	v_cndmask_b32_e32 v5, 0, v4, vcc
	;; [unrolled: 1-line block ×5, first 2 shown]
	v_mul_f32_e32 v13, v11, v11
	v_cndmask_b32_e32 v8, 0, v8, vcc
	v_fmac_f32_e32 v13, v10, v10
	v_cndmask_b32_e32 v9, 0, v9, vcc
	v_fmac_f32_e32 v13, v8, v8
	;; [unrolled: 2-line block ×3, first 2 shown]
	v_fmac_f32_e32 v13, v6, v6
	v_fmac_f32_e32 v13, v7, v7
	;; [unrolled: 1-line block ×4, first 2 shown]
	s_nop 1
	v_mov_b32_dpp v15, v13 quad_perm:[1,0,3,2] row_mask:0xf bank_mask:0xf
	v_add_f32_e32 v13, v13, v15
	s_nop 1
	v_mov_b32_dpp v15, v13 quad_perm:[2,3,0,1] row_mask:0xf bank_mask:0xf
	v_add_f32_e32 v13, v13, v15
	s_nop 1
	v_mov_b32_dpp v15, v13 row_half_mirror row_mask:0xf bank_mask:0xf
	v_add_f32_e32 v13, v13, v15
	s_nop 1
	v_mov_b32_dpp v15, v13 row_mirror row_mask:0xf bank_mask:0xf
	v_add_f32_e32 v13, v13, v15
	s_nop 1
	v_mov_b32_dpp v15, v13 row_bcast:15 row_mask:0xf bank_mask:0xf
	v_add_f32_e32 v13, v13, v15
	s_nop 1
	v_mov_b32_dpp v15, v13 row_bcast:31 row_mask:0xf bank_mask:0xf
	v_add_f32_e32 v13, v13, v15
	ds_bpermute_b32 v13, v14, v13
	s_and_saveexec_b64 s[0:1], vcc
	s_cbranch_execz .LBB164_15
; %bb.33:
	v_cvt_f32_u32_e32 v14, s20
	s_mov_b32 s27, 0x20000
	s_waitcnt lgkmcnt(0)
	v_div_scale_f32 v15, s[0:1], v14, v14, v13
	v_rcp_f32_e32 v16, v15
	v_div_scale_f32 v17, vcc, v13, v14, v13
	s_mov_b32 s0, 0x800000
	v_fma_f32 v18, -v15, v16, 1.0
	v_fmac_f32_e32 v16, v18, v16
	v_mul_f32_e32 v18, v17, v16
	v_fma_f32 v19, -v15, v18, v17
	v_fmac_f32_e32 v18, v19, v16
	v_fma_f32 v15, -v15, v18, v17
	v_div_fmas_f32 v15, v15, v16, v18
	v_div_fixup_f32 v13, v15, v14, v13
	v_add_f32_e32 v13, s17, v13
	v_mul_f32_e32 v14, 0x4b800000, v13
	v_cmp_gt_f32_e32 vcc, s0, v13
	v_cndmask_b32_e32 v13, v13, v14, vcc
	v_rsq_f32_e32 v13, v13
	s_waitcnt vmcnt(0)
	v_cvt_f32_u32_sdwa v15, v0 dst_sel:DWORD dst_unused:UNUSED_PAD src0_sel:WORD_1
	v_cvt_f32_u32_sdwa v19, v1 dst_sel:DWORD dst_unused:UNUSED_PAD src0_sel:WORD_1
	v_cvt_f32_u32_sdwa v18, v1 dst_sel:DWORD dst_unused:UNUSED_PAD src0_sel:WORD_0
	v_mul_f32_e32 v14, 0x45800000, v13
	v_cndmask_b32_e32 v16, v13, v14, vcc
	v_cvt_f32_u32_sdwa v14, v0 dst_sel:DWORD dst_unused:UNUSED_PAD src0_sel:WORD_0
	v_mov_b32_e32 v17, v16
	;;#ASMSTART
	v_pk_mul_f32 v[10:11], v[10:11], v[16:17]
	;;#ASMEND
	;;#ASMSTART
	v_pk_mul_f32 v[8:9], v[8:9], v[16:17]
	;;#ASMEND
	;; [unrolled: 3-line block ×4, first 2 shown]
	v_pk_add_f32 v[4:5], v[14:15], 1.0 op_sel_hi:[1,0]
	v_cvt_f32_u32_sdwa v15, v2 dst_sel:DWORD dst_unused:UNUSED_PAD src0_sel:WORD_1
	v_cvt_f32_u32_sdwa v14, v2 dst_sel:DWORD dst_unused:UNUSED_PAD src0_sel:WORD_0
	v_cvt_f32_u32_sdwa v17, v3 dst_sel:DWORD dst_unused:UNUSED_PAD src0_sel:WORD_1
	v_cvt_f32_u32_sdwa v16, v3 dst_sel:DWORD dst_unused:UNUSED_PAD src0_sel:WORD_0
	s_mul_hi_i32 s1, s12, s6
	s_mul_i32 s0, s12, s6
	s_lshl_b64 s[0:1], s[0:1], 1
	s_add_u32 s24, s14, s0
	;;#ASMSTART
	v_pk_mul_f32 v[4:5], v[10:11], v[4:5]
	;;#ASMEND
	v_pk_add_f32 v[10:11], v[18:19], 1.0 op_sel_hi:[1,0]
	;;#ASMSTART
	v_pk_mul_f32 v[2:3], v[8:9], v[10:11]
	;;#ASMEND
	v_pk_add_f32 v[8:9], v[14:15], 1.0 op_sel_hi:[1,0]
	s_addc_u32 s0, s15, s1
	;;#ASMSTART
	v_pk_mul_f32 v[6:7], v[6:7], v[8:9]
	;;#ASMEND
	v_pk_add_f32 v[8:9], v[16:17], 1.0 op_sel_hi:[1,0]
	s_and_b32 s25, s0, 0xffff
	s_mov_b32 s0, 0x7060302
	;;#ASMSTART
	v_pk_mul_f32 v[8:9], v[0:1], v[8:9]
	;;#ASMEND
	v_perm_b32 v0, v5, v4, s0
	v_perm_b32 v1, v3, v2, s0
	;; [unrolled: 1-line block ×4, first 2 shown]
	buffer_store_dwordx4 v[0:3], v12, s[24:27], 0 offen
	;;#ASMSTART
	s_nop 0
	;;#ASMEND
	s_endpgm
	.section	.rodata,"a",@progbits
	.p2align	6, 0x0
	.amdhsa_kernel _ZN5aiter35fused_qk_rmsnorm_group_quant_kernelItN4opus5fp4_tELi64ELi8ELi8ELb1ELb1ELb1ELb0ELb0ELb0EEEvPT0_PvPT_S7_S7_PKS6_S9_S9_S9_S9_ffiiiiiiiiiiiii
		.amdhsa_group_segment_fixed_size 0
		.amdhsa_private_segment_fixed_size 0
		.amdhsa_kernarg_size 400
		.amdhsa_user_sgpr_count 6
		.amdhsa_user_sgpr_private_segment_buffer 1
		.amdhsa_user_sgpr_dispatch_ptr 0
		.amdhsa_user_sgpr_queue_ptr 0
		.amdhsa_user_sgpr_kernarg_segment_ptr 1
		.amdhsa_user_sgpr_dispatch_id 0
		.amdhsa_user_sgpr_flat_scratch_init 0
		.amdhsa_user_sgpr_kernarg_preload_length 0
		.amdhsa_user_sgpr_kernarg_preload_offset 0
		.amdhsa_user_sgpr_private_segment_size 0
		.amdhsa_uses_dynamic_stack 0
		.amdhsa_system_sgpr_private_segment_wavefront_offset 0
		.amdhsa_system_sgpr_workgroup_id_x 1
		.amdhsa_system_sgpr_workgroup_id_y 1
		.amdhsa_system_sgpr_workgroup_id_z 0
		.amdhsa_system_sgpr_workgroup_info 0
		.amdhsa_system_vgpr_workitem_id 0
		.amdhsa_next_free_vgpr 27
		.amdhsa_next_free_sgpr 44
		.amdhsa_accum_offset 28
		.amdhsa_reserve_vcc 1
		.amdhsa_reserve_flat_scratch 0
		.amdhsa_float_round_mode_32 0
		.amdhsa_float_round_mode_16_64 0
		.amdhsa_float_denorm_mode_32 3
		.amdhsa_float_denorm_mode_16_64 3
		.amdhsa_dx10_clamp 1
		.amdhsa_ieee_mode 1
		.amdhsa_fp16_overflow 0
		.amdhsa_tg_split 0
		.amdhsa_exception_fp_ieee_invalid_op 0
		.amdhsa_exception_fp_denorm_src 0
		.amdhsa_exception_fp_ieee_div_zero 0
		.amdhsa_exception_fp_ieee_overflow 0
		.amdhsa_exception_fp_ieee_underflow 0
		.amdhsa_exception_fp_ieee_inexact 0
		.amdhsa_exception_int_div_zero 0
	.end_amdhsa_kernel
	.section	.text._ZN5aiter35fused_qk_rmsnorm_group_quant_kernelItN4opus5fp4_tELi64ELi8ELi8ELb1ELb1ELb1ELb0ELb0ELb0EEEvPT0_PvPT_S7_S7_PKS6_S9_S9_S9_S9_ffiiiiiiiiiiiii,"axG",@progbits,_ZN5aiter35fused_qk_rmsnorm_group_quant_kernelItN4opus5fp4_tELi64ELi8ELi8ELb1ELb1ELb1ELb0ELb0ELb0EEEvPT0_PvPT_S7_S7_PKS6_S9_S9_S9_S9_ffiiiiiiiiiiiii,comdat
.Lfunc_end164:
	.size	_ZN5aiter35fused_qk_rmsnorm_group_quant_kernelItN4opus5fp4_tELi64ELi8ELi8ELb1ELb1ELb1ELb0ELb0ELb0EEEvPT0_PvPT_S7_S7_PKS6_S9_S9_S9_S9_ffiiiiiiiiiiiii, .Lfunc_end164-_ZN5aiter35fused_qk_rmsnorm_group_quant_kernelItN4opus5fp4_tELi64ELi8ELi8ELb1ELb1ELb1ELb0ELb0ELb0EEEvPT0_PvPT_S7_S7_PKS6_S9_S9_S9_S9_ffiiiiiiiiiiiii
                                        ; -- End function
	.section	.AMDGPU.csdata,"",@progbits
; Kernel info:
; codeLenInByte = 2808
; NumSgprs: 48
; NumVgprs: 27
; NumAgprs: 0
; TotalNumVgprs: 27
; ScratchSize: 0
; MemoryBound: 0
; FloatMode: 240
; IeeeMode: 1
; LDSByteSize: 0 bytes/workgroup (compile time only)
; SGPRBlocks: 5
; VGPRBlocks: 3
; NumSGPRsForWavesPerEU: 48
; NumVGPRsForWavesPerEU: 27
; AccumOffset: 28
; Occupancy: 8
; WaveLimiterHint : 0
; COMPUTE_PGM_RSRC2:SCRATCH_EN: 0
; COMPUTE_PGM_RSRC2:USER_SGPR: 6
; COMPUTE_PGM_RSRC2:TRAP_HANDLER: 0
; COMPUTE_PGM_RSRC2:TGID_X_EN: 1
; COMPUTE_PGM_RSRC2:TGID_Y_EN: 1
; COMPUTE_PGM_RSRC2:TGID_Z_EN: 0
; COMPUTE_PGM_RSRC2:TIDIG_COMP_CNT: 0
; COMPUTE_PGM_RSRC3_GFX90A:ACCUM_OFFSET: 6
; COMPUTE_PGM_RSRC3_GFX90A:TG_SPLIT: 0
	.section	.text._ZN5aiter35fused_qk_rmsnorm_group_quant_kernelIDF16_DB8_Li64ELi8ELi8ELb1ELb1ELb0ELb0ELb0ELb0EEEvPT0_PvPT_S6_S6_PKS5_S8_S8_S8_S8_ffiiiiiiiiiiiii,"axG",@progbits,_ZN5aiter35fused_qk_rmsnorm_group_quant_kernelIDF16_DB8_Li64ELi8ELi8ELb1ELb1ELb0ELb0ELb0ELb0EEEvPT0_PvPT_S6_S6_PKS5_S8_S8_S8_S8_ffiiiiiiiiiiiii,comdat
	.protected	_ZN5aiter35fused_qk_rmsnorm_group_quant_kernelIDF16_DB8_Li64ELi8ELi8ELb1ELb1ELb0ELb0ELb0ELb0EEEvPT0_PvPT_S6_S6_PKS5_S8_S8_S8_S8_ffiiiiiiiiiiiii ; -- Begin function _ZN5aiter35fused_qk_rmsnorm_group_quant_kernelIDF16_DB8_Li64ELi8ELi8ELb1ELb1ELb0ELb0ELb0ELb0EEEvPT0_PvPT_S6_S6_PKS5_S8_S8_S8_S8_ffiiiiiiiiiiiii
	.globl	_ZN5aiter35fused_qk_rmsnorm_group_quant_kernelIDF16_DB8_Li64ELi8ELi8ELb1ELb1ELb0ELb0ELb0ELb0EEEvPT0_PvPT_S6_S6_PKS5_S8_S8_S8_S8_ffiiiiiiiiiiiii
	.p2align	8
	.type	_ZN5aiter35fused_qk_rmsnorm_group_quant_kernelIDF16_DB8_Li64ELi8ELi8ELb1ELb1ELb0ELb0ELb0ELb0EEEvPT0_PvPT_S6_S6_PKS5_S8_S8_S8_S8_ffiiiiiiiiiiiii,@function
_ZN5aiter35fused_qk_rmsnorm_group_quant_kernelIDF16_DB8_Li64ELi8ELi8ELb1ELb1ELb0ELb0ELb0ELb0EEEvPT0_PvPT_S6_S6_PKS5_S8_S8_S8_S8_ffiiiiiiiiiiiii: ; @_ZN5aiter35fused_qk_rmsnorm_group_quant_kernelIDF16_DB8_Li64ELi8ELi8ELb1ELb1ELb0ELb0ELb0ELb0EEEvPT0_PvPT_S6_S6_PKS5_S8_S8_S8_S8_ffiiiiiiiiiiiii
; %bb.0:
	s_load_dwordx8 s[16:23], s[4:5], 0x50
	s_waitcnt lgkmcnt(0)
	s_cmp_ge_i32 s6, s18
	s_cbranch_scc1 .LBB165_15
; %bb.1:
	s_cmp_lg_u32 s7, 0
	s_cselect_b64 s[2:3], -1, 0
	s_cmp_eq_u32 s7, 0
	s_cselect_b64 s[26:27], -1, 0
	s_and_b64 s[0:1], s[26:27], exec
	s_load_dwordx2 s[24:25], s[4:5], 0x48
	s_load_dwordx2 s[34:35], s[4:5], 0x30
	s_load_dwordx8 s[8:15], s[4:5], 0x70
	s_cselect_b32 s7, s19, s20
	s_add_i32 s0, s7, 1
	s_lshr_b32 s1, s0, 31
	s_add_i32 s0, s0, s1
	s_lshl_b32 s0, s0, 1
	v_lshlrev_b32_e32 v1, 3, v0
	s_and_b32 s30, s0, -4
	v_cmp_gt_i32_e64 s[0:1], s7, v1
	v_mov_b32_e32 v24, 0
	v_mov_b32_e32 v25, 0
	;; [unrolled: 1-line block ×8, first 2 shown]
	s_waitcnt lgkmcnt(0)
	s_and_saveexec_b64 s[14:15], s[0:1]
	s_cbranch_execz .LBB165_3
; %bb.2:
	s_load_dwordx2 s[28:29], s[4:5], 0x28
	s_load_dwordx2 s[38:39], s[4:5], 0x40
	s_and_b64 s[36:37], s[26:27], exec
	s_cselect_b32 s18, s21, s22
	v_lshlrev_b32_e32 v2, 4, v0
	s_waitcnt lgkmcnt(0)
	s_cselect_b32 s21, s29, s35
	s_cselect_b32 s31, s28, s34
	s_mul_hi_i32 s29, s18, s6
	s_mul_i32 s28, s18, s6
	s_lshl_b64 s[28:29], s[28:29], 1
	s_add_u32 s36, s31, s28
	s_addc_u32 s18, s21, s29
	s_and_b64 s[26:27], s[26:27], exec
	s_mov_b32 s31, 0x20000
	s_cselect_b32 s28, s38, s24
	s_cselect_b32 s21, s39, s25
	s_and_b32 s37, s18, 0xffff
	s_mov_b32 s38, s30
	s_mov_b32 s39, s31
	s_and_b32 s29, s21, 0xffff
	buffer_load_dwordx4 v[28:31], v2, s[36:39], 0 offen glc slc
	buffer_load_dwordx4 v[24:27], v2, s[28:31], 0 offen
.LBB165_3:
	s_or_b64 exec, exec, s[14:15]
	s_and_b64 vcc, exec, s[2:3]
	s_cbranch_vccz .LBB165_7
; %bb.4:
	v_mov_b32_e32 v33, 0
	v_mov_b32_e32 v32, 0
	;; [unrolled: 1-line block ×8, first 2 shown]
	s_and_saveexec_b64 s[14:15], s[0:1]
	s_cbranch_execz .LBB165_6
; %bb.5:
	s_waitcnt vmcnt(1)
	v_cvt_f32_f16_sdwa v17, v28 dst_sel:DWORD dst_unused:UNUSED_PAD src0_sel:WORD_1
	v_cvt_f32_f16_e32 v16, v28
	v_cvt_f32_f16_sdwa v11, v29 dst_sel:DWORD dst_unused:UNUSED_PAD src0_sel:WORD_1
	v_cvt_f32_f16_e32 v10, v29
	;; [unrolled: 2-line block ×4, first 2 shown]
.LBB165_6:
	s_or_b64 exec, exec, s[14:15]
	s_mov_b32 s18, s17
	s_cbranch_execz .LBB165_8
	s_branch .LBB165_11
.LBB165_7:
                                        ; implicit-def: $vgpr8_vgpr9_vgpr10_vgpr11_vgpr12_vgpr13_vgpr14_vgpr15
                                        ; implicit-def: $vgpr33
                                        ; implicit-def: $vgpr16_vgpr17_vgpr18_vgpr19_vgpr20_vgpr21_vgpr22_vgpr23
                                        ; implicit-def: $vgpr2_vgpr3_vgpr4_vgpr5_vgpr6_vgpr7_vgpr8_vgpr9
	s_mov_b32 s18, s17
.LBB165_8:
	v_mov_b32_e32 v33, 0
	v_mov_b32_e32 v32, 0
	;; [unrolled: 1-line block ×8, first 2 shown]
	s_and_saveexec_b64 s[14:15], s[0:1]
	s_cbranch_execz .LBB165_10
; %bb.9:
	s_load_dwordx2 s[26:27], s[4:5], 0x38
	s_mul_hi_i32 s29, s23, s6
	s_mul_i32 s28, s23, s6
	s_lshl_b64 s[28:29], s[28:29], 1
	s_mov_b32 s31, 0x20000
	s_waitcnt lgkmcnt(0)
	s_add_u32 s28, s26, s28
	s_addc_u32 s18, s27, s29
	s_and_b32 s29, s18, 0xffff
	v_lshlrev_b32_e32 v20, 4, v0
	buffer_load_dwordx4 v[2:5], v20, s[28:31], 0 offen glc slc
	s_waitcnt vmcnt(2)
	v_cvt_f32_f16_sdwa v7, v28 dst_sel:DWORD dst_unused:UNUSED_PAD src0_sel:WORD_1
	v_cvt_f32_f16_e32 v6, v28
	v_cvt_f32_f16_sdwa v9, v29 dst_sel:DWORD dst_unused:UNUSED_PAD src0_sel:WORD_1
	v_cvt_f32_f16_e32 v8, v29
	;; [unrolled: 2-line block ×4, first 2 shown]
	s_load_dwordx2 s[26:27], s[4:5], 0x20
	s_mul_hi_i32 s29, s13, s6
	s_mul_i32 s28, s13, s6
	s_lshl_b64 s[28:29], s[28:29], 1
	s_waitcnt lgkmcnt(0)
	s_add_u32 s28, s26, s28
	s_addc_u32 s13, s27, s29
	s_and_b32 s29, s13, 0xffff
	s_waitcnt vmcnt(0)
	v_cvt_f32_f16_e32 v10, v2
	v_cvt_f32_f16_sdwa v11, v2 dst_sel:DWORD dst_unused:UNUSED_PAD src0_sel:WORD_1
	v_cvt_f32_f16_e32 v2, v3
	v_cvt_f32_f16_sdwa v3, v3 dst_sel:DWORD dst_unused:UNUSED_PAD src0_sel:WORD_1
	;; [unrolled: 2-line block ×4, first 2 shown]
	v_pk_add_f32 v[16:17], v[6:7], v[10:11]
	v_pk_add_f32 v[10:11], v[8:9], v[2:3]
	;; [unrolled: 1-line block ×4, first 2 shown]
	v_cvt_f16_f32_e32 v2, v17
	v_cvt_f16_f32_e32 v3, v11
	;; [unrolled: 1-line block ×8, first 2 shown]
	v_pack_b32_f16 v5, v8, v5
	v_pack_b32_f16 v4, v9, v4
	;; [unrolled: 1-line block ×4, first 2 shown]
	buffer_store_dwordx4 v[2:5], v20, s[28:31], 0 offen glc slc
	;;#ASMSTART
	s_nop 0
	;;#ASMEND
.LBB165_10:
	s_or_b64 exec, exec, s[14:15]
	s_mov_b32 s18, s16
.LBB165_11:
	v_mul_f32_e32 v2, v17, v17
	v_fmac_f32_e32 v2, v16, v16
	v_fmac_f32_e32 v2, v10, v10
	;; [unrolled: 1-line block ×7, first 2 shown]
	v_bfrev_b32_e32 v4, 0.5
	s_load_dwordx2 s[14:15], s[4:5], 0x18
	v_mov_b32_dpp v3, v2 quad_perm:[1,0,3,2] row_mask:0xf bank_mask:0xf
	v_add_f32_e32 v2, v2, v3
	s_nop 1
	v_mov_b32_dpp v3, v2 quad_perm:[2,3,0,1] row_mask:0xf bank_mask:0xf
	v_add_f32_e32 v2, v2, v3
	s_nop 1
	v_mov_b32_dpp v3, v2 row_half_mirror row_mask:0xf bank_mask:0xf
	v_add_f32_e32 v2, v2, v3
	s_nop 1
	v_mov_b32_dpp v3, v2 row_mirror row_mask:0xf bank_mask:0xf
	v_add_f32_e32 v2, v2, v3
	s_nop 1
	v_mov_b32_dpp v3, v2 row_bcast:15 row_mask:0xf bank_mask:0xf
	v_add_f32_e32 v2, v2, v3
	s_nop 1
	v_mov_b32_dpp v3, v2 row_bcast:31 row_mask:0xf bank_mask:0xf
	v_add_f32_e32 v2, v2, v3
	v_mbcnt_lo_u32_b32 v3, -1, 0
	v_mbcnt_hi_u32_b32 v3, -1, v3
	v_lshl_or_b32 v18, v3, 2, v4
	ds_bpermute_b32 v2, v18, v2
	s_and_saveexec_b64 s[26:27], s[0:1]
	s_cbranch_execnz .LBB165_16
; %bb.12:
	s_or_b64 exec, exec, s[26:27]
	s_mov_b64 s[26:27], -1
	s_and_b64 vcc, exec, s[2:3]
	s_cbranch_vccnz .LBB165_17
.LBB165_13:
	s_andn2_b64 vcc, exec, s[26:27]
	s_cbranch_vccz .LBB165_20
.LBB165_14:
	s_cmp_lt_i32 s20, 1
	s_cbranch_scc0 .LBB165_29
.LBB165_15:
	s_endpgm
.LBB165_16:
	v_cvt_f32_u32_e32 v3, s7
	s_mov_b32 s7, 0x800000
	s_waitcnt vmcnt(0)
	v_cvt_f32_f16_sdwa v13, v25 dst_sel:DWORD dst_unused:UNUSED_PAD src0_sel:WORD_1
	v_cvt_f32_f16_sdwa v15, v26 dst_sel:DWORD dst_unused:UNUSED_PAD src0_sel:WORD_1
	s_waitcnt lgkmcnt(0)
	v_div_scale_f32 v4, s[28:29], v3, v3, v2
	v_rcp_f32_e32 v5, v4
	v_div_scale_f32 v8, vcc, v2, v3, v2
	v_cvt_f32_f16_e32 v14, v26
	v_fma_f32 v9, -v4, v5, 1.0
	v_fmac_f32_e32 v5, v9, v5
	v_mul_f32_e32 v9, v8, v5
	v_fma_f32 v12, -v4, v9, v8
	v_fmac_f32_e32 v9, v12, v5
	v_fma_f32 v4, -v4, v9, v8
	v_div_fmas_f32 v4, v4, v5, v9
	v_div_fixup_f32 v2, v4, v3, v2
	v_add_f32_e32 v2, s18, v2
	v_mul_f32_e32 v3, 0x4b800000, v2
	v_cmp_gt_f32_e32 vcc, s7, v2
	v_cndmask_b32_e32 v2, v2, v3, vcc
	v_rsq_f32_e32 v2, v2
	v_cvt_f32_f16_e32 v12, v25
	v_cvt_f32_f16_sdwa v21, v27 dst_sel:DWORD dst_unused:UNUSED_PAD src0_sel:WORD_1
	v_cvt_f32_f16_e32 v20, v27
	v_mul_f32_e32 v3, 0x45800000, v2
	v_cndmask_b32_e32 v2, v2, v3, vcc
	v_mov_b32_e32 v3, v2
	;;#ASMSTART
	v_pk_mul_f32 v[4:5], v[16:17], v[2:3]
	;;#ASMEND
	;;#ASMSTART
	v_pk_mul_f32 v[8:9], v[10:11], v[2:3]
	;;#ASMEND
	;; [unrolled: 3-line block ×3, first 2 shown]
	v_cvt_f32_f16_sdwa v11, v24 dst_sel:DWORD dst_unused:UNUSED_PAD src0_sel:WORD_1
	v_cvt_f32_f16_e32 v10, v24
	;;#ASMSTART
	v_pk_mul_f32 v[2:3], v[32:33], v[2:3]
	;;#ASMEND
	;;#ASMSTART
	v_pk_mul_f32 v[16:17], v[4:5], v[10:11]
	;;#ASMEND
	;; [unrolled: 3-line block ×5, first 2 shown]
	s_or_b64 exec, exec, s[26:27]
	s_mov_b64 s[26:27], -1
	s_and_b64 vcc, exec, s[2:3]
	s_cbranch_vccz .LBB165_13
.LBB165_17:
	s_and_saveexec_b64 s[2:3], s[0:1]
	s_cbranch_execz .LBB165_19
; %bb.18:
	s_mul_hi_i32 s27, s12, s6
	s_mul_i32 s26, s12, s6
	s_waitcnt lgkmcnt(0)
	v_cvt_f16_f32_e32 v2, v16
	v_cvt_f16_f32_e32 v3, v10
	;; [unrolled: 1-line block ×8, first 2 shown]
	s_lshl_b64 s[26:27], s[26:27], 1
	s_add_u32 s28, s14, s26
	s_addc_u32 s7, s15, s27
	s_and_b32 s29, s7, 0xffff
	s_mov_b32 s31, 0x20000
	v_pack_b32_f16 v5, v5, v8
	v_pack_b32_f16 v4, v4, v9
	;; [unrolled: 1-line block ×4, first 2 shown]
	v_lshlrev_b32_e32 v8, 4, v0
	buffer_store_dwordx4 v[2:5], v8, s[28:31], 0 offen
	;;#ASMSTART
	s_nop 0
	;;#ASMEND
.LBB165_19:
	s_or_b64 exec, exec, s[2:3]
	s_cbranch_execnz .LBB165_14
.LBB165_20:
	s_waitcnt lgkmcnt(0)
	v_mov_b32_e32 v2, 0
	s_and_saveexec_b64 s[2:3], s[0:1]
	s_cbranch_execz .LBB165_22
; %bb.21:
	s_load_dwordx2 s[26:27], s[4:5], 0x10
	s_mul_hi_i32 s29, s11, s6
	s_mul_i32 s28, s11, s6
	v_cvt_f16_f32_e32 v2, v16
	v_cvt_f16_f32_e32 v3, v10
	;; [unrolled: 1-line block ×8, first 2 shown]
	s_lshl_b64 s[28:29], s[28:29], 1
	s_waitcnt lgkmcnt(0)
	s_add_u32 s28, s26, s28
	s_addc_u32 s7, s27, s29
	s_mov_b32 s31, 0x20000
	s_and_b32 s29, s7, 0xffff
	v_pack_b32_f16 v5, v5, v8
	v_pack_b32_f16 v4, v4, v9
	;; [unrolled: 1-line block ×4, first 2 shown]
	v_lshlrev_b32_e32 v8, 4, v0
	buffer_store_dwordx4 v[2:5], v8, s[28:31], 0 offen
	;;#ASMSTART
	s_nop 0
	;;#ASMEND
	s_nop 0
	v_mov_b32_e32 v2, 0x2edbe6ff
.LBB165_22:
	s_or_b64 exec, exec, s[2:3]
	s_and_saveexec_b64 s[2:3], s[0:1]
	s_cbranch_execz .LBB165_24
; %bb.23:
	v_and_b32_e32 v3, 0x7fffffff, v16
	v_and_b32_e32 v4, 0x7fffffff, v17
	;;#ASMSTART
	v_max3_f32 v2, v2, v3, v4

	;;#ASMEND
	v_and_b32_e32 v3, 0x7fffffff, v10
	v_and_b32_e32 v4, 0x7fffffff, v11
	;;#ASMSTART
	v_max3_f32 v2, v2, v3, v4

	;;#ASMEND
	;; [unrolled: 6-line block ×4, first 2 shown]
.LBB165_24:
	s_or_b64 exec, exec, s[2:3]
	;;#ASMSTART
	v_max_f32 v3, v2, v2 quad_perm:[1,0,3,2] row_mask:0xf bank_mask:0xf bound_ctrl:1
	;;#ASMEND
	;;#ASMSTART
	v_max_f32 v2, v3, v3 quad_perm:[2,3,0,1] row_mask:0xf bank_mask:0xf bound_ctrl:1
	;;#ASMEND
	;;#ASMSTART
	v_max_f32 v3, v2, v2 row_half_mirror row_mask:0xf bank_mask:0xf bound_ctrl:1
	;;#ASMEND
	v_mul_f32_e32 v2, 0x3b124925, v3
	v_and_b32_e32 v3, 7, v0
	v_cmp_eq_u32_e32 vcc, 0, v3
	v_cmp_gt_i32_e64 s[2:3], s19, v1
	s_and_b64 s[26:27], vcc, s[2:3]
	s_and_saveexec_b64 s[2:3], s[26:27]
	s_cbranch_execz .LBB165_26
; %bb.25:
	s_load_dwordx2 s[26:27], s[4:5], 0x8
	v_lshrrev_b32_e32 v3, 3, v0
	s_mul_hi_i32 s29, s9, s6
	s_mul_i32 s28, s9, s6
	v_mad_i64_i32 v[4:5], s[10:11], s10, v3, 0
	s_lshl_b64 s[10:11], s[28:29], 2
	s_waitcnt lgkmcnt(0)
	s_add_u32 s7, s26, s10
	s_addc_u32 s9, s27, s11
	v_lshlrev_b64 v[4:5], 2, v[4:5]
	v_mov_b32_e32 v3, s9
	v_add_co_u32_e32 v4, vcc, s7, v4
	v_addc_co_u32_e32 v5, vcc, v3, v5, vcc
	global_store_dword v[4:5], v2, off
.LBB165_26:
	s_or_b64 exec, exec, s[2:3]
	;;#ASMSTART
	v_rcp_f32 v2, v2
	;;#ASMEND
	s_and_saveexec_b64 s[10:11], s[0:1]
	s_cbranch_execz .LBB165_28
; %bb.27:
	v_mov_b32_e32 v3, v2
	;;#ASMSTART
	v_pk_mul_f32 v[4:5], v[16:17], v[2:3]
	;;#ASMEND
	s_load_dwordx2 s[0:1], s[4:5], 0x0
	v_mov_b32_e32 v8, 0xc3e00000
	v_mov_b32_e32 v9, 0x43e00000
	;;#ASMSTART
	v_med3_f32 v4, v4, v8, v9
v_med3_f32 v5, v5, v8, v9
v_cvt_pk_fp8_f32 v12, v4, v5
	;;#ASMEND
	;;#ASMSTART
	v_pk_mul_f32 v[4:5], v[10:11], v[2:3]
	;;#ASMEND
	s_mul_hi_i32 s2, s8, s6
	s_mul_i32 s3, s8, s6
	;;#ASMSTART
	v_med3_f32 v4, v4, v8, v9
v_med3_f32 v5, v5, v8, v9
v_cvt_pk_fp8_f32 v10, v4, v5
	;;#ASMEND
	s_mov_b32 s8, 0x5040100
	v_perm_b32 v5, v10, v12, s8
	s_movk_i32 s8, 0xff
	v_and_b32_e32 v4, 0xffffff00, v10
	v_and_b32_sdwa v10, v5, s8 dst_sel:DWORD dst_unused:UNUSED_PAD src0_sel:WORD_1 src1_sel:DWORD
	s_mov_b32 s7, 0xffff
	s_waitcnt lgkmcnt(0)
	s_add_u32 s0, s0, s3
	v_or_b32_sdwa v4, v10, v4 dst_sel:WORD_1 dst_unused:UNUSED_PAD src0_sel:DWORD src1_sel:DWORD
	s_addc_u32 s1, s1, s2
	s_add_i32 s2, s19, 3
	v_and_or_b32 v4, v5, s7, v4
	;;#ASMSTART
	v_pk_mul_f32 v[6:7], v[6:7], v[2:3]
	;;#ASMEND
	v_mov_b32_e32 v5, v7
	s_ashr_i32 s3, s2, 31
	;;#ASMSTART
	v_med3_f32 v6, v6, v8, v9
v_med3_f32 v5, v5, v8, v9
v_cvt_pk_fp8_f32 v7, v6, v5
	;;#ASMEND
	;;#ASMSTART
	v_pk_mul_f32 v[2:3], v[32:33], v[2:3]
	;;#ASMEND
	s_lshr_b32 s3, s3, 30
	;;#ASMSTART
	v_med3_f32 v2, v2, v8, v9
v_med3_f32 v3, v3, v8, v9
v_cvt_pk_fp8_f32 v5, v2, v3
	;;#ASMEND
	s_add_i32 s2, s2, s3
	v_lshlrev_b32_e32 v2, 16, v5
	s_and_b32 s2, s2, -4
	s_and_b32 s1, s1, 0xffff
	s_mov_b32 s3, 0x20000
	v_and_or_b32 v5, v7, s7, v2
	buffer_store_dwordx2 v[4:5], v1, s[0:3], 0 offen
	;;#ASMSTART
	s_nop 0
	;;#ASMEND
.LBB165_28:
	s_or_b64 exec, exec, s[10:11]
	s_cmp_lt_i32 s20, 1
	s_cbranch_scc1 .LBB165_15
.LBB165_29:
	s_load_dword s0, s[4:5], 0x94
	s_waitcnt lgkmcnt(0)
	s_cmp_lg_u32 s0, 1
	s_cbranch_scc1 .LBB165_15
; %bb.30:
	s_lshl_b32 s0, s20, 1
	s_add_i32 s0, s0, 2
	v_cmp_gt_u32_e32 vcc, s20, v1
	s_and_b32 s26, s0, -4
	v_mov_b32_e32 v8, 0
	v_lshlrev_b32_e32 v16, 4, v0
	v_mov_b32_e32 v4, 0
	v_mov_b32_e32 v5, 0
	;; [unrolled: 1-line block ×8, first 2 shown]
	s_barrier
	s_and_saveexec_b64 s[0:1], vcc
	s_cbranch_execz .LBB165_32
; %bb.31:
	s_mul_hi_i32 s3, s22, s6
	s_mul_i32 s2, s22, s6
	s_and_b32 s25, s25, 0xffff
	s_lshl_b64 s[2:3], s[2:3], 1
	s_add_u32 s8, s34, s2
	s_mov_b32 s27, 0x20000
	s_addc_u32 s2, s35, s3
	s_and_b32 s9, s2, 0xffff
	s_mov_b32 s10, s26
	s_mov_b32 s11, s27
	buffer_load_dwordx4 v[4:7], v16, s[8:11], 0 offen glc slc
	buffer_load_dwordx4 v[0:3], v16, s[24:27], 0 offen
.LBB165_32:
	s_or_b64 exec, exec, s[0:1]
	v_mov_b32_e32 v9, 0
	v_mov_b32_e32 v14, 0
	;; [unrolled: 1-line block ×7, first 2 shown]
	s_and_saveexec_b64 s[0:1], vcc
	s_cbranch_execz .LBB165_34
; %bb.33:
	s_waitcnt vmcnt(1)
	v_cvt_f32_f16_sdwa v9, v4 dst_sel:DWORD dst_unused:UNUSED_PAD src0_sel:WORD_1
	v_cvt_f32_f16_e32 v8, v4
	v_cvt_f32_f16_sdwa v15, v5 dst_sel:DWORD dst_unused:UNUSED_PAD src0_sel:WORD_1
	v_cvt_f32_f16_e32 v14, v5
	;; [unrolled: 2-line block ×4, first 2 shown]
.LBB165_34:
	s_or_b64 exec, exec, s[0:1]
	s_waitcnt vmcnt(1)
	v_mul_f32_e32 v4, v9, v9
	v_fmac_f32_e32 v4, v8, v8
	v_fmac_f32_e32 v4, v14, v14
	;; [unrolled: 1-line block ×7, first 2 shown]
	s_nop 1
	v_mov_b32_dpp v5, v4 quad_perm:[1,0,3,2] row_mask:0xf bank_mask:0xf
	v_add_f32_e32 v4, v4, v5
	s_nop 1
	v_mov_b32_dpp v5, v4 quad_perm:[2,3,0,1] row_mask:0xf bank_mask:0xf
	v_add_f32_e32 v4, v4, v5
	s_nop 1
	v_mov_b32_dpp v5, v4 row_half_mirror row_mask:0xf bank_mask:0xf
	v_add_f32_e32 v4, v4, v5
	s_nop 1
	v_mov_b32_dpp v5, v4 row_mirror row_mask:0xf bank_mask:0xf
	v_add_f32_e32 v4, v4, v5
	s_nop 1
	v_mov_b32_dpp v5, v4 row_bcast:15 row_mask:0xf bank_mask:0xf
	v_add_f32_e32 v4, v4, v5
	s_nop 1
	v_mov_b32_dpp v5, v4 row_bcast:31 row_mask:0xf bank_mask:0xf
	v_add_f32_e32 v4, v4, v5
	ds_bpermute_b32 v4, v18, v4
	s_and_saveexec_b64 s[0:1], vcc
	s_cbranch_execz .LBB165_15
; %bb.35:
	v_cvt_f32_u32_e32 v5, s20
	s_mov_b32 s27, 0x20000
	s_waitcnt lgkmcnt(0)
	v_div_scale_f32 v6, s[0:1], v5, v5, v4
	v_rcp_f32_e32 v7, v6
	v_div_scale_f32 v17, vcc, v4, v5, v4
	s_mov_b32 s0, 0x800000
	v_fma_f32 v18, -v6, v7, 1.0
	v_fmac_f32_e32 v7, v18, v7
	v_mul_f32_e32 v18, v17, v7
	v_fma_f32 v19, -v6, v18, v17
	v_fmac_f32_e32 v18, v19, v7
	v_fma_f32 v6, -v6, v18, v17
	v_div_fmas_f32 v6, v6, v7, v18
	v_div_fixup_f32 v4, v6, v5, v4
	v_add_f32_e32 v4, s17, v4
	v_mul_f32_e32 v5, 0x4b800000, v4
	v_cmp_gt_f32_e32 vcc, s0, v4
	v_cndmask_b32_e32 v4, v4, v5, vcc
	v_rsq_f32_e32 v4, v4
	s_waitcnt vmcnt(0)
	v_cvt_f32_f16_sdwa v19, v3 dst_sel:DWORD dst_unused:UNUSED_PAD src0_sel:WORD_1
	v_cvt_f32_f16_e32 v18, v3
	s_mul_hi_i32 s1, s12, s6
	v_mul_f32_e32 v5, 0x45800000, v4
	v_cndmask_b32_e32 v4, v4, v5, vcc
	v_mov_b32_e32 v5, v4
	;;#ASMSTART
	v_pk_mul_f32 v[6:7], v[8:9], v[4:5]
	;;#ASMEND
	;;#ASMSTART
	v_pk_mul_f32 v[8:9], v[14:15], v[4:5]
	;;#ASMEND
	;; [unrolled: 3-line block ×4, first 2 shown]
	v_cvt_f32_f16_sdwa v11, v0 dst_sel:DWORD dst_unused:UNUSED_PAD src0_sel:WORD_1
	v_cvt_f32_f16_e32 v10, v0
	v_cvt_f32_f16_sdwa v15, v1 dst_sel:DWORD dst_unused:UNUSED_PAD src0_sel:WORD_1
	v_cvt_f32_f16_e32 v14, v1
	;; [unrolled: 2-line block ×3, first 2 shown]
	;;#ASMSTART
	v_pk_mul_f32 v[2:3], v[6:7], v[10:11]
	;;#ASMEND
	;;#ASMSTART
	v_pk_mul_f32 v[6:7], v[8:9], v[14:15]
	;;#ASMEND
	;; [unrolled: 3-line block ×4, first 2 shown]
	s_mul_i32 s0, s12, s6
	v_cvt_f16_f32_e32 v2, v2
	v_cvt_f16_f32_e32 v3, v3
	;; [unrolled: 1-line block ×8, first 2 shown]
	s_lshl_b64 s[0:1], s[0:1], 1
	s_add_u32 s24, s14, s0
	s_addc_u32 s0, s15, s1
	s_and_b32 s25, s0, 0xffff
	v_pack_b32_f16 v0, v2, v3
	v_pack_b32_f16 v1, v6, v7
	;; [unrolled: 1-line block ×4, first 2 shown]
	buffer_store_dwordx4 v[0:3], v16, s[24:27], 0 offen
	;;#ASMSTART
	s_nop 0
	;;#ASMEND
	s_endpgm
	.section	.rodata,"a",@progbits
	.p2align	6, 0x0
	.amdhsa_kernel _ZN5aiter35fused_qk_rmsnorm_group_quant_kernelIDF16_DB8_Li64ELi8ELi8ELb1ELb1ELb0ELb0ELb0ELb0EEEvPT0_PvPT_S6_S6_PKS5_S8_S8_S8_S8_ffiiiiiiiiiiiii
		.amdhsa_group_segment_fixed_size 0
		.amdhsa_private_segment_fixed_size 0
		.amdhsa_kernarg_size 400
		.amdhsa_user_sgpr_count 6
		.amdhsa_user_sgpr_private_segment_buffer 1
		.amdhsa_user_sgpr_dispatch_ptr 0
		.amdhsa_user_sgpr_queue_ptr 0
		.amdhsa_user_sgpr_kernarg_segment_ptr 1
		.amdhsa_user_sgpr_dispatch_id 0
		.amdhsa_user_sgpr_flat_scratch_init 0
		.amdhsa_user_sgpr_kernarg_preload_length 0
		.amdhsa_user_sgpr_kernarg_preload_offset 0
		.amdhsa_user_sgpr_private_segment_size 0
		.amdhsa_uses_dynamic_stack 0
		.amdhsa_system_sgpr_private_segment_wavefront_offset 0
		.amdhsa_system_sgpr_workgroup_id_x 1
		.amdhsa_system_sgpr_workgroup_id_y 1
		.amdhsa_system_sgpr_workgroup_id_z 0
		.amdhsa_system_sgpr_workgroup_info 0
		.amdhsa_system_vgpr_workitem_id 0
		.amdhsa_next_free_vgpr 34
		.amdhsa_next_free_sgpr 40
		.amdhsa_accum_offset 36
		.amdhsa_reserve_vcc 1
		.amdhsa_reserve_flat_scratch 0
		.amdhsa_float_round_mode_32 0
		.amdhsa_float_round_mode_16_64 0
		.amdhsa_float_denorm_mode_32 3
		.amdhsa_float_denorm_mode_16_64 3
		.amdhsa_dx10_clamp 1
		.amdhsa_ieee_mode 1
		.amdhsa_fp16_overflow 0
		.amdhsa_tg_split 0
		.amdhsa_exception_fp_ieee_invalid_op 0
		.amdhsa_exception_fp_denorm_src 0
		.amdhsa_exception_fp_ieee_div_zero 0
		.amdhsa_exception_fp_ieee_overflow 0
		.amdhsa_exception_fp_ieee_underflow 0
		.amdhsa_exception_fp_ieee_inexact 0
		.amdhsa_exception_int_div_zero 0
	.end_amdhsa_kernel
	.section	.text._ZN5aiter35fused_qk_rmsnorm_group_quant_kernelIDF16_DB8_Li64ELi8ELi8ELb1ELb1ELb0ELb0ELb0ELb0EEEvPT0_PvPT_S6_S6_PKS5_S8_S8_S8_S8_ffiiiiiiiiiiiii,"axG",@progbits,_ZN5aiter35fused_qk_rmsnorm_group_quant_kernelIDF16_DB8_Li64ELi8ELi8ELb1ELb1ELb0ELb0ELb0ELb0EEEvPT0_PvPT_S6_S6_PKS5_S8_S8_S8_S8_ffiiiiiiiiiiiii,comdat
.Lfunc_end165:
	.size	_ZN5aiter35fused_qk_rmsnorm_group_quant_kernelIDF16_DB8_Li64ELi8ELi8ELb1ELb1ELb0ELb0ELb0ELb0EEEvPT0_PvPT_S6_S6_PKS5_S8_S8_S8_S8_ffiiiiiiiiiiiii, .Lfunc_end165-_ZN5aiter35fused_qk_rmsnorm_group_quant_kernelIDF16_DB8_Li64ELi8ELi8ELb1ELb1ELb0ELb0ELb0ELb0EEEvPT0_PvPT_S6_S6_PKS5_S8_S8_S8_S8_ffiiiiiiiiiiiii
                                        ; -- End function
	.section	.AMDGPU.csdata,"",@progbits
; Kernel info:
; codeLenInByte = 2868
; NumSgprs: 44
; NumVgprs: 34
; NumAgprs: 0
; TotalNumVgprs: 34
; ScratchSize: 0
; MemoryBound: 0
; FloatMode: 240
; IeeeMode: 1
; LDSByteSize: 0 bytes/workgroup (compile time only)
; SGPRBlocks: 5
; VGPRBlocks: 4
; NumSGPRsForWavesPerEU: 44
; NumVGPRsForWavesPerEU: 34
; AccumOffset: 36
; Occupancy: 8
; WaveLimiterHint : 0
; COMPUTE_PGM_RSRC2:SCRATCH_EN: 0
; COMPUTE_PGM_RSRC2:USER_SGPR: 6
; COMPUTE_PGM_RSRC2:TRAP_HANDLER: 0
; COMPUTE_PGM_RSRC2:TGID_X_EN: 1
; COMPUTE_PGM_RSRC2:TGID_Y_EN: 1
; COMPUTE_PGM_RSRC2:TGID_Z_EN: 0
; COMPUTE_PGM_RSRC2:TIDIG_COMP_CNT: 0
; COMPUTE_PGM_RSRC3_GFX90A:ACCUM_OFFSET: 8
; COMPUTE_PGM_RSRC3_GFX90A:TG_SPLIT: 0
	.section	.text._ZN5aiter35fused_qk_rmsnorm_group_quant_kernelItDB8_Li64ELi8ELi8ELb1ELb1ELb0ELb0ELb0ELb0EEEvPT0_PvPT_S6_S6_PKS5_S8_S8_S8_S8_ffiiiiiiiiiiiii,"axG",@progbits,_ZN5aiter35fused_qk_rmsnorm_group_quant_kernelItDB8_Li64ELi8ELi8ELb1ELb1ELb0ELb0ELb0ELb0EEEvPT0_PvPT_S6_S6_PKS5_S8_S8_S8_S8_ffiiiiiiiiiiiii,comdat
	.protected	_ZN5aiter35fused_qk_rmsnorm_group_quant_kernelItDB8_Li64ELi8ELi8ELb1ELb1ELb0ELb0ELb0ELb0EEEvPT0_PvPT_S6_S6_PKS5_S8_S8_S8_S8_ffiiiiiiiiiiiii ; -- Begin function _ZN5aiter35fused_qk_rmsnorm_group_quant_kernelItDB8_Li64ELi8ELi8ELb1ELb1ELb0ELb0ELb0ELb0EEEvPT0_PvPT_S6_S6_PKS5_S8_S8_S8_S8_ffiiiiiiiiiiiii
	.globl	_ZN5aiter35fused_qk_rmsnorm_group_quant_kernelItDB8_Li64ELi8ELi8ELb1ELb1ELb0ELb0ELb0ELb0EEEvPT0_PvPT_S6_S6_PKS5_S8_S8_S8_S8_ffiiiiiiiiiiiii
	.p2align	8
	.type	_ZN5aiter35fused_qk_rmsnorm_group_quant_kernelItDB8_Li64ELi8ELi8ELb1ELb1ELb0ELb0ELb0ELb0EEEvPT0_PvPT_S6_S6_PKS5_S8_S8_S8_S8_ffiiiiiiiiiiiii,@function
_ZN5aiter35fused_qk_rmsnorm_group_quant_kernelItDB8_Li64ELi8ELi8ELb1ELb1ELb0ELb0ELb0ELb0EEEvPT0_PvPT_S6_S6_PKS5_S8_S8_S8_S8_ffiiiiiiiiiiiii: ; @_ZN5aiter35fused_qk_rmsnorm_group_quant_kernelItDB8_Li64ELi8ELi8ELb1ELb1ELb0ELb0ELb0ELb0EEEvPT0_PvPT_S6_S6_PKS5_S8_S8_S8_S8_ffiiiiiiiiiiiii
; %bb.0:
	s_load_dwordx8 s[16:23], s[4:5], 0x50
	s_waitcnt lgkmcnt(0)
	s_cmp_ge_i32 s6, s18
	s_cbranch_scc1 .LBB166_15
; %bb.1:
	s_cmp_lg_u32 s7, 0
	s_cselect_b64 s[2:3], -1, 0
	s_cmp_eq_u32 s7, 0
	s_cselect_b64 s[26:27], -1, 0
	s_and_b64 s[0:1], s[26:27], exec
	s_load_dwordx2 s[24:25], s[4:5], 0x48
	s_load_dwordx2 s[34:35], s[4:5], 0x30
	s_load_dwordx8 s[8:15], s[4:5], 0x70
	s_cselect_b32 s7, s19, s20
	s_add_i32 s0, s7, 1
	s_lshr_b32 s1, s0, 31
	s_add_i32 s0, s0, s1
	s_lshl_b32 s0, s0, 1
	v_lshlrev_b32_e32 v1, 3, v0
	s_and_b32 s30, s0, -4
	v_cmp_gt_i32_e64 s[0:1], s7, v1
	v_mov_b32_e32 v10, 0
	v_mov_b32_e32 v11, 0
	;; [unrolled: 1-line block ×8, first 2 shown]
	s_waitcnt lgkmcnt(0)
	s_and_saveexec_b64 s[14:15], s[0:1]
	s_cbranch_execz .LBB166_3
; %bb.2:
	s_load_dwordx2 s[28:29], s[4:5], 0x28
	s_load_dwordx2 s[38:39], s[4:5], 0x40
	s_and_b64 s[36:37], s[26:27], exec
	s_cselect_b32 s18, s21, s22
	v_lshlrev_b32_e32 v2, 4, v0
	s_waitcnt lgkmcnt(0)
	s_cselect_b32 s21, s29, s35
	s_cselect_b32 s31, s28, s34
	s_mul_hi_i32 s29, s18, s6
	s_mul_i32 s28, s18, s6
	s_lshl_b64 s[28:29], s[28:29], 1
	s_add_u32 s36, s31, s28
	s_addc_u32 s18, s21, s29
	s_and_b64 s[26:27], s[26:27], exec
	s_mov_b32 s31, 0x20000
	s_cselect_b32 s28, s38, s24
	s_cselect_b32 s21, s39, s25
	s_and_b32 s37, s18, 0xffff
	s_mov_b32 s38, s30
	s_mov_b32 s39, s31
	s_and_b32 s29, s21, 0xffff
	buffer_load_dwordx4 v[14:17], v2, s[36:39], 0 offen glc slc
	buffer_load_dwordx4 v[10:13], v2, s[28:31], 0 offen
.LBB166_3:
	s_or_b64 exec, exec, s[14:15]
	s_and_b64 vcc, exec, s[2:3]
	s_cbranch_vccz .LBB166_7
; %bb.4:
	s_mov_b32 s36, 0
	s_mov_b32 s37, s36
	s_mov_b32 s38, s36
	s_mov_b32 s39, s36
	s_mov_b32 s40, s36
	s_mov_b32 s41, s36
	s_mov_b32 s42, s36
	s_mov_b32 s43, s36
	v_pk_mov_b32 v[2:3], s[36:37], s[36:37] op_sel:[0,1]
	v_pk_mov_b32 v[4:5], s[38:39], s[38:39] op_sel:[0,1]
	;; [unrolled: 1-line block ×4, first 2 shown]
	s_and_saveexec_b64 s[14:15], s[0:1]
	s_cbranch_execz .LBB166_6
; %bb.5:
	s_waitcnt vmcnt(1)
	v_cvt_f32_u32_sdwa v3, v14 dst_sel:DWORD dst_unused:UNUSED_PAD src0_sel:WORD_1
	v_cvt_f32_u32_sdwa v2, v14 dst_sel:DWORD dst_unused:UNUSED_PAD src0_sel:WORD_0
	v_cvt_f32_u32_sdwa v5, v15 dst_sel:DWORD dst_unused:UNUSED_PAD src0_sel:WORD_1
	v_cvt_f32_u32_sdwa v4, v15 dst_sel:DWORD dst_unused:UNUSED_PAD src0_sel:WORD_0
	v_cvt_f32_u32_sdwa v7, v16 dst_sel:DWORD dst_unused:UNUSED_PAD src0_sel:WORD_1
	v_cvt_f32_u32_sdwa v6, v16 dst_sel:DWORD dst_unused:UNUSED_PAD src0_sel:WORD_0
	v_cvt_f32_u32_sdwa v9, v17 dst_sel:DWORD dst_unused:UNUSED_PAD src0_sel:WORD_1
	v_cvt_f32_u32_sdwa v8, v17 dst_sel:DWORD dst_unused:UNUSED_PAD src0_sel:WORD_0
.LBB166_6:
	s_or_b64 exec, exec, s[14:15]
	s_mov_b32 s18, s17
	s_cbranch_execz .LBB166_8
	s_branch .LBB166_11
.LBB166_7:
                                        ; implicit-def: $vgpr2_vgpr3_vgpr4_vgpr5_vgpr6_vgpr7_vgpr8_vgpr9
	s_mov_b32 s18, s17
.LBB166_8:
	s_mov_b32 s36, 0
	s_mov_b32 s37, s36
	;; [unrolled: 1-line block ×8, first 2 shown]
	v_pk_mov_b32 v[2:3], s[36:37], s[36:37] op_sel:[0,1]
	v_pk_mov_b32 v[4:5], s[38:39], s[38:39] op_sel:[0,1]
	;; [unrolled: 1-line block ×4, first 2 shown]
	s_and_saveexec_b64 s[14:15], s[0:1]
	s_cbranch_execz .LBB166_10
; %bb.9:
	s_load_dwordx2 s[26:27], s[4:5], 0x38
	s_mul_hi_i32 s29, s23, s6
	s_mul_i32 s28, s23, s6
	s_lshl_b64 s[28:29], s[28:29], 1
	s_mov_b32 s31, 0x20000
	s_waitcnt lgkmcnt(0)
	s_add_u32 s28, s26, s28
	s_addc_u32 s18, s27, s29
	s_and_b32 s29, s18, 0xffff
	v_lshlrev_b32_e32 v26, 4, v0
	buffer_load_dwordx4 v[2:5], v26, s[28:31], 0 offen glc slc
	s_load_dwordx2 s[26:27], s[4:5], 0x20
	s_waitcnt vmcnt(2)
	v_cvt_f32_u32_sdwa v7, v14 dst_sel:DWORD dst_unused:UNUSED_PAD src0_sel:WORD_1
	v_cvt_f32_u32_sdwa v6, v14 dst_sel:DWORD dst_unused:UNUSED_PAD src0_sel:WORD_0
	v_cvt_f32_u32_sdwa v9, v15 dst_sel:DWORD dst_unused:UNUSED_PAD src0_sel:WORD_1
	v_cvt_f32_u32_sdwa v8, v15 dst_sel:DWORD dst_unused:UNUSED_PAD src0_sel:WORD_0
	;; [unrolled: 2-line block ×4, first 2 shown]
	s_mul_hi_i32 s29, s13, s6
	s_mul_i32 s28, s13, s6
	s_lshl_b64 s[28:29], s[28:29], 1
	s_waitcnt lgkmcnt(0)
	s_add_u32 s28, s26, s28
	s_mov_b32 s13, 0x7060302
	s_addc_u32 s18, s27, s29
	s_and_b32 s29, s18, 0xffff
	s_waitcnt vmcnt(0)
	v_cvt_f32_u32_sdwa v17, v2 dst_sel:DWORD dst_unused:UNUSED_PAD src0_sel:WORD_1
	v_cvt_f32_u32_sdwa v16, v2 dst_sel:DWORD dst_unused:UNUSED_PAD src0_sel:WORD_0
	v_cvt_f32_u32_sdwa v21, v3 dst_sel:DWORD dst_unused:UNUSED_PAD src0_sel:WORD_1
	v_cvt_f32_u32_sdwa v20, v3 dst_sel:DWORD dst_unused:UNUSED_PAD src0_sel:WORD_0
	;; [unrolled: 2-line block ×4, first 2 shown]
	v_pk_add_f32 v[2:3], v[6:7], v[16:17]
	v_pk_add_f32 v[4:5], v[8:9], v[20:21]
	;; [unrolled: 1-line block ×4, first 2 shown]
	v_perm_b32 v17, v9, v8, s13
	v_perm_b32 v16, v7, v6, s13
	;; [unrolled: 1-line block ×4, first 2 shown]
	buffer_store_dwordx4 v[14:17], v26, s[28:31], 0 offen glc slc
	;;#ASMSTART
	s_nop 0
	;;#ASMEND
.LBB166_10:
	s_or_b64 exec, exec, s[14:15]
	s_mov_b32 s18, s16
.LBB166_11:
	s_waitcnt vmcnt(1)
	v_mul_f32_e32 v14, v3, v3
	v_fmac_f32_e32 v14, v2, v2
	v_fmac_f32_e32 v14, v4, v4
	;; [unrolled: 1-line block ×7, first 2 shown]
	v_bfrev_b32_e32 v16, 0.5
	s_load_dwordx2 s[14:15], s[4:5], 0x18
	v_mov_b32_dpp v15, v14 quad_perm:[1,0,3,2] row_mask:0xf bank_mask:0xf
	v_add_f32_e32 v14, v14, v15
	s_nop 1
	v_mov_b32_dpp v15, v14 quad_perm:[2,3,0,1] row_mask:0xf bank_mask:0xf
	v_add_f32_e32 v14, v14, v15
	s_nop 1
	v_mov_b32_dpp v15, v14 row_half_mirror row_mask:0xf bank_mask:0xf
	v_add_f32_e32 v14, v14, v15
	s_nop 1
	v_mov_b32_dpp v15, v14 row_mirror row_mask:0xf bank_mask:0xf
	v_add_f32_e32 v14, v14, v15
	s_nop 1
	v_mov_b32_dpp v15, v14 row_bcast:15 row_mask:0xf bank_mask:0xf
	v_add_f32_e32 v14, v14, v15
	s_nop 1
	v_mov_b32_dpp v15, v14 row_bcast:31 row_mask:0xf bank_mask:0xf
	v_add_f32_e32 v15, v14, v15
	v_mbcnt_lo_u32_b32 v14, -1, 0
	v_mbcnt_hi_u32_b32 v14, -1, v14
	v_lshl_or_b32 v14, v14, 2, v16
	ds_bpermute_b32 v15, v14, v15
	s_and_saveexec_b64 s[26:27], s[0:1]
	s_cbranch_execnz .LBB166_16
; %bb.12:
	s_or_b64 exec, exec, s[26:27]
	s_mov_b64 s[26:27], -1
	s_and_b64 vcc, exec, s[2:3]
	s_cbranch_vccnz .LBB166_17
.LBB166_13:
	s_andn2_b64 vcc, exec, s[26:27]
	s_cbranch_vccz .LBB166_20
.LBB166_14:
	s_cmp_lt_i32 s20, 1
	s_cbranch_scc0 .LBB166_29
.LBB166_15:
	s_endpgm
.LBB166_16:
	v_cvt_f32_u32_e32 v16, s7
	s_mov_b32 s7, 0x800000
	s_waitcnt lgkmcnt(0)
	v_div_scale_f32 v17, s[28:29], v16, v16, v15
	v_rcp_f32_e32 v18, v17
	v_div_scale_f32 v19, vcc, v15, v16, v15
	v_fma_f32 v20, -v17, v18, 1.0
	v_fmac_f32_e32 v18, v20, v18
	v_mul_f32_e32 v20, v19, v18
	v_fma_f32 v21, -v17, v20, v19
	v_fmac_f32_e32 v20, v21, v18
	v_fma_f32 v17, -v17, v20, v19
	v_div_fmas_f32 v17, v17, v18, v20
	v_div_fixup_f32 v15, v17, v16, v15
	v_add_f32_e32 v15, s18, v15
	v_mul_f32_e32 v16, 0x4b800000, v15
	v_cmp_gt_f32_e32 vcc, s7, v15
	v_cndmask_b32_e32 v15, v15, v16, vcc
	v_rsq_f32_e32 v15, v15
	s_waitcnt vmcnt(0)
	v_cvt_f32_u32_sdwa v19, v11 dst_sel:DWORD dst_unused:UNUSED_PAD src0_sel:WORD_1
	v_cvt_f32_u32_sdwa v18, v11 dst_sel:DWORD dst_unused:UNUSED_PAD src0_sel:WORD_0
	v_cvt_f32_u32_sdwa v11, v12 dst_sel:DWORD dst_unused:UNUSED_PAD src0_sel:WORD_1
	v_mul_f32_e32 v16, 0x45800000, v15
	v_cndmask_b32_e32 v16, v15, v16, vcc
	v_mov_b32_e32 v17, v16
	;;#ASMSTART
	v_pk_mul_f32 v[2:3], v[2:3], v[16:17]
	;;#ASMEND
	;;#ASMSTART
	v_pk_mul_f32 v[4:5], v[4:5], v[16:17]
	;;#ASMEND
	;; [unrolled: 3-line block ×4, first 2 shown]
	v_cvt_f32_u32_sdwa v17, v10 dst_sel:DWORD dst_unused:UNUSED_PAD src0_sel:WORD_1
	v_cvt_f32_u32_sdwa v16, v10 dst_sel:DWORD dst_unused:UNUSED_PAD src0_sel:WORD_0
	v_cvt_f32_u32_sdwa v10, v12 dst_sel:DWORD dst_unused:UNUSED_PAD src0_sel:WORD_0
	v_cvt_f32_u32_sdwa v21, v13 dst_sel:DWORD dst_unused:UNUSED_PAD src0_sel:WORD_1
	v_cvt_f32_u32_sdwa v20, v13 dst_sel:DWORD dst_unused:UNUSED_PAD src0_sel:WORD_0
	;;#ASMSTART
	v_pk_mul_f32 v[2:3], v[2:3], v[16:17]
	;;#ASMEND
	;;#ASMSTART
	v_pk_mul_f32 v[4:5], v[4:5], v[18:19]
	;;#ASMEND
	;;#ASMSTART
	v_pk_mul_f32 v[6:7], v[6:7], v[10:11]
	;;#ASMEND
	;;#ASMSTART
	v_pk_mul_f32 v[8:9], v[8:9], v[20:21]
	;;#ASMEND
	s_or_b64 exec, exec, s[26:27]
	s_mov_b64 s[26:27], -1
	s_and_b64 vcc, exec, s[2:3]
	s_cbranch_vccz .LBB166_13
.LBB166_17:
	s_and_saveexec_b64 s[2:3], s[0:1]
	s_cbranch_execz .LBB166_19
; %bb.18:
	s_mul_hi_i32 s27, s12, s6
	s_mul_i32 s26, s12, s6
	s_lshl_b64 s[26:27], s[26:27], 1
	s_waitcnt lgkmcnt(0)
	s_add_u32 s28, s14, s26
	s_addc_u32 s7, s15, s27
	s_and_b32 s29, s7, 0xffff
	s_mov_b32 s7, 0x7060302
	s_mov_b32 s31, 0x20000
	s_waitcnt vmcnt(0)
	v_perm_b32 v10, v3, v2, s7
	v_perm_b32 v11, v5, v4, s7
	;; [unrolled: 1-line block ×4, first 2 shown]
	v_lshlrev_b32_e32 v15, 4, v0
	buffer_store_dwordx4 v[10:13], v15, s[28:31], 0 offen
	;;#ASMSTART
	s_nop 0
	;;#ASMEND
.LBB166_19:
	s_or_b64 exec, exec, s[2:3]
	s_cbranch_execnz .LBB166_14
.LBB166_20:
	s_waitcnt vmcnt(0)
	v_mov_b32_e32 v10, 0
	s_and_saveexec_b64 s[2:3], s[0:1]
	s_cbranch_execz .LBB166_22
; %bb.21:
	s_load_dwordx2 s[26:27], s[4:5], 0x10
	s_mul_hi_i32 s29, s11, s6
	s_mul_i32 s28, s11, s6
	s_lshl_b64 s[28:29], s[28:29], 1
	s_mov_b32 s31, 0x20000
	s_waitcnt lgkmcnt(0)
	s_add_u32 s28, s26, s28
	s_addc_u32 s7, s27, s29
	s_and_b32 s29, s7, 0xffff
	s_mov_b32 s7, 0x7060302
	v_perm_b32 v10, v3, v2, s7
	v_perm_b32 v11, v5, v4, s7
	;; [unrolled: 1-line block ×4, first 2 shown]
	v_lshlrev_b32_e32 v15, 4, v0
	buffer_store_dwordx4 v[10:13], v15, s[28:31], 0 offen
	;;#ASMSTART
	s_nop 0
	;;#ASMEND
	s_nop 0
	v_mov_b32_e32 v10, 0x2edbe6ff
.LBB166_22:
	s_or_b64 exec, exec, s[2:3]
	s_and_saveexec_b64 s[2:3], s[0:1]
	s_cbranch_execz .LBB166_24
; %bb.23:
	v_and_b32_e32 v11, 0x7fffffff, v2
	v_and_b32_e32 v12, 0x7fffffff, v3
	;;#ASMSTART
	v_max3_f32 v10, v10, v11, v12

	;;#ASMEND
	v_and_b32_e32 v11, 0x7fffffff, v4
	v_and_b32_e32 v12, 0x7fffffff, v5
	;;#ASMSTART
	v_max3_f32 v10, v10, v11, v12

	;;#ASMEND
	;; [unrolled: 6-line block ×4, first 2 shown]
.LBB166_24:
	s_or_b64 exec, exec, s[2:3]
	;;#ASMSTART
	v_max_f32 v11, v10, v10 quad_perm:[1,0,3,2] row_mask:0xf bank_mask:0xf bound_ctrl:1
	;;#ASMEND
	;;#ASMSTART
	v_max_f32 v10, v11, v11 quad_perm:[2,3,0,1] row_mask:0xf bank_mask:0xf bound_ctrl:1
	;;#ASMEND
	;;#ASMSTART
	v_max_f32 v11, v10, v10 row_half_mirror row_mask:0xf bank_mask:0xf bound_ctrl:1
	;;#ASMEND
	v_mul_f32_e32 v10, 0x3b124925, v11
	v_and_b32_e32 v11, 7, v0
	v_cmp_eq_u32_e32 vcc, 0, v11
	v_cmp_gt_i32_e64 s[2:3], s19, v1
	s_and_b64 s[26:27], vcc, s[2:3]
	s_and_saveexec_b64 s[2:3], s[26:27]
	s_cbranch_execz .LBB166_26
; %bb.25:
	s_load_dwordx2 s[26:27], s[4:5], 0x8
	v_lshrrev_b32_e32 v11, 3, v0
	s_mul_hi_i32 s29, s9, s6
	s_mul_i32 s28, s9, s6
	v_mad_i64_i32 v[12:13], s[10:11], s10, v11, 0
	s_lshl_b64 s[10:11], s[28:29], 2
	s_waitcnt lgkmcnt(0)
	s_add_u32 s7, s26, s10
	s_addc_u32 s9, s27, s11
	v_lshlrev_b64 v[12:13], 2, v[12:13]
	v_mov_b32_e32 v11, s9
	v_add_co_u32_e32 v12, vcc, s7, v12
	v_addc_co_u32_e32 v13, vcc, v11, v13, vcc
	global_store_dword v[12:13], v10, off
.LBB166_26:
	s_or_b64 exec, exec, s[2:3]
	;;#ASMSTART
	v_rcp_f32 v10, v10
	;;#ASMEND
	s_and_saveexec_b64 s[10:11], s[0:1]
	s_cbranch_execz .LBB166_28
; %bb.27:
	v_mov_b32_e32 v11, v10
	;;#ASMSTART
	v_pk_mul_f32 v[2:3], v[2:3], v[10:11]
	;;#ASMEND
	v_mov_b32_e32 v12, 0xc3e00000
	v_mov_b32_e32 v13, 0x43e00000
	s_waitcnt lgkmcnt(0)
	;;#ASMSTART
	v_med3_f32 v2, v2, v12, v13
v_med3_f32 v3, v3, v12, v13
v_cvt_pk_fp8_f32 v15, v2, v3
	;;#ASMEND
	s_load_dwordx2 s[0:1], s[4:5], 0x0
	;;#ASMSTART
	v_pk_mul_f32 v[2:3], v[4:5], v[10:11]
	;;#ASMEND
	s_mul_hi_i32 s2, s8, s6
	s_mul_i32 s3, s8, s6
	;;#ASMSTART
	v_med3_f32 v2, v2, v12, v13
v_med3_f32 v3, v3, v12, v13
v_cvt_pk_fp8_f32 v4, v2, v3
	;;#ASMEND
	s_mov_b32 s8, 0x5040100
	v_perm_b32 v3, v4, v15, s8
	s_movk_i32 s8, 0xff
	v_and_b32_e32 v2, 0xffffff00, v4
	v_and_b32_sdwa v4, v3, s8 dst_sel:DWORD dst_unused:UNUSED_PAD src0_sel:WORD_1 src1_sel:DWORD
	s_mov_b32 s7, 0xffff
	v_or_b32_sdwa v2, v4, v2 dst_sel:WORD_1 dst_unused:UNUSED_PAD src0_sel:DWORD src1_sel:DWORD
	s_waitcnt lgkmcnt(0)
	s_add_u32 s0, s0, s3
	v_and_or_b32 v2, v3, s7, v2
	;;#ASMSTART
	v_pk_mul_f32 v[4:5], v[6:7], v[10:11]
	;;#ASMEND
	v_mov_b32_e32 v3, v5
	s_addc_u32 s1, s1, s2
	s_add_i32 s2, s19, 3
	;;#ASMSTART
	v_med3_f32 v4, v4, v12, v13
v_med3_f32 v3, v3, v12, v13
v_cvt_pk_fp8_f32 v6, v4, v3
	;;#ASMEND
	s_ashr_i32 s3, s2, 31
	;;#ASMSTART
	v_pk_mul_f32 v[4:5], v[8:9], v[10:11]
	;;#ASMEND
	v_mov_b32_e32 v3, v5
	s_lshr_b32 s3, s3, 30
	;;#ASMSTART
	v_med3_f32 v4, v4, v12, v13
v_med3_f32 v3, v3, v12, v13
v_cvt_pk_fp8_f32 v5, v4, v3
	;;#ASMEND
	s_add_i32 s2, s2, s3
	v_lshlrev_b32_e32 v3, 16, v5
	s_and_b32 s2, s2, -4
	s_and_b32 s1, s1, 0xffff
	s_mov_b32 s3, 0x20000
	v_and_or_b32 v3, v6, s7, v3
	buffer_store_dwordx2 v[2:3], v1, s[0:3], 0 offen
	;;#ASMSTART
	s_nop 0
	;;#ASMEND
.LBB166_28:
	s_or_b64 exec, exec, s[10:11]
	s_cmp_lt_i32 s20, 1
	s_cbranch_scc1 .LBB166_15
.LBB166_29:
	s_load_dword s0, s[4:5], 0x94
	s_waitcnt lgkmcnt(0)
	s_cmp_lg_u32 s0, 1
	s_cbranch_scc1 .LBB166_15
; %bb.30:
	s_lshl_b32 s0, s20, 1
	s_add_i32 s0, s0, 2
	v_cmp_gt_u32_e32 vcc, s20, v1
	s_and_b32 s26, s0, -4
	v_mov_b32_e32 v4, 0
	s_waitcnt vmcnt(0)
	v_lshlrev_b32_e32 v12, 4, v0
	v_mov_b32_e32 v5, 0
	v_mov_b32_e32 v6, 0
	;; [unrolled: 1-line block ×7, first 2 shown]
	s_barrier
	s_and_saveexec_b64 s[0:1], vcc
	s_cbranch_execz .LBB166_32
; %bb.31:
	s_mul_hi_i32 s3, s22, s6
	s_mul_i32 s2, s22, s6
	s_and_b32 s25, s25, 0xffff
	s_lshl_b64 s[2:3], s[2:3], 1
	s_add_u32 s8, s34, s2
	s_mov_b32 s27, 0x20000
	s_addc_u32 s2, s35, s3
	s_and_b32 s9, s2, 0xffff
	s_mov_b32 s10, s26
	s_mov_b32 s11, s27
	buffer_load_dwordx4 v[4:7], v12, s[8:11], 0 offen glc slc
	buffer_load_dwordx4 v[0:3], v12, s[24:27], 0 offen
.LBB166_32:
	s_or_b64 exec, exec, s[0:1]
	s_waitcnt vmcnt(1)
	v_cvt_f32_u32_sdwa v11, v4 dst_sel:DWORD dst_unused:UNUSED_PAD src0_sel:WORD_1
	v_cvt_f32_u32_sdwa v10, v4 dst_sel:DWORD dst_unused:UNUSED_PAD src0_sel:WORD_0
	v_cvt_f32_u32_sdwa v4, v7 dst_sel:DWORD dst_unused:UNUSED_PAD src0_sel:WORD_1
	v_cvt_f32_u32_sdwa v7, v7 dst_sel:DWORD dst_unused:UNUSED_PAD src0_sel:WORD_0
	;; [unrolled: 2-line block ×4, first 2 shown]
	v_cndmask_b32_e32 v11, 0, v11, vcc
	v_cndmask_b32_e32 v5, 0, v4, vcc
	;; [unrolled: 1-line block ×5, first 2 shown]
	v_mul_f32_e32 v13, v11, v11
	v_cndmask_b32_e32 v8, 0, v8, vcc
	v_fmac_f32_e32 v13, v10, v10
	v_cndmask_b32_e32 v9, 0, v9, vcc
	v_fmac_f32_e32 v13, v8, v8
	;; [unrolled: 2-line block ×3, first 2 shown]
	v_fmac_f32_e32 v13, v6, v6
	v_fmac_f32_e32 v13, v7, v7
	;; [unrolled: 1-line block ×4, first 2 shown]
	s_nop 1
	v_mov_b32_dpp v15, v13 quad_perm:[1,0,3,2] row_mask:0xf bank_mask:0xf
	v_add_f32_e32 v13, v13, v15
	s_nop 1
	v_mov_b32_dpp v15, v13 quad_perm:[2,3,0,1] row_mask:0xf bank_mask:0xf
	v_add_f32_e32 v13, v13, v15
	s_nop 1
	v_mov_b32_dpp v15, v13 row_half_mirror row_mask:0xf bank_mask:0xf
	v_add_f32_e32 v13, v13, v15
	s_nop 1
	v_mov_b32_dpp v15, v13 row_mirror row_mask:0xf bank_mask:0xf
	v_add_f32_e32 v13, v13, v15
	s_nop 1
	v_mov_b32_dpp v15, v13 row_bcast:15 row_mask:0xf bank_mask:0xf
	v_add_f32_e32 v13, v13, v15
	s_nop 1
	v_mov_b32_dpp v15, v13 row_bcast:31 row_mask:0xf bank_mask:0xf
	v_add_f32_e32 v13, v13, v15
	ds_bpermute_b32 v13, v14, v13
	s_and_saveexec_b64 s[0:1], vcc
	s_cbranch_execz .LBB166_15
; %bb.33:
	v_cvt_f32_u32_e32 v14, s20
	s_mov_b32 s27, 0x20000
	s_waitcnt lgkmcnt(0)
	v_div_scale_f32 v15, s[0:1], v14, v14, v13
	v_rcp_f32_e32 v16, v15
	v_div_scale_f32 v17, vcc, v13, v14, v13
	s_mov_b32 s0, 0x800000
	v_fma_f32 v18, -v15, v16, 1.0
	v_fmac_f32_e32 v16, v18, v16
	v_mul_f32_e32 v18, v17, v16
	v_fma_f32 v19, -v15, v18, v17
	v_fmac_f32_e32 v18, v19, v16
	v_fma_f32 v15, -v15, v18, v17
	v_div_fmas_f32 v15, v15, v16, v18
	v_div_fixup_f32 v13, v15, v14, v13
	v_add_f32_e32 v13, s17, v13
	v_mul_f32_e32 v14, 0x4b800000, v13
	v_cmp_gt_f32_e32 vcc, s0, v13
	v_cndmask_b32_e32 v13, v13, v14, vcc
	v_rsq_f32_e32 v13, v13
	s_mul_hi_i32 s1, s12, s6
	s_mul_i32 s0, s12, s6
	s_lshl_b64 s[0:1], s[0:1], 1
	v_mul_f32_e32 v14, 0x45800000, v13
	v_cndmask_b32_e32 v14, v13, v14, vcc
	s_add_u32 s24, s14, s0
	v_mov_b32_e32 v15, v14
	s_addc_u32 s0, s15, s1
	;;#ASMSTART
	v_pk_mul_f32 v[10:11], v[10:11], v[14:15]
	;;#ASMEND
	;;#ASMSTART
	v_pk_mul_f32 v[8:9], v[8:9], v[14:15]
	;;#ASMEND
	;; [unrolled: 3-line block ×4, first 2 shown]
	s_waitcnt vmcnt(0)
	v_cvt_f32_u32_sdwa v15, v0 dst_sel:DWORD dst_unused:UNUSED_PAD src0_sel:WORD_1
	v_cvt_f32_u32_sdwa v14, v0 dst_sel:DWORD dst_unused:UNUSED_PAD src0_sel:WORD_0
	v_cvt_f32_u32_sdwa v17, v1 dst_sel:DWORD dst_unused:UNUSED_PAD src0_sel:WORD_1
	v_cvt_f32_u32_sdwa v16, v1 dst_sel:DWORD dst_unused:UNUSED_PAD src0_sel:WORD_0
	;; [unrolled: 2-line block ×4, first 2 shown]
	;;#ASMSTART
	v_pk_mul_f32 v[2:3], v[10:11], v[14:15]
	;;#ASMEND
	s_and_b32 s25, s0, 0xffff
	s_mov_b32 s0, 0x7060302
	;;#ASMSTART
	v_pk_mul_f32 v[8:9], v[8:9], v[16:17]
	;;#ASMEND
	;;#ASMSTART
	v_pk_mul_f32 v[6:7], v[6:7], v[0:1]
	;;#ASMEND
	;; [unrolled: 3-line block ×3, first 2 shown]
	v_perm_b32 v0, v3, v2, s0
	v_perm_b32 v1, v9, v8, s0
	;; [unrolled: 1-line block ×4, first 2 shown]
	buffer_store_dwordx4 v[0:3], v12, s[24:27], 0 offen
	;;#ASMSTART
	s_nop 0
	;;#ASMEND
	s_endpgm
	.section	.rodata,"a",@progbits
	.p2align	6, 0x0
	.amdhsa_kernel _ZN5aiter35fused_qk_rmsnorm_group_quant_kernelItDB8_Li64ELi8ELi8ELb1ELb1ELb0ELb0ELb0ELb0EEEvPT0_PvPT_S6_S6_PKS5_S8_S8_S8_S8_ffiiiiiiiiiiiii
		.amdhsa_group_segment_fixed_size 0
		.amdhsa_private_segment_fixed_size 0
		.amdhsa_kernarg_size 400
		.amdhsa_user_sgpr_count 6
		.amdhsa_user_sgpr_private_segment_buffer 1
		.amdhsa_user_sgpr_dispatch_ptr 0
		.amdhsa_user_sgpr_queue_ptr 0
		.amdhsa_user_sgpr_kernarg_segment_ptr 1
		.amdhsa_user_sgpr_dispatch_id 0
		.amdhsa_user_sgpr_flat_scratch_init 0
		.amdhsa_user_sgpr_kernarg_preload_length 0
		.amdhsa_user_sgpr_kernarg_preload_offset 0
		.amdhsa_user_sgpr_private_segment_size 0
		.amdhsa_uses_dynamic_stack 0
		.amdhsa_system_sgpr_private_segment_wavefront_offset 0
		.amdhsa_system_sgpr_workgroup_id_x 1
		.amdhsa_system_sgpr_workgroup_id_y 1
		.amdhsa_system_sgpr_workgroup_id_z 0
		.amdhsa_system_sgpr_workgroup_info 0
		.amdhsa_system_vgpr_workitem_id 0
		.amdhsa_next_free_vgpr 27
		.amdhsa_next_free_sgpr 44
		.amdhsa_accum_offset 28
		.amdhsa_reserve_vcc 1
		.amdhsa_reserve_flat_scratch 0
		.amdhsa_float_round_mode_32 0
		.amdhsa_float_round_mode_16_64 0
		.amdhsa_float_denorm_mode_32 3
		.amdhsa_float_denorm_mode_16_64 3
		.amdhsa_dx10_clamp 1
		.amdhsa_ieee_mode 1
		.amdhsa_fp16_overflow 0
		.amdhsa_tg_split 0
		.amdhsa_exception_fp_ieee_invalid_op 0
		.amdhsa_exception_fp_denorm_src 0
		.amdhsa_exception_fp_ieee_div_zero 0
		.amdhsa_exception_fp_ieee_overflow 0
		.amdhsa_exception_fp_ieee_underflow 0
		.amdhsa_exception_fp_ieee_inexact 0
		.amdhsa_exception_int_div_zero 0
	.end_amdhsa_kernel
	.section	.text._ZN5aiter35fused_qk_rmsnorm_group_quant_kernelItDB8_Li64ELi8ELi8ELb1ELb1ELb0ELb0ELb0ELb0EEEvPT0_PvPT_S6_S6_PKS5_S8_S8_S8_S8_ffiiiiiiiiiiiii,"axG",@progbits,_ZN5aiter35fused_qk_rmsnorm_group_quant_kernelItDB8_Li64ELi8ELi8ELb1ELb1ELb0ELb0ELb0ELb0EEEvPT0_PvPT_S6_S6_PKS5_S8_S8_S8_S8_ffiiiiiiiiiiiii,comdat
.Lfunc_end166:
	.size	_ZN5aiter35fused_qk_rmsnorm_group_quant_kernelItDB8_Li64ELi8ELi8ELb1ELb1ELb0ELb0ELb0ELb0EEEvPT0_PvPT_S6_S6_PKS5_S8_S8_S8_S8_ffiiiiiiiiiiiii, .Lfunc_end166-_ZN5aiter35fused_qk_rmsnorm_group_quant_kernelItDB8_Li64ELi8ELi8ELb1ELb1ELb0ELb0ELb0ELb0EEEvPT0_PvPT_S6_S6_PKS5_S8_S8_S8_S8_ffiiiiiiiiiiiii
                                        ; -- End function
	.section	.AMDGPU.csdata,"",@progbits
; Kernel info:
; codeLenInByte = 2936
; NumSgprs: 48
; NumVgprs: 27
; NumAgprs: 0
; TotalNumVgprs: 27
; ScratchSize: 0
; MemoryBound: 0
; FloatMode: 240
; IeeeMode: 1
; LDSByteSize: 0 bytes/workgroup (compile time only)
; SGPRBlocks: 5
; VGPRBlocks: 3
; NumSGPRsForWavesPerEU: 48
; NumVGPRsForWavesPerEU: 27
; AccumOffset: 28
; Occupancy: 8
; WaveLimiterHint : 0
; COMPUTE_PGM_RSRC2:SCRATCH_EN: 0
; COMPUTE_PGM_RSRC2:USER_SGPR: 6
; COMPUTE_PGM_RSRC2:TRAP_HANDLER: 0
; COMPUTE_PGM_RSRC2:TGID_X_EN: 1
; COMPUTE_PGM_RSRC2:TGID_Y_EN: 1
; COMPUTE_PGM_RSRC2:TGID_Z_EN: 0
; COMPUTE_PGM_RSRC2:TIDIG_COMP_CNT: 0
; COMPUTE_PGM_RSRC3_GFX90A:ACCUM_OFFSET: 6
; COMPUTE_PGM_RSRC3_GFX90A:TG_SPLIT: 0
	.section	.text._ZN5aiter35fused_qk_rmsnorm_group_quant_kernelIDF16_N4opus5fp4_tELi64ELi8ELi8ELb1ELb1ELb0ELb0ELb0ELb0EEEvPT0_PvPT_S7_S7_PKS6_S9_S9_S9_S9_ffiiiiiiiiiiiii,"axG",@progbits,_ZN5aiter35fused_qk_rmsnorm_group_quant_kernelIDF16_N4opus5fp4_tELi64ELi8ELi8ELb1ELb1ELb0ELb0ELb0ELb0EEEvPT0_PvPT_S7_S7_PKS6_S9_S9_S9_S9_ffiiiiiiiiiiiii,comdat
	.protected	_ZN5aiter35fused_qk_rmsnorm_group_quant_kernelIDF16_N4opus5fp4_tELi64ELi8ELi8ELb1ELb1ELb0ELb0ELb0ELb0EEEvPT0_PvPT_S7_S7_PKS6_S9_S9_S9_S9_ffiiiiiiiiiiiii ; -- Begin function _ZN5aiter35fused_qk_rmsnorm_group_quant_kernelIDF16_N4opus5fp4_tELi64ELi8ELi8ELb1ELb1ELb0ELb0ELb0ELb0EEEvPT0_PvPT_S7_S7_PKS6_S9_S9_S9_S9_ffiiiiiiiiiiiii
	.globl	_ZN5aiter35fused_qk_rmsnorm_group_quant_kernelIDF16_N4opus5fp4_tELi64ELi8ELi8ELb1ELb1ELb0ELb0ELb0ELb0EEEvPT0_PvPT_S7_S7_PKS6_S9_S9_S9_S9_ffiiiiiiiiiiiii
	.p2align	8
	.type	_ZN5aiter35fused_qk_rmsnorm_group_quant_kernelIDF16_N4opus5fp4_tELi64ELi8ELi8ELb1ELb1ELb0ELb0ELb0ELb0EEEvPT0_PvPT_S7_S7_PKS6_S9_S9_S9_S9_ffiiiiiiiiiiiii,@function
_ZN5aiter35fused_qk_rmsnorm_group_quant_kernelIDF16_N4opus5fp4_tELi64ELi8ELi8ELb1ELb1ELb0ELb0ELb0ELb0EEEvPT0_PvPT_S7_S7_PKS6_S9_S9_S9_S9_ffiiiiiiiiiiiii: ; @_ZN5aiter35fused_qk_rmsnorm_group_quant_kernelIDF16_N4opus5fp4_tELi64ELi8ELi8ELb1ELb1ELb0ELb0ELb0ELb0EEEvPT0_PvPT_S7_S7_PKS6_S9_S9_S9_S9_ffiiiiiiiiiiiii
; %bb.0:
	s_load_dwordx8 s[16:23], s[4:5], 0x50
	s_waitcnt lgkmcnt(0)
	s_cmp_ge_i32 s6, s18
	s_cbranch_scc1 .LBB167_15
; %bb.1:
	s_cmp_lg_u32 s7, 0
	s_cselect_b64 s[2:3], -1, 0
	s_cmp_eq_u32 s7, 0
	s_cselect_b64 s[26:27], -1, 0
	s_and_b64 s[0:1], s[26:27], exec
	s_load_dwordx2 s[24:25], s[4:5], 0x48
	s_load_dwordx2 s[34:35], s[4:5], 0x30
	s_load_dwordx8 s[8:15], s[4:5], 0x70
	s_cselect_b32 s7, s19, s20
	s_add_i32 s0, s7, 1
	s_lshr_b32 s1, s0, 31
	s_add_i32 s0, s0, s1
	s_lshl_b32 s0, s0, 1
	v_lshlrev_b32_e32 v1, 3, v0
	s_and_b32 s30, s0, -4
	v_cmp_gt_i32_e64 s[0:1], s7, v1
	v_mov_b32_e32 v2, 0
	v_mov_b32_e32 v3, 0
	;; [unrolled: 1-line block ×8, first 2 shown]
	s_waitcnt lgkmcnt(0)
	s_and_saveexec_b64 s[14:15], s[0:1]
	s_cbranch_execz .LBB167_3
; %bb.2:
	s_load_dwordx2 s[28:29], s[4:5], 0x28
	s_load_dwordx2 s[38:39], s[4:5], 0x40
	s_and_b64 s[36:37], s[26:27], exec
	s_cselect_b32 s18, s21, s22
	v_lshlrev_b32_e32 v10, 4, v0
	s_waitcnt lgkmcnt(0)
	s_cselect_b32 s21, s29, s35
	s_cselect_b32 s31, s28, s34
	s_mul_hi_i32 s29, s18, s6
	s_mul_i32 s28, s18, s6
	s_lshl_b64 s[28:29], s[28:29], 1
	s_add_u32 s36, s31, s28
	s_addc_u32 s18, s21, s29
	s_and_b64 s[26:27], s[26:27], exec
	s_mov_b32 s31, 0x20000
	s_cselect_b32 s28, s38, s24
	s_cselect_b32 s21, s39, s25
	s_and_b32 s37, s18, 0xffff
	s_mov_b32 s38, s30
	s_mov_b32 s39, s31
	s_and_b32 s29, s21, 0xffff
	buffer_load_dwordx4 v[6:9], v10, s[36:39], 0 offen glc slc
	buffer_load_dwordx4 v[2:5], v10, s[28:31], 0 offen
.LBB167_3:
	s_or_b64 exec, exec, s[14:15]
	s_and_b64 vcc, exec, s[2:3]
	s_cbranch_vccz .LBB167_7
; %bb.4:
	v_mov_b32_e32 v11, 0
	v_mov_b32_e32 v10, 0
	;; [unrolled: 1-line block ×8, first 2 shown]
	s_and_saveexec_b64 s[14:15], s[0:1]
	s_cbranch_execz .LBB167_6
; %bb.5:
	s_waitcnt vmcnt(1)
	v_cvt_f32_f16_sdwa v17, v6 dst_sel:DWORD dst_unused:UNUSED_PAD src0_sel:WORD_1
	v_cvt_f32_f16_e32 v16, v6
	v_cvt_f32_f16_sdwa v15, v7 dst_sel:DWORD dst_unused:UNUSED_PAD src0_sel:WORD_1
	v_cvt_f32_f16_e32 v14, v7
	;; [unrolled: 2-line block ×4, first 2 shown]
.LBB167_6:
	s_or_b64 exec, exec, s[14:15]
	s_mov_b32 s18, s17
	s_cbranch_execz .LBB167_8
	s_branch .LBB167_11
.LBB167_7:
                                        ; implicit-def: $vgpr11
                                        ; implicit-def: $vgpr13
                                        ; implicit-def: $vgpr15
                                        ; implicit-def: $vgpr17
	s_mov_b32 s18, s17
.LBB167_8:
	v_mov_b32_e32 v11, 0
	v_mov_b32_e32 v10, 0
	;; [unrolled: 1-line block ×8, first 2 shown]
	s_and_saveexec_b64 s[14:15], s[0:1]
	s_cbranch_execz .LBB167_10
; %bb.9:
	s_load_dwordx2 s[26:27], s[4:5], 0x38
	s_mul_hi_i32 s29, s23, s6
	s_mul_i32 s28, s23, s6
	s_lshl_b64 s[28:29], s[28:29], 1
	s_mov_b32 s31, 0x20000
	s_waitcnt lgkmcnt(0)
	s_add_u32 s28, s26, s28
	s_addc_u32 s18, s27, s29
	s_and_b32 s29, s18, 0xffff
	v_lshlrev_b32_e32 v26, 4, v0
	buffer_load_dwordx4 v[10:13], v26, s[28:31], 0 offen glc slc
	s_waitcnt vmcnt(2)
	v_cvt_f32_f16_sdwa v15, v6 dst_sel:DWORD dst_unused:UNUSED_PAD src0_sel:WORD_1
	v_cvt_f32_f16_e32 v14, v6
	v_cvt_f32_f16_sdwa v19, v7 dst_sel:DWORD dst_unused:UNUSED_PAD src0_sel:WORD_1
	v_cvt_f32_f16_e32 v18, v7
	;; [unrolled: 2-line block ×4, first 2 shown]
	s_load_dwordx2 s[26:27], s[4:5], 0x20
	s_mul_hi_i32 s29, s13, s6
	s_mul_i32 s28, s13, s6
	s_lshl_b64 s[28:29], s[28:29], 1
	s_waitcnt lgkmcnt(0)
	s_add_u32 s28, s26, s28
	s_addc_u32 s13, s27, s29
	s_and_b32 s29, s13, 0xffff
	s_waitcnt vmcnt(0)
	v_cvt_f32_f16_e32 v8, v10
	v_cvt_f32_f16_sdwa v9, v10 dst_sel:DWORD dst_unused:UNUSED_PAD src0_sel:WORD_1
	v_cvt_f32_f16_e32 v10, v11
	v_cvt_f32_f16_sdwa v11, v11 dst_sel:DWORD dst_unused:UNUSED_PAD src0_sel:WORD_1
	v_cvt_f32_f16_e32 v22, v12
	v_cvt_f32_f16_sdwa v23, v12 dst_sel:DWORD dst_unused:UNUSED_PAD src0_sel:WORD_1
	v_cvt_f32_f16_e32 v24, v13
	v_cvt_f32_f16_sdwa v25, v13 dst_sel:DWORD dst_unused:UNUSED_PAD src0_sel:WORD_1
	v_pk_add_f32 v[16:17], v[14:15], v[8:9]
	v_pk_add_f32 v[14:15], v[18:19], v[10:11]
	;; [unrolled: 1-line block ×4, first 2 shown]
	v_cvt_f16_f32_e32 v6, v17
	v_cvt_f16_f32_e32 v7, v15
	;; [unrolled: 1-line block ×8, first 2 shown]
	v_pack_b32_f16 v9, v18, v9
	v_pack_b32_f16 v8, v19, v8
	;; [unrolled: 1-line block ×4, first 2 shown]
	buffer_store_dwordx4 v[6:9], v26, s[28:31], 0 offen glc slc
	;;#ASMSTART
	s_nop 0
	;;#ASMEND
.LBB167_10:
	s_or_b64 exec, exec, s[14:15]
	s_mov_b32 s18, s16
.LBB167_11:
	s_waitcnt vmcnt(1)
	v_mul_f32_e32 v6, v17, v17
	v_fmac_f32_e32 v6, v16, v16
	v_fmac_f32_e32 v6, v14, v14
	;; [unrolled: 1-line block ×7, first 2 shown]
	v_bfrev_b32_e32 v8, 0.5
	s_load_dwordx2 s[14:15], s[4:5], 0x18
	v_mov_b32_dpp v7, v6 quad_perm:[1,0,3,2] row_mask:0xf bank_mask:0xf
	v_add_f32_e32 v6, v6, v7
	s_nop 1
	v_mov_b32_dpp v7, v6 quad_perm:[2,3,0,1] row_mask:0xf bank_mask:0xf
	v_add_f32_e32 v6, v6, v7
	s_nop 1
	v_mov_b32_dpp v7, v6 row_half_mirror row_mask:0xf bank_mask:0xf
	v_add_f32_e32 v6, v6, v7
	s_nop 1
	v_mov_b32_dpp v7, v6 row_mirror row_mask:0xf bank_mask:0xf
	v_add_f32_e32 v6, v6, v7
	s_nop 1
	v_mov_b32_dpp v7, v6 row_bcast:15 row_mask:0xf bank_mask:0xf
	v_add_f32_e32 v6, v6, v7
	s_nop 1
	v_mov_b32_dpp v7, v6 row_bcast:31 row_mask:0xf bank_mask:0xf
	v_add_f32_e32 v6, v6, v7
	v_mbcnt_lo_u32_b32 v7, -1, 0
	v_mbcnt_hi_u32_b32 v7, -1, v7
	v_lshl_or_b32 v18, v7, 2, v8
	ds_bpermute_b32 v6, v18, v6
	s_and_saveexec_b64 s[26:27], s[0:1]
	s_cbranch_execnz .LBB167_16
; %bb.12:
	s_or_b64 exec, exec, s[26:27]
	s_mov_b64 s[26:27], -1
	s_and_b64 vcc, exec, s[2:3]
	s_cbranch_vccnz .LBB167_17
.LBB167_13:
	s_andn2_b64 vcc, exec, s[26:27]
	s_cbranch_vccz .LBB167_20
.LBB167_14:
	s_cmp_lt_i32 s20, 1
	s_cbranch_scc0 .LBB167_29
.LBB167_15:
	s_endpgm
.LBB167_16:
	v_cvt_f32_u32_e32 v7, s7
	s_mov_b32 s7, 0x800000
	s_waitcnt vmcnt(0)
	v_cvt_f32_f16_sdwa v23, v5 dst_sel:DWORD dst_unused:UNUSED_PAD src0_sel:WORD_1
	v_cvt_f32_f16_e32 v22, v5
	s_waitcnt lgkmcnt(0)
	v_div_scale_f32 v8, s[28:29], v7, v7, v6
	v_rcp_f32_e32 v9, v8
	v_div_scale_f32 v19, vcc, v6, v7, v6
	v_fma_f32 v20, -v8, v9, 1.0
	v_fmac_f32_e32 v9, v20, v9
	v_mul_f32_e32 v20, v19, v9
	v_fma_f32 v21, -v8, v20, v19
	v_fmac_f32_e32 v20, v21, v9
	v_fma_f32 v8, -v8, v20, v19
	v_div_fmas_f32 v8, v8, v9, v20
	v_div_fixup_f32 v6, v8, v7, v6
	v_add_f32_e32 v6, s18, v6
	v_mul_f32_e32 v7, 0x4b800000, v6
	v_cmp_gt_f32_e32 vcc, s7, v6
	v_cndmask_b32_e32 v6, v6, v7, vcc
	v_rsq_f32_e32 v6, v6
	v_cvt_f32_f16_sdwa v21, v3 dst_sel:DWORD dst_unused:UNUSED_PAD src0_sel:WORD_1
	v_cvt_f32_f16_e32 v20, v3
	v_cvt_f32_f16_sdwa v3, v4 dst_sel:DWORD dst_unused:UNUSED_PAD src0_sel:WORD_1
	v_mul_f32_e32 v7, 0x45800000, v6
	v_cndmask_b32_e32 v6, v6, v7, vcc
	v_mov_b32_e32 v7, v6
	;;#ASMSTART
	v_pk_mul_f32 v[8:9], v[16:17], v[6:7]
	;;#ASMEND
	;;#ASMSTART
	v_pk_mul_f32 v[14:15], v[14:15], v[6:7]
	;;#ASMEND
	;; [unrolled: 3-line block ×4, first 2 shown]
	v_cvt_f32_f16_sdwa v11, v2 dst_sel:DWORD dst_unused:UNUSED_PAD src0_sel:WORD_1
	v_cvt_f32_f16_e32 v10, v2
	v_cvt_f32_f16_e32 v2, v4
	;;#ASMSTART
	v_pk_mul_f32 v[16:17], v[8:9], v[10:11]
	;;#ASMEND
	;;#ASMSTART
	v_pk_mul_f32 v[14:15], v[14:15], v[20:21]
	;;#ASMEND
	;; [unrolled: 3-line block ×4, first 2 shown]
	s_or_b64 exec, exec, s[26:27]
	s_mov_b64 s[26:27], -1
	s_and_b64 vcc, exec, s[2:3]
	s_cbranch_vccz .LBB167_13
.LBB167_17:
	s_and_saveexec_b64 s[2:3], s[0:1]
	s_cbranch_execz .LBB167_19
; %bb.18:
	s_mul_hi_i32 s27, s12, s6
	s_mul_i32 s26, s12, s6
	s_waitcnt vmcnt(0)
	v_cvt_f16_f32_e32 v2, v16
	v_cvt_f16_f32_e32 v3, v14
	;; [unrolled: 1-line block ×4, first 2 shown]
	s_waitcnt lgkmcnt(0)
	v_cvt_f16_f32_e32 v6, v11
	v_cvt_f16_f32_e32 v7, v13
	;; [unrolled: 1-line block ×4, first 2 shown]
	s_lshl_b64 s[26:27], s[26:27], 1
	s_add_u32 s28, s14, s26
	s_addc_u32 s7, s15, s27
	s_and_b32 s29, s7, 0xffff
	s_mov_b32 s31, 0x20000
	v_pack_b32_f16 v5, v5, v6
	v_pack_b32_f16 v4, v4, v7
	;; [unrolled: 1-line block ×4, first 2 shown]
	v_lshlrev_b32_e32 v6, 4, v0
	buffer_store_dwordx4 v[2:5], v6, s[28:31], 0 offen
	;;#ASMSTART
	s_nop 0
	;;#ASMEND
.LBB167_19:
	s_or_b64 exec, exec, s[2:3]
	s_cbranch_execnz .LBB167_14
.LBB167_20:
	s_waitcnt vmcnt(0)
	v_mov_b32_e32 v2, 0
	s_and_saveexec_b64 s[2:3], s[0:1]
	s_cbranch_execz .LBB167_22
; %bb.21:
	s_load_dwordx2 s[26:27], s[4:5], 0x10
	s_mul_hi_i32 s29, s11, s6
	s_mul_i32 s28, s11, s6
	v_cvt_f16_f32_e32 v2, v16
	v_cvt_f16_f32_e32 v3, v14
	;; [unrolled: 1-line block ×4, first 2 shown]
	s_waitcnt lgkmcnt(0)
	v_cvt_f16_f32_e32 v6, v11
	v_cvt_f16_f32_e32 v7, v13
	;; [unrolled: 1-line block ×4, first 2 shown]
	s_lshl_b64 s[28:29], s[28:29], 1
	s_add_u32 s28, s26, s28
	s_addc_u32 s7, s27, s29
	s_mov_b32 s31, 0x20000
	s_and_b32 s29, s7, 0xffff
	v_pack_b32_f16 v5, v5, v6
	v_pack_b32_f16 v4, v4, v7
	;; [unrolled: 1-line block ×4, first 2 shown]
	v_lshlrev_b32_e32 v6, 4, v0
	buffer_store_dwordx4 v[2:5], v6, s[28:31], 0 offen
	;;#ASMSTART
	s_nop 0
	;;#ASMEND
	s_nop 0
	v_mov_b32_e32 v2, 0x2edbe6ff
.LBB167_22:
	s_or_b64 exec, exec, s[2:3]
	s_and_saveexec_b64 s[2:3], s[0:1]
	s_cbranch_execz .LBB167_24
; %bb.23:
	v_and_b32_e32 v3, 0x7fffffff, v16
	v_and_b32_e32 v4, 0x7fffffff, v17
	;;#ASMSTART
	v_max3_f32 v2, v2, v3, v4

	;;#ASMEND
	v_and_b32_e32 v3, 0x7fffffff, v14
	v_and_b32_e32 v4, 0x7fffffff, v15
	;;#ASMSTART
	v_max3_f32 v2, v2, v3, v4

	;;#ASMEND
	;; [unrolled: 6-line block ×4, first 2 shown]
.LBB167_24:
	s_or_b64 exec, exec, s[2:3]
	;;#ASMSTART
	v_max_f32 v3, v2, v2 quad_perm:[1,0,3,2] row_mask:0xf bank_mask:0xf bound_ctrl:1
	;;#ASMEND
	;;#ASMSTART
	v_max_f32 v4, v3, v3 quad_perm:[2,3,0,1] row_mask:0xf bank_mask:0xf bound_ctrl:1
	;;#ASMEND
	v_and_b32_e32 v3, 7, v0
	v_cmp_eq_u32_e32 vcc, 0, v3
	v_cmp_gt_i32_e64 s[2:3], s19, v1
	s_and_b64 s[26:27], vcc, s[2:3]
	;;#ASMSTART
	v_max_f32 v2, v4, v4 row_half_mirror row_mask:0xf bank_mask:0xf bound_ctrl:1
	;;#ASMEND
	s_and_saveexec_b64 s[2:3], s[26:27]
	s_cbranch_execz .LBB167_26
; %bb.25:
	s_load_dwordx2 s[26:27], s[4:5], 0x8
	v_mul_f32_e32 v2, 0x3e2aaaab, v2
	v_lshrrev_b32_e32 v3, 23, v2
	v_and_b32_e32 v4, 0x7f800000, v2
	v_and_b32_e32 v2, 0x7fffff, v2
	v_cmp_ne_u32_e32 vcc, 0, v2
	s_mul_hi_i32 s11, s9, s6
	s_mul_i32 s9, s9, s6
	s_mov_b32 s7, 0x7f800000
	v_addc_co_u32_e32 v2, vcc, 0, v3, vcc
	s_waitcnt lgkmcnt(0)
	s_add_u32 s26, s26, s9
	v_cmp_ne_u32_e32 vcc, s7, v4
	s_addc_u32 s27, s27, s11
	v_lshrrev_b32_e32 v5, 3, v0
	v_cndmask_b32_e32 v4, -1, v2, vcc
	v_pk_mov_b32 v[2:3], s[26:27], s[26:27] op_sel:[0,1]
	v_mad_i64_i32 v[2:3], s[10:11], s10, v5, v[2:3]
	global_store_byte v[2:3], v4, off
.LBB167_26:
	s_or_b64 exec, exec, s[2:3]
	s_and_saveexec_b64 s[2:3], s[0:1]
	s_cbranch_execz .LBB167_28
; %bb.27:
	s_load_dwordx2 s[0:1], s[4:5], 0x0
	s_mul_hi_i32 s7, s8, s6
	s_mul_i32 s8, s8, s6
	v_lshlrev_b32_e32 v2, 2, v0
	s_mov_b32 s11, 0x20000
	s_waitcnt lgkmcnt(0)
	s_add_u32 s8, s0, s8
	s_addc_u32 s0, s1, s7
	s_lshr_b32 s1, s19, 31
	s_add_i32 s1, s19, s1
	s_ashr_i32 s1, s1, 1
	s_add_i32 s1, s1, 3
	s_ashr_i32 s7, s1, 31
	s_lshr_b32 s7, s7, 30
	s_add_i32 s1, s1, s7
	s_and_b32 s10, s1, -4
	s_and_b32 s9, s0, 0xffff
	v_mov_b32_e32 v3, 0
	buffer_store_dword v3, v2, s[8:11], 0 offen
	;;#ASMSTART
	s_nop 0
	;;#ASMEND
.LBB167_28:
	s_or_b64 exec, exec, s[2:3]
	s_cmp_lt_i32 s20, 1
	s_cbranch_scc1 .LBB167_15
.LBB167_29:
	s_load_dword s0, s[4:5], 0x94
	s_waitcnt lgkmcnt(0)
	s_cmp_lg_u32 s0, 1
	s_cbranch_scc1 .LBB167_15
; %bb.30:
	s_lshl_b32 s0, s20, 1
	s_add_i32 s0, s0, 2
	v_cmp_gt_u32_e32 vcc, s20, v1
	s_and_b32 s26, s0, -4
	v_mov_b32_e32 v8, 0
	v_lshlrev_b32_e32 v16, 4, v0
	s_waitcnt vmcnt(0)
	v_mov_b32_e32 v4, 0
	v_mov_b32_e32 v5, 0
	;; [unrolled: 1-line block ×8, first 2 shown]
	s_barrier
	s_and_saveexec_b64 s[0:1], vcc
	s_cbranch_execz .LBB167_32
; %bb.31:
	s_mul_hi_i32 s3, s22, s6
	s_mul_i32 s2, s22, s6
	s_and_b32 s25, s25, 0xffff
	s_lshl_b64 s[2:3], s[2:3], 1
	s_add_u32 s8, s34, s2
	s_mov_b32 s27, 0x20000
	s_addc_u32 s2, s35, s3
	s_and_b32 s9, s2, 0xffff
	s_mov_b32 s10, s26
	s_mov_b32 s11, s27
	buffer_load_dwordx4 v[4:7], v16, s[8:11], 0 offen glc slc
	buffer_load_dwordx4 v[0:3], v16, s[24:27], 0 offen
.LBB167_32:
	s_or_b64 exec, exec, s[0:1]
	v_mov_b32_e32 v9, 0
	v_mov_b32_e32 v14, 0
	;; [unrolled: 1-line block ×7, first 2 shown]
	s_and_saveexec_b64 s[0:1], vcc
	s_cbranch_execz .LBB167_34
; %bb.33:
	s_waitcnt vmcnt(1)
	v_cvt_f32_f16_sdwa v9, v4 dst_sel:DWORD dst_unused:UNUSED_PAD src0_sel:WORD_1
	v_cvt_f32_f16_e32 v8, v4
	v_cvt_f32_f16_sdwa v15, v5 dst_sel:DWORD dst_unused:UNUSED_PAD src0_sel:WORD_1
	v_cvt_f32_f16_e32 v14, v5
	;; [unrolled: 2-line block ×4, first 2 shown]
.LBB167_34:
	s_or_b64 exec, exec, s[0:1]
	s_waitcnt vmcnt(1)
	v_mul_f32_e32 v4, v9, v9
	v_fmac_f32_e32 v4, v8, v8
	v_fmac_f32_e32 v4, v14, v14
	;; [unrolled: 1-line block ×7, first 2 shown]
	s_nop 1
	v_mov_b32_dpp v5, v4 quad_perm:[1,0,3,2] row_mask:0xf bank_mask:0xf
	v_add_f32_e32 v4, v4, v5
	s_nop 1
	v_mov_b32_dpp v5, v4 quad_perm:[2,3,0,1] row_mask:0xf bank_mask:0xf
	v_add_f32_e32 v4, v4, v5
	s_nop 1
	v_mov_b32_dpp v5, v4 row_half_mirror row_mask:0xf bank_mask:0xf
	v_add_f32_e32 v4, v4, v5
	s_nop 1
	v_mov_b32_dpp v5, v4 row_mirror row_mask:0xf bank_mask:0xf
	v_add_f32_e32 v4, v4, v5
	s_nop 1
	v_mov_b32_dpp v5, v4 row_bcast:15 row_mask:0xf bank_mask:0xf
	v_add_f32_e32 v4, v4, v5
	s_nop 1
	v_mov_b32_dpp v5, v4 row_bcast:31 row_mask:0xf bank_mask:0xf
	v_add_f32_e32 v4, v4, v5
	ds_bpermute_b32 v4, v18, v4
	s_and_saveexec_b64 s[0:1], vcc
	s_cbranch_execz .LBB167_15
; %bb.35:
	v_cvt_f32_u32_e32 v5, s20
	s_mov_b32 s27, 0x20000
	s_waitcnt lgkmcnt(0)
	v_div_scale_f32 v6, s[0:1], v5, v5, v4
	v_rcp_f32_e32 v7, v6
	v_div_scale_f32 v17, vcc, v4, v5, v4
	s_mov_b32 s0, 0x800000
	v_fma_f32 v18, -v6, v7, 1.0
	v_fmac_f32_e32 v7, v18, v7
	v_mul_f32_e32 v18, v17, v7
	v_fma_f32 v19, -v6, v18, v17
	v_fmac_f32_e32 v18, v19, v7
	v_fma_f32 v6, -v6, v18, v17
	v_div_fmas_f32 v6, v6, v7, v18
	v_div_fixup_f32 v4, v6, v5, v4
	v_add_f32_e32 v4, s17, v4
	v_mul_f32_e32 v5, 0x4b800000, v4
	v_cmp_gt_f32_e32 vcc, s0, v4
	v_cndmask_b32_e32 v4, v4, v5, vcc
	v_rsq_f32_e32 v4, v4
	s_waitcnt vmcnt(0)
	v_cvt_f32_f16_sdwa v19, v3 dst_sel:DWORD dst_unused:UNUSED_PAD src0_sel:WORD_1
	v_cvt_f32_f16_e32 v18, v3
	s_mul_hi_i32 s1, s12, s6
	v_mul_f32_e32 v5, 0x45800000, v4
	v_cndmask_b32_e32 v4, v4, v5, vcc
	v_mov_b32_e32 v5, v4
	;;#ASMSTART
	v_pk_mul_f32 v[6:7], v[8:9], v[4:5]
	;;#ASMEND
	;;#ASMSTART
	v_pk_mul_f32 v[8:9], v[14:15], v[4:5]
	;;#ASMEND
	;; [unrolled: 3-line block ×4, first 2 shown]
	v_cvt_f32_f16_sdwa v11, v0 dst_sel:DWORD dst_unused:UNUSED_PAD src0_sel:WORD_1
	v_cvt_f32_f16_e32 v10, v0
	v_cvt_f32_f16_sdwa v15, v1 dst_sel:DWORD dst_unused:UNUSED_PAD src0_sel:WORD_1
	v_cvt_f32_f16_e32 v14, v1
	;; [unrolled: 2-line block ×3, first 2 shown]
	;;#ASMSTART
	v_pk_mul_f32 v[2:3], v[6:7], v[10:11]
	;;#ASMEND
	;;#ASMSTART
	v_pk_mul_f32 v[6:7], v[8:9], v[14:15]
	;;#ASMEND
	;;#ASMSTART
	v_pk_mul_f32 v[0:1], v[12:13], v[0:1]
	;;#ASMEND
	;;#ASMSTART
	v_pk_mul_f32 v[4:5], v[4:5], v[18:19]
	;;#ASMEND
	s_mul_i32 s0, s12, s6
	v_cvt_f16_f32_e32 v2, v2
	v_cvt_f16_f32_e32 v3, v3
	;; [unrolled: 1-line block ×8, first 2 shown]
	s_lshl_b64 s[0:1], s[0:1], 1
	s_add_u32 s24, s14, s0
	s_addc_u32 s0, s15, s1
	s_and_b32 s25, s0, 0xffff
	v_pack_b32_f16 v0, v2, v3
	v_pack_b32_f16 v1, v6, v7
	;; [unrolled: 1-line block ×4, first 2 shown]
	buffer_store_dwordx4 v[0:3], v16, s[24:27], 0 offen
	;;#ASMSTART
	s_nop 0
	;;#ASMEND
	s_endpgm
	.section	.rodata,"a",@progbits
	.p2align	6, 0x0
	.amdhsa_kernel _ZN5aiter35fused_qk_rmsnorm_group_quant_kernelIDF16_N4opus5fp4_tELi64ELi8ELi8ELb1ELb1ELb0ELb0ELb0ELb0EEEvPT0_PvPT_S7_S7_PKS6_S9_S9_S9_S9_ffiiiiiiiiiiiii
		.amdhsa_group_segment_fixed_size 0
		.amdhsa_private_segment_fixed_size 0
		.amdhsa_kernarg_size 400
		.amdhsa_user_sgpr_count 6
		.amdhsa_user_sgpr_private_segment_buffer 1
		.amdhsa_user_sgpr_dispatch_ptr 0
		.amdhsa_user_sgpr_queue_ptr 0
		.amdhsa_user_sgpr_kernarg_segment_ptr 1
		.amdhsa_user_sgpr_dispatch_id 0
		.amdhsa_user_sgpr_flat_scratch_init 0
		.amdhsa_user_sgpr_kernarg_preload_length 0
		.amdhsa_user_sgpr_kernarg_preload_offset 0
		.amdhsa_user_sgpr_private_segment_size 0
		.amdhsa_uses_dynamic_stack 0
		.amdhsa_system_sgpr_private_segment_wavefront_offset 0
		.amdhsa_system_sgpr_workgroup_id_x 1
		.amdhsa_system_sgpr_workgroup_id_y 1
		.amdhsa_system_sgpr_workgroup_id_z 0
		.amdhsa_system_sgpr_workgroup_info 0
		.amdhsa_system_vgpr_workitem_id 0
		.amdhsa_next_free_vgpr 27
		.amdhsa_next_free_sgpr 40
		.amdhsa_accum_offset 28
		.amdhsa_reserve_vcc 1
		.amdhsa_reserve_flat_scratch 0
		.amdhsa_float_round_mode_32 0
		.amdhsa_float_round_mode_16_64 0
		.amdhsa_float_denorm_mode_32 3
		.amdhsa_float_denorm_mode_16_64 3
		.amdhsa_dx10_clamp 1
		.amdhsa_ieee_mode 1
		.amdhsa_fp16_overflow 0
		.amdhsa_tg_split 0
		.amdhsa_exception_fp_ieee_invalid_op 0
		.amdhsa_exception_fp_denorm_src 0
		.amdhsa_exception_fp_ieee_div_zero 0
		.amdhsa_exception_fp_ieee_overflow 0
		.amdhsa_exception_fp_ieee_underflow 0
		.amdhsa_exception_fp_ieee_inexact 0
		.amdhsa_exception_int_div_zero 0
	.end_amdhsa_kernel
	.section	.text._ZN5aiter35fused_qk_rmsnorm_group_quant_kernelIDF16_N4opus5fp4_tELi64ELi8ELi8ELb1ELb1ELb0ELb0ELb0ELb0EEEvPT0_PvPT_S7_S7_PKS6_S9_S9_S9_S9_ffiiiiiiiiiiiii,"axG",@progbits,_ZN5aiter35fused_qk_rmsnorm_group_quant_kernelIDF16_N4opus5fp4_tELi64ELi8ELi8ELb1ELb1ELb0ELb0ELb0ELb0EEEvPT0_PvPT_S7_S7_PKS6_S9_S9_S9_S9_ffiiiiiiiiiiiii,comdat
.Lfunc_end167:
	.size	_ZN5aiter35fused_qk_rmsnorm_group_quant_kernelIDF16_N4opus5fp4_tELi64ELi8ELi8ELb1ELb1ELb0ELb0ELb0ELb0EEEvPT0_PvPT_S7_S7_PKS6_S9_S9_S9_S9_ffiiiiiiiiiiiii, .Lfunc_end167-_ZN5aiter35fused_qk_rmsnorm_group_quant_kernelIDF16_N4opus5fp4_tELi64ELi8ELi8ELb1ELb1ELb0ELb0ELb0ELb0EEEvPT0_PvPT_S7_S7_PKS6_S9_S9_S9_S9_ffiiiiiiiiiiiii
                                        ; -- End function
	.section	.AMDGPU.csdata,"",@progbits
; Kernel info:
; codeLenInByte = 2696
; NumSgprs: 44
; NumVgprs: 27
; NumAgprs: 0
; TotalNumVgprs: 27
; ScratchSize: 0
; MemoryBound: 0
; FloatMode: 240
; IeeeMode: 1
; LDSByteSize: 0 bytes/workgroup (compile time only)
; SGPRBlocks: 5
; VGPRBlocks: 3
; NumSGPRsForWavesPerEU: 44
; NumVGPRsForWavesPerEU: 27
; AccumOffset: 28
; Occupancy: 8
; WaveLimiterHint : 0
; COMPUTE_PGM_RSRC2:SCRATCH_EN: 0
; COMPUTE_PGM_RSRC2:USER_SGPR: 6
; COMPUTE_PGM_RSRC2:TRAP_HANDLER: 0
; COMPUTE_PGM_RSRC2:TGID_X_EN: 1
; COMPUTE_PGM_RSRC2:TGID_Y_EN: 1
; COMPUTE_PGM_RSRC2:TGID_Z_EN: 0
; COMPUTE_PGM_RSRC2:TIDIG_COMP_CNT: 0
; COMPUTE_PGM_RSRC3_GFX90A:ACCUM_OFFSET: 6
; COMPUTE_PGM_RSRC3_GFX90A:TG_SPLIT: 0
	.section	.text._ZN5aiter35fused_qk_rmsnorm_group_quant_kernelItN4opus5fp4_tELi64ELi8ELi8ELb1ELb1ELb0ELb0ELb0ELb0EEEvPT0_PvPT_S7_S7_PKS6_S9_S9_S9_S9_ffiiiiiiiiiiiii,"axG",@progbits,_ZN5aiter35fused_qk_rmsnorm_group_quant_kernelItN4opus5fp4_tELi64ELi8ELi8ELb1ELb1ELb0ELb0ELb0ELb0EEEvPT0_PvPT_S7_S7_PKS6_S9_S9_S9_S9_ffiiiiiiiiiiiii,comdat
	.protected	_ZN5aiter35fused_qk_rmsnorm_group_quant_kernelItN4opus5fp4_tELi64ELi8ELi8ELb1ELb1ELb0ELb0ELb0ELb0EEEvPT0_PvPT_S7_S7_PKS6_S9_S9_S9_S9_ffiiiiiiiiiiiii ; -- Begin function _ZN5aiter35fused_qk_rmsnorm_group_quant_kernelItN4opus5fp4_tELi64ELi8ELi8ELb1ELb1ELb0ELb0ELb0ELb0EEEvPT0_PvPT_S7_S7_PKS6_S9_S9_S9_S9_ffiiiiiiiiiiiii
	.globl	_ZN5aiter35fused_qk_rmsnorm_group_quant_kernelItN4opus5fp4_tELi64ELi8ELi8ELb1ELb1ELb0ELb0ELb0ELb0EEEvPT0_PvPT_S7_S7_PKS6_S9_S9_S9_S9_ffiiiiiiiiiiiii
	.p2align	8
	.type	_ZN5aiter35fused_qk_rmsnorm_group_quant_kernelItN4opus5fp4_tELi64ELi8ELi8ELb1ELb1ELb0ELb0ELb0ELb0EEEvPT0_PvPT_S7_S7_PKS6_S9_S9_S9_S9_ffiiiiiiiiiiiii,@function
_ZN5aiter35fused_qk_rmsnorm_group_quant_kernelItN4opus5fp4_tELi64ELi8ELi8ELb1ELb1ELb0ELb0ELb0ELb0EEEvPT0_PvPT_S7_S7_PKS6_S9_S9_S9_S9_ffiiiiiiiiiiiii: ; @_ZN5aiter35fused_qk_rmsnorm_group_quant_kernelItN4opus5fp4_tELi64ELi8ELi8ELb1ELb1ELb0ELb0ELb0ELb0EEEvPT0_PvPT_S7_S7_PKS6_S9_S9_S9_S9_ffiiiiiiiiiiiii
; %bb.0:
	s_load_dwordx8 s[16:23], s[4:5], 0x50
	s_waitcnt lgkmcnt(0)
	s_cmp_ge_i32 s6, s18
	s_cbranch_scc1 .LBB168_15
; %bb.1:
	s_cmp_lg_u32 s7, 0
	s_cselect_b64 s[2:3], -1, 0
	s_cmp_eq_u32 s7, 0
	s_cselect_b64 s[26:27], -1, 0
	s_and_b64 s[0:1], s[26:27], exec
	s_load_dwordx2 s[24:25], s[4:5], 0x48
	s_load_dwordx2 s[34:35], s[4:5], 0x30
	s_load_dwordx8 s[8:15], s[4:5], 0x70
	s_cselect_b32 s7, s19, s20
	s_add_i32 s0, s7, 1
	s_lshr_b32 s1, s0, 31
	s_add_i32 s0, s0, s1
	s_lshl_b32 s0, s0, 1
	v_lshlrev_b32_e32 v1, 3, v0
	s_and_b32 s30, s0, -4
	v_cmp_gt_i32_e64 s[0:1], s7, v1
	v_mov_b32_e32 v10, 0
	v_mov_b32_e32 v11, 0
	v_mov_b32_e32 v12, 0
	v_mov_b32_e32 v13, 0
	v_mov_b32_e32 v14, 0
	v_mov_b32_e32 v15, 0
	v_mov_b32_e32 v16, 0
	v_mov_b32_e32 v17, 0
	s_waitcnt lgkmcnt(0)
	s_and_saveexec_b64 s[14:15], s[0:1]
	s_cbranch_execz .LBB168_3
; %bb.2:
	s_load_dwordx2 s[28:29], s[4:5], 0x28
	s_load_dwordx2 s[38:39], s[4:5], 0x40
	s_and_b64 s[36:37], s[26:27], exec
	s_cselect_b32 s18, s21, s22
	v_lshlrev_b32_e32 v2, 4, v0
	s_waitcnt lgkmcnt(0)
	s_cselect_b32 s21, s29, s35
	s_cselect_b32 s31, s28, s34
	s_mul_hi_i32 s29, s18, s6
	s_mul_i32 s28, s18, s6
	s_lshl_b64 s[28:29], s[28:29], 1
	s_add_u32 s36, s31, s28
	s_addc_u32 s18, s21, s29
	s_and_b64 s[26:27], s[26:27], exec
	s_mov_b32 s31, 0x20000
	s_cselect_b32 s28, s38, s24
	s_cselect_b32 s21, s39, s25
	s_and_b32 s37, s18, 0xffff
	s_mov_b32 s38, s30
	s_mov_b32 s39, s31
	s_and_b32 s29, s21, 0xffff
	buffer_load_dwordx4 v[14:17], v2, s[36:39], 0 offen glc slc
	buffer_load_dwordx4 v[10:13], v2, s[28:31], 0 offen
.LBB168_3:
	s_or_b64 exec, exec, s[14:15]
	s_and_b64 vcc, exec, s[2:3]
	s_cbranch_vccz .LBB168_7
; %bb.4:
	s_mov_b32 s36, 0
	s_mov_b32 s37, s36
	;; [unrolled: 1-line block ×8, first 2 shown]
	v_pk_mov_b32 v[2:3], s[36:37], s[36:37] op_sel:[0,1]
	v_pk_mov_b32 v[4:5], s[38:39], s[38:39] op_sel:[0,1]
	;; [unrolled: 1-line block ×4, first 2 shown]
	s_and_saveexec_b64 s[14:15], s[0:1]
	s_cbranch_execz .LBB168_6
; %bb.5:
	s_waitcnt vmcnt(1)
	v_cvt_f32_u32_sdwa v3, v14 dst_sel:DWORD dst_unused:UNUSED_PAD src0_sel:WORD_1
	v_cvt_f32_u32_sdwa v2, v14 dst_sel:DWORD dst_unused:UNUSED_PAD src0_sel:WORD_0
	v_cvt_f32_u32_sdwa v5, v15 dst_sel:DWORD dst_unused:UNUSED_PAD src0_sel:WORD_1
	v_cvt_f32_u32_sdwa v4, v15 dst_sel:DWORD dst_unused:UNUSED_PAD src0_sel:WORD_0
	;; [unrolled: 2-line block ×4, first 2 shown]
.LBB168_6:
	s_or_b64 exec, exec, s[14:15]
	s_mov_b32 s18, s17
	s_cbranch_execz .LBB168_8
	s_branch .LBB168_11
.LBB168_7:
                                        ; implicit-def: $vgpr2_vgpr3_vgpr4_vgpr5_vgpr6_vgpr7_vgpr8_vgpr9
	s_mov_b32 s18, s17
.LBB168_8:
	s_mov_b32 s36, 0
	s_mov_b32 s37, s36
	;; [unrolled: 1-line block ×8, first 2 shown]
	v_pk_mov_b32 v[2:3], s[36:37], s[36:37] op_sel:[0,1]
	v_pk_mov_b32 v[4:5], s[38:39], s[38:39] op_sel:[0,1]
	;; [unrolled: 1-line block ×4, first 2 shown]
	s_and_saveexec_b64 s[14:15], s[0:1]
	s_cbranch_execz .LBB168_10
; %bb.9:
	s_load_dwordx2 s[26:27], s[4:5], 0x38
	s_mul_hi_i32 s29, s23, s6
	s_mul_i32 s28, s23, s6
	s_lshl_b64 s[28:29], s[28:29], 1
	s_mov_b32 s31, 0x20000
	s_waitcnt lgkmcnt(0)
	s_add_u32 s28, s26, s28
	s_addc_u32 s18, s27, s29
	s_and_b32 s29, s18, 0xffff
	v_lshlrev_b32_e32 v26, 4, v0
	buffer_load_dwordx4 v[2:5], v26, s[28:31], 0 offen glc slc
	s_load_dwordx2 s[26:27], s[4:5], 0x20
	s_waitcnt vmcnt(2)
	v_cvt_f32_u32_sdwa v7, v14 dst_sel:DWORD dst_unused:UNUSED_PAD src0_sel:WORD_1
	v_cvt_f32_u32_sdwa v6, v14 dst_sel:DWORD dst_unused:UNUSED_PAD src0_sel:WORD_0
	v_cvt_f32_u32_sdwa v9, v15 dst_sel:DWORD dst_unused:UNUSED_PAD src0_sel:WORD_1
	v_cvt_f32_u32_sdwa v8, v15 dst_sel:DWORD dst_unused:UNUSED_PAD src0_sel:WORD_0
	;; [unrolled: 2-line block ×4, first 2 shown]
	s_mul_hi_i32 s29, s13, s6
	s_mul_i32 s28, s13, s6
	s_lshl_b64 s[28:29], s[28:29], 1
	s_waitcnt lgkmcnt(0)
	s_add_u32 s28, s26, s28
	s_mov_b32 s13, 0x7060302
	s_addc_u32 s18, s27, s29
	s_and_b32 s29, s18, 0xffff
	s_waitcnt vmcnt(0)
	v_cvt_f32_u32_sdwa v17, v2 dst_sel:DWORD dst_unused:UNUSED_PAD src0_sel:WORD_1
	v_cvt_f32_u32_sdwa v16, v2 dst_sel:DWORD dst_unused:UNUSED_PAD src0_sel:WORD_0
	v_cvt_f32_u32_sdwa v21, v3 dst_sel:DWORD dst_unused:UNUSED_PAD src0_sel:WORD_1
	v_cvt_f32_u32_sdwa v20, v3 dst_sel:DWORD dst_unused:UNUSED_PAD src0_sel:WORD_0
	;; [unrolled: 2-line block ×4, first 2 shown]
	v_pk_add_f32 v[2:3], v[6:7], v[16:17]
	v_pk_add_f32 v[4:5], v[8:9], v[20:21]
	;; [unrolled: 1-line block ×4, first 2 shown]
	v_perm_b32 v17, v9, v8, s13
	v_perm_b32 v16, v7, v6, s13
	;; [unrolled: 1-line block ×4, first 2 shown]
	buffer_store_dwordx4 v[14:17], v26, s[28:31], 0 offen glc slc
	;;#ASMSTART
	s_nop 0
	;;#ASMEND
.LBB168_10:
	s_or_b64 exec, exec, s[14:15]
	s_mov_b32 s18, s16
.LBB168_11:
	s_waitcnt vmcnt(1)
	v_mul_f32_e32 v14, v3, v3
	v_fmac_f32_e32 v14, v2, v2
	v_fmac_f32_e32 v14, v4, v4
	;; [unrolled: 1-line block ×7, first 2 shown]
	v_bfrev_b32_e32 v16, 0.5
	s_load_dwordx2 s[14:15], s[4:5], 0x18
	v_mov_b32_dpp v15, v14 quad_perm:[1,0,3,2] row_mask:0xf bank_mask:0xf
	v_add_f32_e32 v14, v14, v15
	s_nop 1
	v_mov_b32_dpp v15, v14 quad_perm:[2,3,0,1] row_mask:0xf bank_mask:0xf
	v_add_f32_e32 v14, v14, v15
	s_nop 1
	v_mov_b32_dpp v15, v14 row_half_mirror row_mask:0xf bank_mask:0xf
	v_add_f32_e32 v14, v14, v15
	s_nop 1
	v_mov_b32_dpp v15, v14 row_mirror row_mask:0xf bank_mask:0xf
	v_add_f32_e32 v14, v14, v15
	s_nop 1
	v_mov_b32_dpp v15, v14 row_bcast:15 row_mask:0xf bank_mask:0xf
	v_add_f32_e32 v14, v14, v15
	s_nop 1
	v_mov_b32_dpp v15, v14 row_bcast:31 row_mask:0xf bank_mask:0xf
	v_add_f32_e32 v15, v14, v15
	v_mbcnt_lo_u32_b32 v14, -1, 0
	v_mbcnt_hi_u32_b32 v14, -1, v14
	v_lshl_or_b32 v14, v14, 2, v16
	ds_bpermute_b32 v15, v14, v15
	s_and_saveexec_b64 s[26:27], s[0:1]
	s_cbranch_execnz .LBB168_16
; %bb.12:
	s_or_b64 exec, exec, s[26:27]
	s_mov_b64 s[26:27], -1
	s_and_b64 vcc, exec, s[2:3]
	s_cbranch_vccnz .LBB168_17
.LBB168_13:
	s_andn2_b64 vcc, exec, s[26:27]
	s_cbranch_vccz .LBB168_20
.LBB168_14:
	s_cmp_lt_i32 s20, 1
	s_cbranch_scc0 .LBB168_29
.LBB168_15:
	s_endpgm
.LBB168_16:
	v_cvt_f32_u32_e32 v16, s7
	s_mov_b32 s7, 0x800000
	s_waitcnt lgkmcnt(0)
	v_div_scale_f32 v17, s[28:29], v16, v16, v15
	v_rcp_f32_e32 v18, v17
	v_div_scale_f32 v19, vcc, v15, v16, v15
	v_fma_f32 v20, -v17, v18, 1.0
	v_fmac_f32_e32 v18, v20, v18
	v_mul_f32_e32 v20, v19, v18
	v_fma_f32 v21, -v17, v20, v19
	v_fmac_f32_e32 v20, v21, v18
	v_fma_f32 v17, -v17, v20, v19
	v_div_fmas_f32 v17, v17, v18, v20
	v_div_fixup_f32 v15, v17, v16, v15
	v_add_f32_e32 v15, s18, v15
	v_mul_f32_e32 v16, 0x4b800000, v15
	v_cmp_gt_f32_e32 vcc, s7, v15
	v_cndmask_b32_e32 v15, v15, v16, vcc
	v_rsq_f32_e32 v15, v15
	s_waitcnt vmcnt(0)
	v_cvt_f32_u32_sdwa v19, v11 dst_sel:DWORD dst_unused:UNUSED_PAD src0_sel:WORD_1
	v_cvt_f32_u32_sdwa v18, v11 dst_sel:DWORD dst_unused:UNUSED_PAD src0_sel:WORD_0
	v_cvt_f32_u32_sdwa v11, v12 dst_sel:DWORD dst_unused:UNUSED_PAD src0_sel:WORD_1
	v_mul_f32_e32 v16, 0x45800000, v15
	v_cndmask_b32_e32 v16, v15, v16, vcc
	v_mov_b32_e32 v17, v16
	;;#ASMSTART
	v_pk_mul_f32 v[2:3], v[2:3], v[16:17]
	;;#ASMEND
	;;#ASMSTART
	v_pk_mul_f32 v[4:5], v[4:5], v[16:17]
	;;#ASMEND
	;; [unrolled: 3-line block ×4, first 2 shown]
	v_cvt_f32_u32_sdwa v17, v10 dst_sel:DWORD dst_unused:UNUSED_PAD src0_sel:WORD_1
	v_cvt_f32_u32_sdwa v16, v10 dst_sel:DWORD dst_unused:UNUSED_PAD src0_sel:WORD_0
	v_cvt_f32_u32_sdwa v10, v12 dst_sel:DWORD dst_unused:UNUSED_PAD src0_sel:WORD_0
	v_cvt_f32_u32_sdwa v21, v13 dst_sel:DWORD dst_unused:UNUSED_PAD src0_sel:WORD_1
	v_cvt_f32_u32_sdwa v20, v13 dst_sel:DWORD dst_unused:UNUSED_PAD src0_sel:WORD_0
	;;#ASMSTART
	v_pk_mul_f32 v[2:3], v[2:3], v[16:17]
	;;#ASMEND
	;;#ASMSTART
	v_pk_mul_f32 v[4:5], v[4:5], v[18:19]
	;;#ASMEND
	;; [unrolled: 3-line block ×4, first 2 shown]
	s_or_b64 exec, exec, s[26:27]
	s_mov_b64 s[26:27], -1
	s_and_b64 vcc, exec, s[2:3]
	s_cbranch_vccz .LBB168_13
.LBB168_17:
	s_and_saveexec_b64 s[2:3], s[0:1]
	s_cbranch_execz .LBB168_19
; %bb.18:
	s_mul_hi_i32 s27, s12, s6
	s_mul_i32 s26, s12, s6
	s_lshl_b64 s[26:27], s[26:27], 1
	s_waitcnt lgkmcnt(0)
	s_add_u32 s28, s14, s26
	s_addc_u32 s7, s15, s27
	s_and_b32 s29, s7, 0xffff
	s_mov_b32 s7, 0x7060302
	s_mov_b32 s31, 0x20000
	s_waitcnt vmcnt(0)
	v_perm_b32 v10, v3, v2, s7
	v_perm_b32 v11, v5, v4, s7
	;; [unrolled: 1-line block ×4, first 2 shown]
	v_lshlrev_b32_e32 v15, 4, v0
	buffer_store_dwordx4 v[10:13], v15, s[28:31], 0 offen
	;;#ASMSTART
	s_nop 0
	;;#ASMEND
.LBB168_19:
	s_or_b64 exec, exec, s[2:3]
	s_cbranch_execnz .LBB168_14
.LBB168_20:
	s_waitcnt vmcnt(0)
	v_mov_b32_e32 v10, 0
	s_and_saveexec_b64 s[2:3], s[0:1]
	s_cbranch_execz .LBB168_22
; %bb.21:
	s_load_dwordx2 s[26:27], s[4:5], 0x10
	s_mul_hi_i32 s29, s11, s6
	s_mul_i32 s28, s11, s6
	s_lshl_b64 s[28:29], s[28:29], 1
	s_mov_b32 s31, 0x20000
	s_waitcnt lgkmcnt(0)
	s_add_u32 s28, s26, s28
	s_addc_u32 s7, s27, s29
	s_and_b32 s29, s7, 0xffff
	s_mov_b32 s7, 0x7060302
	v_perm_b32 v10, v3, v2, s7
	v_perm_b32 v11, v5, v4, s7
	;; [unrolled: 1-line block ×4, first 2 shown]
	v_lshlrev_b32_e32 v15, 4, v0
	buffer_store_dwordx4 v[10:13], v15, s[28:31], 0 offen
	;;#ASMSTART
	s_nop 0
	;;#ASMEND
	s_nop 0
	v_mov_b32_e32 v10, 0x2edbe6ff
.LBB168_22:
	s_or_b64 exec, exec, s[2:3]
	s_and_saveexec_b64 s[2:3], s[0:1]
	s_cbranch_execz .LBB168_24
; %bb.23:
	v_and_b32_e32 v2, 0x7fffffff, v2
	v_and_b32_e32 v3, 0x7fffffff, v3
	;;#ASMSTART
	v_max3_f32 v2, v10, v2, v3

	;;#ASMEND
	v_and_b32_e32 v3, 0x7fffffff, v4
	v_and_b32_e32 v4, 0x7fffffff, v5
	;;#ASMSTART
	v_max3_f32 v2, v2, v3, v4

	;;#ASMEND
	;; [unrolled: 6-line block ×4, first 2 shown]
.LBB168_24:
	s_or_b64 exec, exec, s[2:3]
	;;#ASMSTART
	v_max_f32 v2, v10, v10 quad_perm:[1,0,3,2] row_mask:0xf bank_mask:0xf bound_ctrl:1
	;;#ASMEND
	;;#ASMSTART
	v_max_f32 v3, v2, v2 quad_perm:[2,3,0,1] row_mask:0xf bank_mask:0xf bound_ctrl:1
	;;#ASMEND
	;;#ASMSTART
	v_max_f32 v2, v3, v3 row_half_mirror row_mask:0xf bank_mask:0xf bound_ctrl:1
	;;#ASMEND
	v_and_b32_e32 v3, 7, v0
	v_cmp_eq_u32_e32 vcc, 0, v3
	v_cmp_gt_i32_e64 s[2:3], s19, v1
	s_and_b64 s[26:27], vcc, s[2:3]
	s_and_saveexec_b64 s[2:3], s[26:27]
	s_cbranch_execz .LBB168_26
; %bb.25:
	s_load_dwordx2 s[26:27], s[4:5], 0x8
	v_mul_f32_e32 v2, 0x3e2aaaab, v2
	v_lshrrev_b32_e32 v3, 23, v2
	v_and_b32_e32 v4, 0x7f800000, v2
	v_and_b32_e32 v2, 0x7fffff, v2
	v_cmp_ne_u32_e32 vcc, 0, v2
	s_mul_hi_i32 s11, s9, s6
	s_mul_i32 s9, s9, s6
	s_mov_b32 s7, 0x7f800000
	v_addc_co_u32_e32 v2, vcc, 0, v3, vcc
	s_waitcnt lgkmcnt(0)
	s_add_u32 s26, s26, s9
	v_cmp_ne_u32_e32 vcc, s7, v4
	s_addc_u32 s27, s27, s11
	v_lshrrev_b32_e32 v5, 3, v0
	v_cndmask_b32_e32 v4, -1, v2, vcc
	v_pk_mov_b32 v[2:3], s[26:27], s[26:27] op_sel:[0,1]
	v_mad_i64_i32 v[2:3], s[10:11], s10, v5, v[2:3]
	global_store_byte v[2:3], v4, off
.LBB168_26:
	s_or_b64 exec, exec, s[2:3]
	s_and_saveexec_b64 s[2:3], s[0:1]
	s_cbranch_execz .LBB168_28
; %bb.27:
	s_load_dwordx2 s[0:1], s[4:5], 0x0
	s_mul_hi_i32 s7, s8, s6
	s_mul_i32 s8, s8, s6
	v_lshlrev_b32_e32 v2, 2, v0
	s_mov_b32 s11, 0x20000
	s_waitcnt lgkmcnt(0)
	s_add_u32 s8, s0, s8
	s_addc_u32 s0, s1, s7
	s_lshr_b32 s1, s19, 31
	s_add_i32 s1, s19, s1
	s_ashr_i32 s1, s1, 1
	s_add_i32 s1, s1, 3
	s_ashr_i32 s7, s1, 31
	s_lshr_b32 s7, s7, 30
	s_add_i32 s1, s1, s7
	s_and_b32 s10, s1, -4
	s_and_b32 s9, s0, 0xffff
	v_mov_b32_e32 v3, 0
	buffer_store_dword v3, v2, s[8:11], 0 offen
	;;#ASMSTART
	s_nop 0
	;;#ASMEND
.LBB168_28:
	s_or_b64 exec, exec, s[2:3]
	s_cmp_lt_i32 s20, 1
	s_cbranch_scc1 .LBB168_15
.LBB168_29:
	s_load_dword s0, s[4:5], 0x94
	s_waitcnt lgkmcnt(0)
	s_cmp_lg_u32 s0, 1
	s_cbranch_scc1 .LBB168_15
; %bb.30:
	s_lshl_b32 s0, s20, 1
	s_add_i32 s0, s0, 2
	v_cmp_gt_u32_e32 vcc, s20, v1
	s_and_b32 s26, s0, -4
	v_mov_b32_e32 v4, 0
	s_waitcnt vmcnt(0)
	v_lshlrev_b32_e32 v12, 4, v0
	v_mov_b32_e32 v5, 0
	v_mov_b32_e32 v6, 0
	;; [unrolled: 1-line block ×7, first 2 shown]
	s_barrier
	s_and_saveexec_b64 s[0:1], vcc
	s_cbranch_execz .LBB168_32
; %bb.31:
	s_mul_hi_i32 s3, s22, s6
	s_mul_i32 s2, s22, s6
	s_and_b32 s25, s25, 0xffff
	s_lshl_b64 s[2:3], s[2:3], 1
	s_add_u32 s8, s34, s2
	s_mov_b32 s27, 0x20000
	s_addc_u32 s2, s35, s3
	s_and_b32 s9, s2, 0xffff
	s_mov_b32 s10, s26
	s_mov_b32 s11, s27
	buffer_load_dwordx4 v[4:7], v12, s[8:11], 0 offen glc slc
	buffer_load_dwordx4 v[0:3], v12, s[24:27], 0 offen
.LBB168_32:
	s_or_b64 exec, exec, s[0:1]
	s_waitcnt vmcnt(1)
	v_cvt_f32_u32_sdwa v11, v4 dst_sel:DWORD dst_unused:UNUSED_PAD src0_sel:WORD_1
	v_cvt_f32_u32_sdwa v10, v4 dst_sel:DWORD dst_unused:UNUSED_PAD src0_sel:WORD_0
	v_cvt_f32_u32_sdwa v4, v7 dst_sel:DWORD dst_unused:UNUSED_PAD src0_sel:WORD_1
	v_cvt_f32_u32_sdwa v7, v7 dst_sel:DWORD dst_unused:UNUSED_PAD src0_sel:WORD_0
	;; [unrolled: 2-line block ×4, first 2 shown]
	v_cndmask_b32_e32 v11, 0, v11, vcc
	v_cndmask_b32_e32 v5, 0, v4, vcc
	;; [unrolled: 1-line block ×5, first 2 shown]
	v_mul_f32_e32 v13, v11, v11
	v_cndmask_b32_e32 v8, 0, v8, vcc
	v_fmac_f32_e32 v13, v10, v10
	v_cndmask_b32_e32 v9, 0, v9, vcc
	v_fmac_f32_e32 v13, v8, v8
	;; [unrolled: 2-line block ×3, first 2 shown]
	v_fmac_f32_e32 v13, v6, v6
	v_fmac_f32_e32 v13, v7, v7
	;; [unrolled: 1-line block ×4, first 2 shown]
	s_nop 1
	v_mov_b32_dpp v15, v13 quad_perm:[1,0,3,2] row_mask:0xf bank_mask:0xf
	v_add_f32_e32 v13, v13, v15
	s_nop 1
	v_mov_b32_dpp v15, v13 quad_perm:[2,3,0,1] row_mask:0xf bank_mask:0xf
	v_add_f32_e32 v13, v13, v15
	s_nop 1
	v_mov_b32_dpp v15, v13 row_half_mirror row_mask:0xf bank_mask:0xf
	v_add_f32_e32 v13, v13, v15
	s_nop 1
	v_mov_b32_dpp v15, v13 row_mirror row_mask:0xf bank_mask:0xf
	v_add_f32_e32 v13, v13, v15
	s_nop 1
	v_mov_b32_dpp v15, v13 row_bcast:15 row_mask:0xf bank_mask:0xf
	v_add_f32_e32 v13, v13, v15
	s_nop 1
	v_mov_b32_dpp v15, v13 row_bcast:31 row_mask:0xf bank_mask:0xf
	v_add_f32_e32 v13, v13, v15
	ds_bpermute_b32 v13, v14, v13
	s_and_saveexec_b64 s[0:1], vcc
	s_cbranch_execz .LBB168_15
; %bb.33:
	v_cvt_f32_u32_e32 v14, s20
	s_mov_b32 s27, 0x20000
	s_waitcnt lgkmcnt(0)
	v_div_scale_f32 v15, s[0:1], v14, v14, v13
	v_rcp_f32_e32 v16, v15
	v_div_scale_f32 v17, vcc, v13, v14, v13
	s_mov_b32 s0, 0x800000
	v_fma_f32 v18, -v15, v16, 1.0
	v_fmac_f32_e32 v16, v18, v16
	v_mul_f32_e32 v18, v17, v16
	v_fma_f32 v19, -v15, v18, v17
	v_fmac_f32_e32 v18, v19, v16
	v_fma_f32 v15, -v15, v18, v17
	v_div_fmas_f32 v15, v15, v16, v18
	v_div_fixup_f32 v13, v15, v14, v13
	v_add_f32_e32 v13, s17, v13
	v_mul_f32_e32 v14, 0x4b800000, v13
	v_cmp_gt_f32_e32 vcc, s0, v13
	v_cndmask_b32_e32 v13, v13, v14, vcc
	v_rsq_f32_e32 v13, v13
	s_mul_hi_i32 s1, s12, s6
	s_mul_i32 s0, s12, s6
	s_lshl_b64 s[0:1], s[0:1], 1
	v_mul_f32_e32 v14, 0x45800000, v13
	v_cndmask_b32_e32 v14, v13, v14, vcc
	s_add_u32 s24, s14, s0
	v_mov_b32_e32 v15, v14
	s_addc_u32 s0, s15, s1
	;;#ASMSTART
	v_pk_mul_f32 v[10:11], v[10:11], v[14:15]
	;;#ASMEND
	;;#ASMSTART
	v_pk_mul_f32 v[8:9], v[8:9], v[14:15]
	;;#ASMEND
	;; [unrolled: 3-line block ×4, first 2 shown]
	s_waitcnt vmcnt(0)
	v_cvt_f32_u32_sdwa v15, v0 dst_sel:DWORD dst_unused:UNUSED_PAD src0_sel:WORD_1
	v_cvt_f32_u32_sdwa v14, v0 dst_sel:DWORD dst_unused:UNUSED_PAD src0_sel:WORD_0
	v_cvt_f32_u32_sdwa v17, v1 dst_sel:DWORD dst_unused:UNUSED_PAD src0_sel:WORD_1
	v_cvt_f32_u32_sdwa v16, v1 dst_sel:DWORD dst_unused:UNUSED_PAD src0_sel:WORD_0
	;; [unrolled: 2-line block ×4, first 2 shown]
	;;#ASMSTART
	v_pk_mul_f32 v[2:3], v[10:11], v[14:15]
	;;#ASMEND
	s_and_b32 s25, s0, 0xffff
	s_mov_b32 s0, 0x7060302
	;;#ASMSTART
	v_pk_mul_f32 v[8:9], v[8:9], v[16:17]
	;;#ASMEND
	;;#ASMSTART
	v_pk_mul_f32 v[6:7], v[6:7], v[0:1]
	;;#ASMEND
	;;#ASMSTART
	v_pk_mul_f32 v[4:5], v[4:5], v[18:19]
	;;#ASMEND
	v_perm_b32 v0, v3, v2, s0
	v_perm_b32 v1, v9, v8, s0
	v_perm_b32 v2, v7, v6, s0
	v_perm_b32 v3, v5, v4, s0
	buffer_store_dwordx4 v[0:3], v12, s[24:27], 0 offen
	;;#ASMSTART
	s_nop 0
	;;#ASMEND
	s_endpgm
	.section	.rodata,"a",@progbits
	.p2align	6, 0x0
	.amdhsa_kernel _ZN5aiter35fused_qk_rmsnorm_group_quant_kernelItN4opus5fp4_tELi64ELi8ELi8ELb1ELb1ELb0ELb0ELb0ELb0EEEvPT0_PvPT_S7_S7_PKS6_S9_S9_S9_S9_ffiiiiiiiiiiiii
		.amdhsa_group_segment_fixed_size 0
		.amdhsa_private_segment_fixed_size 0
		.amdhsa_kernarg_size 400
		.amdhsa_user_sgpr_count 6
		.amdhsa_user_sgpr_private_segment_buffer 1
		.amdhsa_user_sgpr_dispatch_ptr 0
		.amdhsa_user_sgpr_queue_ptr 0
		.amdhsa_user_sgpr_kernarg_segment_ptr 1
		.amdhsa_user_sgpr_dispatch_id 0
		.amdhsa_user_sgpr_flat_scratch_init 0
		.amdhsa_user_sgpr_kernarg_preload_length 0
		.amdhsa_user_sgpr_kernarg_preload_offset 0
		.amdhsa_user_sgpr_private_segment_size 0
		.amdhsa_uses_dynamic_stack 0
		.amdhsa_system_sgpr_private_segment_wavefront_offset 0
		.amdhsa_system_sgpr_workgroup_id_x 1
		.amdhsa_system_sgpr_workgroup_id_y 1
		.amdhsa_system_sgpr_workgroup_id_z 0
		.amdhsa_system_sgpr_workgroup_info 0
		.amdhsa_system_vgpr_workitem_id 0
		.amdhsa_next_free_vgpr 27
		.amdhsa_next_free_sgpr 44
		.amdhsa_accum_offset 28
		.amdhsa_reserve_vcc 1
		.amdhsa_reserve_flat_scratch 0
		.amdhsa_float_round_mode_32 0
		.amdhsa_float_round_mode_16_64 0
		.amdhsa_float_denorm_mode_32 3
		.amdhsa_float_denorm_mode_16_64 3
		.amdhsa_dx10_clamp 1
		.amdhsa_ieee_mode 1
		.amdhsa_fp16_overflow 0
		.amdhsa_tg_split 0
		.amdhsa_exception_fp_ieee_invalid_op 0
		.amdhsa_exception_fp_denorm_src 0
		.amdhsa_exception_fp_ieee_div_zero 0
		.amdhsa_exception_fp_ieee_overflow 0
		.amdhsa_exception_fp_ieee_underflow 0
		.amdhsa_exception_fp_ieee_inexact 0
		.amdhsa_exception_int_div_zero 0
	.end_amdhsa_kernel
	.section	.text._ZN5aiter35fused_qk_rmsnorm_group_quant_kernelItN4opus5fp4_tELi64ELi8ELi8ELb1ELb1ELb0ELb0ELb0ELb0EEEvPT0_PvPT_S7_S7_PKS6_S9_S9_S9_S9_ffiiiiiiiiiiiii,"axG",@progbits,_ZN5aiter35fused_qk_rmsnorm_group_quant_kernelItN4opus5fp4_tELi64ELi8ELi8ELb1ELb1ELb0ELb0ELb0ELb0EEEvPT0_PvPT_S7_S7_PKS6_S9_S9_S9_S9_ffiiiiiiiiiiiii,comdat
.Lfunc_end168:
	.size	_ZN5aiter35fused_qk_rmsnorm_group_quant_kernelItN4opus5fp4_tELi64ELi8ELi8ELb1ELb1ELb0ELb0ELb0ELb0EEEvPT0_PvPT_S7_S7_PKS6_S9_S9_S9_S9_ffiiiiiiiiiiiii, .Lfunc_end168-_ZN5aiter35fused_qk_rmsnorm_group_quant_kernelItN4opus5fp4_tELi64ELi8ELi8ELb1ELb1ELb0ELb0ELb0ELb0EEEvPT0_PvPT_S7_S7_PKS6_S9_S9_S9_S9_ffiiiiiiiiiiiii
                                        ; -- End function
	.section	.AMDGPU.csdata,"",@progbits
; Kernel info:
; codeLenInByte = 2744
; NumSgprs: 48
; NumVgprs: 27
; NumAgprs: 0
; TotalNumVgprs: 27
; ScratchSize: 0
; MemoryBound: 0
; FloatMode: 240
; IeeeMode: 1
; LDSByteSize: 0 bytes/workgroup (compile time only)
; SGPRBlocks: 5
; VGPRBlocks: 3
; NumSGPRsForWavesPerEU: 48
; NumVGPRsForWavesPerEU: 27
; AccumOffset: 28
; Occupancy: 8
; WaveLimiterHint : 0
; COMPUTE_PGM_RSRC2:SCRATCH_EN: 0
; COMPUTE_PGM_RSRC2:USER_SGPR: 6
; COMPUTE_PGM_RSRC2:TRAP_HANDLER: 0
; COMPUTE_PGM_RSRC2:TGID_X_EN: 1
; COMPUTE_PGM_RSRC2:TGID_Y_EN: 1
; COMPUTE_PGM_RSRC2:TGID_Z_EN: 0
; COMPUTE_PGM_RSRC2:TIDIG_COMP_CNT: 0
; COMPUTE_PGM_RSRC3_GFX90A:ACCUM_OFFSET: 6
; COMPUTE_PGM_RSRC3_GFX90A:TG_SPLIT: 0
	.section	.text._ZN5aiter35fused_qk_rmsnorm_group_quant_kernelIDF16_DB8_Li64ELi8ELi8ELb1ELb0ELb1ELb0ELb0ELb0EEEvPT0_PvPT_S6_S6_PKS5_S8_S8_S8_S8_ffiiiiiiiiiiiii,"axG",@progbits,_ZN5aiter35fused_qk_rmsnorm_group_quant_kernelIDF16_DB8_Li64ELi8ELi8ELb1ELb0ELb1ELb0ELb0ELb0EEEvPT0_PvPT_S6_S6_PKS5_S8_S8_S8_S8_ffiiiiiiiiiiiii,comdat
	.protected	_ZN5aiter35fused_qk_rmsnorm_group_quant_kernelIDF16_DB8_Li64ELi8ELi8ELb1ELb0ELb1ELb0ELb0ELb0EEEvPT0_PvPT_S6_S6_PKS5_S8_S8_S8_S8_ffiiiiiiiiiiiii ; -- Begin function _ZN5aiter35fused_qk_rmsnorm_group_quant_kernelIDF16_DB8_Li64ELi8ELi8ELb1ELb0ELb1ELb0ELb0ELb0EEEvPT0_PvPT_S6_S6_PKS5_S8_S8_S8_S8_ffiiiiiiiiiiiii
	.globl	_ZN5aiter35fused_qk_rmsnorm_group_quant_kernelIDF16_DB8_Li64ELi8ELi8ELb1ELb0ELb1ELb0ELb0ELb0EEEvPT0_PvPT_S6_S6_PKS5_S8_S8_S8_S8_ffiiiiiiiiiiiii
	.p2align	8
	.type	_ZN5aiter35fused_qk_rmsnorm_group_quant_kernelIDF16_DB8_Li64ELi8ELi8ELb1ELb0ELb1ELb0ELb0ELb0EEEvPT0_PvPT_S6_S6_PKS5_S8_S8_S8_S8_ffiiiiiiiiiiiii,@function
_ZN5aiter35fused_qk_rmsnorm_group_quant_kernelIDF16_DB8_Li64ELi8ELi8ELb1ELb0ELb1ELb0ELb0ELb0EEEvPT0_PvPT_S6_S6_PKS5_S8_S8_S8_S8_ffiiiiiiiiiiiii: ; @_ZN5aiter35fused_qk_rmsnorm_group_quant_kernelIDF16_DB8_Li64ELi8ELi8ELb1ELb0ELb1ELb0ELb0ELb0EEEvPT0_PvPT_S6_S6_PKS5_S8_S8_S8_S8_ffiiiiiiiiiiiii
; %bb.0:
	s_load_dwordx8 s[8:15], s[4:5], 0x50
	s_waitcnt lgkmcnt(0)
	s_cmp_ge_i32 s6, s10
	s_cbranch_scc1 .LBB169_15
; %bb.1:
	s_cmp_lg_u32 s7, 0
	s_cselect_b64 s[2:3], -1, 0
	s_cmp_eq_u32 s7, 0
	s_cselect_b64 s[24:25], -1, 0
	s_and_b64 s[0:1], s[24:25], exec
	s_load_dwordx2 s[16:17], s[4:5], 0x48
	s_load_dwordx2 s[30:31], s[4:5], 0x30
	s_load_dwordx4 s[20:23], s[4:5], 0x70
	s_cselect_b32 s7, s11, s12
	s_add_i32 s0, s7, 1
	s_lshr_b32 s1, s0, 31
	s_add_i32 s0, s0, s1
	s_lshl_b32 s0, s0, 1
	v_lshlrev_b32_e32 v1, 3, v0
	s_and_b32 s26, s0, -4
	v_cmp_gt_i32_e64 s[0:1], s7, v1
	v_mov_b32_e32 v20, 0
	v_mov_b32_e32 v21, 0
	;; [unrolled: 1-line block ×8, first 2 shown]
	s_and_saveexec_b64 s[18:19], s[0:1]
	s_cbranch_execz .LBB169_3
; %bb.2:
	s_load_dwordx2 s[28:29], s[4:5], 0x28
	s_load_dwordx2 s[34:35], s[4:5], 0x40
	s_and_b64 s[36:37], s[24:25], exec
	s_cselect_b32 s10, s13, s14
	s_mov_b32 s27, 0x20000
	s_waitcnt lgkmcnt(0)
	s_cselect_b32 s13, s29, s31
	s_cselect_b32 s23, s28, s30
	s_mul_hi_i32 s29, s10, s6
	s_mul_i32 s28, s10, s6
	s_lshl_b64 s[28:29], s[28:29], 1
	s_add_u32 s36, s23, s28
	s_addc_u32 s10, s13, s29
	s_and_b64 s[24:25], s[24:25], exec
	s_cselect_b32 s24, s34, s16
	s_cselect_b32 s13, s35, s17
	v_lshlrev_b32_e32 v2, 4, v0
	s_and_b32 s37, s10, 0xffff
	s_mov_b32 s38, s26
	s_mov_b32 s39, s27
	s_and_b32 s25, s13, 0xffff
	buffer_load_dwordx4 v[24:27], v2, s[36:39], 0 offen glc slc
	buffer_load_dwordx4 v[20:23], v2, s[24:27], 0 offen
.LBB169_3:
	s_or_b64 exec, exec, s[18:19]
	s_load_dwordx2 s[28:29], s[4:5], 0x80
	s_and_b64 vcc, exec, s[2:3]
	s_cbranch_vccz .LBB169_7
; %bb.4:
	v_mov_b32_e32 v29, 0
	v_mov_b32_e32 v28, 0
	;; [unrolled: 1-line block ×8, first 2 shown]
	s_and_saveexec_b64 s[18:19], s[0:1]
	s_cbranch_execz .LBB169_6
; %bb.5:
	s_waitcnt vmcnt(1)
	v_cvt_f32_f16_sdwa v11, v24 dst_sel:DWORD dst_unused:UNUSED_PAD src0_sel:WORD_1
	v_cvt_f32_f16_e32 v10, v24
	v_cvt_f32_f16_sdwa v15, v25 dst_sel:DWORD dst_unused:UNUSED_PAD src0_sel:WORD_1
	v_cvt_f32_f16_e32 v14, v25
	;; [unrolled: 2-line block ×4, first 2 shown]
.LBB169_6:
	s_or_b64 exec, exec, s[18:19]
	s_mov_b32 s10, s9
	s_cbranch_execz .LBB169_8
	s_branch .LBB169_11
.LBB169_7:
                                        ; implicit-def: $vgpr10_vgpr11_vgpr12_vgpr13_vgpr14_vgpr15_vgpr16_vgpr17
                                        ; implicit-def: $vgpr29
                                        ; implicit-def: $vgpr12_vgpr13_vgpr14_vgpr15_vgpr16_vgpr17_vgpr18_vgpr19
                                        ; implicit-def: $vgpr2_vgpr3_vgpr4_vgpr5_vgpr6_vgpr7_vgpr8_vgpr9
	s_mov_b32 s10, s9
.LBB169_8:
	v_mov_b32_e32 v29, 0
	v_mov_b32_e32 v28, 0
	;; [unrolled: 1-line block ×8, first 2 shown]
	s_and_saveexec_b64 s[18:19], s[0:1]
	s_cbranch_execz .LBB169_10
; %bb.9:
	s_load_dwordx2 s[24:25], s[4:5], 0x38
	s_mul_hi_i32 s35, s15, s6
	s_mul_i32 s34, s15, s6
	s_lshl_b64 s[34:35], s[34:35], 1
	s_mov_b32 s27, 0x20000
	s_waitcnt lgkmcnt(0)
	s_add_u32 s24, s24, s34
	s_addc_u32 s10, s25, s35
	s_and_b32 s25, s10, 0xffff
	v_lshlrev_b32_e32 v30, 4, v0
	buffer_load_dwordx4 v[2:5], v30, s[24:27], 0 offen glc slc
	s_waitcnt vmcnt(2)
	v_cvt_f32_f16_sdwa v7, v24 dst_sel:DWORD dst_unused:UNUSED_PAD src0_sel:WORD_1
	v_cvt_f32_f16_e32 v6, v24
	v_cvt_f32_f16_sdwa v9, v25 dst_sel:DWORD dst_unused:UNUSED_PAD src0_sel:WORD_1
	v_cvt_f32_f16_e32 v8, v25
	;; [unrolled: 2-line block ×4, first 2 shown]
	s_load_dwordx2 s[24:25], s[4:5], 0x20
	s_mul_hi_i32 s35, s29, s6
	s_mul_i32 s34, s29, s6
	s_lshl_b64 s[34:35], s[34:35], 1
	s_waitcnt lgkmcnt(0)
	s_add_u32 s24, s24, s34
	s_addc_u32 s10, s25, s35
	s_and_b32 s25, s10, 0xffff
	s_waitcnt vmcnt(0)
	v_cvt_f32_f16_e32 v10, v2
	v_cvt_f32_f16_sdwa v11, v2 dst_sel:DWORD dst_unused:UNUSED_PAD src0_sel:WORD_1
	v_cvt_f32_f16_e32 v2, v3
	v_cvt_f32_f16_sdwa v3, v3 dst_sel:DWORD dst_unused:UNUSED_PAD src0_sel:WORD_1
	;; [unrolled: 2-line block ×4, first 2 shown]
	v_pk_add_f32 v[10:11], v[6:7], v[10:11]
	v_pk_add_f32 v[14:15], v[8:9], v[2:3]
	;; [unrolled: 1-line block ×4, first 2 shown]
	v_cvt_f16_f32_e32 v2, v11
	v_cvt_f16_f32_e32 v3, v15
	;; [unrolled: 1-line block ×8, first 2 shown]
	v_pack_b32_f16 v5, v8, v5
	v_pack_b32_f16 v4, v9, v4
	;; [unrolled: 1-line block ×4, first 2 shown]
	buffer_store_dwordx4 v[2:5], v30, s[24:27], 0 offen glc slc
	;;#ASMSTART
	s_nop 0
	;;#ASMEND
.LBB169_10:
	s_or_b64 exec, exec, s[18:19]
	s_mov_b32 s10, s8
.LBB169_11:
	v_mul_f32_e32 v2, v11, v11
	v_fmac_f32_e32 v2, v10, v10
	v_fmac_f32_e32 v2, v14, v14
	;; [unrolled: 1-line block ×7, first 2 shown]
	v_bfrev_b32_e32 v4, 0.5
	s_load_dwordx2 s[34:35], s[4:5], 0x18
	v_mov_b32_dpp v3, v2 quad_perm:[1,0,3,2] row_mask:0xf bank_mask:0xf
	v_add_f32_e32 v2, v2, v3
	s_nop 1
	v_mov_b32_dpp v3, v2 quad_perm:[2,3,0,1] row_mask:0xf bank_mask:0xf
	v_add_f32_e32 v2, v2, v3
	s_nop 1
	v_mov_b32_dpp v3, v2 row_half_mirror row_mask:0xf bank_mask:0xf
	v_add_f32_e32 v2, v2, v3
	s_nop 1
	v_mov_b32_dpp v3, v2 row_mirror row_mask:0xf bank_mask:0xf
	v_add_f32_e32 v2, v2, v3
	s_nop 1
	v_mov_b32_dpp v3, v2 row_bcast:15 row_mask:0xf bank_mask:0xf
	v_add_f32_e32 v2, v2, v3
	s_nop 1
	v_mov_b32_dpp v3, v2 row_bcast:31 row_mask:0xf bank_mask:0xf
	v_add_f32_e32 v2, v2, v3
	v_mbcnt_lo_u32_b32 v3, -1, 0
	v_mbcnt_hi_u32_b32 v3, -1, v3
	v_lshl_or_b32 v16, v3, 2, v4
	ds_bpermute_b32 v2, v16, v2
	s_and_saveexec_b64 s[18:19], s[0:1]
	s_cbranch_execnz .LBB169_16
; %bb.12:
	s_or_b64 exec, exec, s[18:19]
	s_mov_b64 s[18:19], -1
	s_and_b64 vcc, exec, s[2:3]
	s_cbranch_vccnz .LBB169_17
.LBB169_13:
	s_andn2_b64 vcc, exec, s[18:19]
	s_cbranch_vccz .LBB169_20
.LBB169_14:
	s_cmp_lt_i32 s12, 1
	s_cbranch_scc0 .LBB169_27
.LBB169_15:
	s_endpgm
.LBB169_16:
	v_cvt_f32_u32_e32 v3, s7
	s_mov_b32 s7, 0x800000
	s_waitcnt vmcnt(0)
	v_cvt_f32_f16_sdwa v19, v23 dst_sel:DWORD dst_unused:UNUSED_PAD src0_sel:WORD_1
	v_cvt_f32_f16_e32 v18, v23
	s_waitcnt lgkmcnt(0)
	v_div_scale_f32 v4, s[24:25], v3, v3, v2
	v_rcp_f32_e32 v5, v4
	v_div_scale_f32 v8, vcc, v2, v3, v2
	v_fma_f32 v9, -v4, v5, 1.0
	v_fmac_f32_e32 v5, v9, v5
	v_mul_f32_e32 v9, v8, v5
	v_fma_f32 v12, -v4, v9, v8
	v_fmac_f32_e32 v9, v12, v5
	v_fma_f32 v4, -v4, v9, v8
	v_div_fmas_f32 v4, v4, v5, v9
	v_div_fixup_f32 v2, v4, v3, v2
	v_add_f32_e32 v2, s10, v2
	v_mul_f32_e32 v3, 0x4b800000, v2
	v_cmp_gt_f32_e32 vcc, s7, v2
	v_cndmask_b32_e32 v2, v2, v3, vcc
	v_rsq_f32_e32 v2, v2
	v_cvt_f32_f16_sdwa v3, v20 dst_sel:DWORD dst_unused:UNUSED_PAD src0_sel:WORD_1
	v_mul_f32_e32 v4, 0x45800000, v2
	v_cndmask_b32_e32 v4, v2, v4, vcc
	v_cvt_f32_f16_e32 v2, v20
	v_mov_b32_e32 v5, v4
	;;#ASMSTART
	v_pk_mul_f32 v[8:9], v[10:11], v[4:5]
	;;#ASMEND
	;;#ASMSTART
	v_pk_mul_f32 v[12:13], v[14:15], v[4:5]
	;;#ASMEND
	v_cvt_f32_f16_sdwa v15, v21 dst_sel:DWORD dst_unused:UNUSED_PAD src0_sel:WORD_1
	v_cvt_f32_f16_e32 v14, v21
	;;#ASMSTART
	v_pk_mul_f32 v[6:7], v[6:7], v[4:5]
	;;#ASMEND
	;;#ASMSTART
	v_pk_mul_f32 v[4:5], v[28:29], v[4:5]
	;;#ASMEND
	v_pk_add_f32 v[2:3], v[2:3], 1.0 op_sel_hi:[1,0]
	;;#ASMSTART
	v_pk_mul_f32 v[10:11], v[8:9], v[2:3]
	;;#ASMEND
	v_cvt_f32_f16_sdwa v9, v22 dst_sel:DWORD dst_unused:UNUSED_PAD src0_sel:WORD_1
	v_cvt_f32_f16_e32 v8, v22
	v_pk_add_f32 v[2:3], v[14:15], 1.0 op_sel_hi:[1,0]
	;;#ASMSTART
	v_pk_mul_f32 v[14:15], v[12:13], v[2:3]
	;;#ASMEND
	v_pk_add_f32 v[2:3], v[8:9], 1.0 op_sel_hi:[1,0]
	;;#ASMSTART
	v_pk_mul_f32 v[6:7], v[6:7], v[2:3]
	;;#ASMEND
	;; [unrolled: 4-line block ×3, first 2 shown]
	s_or_b64 exec, exec, s[18:19]
	s_mov_b64 s[18:19], -1
	s_and_b64 vcc, exec, s[2:3]
	s_cbranch_vccz .LBB169_13
.LBB169_17:
	s_and_saveexec_b64 s[2:3], s[0:1]
	s_cbranch_execz .LBB169_19
; %bb.18:
	s_waitcnt lgkmcnt(0)
	s_mul_hi_i32 s19, s28, s6
	s_mul_i32 s18, s28, s6
	v_cvt_f16_f32_e32 v2, v10
	v_cvt_f16_f32_e32 v3, v14
	;; [unrolled: 1-line block ×8, first 2 shown]
	s_lshl_b64 s[18:19], s[18:19], 1
	s_add_u32 s24, s34, s18
	s_addc_u32 s7, s35, s19
	s_and_b32 s25, s7, 0xffff
	s_mov_b32 s27, 0x20000
	v_pack_b32_f16 v5, v5, v8
	v_pack_b32_f16 v4, v4, v9
	;; [unrolled: 1-line block ×4, first 2 shown]
	v_lshlrev_b32_e32 v8, 4, v0
	buffer_store_dwordx4 v[2:5], v8, s[24:27], 0 offen
	;;#ASMSTART
	s_nop 0
	;;#ASMEND
.LBB169_19:
	s_or_b64 exec, exec, s[2:3]
	s_cbranch_execnz .LBB169_14
.LBB169_20:
	s_waitcnt lgkmcnt(0)
	v_mov_b32_e32 v2, 0
	s_and_saveexec_b64 s[2:3], s[0:1]
	s_cbranch_execz .LBB169_22
; %bb.21:
	v_and_b32_e32 v2, 0x7fffffff, v10
	v_and_b32_e32 v3, 0x7fffffff, v11
	v_mov_b32_e32 v4, 0x2edbe6ff
	;;#ASMSTART
	v_max3_f32 v2, v4, v2, v3

	;;#ASMEND
	v_and_b32_e32 v3, 0x7fffffff, v14
	v_and_b32_e32 v4, 0x7fffffff, v15
	;;#ASMSTART
	v_max3_f32 v2, v2, v3, v4

	;;#ASMEND
	v_and_b32_e32 v3, 0x7fffffff, v6
	v_and_b32_e32 v4, 0x7fffffff, v7
	;; [unrolled: 6-line block ×3, first 2 shown]
	;;#ASMSTART
	v_max3_f32 v2, v2, v3, v4

	;;#ASMEND
.LBB169_22:
	s_or_b64 exec, exec, s[2:3]
	;;#ASMSTART
	v_max_f32 v3, v2, v2 quad_perm:[1,0,3,2] row_mask:0xf bank_mask:0xf bound_ctrl:1
	;;#ASMEND
	;;#ASMSTART
	v_max_f32 v2, v3, v3 quad_perm:[2,3,0,1] row_mask:0xf bank_mask:0xf bound_ctrl:1
	;;#ASMEND
	;;#ASMSTART
	v_max_f32 v3, v2, v2 row_half_mirror row_mask:0xf bank_mask:0xf bound_ctrl:1
	;;#ASMEND
	v_mul_f32_e32 v2, 0x3b124925, v3
	v_and_b32_e32 v3, 7, v0
	v_cmp_eq_u32_e32 vcc, 0, v3
	v_cmp_gt_i32_e64 s[2:3], s11, v1
	s_and_b64 s[18:19], vcc, s[2:3]
	s_and_saveexec_b64 s[2:3], s[18:19]
	s_cbranch_execz .LBB169_24
; %bb.23:
	s_load_dwordx2 s[18:19], s[4:5], 0x8
	v_lshrrev_b32_e32 v3, 3, v0
	s_mul_hi_i32 s25, s21, s6
	s_mul_i32 s24, s21, s6
	v_mad_i64_i32 v[4:5], s[22:23], s22, v3, 0
	s_lshl_b64 s[22:23], s[24:25], 2
	s_waitcnt lgkmcnt(0)
	s_add_u32 s7, s18, s22
	s_addc_u32 s8, s19, s23
	v_lshlrev_b64 v[4:5], 2, v[4:5]
	v_mov_b32_e32 v3, s8
	v_add_co_u32_e32 v4, vcc, s7, v4
	v_addc_co_u32_e32 v5, vcc, v3, v5, vcc
	global_store_dword v[4:5], v2, off
.LBB169_24:
	s_or_b64 exec, exec, s[2:3]
	;;#ASMSTART
	v_rcp_f32 v2, v2
	;;#ASMEND
	s_and_saveexec_b64 s[18:19], s[0:1]
	s_cbranch_execz .LBB169_26
; %bb.25:
	v_mov_b32_e32 v3, v2
	;;#ASMSTART
	v_pk_mul_f32 v[4:5], v[10:11], v[2:3]
	;;#ASMEND
	s_load_dwordx2 s[0:1], s[4:5], 0x0
	v_mov_b32_e32 v8, 0xc3e00000
	v_mov_b32_e32 v9, 0x43e00000
	;;#ASMSTART
	v_med3_f32 v4, v4, v8, v9
v_med3_f32 v5, v5, v8, v9
v_cvt_pk_fp8_f32 v10, v4, v5
	;;#ASMEND
	;;#ASMSTART
	v_pk_mul_f32 v[4:5], v[14:15], v[2:3]
	;;#ASMEND
	;;#ASMSTART
	v_med3_f32 v4, v4, v8, v9
v_med3_f32 v5, v5, v8, v9
v_cvt_pk_fp8_f32 v11, v4, v5
	;;#ASMEND
	s_mov_b32 s8, 0x5040100
	v_perm_b32 v5, v11, v10, s8
	s_movk_i32 s8, 0xff
	s_mul_i32 s3, s20, s6
	v_and_b32_e32 v4, 0xffffff00, v11
	v_and_b32_sdwa v10, v5, s8 dst_sel:DWORD dst_unused:UNUSED_PAD src0_sel:WORD_1 src1_sel:DWORD
	s_mul_hi_i32 s2, s20, s6
	s_mov_b32 s7, 0xffff
	s_waitcnt lgkmcnt(0)
	s_add_u32 s0, s0, s3
	v_or_b32_sdwa v4, v10, v4 dst_sel:WORD_1 dst_unused:UNUSED_PAD src0_sel:DWORD src1_sel:DWORD
	s_addc_u32 s1, s1, s2
	s_add_i32 s2, s11, 3
	v_and_or_b32 v4, v5, s7, v4
	;;#ASMSTART
	v_pk_mul_f32 v[6:7], v[6:7], v[2:3]
	;;#ASMEND
	v_mov_b32_e32 v5, v6
	s_ashr_i32 s3, s2, 31
	;;#ASMSTART
	v_med3_f32 v5, v5, v8, v9
v_med3_f32 v7, v7, v8, v9
v_cvt_pk_fp8_f32 v6, v5, v7
	;;#ASMEND
	;;#ASMSTART
	v_pk_mul_f32 v[2:3], v[28:29], v[2:3]
	;;#ASMEND
	s_lshr_b32 s3, s3, 30
	;;#ASMSTART
	v_med3_f32 v2, v2, v8, v9
v_med3_f32 v3, v3, v8, v9
v_cvt_pk_fp8_f32 v5, v2, v3
	;;#ASMEND
	s_add_i32 s2, s2, s3
	v_lshlrev_b32_e32 v2, 16, v5
	s_and_b32 s2, s2, -4
	s_and_b32 s1, s1, 0xffff
	s_mov_b32 s3, 0x20000
	v_and_or_b32 v5, v6, s7, v2
	buffer_store_dwordx2 v[4:5], v1, s[0:3], 0 offen
	;;#ASMSTART
	s_nop 0
	;;#ASMEND
.LBB169_26:
	s_or_b64 exec, exec, s[18:19]
	s_cmp_lt_i32 s12, 1
	s_cbranch_scc1 .LBB169_15
.LBB169_27:
	s_load_dword s0, s[4:5], 0x94
	s_waitcnt lgkmcnt(0)
	s_cmp_lg_u32 s0, 1
	s_cbranch_scc1 .LBB169_15
; %bb.28:
	s_lshl_b32 s0, s12, 1
	s_add_i32 s0, s0, 2
	v_cmp_gt_u32_e32 vcc, s12, v1
	s_and_b32 s18, s0, -4
	v_mov_b32_e32 v8, 0
	v_lshlrev_b32_e32 v17, 4, v0
	v_mov_b32_e32 v4, 0
	v_mov_b32_e32 v5, 0
	;; [unrolled: 1-line block ×8, first 2 shown]
	s_barrier
	s_and_saveexec_b64 s[0:1], vcc
	s_cbranch_execz .LBB169_30
; %bb.29:
	s_mul_hi_i32 s3, s14, s6
	s_mul_i32 s2, s14, s6
	s_and_b32 s17, s17, 0xffff
	s_lshl_b64 s[2:3], s[2:3], 1
	s_add_u32 s20, s30, s2
	s_mov_b32 s19, 0x20000
	s_addc_u32 s2, s31, s3
	s_and_b32 s21, s2, 0xffff
	s_mov_b32 s22, s18
	s_mov_b32 s23, s19
	buffer_load_dwordx4 v[4:7], v17, s[20:23], 0 offen glc slc
	buffer_load_dwordx4 v[0:3], v17, s[16:19], 0 offen
.LBB169_30:
	s_or_b64 exec, exec, s[0:1]
	v_mov_b32_e32 v9, 0
	v_mov_b32_e32 v12, 0
	;; [unrolled: 1-line block ×7, first 2 shown]
	s_and_saveexec_b64 s[0:1], vcc
	s_cbranch_execz .LBB169_32
; %bb.31:
	s_waitcnt vmcnt(1)
	v_cvt_f32_f16_sdwa v9, v4 dst_sel:DWORD dst_unused:UNUSED_PAD src0_sel:WORD_1
	v_cvt_f32_f16_e32 v8, v4
	v_cvt_f32_f16_sdwa v13, v5 dst_sel:DWORD dst_unused:UNUSED_PAD src0_sel:WORD_1
	v_cvt_f32_f16_e32 v12, v5
	;; [unrolled: 2-line block ×4, first 2 shown]
.LBB169_32:
	s_or_b64 exec, exec, s[0:1]
	s_waitcnt vmcnt(1)
	v_mul_f32_e32 v4, v9, v9
	v_fmac_f32_e32 v4, v8, v8
	v_fmac_f32_e32 v4, v12, v12
	;; [unrolled: 1-line block ×7, first 2 shown]
	s_nop 1
	v_mov_b32_dpp v5, v4 quad_perm:[1,0,3,2] row_mask:0xf bank_mask:0xf
	v_add_f32_e32 v4, v4, v5
	s_nop 1
	v_mov_b32_dpp v5, v4 quad_perm:[2,3,0,1] row_mask:0xf bank_mask:0xf
	v_add_f32_e32 v4, v4, v5
	s_nop 1
	v_mov_b32_dpp v5, v4 row_half_mirror row_mask:0xf bank_mask:0xf
	v_add_f32_e32 v4, v4, v5
	s_nop 1
	v_mov_b32_dpp v5, v4 row_mirror row_mask:0xf bank_mask:0xf
	v_add_f32_e32 v4, v4, v5
	s_nop 1
	v_mov_b32_dpp v5, v4 row_bcast:15 row_mask:0xf bank_mask:0xf
	v_add_f32_e32 v4, v4, v5
	s_nop 1
	v_mov_b32_dpp v5, v4 row_bcast:31 row_mask:0xf bank_mask:0xf
	v_add_f32_e32 v4, v4, v5
	ds_bpermute_b32 v4, v16, v4
	s_and_saveexec_b64 s[0:1], vcc
	s_cbranch_execz .LBB169_15
; %bb.33:
	v_cvt_f32_u32_e32 v5, s12
	s_mov_b32 s19, 0x20000
	s_waitcnt lgkmcnt(0)
	v_div_scale_f32 v6, s[0:1], v5, v5, v4
	v_rcp_f32_e32 v7, v6
	v_div_scale_f32 v16, vcc, v4, v5, v4
	s_mov_b32 s0, 0x800000
	v_fma_f32 v18, -v6, v7, 1.0
	v_fmac_f32_e32 v7, v18, v7
	v_mul_f32_e32 v18, v16, v7
	v_fma_f32 v19, -v6, v18, v16
	v_fmac_f32_e32 v18, v19, v7
	v_fma_f32 v6, -v6, v18, v16
	v_div_fmas_f32 v6, v6, v7, v18
	v_div_fixup_f32 v4, v6, v5, v4
	v_add_f32_e32 v4, s9, v4
	v_mul_f32_e32 v5, 0x4b800000, v4
	v_cmp_gt_f32_e32 vcc, s0, v4
	v_cndmask_b32_e32 v4, v4, v5, vcc
	v_rsq_f32_e32 v4, v4
	s_waitcnt vmcnt(0)
	v_cvt_f32_f16_sdwa v5, v0 dst_sel:DWORD dst_unused:UNUSED_PAD src0_sel:WORD_1
	v_cvt_f32_f16_sdwa v19, v1 dst_sel:DWORD dst_unused:UNUSED_PAD src0_sel:WORD_1
	v_cvt_f32_f16_e32 v18, v1
	v_mul_f32_e32 v6, 0x45800000, v4
	v_cndmask_b32_e32 v6, v4, v6, vcc
	v_cvt_f32_f16_e32 v4, v0
	v_mov_b32_e32 v7, v6
	;;#ASMSTART
	v_pk_mul_f32 v[8:9], v[8:9], v[6:7]
	;;#ASMEND
	;;#ASMSTART
	v_pk_mul_f32 v[12:13], v[12:13], v[6:7]
	;;#ASMEND
	v_pk_add_f32 v[4:5], v[4:5], 1.0 op_sel_hi:[1,0]
	;;#ASMSTART
	v_pk_mul_f32 v[14:15], v[14:15], v[6:7]
	;;#ASMEND
	;;#ASMSTART
	v_pk_mul_f32 v[0:1], v[10:11], v[6:7]
	;;#ASMEND
	;; [unrolled: 3-line block ×3, first 2 shown]
	v_cvt_f32_f16_sdwa v9, v2 dst_sel:DWORD dst_unused:UNUSED_PAD src0_sel:WORD_1
	v_cvt_f32_f16_e32 v8, v2
	v_cvt_f32_f16_sdwa v11, v3 dst_sel:DWORD dst_unused:UNUSED_PAD src0_sel:WORD_1
	v_cvt_f32_f16_e32 v10, v3
	v_pk_add_f32 v[6:7], v[18:19], 1.0 op_sel_hi:[1,0]
	;;#ASMSTART
	v_pk_mul_f32 v[2:3], v[12:13], v[6:7]
	;;#ASMEND
	v_pk_add_f32 v[6:7], v[8:9], 1.0 op_sel_hi:[1,0]
	;;#ASMSTART
	v_pk_mul_f32 v[6:7], v[14:15], v[6:7]
	;;#ASMEND
	;; [unrolled: 4-line block ×3, first 2 shown]
	s_mul_hi_i32 s1, s28, s6
	s_mul_i32 s0, s28, s6
	v_cvt_f16_f32_e32 v4, v4
	v_cvt_f16_f32_e32 v5, v5
	;; [unrolled: 1-line block ×8, first 2 shown]
	s_lshl_b64 s[0:1], s[0:1], 1
	s_add_u32 s16, s34, s0
	s_addc_u32 s0, s35, s1
	s_and_b32 s17, s0, 0xffff
	v_pack_b32_f16 v0, v4, v5
	v_pack_b32_f16 v1, v2, v3
	;; [unrolled: 1-line block ×4, first 2 shown]
	buffer_store_dwordx4 v[0:3], v17, s[16:19], 0 offen
	;;#ASMSTART
	s_nop 0
	;;#ASMEND
	s_endpgm
	.section	.rodata,"a",@progbits
	.p2align	6, 0x0
	.amdhsa_kernel _ZN5aiter35fused_qk_rmsnorm_group_quant_kernelIDF16_DB8_Li64ELi8ELi8ELb1ELb0ELb1ELb0ELb0ELb0EEEvPT0_PvPT_S6_S6_PKS5_S8_S8_S8_S8_ffiiiiiiiiiiiii
		.amdhsa_group_segment_fixed_size 0
		.amdhsa_private_segment_fixed_size 0
		.amdhsa_kernarg_size 400
		.amdhsa_user_sgpr_count 6
		.amdhsa_user_sgpr_private_segment_buffer 1
		.amdhsa_user_sgpr_dispatch_ptr 0
		.amdhsa_user_sgpr_queue_ptr 0
		.amdhsa_user_sgpr_kernarg_segment_ptr 1
		.amdhsa_user_sgpr_dispatch_id 0
		.amdhsa_user_sgpr_flat_scratch_init 0
		.amdhsa_user_sgpr_kernarg_preload_length 0
		.amdhsa_user_sgpr_kernarg_preload_offset 0
		.amdhsa_user_sgpr_private_segment_size 0
		.amdhsa_uses_dynamic_stack 0
		.amdhsa_system_sgpr_private_segment_wavefront_offset 0
		.amdhsa_system_sgpr_workgroup_id_x 1
		.amdhsa_system_sgpr_workgroup_id_y 1
		.amdhsa_system_sgpr_workgroup_id_z 0
		.amdhsa_system_sgpr_workgroup_info 0
		.amdhsa_system_vgpr_workitem_id 0
		.amdhsa_next_free_vgpr 31
		.amdhsa_next_free_sgpr 40
		.amdhsa_accum_offset 32
		.amdhsa_reserve_vcc 1
		.amdhsa_reserve_flat_scratch 0
		.amdhsa_float_round_mode_32 0
		.amdhsa_float_round_mode_16_64 0
		.amdhsa_float_denorm_mode_32 3
		.amdhsa_float_denorm_mode_16_64 3
		.amdhsa_dx10_clamp 1
		.amdhsa_ieee_mode 1
		.amdhsa_fp16_overflow 0
		.amdhsa_tg_split 0
		.amdhsa_exception_fp_ieee_invalid_op 0
		.amdhsa_exception_fp_denorm_src 0
		.amdhsa_exception_fp_ieee_div_zero 0
		.amdhsa_exception_fp_ieee_overflow 0
		.amdhsa_exception_fp_ieee_underflow 0
		.amdhsa_exception_fp_ieee_inexact 0
		.amdhsa_exception_int_div_zero 0
	.end_amdhsa_kernel
	.section	.text._ZN5aiter35fused_qk_rmsnorm_group_quant_kernelIDF16_DB8_Li64ELi8ELi8ELb1ELb0ELb1ELb0ELb0ELb0EEEvPT0_PvPT_S6_S6_PKS5_S8_S8_S8_S8_ffiiiiiiiiiiiii,"axG",@progbits,_ZN5aiter35fused_qk_rmsnorm_group_quant_kernelIDF16_DB8_Li64ELi8ELi8ELb1ELb0ELb1ELb0ELb0ELb0EEEvPT0_PvPT_S6_S6_PKS5_S8_S8_S8_S8_ffiiiiiiiiiiiii,comdat
.Lfunc_end169:
	.size	_ZN5aiter35fused_qk_rmsnorm_group_quant_kernelIDF16_DB8_Li64ELi8ELi8ELb1ELb0ELb1ELb0ELb0ELb0EEEvPT0_PvPT_S6_S6_PKS5_S8_S8_S8_S8_ffiiiiiiiiiiiii, .Lfunc_end169-_ZN5aiter35fused_qk_rmsnorm_group_quant_kernelIDF16_DB8_Li64ELi8ELi8ELb1ELb0ELb1ELb0ELb0ELb0EEEvPT0_PvPT_S6_S6_PKS5_S8_S8_S8_S8_ffiiiiiiiiiiiii
                                        ; -- End function
	.section	.AMDGPU.csdata,"",@progbits
; Kernel info:
; codeLenInByte = 2788
; NumSgprs: 44
; NumVgprs: 31
; NumAgprs: 0
; TotalNumVgprs: 31
; ScratchSize: 0
; MemoryBound: 0
; FloatMode: 240
; IeeeMode: 1
; LDSByteSize: 0 bytes/workgroup (compile time only)
; SGPRBlocks: 5
; VGPRBlocks: 3
; NumSGPRsForWavesPerEU: 44
; NumVGPRsForWavesPerEU: 31
; AccumOffset: 32
; Occupancy: 8
; WaveLimiterHint : 0
; COMPUTE_PGM_RSRC2:SCRATCH_EN: 0
; COMPUTE_PGM_RSRC2:USER_SGPR: 6
; COMPUTE_PGM_RSRC2:TRAP_HANDLER: 0
; COMPUTE_PGM_RSRC2:TGID_X_EN: 1
; COMPUTE_PGM_RSRC2:TGID_Y_EN: 1
; COMPUTE_PGM_RSRC2:TGID_Z_EN: 0
; COMPUTE_PGM_RSRC2:TIDIG_COMP_CNT: 0
; COMPUTE_PGM_RSRC3_GFX90A:ACCUM_OFFSET: 7
; COMPUTE_PGM_RSRC3_GFX90A:TG_SPLIT: 0
	.section	.text._ZN5aiter35fused_qk_rmsnorm_group_quant_kernelItDB8_Li64ELi8ELi8ELb1ELb0ELb1ELb0ELb0ELb0EEEvPT0_PvPT_S6_S6_PKS5_S8_S8_S8_S8_ffiiiiiiiiiiiii,"axG",@progbits,_ZN5aiter35fused_qk_rmsnorm_group_quant_kernelItDB8_Li64ELi8ELi8ELb1ELb0ELb1ELb0ELb0ELb0EEEvPT0_PvPT_S6_S6_PKS5_S8_S8_S8_S8_ffiiiiiiiiiiiii,comdat
	.protected	_ZN5aiter35fused_qk_rmsnorm_group_quant_kernelItDB8_Li64ELi8ELi8ELb1ELb0ELb1ELb0ELb0ELb0EEEvPT0_PvPT_S6_S6_PKS5_S8_S8_S8_S8_ffiiiiiiiiiiiii ; -- Begin function _ZN5aiter35fused_qk_rmsnorm_group_quant_kernelItDB8_Li64ELi8ELi8ELb1ELb0ELb1ELb0ELb0ELb0EEEvPT0_PvPT_S6_S6_PKS5_S8_S8_S8_S8_ffiiiiiiiiiiiii
	.globl	_ZN5aiter35fused_qk_rmsnorm_group_quant_kernelItDB8_Li64ELi8ELi8ELb1ELb0ELb1ELb0ELb0ELb0EEEvPT0_PvPT_S6_S6_PKS5_S8_S8_S8_S8_ffiiiiiiiiiiiii
	.p2align	8
	.type	_ZN5aiter35fused_qk_rmsnorm_group_quant_kernelItDB8_Li64ELi8ELi8ELb1ELb0ELb1ELb0ELb0ELb0EEEvPT0_PvPT_S6_S6_PKS5_S8_S8_S8_S8_ffiiiiiiiiiiiii,@function
_ZN5aiter35fused_qk_rmsnorm_group_quant_kernelItDB8_Li64ELi8ELi8ELb1ELb0ELb1ELb0ELb0ELb0EEEvPT0_PvPT_S6_S6_PKS5_S8_S8_S8_S8_ffiiiiiiiiiiiii: ; @_ZN5aiter35fused_qk_rmsnorm_group_quant_kernelItDB8_Li64ELi8ELi8ELb1ELb0ELb1ELb0ELb0ELb0EEEvPT0_PvPT_S6_S6_PKS5_S8_S8_S8_S8_ffiiiiiiiiiiiii
; %bb.0:
	s_load_dwordx8 s[8:15], s[4:5], 0x50
	s_waitcnt lgkmcnt(0)
	s_cmp_ge_i32 s6, s10
	s_cbranch_scc1 .LBB170_15
; %bb.1:
	s_cmp_lg_u32 s7, 0
	s_cselect_b64 s[2:3], -1, 0
	s_cmp_eq_u32 s7, 0
	s_cselect_b64 s[24:25], -1, 0
	s_and_b64 s[0:1], s[24:25], exec
	s_load_dwordx2 s[16:17], s[4:5], 0x48
	s_load_dwordx2 s[30:31], s[4:5], 0x30
	s_load_dwordx4 s[20:23], s[4:5], 0x70
	s_cselect_b32 s7, s11, s12
	s_add_i32 s0, s7, 1
	s_lshr_b32 s1, s0, 31
	s_add_i32 s0, s0, s1
	s_lshl_b32 s0, s0, 1
	v_lshlrev_b32_e32 v1, 3, v0
	s_and_b32 s26, s0, -4
	v_cmp_gt_i32_e64 s[0:1], s7, v1
	v_mov_b32_e32 v10, 0
	v_mov_b32_e32 v11, 0
	;; [unrolled: 1-line block ×8, first 2 shown]
	s_and_saveexec_b64 s[18:19], s[0:1]
	s_cbranch_execz .LBB170_3
; %bb.2:
	s_load_dwordx2 s[28:29], s[4:5], 0x28
	s_load_dwordx2 s[34:35], s[4:5], 0x40
	s_and_b64 s[36:37], s[24:25], exec
	s_cselect_b32 s10, s13, s14
	s_mov_b32 s27, 0x20000
	s_waitcnt lgkmcnt(0)
	s_cselect_b32 s13, s29, s31
	s_cselect_b32 s23, s28, s30
	s_mul_hi_i32 s29, s10, s6
	s_mul_i32 s28, s10, s6
	s_lshl_b64 s[28:29], s[28:29], 1
	s_add_u32 s36, s23, s28
	s_addc_u32 s10, s13, s29
	s_and_b64 s[24:25], s[24:25], exec
	s_cselect_b32 s24, s34, s16
	s_cselect_b32 s13, s35, s17
	v_lshlrev_b32_e32 v2, 4, v0
	s_and_b32 s37, s10, 0xffff
	s_mov_b32 s38, s26
	s_mov_b32 s39, s27
	s_and_b32 s25, s13, 0xffff
	buffer_load_dwordx4 v[14:17], v2, s[36:39], 0 offen glc slc
	buffer_load_dwordx4 v[10:13], v2, s[24:27], 0 offen
.LBB170_3:
	s_or_b64 exec, exec, s[18:19]
	s_load_dwordx2 s[28:29], s[4:5], 0x80
	s_and_b64 vcc, exec, s[2:3]
	s_cbranch_vccz .LBB170_7
; %bb.4:
	s_mov_b32 s36, 0
	s_mov_b32 s37, s36
	;; [unrolled: 1-line block ×8, first 2 shown]
	v_pk_mov_b32 v[2:3], s[36:37], s[36:37] op_sel:[0,1]
	v_pk_mov_b32 v[4:5], s[38:39], s[38:39] op_sel:[0,1]
	;; [unrolled: 1-line block ×4, first 2 shown]
	s_and_saveexec_b64 s[18:19], s[0:1]
	s_cbranch_execz .LBB170_6
; %bb.5:
	s_waitcnt vmcnt(1)
	v_cvt_f32_u32_sdwa v3, v14 dst_sel:DWORD dst_unused:UNUSED_PAD src0_sel:WORD_1
	v_cvt_f32_u32_sdwa v2, v14 dst_sel:DWORD dst_unused:UNUSED_PAD src0_sel:WORD_0
	v_cvt_f32_u32_sdwa v5, v15 dst_sel:DWORD dst_unused:UNUSED_PAD src0_sel:WORD_1
	v_cvt_f32_u32_sdwa v4, v15 dst_sel:DWORD dst_unused:UNUSED_PAD src0_sel:WORD_0
	;; [unrolled: 2-line block ×4, first 2 shown]
.LBB170_6:
	s_or_b64 exec, exec, s[18:19]
	s_mov_b32 s10, s9
	s_cbranch_execz .LBB170_8
	s_branch .LBB170_11
.LBB170_7:
                                        ; implicit-def: $vgpr2_vgpr3_vgpr4_vgpr5_vgpr6_vgpr7_vgpr8_vgpr9
	s_mov_b32 s10, s9
.LBB170_8:
	s_mov_b32 s36, 0
	s_mov_b32 s37, s36
	;; [unrolled: 1-line block ×8, first 2 shown]
	v_pk_mov_b32 v[2:3], s[36:37], s[36:37] op_sel:[0,1]
	v_pk_mov_b32 v[4:5], s[38:39], s[38:39] op_sel:[0,1]
	;; [unrolled: 1-line block ×4, first 2 shown]
	s_and_saveexec_b64 s[18:19], s[0:1]
	s_cbranch_execz .LBB170_10
; %bb.9:
	s_load_dwordx2 s[24:25], s[4:5], 0x38
	s_mul_hi_i32 s35, s15, s6
	s_mul_i32 s34, s15, s6
	s_lshl_b64 s[34:35], s[34:35], 1
	s_mov_b32 s27, 0x20000
	s_waitcnt lgkmcnt(0)
	s_add_u32 s24, s24, s34
	s_addc_u32 s10, s25, s35
	s_and_b32 s25, s10, 0xffff
	v_lshlrev_b32_e32 v26, 4, v0
	buffer_load_dwordx4 v[2:5], v26, s[24:27], 0 offen glc slc
	s_load_dwordx2 s[24:25], s[4:5], 0x20
	s_waitcnt vmcnt(2)
	v_cvt_f32_u32_sdwa v7, v14 dst_sel:DWORD dst_unused:UNUSED_PAD src0_sel:WORD_1
	v_cvt_f32_u32_sdwa v6, v14 dst_sel:DWORD dst_unused:UNUSED_PAD src0_sel:WORD_0
	v_cvt_f32_u32_sdwa v9, v15 dst_sel:DWORD dst_unused:UNUSED_PAD src0_sel:WORD_1
	v_cvt_f32_u32_sdwa v8, v15 dst_sel:DWORD dst_unused:UNUSED_PAD src0_sel:WORD_0
	;; [unrolled: 2-line block ×4, first 2 shown]
	s_mul_hi_i32 s35, s29, s6
	s_mul_i32 s34, s29, s6
	s_lshl_b64 s[34:35], s[34:35], 1
	s_waitcnt lgkmcnt(0)
	s_add_u32 s24, s24, s34
	s_mov_b32 s10, 0x7060302
	s_addc_u32 s13, s25, s35
	s_and_b32 s25, s13, 0xffff
	s_waitcnt vmcnt(0)
	v_cvt_f32_u32_sdwa v17, v2 dst_sel:DWORD dst_unused:UNUSED_PAD src0_sel:WORD_1
	v_cvt_f32_u32_sdwa v16, v2 dst_sel:DWORD dst_unused:UNUSED_PAD src0_sel:WORD_0
	v_cvt_f32_u32_sdwa v21, v3 dst_sel:DWORD dst_unused:UNUSED_PAD src0_sel:WORD_1
	v_cvt_f32_u32_sdwa v20, v3 dst_sel:DWORD dst_unused:UNUSED_PAD src0_sel:WORD_0
	;; [unrolled: 2-line block ×4, first 2 shown]
	v_pk_add_f32 v[2:3], v[6:7], v[16:17]
	v_pk_add_f32 v[4:5], v[8:9], v[20:21]
	;; [unrolled: 1-line block ×4, first 2 shown]
	v_perm_b32 v17, v9, v8, s10
	v_perm_b32 v16, v7, v6, s10
	;; [unrolled: 1-line block ×4, first 2 shown]
	buffer_store_dwordx4 v[14:17], v26, s[24:27], 0 offen glc slc
	;;#ASMSTART
	s_nop 0
	;;#ASMEND
.LBB170_10:
	s_or_b64 exec, exec, s[18:19]
	s_mov_b32 s10, s8
.LBB170_11:
	s_waitcnt vmcnt(1)
	v_mul_f32_e32 v14, v3, v3
	v_fmac_f32_e32 v14, v2, v2
	v_fmac_f32_e32 v14, v4, v4
	;; [unrolled: 1-line block ×7, first 2 shown]
	v_bfrev_b32_e32 v16, 0.5
	s_load_dwordx2 s[34:35], s[4:5], 0x18
	v_mov_b32_dpp v15, v14 quad_perm:[1,0,3,2] row_mask:0xf bank_mask:0xf
	v_add_f32_e32 v14, v14, v15
	s_nop 1
	v_mov_b32_dpp v15, v14 quad_perm:[2,3,0,1] row_mask:0xf bank_mask:0xf
	v_add_f32_e32 v14, v14, v15
	s_nop 1
	v_mov_b32_dpp v15, v14 row_half_mirror row_mask:0xf bank_mask:0xf
	v_add_f32_e32 v14, v14, v15
	s_nop 1
	v_mov_b32_dpp v15, v14 row_mirror row_mask:0xf bank_mask:0xf
	v_add_f32_e32 v14, v14, v15
	s_nop 1
	v_mov_b32_dpp v15, v14 row_bcast:15 row_mask:0xf bank_mask:0xf
	v_add_f32_e32 v14, v14, v15
	s_nop 1
	v_mov_b32_dpp v15, v14 row_bcast:31 row_mask:0xf bank_mask:0xf
	v_add_f32_e32 v15, v14, v15
	v_mbcnt_lo_u32_b32 v14, -1, 0
	v_mbcnt_hi_u32_b32 v14, -1, v14
	v_lshl_or_b32 v14, v14, 2, v16
	ds_bpermute_b32 v15, v14, v15
	s_and_saveexec_b64 s[18:19], s[0:1]
	s_cbranch_execnz .LBB170_16
; %bb.12:
	s_or_b64 exec, exec, s[18:19]
	s_mov_b64 s[18:19], -1
	s_and_b64 vcc, exec, s[2:3]
	s_cbranch_vccnz .LBB170_17
.LBB170_13:
	s_andn2_b64 vcc, exec, s[18:19]
	s_cbranch_vccz .LBB170_20
.LBB170_14:
	s_cmp_lt_i32 s12, 1
	s_cbranch_scc0 .LBB170_27
.LBB170_15:
	s_endpgm
.LBB170_16:
	v_cvt_f32_u32_e32 v16, s7
	s_mov_b32 s7, 0x800000
	s_waitcnt lgkmcnt(0)
	v_div_scale_f32 v17, s[24:25], v16, v16, v15
	v_rcp_f32_e32 v18, v17
	v_div_scale_f32 v19, vcc, v15, v16, v15
	v_fma_f32 v20, -v17, v18, 1.0
	v_fmac_f32_e32 v18, v20, v18
	v_mul_f32_e32 v20, v19, v18
	v_fma_f32 v21, -v17, v20, v19
	v_fmac_f32_e32 v20, v21, v18
	v_fma_f32 v17, -v17, v20, v19
	v_div_fmas_f32 v17, v17, v18, v20
	v_div_fixup_f32 v15, v17, v16, v15
	v_add_f32_e32 v15, s10, v15
	v_mul_f32_e32 v16, 0x4b800000, v15
	v_cmp_gt_f32_e32 vcc, s7, v15
	v_cndmask_b32_e32 v15, v15, v16, vcc
	v_rsq_f32_e32 v15, v15
	s_waitcnt vmcnt(0)
	v_cvt_f32_u32_sdwa v17, v10 dst_sel:DWORD dst_unused:UNUSED_PAD src0_sel:WORD_1
	v_cvt_f32_u32_sdwa v21, v11 dst_sel:DWORD dst_unused:UNUSED_PAD src0_sel:WORD_1
	v_cvt_f32_u32_sdwa v20, v11 dst_sel:DWORD dst_unused:UNUSED_PAD src0_sel:WORD_0
	v_mul_f32_e32 v16, 0x45800000, v15
	v_cndmask_b32_e32 v18, v15, v16, vcc
	v_cvt_f32_u32_sdwa v16, v10 dst_sel:DWORD dst_unused:UNUSED_PAD src0_sel:WORD_0
	v_mov_b32_e32 v19, v18
	;;#ASMSTART
	v_pk_mul_f32 v[2:3], v[2:3], v[18:19]
	;;#ASMEND
	;;#ASMSTART
	v_pk_mul_f32 v[4:5], v[4:5], v[18:19]
	;;#ASMEND
	v_pk_add_f32 v[10:11], v[16:17], 1.0 op_sel_hi:[1,0]
	v_cvt_f32_u32_sdwa v17, v12 dst_sel:DWORD dst_unused:UNUSED_PAD src0_sel:WORD_1
	v_cvt_f32_u32_sdwa v16, v12 dst_sel:DWORD dst_unused:UNUSED_PAD src0_sel:WORD_0
	;;#ASMSTART
	v_pk_mul_f32 v[6:7], v[6:7], v[18:19]
	;;#ASMEND
	;;#ASMSTART
	v_pk_mul_f32 v[8:9], v[8:9], v[18:19]
	;;#ASMEND
	v_cvt_f32_u32_sdwa v19, v13 dst_sel:DWORD dst_unused:UNUSED_PAD src0_sel:WORD_1
	v_cvt_f32_u32_sdwa v18, v13 dst_sel:DWORD dst_unused:UNUSED_PAD src0_sel:WORD_0
	;;#ASMSTART
	v_pk_mul_f32 v[2:3], v[2:3], v[10:11]
	;;#ASMEND
	v_pk_add_f32 v[10:11], v[20:21], 1.0 op_sel_hi:[1,0]
	;;#ASMSTART
	v_pk_mul_f32 v[4:5], v[4:5], v[10:11]
	;;#ASMEND
	v_pk_add_f32 v[10:11], v[16:17], 1.0 op_sel_hi:[1,0]
	;; [unrolled: 4-line block ×3, first 2 shown]
	;;#ASMSTART
	v_pk_mul_f32 v[8:9], v[8:9], v[10:11]
	;;#ASMEND
	s_or_b64 exec, exec, s[18:19]
	s_mov_b64 s[18:19], -1
	s_and_b64 vcc, exec, s[2:3]
	s_cbranch_vccz .LBB170_13
.LBB170_17:
	s_and_saveexec_b64 s[2:3], s[0:1]
	s_cbranch_execz .LBB170_19
; %bb.18:
	s_waitcnt lgkmcnt(0)
	s_mul_hi_i32 s19, s28, s6
	s_mul_i32 s18, s28, s6
	s_lshl_b64 s[18:19], s[18:19], 1
	s_add_u32 s24, s34, s18
	s_addc_u32 s7, s35, s19
	s_and_b32 s25, s7, 0xffff
	s_mov_b32 s7, 0x7060302
	s_mov_b32 s27, 0x20000
	s_waitcnt vmcnt(0)
	v_perm_b32 v10, v3, v2, s7
	v_perm_b32 v11, v5, v4, s7
	;; [unrolled: 1-line block ×4, first 2 shown]
	v_lshlrev_b32_e32 v15, 4, v0
	buffer_store_dwordx4 v[10:13], v15, s[24:27], 0 offen
	;;#ASMSTART
	s_nop 0
	;;#ASMEND
.LBB170_19:
	s_or_b64 exec, exec, s[2:3]
	s_cbranch_execnz .LBB170_14
.LBB170_20:
	s_waitcnt vmcnt(0)
	v_mov_b32_e32 v10, 0
	s_and_saveexec_b64 s[2:3], s[0:1]
	s_cbranch_execz .LBB170_22
; %bb.21:
	v_and_b32_e32 v10, 0x7fffffff, v2
	v_and_b32_e32 v11, 0x7fffffff, v3
	v_mov_b32_e32 v12, 0x2edbe6ff
	;;#ASMSTART
	v_max3_f32 v10, v12, v10, v11

	;;#ASMEND
	v_and_b32_e32 v11, 0x7fffffff, v4
	v_and_b32_e32 v12, 0x7fffffff, v5
	;;#ASMSTART
	v_max3_f32 v10, v10, v11, v12

	;;#ASMEND
	v_and_b32_e32 v11, 0x7fffffff, v6
	v_and_b32_e32 v12, 0x7fffffff, v7
	;; [unrolled: 6-line block ×3, first 2 shown]
	;;#ASMSTART
	v_max3_f32 v10, v10, v11, v12

	;;#ASMEND
.LBB170_22:
	s_or_b64 exec, exec, s[2:3]
	;;#ASMSTART
	v_max_f32 v11, v10, v10 quad_perm:[1,0,3,2] row_mask:0xf bank_mask:0xf bound_ctrl:1
	;;#ASMEND
	;;#ASMSTART
	v_max_f32 v10, v11, v11 quad_perm:[2,3,0,1] row_mask:0xf bank_mask:0xf bound_ctrl:1
	;;#ASMEND
	;;#ASMSTART
	v_max_f32 v11, v10, v10 row_half_mirror row_mask:0xf bank_mask:0xf bound_ctrl:1
	;;#ASMEND
	v_mul_f32_e32 v10, 0x3b124925, v11
	v_and_b32_e32 v11, 7, v0
	v_cmp_eq_u32_e32 vcc, 0, v11
	v_cmp_gt_i32_e64 s[2:3], s11, v1
	s_and_b64 s[18:19], vcc, s[2:3]
	s_and_saveexec_b64 s[2:3], s[18:19]
	s_cbranch_execz .LBB170_24
; %bb.23:
	s_load_dwordx2 s[18:19], s[4:5], 0x8
	v_lshrrev_b32_e32 v11, 3, v0
	s_waitcnt lgkmcnt(0)
	s_mul_hi_i32 s25, s21, s6
	s_mul_i32 s24, s21, s6
	v_mad_i64_i32 v[12:13], s[22:23], s22, v11, 0
	s_lshl_b64 s[22:23], s[24:25], 2
	s_add_u32 s7, s18, s22
	s_addc_u32 s8, s19, s23
	v_lshlrev_b64 v[12:13], 2, v[12:13]
	v_mov_b32_e32 v11, s8
	v_add_co_u32_e32 v12, vcc, s7, v12
	v_addc_co_u32_e32 v13, vcc, v11, v13, vcc
	global_store_dword v[12:13], v10, off
.LBB170_24:
	s_or_b64 exec, exec, s[2:3]
	;;#ASMSTART
	v_rcp_f32 v10, v10
	;;#ASMEND
	s_and_saveexec_b64 s[18:19], s[0:1]
	s_cbranch_execz .LBB170_26
; %bb.25:
	v_mov_b32_e32 v11, v10
	;;#ASMSTART
	v_pk_mul_f32 v[2:3], v[2:3], v[10:11]
	;;#ASMEND
	v_mov_b32_e32 v12, 0xc3e00000
	v_mov_b32_e32 v13, 0x43e00000
	s_waitcnt lgkmcnt(0)
	;;#ASMSTART
	v_med3_f32 v2, v2, v12, v13
v_med3_f32 v3, v3, v12, v13
v_cvt_pk_fp8_f32 v15, v2, v3
	;;#ASMEND
	s_load_dwordx2 s[0:1], s[4:5], 0x0
	;;#ASMSTART
	v_pk_mul_f32 v[2:3], v[4:5], v[10:11]
	;;#ASMEND
	;;#ASMSTART
	v_med3_f32 v2, v2, v12, v13
v_med3_f32 v3, v3, v12, v13
v_cvt_pk_fp8_f32 v4, v2, v3
	;;#ASMEND
	s_mov_b32 s8, 0x5040100
	v_perm_b32 v3, v4, v15, s8
	s_movk_i32 s8, 0xff
	v_and_b32_e32 v2, 0xffffff00, v4
	v_and_b32_sdwa v4, v3, s8 dst_sel:DWORD dst_unused:UNUSED_PAD src0_sel:WORD_1 src1_sel:DWORD
	s_mul_i32 s3, s20, s6
	s_mov_b32 s7, 0xffff
	v_or_b32_sdwa v2, v4, v2 dst_sel:WORD_1 dst_unused:UNUSED_PAD src0_sel:DWORD src1_sel:DWORD
	s_mul_hi_i32 s2, s20, s6
	s_waitcnt lgkmcnt(0)
	s_add_u32 s0, s0, s3
	v_and_or_b32 v2, v3, s7, v2
	;;#ASMSTART
	v_pk_mul_f32 v[4:5], v[6:7], v[10:11]
	;;#ASMEND
	v_mov_b32_e32 v3, v5
	s_addc_u32 s1, s1, s2
	s_add_i32 s2, s11, 3
	;;#ASMSTART
	v_med3_f32 v4, v4, v12, v13
v_med3_f32 v3, v3, v12, v13
v_cvt_pk_fp8_f32 v6, v4, v3
	;;#ASMEND
	s_ashr_i32 s3, s2, 31
	;;#ASMSTART
	v_pk_mul_f32 v[4:5], v[8:9], v[10:11]
	;;#ASMEND
	v_mov_b32_e32 v3, v5
	s_lshr_b32 s3, s3, 30
	;;#ASMSTART
	v_med3_f32 v4, v4, v12, v13
v_med3_f32 v3, v3, v12, v13
v_cvt_pk_fp8_f32 v5, v4, v3
	;;#ASMEND
	s_add_i32 s2, s2, s3
	v_lshlrev_b32_e32 v3, 16, v5
	s_and_b32 s2, s2, -4
	s_and_b32 s1, s1, 0xffff
	s_mov_b32 s3, 0x20000
	v_and_or_b32 v3, v6, s7, v3
	buffer_store_dwordx2 v[2:3], v1, s[0:3], 0 offen
	;;#ASMSTART
	s_nop 0
	;;#ASMEND
.LBB170_26:
	s_or_b64 exec, exec, s[18:19]
	s_cmp_lt_i32 s12, 1
	s_cbranch_scc1 .LBB170_15
.LBB170_27:
	s_load_dword s0, s[4:5], 0x94
	s_waitcnt lgkmcnt(0)
	s_cmp_lg_u32 s0, 1
	s_cbranch_scc1 .LBB170_15
; %bb.28:
	s_lshl_b32 s0, s12, 1
	s_add_i32 s0, s0, 2
	v_cmp_gt_u32_e32 vcc, s12, v1
	s_and_b32 s18, s0, -4
	v_mov_b32_e32 v4, 0
	s_waitcnt vmcnt(0)
	v_lshlrev_b32_e32 v12, 4, v0
	v_mov_b32_e32 v5, 0
	v_mov_b32_e32 v6, 0
	;; [unrolled: 1-line block ×7, first 2 shown]
	s_barrier
	s_and_saveexec_b64 s[0:1], vcc
	s_cbranch_execz .LBB170_30
; %bb.29:
	s_mul_hi_i32 s3, s14, s6
	s_mul_i32 s2, s14, s6
	s_and_b32 s17, s17, 0xffff
	s_lshl_b64 s[2:3], s[2:3], 1
	s_add_u32 s20, s30, s2
	s_mov_b32 s19, 0x20000
	s_addc_u32 s2, s31, s3
	s_and_b32 s21, s2, 0xffff
	s_mov_b32 s22, s18
	s_mov_b32 s23, s19
	buffer_load_dwordx4 v[4:7], v12, s[20:23], 0 offen glc slc
	buffer_load_dwordx4 v[0:3], v12, s[16:19], 0 offen
.LBB170_30:
	s_or_b64 exec, exec, s[0:1]
	s_waitcnt vmcnt(1)
	v_cvt_f32_u32_sdwa v11, v4 dst_sel:DWORD dst_unused:UNUSED_PAD src0_sel:WORD_1
	v_cvt_f32_u32_sdwa v10, v4 dst_sel:DWORD dst_unused:UNUSED_PAD src0_sel:WORD_0
	v_cvt_f32_u32_sdwa v4, v7 dst_sel:DWORD dst_unused:UNUSED_PAD src0_sel:WORD_1
	v_cvt_f32_u32_sdwa v7, v7 dst_sel:DWORD dst_unused:UNUSED_PAD src0_sel:WORD_0
	;; [unrolled: 2-line block ×4, first 2 shown]
	v_cndmask_b32_e32 v11, 0, v11, vcc
	v_cndmask_b32_e32 v5, 0, v4, vcc
	;; [unrolled: 1-line block ×5, first 2 shown]
	v_mul_f32_e32 v13, v11, v11
	v_cndmask_b32_e32 v8, 0, v8, vcc
	v_fmac_f32_e32 v13, v10, v10
	v_cndmask_b32_e32 v9, 0, v9, vcc
	v_fmac_f32_e32 v13, v8, v8
	;; [unrolled: 2-line block ×3, first 2 shown]
	v_fmac_f32_e32 v13, v6, v6
	v_fmac_f32_e32 v13, v7, v7
	;; [unrolled: 1-line block ×4, first 2 shown]
	s_nop 1
	v_mov_b32_dpp v15, v13 quad_perm:[1,0,3,2] row_mask:0xf bank_mask:0xf
	v_add_f32_e32 v13, v13, v15
	s_nop 1
	v_mov_b32_dpp v15, v13 quad_perm:[2,3,0,1] row_mask:0xf bank_mask:0xf
	v_add_f32_e32 v13, v13, v15
	s_nop 1
	v_mov_b32_dpp v15, v13 row_half_mirror row_mask:0xf bank_mask:0xf
	v_add_f32_e32 v13, v13, v15
	s_nop 1
	v_mov_b32_dpp v15, v13 row_mirror row_mask:0xf bank_mask:0xf
	v_add_f32_e32 v13, v13, v15
	s_nop 1
	v_mov_b32_dpp v15, v13 row_bcast:15 row_mask:0xf bank_mask:0xf
	v_add_f32_e32 v13, v13, v15
	s_nop 1
	v_mov_b32_dpp v15, v13 row_bcast:31 row_mask:0xf bank_mask:0xf
	v_add_f32_e32 v13, v13, v15
	ds_bpermute_b32 v13, v14, v13
	s_and_saveexec_b64 s[0:1], vcc
	s_cbranch_execz .LBB170_15
; %bb.31:
	v_cvt_f32_u32_e32 v14, s12
	s_mov_b32 s19, 0x20000
	s_waitcnt lgkmcnt(0)
	v_div_scale_f32 v15, s[0:1], v14, v14, v13
	v_rcp_f32_e32 v16, v15
	v_div_scale_f32 v17, vcc, v13, v14, v13
	s_mov_b32 s0, 0x800000
	v_fma_f32 v18, -v15, v16, 1.0
	v_fmac_f32_e32 v16, v18, v16
	v_mul_f32_e32 v18, v17, v16
	v_fma_f32 v19, -v15, v18, v17
	v_fmac_f32_e32 v18, v19, v16
	v_fma_f32 v15, -v15, v18, v17
	v_div_fmas_f32 v15, v15, v16, v18
	v_div_fixup_f32 v13, v15, v14, v13
	v_add_f32_e32 v13, s9, v13
	v_mul_f32_e32 v14, 0x4b800000, v13
	v_cmp_gt_f32_e32 vcc, s0, v13
	v_cndmask_b32_e32 v13, v13, v14, vcc
	v_rsq_f32_e32 v13, v13
	s_waitcnt vmcnt(0)
	v_cvt_f32_u32_sdwa v15, v0 dst_sel:DWORD dst_unused:UNUSED_PAD src0_sel:WORD_1
	v_cvt_f32_u32_sdwa v19, v1 dst_sel:DWORD dst_unused:UNUSED_PAD src0_sel:WORD_1
	v_cvt_f32_u32_sdwa v18, v1 dst_sel:DWORD dst_unused:UNUSED_PAD src0_sel:WORD_0
	v_mul_f32_e32 v14, 0x45800000, v13
	v_cndmask_b32_e32 v16, v13, v14, vcc
	v_cvt_f32_u32_sdwa v14, v0 dst_sel:DWORD dst_unused:UNUSED_PAD src0_sel:WORD_0
	v_mov_b32_e32 v17, v16
	;;#ASMSTART
	v_pk_mul_f32 v[10:11], v[10:11], v[16:17]
	;;#ASMEND
	;;#ASMSTART
	v_pk_mul_f32 v[8:9], v[8:9], v[16:17]
	;;#ASMEND
	;; [unrolled: 3-line block ×4, first 2 shown]
	v_pk_add_f32 v[4:5], v[14:15], 1.0 op_sel_hi:[1,0]
	v_cvt_f32_u32_sdwa v15, v2 dst_sel:DWORD dst_unused:UNUSED_PAD src0_sel:WORD_1
	v_cvt_f32_u32_sdwa v14, v2 dst_sel:DWORD dst_unused:UNUSED_PAD src0_sel:WORD_0
	v_cvt_f32_u32_sdwa v17, v3 dst_sel:DWORD dst_unused:UNUSED_PAD src0_sel:WORD_1
	v_cvt_f32_u32_sdwa v16, v3 dst_sel:DWORD dst_unused:UNUSED_PAD src0_sel:WORD_0
	s_mul_hi_i32 s1, s28, s6
	s_mul_i32 s0, s28, s6
	s_lshl_b64 s[0:1], s[0:1], 1
	s_add_u32 s16, s34, s0
	;;#ASMSTART
	v_pk_mul_f32 v[4:5], v[10:11], v[4:5]
	;;#ASMEND
	v_pk_add_f32 v[10:11], v[18:19], 1.0 op_sel_hi:[1,0]
	;;#ASMSTART
	v_pk_mul_f32 v[2:3], v[8:9], v[10:11]
	;;#ASMEND
	v_pk_add_f32 v[8:9], v[14:15], 1.0 op_sel_hi:[1,0]
	s_addc_u32 s0, s35, s1
	;;#ASMSTART
	v_pk_mul_f32 v[6:7], v[6:7], v[8:9]
	;;#ASMEND
	v_pk_add_f32 v[8:9], v[16:17], 1.0 op_sel_hi:[1,0]
	s_and_b32 s17, s0, 0xffff
	s_mov_b32 s0, 0x7060302
	;;#ASMSTART
	v_pk_mul_f32 v[8:9], v[0:1], v[8:9]
	;;#ASMEND
	v_perm_b32 v0, v5, v4, s0
	v_perm_b32 v1, v3, v2, s0
	;; [unrolled: 1-line block ×4, first 2 shown]
	buffer_store_dwordx4 v[0:3], v12, s[16:19], 0 offen
	;;#ASMSTART
	s_nop 0
	;;#ASMEND
	s_endpgm
	.section	.rodata,"a",@progbits
	.p2align	6, 0x0
	.amdhsa_kernel _ZN5aiter35fused_qk_rmsnorm_group_quant_kernelItDB8_Li64ELi8ELi8ELb1ELb0ELb1ELb0ELb0ELb0EEEvPT0_PvPT_S6_S6_PKS5_S8_S8_S8_S8_ffiiiiiiiiiiiii
		.amdhsa_group_segment_fixed_size 0
		.amdhsa_private_segment_fixed_size 0
		.amdhsa_kernarg_size 400
		.amdhsa_user_sgpr_count 6
		.amdhsa_user_sgpr_private_segment_buffer 1
		.amdhsa_user_sgpr_dispatch_ptr 0
		.amdhsa_user_sgpr_queue_ptr 0
		.amdhsa_user_sgpr_kernarg_segment_ptr 1
		.amdhsa_user_sgpr_dispatch_id 0
		.amdhsa_user_sgpr_flat_scratch_init 0
		.amdhsa_user_sgpr_kernarg_preload_length 0
		.amdhsa_user_sgpr_kernarg_preload_offset 0
		.amdhsa_user_sgpr_private_segment_size 0
		.amdhsa_uses_dynamic_stack 0
		.amdhsa_system_sgpr_private_segment_wavefront_offset 0
		.amdhsa_system_sgpr_workgroup_id_x 1
		.amdhsa_system_sgpr_workgroup_id_y 1
		.amdhsa_system_sgpr_workgroup_id_z 0
		.amdhsa_system_sgpr_workgroup_info 0
		.amdhsa_system_vgpr_workitem_id 0
		.amdhsa_next_free_vgpr 27
		.amdhsa_next_free_sgpr 44
		.amdhsa_accum_offset 28
		.amdhsa_reserve_vcc 1
		.amdhsa_reserve_flat_scratch 0
		.amdhsa_float_round_mode_32 0
		.amdhsa_float_round_mode_16_64 0
		.amdhsa_float_denorm_mode_32 3
		.amdhsa_float_denorm_mode_16_64 3
		.amdhsa_dx10_clamp 1
		.amdhsa_ieee_mode 1
		.amdhsa_fp16_overflow 0
		.amdhsa_tg_split 0
		.amdhsa_exception_fp_ieee_invalid_op 0
		.amdhsa_exception_fp_denorm_src 0
		.amdhsa_exception_fp_ieee_div_zero 0
		.amdhsa_exception_fp_ieee_overflow 0
		.amdhsa_exception_fp_ieee_underflow 0
		.amdhsa_exception_fp_ieee_inexact 0
		.amdhsa_exception_int_div_zero 0
	.end_amdhsa_kernel
	.section	.text._ZN5aiter35fused_qk_rmsnorm_group_quant_kernelItDB8_Li64ELi8ELi8ELb1ELb0ELb1ELb0ELb0ELb0EEEvPT0_PvPT_S6_S6_PKS5_S8_S8_S8_S8_ffiiiiiiiiiiiii,"axG",@progbits,_ZN5aiter35fused_qk_rmsnorm_group_quant_kernelItDB8_Li64ELi8ELi8ELb1ELb0ELb1ELb0ELb0ELb0EEEvPT0_PvPT_S6_S6_PKS5_S8_S8_S8_S8_ffiiiiiiiiiiiii,comdat
.Lfunc_end170:
	.size	_ZN5aiter35fused_qk_rmsnorm_group_quant_kernelItDB8_Li64ELi8ELi8ELb1ELb0ELb1ELb0ELb0ELb0EEEvPT0_PvPT_S6_S6_PKS5_S8_S8_S8_S8_ffiiiiiiiiiiiii, .Lfunc_end170-_ZN5aiter35fused_qk_rmsnorm_group_quant_kernelItDB8_Li64ELi8ELi8ELb1ELb0ELb1ELb0ELb0ELb0EEEvPT0_PvPT_S6_S6_PKS5_S8_S8_S8_S8_ffiiiiiiiiiiiii
                                        ; -- End function
	.section	.AMDGPU.csdata,"",@progbits
; Kernel info:
; codeLenInByte = 2880
; NumSgprs: 48
; NumVgprs: 27
; NumAgprs: 0
; TotalNumVgprs: 27
; ScratchSize: 0
; MemoryBound: 0
; FloatMode: 240
; IeeeMode: 1
; LDSByteSize: 0 bytes/workgroup (compile time only)
; SGPRBlocks: 5
; VGPRBlocks: 3
; NumSGPRsForWavesPerEU: 48
; NumVGPRsForWavesPerEU: 27
; AccumOffset: 28
; Occupancy: 8
; WaveLimiterHint : 0
; COMPUTE_PGM_RSRC2:SCRATCH_EN: 0
; COMPUTE_PGM_RSRC2:USER_SGPR: 6
; COMPUTE_PGM_RSRC2:TRAP_HANDLER: 0
; COMPUTE_PGM_RSRC2:TGID_X_EN: 1
; COMPUTE_PGM_RSRC2:TGID_Y_EN: 1
; COMPUTE_PGM_RSRC2:TGID_Z_EN: 0
; COMPUTE_PGM_RSRC2:TIDIG_COMP_CNT: 0
; COMPUTE_PGM_RSRC3_GFX90A:ACCUM_OFFSET: 6
; COMPUTE_PGM_RSRC3_GFX90A:TG_SPLIT: 0
	.section	.text._ZN5aiter35fused_qk_rmsnorm_group_quant_kernelIDF16_N4opus5fp4_tELi64ELi8ELi8ELb1ELb0ELb1ELb0ELb0ELb0EEEvPT0_PvPT_S7_S7_PKS6_S9_S9_S9_S9_ffiiiiiiiiiiiii,"axG",@progbits,_ZN5aiter35fused_qk_rmsnorm_group_quant_kernelIDF16_N4opus5fp4_tELi64ELi8ELi8ELb1ELb0ELb1ELb0ELb0ELb0EEEvPT0_PvPT_S7_S7_PKS6_S9_S9_S9_S9_ffiiiiiiiiiiiii,comdat
	.protected	_ZN5aiter35fused_qk_rmsnorm_group_quant_kernelIDF16_N4opus5fp4_tELi64ELi8ELi8ELb1ELb0ELb1ELb0ELb0ELb0EEEvPT0_PvPT_S7_S7_PKS6_S9_S9_S9_S9_ffiiiiiiiiiiiii ; -- Begin function _ZN5aiter35fused_qk_rmsnorm_group_quant_kernelIDF16_N4opus5fp4_tELi64ELi8ELi8ELb1ELb0ELb1ELb0ELb0ELb0EEEvPT0_PvPT_S7_S7_PKS6_S9_S9_S9_S9_ffiiiiiiiiiiiii
	.globl	_ZN5aiter35fused_qk_rmsnorm_group_quant_kernelIDF16_N4opus5fp4_tELi64ELi8ELi8ELb1ELb0ELb1ELb0ELb0ELb0EEEvPT0_PvPT_S7_S7_PKS6_S9_S9_S9_S9_ffiiiiiiiiiiiii
	.p2align	8
	.type	_ZN5aiter35fused_qk_rmsnorm_group_quant_kernelIDF16_N4opus5fp4_tELi64ELi8ELi8ELb1ELb0ELb1ELb0ELb0ELb0EEEvPT0_PvPT_S7_S7_PKS6_S9_S9_S9_S9_ffiiiiiiiiiiiii,@function
_ZN5aiter35fused_qk_rmsnorm_group_quant_kernelIDF16_N4opus5fp4_tELi64ELi8ELi8ELb1ELb0ELb1ELb0ELb0ELb0EEEvPT0_PvPT_S7_S7_PKS6_S9_S9_S9_S9_ffiiiiiiiiiiiii: ; @_ZN5aiter35fused_qk_rmsnorm_group_quant_kernelIDF16_N4opus5fp4_tELi64ELi8ELi8ELb1ELb0ELb1ELb0ELb0ELb0EEEvPT0_PvPT_S7_S7_PKS6_S9_S9_S9_S9_ffiiiiiiiiiiiii
; %bb.0:
	s_load_dwordx8 s[8:15], s[4:5], 0x50
	s_waitcnt lgkmcnt(0)
	s_cmp_ge_i32 s6, s10
	s_cbranch_scc1 .LBB171_15
; %bb.1:
	s_cmp_lg_u32 s7, 0
	s_cselect_b64 s[2:3], -1, 0
	s_cmp_eq_u32 s7, 0
	s_cselect_b64 s[24:25], -1, 0
	s_and_b64 s[0:1], s[24:25], exec
	s_load_dwordx2 s[16:17], s[4:5], 0x48
	s_load_dwordx2 s[30:31], s[4:5], 0x30
	s_load_dwordx4 s[20:23], s[4:5], 0x70
	s_cselect_b32 s7, s11, s12
	s_add_i32 s0, s7, 1
	s_lshr_b32 s1, s0, 31
	s_add_i32 s0, s0, s1
	s_lshl_b32 s0, s0, 1
	v_lshlrev_b32_e32 v1, 3, v0
	s_and_b32 s26, s0, -4
	v_cmp_gt_i32_e64 s[0:1], s7, v1
	v_mov_b32_e32 v2, 0
	v_mov_b32_e32 v3, 0
	v_mov_b32_e32 v4, 0
	v_mov_b32_e32 v5, 0
	v_mov_b32_e32 v6, 0
	v_mov_b32_e32 v7, 0
	v_mov_b32_e32 v8, 0
	v_mov_b32_e32 v9, 0
	s_and_saveexec_b64 s[18:19], s[0:1]
	s_cbranch_execz .LBB171_3
; %bb.2:
	s_load_dwordx2 s[28:29], s[4:5], 0x28
	s_load_dwordx2 s[34:35], s[4:5], 0x40
	s_and_b64 s[36:37], s[24:25], exec
	s_cselect_b32 s10, s13, s14
	s_mov_b32 s27, 0x20000
	s_waitcnt lgkmcnt(0)
	s_cselect_b32 s13, s29, s31
	s_cselect_b32 s23, s28, s30
	s_mul_hi_i32 s29, s10, s6
	s_mul_i32 s28, s10, s6
	s_lshl_b64 s[28:29], s[28:29], 1
	s_add_u32 s36, s23, s28
	s_addc_u32 s10, s13, s29
	s_and_b64 s[24:25], s[24:25], exec
	s_cselect_b32 s24, s34, s16
	s_cselect_b32 s13, s35, s17
	v_lshlrev_b32_e32 v10, 4, v0
	s_and_b32 s37, s10, 0xffff
	s_mov_b32 s38, s26
	s_mov_b32 s39, s27
	s_and_b32 s25, s13, 0xffff
	buffer_load_dwordx4 v[6:9], v10, s[36:39], 0 offen glc slc
	buffer_load_dwordx4 v[2:5], v10, s[24:27], 0 offen
.LBB171_3:
	s_or_b64 exec, exec, s[18:19]
	s_load_dwordx2 s[28:29], s[4:5], 0x80
	s_and_b64 vcc, exec, s[2:3]
	s_cbranch_vccz .LBB171_7
; %bb.4:
	v_mov_b32_e32 v11, 0
	v_mov_b32_e32 v10, 0
	;; [unrolled: 1-line block ×8, first 2 shown]
	s_and_saveexec_b64 s[18:19], s[0:1]
	s_cbranch_execz .LBB171_6
; %bb.5:
	s_waitcnt vmcnt(1)
	v_cvt_f32_f16_sdwa v13, v6 dst_sel:DWORD dst_unused:UNUSED_PAD src0_sel:WORD_1
	v_cvt_f32_f16_e32 v12, v6
	v_cvt_f32_f16_sdwa v17, v7 dst_sel:DWORD dst_unused:UNUSED_PAD src0_sel:WORD_1
	v_cvt_f32_f16_e32 v16, v7
	;; [unrolled: 2-line block ×4, first 2 shown]
.LBB171_6:
	s_or_b64 exec, exec, s[18:19]
	s_mov_b32 s10, s9
	s_cbranch_execz .LBB171_8
	s_branch .LBB171_11
.LBB171_7:
                                        ; implicit-def: $vgpr11
                                        ; implicit-def: $vgpr15
                                        ; implicit-def: $vgpr17
                                        ; implicit-def: $vgpr13
	s_mov_b32 s10, s9
.LBB171_8:
	v_mov_b32_e32 v11, 0
	v_mov_b32_e32 v10, 0
	;; [unrolled: 1-line block ×8, first 2 shown]
	s_and_saveexec_b64 s[18:19], s[0:1]
	s_cbranch_execz .LBB171_10
; %bb.9:
	s_load_dwordx2 s[24:25], s[4:5], 0x38
	s_mul_hi_i32 s35, s15, s6
	s_mul_i32 s34, s15, s6
	s_lshl_b64 s[34:35], s[34:35], 1
	s_mov_b32 s27, 0x20000
	s_waitcnt lgkmcnt(0)
	s_add_u32 s24, s24, s34
	s_addc_u32 s10, s25, s35
	s_and_b32 s25, s10, 0xffff
	v_lshlrev_b32_e32 v24, 4, v0
	buffer_load_dwordx4 v[10:13], v24, s[24:27], 0 offen glc slc
	s_waitcnt vmcnt(2)
	v_cvt_f32_f16_sdwa v15, v6 dst_sel:DWORD dst_unused:UNUSED_PAD src0_sel:WORD_1
	v_cvt_f32_f16_e32 v14, v6
	v_cvt_f32_f16_sdwa v17, v7 dst_sel:DWORD dst_unused:UNUSED_PAD src0_sel:WORD_1
	v_cvt_f32_f16_e32 v16, v7
	;; [unrolled: 2-line block ×4, first 2 shown]
	s_load_dwordx2 s[24:25], s[4:5], 0x20
	s_mul_hi_i32 s35, s29, s6
	s_mul_i32 s34, s29, s6
	s_lshl_b64 s[34:35], s[34:35], 1
	s_waitcnt lgkmcnt(0)
	s_add_u32 s24, s24, s34
	s_addc_u32 s10, s25, s35
	s_and_b32 s25, s10, 0xffff
	s_waitcnt vmcnt(0)
	v_cvt_f32_f16_e32 v8, v10
	v_cvt_f32_f16_sdwa v9, v10 dst_sel:DWORD dst_unused:UNUSED_PAD src0_sel:WORD_1
	v_cvt_f32_f16_e32 v10, v11
	v_cvt_f32_f16_sdwa v11, v11 dst_sel:DWORD dst_unused:UNUSED_PAD src0_sel:WORD_1
	v_cvt_f32_f16_e32 v20, v12
	v_cvt_f32_f16_sdwa v21, v12 dst_sel:DWORD dst_unused:UNUSED_PAD src0_sel:WORD_1
	v_cvt_f32_f16_e32 v22, v13
	v_cvt_f32_f16_sdwa v23, v13 dst_sel:DWORD dst_unused:UNUSED_PAD src0_sel:WORD_1
	v_pk_add_f32 v[12:13], v[14:15], v[8:9]
	v_pk_add_f32 v[16:17], v[16:17], v[10:11]
	;; [unrolled: 1-line block ×4, first 2 shown]
	v_cvt_f16_f32_e32 v6, v13
	v_cvt_f16_f32_e32 v7, v17
	;; [unrolled: 1-line block ×8, first 2 shown]
	v_pack_b32_f16 v9, v18, v9
	v_pack_b32_f16 v8, v19, v8
	;; [unrolled: 1-line block ×4, first 2 shown]
	buffer_store_dwordx4 v[6:9], v24, s[24:27], 0 offen glc slc
	;;#ASMSTART
	s_nop 0
	;;#ASMEND
.LBB171_10:
	s_or_b64 exec, exec, s[18:19]
	s_mov_b32 s10, s8
.LBB171_11:
	s_waitcnt vmcnt(1)
	v_mul_f32_e32 v6, v13, v13
	v_fmac_f32_e32 v6, v12, v12
	v_fmac_f32_e32 v6, v16, v16
	;; [unrolled: 1-line block ×7, first 2 shown]
	v_bfrev_b32_e32 v8, 0.5
	s_load_dwordx2 s[34:35], s[4:5], 0x18
	v_mov_b32_dpp v7, v6 quad_perm:[1,0,3,2] row_mask:0xf bank_mask:0xf
	v_add_f32_e32 v6, v6, v7
	s_nop 1
	v_mov_b32_dpp v7, v6 quad_perm:[2,3,0,1] row_mask:0xf bank_mask:0xf
	v_add_f32_e32 v6, v6, v7
	s_nop 1
	v_mov_b32_dpp v7, v6 row_half_mirror row_mask:0xf bank_mask:0xf
	v_add_f32_e32 v6, v6, v7
	s_nop 1
	v_mov_b32_dpp v7, v6 row_mirror row_mask:0xf bank_mask:0xf
	v_add_f32_e32 v6, v6, v7
	s_nop 1
	v_mov_b32_dpp v7, v6 row_bcast:15 row_mask:0xf bank_mask:0xf
	v_add_f32_e32 v6, v6, v7
	s_nop 1
	v_mov_b32_dpp v7, v6 row_bcast:31 row_mask:0xf bank_mask:0xf
	v_add_f32_e32 v6, v6, v7
	v_mbcnt_lo_u32_b32 v7, -1, 0
	v_mbcnt_hi_u32_b32 v7, -1, v7
	v_lshl_or_b32 v18, v7, 2, v8
	ds_bpermute_b32 v6, v18, v6
	s_and_saveexec_b64 s[18:19], s[0:1]
	s_cbranch_execnz .LBB171_16
; %bb.12:
	s_or_b64 exec, exec, s[18:19]
	s_mov_b64 s[18:19], -1
	s_and_b64 vcc, exec, s[2:3]
	s_cbranch_vccnz .LBB171_17
.LBB171_13:
	s_andn2_b64 vcc, exec, s[18:19]
	s_cbranch_vccz .LBB171_20
.LBB171_14:
	s_cmp_lt_i32 s12, 1
	s_cbranch_scc0 .LBB171_27
.LBB171_15:
	s_endpgm
.LBB171_16:
	v_cvt_f32_u32_e32 v7, s7
	s_mov_b32 s7, 0x800000
	s_waitcnt lgkmcnt(0)
	v_div_scale_f32 v8, s[24:25], v7, v7, v6
	v_rcp_f32_e32 v9, v8
	v_div_scale_f32 v19, vcc, v6, v7, v6
	v_fma_f32 v20, -v8, v9, 1.0
	v_fmac_f32_e32 v9, v20, v9
	v_mul_f32_e32 v20, v19, v9
	v_fma_f32 v21, -v8, v20, v19
	v_fmac_f32_e32 v20, v21, v9
	v_fma_f32 v8, -v8, v20, v19
	v_div_fmas_f32 v8, v8, v9, v20
	v_div_fixup_f32 v6, v8, v7, v6
	v_add_f32_e32 v6, s10, v6
	v_mul_f32_e32 v7, 0x4b800000, v6
	v_cmp_gt_f32_e32 vcc, s7, v6
	v_cndmask_b32_e32 v6, v6, v7, vcc
	v_rsq_f32_e32 v6, v6
	s_waitcnt vmcnt(0)
	v_cvt_f32_f16_sdwa v7, v2 dst_sel:DWORD dst_unused:UNUSED_PAD src0_sel:WORD_1
	v_cvt_f32_f16_sdwa v21, v3 dst_sel:DWORD dst_unused:UNUSED_PAD src0_sel:WORD_1
	v_cvt_f32_f16_e32 v20, v3
	v_mul_f32_e32 v8, 0x45800000, v6
	v_cndmask_b32_e32 v8, v6, v8, vcc
	v_mov_b32_e32 v9, v8
	;;#ASMSTART
	v_pk_mul_f32 v[12:13], v[12:13], v[8:9]
	;;#ASMEND
	;;#ASMSTART
	v_pk_mul_f32 v[16:17], v[16:17], v[8:9]
	;;#ASMEND
	;; [unrolled: 3-line block ×3, first 2 shown]
	v_cvt_f32_f16_e32 v6, v2
	;;#ASMSTART
	v_pk_mul_f32 v[2:3], v[10:11], v[8:9]
	;;#ASMEND
	v_cvt_f32_f16_sdwa v9, v4 dst_sel:DWORD dst_unused:UNUSED_PAD src0_sel:WORD_1
	v_cvt_f32_f16_e32 v8, v4
	v_cvt_f32_f16_sdwa v11, v5 dst_sel:DWORD dst_unused:UNUSED_PAD src0_sel:WORD_1
	v_cvt_f32_f16_e32 v10, v5
	v_pk_add_f32 v[6:7], v[6:7], 1.0 op_sel_hi:[1,0]
	v_pk_add_f32 v[4:5], v[8:9], 1.0 op_sel_hi:[1,0]
	;;#ASMSTART
	v_pk_mul_f32 v[12:13], v[12:13], v[6:7]
	;;#ASMEND
	v_pk_add_f32 v[6:7], v[20:21], 1.0 op_sel_hi:[1,0]
	;;#ASMSTART
	v_pk_mul_f32 v[16:17], v[16:17], v[6:7]
	;;#ASMEND
	;;#ASMSTART
	v_pk_mul_f32 v[14:15], v[14:15], v[4:5]
	;;#ASMEND
	v_pk_add_f32 v[4:5], v[10:11], 1.0 op_sel_hi:[1,0]
	;;#ASMSTART
	v_pk_mul_f32 v[10:11], v[2:3], v[4:5]
	;;#ASMEND
	s_or_b64 exec, exec, s[18:19]
	s_mov_b64 s[18:19], -1
	s_and_b64 vcc, exec, s[2:3]
	s_cbranch_vccz .LBB171_13
.LBB171_17:
	s_and_saveexec_b64 s[2:3], s[0:1]
	s_cbranch_execz .LBB171_19
; %bb.18:
	s_waitcnt lgkmcnt(0)
	s_mul_hi_i32 s19, s28, s6
	s_mul_i32 s18, s28, s6
	s_waitcnt vmcnt(0)
	v_cvt_f16_f32_e32 v2, v12
	v_cvt_f16_f32_e32 v3, v16
	;; [unrolled: 1-line block ×8, first 2 shown]
	s_lshl_b64 s[18:19], s[18:19], 1
	s_add_u32 s24, s34, s18
	s_addc_u32 s7, s35, s19
	s_and_b32 s25, s7, 0xffff
	s_mov_b32 s27, 0x20000
	v_pack_b32_f16 v5, v5, v6
	v_pack_b32_f16 v4, v4, v7
	;; [unrolled: 1-line block ×4, first 2 shown]
	v_lshlrev_b32_e32 v6, 4, v0
	buffer_store_dwordx4 v[2:5], v6, s[24:27], 0 offen
	;;#ASMSTART
	s_nop 0
	;;#ASMEND
.LBB171_19:
	s_or_b64 exec, exec, s[2:3]
	s_cbranch_execnz .LBB171_14
.LBB171_20:
	s_waitcnt vmcnt(0)
	v_mov_b32_e32 v2, 0
	s_and_saveexec_b64 s[2:3], s[0:1]
	s_cbranch_execz .LBB171_22
; %bb.21:
	v_and_b32_e32 v2, 0x7fffffff, v12
	v_and_b32_e32 v3, 0x7fffffff, v13
	v_mov_b32_e32 v4, 0x2edbe6ff
	;;#ASMSTART
	v_max3_f32 v2, v4, v2, v3

	;;#ASMEND
	v_and_b32_e32 v3, 0x7fffffff, v16
	v_and_b32_e32 v4, 0x7fffffff, v17
	;;#ASMSTART
	v_max3_f32 v2, v2, v3, v4

	;;#ASMEND
	v_and_b32_e32 v3, 0x7fffffff, v14
	v_and_b32_e32 v4, 0x7fffffff, v15
	;; [unrolled: 6-line block ×3, first 2 shown]
	;;#ASMSTART
	v_max3_f32 v2, v2, v3, v4

	;;#ASMEND
.LBB171_22:
	s_or_b64 exec, exec, s[2:3]
	;;#ASMSTART
	v_max_f32 v3, v2, v2 quad_perm:[1,0,3,2] row_mask:0xf bank_mask:0xf bound_ctrl:1
	;;#ASMEND
	;;#ASMSTART
	v_max_f32 v4, v3, v3 quad_perm:[2,3,0,1] row_mask:0xf bank_mask:0xf bound_ctrl:1
	;;#ASMEND
	v_and_b32_e32 v3, 7, v0
	v_cmp_eq_u32_e32 vcc, 0, v3
	v_cmp_gt_i32_e64 s[2:3], s11, v1
	s_and_b64 s[18:19], vcc, s[2:3]
	;;#ASMSTART
	v_max_f32 v2, v4, v4 row_half_mirror row_mask:0xf bank_mask:0xf bound_ctrl:1
	;;#ASMEND
	s_and_saveexec_b64 s[2:3], s[18:19]
	s_cbranch_execz .LBB171_24
; %bb.23:
	s_load_dwordx2 s[18:19], s[4:5], 0x8
	v_mul_f32_e32 v2, 0x3e2aaaab, v2
	v_lshrrev_b32_e32 v3, 23, v2
	v_and_b32_e32 v4, 0x7f800000, v2
	v_and_b32_e32 v2, 0x7fffff, v2
	v_cmp_ne_u32_e32 vcc, 0, v2
	s_waitcnt lgkmcnt(0)
	s_mul_i32 s10, s21, s6
	s_mov_b32 s7, 0x7f800000
	v_addc_co_u32_e32 v2, vcc, 0, v3, vcc
	s_mul_hi_i32 s8, s21, s6
	s_add_u32 s18, s18, s10
	v_cmp_ne_u32_e32 vcc, s7, v4
	s_addc_u32 s19, s19, s8
	v_lshrrev_b32_e32 v5, 3, v0
	v_cndmask_b32_e32 v4, -1, v2, vcc
	v_pk_mov_b32 v[2:3], s[18:19], s[18:19] op_sel:[0,1]
	v_mad_i64_i32 v[2:3], s[18:19], s22, v5, v[2:3]
	global_store_byte v[2:3], v4, off
.LBB171_24:
	s_or_b64 exec, exec, s[2:3]
	s_and_saveexec_b64 s[2:3], s[0:1]
	s_cbranch_execz .LBB171_26
; %bb.25:
	s_load_dwordx2 s[0:1], s[4:5], 0x0
	s_waitcnt lgkmcnt(0)
	s_mul_i32 s8, s20, s6
	s_mul_hi_i32 s7, s20, s6
	v_lshlrev_b32_e32 v2, 2, v0
	s_mov_b32 s23, 0x20000
	s_add_u32 s20, s0, s8
	s_addc_u32 s0, s1, s7
	s_lshr_b32 s1, s11, 31
	s_add_i32 s1, s11, s1
	s_ashr_i32 s1, s1, 1
	s_add_i32 s1, s1, 3
	s_ashr_i32 s7, s1, 31
	s_lshr_b32 s7, s7, 30
	s_add_i32 s1, s1, s7
	s_and_b32 s22, s1, -4
	s_and_b32 s21, s0, 0xffff
	v_mov_b32_e32 v3, 0
	buffer_store_dword v3, v2, s[20:23], 0 offen
	;;#ASMSTART
	s_nop 0
	;;#ASMEND
.LBB171_26:
	s_or_b64 exec, exec, s[2:3]
	s_cmp_lt_i32 s12, 1
	s_cbranch_scc1 .LBB171_15
.LBB171_27:
	s_load_dword s0, s[4:5], 0x94
	s_waitcnt lgkmcnt(0)
	s_cmp_lg_u32 s0, 1
	s_cbranch_scc1 .LBB171_15
; %bb.28:
	s_lshl_b32 s0, s12, 1
	s_add_i32 s0, s0, 2
	v_cmp_gt_u32_e32 vcc, s12, v1
	s_and_b32 s18, s0, -4
	v_mov_b32_e32 v8, 0
	v_lshlrev_b32_e32 v16, 4, v0
	s_waitcnt vmcnt(0)
	v_mov_b32_e32 v4, 0
	v_mov_b32_e32 v5, 0
	;; [unrolled: 1-line block ×8, first 2 shown]
	s_barrier
	s_and_saveexec_b64 s[0:1], vcc
	s_cbranch_execz .LBB171_30
; %bb.29:
	s_mul_hi_i32 s3, s14, s6
	s_mul_i32 s2, s14, s6
	s_and_b32 s17, s17, 0xffff
	s_lshl_b64 s[2:3], s[2:3], 1
	s_add_u32 s20, s30, s2
	s_mov_b32 s19, 0x20000
	s_addc_u32 s2, s31, s3
	s_and_b32 s21, s2, 0xffff
	s_mov_b32 s22, s18
	s_mov_b32 s23, s19
	buffer_load_dwordx4 v[4:7], v16, s[20:23], 0 offen glc slc
	buffer_load_dwordx4 v[0:3], v16, s[16:19], 0 offen
.LBB171_30:
	s_or_b64 exec, exec, s[0:1]
	v_mov_b32_e32 v9, 0
	v_mov_b32_e32 v12, 0
	;; [unrolled: 1-line block ×7, first 2 shown]
	s_and_saveexec_b64 s[0:1], vcc
	s_cbranch_execz .LBB171_32
; %bb.31:
	s_waitcnt vmcnt(1)
	v_cvt_f32_f16_sdwa v9, v4 dst_sel:DWORD dst_unused:UNUSED_PAD src0_sel:WORD_1
	v_cvt_f32_f16_e32 v8, v4
	v_cvt_f32_f16_sdwa v13, v5 dst_sel:DWORD dst_unused:UNUSED_PAD src0_sel:WORD_1
	v_cvt_f32_f16_e32 v12, v5
	;; [unrolled: 2-line block ×4, first 2 shown]
.LBB171_32:
	s_or_b64 exec, exec, s[0:1]
	s_waitcnt vmcnt(1)
	v_mul_f32_e32 v4, v9, v9
	v_fmac_f32_e32 v4, v8, v8
	v_fmac_f32_e32 v4, v12, v12
	;; [unrolled: 1-line block ×7, first 2 shown]
	s_nop 1
	v_mov_b32_dpp v5, v4 quad_perm:[1,0,3,2] row_mask:0xf bank_mask:0xf
	v_add_f32_e32 v4, v4, v5
	s_nop 1
	v_mov_b32_dpp v5, v4 quad_perm:[2,3,0,1] row_mask:0xf bank_mask:0xf
	v_add_f32_e32 v4, v4, v5
	s_nop 1
	v_mov_b32_dpp v5, v4 row_half_mirror row_mask:0xf bank_mask:0xf
	v_add_f32_e32 v4, v4, v5
	s_nop 1
	v_mov_b32_dpp v5, v4 row_mirror row_mask:0xf bank_mask:0xf
	v_add_f32_e32 v4, v4, v5
	s_nop 1
	v_mov_b32_dpp v5, v4 row_bcast:15 row_mask:0xf bank_mask:0xf
	v_add_f32_e32 v4, v4, v5
	s_nop 1
	v_mov_b32_dpp v5, v4 row_bcast:31 row_mask:0xf bank_mask:0xf
	v_add_f32_e32 v4, v4, v5
	ds_bpermute_b32 v4, v18, v4
	s_and_saveexec_b64 s[0:1], vcc
	s_cbranch_execz .LBB171_15
; %bb.33:
	v_cvt_f32_u32_e32 v5, s12
	s_mov_b32 s19, 0x20000
	s_waitcnt lgkmcnt(0)
	v_div_scale_f32 v6, s[0:1], v5, v5, v4
	v_rcp_f32_e32 v7, v6
	v_div_scale_f32 v17, vcc, v4, v5, v4
	s_mov_b32 s0, 0x800000
	v_fma_f32 v18, -v6, v7, 1.0
	v_fmac_f32_e32 v7, v18, v7
	v_mul_f32_e32 v18, v17, v7
	v_fma_f32 v19, -v6, v18, v17
	v_fmac_f32_e32 v18, v19, v7
	v_fma_f32 v6, -v6, v18, v17
	v_div_fmas_f32 v6, v6, v7, v18
	v_div_fixup_f32 v4, v6, v5, v4
	v_add_f32_e32 v4, s9, v4
	v_mul_f32_e32 v5, 0x4b800000, v4
	v_cmp_gt_f32_e32 vcc, s0, v4
	v_cndmask_b32_e32 v4, v4, v5, vcc
	v_rsq_f32_e32 v4, v4
	s_waitcnt vmcnt(0)
	v_cvt_f32_f16_sdwa v5, v0 dst_sel:DWORD dst_unused:UNUSED_PAD src0_sel:WORD_1
	v_cvt_f32_f16_sdwa v19, v1 dst_sel:DWORD dst_unused:UNUSED_PAD src0_sel:WORD_1
	v_cvt_f32_f16_e32 v18, v1
	v_mul_f32_e32 v6, 0x45800000, v4
	v_cndmask_b32_e32 v6, v4, v6, vcc
	v_cvt_f32_f16_e32 v4, v0
	v_mov_b32_e32 v7, v6
	;;#ASMSTART
	v_pk_mul_f32 v[8:9], v[8:9], v[6:7]
	;;#ASMEND
	;;#ASMSTART
	v_pk_mul_f32 v[12:13], v[12:13], v[6:7]
	;;#ASMEND
	v_pk_add_f32 v[4:5], v[4:5], 1.0 op_sel_hi:[1,0]
	;;#ASMSTART
	v_pk_mul_f32 v[14:15], v[14:15], v[6:7]
	;;#ASMEND
	;;#ASMSTART
	v_pk_mul_f32 v[0:1], v[10:11], v[6:7]
	;;#ASMEND
	;; [unrolled: 3-line block ×3, first 2 shown]
	v_cvt_f32_f16_sdwa v9, v2 dst_sel:DWORD dst_unused:UNUSED_PAD src0_sel:WORD_1
	v_cvt_f32_f16_e32 v8, v2
	v_cvt_f32_f16_sdwa v11, v3 dst_sel:DWORD dst_unused:UNUSED_PAD src0_sel:WORD_1
	v_cvt_f32_f16_e32 v10, v3
	v_pk_add_f32 v[6:7], v[18:19], 1.0 op_sel_hi:[1,0]
	;;#ASMSTART
	v_pk_mul_f32 v[2:3], v[12:13], v[6:7]
	;;#ASMEND
	v_pk_add_f32 v[6:7], v[8:9], 1.0 op_sel_hi:[1,0]
	;;#ASMSTART
	v_pk_mul_f32 v[6:7], v[14:15], v[6:7]
	;;#ASMEND
	;; [unrolled: 4-line block ×3, first 2 shown]
	s_mul_hi_i32 s1, s28, s6
	s_mul_i32 s0, s28, s6
	v_cvt_f16_f32_e32 v4, v4
	v_cvt_f16_f32_e32 v5, v5
	;; [unrolled: 1-line block ×8, first 2 shown]
	s_lshl_b64 s[0:1], s[0:1], 1
	s_add_u32 s16, s34, s0
	s_addc_u32 s0, s35, s1
	s_and_b32 s17, s0, 0xffff
	v_pack_b32_f16 v0, v4, v5
	v_pack_b32_f16 v1, v2, v3
	;; [unrolled: 1-line block ×4, first 2 shown]
	buffer_store_dwordx4 v[0:3], v16, s[16:19], 0 offen
	;;#ASMSTART
	s_nop 0
	;;#ASMEND
	s_endpgm
	.section	.rodata,"a",@progbits
	.p2align	6, 0x0
	.amdhsa_kernel _ZN5aiter35fused_qk_rmsnorm_group_quant_kernelIDF16_N4opus5fp4_tELi64ELi8ELi8ELb1ELb0ELb1ELb0ELb0ELb0EEEvPT0_PvPT_S7_S7_PKS6_S9_S9_S9_S9_ffiiiiiiiiiiiii
		.amdhsa_group_segment_fixed_size 0
		.amdhsa_private_segment_fixed_size 0
		.amdhsa_kernarg_size 400
		.amdhsa_user_sgpr_count 6
		.amdhsa_user_sgpr_private_segment_buffer 1
		.amdhsa_user_sgpr_dispatch_ptr 0
		.amdhsa_user_sgpr_queue_ptr 0
		.amdhsa_user_sgpr_kernarg_segment_ptr 1
		.amdhsa_user_sgpr_dispatch_id 0
		.amdhsa_user_sgpr_flat_scratch_init 0
		.amdhsa_user_sgpr_kernarg_preload_length 0
		.amdhsa_user_sgpr_kernarg_preload_offset 0
		.amdhsa_user_sgpr_private_segment_size 0
		.amdhsa_uses_dynamic_stack 0
		.amdhsa_system_sgpr_private_segment_wavefront_offset 0
		.amdhsa_system_sgpr_workgroup_id_x 1
		.amdhsa_system_sgpr_workgroup_id_y 1
		.amdhsa_system_sgpr_workgroup_id_z 0
		.amdhsa_system_sgpr_workgroup_info 0
		.amdhsa_system_vgpr_workitem_id 0
		.amdhsa_next_free_vgpr 25
		.amdhsa_next_free_sgpr 40
		.amdhsa_accum_offset 28
		.amdhsa_reserve_vcc 1
		.amdhsa_reserve_flat_scratch 0
		.amdhsa_float_round_mode_32 0
		.amdhsa_float_round_mode_16_64 0
		.amdhsa_float_denorm_mode_32 3
		.amdhsa_float_denorm_mode_16_64 3
		.amdhsa_dx10_clamp 1
		.amdhsa_ieee_mode 1
		.amdhsa_fp16_overflow 0
		.amdhsa_tg_split 0
		.amdhsa_exception_fp_ieee_invalid_op 0
		.amdhsa_exception_fp_denorm_src 0
		.amdhsa_exception_fp_ieee_div_zero 0
		.amdhsa_exception_fp_ieee_overflow 0
		.amdhsa_exception_fp_ieee_underflow 0
		.amdhsa_exception_fp_ieee_inexact 0
		.amdhsa_exception_int_div_zero 0
	.end_amdhsa_kernel
	.section	.text._ZN5aiter35fused_qk_rmsnorm_group_quant_kernelIDF16_N4opus5fp4_tELi64ELi8ELi8ELb1ELb0ELb1ELb0ELb0ELb0EEEvPT0_PvPT_S7_S7_PKS6_S9_S9_S9_S9_ffiiiiiiiiiiiii,"axG",@progbits,_ZN5aiter35fused_qk_rmsnorm_group_quant_kernelIDF16_N4opus5fp4_tELi64ELi8ELi8ELb1ELb0ELb1ELb0ELb0ELb0EEEvPT0_PvPT_S7_S7_PKS6_S9_S9_S9_S9_ffiiiiiiiiiiiii,comdat
.Lfunc_end171:
	.size	_ZN5aiter35fused_qk_rmsnorm_group_quant_kernelIDF16_N4opus5fp4_tELi64ELi8ELi8ELb1ELb0ELb1ELb0ELb0ELb0EEEvPT0_PvPT_S7_S7_PKS6_S9_S9_S9_S9_ffiiiiiiiiiiiii, .Lfunc_end171-_ZN5aiter35fused_qk_rmsnorm_group_quant_kernelIDF16_N4opus5fp4_tELi64ELi8ELi8ELb1ELb0ELb1ELb0ELb0ELb0EEEvPT0_PvPT_S7_S7_PKS6_S9_S9_S9_S9_ffiiiiiiiiiiiii
                                        ; -- End function
	.section	.AMDGPU.csdata,"",@progbits
; Kernel info:
; codeLenInByte = 2616
; NumSgprs: 44
; NumVgprs: 25
; NumAgprs: 0
; TotalNumVgprs: 25
; ScratchSize: 0
; MemoryBound: 0
; FloatMode: 240
; IeeeMode: 1
; LDSByteSize: 0 bytes/workgroup (compile time only)
; SGPRBlocks: 5
; VGPRBlocks: 3
; NumSGPRsForWavesPerEU: 44
; NumVGPRsForWavesPerEU: 25
; AccumOffset: 28
; Occupancy: 8
; WaveLimiterHint : 0
; COMPUTE_PGM_RSRC2:SCRATCH_EN: 0
; COMPUTE_PGM_RSRC2:USER_SGPR: 6
; COMPUTE_PGM_RSRC2:TRAP_HANDLER: 0
; COMPUTE_PGM_RSRC2:TGID_X_EN: 1
; COMPUTE_PGM_RSRC2:TGID_Y_EN: 1
; COMPUTE_PGM_RSRC2:TGID_Z_EN: 0
; COMPUTE_PGM_RSRC2:TIDIG_COMP_CNT: 0
; COMPUTE_PGM_RSRC3_GFX90A:ACCUM_OFFSET: 6
; COMPUTE_PGM_RSRC3_GFX90A:TG_SPLIT: 0
	.section	.text._ZN5aiter35fused_qk_rmsnorm_group_quant_kernelItN4opus5fp4_tELi64ELi8ELi8ELb1ELb0ELb1ELb0ELb0ELb0EEEvPT0_PvPT_S7_S7_PKS6_S9_S9_S9_S9_ffiiiiiiiiiiiii,"axG",@progbits,_ZN5aiter35fused_qk_rmsnorm_group_quant_kernelItN4opus5fp4_tELi64ELi8ELi8ELb1ELb0ELb1ELb0ELb0ELb0EEEvPT0_PvPT_S7_S7_PKS6_S9_S9_S9_S9_ffiiiiiiiiiiiii,comdat
	.protected	_ZN5aiter35fused_qk_rmsnorm_group_quant_kernelItN4opus5fp4_tELi64ELi8ELi8ELb1ELb0ELb1ELb0ELb0ELb0EEEvPT0_PvPT_S7_S7_PKS6_S9_S9_S9_S9_ffiiiiiiiiiiiii ; -- Begin function _ZN5aiter35fused_qk_rmsnorm_group_quant_kernelItN4opus5fp4_tELi64ELi8ELi8ELb1ELb0ELb1ELb0ELb0ELb0EEEvPT0_PvPT_S7_S7_PKS6_S9_S9_S9_S9_ffiiiiiiiiiiiii
	.globl	_ZN5aiter35fused_qk_rmsnorm_group_quant_kernelItN4opus5fp4_tELi64ELi8ELi8ELb1ELb0ELb1ELb0ELb0ELb0EEEvPT0_PvPT_S7_S7_PKS6_S9_S9_S9_S9_ffiiiiiiiiiiiii
	.p2align	8
	.type	_ZN5aiter35fused_qk_rmsnorm_group_quant_kernelItN4opus5fp4_tELi64ELi8ELi8ELb1ELb0ELb1ELb0ELb0ELb0EEEvPT0_PvPT_S7_S7_PKS6_S9_S9_S9_S9_ffiiiiiiiiiiiii,@function
_ZN5aiter35fused_qk_rmsnorm_group_quant_kernelItN4opus5fp4_tELi64ELi8ELi8ELb1ELb0ELb1ELb0ELb0ELb0EEEvPT0_PvPT_S7_S7_PKS6_S9_S9_S9_S9_ffiiiiiiiiiiiii: ; @_ZN5aiter35fused_qk_rmsnorm_group_quant_kernelItN4opus5fp4_tELi64ELi8ELi8ELb1ELb0ELb1ELb0ELb0ELb0EEEvPT0_PvPT_S7_S7_PKS6_S9_S9_S9_S9_ffiiiiiiiiiiiii
; %bb.0:
	s_load_dwordx8 s[8:15], s[4:5], 0x50
	s_waitcnt lgkmcnt(0)
	s_cmp_ge_i32 s6, s10
	s_cbranch_scc1 .LBB172_15
; %bb.1:
	s_cmp_lg_u32 s7, 0
	s_cselect_b64 s[2:3], -1, 0
	s_cmp_eq_u32 s7, 0
	s_cselect_b64 s[24:25], -1, 0
	s_and_b64 s[0:1], s[24:25], exec
	s_load_dwordx2 s[16:17], s[4:5], 0x48
	s_load_dwordx2 s[30:31], s[4:5], 0x30
	s_load_dwordx4 s[20:23], s[4:5], 0x70
	s_cselect_b32 s7, s11, s12
	s_add_i32 s0, s7, 1
	s_lshr_b32 s1, s0, 31
	s_add_i32 s0, s0, s1
	s_lshl_b32 s0, s0, 1
	v_lshlrev_b32_e32 v1, 3, v0
	s_and_b32 s26, s0, -4
	v_cmp_gt_i32_e64 s[0:1], s7, v1
	v_mov_b32_e32 v10, 0
	v_mov_b32_e32 v11, 0
	;; [unrolled: 1-line block ×8, first 2 shown]
	s_and_saveexec_b64 s[18:19], s[0:1]
	s_cbranch_execz .LBB172_3
; %bb.2:
	s_load_dwordx2 s[28:29], s[4:5], 0x28
	s_load_dwordx2 s[34:35], s[4:5], 0x40
	s_and_b64 s[36:37], s[24:25], exec
	s_cselect_b32 s10, s13, s14
	s_mov_b32 s27, 0x20000
	s_waitcnt lgkmcnt(0)
	s_cselect_b32 s13, s29, s31
	s_cselect_b32 s23, s28, s30
	s_mul_hi_i32 s29, s10, s6
	s_mul_i32 s28, s10, s6
	s_lshl_b64 s[28:29], s[28:29], 1
	s_add_u32 s36, s23, s28
	s_addc_u32 s10, s13, s29
	s_and_b64 s[24:25], s[24:25], exec
	s_cselect_b32 s24, s34, s16
	s_cselect_b32 s13, s35, s17
	v_lshlrev_b32_e32 v2, 4, v0
	s_and_b32 s37, s10, 0xffff
	s_mov_b32 s38, s26
	s_mov_b32 s39, s27
	s_and_b32 s25, s13, 0xffff
	buffer_load_dwordx4 v[14:17], v2, s[36:39], 0 offen glc slc
	buffer_load_dwordx4 v[10:13], v2, s[24:27], 0 offen
.LBB172_3:
	s_or_b64 exec, exec, s[18:19]
	s_load_dwordx2 s[28:29], s[4:5], 0x80
	s_and_b64 vcc, exec, s[2:3]
	s_cbranch_vccz .LBB172_7
; %bb.4:
	s_mov_b32 s36, 0
	s_mov_b32 s37, s36
	;; [unrolled: 1-line block ×8, first 2 shown]
	v_pk_mov_b32 v[2:3], s[36:37], s[36:37] op_sel:[0,1]
	v_pk_mov_b32 v[4:5], s[38:39], s[38:39] op_sel:[0,1]
	;; [unrolled: 1-line block ×4, first 2 shown]
	s_and_saveexec_b64 s[18:19], s[0:1]
	s_cbranch_execz .LBB172_6
; %bb.5:
	s_waitcnt vmcnt(1)
	v_cvt_f32_u32_sdwa v3, v14 dst_sel:DWORD dst_unused:UNUSED_PAD src0_sel:WORD_1
	v_cvt_f32_u32_sdwa v2, v14 dst_sel:DWORD dst_unused:UNUSED_PAD src0_sel:WORD_0
	v_cvt_f32_u32_sdwa v5, v15 dst_sel:DWORD dst_unused:UNUSED_PAD src0_sel:WORD_1
	v_cvt_f32_u32_sdwa v4, v15 dst_sel:DWORD dst_unused:UNUSED_PAD src0_sel:WORD_0
	v_cvt_f32_u32_sdwa v7, v16 dst_sel:DWORD dst_unused:UNUSED_PAD src0_sel:WORD_1
	v_cvt_f32_u32_sdwa v6, v16 dst_sel:DWORD dst_unused:UNUSED_PAD src0_sel:WORD_0
	v_cvt_f32_u32_sdwa v9, v17 dst_sel:DWORD dst_unused:UNUSED_PAD src0_sel:WORD_1
	v_cvt_f32_u32_sdwa v8, v17 dst_sel:DWORD dst_unused:UNUSED_PAD src0_sel:WORD_0
.LBB172_6:
	s_or_b64 exec, exec, s[18:19]
	s_mov_b32 s10, s9
	s_cbranch_execz .LBB172_8
	s_branch .LBB172_11
.LBB172_7:
                                        ; implicit-def: $vgpr2_vgpr3_vgpr4_vgpr5_vgpr6_vgpr7_vgpr8_vgpr9
	s_mov_b32 s10, s9
.LBB172_8:
	s_mov_b32 s36, 0
	s_mov_b32 s37, s36
	;; [unrolled: 1-line block ×8, first 2 shown]
	v_pk_mov_b32 v[2:3], s[36:37], s[36:37] op_sel:[0,1]
	v_pk_mov_b32 v[4:5], s[38:39], s[38:39] op_sel:[0,1]
	;; [unrolled: 1-line block ×4, first 2 shown]
	s_and_saveexec_b64 s[18:19], s[0:1]
	s_cbranch_execz .LBB172_10
; %bb.9:
	s_load_dwordx2 s[24:25], s[4:5], 0x38
	s_mul_hi_i32 s35, s15, s6
	s_mul_i32 s34, s15, s6
	s_lshl_b64 s[34:35], s[34:35], 1
	s_mov_b32 s27, 0x20000
	s_waitcnt lgkmcnt(0)
	s_add_u32 s24, s24, s34
	s_addc_u32 s10, s25, s35
	s_and_b32 s25, s10, 0xffff
	v_lshlrev_b32_e32 v26, 4, v0
	buffer_load_dwordx4 v[2:5], v26, s[24:27], 0 offen glc slc
	s_load_dwordx2 s[24:25], s[4:5], 0x20
	s_waitcnt vmcnt(2)
	v_cvt_f32_u32_sdwa v7, v14 dst_sel:DWORD dst_unused:UNUSED_PAD src0_sel:WORD_1
	v_cvt_f32_u32_sdwa v6, v14 dst_sel:DWORD dst_unused:UNUSED_PAD src0_sel:WORD_0
	v_cvt_f32_u32_sdwa v9, v15 dst_sel:DWORD dst_unused:UNUSED_PAD src0_sel:WORD_1
	v_cvt_f32_u32_sdwa v8, v15 dst_sel:DWORD dst_unused:UNUSED_PAD src0_sel:WORD_0
	;; [unrolled: 2-line block ×4, first 2 shown]
	s_mul_hi_i32 s35, s29, s6
	s_mul_i32 s34, s29, s6
	s_lshl_b64 s[34:35], s[34:35], 1
	s_waitcnt lgkmcnt(0)
	s_add_u32 s24, s24, s34
	s_mov_b32 s10, 0x7060302
	s_addc_u32 s13, s25, s35
	s_and_b32 s25, s13, 0xffff
	s_waitcnt vmcnt(0)
	v_cvt_f32_u32_sdwa v17, v2 dst_sel:DWORD dst_unused:UNUSED_PAD src0_sel:WORD_1
	v_cvt_f32_u32_sdwa v16, v2 dst_sel:DWORD dst_unused:UNUSED_PAD src0_sel:WORD_0
	v_cvt_f32_u32_sdwa v21, v3 dst_sel:DWORD dst_unused:UNUSED_PAD src0_sel:WORD_1
	v_cvt_f32_u32_sdwa v20, v3 dst_sel:DWORD dst_unused:UNUSED_PAD src0_sel:WORD_0
	;; [unrolled: 2-line block ×4, first 2 shown]
	v_pk_add_f32 v[2:3], v[6:7], v[16:17]
	v_pk_add_f32 v[4:5], v[8:9], v[20:21]
	;; [unrolled: 1-line block ×4, first 2 shown]
	v_perm_b32 v17, v9, v8, s10
	v_perm_b32 v16, v7, v6, s10
	;; [unrolled: 1-line block ×4, first 2 shown]
	buffer_store_dwordx4 v[14:17], v26, s[24:27], 0 offen glc slc
	;;#ASMSTART
	s_nop 0
	;;#ASMEND
.LBB172_10:
	s_or_b64 exec, exec, s[18:19]
	s_mov_b32 s10, s8
.LBB172_11:
	s_waitcnt vmcnt(1)
	v_mul_f32_e32 v14, v3, v3
	v_fmac_f32_e32 v14, v2, v2
	v_fmac_f32_e32 v14, v4, v4
	;; [unrolled: 1-line block ×7, first 2 shown]
	v_bfrev_b32_e32 v16, 0.5
	s_load_dwordx2 s[34:35], s[4:5], 0x18
	v_mov_b32_dpp v15, v14 quad_perm:[1,0,3,2] row_mask:0xf bank_mask:0xf
	v_add_f32_e32 v14, v14, v15
	s_nop 1
	v_mov_b32_dpp v15, v14 quad_perm:[2,3,0,1] row_mask:0xf bank_mask:0xf
	v_add_f32_e32 v14, v14, v15
	s_nop 1
	v_mov_b32_dpp v15, v14 row_half_mirror row_mask:0xf bank_mask:0xf
	v_add_f32_e32 v14, v14, v15
	s_nop 1
	v_mov_b32_dpp v15, v14 row_mirror row_mask:0xf bank_mask:0xf
	v_add_f32_e32 v14, v14, v15
	s_nop 1
	v_mov_b32_dpp v15, v14 row_bcast:15 row_mask:0xf bank_mask:0xf
	v_add_f32_e32 v14, v14, v15
	s_nop 1
	v_mov_b32_dpp v15, v14 row_bcast:31 row_mask:0xf bank_mask:0xf
	v_add_f32_e32 v15, v14, v15
	v_mbcnt_lo_u32_b32 v14, -1, 0
	v_mbcnt_hi_u32_b32 v14, -1, v14
	v_lshl_or_b32 v14, v14, 2, v16
	ds_bpermute_b32 v15, v14, v15
	s_and_saveexec_b64 s[18:19], s[0:1]
	s_cbranch_execnz .LBB172_16
; %bb.12:
	s_or_b64 exec, exec, s[18:19]
	s_mov_b64 s[18:19], -1
	s_and_b64 vcc, exec, s[2:3]
	s_cbranch_vccnz .LBB172_17
.LBB172_13:
	s_andn2_b64 vcc, exec, s[18:19]
	s_cbranch_vccz .LBB172_20
.LBB172_14:
	s_cmp_lt_i32 s12, 1
	s_cbranch_scc0 .LBB172_27
.LBB172_15:
	s_endpgm
.LBB172_16:
	v_cvt_f32_u32_e32 v16, s7
	s_mov_b32 s7, 0x800000
	s_waitcnt lgkmcnt(0)
	v_div_scale_f32 v17, s[24:25], v16, v16, v15
	v_rcp_f32_e32 v18, v17
	v_div_scale_f32 v19, vcc, v15, v16, v15
	v_fma_f32 v20, -v17, v18, 1.0
	v_fmac_f32_e32 v18, v20, v18
	v_mul_f32_e32 v20, v19, v18
	v_fma_f32 v21, -v17, v20, v19
	v_fmac_f32_e32 v20, v21, v18
	v_fma_f32 v17, -v17, v20, v19
	v_div_fmas_f32 v17, v17, v18, v20
	v_div_fixup_f32 v15, v17, v16, v15
	v_add_f32_e32 v15, s10, v15
	v_mul_f32_e32 v16, 0x4b800000, v15
	v_cmp_gt_f32_e32 vcc, s7, v15
	v_cndmask_b32_e32 v15, v15, v16, vcc
	v_rsq_f32_e32 v15, v15
	s_waitcnt vmcnt(0)
	v_cvt_f32_u32_sdwa v17, v10 dst_sel:DWORD dst_unused:UNUSED_PAD src0_sel:WORD_1
	v_cvt_f32_u32_sdwa v21, v11 dst_sel:DWORD dst_unused:UNUSED_PAD src0_sel:WORD_1
	v_cvt_f32_u32_sdwa v20, v11 dst_sel:DWORD dst_unused:UNUSED_PAD src0_sel:WORD_0
	v_mul_f32_e32 v16, 0x45800000, v15
	v_cndmask_b32_e32 v18, v15, v16, vcc
	v_cvt_f32_u32_sdwa v16, v10 dst_sel:DWORD dst_unused:UNUSED_PAD src0_sel:WORD_0
	v_mov_b32_e32 v19, v18
	;;#ASMSTART
	v_pk_mul_f32 v[2:3], v[2:3], v[18:19]
	;;#ASMEND
	;;#ASMSTART
	v_pk_mul_f32 v[4:5], v[4:5], v[18:19]
	;;#ASMEND
	v_pk_add_f32 v[10:11], v[16:17], 1.0 op_sel_hi:[1,0]
	v_cvt_f32_u32_sdwa v17, v12 dst_sel:DWORD dst_unused:UNUSED_PAD src0_sel:WORD_1
	v_cvt_f32_u32_sdwa v16, v12 dst_sel:DWORD dst_unused:UNUSED_PAD src0_sel:WORD_0
	;;#ASMSTART
	v_pk_mul_f32 v[6:7], v[6:7], v[18:19]
	;;#ASMEND
	;;#ASMSTART
	v_pk_mul_f32 v[8:9], v[8:9], v[18:19]
	;;#ASMEND
	v_cvt_f32_u32_sdwa v19, v13 dst_sel:DWORD dst_unused:UNUSED_PAD src0_sel:WORD_1
	v_cvt_f32_u32_sdwa v18, v13 dst_sel:DWORD dst_unused:UNUSED_PAD src0_sel:WORD_0
	;;#ASMSTART
	v_pk_mul_f32 v[2:3], v[2:3], v[10:11]
	;;#ASMEND
	v_pk_add_f32 v[10:11], v[20:21], 1.0 op_sel_hi:[1,0]
	;;#ASMSTART
	v_pk_mul_f32 v[4:5], v[4:5], v[10:11]
	;;#ASMEND
	v_pk_add_f32 v[10:11], v[16:17], 1.0 op_sel_hi:[1,0]
	;; [unrolled: 4-line block ×3, first 2 shown]
	;;#ASMSTART
	v_pk_mul_f32 v[8:9], v[8:9], v[10:11]
	;;#ASMEND
	s_or_b64 exec, exec, s[18:19]
	s_mov_b64 s[18:19], -1
	s_and_b64 vcc, exec, s[2:3]
	s_cbranch_vccz .LBB172_13
.LBB172_17:
	s_and_saveexec_b64 s[2:3], s[0:1]
	s_cbranch_execz .LBB172_19
; %bb.18:
	s_waitcnt lgkmcnt(0)
	s_mul_hi_i32 s19, s28, s6
	s_mul_i32 s18, s28, s6
	s_lshl_b64 s[18:19], s[18:19], 1
	s_add_u32 s24, s34, s18
	s_addc_u32 s7, s35, s19
	s_and_b32 s25, s7, 0xffff
	s_mov_b32 s7, 0x7060302
	s_mov_b32 s27, 0x20000
	s_waitcnt vmcnt(0)
	v_perm_b32 v10, v3, v2, s7
	v_perm_b32 v11, v5, v4, s7
	;; [unrolled: 1-line block ×4, first 2 shown]
	v_lshlrev_b32_e32 v15, 4, v0
	buffer_store_dwordx4 v[10:13], v15, s[24:27], 0 offen
	;;#ASMSTART
	s_nop 0
	;;#ASMEND
.LBB172_19:
	s_or_b64 exec, exec, s[2:3]
	s_cbranch_execnz .LBB172_14
.LBB172_20:
	s_waitcnt vmcnt(0)
	v_mov_b32_e32 v10, 0
	s_and_saveexec_b64 s[2:3], s[0:1]
	s_cbranch_execz .LBB172_22
; %bb.21:
	v_and_b32_e32 v2, 0x7fffffff, v2
	v_and_b32_e32 v3, 0x7fffffff, v3
	v_mov_b32_e32 v10, 0x2edbe6ff
	;;#ASMSTART
	v_max3_f32 v2, v10, v2, v3

	;;#ASMEND
	v_and_b32_e32 v3, 0x7fffffff, v4
	v_and_b32_e32 v4, 0x7fffffff, v5
	;;#ASMSTART
	v_max3_f32 v2, v2, v3, v4

	;;#ASMEND
	v_and_b32_e32 v3, 0x7fffffff, v6
	v_and_b32_e32 v4, 0x7fffffff, v7
	;; [unrolled: 6-line block ×3, first 2 shown]
	;;#ASMSTART
	v_max3_f32 v10, v2, v3, v4

	;;#ASMEND
.LBB172_22:
	s_or_b64 exec, exec, s[2:3]
	;;#ASMSTART
	v_max_f32 v2, v10, v10 quad_perm:[1,0,3,2] row_mask:0xf bank_mask:0xf bound_ctrl:1
	;;#ASMEND
	;;#ASMSTART
	v_max_f32 v3, v2, v2 quad_perm:[2,3,0,1] row_mask:0xf bank_mask:0xf bound_ctrl:1
	;;#ASMEND
	;;#ASMSTART
	v_max_f32 v2, v3, v3 row_half_mirror row_mask:0xf bank_mask:0xf bound_ctrl:1
	;;#ASMEND
	v_and_b32_e32 v3, 7, v0
	v_cmp_eq_u32_e32 vcc, 0, v3
	v_cmp_gt_i32_e64 s[2:3], s11, v1
	s_and_b64 s[18:19], vcc, s[2:3]
	s_and_saveexec_b64 s[2:3], s[18:19]
	s_cbranch_execz .LBB172_24
; %bb.23:
	s_load_dwordx2 s[18:19], s[4:5], 0x8
	v_mul_f32_e32 v2, 0x3e2aaaab, v2
	v_lshrrev_b32_e32 v3, 23, v2
	v_and_b32_e32 v4, 0x7f800000, v2
	v_and_b32_e32 v2, 0x7fffff, v2
	v_cmp_ne_u32_e32 vcc, 0, v2
	s_waitcnt lgkmcnt(0)
	s_mul_i32 s10, s21, s6
	s_mov_b32 s7, 0x7f800000
	v_addc_co_u32_e32 v2, vcc, 0, v3, vcc
	s_mul_hi_i32 s8, s21, s6
	s_add_u32 s18, s18, s10
	v_cmp_ne_u32_e32 vcc, s7, v4
	s_addc_u32 s19, s19, s8
	v_lshrrev_b32_e32 v5, 3, v0
	v_cndmask_b32_e32 v4, -1, v2, vcc
	v_pk_mov_b32 v[2:3], s[18:19], s[18:19] op_sel:[0,1]
	v_mad_i64_i32 v[2:3], s[18:19], s22, v5, v[2:3]
	global_store_byte v[2:3], v4, off
.LBB172_24:
	s_or_b64 exec, exec, s[2:3]
	s_and_saveexec_b64 s[2:3], s[0:1]
	s_cbranch_execz .LBB172_26
; %bb.25:
	s_load_dwordx2 s[0:1], s[4:5], 0x0
	s_waitcnt lgkmcnt(0)
	s_mul_i32 s8, s20, s6
	s_mul_hi_i32 s7, s20, s6
	v_lshlrev_b32_e32 v2, 2, v0
	s_mov_b32 s23, 0x20000
	s_add_u32 s20, s0, s8
	s_addc_u32 s0, s1, s7
	s_lshr_b32 s1, s11, 31
	s_add_i32 s1, s11, s1
	s_ashr_i32 s1, s1, 1
	s_add_i32 s1, s1, 3
	s_ashr_i32 s7, s1, 31
	s_lshr_b32 s7, s7, 30
	s_add_i32 s1, s1, s7
	s_and_b32 s22, s1, -4
	s_and_b32 s21, s0, 0xffff
	v_mov_b32_e32 v3, 0
	buffer_store_dword v3, v2, s[20:23], 0 offen
	;;#ASMSTART
	s_nop 0
	;;#ASMEND
.LBB172_26:
	s_or_b64 exec, exec, s[2:3]
	s_cmp_lt_i32 s12, 1
	s_cbranch_scc1 .LBB172_15
.LBB172_27:
	s_load_dword s0, s[4:5], 0x94
	s_waitcnt lgkmcnt(0)
	s_cmp_lg_u32 s0, 1
	s_cbranch_scc1 .LBB172_15
; %bb.28:
	s_lshl_b32 s0, s12, 1
	s_add_i32 s0, s0, 2
	v_cmp_gt_u32_e32 vcc, s12, v1
	s_and_b32 s18, s0, -4
	v_mov_b32_e32 v4, 0
	s_waitcnt vmcnt(0)
	v_lshlrev_b32_e32 v12, 4, v0
	v_mov_b32_e32 v5, 0
	v_mov_b32_e32 v6, 0
	v_mov_b32_e32 v7, 0
	v_mov_b32_e32 v0, 0
	v_mov_b32_e32 v1, 0
	v_mov_b32_e32 v2, 0
	v_mov_b32_e32 v3, 0
	s_barrier
	s_and_saveexec_b64 s[0:1], vcc
	s_cbranch_execz .LBB172_30
; %bb.29:
	s_mul_hi_i32 s3, s14, s6
	s_mul_i32 s2, s14, s6
	s_and_b32 s17, s17, 0xffff
	s_lshl_b64 s[2:3], s[2:3], 1
	s_add_u32 s20, s30, s2
	s_mov_b32 s19, 0x20000
	s_addc_u32 s2, s31, s3
	s_and_b32 s21, s2, 0xffff
	s_mov_b32 s22, s18
	s_mov_b32 s23, s19
	buffer_load_dwordx4 v[4:7], v12, s[20:23], 0 offen glc slc
	buffer_load_dwordx4 v[0:3], v12, s[16:19], 0 offen
.LBB172_30:
	s_or_b64 exec, exec, s[0:1]
	s_waitcnt vmcnt(1)
	v_cvt_f32_u32_sdwa v11, v4 dst_sel:DWORD dst_unused:UNUSED_PAD src0_sel:WORD_1
	v_cvt_f32_u32_sdwa v10, v4 dst_sel:DWORD dst_unused:UNUSED_PAD src0_sel:WORD_0
	v_cvt_f32_u32_sdwa v4, v7 dst_sel:DWORD dst_unused:UNUSED_PAD src0_sel:WORD_1
	v_cvt_f32_u32_sdwa v7, v7 dst_sel:DWORD dst_unused:UNUSED_PAD src0_sel:WORD_0
	;; [unrolled: 2-line block ×4, first 2 shown]
	v_cndmask_b32_e32 v11, 0, v11, vcc
	v_cndmask_b32_e32 v5, 0, v4, vcc
	;; [unrolled: 1-line block ×5, first 2 shown]
	v_mul_f32_e32 v13, v11, v11
	v_cndmask_b32_e32 v8, 0, v8, vcc
	v_fmac_f32_e32 v13, v10, v10
	v_cndmask_b32_e32 v9, 0, v9, vcc
	v_fmac_f32_e32 v13, v8, v8
	;; [unrolled: 2-line block ×3, first 2 shown]
	v_fmac_f32_e32 v13, v6, v6
	v_fmac_f32_e32 v13, v7, v7
	;; [unrolled: 1-line block ×4, first 2 shown]
	s_nop 1
	v_mov_b32_dpp v15, v13 quad_perm:[1,0,3,2] row_mask:0xf bank_mask:0xf
	v_add_f32_e32 v13, v13, v15
	s_nop 1
	v_mov_b32_dpp v15, v13 quad_perm:[2,3,0,1] row_mask:0xf bank_mask:0xf
	v_add_f32_e32 v13, v13, v15
	s_nop 1
	v_mov_b32_dpp v15, v13 row_half_mirror row_mask:0xf bank_mask:0xf
	v_add_f32_e32 v13, v13, v15
	s_nop 1
	v_mov_b32_dpp v15, v13 row_mirror row_mask:0xf bank_mask:0xf
	v_add_f32_e32 v13, v13, v15
	s_nop 1
	v_mov_b32_dpp v15, v13 row_bcast:15 row_mask:0xf bank_mask:0xf
	v_add_f32_e32 v13, v13, v15
	s_nop 1
	v_mov_b32_dpp v15, v13 row_bcast:31 row_mask:0xf bank_mask:0xf
	v_add_f32_e32 v13, v13, v15
	ds_bpermute_b32 v13, v14, v13
	s_and_saveexec_b64 s[0:1], vcc
	s_cbranch_execz .LBB172_15
; %bb.31:
	v_cvt_f32_u32_e32 v14, s12
	s_mov_b32 s19, 0x20000
	s_waitcnt lgkmcnt(0)
	v_div_scale_f32 v15, s[0:1], v14, v14, v13
	v_rcp_f32_e32 v16, v15
	v_div_scale_f32 v17, vcc, v13, v14, v13
	s_mov_b32 s0, 0x800000
	v_fma_f32 v18, -v15, v16, 1.0
	v_fmac_f32_e32 v16, v18, v16
	v_mul_f32_e32 v18, v17, v16
	v_fma_f32 v19, -v15, v18, v17
	v_fmac_f32_e32 v18, v19, v16
	v_fma_f32 v15, -v15, v18, v17
	v_div_fmas_f32 v15, v15, v16, v18
	v_div_fixup_f32 v13, v15, v14, v13
	v_add_f32_e32 v13, s9, v13
	v_mul_f32_e32 v14, 0x4b800000, v13
	v_cmp_gt_f32_e32 vcc, s0, v13
	v_cndmask_b32_e32 v13, v13, v14, vcc
	v_rsq_f32_e32 v13, v13
	s_waitcnt vmcnt(0)
	v_cvt_f32_u32_sdwa v15, v0 dst_sel:DWORD dst_unused:UNUSED_PAD src0_sel:WORD_1
	v_cvt_f32_u32_sdwa v19, v1 dst_sel:DWORD dst_unused:UNUSED_PAD src0_sel:WORD_1
	v_cvt_f32_u32_sdwa v18, v1 dst_sel:DWORD dst_unused:UNUSED_PAD src0_sel:WORD_0
	v_mul_f32_e32 v14, 0x45800000, v13
	v_cndmask_b32_e32 v16, v13, v14, vcc
	v_cvt_f32_u32_sdwa v14, v0 dst_sel:DWORD dst_unused:UNUSED_PAD src0_sel:WORD_0
	v_mov_b32_e32 v17, v16
	;;#ASMSTART
	v_pk_mul_f32 v[10:11], v[10:11], v[16:17]
	;;#ASMEND
	;;#ASMSTART
	v_pk_mul_f32 v[8:9], v[8:9], v[16:17]
	;;#ASMEND
	;; [unrolled: 3-line block ×4, first 2 shown]
	v_pk_add_f32 v[4:5], v[14:15], 1.0 op_sel_hi:[1,0]
	v_cvt_f32_u32_sdwa v15, v2 dst_sel:DWORD dst_unused:UNUSED_PAD src0_sel:WORD_1
	v_cvt_f32_u32_sdwa v14, v2 dst_sel:DWORD dst_unused:UNUSED_PAD src0_sel:WORD_0
	v_cvt_f32_u32_sdwa v17, v3 dst_sel:DWORD dst_unused:UNUSED_PAD src0_sel:WORD_1
	v_cvt_f32_u32_sdwa v16, v3 dst_sel:DWORD dst_unused:UNUSED_PAD src0_sel:WORD_0
	s_mul_hi_i32 s1, s28, s6
	s_mul_i32 s0, s28, s6
	s_lshl_b64 s[0:1], s[0:1], 1
	s_add_u32 s16, s34, s0
	;;#ASMSTART
	v_pk_mul_f32 v[4:5], v[10:11], v[4:5]
	;;#ASMEND
	v_pk_add_f32 v[10:11], v[18:19], 1.0 op_sel_hi:[1,0]
	;;#ASMSTART
	v_pk_mul_f32 v[2:3], v[8:9], v[10:11]
	;;#ASMEND
	v_pk_add_f32 v[8:9], v[14:15], 1.0 op_sel_hi:[1,0]
	s_addc_u32 s0, s35, s1
	;;#ASMSTART
	v_pk_mul_f32 v[6:7], v[6:7], v[8:9]
	;;#ASMEND
	v_pk_add_f32 v[8:9], v[16:17], 1.0 op_sel_hi:[1,0]
	s_and_b32 s17, s0, 0xffff
	s_mov_b32 s0, 0x7060302
	;;#ASMSTART
	v_pk_mul_f32 v[8:9], v[0:1], v[8:9]
	;;#ASMEND
	v_perm_b32 v0, v5, v4, s0
	v_perm_b32 v1, v3, v2, s0
	;; [unrolled: 1-line block ×4, first 2 shown]
	buffer_store_dwordx4 v[0:3], v12, s[16:19], 0 offen
	;;#ASMSTART
	s_nop 0
	;;#ASMEND
	s_endpgm
	.section	.rodata,"a",@progbits
	.p2align	6, 0x0
	.amdhsa_kernel _ZN5aiter35fused_qk_rmsnorm_group_quant_kernelItN4opus5fp4_tELi64ELi8ELi8ELb1ELb0ELb1ELb0ELb0ELb0EEEvPT0_PvPT_S7_S7_PKS6_S9_S9_S9_S9_ffiiiiiiiiiiiii
		.amdhsa_group_segment_fixed_size 0
		.amdhsa_private_segment_fixed_size 0
		.amdhsa_kernarg_size 400
		.amdhsa_user_sgpr_count 6
		.amdhsa_user_sgpr_private_segment_buffer 1
		.amdhsa_user_sgpr_dispatch_ptr 0
		.amdhsa_user_sgpr_queue_ptr 0
		.amdhsa_user_sgpr_kernarg_segment_ptr 1
		.amdhsa_user_sgpr_dispatch_id 0
		.amdhsa_user_sgpr_flat_scratch_init 0
		.amdhsa_user_sgpr_kernarg_preload_length 0
		.amdhsa_user_sgpr_kernarg_preload_offset 0
		.amdhsa_user_sgpr_private_segment_size 0
		.amdhsa_uses_dynamic_stack 0
		.amdhsa_system_sgpr_private_segment_wavefront_offset 0
		.amdhsa_system_sgpr_workgroup_id_x 1
		.amdhsa_system_sgpr_workgroup_id_y 1
		.amdhsa_system_sgpr_workgroup_id_z 0
		.amdhsa_system_sgpr_workgroup_info 0
		.amdhsa_system_vgpr_workitem_id 0
		.amdhsa_next_free_vgpr 27
		.amdhsa_next_free_sgpr 44
		.amdhsa_accum_offset 28
		.amdhsa_reserve_vcc 1
		.amdhsa_reserve_flat_scratch 0
		.amdhsa_float_round_mode_32 0
		.amdhsa_float_round_mode_16_64 0
		.amdhsa_float_denorm_mode_32 3
		.amdhsa_float_denorm_mode_16_64 3
		.amdhsa_dx10_clamp 1
		.amdhsa_ieee_mode 1
		.amdhsa_fp16_overflow 0
		.amdhsa_tg_split 0
		.amdhsa_exception_fp_ieee_invalid_op 0
		.amdhsa_exception_fp_denorm_src 0
		.amdhsa_exception_fp_ieee_div_zero 0
		.amdhsa_exception_fp_ieee_overflow 0
		.amdhsa_exception_fp_ieee_underflow 0
		.amdhsa_exception_fp_ieee_inexact 0
		.amdhsa_exception_int_div_zero 0
	.end_amdhsa_kernel
	.section	.text._ZN5aiter35fused_qk_rmsnorm_group_quant_kernelItN4opus5fp4_tELi64ELi8ELi8ELb1ELb0ELb1ELb0ELb0ELb0EEEvPT0_PvPT_S7_S7_PKS6_S9_S9_S9_S9_ffiiiiiiiiiiiii,"axG",@progbits,_ZN5aiter35fused_qk_rmsnorm_group_quant_kernelItN4opus5fp4_tELi64ELi8ELi8ELb1ELb0ELb1ELb0ELb0ELb0EEEvPT0_PvPT_S7_S7_PKS6_S9_S9_S9_S9_ffiiiiiiiiiiiii,comdat
.Lfunc_end172:
	.size	_ZN5aiter35fused_qk_rmsnorm_group_quant_kernelItN4opus5fp4_tELi64ELi8ELi8ELb1ELb0ELb1ELb0ELb0ELb0EEEvPT0_PvPT_S7_S7_PKS6_S9_S9_S9_S9_ffiiiiiiiiiiiii, .Lfunc_end172-_ZN5aiter35fused_qk_rmsnorm_group_quant_kernelItN4opus5fp4_tELi64ELi8ELi8ELb1ELb0ELb1ELb0ELb0ELb0EEEvPT0_PvPT_S7_S7_PKS6_S9_S9_S9_S9_ffiiiiiiiiiiiii
                                        ; -- End function
	.section	.AMDGPU.csdata,"",@progbits
; Kernel info:
; codeLenInByte = 2688
; NumSgprs: 48
; NumVgprs: 27
; NumAgprs: 0
; TotalNumVgprs: 27
; ScratchSize: 0
; MemoryBound: 0
; FloatMode: 240
; IeeeMode: 1
; LDSByteSize: 0 bytes/workgroup (compile time only)
; SGPRBlocks: 5
; VGPRBlocks: 3
; NumSGPRsForWavesPerEU: 48
; NumVGPRsForWavesPerEU: 27
; AccumOffset: 28
; Occupancy: 8
; WaveLimiterHint : 0
; COMPUTE_PGM_RSRC2:SCRATCH_EN: 0
; COMPUTE_PGM_RSRC2:USER_SGPR: 6
; COMPUTE_PGM_RSRC2:TRAP_HANDLER: 0
; COMPUTE_PGM_RSRC2:TGID_X_EN: 1
; COMPUTE_PGM_RSRC2:TGID_Y_EN: 1
; COMPUTE_PGM_RSRC2:TGID_Z_EN: 0
; COMPUTE_PGM_RSRC2:TIDIG_COMP_CNT: 0
; COMPUTE_PGM_RSRC3_GFX90A:ACCUM_OFFSET: 6
; COMPUTE_PGM_RSRC3_GFX90A:TG_SPLIT: 0
	.section	.text._ZN5aiter35fused_qk_rmsnorm_group_quant_kernelIDF16_DB8_Li64ELi8ELi8ELb1ELb0ELb0ELb0ELb0ELb0EEEvPT0_PvPT_S6_S6_PKS5_S8_S8_S8_S8_ffiiiiiiiiiiiii,"axG",@progbits,_ZN5aiter35fused_qk_rmsnorm_group_quant_kernelIDF16_DB8_Li64ELi8ELi8ELb1ELb0ELb0ELb0ELb0ELb0EEEvPT0_PvPT_S6_S6_PKS5_S8_S8_S8_S8_ffiiiiiiiiiiiii,comdat
	.protected	_ZN5aiter35fused_qk_rmsnorm_group_quant_kernelIDF16_DB8_Li64ELi8ELi8ELb1ELb0ELb0ELb0ELb0ELb0EEEvPT0_PvPT_S6_S6_PKS5_S8_S8_S8_S8_ffiiiiiiiiiiiii ; -- Begin function _ZN5aiter35fused_qk_rmsnorm_group_quant_kernelIDF16_DB8_Li64ELi8ELi8ELb1ELb0ELb0ELb0ELb0ELb0EEEvPT0_PvPT_S6_S6_PKS5_S8_S8_S8_S8_ffiiiiiiiiiiiii
	.globl	_ZN5aiter35fused_qk_rmsnorm_group_quant_kernelIDF16_DB8_Li64ELi8ELi8ELb1ELb0ELb0ELb0ELb0ELb0EEEvPT0_PvPT_S6_S6_PKS5_S8_S8_S8_S8_ffiiiiiiiiiiiii
	.p2align	8
	.type	_ZN5aiter35fused_qk_rmsnorm_group_quant_kernelIDF16_DB8_Li64ELi8ELi8ELb1ELb0ELb0ELb0ELb0ELb0EEEvPT0_PvPT_S6_S6_PKS5_S8_S8_S8_S8_ffiiiiiiiiiiiii,@function
_ZN5aiter35fused_qk_rmsnorm_group_quant_kernelIDF16_DB8_Li64ELi8ELi8ELb1ELb0ELb0ELb0ELb0ELb0EEEvPT0_PvPT_S6_S6_PKS5_S8_S8_S8_S8_ffiiiiiiiiiiiii: ; @_ZN5aiter35fused_qk_rmsnorm_group_quant_kernelIDF16_DB8_Li64ELi8ELi8ELb1ELb0ELb0ELb0ELb0ELb0EEEvPT0_PvPT_S6_S6_PKS5_S8_S8_S8_S8_ffiiiiiiiiiiiii
; %bb.0:
	s_load_dwordx8 s[8:15], s[4:5], 0x50
	s_waitcnt lgkmcnt(0)
	s_cmp_ge_i32 s6, s10
	s_cbranch_scc1 .LBB173_15
; %bb.1:
	s_cmp_lg_u32 s7, 0
	s_cselect_b64 s[2:3], -1, 0
	s_cmp_eq_u32 s7, 0
	s_cselect_b64 s[24:25], -1, 0
	s_and_b64 s[0:1], s[24:25], exec
	s_load_dwordx2 s[16:17], s[4:5], 0x48
	s_load_dwordx2 s[30:31], s[4:5], 0x30
	s_load_dwordx4 s[20:23], s[4:5], 0x70
	s_cselect_b32 s7, s11, s12
	s_add_i32 s0, s7, 1
	s_lshr_b32 s1, s0, 31
	s_add_i32 s0, s0, s1
	s_lshl_b32 s0, s0, 1
	v_lshlrev_b32_e32 v1, 3, v0
	s_and_b32 s26, s0, -4
	v_cmp_gt_i32_e64 s[0:1], s7, v1
	v_mov_b32_e32 v24, 0
	v_mov_b32_e32 v25, 0
	;; [unrolled: 1-line block ×8, first 2 shown]
	s_and_saveexec_b64 s[18:19], s[0:1]
	s_cbranch_execz .LBB173_3
; %bb.2:
	s_load_dwordx2 s[28:29], s[4:5], 0x28
	s_load_dwordx2 s[34:35], s[4:5], 0x40
	s_and_b64 s[36:37], s[24:25], exec
	s_cselect_b32 s10, s13, s14
	s_mov_b32 s27, 0x20000
	s_waitcnt lgkmcnt(0)
	s_cselect_b32 s13, s29, s31
	s_cselect_b32 s23, s28, s30
	s_mul_hi_i32 s29, s10, s6
	s_mul_i32 s28, s10, s6
	s_lshl_b64 s[28:29], s[28:29], 1
	s_add_u32 s36, s23, s28
	s_addc_u32 s10, s13, s29
	s_and_b64 s[24:25], s[24:25], exec
	s_cselect_b32 s24, s34, s16
	s_cselect_b32 s13, s35, s17
	v_lshlrev_b32_e32 v2, 4, v0
	s_and_b32 s37, s10, 0xffff
	s_mov_b32 s38, s26
	s_mov_b32 s39, s27
	s_and_b32 s25, s13, 0xffff
	buffer_load_dwordx4 v[28:31], v2, s[36:39], 0 offen glc slc
	buffer_load_dwordx4 v[24:27], v2, s[24:27], 0 offen
.LBB173_3:
	s_or_b64 exec, exec, s[18:19]
	s_load_dwordx2 s[28:29], s[4:5], 0x80
	s_and_b64 vcc, exec, s[2:3]
	s_cbranch_vccz .LBB173_7
; %bb.4:
	v_mov_b32_e32 v33, 0
	v_mov_b32_e32 v32, 0
	;; [unrolled: 1-line block ×8, first 2 shown]
	s_and_saveexec_b64 s[18:19], s[0:1]
	s_cbranch_execz .LBB173_6
; %bb.5:
	s_waitcnt vmcnt(1)
	v_cvt_f32_f16_sdwa v17, v28 dst_sel:DWORD dst_unused:UNUSED_PAD src0_sel:WORD_1
	v_cvt_f32_f16_e32 v16, v28
	v_cvt_f32_f16_sdwa v11, v29 dst_sel:DWORD dst_unused:UNUSED_PAD src0_sel:WORD_1
	v_cvt_f32_f16_e32 v10, v29
	;; [unrolled: 2-line block ×4, first 2 shown]
.LBB173_6:
	s_or_b64 exec, exec, s[18:19]
	s_mov_b32 s10, s9
	s_cbranch_execz .LBB173_8
	s_branch .LBB173_11
.LBB173_7:
                                        ; implicit-def: $vgpr8_vgpr9_vgpr10_vgpr11_vgpr12_vgpr13_vgpr14_vgpr15
                                        ; implicit-def: $vgpr33
                                        ; implicit-def: $vgpr16_vgpr17_vgpr18_vgpr19_vgpr20_vgpr21_vgpr22_vgpr23
                                        ; implicit-def: $vgpr2_vgpr3_vgpr4_vgpr5_vgpr6_vgpr7_vgpr8_vgpr9
	s_mov_b32 s10, s9
.LBB173_8:
	v_mov_b32_e32 v33, 0
	v_mov_b32_e32 v32, 0
	;; [unrolled: 1-line block ×8, first 2 shown]
	s_and_saveexec_b64 s[18:19], s[0:1]
	s_cbranch_execz .LBB173_10
; %bb.9:
	s_load_dwordx2 s[24:25], s[4:5], 0x38
	s_mul_hi_i32 s35, s15, s6
	s_mul_i32 s34, s15, s6
	s_lshl_b64 s[34:35], s[34:35], 1
	s_mov_b32 s27, 0x20000
	s_waitcnt lgkmcnt(0)
	s_add_u32 s24, s24, s34
	s_addc_u32 s10, s25, s35
	s_and_b32 s25, s10, 0xffff
	v_lshlrev_b32_e32 v20, 4, v0
	buffer_load_dwordx4 v[2:5], v20, s[24:27], 0 offen glc slc
	s_waitcnt vmcnt(2)
	v_cvt_f32_f16_sdwa v7, v28 dst_sel:DWORD dst_unused:UNUSED_PAD src0_sel:WORD_1
	v_cvt_f32_f16_e32 v6, v28
	v_cvt_f32_f16_sdwa v9, v29 dst_sel:DWORD dst_unused:UNUSED_PAD src0_sel:WORD_1
	v_cvt_f32_f16_e32 v8, v29
	;; [unrolled: 2-line block ×4, first 2 shown]
	s_load_dwordx2 s[24:25], s[4:5], 0x20
	s_mul_hi_i32 s35, s29, s6
	s_mul_i32 s34, s29, s6
	s_lshl_b64 s[34:35], s[34:35], 1
	s_waitcnt lgkmcnt(0)
	s_add_u32 s24, s24, s34
	s_addc_u32 s10, s25, s35
	s_and_b32 s25, s10, 0xffff
	s_waitcnt vmcnt(0)
	v_cvt_f32_f16_e32 v10, v2
	v_cvt_f32_f16_sdwa v11, v2 dst_sel:DWORD dst_unused:UNUSED_PAD src0_sel:WORD_1
	v_cvt_f32_f16_e32 v2, v3
	v_cvt_f32_f16_sdwa v3, v3 dst_sel:DWORD dst_unused:UNUSED_PAD src0_sel:WORD_1
	;; [unrolled: 2-line block ×4, first 2 shown]
	v_pk_add_f32 v[16:17], v[6:7], v[10:11]
	v_pk_add_f32 v[10:11], v[8:9], v[2:3]
	v_pk_add_f32 v[6:7], v[12:13], v[18:19]
	v_pk_add_f32 v[32:33], v[14:15], v[4:5]
	v_cvt_f16_f32_e32 v2, v17
	v_cvt_f16_f32_e32 v3, v11
	;; [unrolled: 1-line block ×8, first 2 shown]
	v_pack_b32_f16 v5, v8, v5
	v_pack_b32_f16 v4, v9, v4
	;; [unrolled: 1-line block ×4, first 2 shown]
	buffer_store_dwordx4 v[2:5], v20, s[24:27], 0 offen glc slc
	;;#ASMSTART
	s_nop 0
	;;#ASMEND
.LBB173_10:
	s_or_b64 exec, exec, s[18:19]
	s_mov_b32 s10, s8
.LBB173_11:
	v_mul_f32_e32 v2, v17, v17
	v_fmac_f32_e32 v2, v16, v16
	v_fmac_f32_e32 v2, v10, v10
	;; [unrolled: 1-line block ×7, first 2 shown]
	v_bfrev_b32_e32 v4, 0.5
	s_load_dwordx2 s[34:35], s[4:5], 0x18
	v_mov_b32_dpp v3, v2 quad_perm:[1,0,3,2] row_mask:0xf bank_mask:0xf
	v_add_f32_e32 v2, v2, v3
	s_nop 1
	v_mov_b32_dpp v3, v2 quad_perm:[2,3,0,1] row_mask:0xf bank_mask:0xf
	v_add_f32_e32 v2, v2, v3
	s_nop 1
	v_mov_b32_dpp v3, v2 row_half_mirror row_mask:0xf bank_mask:0xf
	v_add_f32_e32 v2, v2, v3
	s_nop 1
	v_mov_b32_dpp v3, v2 row_mirror row_mask:0xf bank_mask:0xf
	v_add_f32_e32 v2, v2, v3
	s_nop 1
	v_mov_b32_dpp v3, v2 row_bcast:15 row_mask:0xf bank_mask:0xf
	v_add_f32_e32 v2, v2, v3
	s_nop 1
	v_mov_b32_dpp v3, v2 row_bcast:31 row_mask:0xf bank_mask:0xf
	v_add_f32_e32 v2, v2, v3
	v_mbcnt_lo_u32_b32 v3, -1, 0
	v_mbcnt_hi_u32_b32 v3, -1, v3
	v_lshl_or_b32 v18, v3, 2, v4
	ds_bpermute_b32 v2, v18, v2
	s_and_saveexec_b64 s[18:19], s[0:1]
	s_cbranch_execnz .LBB173_16
; %bb.12:
	s_or_b64 exec, exec, s[18:19]
	s_mov_b64 s[18:19], -1
	s_and_b64 vcc, exec, s[2:3]
	s_cbranch_vccnz .LBB173_17
.LBB173_13:
	s_andn2_b64 vcc, exec, s[18:19]
	s_cbranch_vccz .LBB173_20
.LBB173_14:
	s_cmp_lt_i32 s12, 1
	s_cbranch_scc0 .LBB173_27
.LBB173_15:
	s_endpgm
.LBB173_16:
	v_cvt_f32_u32_e32 v3, s7
	s_mov_b32 s7, 0x800000
	s_waitcnt vmcnt(0)
	v_cvt_f32_f16_sdwa v13, v25 dst_sel:DWORD dst_unused:UNUSED_PAD src0_sel:WORD_1
	v_cvt_f32_f16_sdwa v15, v26 dst_sel:DWORD dst_unused:UNUSED_PAD src0_sel:WORD_1
	s_waitcnt lgkmcnt(0)
	v_div_scale_f32 v4, s[24:25], v3, v3, v2
	v_rcp_f32_e32 v5, v4
	v_div_scale_f32 v8, vcc, v2, v3, v2
	v_cvt_f32_f16_e32 v14, v26
	v_fma_f32 v9, -v4, v5, 1.0
	v_fmac_f32_e32 v5, v9, v5
	v_mul_f32_e32 v9, v8, v5
	v_fma_f32 v12, -v4, v9, v8
	v_fmac_f32_e32 v9, v12, v5
	v_fma_f32 v4, -v4, v9, v8
	v_div_fmas_f32 v4, v4, v5, v9
	v_div_fixup_f32 v2, v4, v3, v2
	v_add_f32_e32 v2, s10, v2
	v_mul_f32_e32 v3, 0x4b800000, v2
	v_cmp_gt_f32_e32 vcc, s7, v2
	v_cndmask_b32_e32 v2, v2, v3, vcc
	v_rsq_f32_e32 v2, v2
	v_cvt_f32_f16_e32 v12, v25
	v_cvt_f32_f16_sdwa v21, v27 dst_sel:DWORD dst_unused:UNUSED_PAD src0_sel:WORD_1
	v_cvt_f32_f16_e32 v20, v27
	v_mul_f32_e32 v3, 0x45800000, v2
	v_cndmask_b32_e32 v2, v2, v3, vcc
	v_mov_b32_e32 v3, v2
	;;#ASMSTART
	v_pk_mul_f32 v[4:5], v[16:17], v[2:3]
	;;#ASMEND
	;;#ASMSTART
	v_pk_mul_f32 v[8:9], v[10:11], v[2:3]
	;;#ASMEND
	;; [unrolled: 3-line block ×3, first 2 shown]
	v_cvt_f32_f16_sdwa v11, v24 dst_sel:DWORD dst_unused:UNUSED_PAD src0_sel:WORD_1
	v_cvt_f32_f16_e32 v10, v24
	;;#ASMSTART
	v_pk_mul_f32 v[2:3], v[32:33], v[2:3]
	;;#ASMEND
	;;#ASMSTART
	v_pk_mul_f32 v[16:17], v[4:5], v[10:11]
	;;#ASMEND
	;;#ASMSTART
	v_pk_mul_f32 v[10:11], v[8:9], v[12:13]
	;;#ASMEND
	;;#ASMSTART
	v_pk_mul_f32 v[6:7], v[6:7], v[14:15]
	;;#ASMEND
	;;#ASMSTART
	v_pk_mul_f32 v[32:33], v[2:3], v[20:21]
	;;#ASMEND
	s_or_b64 exec, exec, s[18:19]
	s_mov_b64 s[18:19], -1
	s_and_b64 vcc, exec, s[2:3]
	s_cbranch_vccz .LBB173_13
.LBB173_17:
	s_and_saveexec_b64 s[2:3], s[0:1]
	s_cbranch_execz .LBB173_19
; %bb.18:
	s_waitcnt lgkmcnt(0)
	s_mul_hi_i32 s19, s28, s6
	s_mul_i32 s18, s28, s6
	v_cvt_f16_f32_e32 v2, v16
	v_cvt_f16_f32_e32 v3, v10
	;; [unrolled: 1-line block ×8, first 2 shown]
	s_lshl_b64 s[18:19], s[18:19], 1
	s_add_u32 s24, s34, s18
	s_addc_u32 s7, s35, s19
	s_and_b32 s25, s7, 0xffff
	s_mov_b32 s27, 0x20000
	v_pack_b32_f16 v5, v5, v8
	v_pack_b32_f16 v4, v4, v9
	;; [unrolled: 1-line block ×4, first 2 shown]
	v_lshlrev_b32_e32 v8, 4, v0
	buffer_store_dwordx4 v[2:5], v8, s[24:27], 0 offen
	;;#ASMSTART
	s_nop 0
	;;#ASMEND
.LBB173_19:
	s_or_b64 exec, exec, s[2:3]
	s_cbranch_execnz .LBB173_14
.LBB173_20:
	s_waitcnt lgkmcnt(0)
	v_mov_b32_e32 v2, 0
	s_and_saveexec_b64 s[2:3], s[0:1]
	s_cbranch_execz .LBB173_22
; %bb.21:
	v_and_b32_e32 v2, 0x7fffffff, v16
	v_and_b32_e32 v3, 0x7fffffff, v17
	v_mov_b32_e32 v4, 0x2edbe6ff
	;;#ASMSTART
	v_max3_f32 v2, v4, v2, v3

	;;#ASMEND
	v_and_b32_e32 v3, 0x7fffffff, v10
	v_and_b32_e32 v4, 0x7fffffff, v11
	;;#ASMSTART
	v_max3_f32 v2, v2, v3, v4

	;;#ASMEND
	v_and_b32_e32 v3, 0x7fffffff, v6
	v_and_b32_e32 v4, 0x7fffffff, v7
	;; [unrolled: 6-line block ×3, first 2 shown]
	;;#ASMSTART
	v_max3_f32 v2, v2, v3, v4

	;;#ASMEND
.LBB173_22:
	s_or_b64 exec, exec, s[2:3]
	;;#ASMSTART
	v_max_f32 v3, v2, v2 quad_perm:[1,0,3,2] row_mask:0xf bank_mask:0xf bound_ctrl:1
	;;#ASMEND
	;;#ASMSTART
	v_max_f32 v2, v3, v3 quad_perm:[2,3,0,1] row_mask:0xf bank_mask:0xf bound_ctrl:1
	;;#ASMEND
	;;#ASMSTART
	v_max_f32 v3, v2, v2 row_half_mirror row_mask:0xf bank_mask:0xf bound_ctrl:1
	;;#ASMEND
	v_mul_f32_e32 v2, 0x3b124925, v3
	v_and_b32_e32 v3, 7, v0
	v_cmp_eq_u32_e32 vcc, 0, v3
	v_cmp_gt_i32_e64 s[2:3], s11, v1
	s_and_b64 s[18:19], vcc, s[2:3]
	s_and_saveexec_b64 s[2:3], s[18:19]
	s_cbranch_execz .LBB173_24
; %bb.23:
	s_load_dwordx2 s[18:19], s[4:5], 0x8
	v_lshrrev_b32_e32 v3, 3, v0
	s_mul_hi_i32 s25, s21, s6
	s_mul_i32 s24, s21, s6
	v_mad_i64_i32 v[4:5], s[22:23], s22, v3, 0
	s_lshl_b64 s[22:23], s[24:25], 2
	s_waitcnt lgkmcnt(0)
	s_add_u32 s7, s18, s22
	s_addc_u32 s8, s19, s23
	v_lshlrev_b64 v[4:5], 2, v[4:5]
	v_mov_b32_e32 v3, s8
	v_add_co_u32_e32 v4, vcc, s7, v4
	v_addc_co_u32_e32 v5, vcc, v3, v5, vcc
	global_store_dword v[4:5], v2, off
.LBB173_24:
	s_or_b64 exec, exec, s[2:3]
	;;#ASMSTART
	v_rcp_f32 v2, v2
	;;#ASMEND
	s_and_saveexec_b64 s[18:19], s[0:1]
	s_cbranch_execz .LBB173_26
; %bb.25:
	v_mov_b32_e32 v3, v2
	;;#ASMSTART
	v_pk_mul_f32 v[4:5], v[16:17], v[2:3]
	;;#ASMEND
	s_load_dwordx2 s[0:1], s[4:5], 0x0
	v_mov_b32_e32 v8, 0xc3e00000
	v_mov_b32_e32 v9, 0x43e00000
	;;#ASMSTART
	v_med3_f32 v4, v4, v8, v9
v_med3_f32 v5, v5, v8, v9
v_cvt_pk_fp8_f32 v12, v4, v5
	;;#ASMEND
	;;#ASMSTART
	v_pk_mul_f32 v[4:5], v[10:11], v[2:3]
	;;#ASMEND
	;;#ASMSTART
	v_med3_f32 v4, v4, v8, v9
v_med3_f32 v5, v5, v8, v9
v_cvt_pk_fp8_f32 v10, v4, v5
	;;#ASMEND
	s_mov_b32 s8, 0x5040100
	v_perm_b32 v5, v10, v12, s8
	s_movk_i32 s8, 0xff
	s_mul_i32 s3, s20, s6
	v_and_b32_e32 v4, 0xffffff00, v10
	v_and_b32_sdwa v10, v5, s8 dst_sel:DWORD dst_unused:UNUSED_PAD src0_sel:WORD_1 src1_sel:DWORD
	s_mul_hi_i32 s2, s20, s6
	s_mov_b32 s7, 0xffff
	s_waitcnt lgkmcnt(0)
	s_add_u32 s0, s0, s3
	v_or_b32_sdwa v4, v10, v4 dst_sel:WORD_1 dst_unused:UNUSED_PAD src0_sel:DWORD src1_sel:DWORD
	s_addc_u32 s1, s1, s2
	s_add_i32 s2, s11, 3
	v_and_or_b32 v4, v5, s7, v4
	;;#ASMSTART
	v_pk_mul_f32 v[6:7], v[6:7], v[2:3]
	;;#ASMEND
	v_mov_b32_e32 v5, v6
	s_ashr_i32 s3, s2, 31
	;;#ASMSTART
	v_med3_f32 v5, v5, v8, v9
v_med3_f32 v7, v7, v8, v9
v_cvt_pk_fp8_f32 v6, v5, v7
	;;#ASMEND
	;;#ASMSTART
	v_pk_mul_f32 v[2:3], v[32:33], v[2:3]
	;;#ASMEND
	s_lshr_b32 s3, s3, 30
	;;#ASMSTART
	v_med3_f32 v2, v2, v8, v9
v_med3_f32 v3, v3, v8, v9
v_cvt_pk_fp8_f32 v5, v2, v3
	;;#ASMEND
	s_add_i32 s2, s2, s3
	v_lshlrev_b32_e32 v2, 16, v5
	s_and_b32 s2, s2, -4
	s_and_b32 s1, s1, 0xffff
	s_mov_b32 s3, 0x20000
	v_and_or_b32 v5, v6, s7, v2
	buffer_store_dwordx2 v[4:5], v1, s[0:3], 0 offen
	;;#ASMSTART
	s_nop 0
	;;#ASMEND
.LBB173_26:
	s_or_b64 exec, exec, s[18:19]
	s_cmp_lt_i32 s12, 1
	s_cbranch_scc1 .LBB173_15
.LBB173_27:
	s_load_dword s0, s[4:5], 0x94
	s_waitcnt lgkmcnt(0)
	s_cmp_lg_u32 s0, 1
	s_cbranch_scc1 .LBB173_15
; %bb.28:
	s_lshl_b32 s0, s12, 1
	s_add_i32 s0, s0, 2
	v_cmp_gt_u32_e32 vcc, s12, v1
	s_and_b32 s18, s0, -4
	v_mov_b32_e32 v8, 0
	v_lshlrev_b32_e32 v16, 4, v0
	v_mov_b32_e32 v4, 0
	v_mov_b32_e32 v5, 0
	;; [unrolled: 1-line block ×8, first 2 shown]
	s_barrier
	s_and_saveexec_b64 s[0:1], vcc
	s_cbranch_execz .LBB173_30
; %bb.29:
	s_mul_hi_i32 s3, s14, s6
	s_mul_i32 s2, s14, s6
	s_and_b32 s17, s17, 0xffff
	s_lshl_b64 s[2:3], s[2:3], 1
	s_add_u32 s20, s30, s2
	s_mov_b32 s19, 0x20000
	s_addc_u32 s2, s31, s3
	s_and_b32 s21, s2, 0xffff
	s_mov_b32 s22, s18
	s_mov_b32 s23, s19
	buffer_load_dwordx4 v[4:7], v16, s[20:23], 0 offen glc slc
	buffer_load_dwordx4 v[0:3], v16, s[16:19], 0 offen
.LBB173_30:
	s_or_b64 exec, exec, s[0:1]
	v_mov_b32_e32 v9, 0
	v_mov_b32_e32 v14, 0
	v_mov_b32_e32 v15, 0
	v_mov_b32_e32 v12, 0
	v_mov_b32_e32 v13, 0
	v_mov_b32_e32 v10, 0
	v_mov_b32_e32 v11, 0
	s_and_saveexec_b64 s[0:1], vcc
	s_cbranch_execz .LBB173_32
; %bb.31:
	s_waitcnt vmcnt(1)
	v_cvt_f32_f16_sdwa v9, v4 dst_sel:DWORD dst_unused:UNUSED_PAD src0_sel:WORD_1
	v_cvt_f32_f16_e32 v8, v4
	v_cvt_f32_f16_sdwa v15, v5 dst_sel:DWORD dst_unused:UNUSED_PAD src0_sel:WORD_1
	v_cvt_f32_f16_e32 v14, v5
	v_cvt_f32_f16_sdwa v13, v6 dst_sel:DWORD dst_unused:UNUSED_PAD src0_sel:WORD_1
	v_cvt_f32_f16_e32 v12, v6
	v_cvt_f32_f16_sdwa v11, v7 dst_sel:DWORD dst_unused:UNUSED_PAD src0_sel:WORD_1
	v_cvt_f32_f16_e32 v10, v7
.LBB173_32:
	s_or_b64 exec, exec, s[0:1]
	s_waitcnt vmcnt(1)
	v_mul_f32_e32 v4, v9, v9
	v_fmac_f32_e32 v4, v8, v8
	v_fmac_f32_e32 v4, v14, v14
	;; [unrolled: 1-line block ×7, first 2 shown]
	s_nop 1
	v_mov_b32_dpp v5, v4 quad_perm:[1,0,3,2] row_mask:0xf bank_mask:0xf
	v_add_f32_e32 v4, v4, v5
	s_nop 1
	v_mov_b32_dpp v5, v4 quad_perm:[2,3,0,1] row_mask:0xf bank_mask:0xf
	v_add_f32_e32 v4, v4, v5
	s_nop 1
	v_mov_b32_dpp v5, v4 row_half_mirror row_mask:0xf bank_mask:0xf
	v_add_f32_e32 v4, v4, v5
	s_nop 1
	v_mov_b32_dpp v5, v4 row_mirror row_mask:0xf bank_mask:0xf
	v_add_f32_e32 v4, v4, v5
	s_nop 1
	v_mov_b32_dpp v5, v4 row_bcast:15 row_mask:0xf bank_mask:0xf
	v_add_f32_e32 v4, v4, v5
	s_nop 1
	v_mov_b32_dpp v5, v4 row_bcast:31 row_mask:0xf bank_mask:0xf
	v_add_f32_e32 v4, v4, v5
	ds_bpermute_b32 v4, v18, v4
	s_and_saveexec_b64 s[0:1], vcc
	s_cbranch_execz .LBB173_15
; %bb.33:
	v_cvt_f32_u32_e32 v5, s12
	s_mov_b32 s19, 0x20000
	s_waitcnt lgkmcnt(0)
	v_div_scale_f32 v6, s[0:1], v5, v5, v4
	v_rcp_f32_e32 v7, v6
	v_div_scale_f32 v17, vcc, v4, v5, v4
	s_mov_b32 s0, 0x800000
	v_fma_f32 v18, -v6, v7, 1.0
	v_fmac_f32_e32 v7, v18, v7
	v_mul_f32_e32 v18, v17, v7
	v_fma_f32 v19, -v6, v18, v17
	v_fmac_f32_e32 v18, v19, v7
	v_fma_f32 v6, -v6, v18, v17
	v_div_fmas_f32 v6, v6, v7, v18
	v_div_fixup_f32 v4, v6, v5, v4
	v_add_f32_e32 v4, s9, v4
	v_mul_f32_e32 v5, 0x4b800000, v4
	v_cmp_gt_f32_e32 vcc, s0, v4
	v_cndmask_b32_e32 v4, v4, v5, vcc
	v_rsq_f32_e32 v4, v4
	s_waitcnt vmcnt(0)
	v_cvt_f32_f16_sdwa v19, v3 dst_sel:DWORD dst_unused:UNUSED_PAD src0_sel:WORD_1
	v_cvt_f32_f16_e32 v18, v3
	s_mul_hi_i32 s1, s28, s6
	v_mul_f32_e32 v5, 0x45800000, v4
	v_cndmask_b32_e32 v4, v4, v5, vcc
	v_mov_b32_e32 v5, v4
	;;#ASMSTART
	v_pk_mul_f32 v[6:7], v[8:9], v[4:5]
	;;#ASMEND
	;;#ASMSTART
	v_pk_mul_f32 v[8:9], v[14:15], v[4:5]
	;;#ASMEND
	;; [unrolled: 3-line block ×4, first 2 shown]
	v_cvt_f32_f16_sdwa v11, v0 dst_sel:DWORD dst_unused:UNUSED_PAD src0_sel:WORD_1
	v_cvt_f32_f16_e32 v10, v0
	v_cvt_f32_f16_sdwa v15, v1 dst_sel:DWORD dst_unused:UNUSED_PAD src0_sel:WORD_1
	v_cvt_f32_f16_e32 v14, v1
	;; [unrolled: 2-line block ×3, first 2 shown]
	;;#ASMSTART
	v_pk_mul_f32 v[2:3], v[6:7], v[10:11]
	;;#ASMEND
	;;#ASMSTART
	v_pk_mul_f32 v[6:7], v[8:9], v[14:15]
	;;#ASMEND
	;; [unrolled: 3-line block ×4, first 2 shown]
	s_mul_i32 s0, s28, s6
	v_cvt_f16_f32_e32 v2, v2
	v_cvt_f16_f32_e32 v3, v3
	;; [unrolled: 1-line block ×8, first 2 shown]
	s_lshl_b64 s[0:1], s[0:1], 1
	s_add_u32 s16, s34, s0
	s_addc_u32 s0, s35, s1
	s_and_b32 s17, s0, 0xffff
	v_pack_b32_f16 v0, v2, v3
	v_pack_b32_f16 v1, v6, v7
	;; [unrolled: 1-line block ×4, first 2 shown]
	buffer_store_dwordx4 v[0:3], v16, s[16:19], 0 offen
	;;#ASMSTART
	s_nop 0
	;;#ASMEND
	s_endpgm
	.section	.rodata,"a",@progbits
	.p2align	6, 0x0
	.amdhsa_kernel _ZN5aiter35fused_qk_rmsnorm_group_quant_kernelIDF16_DB8_Li64ELi8ELi8ELb1ELb0ELb0ELb0ELb0ELb0EEEvPT0_PvPT_S6_S6_PKS5_S8_S8_S8_S8_ffiiiiiiiiiiiii
		.amdhsa_group_segment_fixed_size 0
		.amdhsa_private_segment_fixed_size 0
		.amdhsa_kernarg_size 400
		.amdhsa_user_sgpr_count 6
		.amdhsa_user_sgpr_private_segment_buffer 1
		.amdhsa_user_sgpr_dispatch_ptr 0
		.amdhsa_user_sgpr_queue_ptr 0
		.amdhsa_user_sgpr_kernarg_segment_ptr 1
		.amdhsa_user_sgpr_dispatch_id 0
		.amdhsa_user_sgpr_flat_scratch_init 0
		.amdhsa_user_sgpr_kernarg_preload_length 0
		.amdhsa_user_sgpr_kernarg_preload_offset 0
		.amdhsa_user_sgpr_private_segment_size 0
		.amdhsa_uses_dynamic_stack 0
		.amdhsa_system_sgpr_private_segment_wavefront_offset 0
		.amdhsa_system_sgpr_workgroup_id_x 1
		.amdhsa_system_sgpr_workgroup_id_y 1
		.amdhsa_system_sgpr_workgroup_id_z 0
		.amdhsa_system_sgpr_workgroup_info 0
		.amdhsa_system_vgpr_workitem_id 0
		.amdhsa_next_free_vgpr 34
		.amdhsa_next_free_sgpr 40
		.amdhsa_accum_offset 36
		.amdhsa_reserve_vcc 1
		.amdhsa_reserve_flat_scratch 0
		.amdhsa_float_round_mode_32 0
		.amdhsa_float_round_mode_16_64 0
		.amdhsa_float_denorm_mode_32 3
		.amdhsa_float_denorm_mode_16_64 3
		.amdhsa_dx10_clamp 1
		.amdhsa_ieee_mode 1
		.amdhsa_fp16_overflow 0
		.amdhsa_tg_split 0
		.amdhsa_exception_fp_ieee_invalid_op 0
		.amdhsa_exception_fp_denorm_src 0
		.amdhsa_exception_fp_ieee_div_zero 0
		.amdhsa_exception_fp_ieee_overflow 0
		.amdhsa_exception_fp_ieee_underflow 0
		.amdhsa_exception_fp_ieee_inexact 0
		.amdhsa_exception_int_div_zero 0
	.end_amdhsa_kernel
	.section	.text._ZN5aiter35fused_qk_rmsnorm_group_quant_kernelIDF16_DB8_Li64ELi8ELi8ELb1ELb0ELb0ELb0ELb0ELb0EEEvPT0_PvPT_S6_S6_PKS5_S8_S8_S8_S8_ffiiiiiiiiiiiii,"axG",@progbits,_ZN5aiter35fused_qk_rmsnorm_group_quant_kernelIDF16_DB8_Li64ELi8ELi8ELb1ELb0ELb0ELb0ELb0ELb0EEEvPT0_PvPT_S6_S6_PKS5_S8_S8_S8_S8_ffiiiiiiiiiiiii,comdat
.Lfunc_end173:
	.size	_ZN5aiter35fused_qk_rmsnorm_group_quant_kernelIDF16_DB8_Li64ELi8ELi8ELb1ELb0ELb0ELb0ELb0ELb0EEEvPT0_PvPT_S6_S6_PKS5_S8_S8_S8_S8_ffiiiiiiiiiiiii, .Lfunc_end173-_ZN5aiter35fused_qk_rmsnorm_group_quant_kernelIDF16_DB8_Li64ELi8ELi8ELb1ELb0ELb0ELb0ELb0ELb0EEEvPT0_PvPT_S6_S6_PKS5_S8_S8_S8_S8_ffiiiiiiiiiiiii
                                        ; -- End function
	.section	.AMDGPU.csdata,"",@progbits
; Kernel info:
; codeLenInByte = 2724
; NumSgprs: 44
; NumVgprs: 34
; NumAgprs: 0
; TotalNumVgprs: 34
; ScratchSize: 0
; MemoryBound: 0
; FloatMode: 240
; IeeeMode: 1
; LDSByteSize: 0 bytes/workgroup (compile time only)
; SGPRBlocks: 5
; VGPRBlocks: 4
; NumSGPRsForWavesPerEU: 44
; NumVGPRsForWavesPerEU: 34
; AccumOffset: 36
; Occupancy: 8
; WaveLimiterHint : 0
; COMPUTE_PGM_RSRC2:SCRATCH_EN: 0
; COMPUTE_PGM_RSRC2:USER_SGPR: 6
; COMPUTE_PGM_RSRC2:TRAP_HANDLER: 0
; COMPUTE_PGM_RSRC2:TGID_X_EN: 1
; COMPUTE_PGM_RSRC2:TGID_Y_EN: 1
; COMPUTE_PGM_RSRC2:TGID_Z_EN: 0
; COMPUTE_PGM_RSRC2:TIDIG_COMP_CNT: 0
; COMPUTE_PGM_RSRC3_GFX90A:ACCUM_OFFSET: 8
; COMPUTE_PGM_RSRC3_GFX90A:TG_SPLIT: 0
	.section	.text._ZN5aiter35fused_qk_rmsnorm_group_quant_kernelItDB8_Li64ELi8ELi8ELb1ELb0ELb0ELb0ELb0ELb0EEEvPT0_PvPT_S6_S6_PKS5_S8_S8_S8_S8_ffiiiiiiiiiiiii,"axG",@progbits,_ZN5aiter35fused_qk_rmsnorm_group_quant_kernelItDB8_Li64ELi8ELi8ELb1ELb0ELb0ELb0ELb0ELb0EEEvPT0_PvPT_S6_S6_PKS5_S8_S8_S8_S8_ffiiiiiiiiiiiii,comdat
	.protected	_ZN5aiter35fused_qk_rmsnorm_group_quant_kernelItDB8_Li64ELi8ELi8ELb1ELb0ELb0ELb0ELb0ELb0EEEvPT0_PvPT_S6_S6_PKS5_S8_S8_S8_S8_ffiiiiiiiiiiiii ; -- Begin function _ZN5aiter35fused_qk_rmsnorm_group_quant_kernelItDB8_Li64ELi8ELi8ELb1ELb0ELb0ELb0ELb0ELb0EEEvPT0_PvPT_S6_S6_PKS5_S8_S8_S8_S8_ffiiiiiiiiiiiii
	.globl	_ZN5aiter35fused_qk_rmsnorm_group_quant_kernelItDB8_Li64ELi8ELi8ELb1ELb0ELb0ELb0ELb0ELb0EEEvPT0_PvPT_S6_S6_PKS5_S8_S8_S8_S8_ffiiiiiiiiiiiii
	.p2align	8
	.type	_ZN5aiter35fused_qk_rmsnorm_group_quant_kernelItDB8_Li64ELi8ELi8ELb1ELb0ELb0ELb0ELb0ELb0EEEvPT0_PvPT_S6_S6_PKS5_S8_S8_S8_S8_ffiiiiiiiiiiiii,@function
_ZN5aiter35fused_qk_rmsnorm_group_quant_kernelItDB8_Li64ELi8ELi8ELb1ELb0ELb0ELb0ELb0ELb0EEEvPT0_PvPT_S6_S6_PKS5_S8_S8_S8_S8_ffiiiiiiiiiiiii: ; @_ZN5aiter35fused_qk_rmsnorm_group_quant_kernelItDB8_Li64ELi8ELi8ELb1ELb0ELb0ELb0ELb0ELb0EEEvPT0_PvPT_S6_S6_PKS5_S8_S8_S8_S8_ffiiiiiiiiiiiii
; %bb.0:
	s_load_dwordx8 s[8:15], s[4:5], 0x50
	s_waitcnt lgkmcnt(0)
	s_cmp_ge_i32 s6, s10
	s_cbranch_scc1 .LBB174_15
; %bb.1:
	s_cmp_lg_u32 s7, 0
	s_cselect_b64 s[2:3], -1, 0
	s_cmp_eq_u32 s7, 0
	s_cselect_b64 s[24:25], -1, 0
	s_and_b64 s[0:1], s[24:25], exec
	s_load_dwordx2 s[16:17], s[4:5], 0x48
	s_load_dwordx2 s[30:31], s[4:5], 0x30
	s_load_dwordx4 s[20:23], s[4:5], 0x70
	s_cselect_b32 s7, s11, s12
	s_add_i32 s0, s7, 1
	s_lshr_b32 s1, s0, 31
	s_add_i32 s0, s0, s1
	s_lshl_b32 s0, s0, 1
	v_lshlrev_b32_e32 v1, 3, v0
	s_and_b32 s26, s0, -4
	v_cmp_gt_i32_e64 s[0:1], s7, v1
	v_mov_b32_e32 v10, 0
	v_mov_b32_e32 v11, 0
	;; [unrolled: 1-line block ×8, first 2 shown]
	s_and_saveexec_b64 s[18:19], s[0:1]
	s_cbranch_execz .LBB174_3
; %bb.2:
	s_load_dwordx2 s[28:29], s[4:5], 0x28
	s_load_dwordx2 s[34:35], s[4:5], 0x40
	s_and_b64 s[36:37], s[24:25], exec
	s_cselect_b32 s10, s13, s14
	s_mov_b32 s27, 0x20000
	s_waitcnt lgkmcnt(0)
	s_cselect_b32 s13, s29, s31
	s_cselect_b32 s23, s28, s30
	s_mul_hi_i32 s29, s10, s6
	s_mul_i32 s28, s10, s6
	s_lshl_b64 s[28:29], s[28:29], 1
	s_add_u32 s36, s23, s28
	s_addc_u32 s10, s13, s29
	s_and_b64 s[24:25], s[24:25], exec
	s_cselect_b32 s24, s34, s16
	s_cselect_b32 s13, s35, s17
	v_lshlrev_b32_e32 v2, 4, v0
	s_and_b32 s37, s10, 0xffff
	s_mov_b32 s38, s26
	s_mov_b32 s39, s27
	s_and_b32 s25, s13, 0xffff
	buffer_load_dwordx4 v[14:17], v2, s[36:39], 0 offen glc slc
	buffer_load_dwordx4 v[10:13], v2, s[24:27], 0 offen
.LBB174_3:
	s_or_b64 exec, exec, s[18:19]
	s_load_dwordx2 s[28:29], s[4:5], 0x80
	s_and_b64 vcc, exec, s[2:3]
	s_cbranch_vccz .LBB174_7
; %bb.4:
	s_mov_b32 s36, 0
	s_mov_b32 s37, s36
	s_mov_b32 s38, s36
	s_mov_b32 s39, s36
	s_mov_b32 s40, s36
	s_mov_b32 s41, s36
	s_mov_b32 s42, s36
	s_mov_b32 s43, s36
	v_pk_mov_b32 v[2:3], s[36:37], s[36:37] op_sel:[0,1]
	v_pk_mov_b32 v[4:5], s[38:39], s[38:39] op_sel:[0,1]
	;; [unrolled: 1-line block ×4, first 2 shown]
	s_and_saveexec_b64 s[18:19], s[0:1]
	s_cbranch_execz .LBB174_6
; %bb.5:
	s_waitcnt vmcnt(1)
	v_cvt_f32_u32_sdwa v3, v14 dst_sel:DWORD dst_unused:UNUSED_PAD src0_sel:WORD_1
	v_cvt_f32_u32_sdwa v2, v14 dst_sel:DWORD dst_unused:UNUSED_PAD src0_sel:WORD_0
	v_cvt_f32_u32_sdwa v5, v15 dst_sel:DWORD dst_unused:UNUSED_PAD src0_sel:WORD_1
	v_cvt_f32_u32_sdwa v4, v15 dst_sel:DWORD dst_unused:UNUSED_PAD src0_sel:WORD_0
	;; [unrolled: 2-line block ×4, first 2 shown]
.LBB174_6:
	s_or_b64 exec, exec, s[18:19]
	s_mov_b32 s10, s9
	s_cbranch_execz .LBB174_8
	s_branch .LBB174_11
.LBB174_7:
                                        ; implicit-def: $vgpr2_vgpr3_vgpr4_vgpr5_vgpr6_vgpr7_vgpr8_vgpr9
	s_mov_b32 s10, s9
.LBB174_8:
	s_mov_b32 s36, 0
	s_mov_b32 s37, s36
	;; [unrolled: 1-line block ×8, first 2 shown]
	v_pk_mov_b32 v[2:3], s[36:37], s[36:37] op_sel:[0,1]
	v_pk_mov_b32 v[4:5], s[38:39], s[38:39] op_sel:[0,1]
	;; [unrolled: 1-line block ×4, first 2 shown]
	s_and_saveexec_b64 s[18:19], s[0:1]
	s_cbranch_execz .LBB174_10
; %bb.9:
	s_load_dwordx2 s[24:25], s[4:5], 0x38
	s_mul_hi_i32 s35, s15, s6
	s_mul_i32 s34, s15, s6
	s_lshl_b64 s[34:35], s[34:35], 1
	s_mov_b32 s27, 0x20000
	s_waitcnt lgkmcnt(0)
	s_add_u32 s24, s24, s34
	s_addc_u32 s10, s25, s35
	s_and_b32 s25, s10, 0xffff
	v_lshlrev_b32_e32 v26, 4, v0
	buffer_load_dwordx4 v[2:5], v26, s[24:27], 0 offen glc slc
	s_load_dwordx2 s[24:25], s[4:5], 0x20
	s_waitcnt vmcnt(2)
	v_cvt_f32_u32_sdwa v7, v14 dst_sel:DWORD dst_unused:UNUSED_PAD src0_sel:WORD_1
	v_cvt_f32_u32_sdwa v6, v14 dst_sel:DWORD dst_unused:UNUSED_PAD src0_sel:WORD_0
	v_cvt_f32_u32_sdwa v9, v15 dst_sel:DWORD dst_unused:UNUSED_PAD src0_sel:WORD_1
	v_cvt_f32_u32_sdwa v8, v15 dst_sel:DWORD dst_unused:UNUSED_PAD src0_sel:WORD_0
	;; [unrolled: 2-line block ×4, first 2 shown]
	s_mul_hi_i32 s35, s29, s6
	s_mul_i32 s34, s29, s6
	s_lshl_b64 s[34:35], s[34:35], 1
	s_waitcnt lgkmcnt(0)
	s_add_u32 s24, s24, s34
	s_mov_b32 s10, 0x7060302
	s_addc_u32 s13, s25, s35
	s_and_b32 s25, s13, 0xffff
	s_waitcnt vmcnt(0)
	v_cvt_f32_u32_sdwa v17, v2 dst_sel:DWORD dst_unused:UNUSED_PAD src0_sel:WORD_1
	v_cvt_f32_u32_sdwa v16, v2 dst_sel:DWORD dst_unused:UNUSED_PAD src0_sel:WORD_0
	v_cvt_f32_u32_sdwa v21, v3 dst_sel:DWORD dst_unused:UNUSED_PAD src0_sel:WORD_1
	v_cvt_f32_u32_sdwa v20, v3 dst_sel:DWORD dst_unused:UNUSED_PAD src0_sel:WORD_0
	;; [unrolled: 2-line block ×4, first 2 shown]
	v_pk_add_f32 v[2:3], v[6:7], v[16:17]
	v_pk_add_f32 v[4:5], v[8:9], v[20:21]
	;; [unrolled: 1-line block ×4, first 2 shown]
	v_perm_b32 v17, v9, v8, s10
	v_perm_b32 v16, v7, v6, s10
	;; [unrolled: 1-line block ×4, first 2 shown]
	buffer_store_dwordx4 v[14:17], v26, s[24:27], 0 offen glc slc
	;;#ASMSTART
	s_nop 0
	;;#ASMEND
.LBB174_10:
	s_or_b64 exec, exec, s[18:19]
	s_mov_b32 s10, s8
.LBB174_11:
	s_waitcnt vmcnt(1)
	v_mul_f32_e32 v14, v3, v3
	v_fmac_f32_e32 v14, v2, v2
	v_fmac_f32_e32 v14, v4, v4
	v_fmac_f32_e32 v14, v5, v5
	v_fmac_f32_e32 v14, v6, v6
	v_fmac_f32_e32 v14, v7, v7
	v_fmac_f32_e32 v14, v8, v8
	v_fmac_f32_e32 v14, v9, v9
	v_bfrev_b32_e32 v16, 0.5
	s_load_dwordx2 s[34:35], s[4:5], 0x18
	v_mov_b32_dpp v15, v14 quad_perm:[1,0,3,2] row_mask:0xf bank_mask:0xf
	v_add_f32_e32 v14, v14, v15
	s_nop 1
	v_mov_b32_dpp v15, v14 quad_perm:[2,3,0,1] row_mask:0xf bank_mask:0xf
	v_add_f32_e32 v14, v14, v15
	s_nop 1
	v_mov_b32_dpp v15, v14 row_half_mirror row_mask:0xf bank_mask:0xf
	v_add_f32_e32 v14, v14, v15
	s_nop 1
	v_mov_b32_dpp v15, v14 row_mirror row_mask:0xf bank_mask:0xf
	v_add_f32_e32 v14, v14, v15
	s_nop 1
	v_mov_b32_dpp v15, v14 row_bcast:15 row_mask:0xf bank_mask:0xf
	v_add_f32_e32 v14, v14, v15
	s_nop 1
	v_mov_b32_dpp v15, v14 row_bcast:31 row_mask:0xf bank_mask:0xf
	v_add_f32_e32 v15, v14, v15
	v_mbcnt_lo_u32_b32 v14, -1, 0
	v_mbcnt_hi_u32_b32 v14, -1, v14
	v_lshl_or_b32 v14, v14, 2, v16
	ds_bpermute_b32 v15, v14, v15
	s_and_saveexec_b64 s[18:19], s[0:1]
	s_cbranch_execnz .LBB174_16
; %bb.12:
	s_or_b64 exec, exec, s[18:19]
	s_mov_b64 s[18:19], -1
	s_and_b64 vcc, exec, s[2:3]
	s_cbranch_vccnz .LBB174_17
.LBB174_13:
	s_andn2_b64 vcc, exec, s[18:19]
	s_cbranch_vccz .LBB174_20
.LBB174_14:
	s_cmp_lt_i32 s12, 1
	s_cbranch_scc0 .LBB174_27
.LBB174_15:
	s_endpgm
.LBB174_16:
	v_cvt_f32_u32_e32 v16, s7
	s_mov_b32 s7, 0x800000
	s_waitcnt lgkmcnt(0)
	v_div_scale_f32 v17, s[24:25], v16, v16, v15
	v_rcp_f32_e32 v18, v17
	v_div_scale_f32 v19, vcc, v15, v16, v15
	v_fma_f32 v20, -v17, v18, 1.0
	v_fmac_f32_e32 v18, v20, v18
	v_mul_f32_e32 v20, v19, v18
	v_fma_f32 v21, -v17, v20, v19
	v_fmac_f32_e32 v20, v21, v18
	v_fma_f32 v17, -v17, v20, v19
	v_div_fmas_f32 v17, v17, v18, v20
	v_div_fixup_f32 v15, v17, v16, v15
	v_add_f32_e32 v15, s10, v15
	v_mul_f32_e32 v16, 0x4b800000, v15
	v_cmp_gt_f32_e32 vcc, s7, v15
	v_cndmask_b32_e32 v15, v15, v16, vcc
	v_rsq_f32_e32 v15, v15
	s_waitcnt vmcnt(0)
	v_cvt_f32_u32_sdwa v19, v11 dst_sel:DWORD dst_unused:UNUSED_PAD src0_sel:WORD_1
	v_cvt_f32_u32_sdwa v18, v11 dst_sel:DWORD dst_unused:UNUSED_PAD src0_sel:WORD_0
	v_cvt_f32_u32_sdwa v11, v12 dst_sel:DWORD dst_unused:UNUSED_PAD src0_sel:WORD_1
	v_mul_f32_e32 v16, 0x45800000, v15
	v_cndmask_b32_e32 v16, v15, v16, vcc
	v_mov_b32_e32 v17, v16
	;;#ASMSTART
	v_pk_mul_f32 v[2:3], v[2:3], v[16:17]
	;;#ASMEND
	;;#ASMSTART
	v_pk_mul_f32 v[4:5], v[4:5], v[16:17]
	;;#ASMEND
	;; [unrolled: 3-line block ×4, first 2 shown]
	v_cvt_f32_u32_sdwa v17, v10 dst_sel:DWORD dst_unused:UNUSED_PAD src0_sel:WORD_1
	v_cvt_f32_u32_sdwa v16, v10 dst_sel:DWORD dst_unused:UNUSED_PAD src0_sel:WORD_0
	v_cvt_f32_u32_sdwa v10, v12 dst_sel:DWORD dst_unused:UNUSED_PAD src0_sel:WORD_0
	v_cvt_f32_u32_sdwa v21, v13 dst_sel:DWORD dst_unused:UNUSED_PAD src0_sel:WORD_1
	v_cvt_f32_u32_sdwa v20, v13 dst_sel:DWORD dst_unused:UNUSED_PAD src0_sel:WORD_0
	;;#ASMSTART
	v_pk_mul_f32 v[2:3], v[2:3], v[16:17]
	;;#ASMEND
	;;#ASMSTART
	v_pk_mul_f32 v[4:5], v[4:5], v[18:19]
	;;#ASMEND
	;; [unrolled: 3-line block ×4, first 2 shown]
	s_or_b64 exec, exec, s[18:19]
	s_mov_b64 s[18:19], -1
	s_and_b64 vcc, exec, s[2:3]
	s_cbranch_vccz .LBB174_13
.LBB174_17:
	s_and_saveexec_b64 s[2:3], s[0:1]
	s_cbranch_execz .LBB174_19
; %bb.18:
	s_waitcnt lgkmcnt(0)
	s_mul_hi_i32 s19, s28, s6
	s_mul_i32 s18, s28, s6
	s_lshl_b64 s[18:19], s[18:19], 1
	s_add_u32 s24, s34, s18
	s_addc_u32 s7, s35, s19
	s_and_b32 s25, s7, 0xffff
	s_mov_b32 s7, 0x7060302
	s_mov_b32 s27, 0x20000
	s_waitcnt vmcnt(0)
	v_perm_b32 v10, v3, v2, s7
	v_perm_b32 v11, v5, v4, s7
	;; [unrolled: 1-line block ×4, first 2 shown]
	v_lshlrev_b32_e32 v15, 4, v0
	buffer_store_dwordx4 v[10:13], v15, s[24:27], 0 offen
	;;#ASMSTART
	s_nop 0
	;;#ASMEND
.LBB174_19:
	s_or_b64 exec, exec, s[2:3]
	s_cbranch_execnz .LBB174_14
.LBB174_20:
	s_waitcnt vmcnt(0)
	v_mov_b32_e32 v10, 0
	s_and_saveexec_b64 s[2:3], s[0:1]
	s_cbranch_execz .LBB174_22
; %bb.21:
	v_and_b32_e32 v10, 0x7fffffff, v2
	v_and_b32_e32 v11, 0x7fffffff, v3
	v_mov_b32_e32 v12, 0x2edbe6ff
	;;#ASMSTART
	v_max3_f32 v10, v12, v10, v11

	;;#ASMEND
	v_and_b32_e32 v11, 0x7fffffff, v4
	v_and_b32_e32 v12, 0x7fffffff, v5
	;;#ASMSTART
	v_max3_f32 v10, v10, v11, v12

	;;#ASMEND
	v_and_b32_e32 v11, 0x7fffffff, v6
	v_and_b32_e32 v12, 0x7fffffff, v7
	;; [unrolled: 6-line block ×3, first 2 shown]
	;;#ASMSTART
	v_max3_f32 v10, v10, v11, v12

	;;#ASMEND
.LBB174_22:
	s_or_b64 exec, exec, s[2:3]
	;;#ASMSTART
	v_max_f32 v11, v10, v10 quad_perm:[1,0,3,2] row_mask:0xf bank_mask:0xf bound_ctrl:1
	;;#ASMEND
	;;#ASMSTART
	v_max_f32 v10, v11, v11 quad_perm:[2,3,0,1] row_mask:0xf bank_mask:0xf bound_ctrl:1
	;;#ASMEND
	;;#ASMSTART
	v_max_f32 v11, v10, v10 row_half_mirror row_mask:0xf bank_mask:0xf bound_ctrl:1
	;;#ASMEND
	v_mul_f32_e32 v10, 0x3b124925, v11
	v_and_b32_e32 v11, 7, v0
	v_cmp_eq_u32_e32 vcc, 0, v11
	v_cmp_gt_i32_e64 s[2:3], s11, v1
	s_and_b64 s[18:19], vcc, s[2:3]
	s_and_saveexec_b64 s[2:3], s[18:19]
	s_cbranch_execz .LBB174_24
; %bb.23:
	s_load_dwordx2 s[18:19], s[4:5], 0x8
	v_lshrrev_b32_e32 v11, 3, v0
	s_waitcnt lgkmcnt(0)
	s_mul_hi_i32 s25, s21, s6
	s_mul_i32 s24, s21, s6
	v_mad_i64_i32 v[12:13], s[22:23], s22, v11, 0
	s_lshl_b64 s[22:23], s[24:25], 2
	s_add_u32 s7, s18, s22
	s_addc_u32 s8, s19, s23
	v_lshlrev_b64 v[12:13], 2, v[12:13]
	v_mov_b32_e32 v11, s8
	v_add_co_u32_e32 v12, vcc, s7, v12
	v_addc_co_u32_e32 v13, vcc, v11, v13, vcc
	global_store_dword v[12:13], v10, off
.LBB174_24:
	s_or_b64 exec, exec, s[2:3]
	;;#ASMSTART
	v_rcp_f32 v10, v10
	;;#ASMEND
	s_and_saveexec_b64 s[18:19], s[0:1]
	s_cbranch_execz .LBB174_26
; %bb.25:
	v_mov_b32_e32 v11, v10
	;;#ASMSTART
	v_pk_mul_f32 v[2:3], v[2:3], v[10:11]
	;;#ASMEND
	v_mov_b32_e32 v12, 0xc3e00000
	v_mov_b32_e32 v13, 0x43e00000
	s_waitcnt lgkmcnt(0)
	;;#ASMSTART
	v_med3_f32 v2, v2, v12, v13
v_med3_f32 v3, v3, v12, v13
v_cvt_pk_fp8_f32 v15, v2, v3
	;;#ASMEND
	s_load_dwordx2 s[0:1], s[4:5], 0x0
	;;#ASMSTART
	v_pk_mul_f32 v[2:3], v[4:5], v[10:11]
	;;#ASMEND
	;;#ASMSTART
	v_med3_f32 v2, v2, v12, v13
v_med3_f32 v3, v3, v12, v13
v_cvt_pk_fp8_f32 v4, v2, v3
	;;#ASMEND
	s_mov_b32 s8, 0x5040100
	v_perm_b32 v3, v4, v15, s8
	s_movk_i32 s8, 0xff
	v_and_b32_e32 v2, 0xffffff00, v4
	v_and_b32_sdwa v4, v3, s8 dst_sel:DWORD dst_unused:UNUSED_PAD src0_sel:WORD_1 src1_sel:DWORD
	s_mul_i32 s3, s20, s6
	s_mov_b32 s7, 0xffff
	v_or_b32_sdwa v2, v4, v2 dst_sel:WORD_1 dst_unused:UNUSED_PAD src0_sel:DWORD src1_sel:DWORD
	s_mul_hi_i32 s2, s20, s6
	s_waitcnt lgkmcnt(0)
	s_add_u32 s0, s0, s3
	v_and_or_b32 v2, v3, s7, v2
	;;#ASMSTART
	v_pk_mul_f32 v[4:5], v[6:7], v[10:11]
	;;#ASMEND
	v_mov_b32_e32 v3, v5
	s_addc_u32 s1, s1, s2
	s_add_i32 s2, s11, 3
	;;#ASMSTART
	v_med3_f32 v4, v4, v12, v13
v_med3_f32 v3, v3, v12, v13
v_cvt_pk_fp8_f32 v6, v4, v3
	;;#ASMEND
	s_ashr_i32 s3, s2, 31
	;;#ASMSTART
	v_pk_mul_f32 v[4:5], v[8:9], v[10:11]
	;;#ASMEND
	v_mov_b32_e32 v3, v5
	s_lshr_b32 s3, s3, 30
	;;#ASMSTART
	v_med3_f32 v4, v4, v12, v13
v_med3_f32 v3, v3, v12, v13
v_cvt_pk_fp8_f32 v5, v4, v3
	;;#ASMEND
	s_add_i32 s2, s2, s3
	v_lshlrev_b32_e32 v3, 16, v5
	s_and_b32 s2, s2, -4
	s_and_b32 s1, s1, 0xffff
	s_mov_b32 s3, 0x20000
	v_and_or_b32 v3, v6, s7, v3
	buffer_store_dwordx2 v[2:3], v1, s[0:3], 0 offen
	;;#ASMSTART
	s_nop 0
	;;#ASMEND
.LBB174_26:
	s_or_b64 exec, exec, s[18:19]
	s_cmp_lt_i32 s12, 1
	s_cbranch_scc1 .LBB174_15
.LBB174_27:
	s_load_dword s0, s[4:5], 0x94
	s_waitcnt lgkmcnt(0)
	s_cmp_lg_u32 s0, 1
	s_cbranch_scc1 .LBB174_15
; %bb.28:
	s_lshl_b32 s0, s12, 1
	s_add_i32 s0, s0, 2
	v_cmp_gt_u32_e32 vcc, s12, v1
	s_and_b32 s18, s0, -4
	v_mov_b32_e32 v4, 0
	s_waitcnt vmcnt(0)
	v_lshlrev_b32_e32 v12, 4, v0
	v_mov_b32_e32 v5, 0
	v_mov_b32_e32 v6, 0
	;; [unrolled: 1-line block ×7, first 2 shown]
	s_barrier
	s_and_saveexec_b64 s[0:1], vcc
	s_cbranch_execz .LBB174_30
; %bb.29:
	s_mul_hi_i32 s3, s14, s6
	s_mul_i32 s2, s14, s6
	s_and_b32 s17, s17, 0xffff
	s_lshl_b64 s[2:3], s[2:3], 1
	s_add_u32 s20, s30, s2
	s_mov_b32 s19, 0x20000
	s_addc_u32 s2, s31, s3
	s_and_b32 s21, s2, 0xffff
	s_mov_b32 s22, s18
	s_mov_b32 s23, s19
	buffer_load_dwordx4 v[4:7], v12, s[20:23], 0 offen glc slc
	buffer_load_dwordx4 v[0:3], v12, s[16:19], 0 offen
.LBB174_30:
	s_or_b64 exec, exec, s[0:1]
	s_waitcnt vmcnt(1)
	v_cvt_f32_u32_sdwa v11, v4 dst_sel:DWORD dst_unused:UNUSED_PAD src0_sel:WORD_1
	v_cvt_f32_u32_sdwa v10, v4 dst_sel:DWORD dst_unused:UNUSED_PAD src0_sel:WORD_0
	v_cvt_f32_u32_sdwa v4, v7 dst_sel:DWORD dst_unused:UNUSED_PAD src0_sel:WORD_1
	v_cvt_f32_u32_sdwa v7, v7 dst_sel:DWORD dst_unused:UNUSED_PAD src0_sel:WORD_0
	;; [unrolled: 2-line block ×4, first 2 shown]
	v_cndmask_b32_e32 v11, 0, v11, vcc
	v_cndmask_b32_e32 v5, 0, v4, vcc
	v_cndmask_b32_e32 v4, 0, v7, vcc
	v_cndmask_b32_e32 v7, 0, v13, vcc
	v_cndmask_b32_e32 v10, 0, v10, vcc
	v_mul_f32_e32 v13, v11, v11
	v_cndmask_b32_e32 v8, 0, v8, vcc
	v_fmac_f32_e32 v13, v10, v10
	v_cndmask_b32_e32 v9, 0, v9, vcc
	v_fmac_f32_e32 v13, v8, v8
	;; [unrolled: 2-line block ×3, first 2 shown]
	v_fmac_f32_e32 v13, v6, v6
	v_fmac_f32_e32 v13, v7, v7
	;; [unrolled: 1-line block ×4, first 2 shown]
	s_nop 1
	v_mov_b32_dpp v15, v13 quad_perm:[1,0,3,2] row_mask:0xf bank_mask:0xf
	v_add_f32_e32 v13, v13, v15
	s_nop 1
	v_mov_b32_dpp v15, v13 quad_perm:[2,3,0,1] row_mask:0xf bank_mask:0xf
	v_add_f32_e32 v13, v13, v15
	s_nop 1
	v_mov_b32_dpp v15, v13 row_half_mirror row_mask:0xf bank_mask:0xf
	v_add_f32_e32 v13, v13, v15
	s_nop 1
	v_mov_b32_dpp v15, v13 row_mirror row_mask:0xf bank_mask:0xf
	v_add_f32_e32 v13, v13, v15
	s_nop 1
	v_mov_b32_dpp v15, v13 row_bcast:15 row_mask:0xf bank_mask:0xf
	v_add_f32_e32 v13, v13, v15
	s_nop 1
	v_mov_b32_dpp v15, v13 row_bcast:31 row_mask:0xf bank_mask:0xf
	v_add_f32_e32 v13, v13, v15
	ds_bpermute_b32 v13, v14, v13
	s_and_saveexec_b64 s[0:1], vcc
	s_cbranch_execz .LBB174_15
; %bb.31:
	v_cvt_f32_u32_e32 v14, s12
	s_mov_b32 s19, 0x20000
	s_waitcnt lgkmcnt(0)
	v_div_scale_f32 v15, s[0:1], v14, v14, v13
	v_rcp_f32_e32 v16, v15
	v_div_scale_f32 v17, vcc, v13, v14, v13
	s_mov_b32 s0, 0x800000
	v_fma_f32 v18, -v15, v16, 1.0
	v_fmac_f32_e32 v16, v18, v16
	v_mul_f32_e32 v18, v17, v16
	v_fma_f32 v19, -v15, v18, v17
	v_fmac_f32_e32 v18, v19, v16
	v_fma_f32 v15, -v15, v18, v17
	v_div_fmas_f32 v15, v15, v16, v18
	v_div_fixup_f32 v13, v15, v14, v13
	v_add_f32_e32 v13, s9, v13
	v_mul_f32_e32 v14, 0x4b800000, v13
	v_cmp_gt_f32_e32 vcc, s0, v13
	v_cndmask_b32_e32 v13, v13, v14, vcc
	v_rsq_f32_e32 v13, v13
	s_mul_hi_i32 s1, s28, s6
	s_mul_i32 s0, s28, s6
	s_lshl_b64 s[0:1], s[0:1], 1
	v_mul_f32_e32 v14, 0x45800000, v13
	v_cndmask_b32_e32 v14, v13, v14, vcc
	s_add_u32 s16, s34, s0
	v_mov_b32_e32 v15, v14
	s_addc_u32 s0, s35, s1
	;;#ASMSTART
	v_pk_mul_f32 v[10:11], v[10:11], v[14:15]
	;;#ASMEND
	;;#ASMSTART
	v_pk_mul_f32 v[8:9], v[8:9], v[14:15]
	;;#ASMEND
	;; [unrolled: 3-line block ×4, first 2 shown]
	s_waitcnt vmcnt(0)
	v_cvt_f32_u32_sdwa v15, v0 dst_sel:DWORD dst_unused:UNUSED_PAD src0_sel:WORD_1
	v_cvt_f32_u32_sdwa v14, v0 dst_sel:DWORD dst_unused:UNUSED_PAD src0_sel:WORD_0
	v_cvt_f32_u32_sdwa v17, v1 dst_sel:DWORD dst_unused:UNUSED_PAD src0_sel:WORD_1
	v_cvt_f32_u32_sdwa v16, v1 dst_sel:DWORD dst_unused:UNUSED_PAD src0_sel:WORD_0
	;; [unrolled: 2-line block ×4, first 2 shown]
	;;#ASMSTART
	v_pk_mul_f32 v[2:3], v[10:11], v[14:15]
	;;#ASMEND
	s_and_b32 s17, s0, 0xffff
	s_mov_b32 s0, 0x7060302
	;;#ASMSTART
	v_pk_mul_f32 v[8:9], v[8:9], v[16:17]
	;;#ASMEND
	;;#ASMSTART
	v_pk_mul_f32 v[6:7], v[6:7], v[0:1]
	;;#ASMEND
	;; [unrolled: 3-line block ×3, first 2 shown]
	v_perm_b32 v0, v3, v2, s0
	v_perm_b32 v1, v9, v8, s0
	;; [unrolled: 1-line block ×4, first 2 shown]
	buffer_store_dwordx4 v[0:3], v12, s[16:19], 0 offen
	;;#ASMSTART
	s_nop 0
	;;#ASMEND
	s_endpgm
	.section	.rodata,"a",@progbits
	.p2align	6, 0x0
	.amdhsa_kernel _ZN5aiter35fused_qk_rmsnorm_group_quant_kernelItDB8_Li64ELi8ELi8ELb1ELb0ELb0ELb0ELb0ELb0EEEvPT0_PvPT_S6_S6_PKS5_S8_S8_S8_S8_ffiiiiiiiiiiiii
		.amdhsa_group_segment_fixed_size 0
		.amdhsa_private_segment_fixed_size 0
		.amdhsa_kernarg_size 400
		.amdhsa_user_sgpr_count 6
		.amdhsa_user_sgpr_private_segment_buffer 1
		.amdhsa_user_sgpr_dispatch_ptr 0
		.amdhsa_user_sgpr_queue_ptr 0
		.amdhsa_user_sgpr_kernarg_segment_ptr 1
		.amdhsa_user_sgpr_dispatch_id 0
		.amdhsa_user_sgpr_flat_scratch_init 0
		.amdhsa_user_sgpr_kernarg_preload_length 0
		.amdhsa_user_sgpr_kernarg_preload_offset 0
		.amdhsa_user_sgpr_private_segment_size 0
		.amdhsa_uses_dynamic_stack 0
		.amdhsa_system_sgpr_private_segment_wavefront_offset 0
		.amdhsa_system_sgpr_workgroup_id_x 1
		.amdhsa_system_sgpr_workgroup_id_y 1
		.amdhsa_system_sgpr_workgroup_id_z 0
		.amdhsa_system_sgpr_workgroup_info 0
		.amdhsa_system_vgpr_workitem_id 0
		.amdhsa_next_free_vgpr 27
		.amdhsa_next_free_sgpr 44
		.amdhsa_accum_offset 28
		.amdhsa_reserve_vcc 1
		.amdhsa_reserve_flat_scratch 0
		.amdhsa_float_round_mode_32 0
		.amdhsa_float_round_mode_16_64 0
		.amdhsa_float_denorm_mode_32 3
		.amdhsa_float_denorm_mode_16_64 3
		.amdhsa_dx10_clamp 1
		.amdhsa_ieee_mode 1
		.amdhsa_fp16_overflow 0
		.amdhsa_tg_split 0
		.amdhsa_exception_fp_ieee_invalid_op 0
		.amdhsa_exception_fp_denorm_src 0
		.amdhsa_exception_fp_ieee_div_zero 0
		.amdhsa_exception_fp_ieee_overflow 0
		.amdhsa_exception_fp_ieee_underflow 0
		.amdhsa_exception_fp_ieee_inexact 0
		.amdhsa_exception_int_div_zero 0
	.end_amdhsa_kernel
	.section	.text._ZN5aiter35fused_qk_rmsnorm_group_quant_kernelItDB8_Li64ELi8ELi8ELb1ELb0ELb0ELb0ELb0ELb0EEEvPT0_PvPT_S6_S6_PKS5_S8_S8_S8_S8_ffiiiiiiiiiiiii,"axG",@progbits,_ZN5aiter35fused_qk_rmsnorm_group_quant_kernelItDB8_Li64ELi8ELi8ELb1ELb0ELb0ELb0ELb0ELb0EEEvPT0_PvPT_S6_S6_PKS5_S8_S8_S8_S8_ffiiiiiiiiiiiii,comdat
.Lfunc_end174:
	.size	_ZN5aiter35fused_qk_rmsnorm_group_quant_kernelItDB8_Li64ELi8ELi8ELb1ELb0ELb0ELb0ELb0ELb0EEEvPT0_PvPT_S6_S6_PKS5_S8_S8_S8_S8_ffiiiiiiiiiiiii, .Lfunc_end174-_ZN5aiter35fused_qk_rmsnorm_group_quant_kernelItDB8_Li64ELi8ELi8ELb1ELb0ELb0ELb0ELb0ELb0EEEvPT0_PvPT_S6_S6_PKS5_S8_S8_S8_S8_ffiiiiiiiiiiiii
                                        ; -- End function
	.section	.AMDGPU.csdata,"",@progbits
; Kernel info:
; codeLenInByte = 2816
; NumSgprs: 48
; NumVgprs: 27
; NumAgprs: 0
; TotalNumVgprs: 27
; ScratchSize: 0
; MemoryBound: 0
; FloatMode: 240
; IeeeMode: 1
; LDSByteSize: 0 bytes/workgroup (compile time only)
; SGPRBlocks: 5
; VGPRBlocks: 3
; NumSGPRsForWavesPerEU: 48
; NumVGPRsForWavesPerEU: 27
; AccumOffset: 28
; Occupancy: 8
; WaveLimiterHint : 0
; COMPUTE_PGM_RSRC2:SCRATCH_EN: 0
; COMPUTE_PGM_RSRC2:USER_SGPR: 6
; COMPUTE_PGM_RSRC2:TRAP_HANDLER: 0
; COMPUTE_PGM_RSRC2:TGID_X_EN: 1
; COMPUTE_PGM_RSRC2:TGID_Y_EN: 1
; COMPUTE_PGM_RSRC2:TGID_Z_EN: 0
; COMPUTE_PGM_RSRC2:TIDIG_COMP_CNT: 0
; COMPUTE_PGM_RSRC3_GFX90A:ACCUM_OFFSET: 6
; COMPUTE_PGM_RSRC3_GFX90A:TG_SPLIT: 0
	.section	.text._ZN5aiter35fused_qk_rmsnorm_group_quant_kernelIDF16_N4opus5fp4_tELi64ELi8ELi8ELb1ELb0ELb0ELb0ELb0ELb0EEEvPT0_PvPT_S7_S7_PKS6_S9_S9_S9_S9_ffiiiiiiiiiiiii,"axG",@progbits,_ZN5aiter35fused_qk_rmsnorm_group_quant_kernelIDF16_N4opus5fp4_tELi64ELi8ELi8ELb1ELb0ELb0ELb0ELb0ELb0EEEvPT0_PvPT_S7_S7_PKS6_S9_S9_S9_S9_ffiiiiiiiiiiiii,comdat
	.protected	_ZN5aiter35fused_qk_rmsnorm_group_quant_kernelIDF16_N4opus5fp4_tELi64ELi8ELi8ELb1ELb0ELb0ELb0ELb0ELb0EEEvPT0_PvPT_S7_S7_PKS6_S9_S9_S9_S9_ffiiiiiiiiiiiii ; -- Begin function _ZN5aiter35fused_qk_rmsnorm_group_quant_kernelIDF16_N4opus5fp4_tELi64ELi8ELi8ELb1ELb0ELb0ELb0ELb0ELb0EEEvPT0_PvPT_S7_S7_PKS6_S9_S9_S9_S9_ffiiiiiiiiiiiii
	.globl	_ZN5aiter35fused_qk_rmsnorm_group_quant_kernelIDF16_N4opus5fp4_tELi64ELi8ELi8ELb1ELb0ELb0ELb0ELb0ELb0EEEvPT0_PvPT_S7_S7_PKS6_S9_S9_S9_S9_ffiiiiiiiiiiiii
	.p2align	8
	.type	_ZN5aiter35fused_qk_rmsnorm_group_quant_kernelIDF16_N4opus5fp4_tELi64ELi8ELi8ELb1ELb0ELb0ELb0ELb0ELb0EEEvPT0_PvPT_S7_S7_PKS6_S9_S9_S9_S9_ffiiiiiiiiiiiii,@function
_ZN5aiter35fused_qk_rmsnorm_group_quant_kernelIDF16_N4opus5fp4_tELi64ELi8ELi8ELb1ELb0ELb0ELb0ELb0ELb0EEEvPT0_PvPT_S7_S7_PKS6_S9_S9_S9_S9_ffiiiiiiiiiiiii: ; @_ZN5aiter35fused_qk_rmsnorm_group_quant_kernelIDF16_N4opus5fp4_tELi64ELi8ELi8ELb1ELb0ELb0ELb0ELb0ELb0EEEvPT0_PvPT_S7_S7_PKS6_S9_S9_S9_S9_ffiiiiiiiiiiiii
; %bb.0:
	s_load_dwordx8 s[8:15], s[4:5], 0x50
	s_waitcnt lgkmcnt(0)
	s_cmp_ge_i32 s6, s10
	s_cbranch_scc1 .LBB175_15
; %bb.1:
	s_cmp_lg_u32 s7, 0
	s_cselect_b64 s[2:3], -1, 0
	s_cmp_eq_u32 s7, 0
	s_cselect_b64 s[24:25], -1, 0
	s_and_b64 s[0:1], s[24:25], exec
	s_load_dwordx2 s[16:17], s[4:5], 0x48
	s_load_dwordx2 s[30:31], s[4:5], 0x30
	s_load_dwordx4 s[20:23], s[4:5], 0x70
	s_cselect_b32 s7, s11, s12
	s_add_i32 s0, s7, 1
	s_lshr_b32 s1, s0, 31
	s_add_i32 s0, s0, s1
	s_lshl_b32 s0, s0, 1
	v_lshlrev_b32_e32 v1, 3, v0
	s_and_b32 s26, s0, -4
	v_cmp_gt_i32_e64 s[0:1], s7, v1
	v_mov_b32_e32 v2, 0
	v_mov_b32_e32 v3, 0
	;; [unrolled: 1-line block ×8, first 2 shown]
	s_and_saveexec_b64 s[18:19], s[0:1]
	s_cbranch_execz .LBB175_3
; %bb.2:
	s_load_dwordx2 s[28:29], s[4:5], 0x28
	s_load_dwordx2 s[34:35], s[4:5], 0x40
	s_and_b64 s[36:37], s[24:25], exec
	s_cselect_b32 s10, s13, s14
	s_mov_b32 s27, 0x20000
	s_waitcnt lgkmcnt(0)
	s_cselect_b32 s13, s29, s31
	s_cselect_b32 s23, s28, s30
	s_mul_hi_i32 s29, s10, s6
	s_mul_i32 s28, s10, s6
	s_lshl_b64 s[28:29], s[28:29], 1
	s_add_u32 s36, s23, s28
	s_addc_u32 s10, s13, s29
	s_and_b64 s[24:25], s[24:25], exec
	s_cselect_b32 s24, s34, s16
	s_cselect_b32 s13, s35, s17
	v_lshlrev_b32_e32 v10, 4, v0
	s_and_b32 s37, s10, 0xffff
	s_mov_b32 s38, s26
	s_mov_b32 s39, s27
	s_and_b32 s25, s13, 0xffff
	buffer_load_dwordx4 v[6:9], v10, s[36:39], 0 offen glc slc
	buffer_load_dwordx4 v[2:5], v10, s[24:27], 0 offen
.LBB175_3:
	s_or_b64 exec, exec, s[18:19]
	s_load_dwordx2 s[28:29], s[4:5], 0x80
	s_and_b64 vcc, exec, s[2:3]
	s_cbranch_vccz .LBB175_7
; %bb.4:
	v_mov_b32_e32 v11, 0
	v_mov_b32_e32 v10, 0
	;; [unrolled: 1-line block ×8, first 2 shown]
	s_and_saveexec_b64 s[18:19], s[0:1]
	s_cbranch_execz .LBB175_6
; %bb.5:
	s_waitcnt vmcnt(1)
	v_cvt_f32_f16_sdwa v17, v6 dst_sel:DWORD dst_unused:UNUSED_PAD src0_sel:WORD_1
	v_cvt_f32_f16_e32 v16, v6
	v_cvt_f32_f16_sdwa v15, v7 dst_sel:DWORD dst_unused:UNUSED_PAD src0_sel:WORD_1
	v_cvt_f32_f16_e32 v14, v7
	;; [unrolled: 2-line block ×4, first 2 shown]
.LBB175_6:
	s_or_b64 exec, exec, s[18:19]
	s_mov_b32 s10, s9
	s_cbranch_execz .LBB175_8
	s_branch .LBB175_11
.LBB175_7:
                                        ; implicit-def: $vgpr11
                                        ; implicit-def: $vgpr13
                                        ; implicit-def: $vgpr15
                                        ; implicit-def: $vgpr17
	s_mov_b32 s10, s9
.LBB175_8:
	v_mov_b32_e32 v11, 0
	v_mov_b32_e32 v10, 0
	;; [unrolled: 1-line block ×8, first 2 shown]
	s_and_saveexec_b64 s[18:19], s[0:1]
	s_cbranch_execz .LBB175_10
; %bb.9:
	s_load_dwordx2 s[24:25], s[4:5], 0x38
	s_mul_hi_i32 s35, s15, s6
	s_mul_i32 s34, s15, s6
	s_lshl_b64 s[34:35], s[34:35], 1
	s_mov_b32 s27, 0x20000
	s_waitcnt lgkmcnt(0)
	s_add_u32 s24, s24, s34
	s_addc_u32 s10, s25, s35
	s_and_b32 s25, s10, 0xffff
	v_lshlrev_b32_e32 v26, 4, v0
	buffer_load_dwordx4 v[10:13], v26, s[24:27], 0 offen glc slc
	s_waitcnt vmcnt(2)
	v_cvt_f32_f16_sdwa v15, v6 dst_sel:DWORD dst_unused:UNUSED_PAD src0_sel:WORD_1
	v_cvt_f32_f16_e32 v14, v6
	v_cvt_f32_f16_sdwa v19, v7 dst_sel:DWORD dst_unused:UNUSED_PAD src0_sel:WORD_1
	v_cvt_f32_f16_e32 v18, v7
	;; [unrolled: 2-line block ×4, first 2 shown]
	s_load_dwordx2 s[24:25], s[4:5], 0x20
	s_mul_hi_i32 s35, s29, s6
	s_mul_i32 s34, s29, s6
	s_lshl_b64 s[34:35], s[34:35], 1
	s_waitcnt lgkmcnt(0)
	s_add_u32 s24, s24, s34
	s_addc_u32 s10, s25, s35
	s_and_b32 s25, s10, 0xffff
	s_waitcnt vmcnt(0)
	v_cvt_f32_f16_e32 v8, v10
	v_cvt_f32_f16_sdwa v9, v10 dst_sel:DWORD dst_unused:UNUSED_PAD src0_sel:WORD_1
	v_cvt_f32_f16_e32 v10, v11
	v_cvt_f32_f16_sdwa v11, v11 dst_sel:DWORD dst_unused:UNUSED_PAD src0_sel:WORD_1
	;; [unrolled: 2-line block ×4, first 2 shown]
	v_pk_add_f32 v[16:17], v[14:15], v[8:9]
	v_pk_add_f32 v[14:15], v[18:19], v[10:11]
	v_pk_add_f32 v[12:13], v[6:7], v[22:23]
	v_pk_add_f32 v[10:11], v[20:21], v[24:25]
	v_cvt_f16_f32_e32 v6, v17
	v_cvt_f16_f32_e32 v7, v15
	;; [unrolled: 1-line block ×8, first 2 shown]
	v_pack_b32_f16 v9, v18, v9
	v_pack_b32_f16 v8, v19, v8
	;; [unrolled: 1-line block ×4, first 2 shown]
	buffer_store_dwordx4 v[6:9], v26, s[24:27], 0 offen glc slc
	;;#ASMSTART
	s_nop 0
	;;#ASMEND
.LBB175_10:
	s_or_b64 exec, exec, s[18:19]
	s_mov_b32 s10, s8
.LBB175_11:
	s_waitcnt vmcnt(1)
	v_mul_f32_e32 v6, v17, v17
	v_fmac_f32_e32 v6, v16, v16
	v_fmac_f32_e32 v6, v14, v14
	;; [unrolled: 1-line block ×7, first 2 shown]
	v_bfrev_b32_e32 v8, 0.5
	s_load_dwordx2 s[34:35], s[4:5], 0x18
	v_mov_b32_dpp v7, v6 quad_perm:[1,0,3,2] row_mask:0xf bank_mask:0xf
	v_add_f32_e32 v6, v6, v7
	s_nop 1
	v_mov_b32_dpp v7, v6 quad_perm:[2,3,0,1] row_mask:0xf bank_mask:0xf
	v_add_f32_e32 v6, v6, v7
	s_nop 1
	v_mov_b32_dpp v7, v6 row_half_mirror row_mask:0xf bank_mask:0xf
	v_add_f32_e32 v6, v6, v7
	s_nop 1
	v_mov_b32_dpp v7, v6 row_mirror row_mask:0xf bank_mask:0xf
	v_add_f32_e32 v6, v6, v7
	s_nop 1
	v_mov_b32_dpp v7, v6 row_bcast:15 row_mask:0xf bank_mask:0xf
	v_add_f32_e32 v6, v6, v7
	s_nop 1
	v_mov_b32_dpp v7, v6 row_bcast:31 row_mask:0xf bank_mask:0xf
	v_add_f32_e32 v6, v6, v7
	v_mbcnt_lo_u32_b32 v7, -1, 0
	v_mbcnt_hi_u32_b32 v7, -1, v7
	v_lshl_or_b32 v18, v7, 2, v8
	ds_bpermute_b32 v6, v18, v6
	s_and_saveexec_b64 s[18:19], s[0:1]
	s_cbranch_execnz .LBB175_16
; %bb.12:
	s_or_b64 exec, exec, s[18:19]
	s_mov_b64 s[18:19], -1
	s_and_b64 vcc, exec, s[2:3]
	s_cbranch_vccnz .LBB175_17
.LBB175_13:
	s_andn2_b64 vcc, exec, s[18:19]
	s_cbranch_vccz .LBB175_20
.LBB175_14:
	s_cmp_lt_i32 s12, 1
	s_cbranch_scc0 .LBB175_27
.LBB175_15:
	s_endpgm
.LBB175_16:
	v_cvt_f32_u32_e32 v7, s7
	s_mov_b32 s7, 0x800000
	s_waitcnt vmcnt(0)
	v_cvt_f32_f16_sdwa v23, v5 dst_sel:DWORD dst_unused:UNUSED_PAD src0_sel:WORD_1
	v_cvt_f32_f16_e32 v22, v5
	s_waitcnt lgkmcnt(0)
	v_div_scale_f32 v8, s[24:25], v7, v7, v6
	v_rcp_f32_e32 v9, v8
	v_div_scale_f32 v19, vcc, v6, v7, v6
	v_fma_f32 v20, -v8, v9, 1.0
	v_fmac_f32_e32 v9, v20, v9
	v_mul_f32_e32 v20, v19, v9
	v_fma_f32 v21, -v8, v20, v19
	v_fmac_f32_e32 v20, v21, v9
	v_fma_f32 v8, -v8, v20, v19
	v_div_fmas_f32 v8, v8, v9, v20
	v_div_fixup_f32 v6, v8, v7, v6
	v_add_f32_e32 v6, s10, v6
	v_mul_f32_e32 v7, 0x4b800000, v6
	v_cmp_gt_f32_e32 vcc, s7, v6
	v_cndmask_b32_e32 v6, v6, v7, vcc
	v_rsq_f32_e32 v6, v6
	v_cvt_f32_f16_sdwa v21, v3 dst_sel:DWORD dst_unused:UNUSED_PAD src0_sel:WORD_1
	v_cvt_f32_f16_e32 v20, v3
	v_cvt_f32_f16_sdwa v3, v4 dst_sel:DWORD dst_unused:UNUSED_PAD src0_sel:WORD_1
	v_mul_f32_e32 v7, 0x45800000, v6
	v_cndmask_b32_e32 v6, v6, v7, vcc
	v_mov_b32_e32 v7, v6
	;;#ASMSTART
	v_pk_mul_f32 v[8:9], v[16:17], v[6:7]
	;;#ASMEND
	;;#ASMSTART
	v_pk_mul_f32 v[14:15], v[14:15], v[6:7]
	;;#ASMEND
	;; [unrolled: 3-line block ×4, first 2 shown]
	v_cvt_f32_f16_sdwa v11, v2 dst_sel:DWORD dst_unused:UNUSED_PAD src0_sel:WORD_1
	v_cvt_f32_f16_e32 v10, v2
	v_cvt_f32_f16_e32 v2, v4
	;;#ASMSTART
	v_pk_mul_f32 v[16:17], v[8:9], v[10:11]
	;;#ASMEND
	;;#ASMSTART
	v_pk_mul_f32 v[14:15], v[14:15], v[20:21]
	;;#ASMEND
	;; [unrolled: 3-line block ×4, first 2 shown]
	s_or_b64 exec, exec, s[18:19]
	s_mov_b64 s[18:19], -1
	s_and_b64 vcc, exec, s[2:3]
	s_cbranch_vccz .LBB175_13
.LBB175_17:
	s_and_saveexec_b64 s[2:3], s[0:1]
	s_cbranch_execz .LBB175_19
; %bb.18:
	s_waitcnt lgkmcnt(0)
	s_mul_hi_i32 s19, s28, s6
	s_mul_i32 s18, s28, s6
	s_waitcnt vmcnt(0)
	v_cvt_f16_f32_e32 v2, v16
	v_cvt_f16_f32_e32 v3, v14
	;; [unrolled: 1-line block ×8, first 2 shown]
	s_lshl_b64 s[18:19], s[18:19], 1
	s_add_u32 s24, s34, s18
	s_addc_u32 s7, s35, s19
	s_and_b32 s25, s7, 0xffff
	s_mov_b32 s27, 0x20000
	v_pack_b32_f16 v5, v5, v6
	v_pack_b32_f16 v4, v4, v7
	;; [unrolled: 1-line block ×4, first 2 shown]
	v_lshlrev_b32_e32 v6, 4, v0
	buffer_store_dwordx4 v[2:5], v6, s[24:27], 0 offen
	;;#ASMSTART
	s_nop 0
	;;#ASMEND
.LBB175_19:
	s_or_b64 exec, exec, s[2:3]
	s_cbranch_execnz .LBB175_14
.LBB175_20:
	s_waitcnt vmcnt(0)
	v_mov_b32_e32 v2, 0
	s_and_saveexec_b64 s[2:3], s[0:1]
	s_cbranch_execz .LBB175_22
; %bb.21:
	v_and_b32_e32 v2, 0x7fffffff, v16
	v_and_b32_e32 v3, 0x7fffffff, v17
	v_mov_b32_e32 v4, 0x2edbe6ff
	;;#ASMSTART
	v_max3_f32 v2, v4, v2, v3

	;;#ASMEND
	v_and_b32_e32 v3, 0x7fffffff, v14
	v_and_b32_e32 v4, 0x7fffffff, v15
	;;#ASMSTART
	v_max3_f32 v2, v2, v3, v4

	;;#ASMEND
	v_and_b32_e32 v3, 0x7fffffff, v12
	v_and_b32_e32 v4, 0x7fffffff, v13
	;; [unrolled: 6-line block ×3, first 2 shown]
	;;#ASMSTART
	v_max3_f32 v2, v2, v3, v4

	;;#ASMEND
.LBB175_22:
	s_or_b64 exec, exec, s[2:3]
	;;#ASMSTART
	v_max_f32 v3, v2, v2 quad_perm:[1,0,3,2] row_mask:0xf bank_mask:0xf bound_ctrl:1
	;;#ASMEND
	;;#ASMSTART
	v_max_f32 v4, v3, v3 quad_perm:[2,3,0,1] row_mask:0xf bank_mask:0xf bound_ctrl:1
	;;#ASMEND
	v_and_b32_e32 v3, 7, v0
	v_cmp_eq_u32_e32 vcc, 0, v3
	v_cmp_gt_i32_e64 s[2:3], s11, v1
	s_and_b64 s[18:19], vcc, s[2:3]
	;;#ASMSTART
	v_max_f32 v2, v4, v4 row_half_mirror row_mask:0xf bank_mask:0xf bound_ctrl:1
	;;#ASMEND
	s_and_saveexec_b64 s[2:3], s[18:19]
	s_cbranch_execz .LBB175_24
; %bb.23:
	s_load_dwordx2 s[18:19], s[4:5], 0x8
	v_mul_f32_e32 v2, 0x3e2aaaab, v2
	v_lshrrev_b32_e32 v3, 23, v2
	v_and_b32_e32 v4, 0x7f800000, v2
	v_and_b32_e32 v2, 0x7fffff, v2
	v_cmp_ne_u32_e32 vcc, 0, v2
	s_waitcnt lgkmcnt(0)
	s_mul_i32 s10, s21, s6
	s_mov_b32 s7, 0x7f800000
	v_addc_co_u32_e32 v2, vcc, 0, v3, vcc
	s_mul_hi_i32 s8, s21, s6
	s_add_u32 s18, s18, s10
	v_cmp_ne_u32_e32 vcc, s7, v4
	s_addc_u32 s19, s19, s8
	v_lshrrev_b32_e32 v5, 3, v0
	v_cndmask_b32_e32 v4, -1, v2, vcc
	v_pk_mov_b32 v[2:3], s[18:19], s[18:19] op_sel:[0,1]
	v_mad_i64_i32 v[2:3], s[18:19], s22, v5, v[2:3]
	global_store_byte v[2:3], v4, off
.LBB175_24:
	s_or_b64 exec, exec, s[2:3]
	s_and_saveexec_b64 s[2:3], s[0:1]
	s_cbranch_execz .LBB175_26
; %bb.25:
	s_load_dwordx2 s[0:1], s[4:5], 0x0
	s_waitcnt lgkmcnt(0)
	s_mul_i32 s8, s20, s6
	s_mul_hi_i32 s7, s20, s6
	v_lshlrev_b32_e32 v2, 2, v0
	s_mov_b32 s23, 0x20000
	s_add_u32 s20, s0, s8
	s_addc_u32 s0, s1, s7
	s_lshr_b32 s1, s11, 31
	s_add_i32 s1, s11, s1
	s_ashr_i32 s1, s1, 1
	s_add_i32 s1, s1, 3
	s_ashr_i32 s7, s1, 31
	s_lshr_b32 s7, s7, 30
	s_add_i32 s1, s1, s7
	s_and_b32 s22, s1, -4
	s_and_b32 s21, s0, 0xffff
	v_mov_b32_e32 v3, 0
	buffer_store_dword v3, v2, s[20:23], 0 offen
	;;#ASMSTART
	s_nop 0
	;;#ASMEND
.LBB175_26:
	s_or_b64 exec, exec, s[2:3]
	s_cmp_lt_i32 s12, 1
	s_cbranch_scc1 .LBB175_15
.LBB175_27:
	s_load_dword s0, s[4:5], 0x94
	s_waitcnt lgkmcnt(0)
	s_cmp_lg_u32 s0, 1
	s_cbranch_scc1 .LBB175_15
; %bb.28:
	s_lshl_b32 s0, s12, 1
	s_add_i32 s0, s0, 2
	v_cmp_gt_u32_e32 vcc, s12, v1
	s_and_b32 s18, s0, -4
	v_mov_b32_e32 v8, 0
	v_lshlrev_b32_e32 v16, 4, v0
	s_waitcnt vmcnt(0)
	v_mov_b32_e32 v4, 0
	v_mov_b32_e32 v5, 0
	;; [unrolled: 1-line block ×8, first 2 shown]
	s_barrier
	s_and_saveexec_b64 s[0:1], vcc
	s_cbranch_execz .LBB175_30
; %bb.29:
	s_mul_hi_i32 s3, s14, s6
	s_mul_i32 s2, s14, s6
	s_and_b32 s17, s17, 0xffff
	s_lshl_b64 s[2:3], s[2:3], 1
	s_add_u32 s20, s30, s2
	s_mov_b32 s19, 0x20000
	s_addc_u32 s2, s31, s3
	s_and_b32 s21, s2, 0xffff
	s_mov_b32 s22, s18
	s_mov_b32 s23, s19
	buffer_load_dwordx4 v[4:7], v16, s[20:23], 0 offen glc slc
	buffer_load_dwordx4 v[0:3], v16, s[16:19], 0 offen
.LBB175_30:
	s_or_b64 exec, exec, s[0:1]
	v_mov_b32_e32 v9, 0
	v_mov_b32_e32 v14, 0
	;; [unrolled: 1-line block ×7, first 2 shown]
	s_and_saveexec_b64 s[0:1], vcc
	s_cbranch_execz .LBB175_32
; %bb.31:
	s_waitcnt vmcnt(1)
	v_cvt_f32_f16_sdwa v9, v4 dst_sel:DWORD dst_unused:UNUSED_PAD src0_sel:WORD_1
	v_cvt_f32_f16_e32 v8, v4
	v_cvt_f32_f16_sdwa v15, v5 dst_sel:DWORD dst_unused:UNUSED_PAD src0_sel:WORD_1
	v_cvt_f32_f16_e32 v14, v5
	;; [unrolled: 2-line block ×4, first 2 shown]
.LBB175_32:
	s_or_b64 exec, exec, s[0:1]
	s_waitcnt vmcnt(1)
	v_mul_f32_e32 v4, v9, v9
	v_fmac_f32_e32 v4, v8, v8
	v_fmac_f32_e32 v4, v14, v14
	;; [unrolled: 1-line block ×7, first 2 shown]
	s_nop 1
	v_mov_b32_dpp v5, v4 quad_perm:[1,0,3,2] row_mask:0xf bank_mask:0xf
	v_add_f32_e32 v4, v4, v5
	s_nop 1
	v_mov_b32_dpp v5, v4 quad_perm:[2,3,0,1] row_mask:0xf bank_mask:0xf
	v_add_f32_e32 v4, v4, v5
	s_nop 1
	v_mov_b32_dpp v5, v4 row_half_mirror row_mask:0xf bank_mask:0xf
	v_add_f32_e32 v4, v4, v5
	s_nop 1
	v_mov_b32_dpp v5, v4 row_mirror row_mask:0xf bank_mask:0xf
	v_add_f32_e32 v4, v4, v5
	s_nop 1
	v_mov_b32_dpp v5, v4 row_bcast:15 row_mask:0xf bank_mask:0xf
	v_add_f32_e32 v4, v4, v5
	s_nop 1
	v_mov_b32_dpp v5, v4 row_bcast:31 row_mask:0xf bank_mask:0xf
	v_add_f32_e32 v4, v4, v5
	ds_bpermute_b32 v4, v18, v4
	s_and_saveexec_b64 s[0:1], vcc
	s_cbranch_execz .LBB175_15
; %bb.33:
	v_cvt_f32_u32_e32 v5, s12
	s_mov_b32 s19, 0x20000
	s_waitcnt lgkmcnt(0)
	v_div_scale_f32 v6, s[0:1], v5, v5, v4
	v_rcp_f32_e32 v7, v6
	v_div_scale_f32 v17, vcc, v4, v5, v4
	s_mov_b32 s0, 0x800000
	v_fma_f32 v18, -v6, v7, 1.0
	v_fmac_f32_e32 v7, v18, v7
	v_mul_f32_e32 v18, v17, v7
	v_fma_f32 v19, -v6, v18, v17
	v_fmac_f32_e32 v18, v19, v7
	v_fma_f32 v6, -v6, v18, v17
	v_div_fmas_f32 v6, v6, v7, v18
	v_div_fixup_f32 v4, v6, v5, v4
	v_add_f32_e32 v4, s9, v4
	v_mul_f32_e32 v5, 0x4b800000, v4
	v_cmp_gt_f32_e32 vcc, s0, v4
	v_cndmask_b32_e32 v4, v4, v5, vcc
	v_rsq_f32_e32 v4, v4
	s_waitcnt vmcnt(0)
	v_cvt_f32_f16_sdwa v19, v3 dst_sel:DWORD dst_unused:UNUSED_PAD src0_sel:WORD_1
	v_cvt_f32_f16_e32 v18, v3
	s_mul_hi_i32 s1, s28, s6
	v_mul_f32_e32 v5, 0x45800000, v4
	v_cndmask_b32_e32 v4, v4, v5, vcc
	v_mov_b32_e32 v5, v4
	;;#ASMSTART
	v_pk_mul_f32 v[6:7], v[8:9], v[4:5]
	;;#ASMEND
	;;#ASMSTART
	v_pk_mul_f32 v[8:9], v[14:15], v[4:5]
	;;#ASMEND
	;; [unrolled: 3-line block ×4, first 2 shown]
	v_cvt_f32_f16_sdwa v11, v0 dst_sel:DWORD dst_unused:UNUSED_PAD src0_sel:WORD_1
	v_cvt_f32_f16_e32 v10, v0
	v_cvt_f32_f16_sdwa v15, v1 dst_sel:DWORD dst_unused:UNUSED_PAD src0_sel:WORD_1
	v_cvt_f32_f16_e32 v14, v1
	;; [unrolled: 2-line block ×3, first 2 shown]
	;;#ASMSTART
	v_pk_mul_f32 v[2:3], v[6:7], v[10:11]
	;;#ASMEND
	;;#ASMSTART
	v_pk_mul_f32 v[6:7], v[8:9], v[14:15]
	;;#ASMEND
	;;#ASMSTART
	v_pk_mul_f32 v[0:1], v[12:13], v[0:1]
	;;#ASMEND
	;;#ASMSTART
	v_pk_mul_f32 v[4:5], v[4:5], v[18:19]
	;;#ASMEND
	s_mul_i32 s0, s28, s6
	v_cvt_f16_f32_e32 v2, v2
	v_cvt_f16_f32_e32 v3, v3
	;; [unrolled: 1-line block ×8, first 2 shown]
	s_lshl_b64 s[0:1], s[0:1], 1
	s_add_u32 s16, s34, s0
	s_addc_u32 s0, s35, s1
	s_and_b32 s17, s0, 0xffff
	v_pack_b32_f16 v0, v2, v3
	v_pack_b32_f16 v1, v6, v7
	;; [unrolled: 1-line block ×4, first 2 shown]
	buffer_store_dwordx4 v[0:3], v16, s[16:19], 0 offen
	;;#ASMSTART
	s_nop 0
	;;#ASMEND
	s_endpgm
	.section	.rodata,"a",@progbits
	.p2align	6, 0x0
	.amdhsa_kernel _ZN5aiter35fused_qk_rmsnorm_group_quant_kernelIDF16_N4opus5fp4_tELi64ELi8ELi8ELb1ELb0ELb0ELb0ELb0ELb0EEEvPT0_PvPT_S7_S7_PKS6_S9_S9_S9_S9_ffiiiiiiiiiiiii
		.amdhsa_group_segment_fixed_size 0
		.amdhsa_private_segment_fixed_size 0
		.amdhsa_kernarg_size 400
		.amdhsa_user_sgpr_count 6
		.amdhsa_user_sgpr_private_segment_buffer 1
		.amdhsa_user_sgpr_dispatch_ptr 0
		.amdhsa_user_sgpr_queue_ptr 0
		.amdhsa_user_sgpr_kernarg_segment_ptr 1
		.amdhsa_user_sgpr_dispatch_id 0
		.amdhsa_user_sgpr_flat_scratch_init 0
		.amdhsa_user_sgpr_kernarg_preload_length 0
		.amdhsa_user_sgpr_kernarg_preload_offset 0
		.amdhsa_user_sgpr_private_segment_size 0
		.amdhsa_uses_dynamic_stack 0
		.amdhsa_system_sgpr_private_segment_wavefront_offset 0
		.amdhsa_system_sgpr_workgroup_id_x 1
		.amdhsa_system_sgpr_workgroup_id_y 1
		.amdhsa_system_sgpr_workgroup_id_z 0
		.amdhsa_system_sgpr_workgroup_info 0
		.amdhsa_system_vgpr_workitem_id 0
		.amdhsa_next_free_vgpr 27
		.amdhsa_next_free_sgpr 40
		.amdhsa_accum_offset 28
		.amdhsa_reserve_vcc 1
		.amdhsa_reserve_flat_scratch 0
		.amdhsa_float_round_mode_32 0
		.amdhsa_float_round_mode_16_64 0
		.amdhsa_float_denorm_mode_32 3
		.amdhsa_float_denorm_mode_16_64 3
		.amdhsa_dx10_clamp 1
		.amdhsa_ieee_mode 1
		.amdhsa_fp16_overflow 0
		.amdhsa_tg_split 0
		.amdhsa_exception_fp_ieee_invalid_op 0
		.amdhsa_exception_fp_denorm_src 0
		.amdhsa_exception_fp_ieee_div_zero 0
		.amdhsa_exception_fp_ieee_overflow 0
		.amdhsa_exception_fp_ieee_underflow 0
		.amdhsa_exception_fp_ieee_inexact 0
		.amdhsa_exception_int_div_zero 0
	.end_amdhsa_kernel
	.section	.text._ZN5aiter35fused_qk_rmsnorm_group_quant_kernelIDF16_N4opus5fp4_tELi64ELi8ELi8ELb1ELb0ELb0ELb0ELb0ELb0EEEvPT0_PvPT_S7_S7_PKS6_S9_S9_S9_S9_ffiiiiiiiiiiiii,"axG",@progbits,_ZN5aiter35fused_qk_rmsnorm_group_quant_kernelIDF16_N4opus5fp4_tELi64ELi8ELi8ELb1ELb0ELb0ELb0ELb0ELb0EEEvPT0_PvPT_S7_S7_PKS6_S9_S9_S9_S9_ffiiiiiiiiiiiii,comdat
.Lfunc_end175:
	.size	_ZN5aiter35fused_qk_rmsnorm_group_quant_kernelIDF16_N4opus5fp4_tELi64ELi8ELi8ELb1ELb0ELb0ELb0ELb0ELb0EEEvPT0_PvPT_S7_S7_PKS6_S9_S9_S9_S9_ffiiiiiiiiiiiii, .Lfunc_end175-_ZN5aiter35fused_qk_rmsnorm_group_quant_kernelIDF16_N4opus5fp4_tELi64ELi8ELi8ELb1ELb0ELb0ELb0ELb0ELb0EEEvPT0_PvPT_S7_S7_PKS6_S9_S9_S9_S9_ffiiiiiiiiiiiii
                                        ; -- End function
	.section	.AMDGPU.csdata,"",@progbits
; Kernel info:
; codeLenInByte = 2552
; NumSgprs: 44
; NumVgprs: 27
; NumAgprs: 0
; TotalNumVgprs: 27
; ScratchSize: 0
; MemoryBound: 0
; FloatMode: 240
; IeeeMode: 1
; LDSByteSize: 0 bytes/workgroup (compile time only)
; SGPRBlocks: 5
; VGPRBlocks: 3
; NumSGPRsForWavesPerEU: 44
; NumVGPRsForWavesPerEU: 27
; AccumOffset: 28
; Occupancy: 8
; WaveLimiterHint : 0
; COMPUTE_PGM_RSRC2:SCRATCH_EN: 0
; COMPUTE_PGM_RSRC2:USER_SGPR: 6
; COMPUTE_PGM_RSRC2:TRAP_HANDLER: 0
; COMPUTE_PGM_RSRC2:TGID_X_EN: 1
; COMPUTE_PGM_RSRC2:TGID_Y_EN: 1
; COMPUTE_PGM_RSRC2:TGID_Z_EN: 0
; COMPUTE_PGM_RSRC2:TIDIG_COMP_CNT: 0
; COMPUTE_PGM_RSRC3_GFX90A:ACCUM_OFFSET: 6
; COMPUTE_PGM_RSRC3_GFX90A:TG_SPLIT: 0
	.section	.text._ZN5aiter35fused_qk_rmsnorm_group_quant_kernelItN4opus5fp4_tELi64ELi8ELi8ELb1ELb0ELb0ELb0ELb0ELb0EEEvPT0_PvPT_S7_S7_PKS6_S9_S9_S9_S9_ffiiiiiiiiiiiii,"axG",@progbits,_ZN5aiter35fused_qk_rmsnorm_group_quant_kernelItN4opus5fp4_tELi64ELi8ELi8ELb1ELb0ELb0ELb0ELb0ELb0EEEvPT0_PvPT_S7_S7_PKS6_S9_S9_S9_S9_ffiiiiiiiiiiiii,comdat
	.protected	_ZN5aiter35fused_qk_rmsnorm_group_quant_kernelItN4opus5fp4_tELi64ELi8ELi8ELb1ELb0ELb0ELb0ELb0ELb0EEEvPT0_PvPT_S7_S7_PKS6_S9_S9_S9_S9_ffiiiiiiiiiiiii ; -- Begin function _ZN5aiter35fused_qk_rmsnorm_group_quant_kernelItN4opus5fp4_tELi64ELi8ELi8ELb1ELb0ELb0ELb0ELb0ELb0EEEvPT0_PvPT_S7_S7_PKS6_S9_S9_S9_S9_ffiiiiiiiiiiiii
	.globl	_ZN5aiter35fused_qk_rmsnorm_group_quant_kernelItN4opus5fp4_tELi64ELi8ELi8ELb1ELb0ELb0ELb0ELb0ELb0EEEvPT0_PvPT_S7_S7_PKS6_S9_S9_S9_S9_ffiiiiiiiiiiiii
	.p2align	8
	.type	_ZN5aiter35fused_qk_rmsnorm_group_quant_kernelItN4opus5fp4_tELi64ELi8ELi8ELb1ELb0ELb0ELb0ELb0ELb0EEEvPT0_PvPT_S7_S7_PKS6_S9_S9_S9_S9_ffiiiiiiiiiiiii,@function
_ZN5aiter35fused_qk_rmsnorm_group_quant_kernelItN4opus5fp4_tELi64ELi8ELi8ELb1ELb0ELb0ELb0ELb0ELb0EEEvPT0_PvPT_S7_S7_PKS6_S9_S9_S9_S9_ffiiiiiiiiiiiii: ; @_ZN5aiter35fused_qk_rmsnorm_group_quant_kernelItN4opus5fp4_tELi64ELi8ELi8ELb1ELb0ELb0ELb0ELb0ELb0EEEvPT0_PvPT_S7_S7_PKS6_S9_S9_S9_S9_ffiiiiiiiiiiiii
; %bb.0:
	s_load_dwordx8 s[8:15], s[4:5], 0x50
	s_waitcnt lgkmcnt(0)
	s_cmp_ge_i32 s6, s10
	s_cbranch_scc1 .LBB176_15
; %bb.1:
	s_cmp_lg_u32 s7, 0
	s_cselect_b64 s[2:3], -1, 0
	s_cmp_eq_u32 s7, 0
	s_cselect_b64 s[24:25], -1, 0
	s_and_b64 s[0:1], s[24:25], exec
	s_load_dwordx2 s[16:17], s[4:5], 0x48
	s_load_dwordx2 s[30:31], s[4:5], 0x30
	s_load_dwordx4 s[20:23], s[4:5], 0x70
	s_cselect_b32 s7, s11, s12
	s_add_i32 s0, s7, 1
	s_lshr_b32 s1, s0, 31
	s_add_i32 s0, s0, s1
	s_lshl_b32 s0, s0, 1
	v_lshlrev_b32_e32 v1, 3, v0
	s_and_b32 s26, s0, -4
	v_cmp_gt_i32_e64 s[0:1], s7, v1
	v_mov_b32_e32 v10, 0
	v_mov_b32_e32 v11, 0
	v_mov_b32_e32 v12, 0
	v_mov_b32_e32 v13, 0
	v_mov_b32_e32 v14, 0
	v_mov_b32_e32 v15, 0
	v_mov_b32_e32 v16, 0
	v_mov_b32_e32 v17, 0
	s_and_saveexec_b64 s[18:19], s[0:1]
	s_cbranch_execz .LBB176_3
; %bb.2:
	s_load_dwordx2 s[28:29], s[4:5], 0x28
	s_load_dwordx2 s[34:35], s[4:5], 0x40
	s_and_b64 s[36:37], s[24:25], exec
	s_cselect_b32 s10, s13, s14
	s_mov_b32 s27, 0x20000
	s_waitcnt lgkmcnt(0)
	s_cselect_b32 s13, s29, s31
	s_cselect_b32 s23, s28, s30
	s_mul_hi_i32 s29, s10, s6
	s_mul_i32 s28, s10, s6
	s_lshl_b64 s[28:29], s[28:29], 1
	s_add_u32 s36, s23, s28
	s_addc_u32 s10, s13, s29
	s_and_b64 s[24:25], s[24:25], exec
	s_cselect_b32 s24, s34, s16
	s_cselect_b32 s13, s35, s17
	v_lshlrev_b32_e32 v2, 4, v0
	s_and_b32 s37, s10, 0xffff
	s_mov_b32 s38, s26
	s_mov_b32 s39, s27
	s_and_b32 s25, s13, 0xffff
	buffer_load_dwordx4 v[14:17], v2, s[36:39], 0 offen glc slc
	buffer_load_dwordx4 v[10:13], v2, s[24:27], 0 offen
.LBB176_3:
	s_or_b64 exec, exec, s[18:19]
	s_load_dwordx2 s[28:29], s[4:5], 0x80
	s_and_b64 vcc, exec, s[2:3]
	s_cbranch_vccz .LBB176_7
; %bb.4:
	s_mov_b32 s36, 0
	s_mov_b32 s37, s36
	;; [unrolled: 1-line block ×8, first 2 shown]
	v_pk_mov_b32 v[2:3], s[36:37], s[36:37] op_sel:[0,1]
	v_pk_mov_b32 v[4:5], s[38:39], s[38:39] op_sel:[0,1]
	;; [unrolled: 1-line block ×4, first 2 shown]
	s_and_saveexec_b64 s[18:19], s[0:1]
	s_cbranch_execz .LBB176_6
; %bb.5:
	s_waitcnt vmcnt(1)
	v_cvt_f32_u32_sdwa v3, v14 dst_sel:DWORD dst_unused:UNUSED_PAD src0_sel:WORD_1
	v_cvt_f32_u32_sdwa v2, v14 dst_sel:DWORD dst_unused:UNUSED_PAD src0_sel:WORD_0
	v_cvt_f32_u32_sdwa v5, v15 dst_sel:DWORD dst_unused:UNUSED_PAD src0_sel:WORD_1
	v_cvt_f32_u32_sdwa v4, v15 dst_sel:DWORD dst_unused:UNUSED_PAD src0_sel:WORD_0
	v_cvt_f32_u32_sdwa v7, v16 dst_sel:DWORD dst_unused:UNUSED_PAD src0_sel:WORD_1
	v_cvt_f32_u32_sdwa v6, v16 dst_sel:DWORD dst_unused:UNUSED_PAD src0_sel:WORD_0
	v_cvt_f32_u32_sdwa v9, v17 dst_sel:DWORD dst_unused:UNUSED_PAD src0_sel:WORD_1
	v_cvt_f32_u32_sdwa v8, v17 dst_sel:DWORD dst_unused:UNUSED_PAD src0_sel:WORD_0
.LBB176_6:
	s_or_b64 exec, exec, s[18:19]
	s_mov_b32 s10, s9
	s_cbranch_execz .LBB176_8
	s_branch .LBB176_11
.LBB176_7:
                                        ; implicit-def: $vgpr2_vgpr3_vgpr4_vgpr5_vgpr6_vgpr7_vgpr8_vgpr9
	s_mov_b32 s10, s9
.LBB176_8:
	s_mov_b32 s36, 0
	s_mov_b32 s37, s36
	;; [unrolled: 1-line block ×8, first 2 shown]
	v_pk_mov_b32 v[2:3], s[36:37], s[36:37] op_sel:[0,1]
	v_pk_mov_b32 v[4:5], s[38:39], s[38:39] op_sel:[0,1]
	;; [unrolled: 1-line block ×4, first 2 shown]
	s_and_saveexec_b64 s[18:19], s[0:1]
	s_cbranch_execz .LBB176_10
; %bb.9:
	s_load_dwordx2 s[24:25], s[4:5], 0x38
	s_mul_hi_i32 s35, s15, s6
	s_mul_i32 s34, s15, s6
	s_lshl_b64 s[34:35], s[34:35], 1
	s_mov_b32 s27, 0x20000
	s_waitcnt lgkmcnt(0)
	s_add_u32 s24, s24, s34
	s_addc_u32 s10, s25, s35
	s_and_b32 s25, s10, 0xffff
	v_lshlrev_b32_e32 v26, 4, v0
	buffer_load_dwordx4 v[2:5], v26, s[24:27], 0 offen glc slc
	s_load_dwordx2 s[24:25], s[4:5], 0x20
	s_waitcnt vmcnt(2)
	v_cvt_f32_u32_sdwa v7, v14 dst_sel:DWORD dst_unused:UNUSED_PAD src0_sel:WORD_1
	v_cvt_f32_u32_sdwa v6, v14 dst_sel:DWORD dst_unused:UNUSED_PAD src0_sel:WORD_0
	v_cvt_f32_u32_sdwa v9, v15 dst_sel:DWORD dst_unused:UNUSED_PAD src0_sel:WORD_1
	v_cvt_f32_u32_sdwa v8, v15 dst_sel:DWORD dst_unused:UNUSED_PAD src0_sel:WORD_0
	;; [unrolled: 2-line block ×4, first 2 shown]
	s_mul_hi_i32 s35, s29, s6
	s_mul_i32 s34, s29, s6
	s_lshl_b64 s[34:35], s[34:35], 1
	s_waitcnt lgkmcnt(0)
	s_add_u32 s24, s24, s34
	s_mov_b32 s10, 0x7060302
	s_addc_u32 s13, s25, s35
	s_and_b32 s25, s13, 0xffff
	s_waitcnt vmcnt(0)
	v_cvt_f32_u32_sdwa v17, v2 dst_sel:DWORD dst_unused:UNUSED_PAD src0_sel:WORD_1
	v_cvt_f32_u32_sdwa v16, v2 dst_sel:DWORD dst_unused:UNUSED_PAD src0_sel:WORD_0
	v_cvt_f32_u32_sdwa v21, v3 dst_sel:DWORD dst_unused:UNUSED_PAD src0_sel:WORD_1
	v_cvt_f32_u32_sdwa v20, v3 dst_sel:DWORD dst_unused:UNUSED_PAD src0_sel:WORD_0
	;; [unrolled: 2-line block ×4, first 2 shown]
	v_pk_add_f32 v[2:3], v[6:7], v[16:17]
	v_pk_add_f32 v[4:5], v[8:9], v[20:21]
	;; [unrolled: 1-line block ×4, first 2 shown]
	v_perm_b32 v17, v9, v8, s10
	v_perm_b32 v16, v7, v6, s10
	;; [unrolled: 1-line block ×4, first 2 shown]
	buffer_store_dwordx4 v[14:17], v26, s[24:27], 0 offen glc slc
	;;#ASMSTART
	s_nop 0
	;;#ASMEND
.LBB176_10:
	s_or_b64 exec, exec, s[18:19]
	s_mov_b32 s10, s8
.LBB176_11:
	s_waitcnt vmcnt(1)
	v_mul_f32_e32 v14, v3, v3
	v_fmac_f32_e32 v14, v2, v2
	v_fmac_f32_e32 v14, v4, v4
	;; [unrolled: 1-line block ×7, first 2 shown]
	v_bfrev_b32_e32 v16, 0.5
	s_load_dwordx2 s[34:35], s[4:5], 0x18
	v_mov_b32_dpp v15, v14 quad_perm:[1,0,3,2] row_mask:0xf bank_mask:0xf
	v_add_f32_e32 v14, v14, v15
	s_nop 1
	v_mov_b32_dpp v15, v14 quad_perm:[2,3,0,1] row_mask:0xf bank_mask:0xf
	v_add_f32_e32 v14, v14, v15
	s_nop 1
	v_mov_b32_dpp v15, v14 row_half_mirror row_mask:0xf bank_mask:0xf
	v_add_f32_e32 v14, v14, v15
	s_nop 1
	v_mov_b32_dpp v15, v14 row_mirror row_mask:0xf bank_mask:0xf
	v_add_f32_e32 v14, v14, v15
	s_nop 1
	v_mov_b32_dpp v15, v14 row_bcast:15 row_mask:0xf bank_mask:0xf
	v_add_f32_e32 v14, v14, v15
	s_nop 1
	v_mov_b32_dpp v15, v14 row_bcast:31 row_mask:0xf bank_mask:0xf
	v_add_f32_e32 v15, v14, v15
	v_mbcnt_lo_u32_b32 v14, -1, 0
	v_mbcnt_hi_u32_b32 v14, -1, v14
	v_lshl_or_b32 v14, v14, 2, v16
	ds_bpermute_b32 v15, v14, v15
	s_and_saveexec_b64 s[18:19], s[0:1]
	s_cbranch_execnz .LBB176_16
; %bb.12:
	s_or_b64 exec, exec, s[18:19]
	s_mov_b64 s[18:19], -1
	s_and_b64 vcc, exec, s[2:3]
	s_cbranch_vccnz .LBB176_17
.LBB176_13:
	s_andn2_b64 vcc, exec, s[18:19]
	s_cbranch_vccz .LBB176_20
.LBB176_14:
	s_cmp_lt_i32 s12, 1
	s_cbranch_scc0 .LBB176_27
.LBB176_15:
	s_endpgm
.LBB176_16:
	v_cvt_f32_u32_e32 v16, s7
	s_mov_b32 s7, 0x800000
	s_waitcnt lgkmcnt(0)
	v_div_scale_f32 v17, s[24:25], v16, v16, v15
	v_rcp_f32_e32 v18, v17
	v_div_scale_f32 v19, vcc, v15, v16, v15
	v_fma_f32 v20, -v17, v18, 1.0
	v_fmac_f32_e32 v18, v20, v18
	v_mul_f32_e32 v20, v19, v18
	v_fma_f32 v21, -v17, v20, v19
	v_fmac_f32_e32 v20, v21, v18
	v_fma_f32 v17, -v17, v20, v19
	v_div_fmas_f32 v17, v17, v18, v20
	v_div_fixup_f32 v15, v17, v16, v15
	v_add_f32_e32 v15, s10, v15
	v_mul_f32_e32 v16, 0x4b800000, v15
	v_cmp_gt_f32_e32 vcc, s7, v15
	v_cndmask_b32_e32 v15, v15, v16, vcc
	v_rsq_f32_e32 v15, v15
	s_waitcnt vmcnt(0)
	v_cvt_f32_u32_sdwa v19, v11 dst_sel:DWORD dst_unused:UNUSED_PAD src0_sel:WORD_1
	v_cvt_f32_u32_sdwa v18, v11 dst_sel:DWORD dst_unused:UNUSED_PAD src0_sel:WORD_0
	v_cvt_f32_u32_sdwa v11, v12 dst_sel:DWORD dst_unused:UNUSED_PAD src0_sel:WORD_1
	v_mul_f32_e32 v16, 0x45800000, v15
	v_cndmask_b32_e32 v16, v15, v16, vcc
	v_mov_b32_e32 v17, v16
	;;#ASMSTART
	v_pk_mul_f32 v[2:3], v[2:3], v[16:17]
	;;#ASMEND
	;;#ASMSTART
	v_pk_mul_f32 v[4:5], v[4:5], v[16:17]
	;;#ASMEND
	;; [unrolled: 3-line block ×4, first 2 shown]
	v_cvt_f32_u32_sdwa v17, v10 dst_sel:DWORD dst_unused:UNUSED_PAD src0_sel:WORD_1
	v_cvt_f32_u32_sdwa v16, v10 dst_sel:DWORD dst_unused:UNUSED_PAD src0_sel:WORD_0
	v_cvt_f32_u32_sdwa v10, v12 dst_sel:DWORD dst_unused:UNUSED_PAD src0_sel:WORD_0
	v_cvt_f32_u32_sdwa v21, v13 dst_sel:DWORD dst_unused:UNUSED_PAD src0_sel:WORD_1
	v_cvt_f32_u32_sdwa v20, v13 dst_sel:DWORD dst_unused:UNUSED_PAD src0_sel:WORD_0
	;;#ASMSTART
	v_pk_mul_f32 v[2:3], v[2:3], v[16:17]
	;;#ASMEND
	;;#ASMSTART
	v_pk_mul_f32 v[4:5], v[4:5], v[18:19]
	;;#ASMEND
	;; [unrolled: 3-line block ×4, first 2 shown]
	s_or_b64 exec, exec, s[18:19]
	s_mov_b64 s[18:19], -1
	s_and_b64 vcc, exec, s[2:3]
	s_cbranch_vccz .LBB176_13
.LBB176_17:
	s_and_saveexec_b64 s[2:3], s[0:1]
	s_cbranch_execz .LBB176_19
; %bb.18:
	s_waitcnt lgkmcnt(0)
	s_mul_hi_i32 s19, s28, s6
	s_mul_i32 s18, s28, s6
	s_lshl_b64 s[18:19], s[18:19], 1
	s_add_u32 s24, s34, s18
	s_addc_u32 s7, s35, s19
	s_and_b32 s25, s7, 0xffff
	s_mov_b32 s7, 0x7060302
	s_mov_b32 s27, 0x20000
	s_waitcnt vmcnt(0)
	v_perm_b32 v10, v3, v2, s7
	v_perm_b32 v11, v5, v4, s7
	;; [unrolled: 1-line block ×4, first 2 shown]
	v_lshlrev_b32_e32 v15, 4, v0
	buffer_store_dwordx4 v[10:13], v15, s[24:27], 0 offen
	;;#ASMSTART
	s_nop 0
	;;#ASMEND
.LBB176_19:
	s_or_b64 exec, exec, s[2:3]
	s_cbranch_execnz .LBB176_14
.LBB176_20:
	s_waitcnt vmcnt(0)
	v_mov_b32_e32 v10, 0
	s_and_saveexec_b64 s[2:3], s[0:1]
	s_cbranch_execz .LBB176_22
; %bb.21:
	v_and_b32_e32 v2, 0x7fffffff, v2
	v_and_b32_e32 v3, 0x7fffffff, v3
	v_mov_b32_e32 v10, 0x2edbe6ff
	;;#ASMSTART
	v_max3_f32 v2, v10, v2, v3

	;;#ASMEND
	v_and_b32_e32 v3, 0x7fffffff, v4
	v_and_b32_e32 v4, 0x7fffffff, v5
	;;#ASMSTART
	v_max3_f32 v2, v2, v3, v4

	;;#ASMEND
	v_and_b32_e32 v3, 0x7fffffff, v6
	v_and_b32_e32 v4, 0x7fffffff, v7
	;;#ASMSTART
	v_max3_f32 v2, v2, v3, v4

	;;#ASMEND
	v_and_b32_e32 v3, 0x7fffffff, v8
	v_and_b32_e32 v4, 0x7fffffff, v9
	;;#ASMSTART
	v_max3_f32 v10, v2, v3, v4

	;;#ASMEND
.LBB176_22:
	s_or_b64 exec, exec, s[2:3]
	;;#ASMSTART
	v_max_f32 v2, v10, v10 quad_perm:[1,0,3,2] row_mask:0xf bank_mask:0xf bound_ctrl:1
	;;#ASMEND
	;;#ASMSTART
	v_max_f32 v3, v2, v2 quad_perm:[2,3,0,1] row_mask:0xf bank_mask:0xf bound_ctrl:1
	;;#ASMEND
	;;#ASMSTART
	v_max_f32 v2, v3, v3 row_half_mirror row_mask:0xf bank_mask:0xf bound_ctrl:1
	;;#ASMEND
	v_and_b32_e32 v3, 7, v0
	v_cmp_eq_u32_e32 vcc, 0, v3
	v_cmp_gt_i32_e64 s[2:3], s11, v1
	s_and_b64 s[18:19], vcc, s[2:3]
	s_and_saveexec_b64 s[2:3], s[18:19]
	s_cbranch_execz .LBB176_24
; %bb.23:
	s_load_dwordx2 s[18:19], s[4:5], 0x8
	v_mul_f32_e32 v2, 0x3e2aaaab, v2
	v_lshrrev_b32_e32 v3, 23, v2
	v_and_b32_e32 v4, 0x7f800000, v2
	v_and_b32_e32 v2, 0x7fffff, v2
	v_cmp_ne_u32_e32 vcc, 0, v2
	s_waitcnt lgkmcnt(0)
	s_mul_i32 s10, s21, s6
	s_mov_b32 s7, 0x7f800000
	v_addc_co_u32_e32 v2, vcc, 0, v3, vcc
	s_mul_hi_i32 s8, s21, s6
	s_add_u32 s18, s18, s10
	v_cmp_ne_u32_e32 vcc, s7, v4
	s_addc_u32 s19, s19, s8
	v_lshrrev_b32_e32 v5, 3, v0
	v_cndmask_b32_e32 v4, -1, v2, vcc
	v_pk_mov_b32 v[2:3], s[18:19], s[18:19] op_sel:[0,1]
	v_mad_i64_i32 v[2:3], s[18:19], s22, v5, v[2:3]
	global_store_byte v[2:3], v4, off
.LBB176_24:
	s_or_b64 exec, exec, s[2:3]
	s_and_saveexec_b64 s[2:3], s[0:1]
	s_cbranch_execz .LBB176_26
; %bb.25:
	s_load_dwordx2 s[0:1], s[4:5], 0x0
	s_waitcnt lgkmcnt(0)
	s_mul_i32 s8, s20, s6
	s_mul_hi_i32 s7, s20, s6
	v_lshlrev_b32_e32 v2, 2, v0
	s_mov_b32 s23, 0x20000
	s_add_u32 s20, s0, s8
	s_addc_u32 s0, s1, s7
	s_lshr_b32 s1, s11, 31
	s_add_i32 s1, s11, s1
	s_ashr_i32 s1, s1, 1
	s_add_i32 s1, s1, 3
	s_ashr_i32 s7, s1, 31
	s_lshr_b32 s7, s7, 30
	s_add_i32 s1, s1, s7
	s_and_b32 s22, s1, -4
	s_and_b32 s21, s0, 0xffff
	v_mov_b32_e32 v3, 0
	buffer_store_dword v3, v2, s[20:23], 0 offen
	;;#ASMSTART
	s_nop 0
	;;#ASMEND
.LBB176_26:
	s_or_b64 exec, exec, s[2:3]
	s_cmp_lt_i32 s12, 1
	s_cbranch_scc1 .LBB176_15
.LBB176_27:
	s_load_dword s0, s[4:5], 0x94
	s_waitcnt lgkmcnt(0)
	s_cmp_lg_u32 s0, 1
	s_cbranch_scc1 .LBB176_15
; %bb.28:
	s_lshl_b32 s0, s12, 1
	s_add_i32 s0, s0, 2
	v_cmp_gt_u32_e32 vcc, s12, v1
	s_and_b32 s18, s0, -4
	v_mov_b32_e32 v4, 0
	s_waitcnt vmcnt(0)
	v_lshlrev_b32_e32 v12, 4, v0
	v_mov_b32_e32 v5, 0
	v_mov_b32_e32 v6, 0
	;; [unrolled: 1-line block ×7, first 2 shown]
	s_barrier
	s_and_saveexec_b64 s[0:1], vcc
	s_cbranch_execz .LBB176_30
; %bb.29:
	s_mul_hi_i32 s3, s14, s6
	s_mul_i32 s2, s14, s6
	s_and_b32 s17, s17, 0xffff
	s_lshl_b64 s[2:3], s[2:3], 1
	s_add_u32 s20, s30, s2
	s_mov_b32 s19, 0x20000
	s_addc_u32 s2, s31, s3
	s_and_b32 s21, s2, 0xffff
	s_mov_b32 s22, s18
	s_mov_b32 s23, s19
	buffer_load_dwordx4 v[4:7], v12, s[20:23], 0 offen glc slc
	buffer_load_dwordx4 v[0:3], v12, s[16:19], 0 offen
.LBB176_30:
	s_or_b64 exec, exec, s[0:1]
	s_waitcnt vmcnt(1)
	v_cvt_f32_u32_sdwa v11, v4 dst_sel:DWORD dst_unused:UNUSED_PAD src0_sel:WORD_1
	v_cvt_f32_u32_sdwa v10, v4 dst_sel:DWORD dst_unused:UNUSED_PAD src0_sel:WORD_0
	v_cvt_f32_u32_sdwa v4, v7 dst_sel:DWORD dst_unused:UNUSED_PAD src0_sel:WORD_1
	v_cvt_f32_u32_sdwa v7, v7 dst_sel:DWORD dst_unused:UNUSED_PAD src0_sel:WORD_0
	;; [unrolled: 2-line block ×4, first 2 shown]
	v_cndmask_b32_e32 v11, 0, v11, vcc
	v_cndmask_b32_e32 v5, 0, v4, vcc
	;; [unrolled: 1-line block ×5, first 2 shown]
	v_mul_f32_e32 v13, v11, v11
	v_cndmask_b32_e32 v8, 0, v8, vcc
	v_fmac_f32_e32 v13, v10, v10
	v_cndmask_b32_e32 v9, 0, v9, vcc
	v_fmac_f32_e32 v13, v8, v8
	;; [unrolled: 2-line block ×3, first 2 shown]
	v_fmac_f32_e32 v13, v6, v6
	v_fmac_f32_e32 v13, v7, v7
	;; [unrolled: 1-line block ×4, first 2 shown]
	s_nop 1
	v_mov_b32_dpp v15, v13 quad_perm:[1,0,3,2] row_mask:0xf bank_mask:0xf
	v_add_f32_e32 v13, v13, v15
	s_nop 1
	v_mov_b32_dpp v15, v13 quad_perm:[2,3,0,1] row_mask:0xf bank_mask:0xf
	v_add_f32_e32 v13, v13, v15
	s_nop 1
	v_mov_b32_dpp v15, v13 row_half_mirror row_mask:0xf bank_mask:0xf
	v_add_f32_e32 v13, v13, v15
	s_nop 1
	v_mov_b32_dpp v15, v13 row_mirror row_mask:0xf bank_mask:0xf
	v_add_f32_e32 v13, v13, v15
	s_nop 1
	v_mov_b32_dpp v15, v13 row_bcast:15 row_mask:0xf bank_mask:0xf
	v_add_f32_e32 v13, v13, v15
	s_nop 1
	v_mov_b32_dpp v15, v13 row_bcast:31 row_mask:0xf bank_mask:0xf
	v_add_f32_e32 v13, v13, v15
	ds_bpermute_b32 v13, v14, v13
	s_and_saveexec_b64 s[0:1], vcc
	s_cbranch_execz .LBB176_15
; %bb.31:
	v_cvt_f32_u32_e32 v14, s12
	s_mov_b32 s19, 0x20000
	s_waitcnt lgkmcnt(0)
	v_div_scale_f32 v15, s[0:1], v14, v14, v13
	v_rcp_f32_e32 v16, v15
	v_div_scale_f32 v17, vcc, v13, v14, v13
	s_mov_b32 s0, 0x800000
	v_fma_f32 v18, -v15, v16, 1.0
	v_fmac_f32_e32 v16, v18, v16
	v_mul_f32_e32 v18, v17, v16
	v_fma_f32 v19, -v15, v18, v17
	v_fmac_f32_e32 v18, v19, v16
	v_fma_f32 v15, -v15, v18, v17
	v_div_fmas_f32 v15, v15, v16, v18
	v_div_fixup_f32 v13, v15, v14, v13
	v_add_f32_e32 v13, s9, v13
	v_mul_f32_e32 v14, 0x4b800000, v13
	v_cmp_gt_f32_e32 vcc, s0, v13
	v_cndmask_b32_e32 v13, v13, v14, vcc
	v_rsq_f32_e32 v13, v13
	s_mul_hi_i32 s1, s28, s6
	s_mul_i32 s0, s28, s6
	s_lshl_b64 s[0:1], s[0:1], 1
	v_mul_f32_e32 v14, 0x45800000, v13
	v_cndmask_b32_e32 v14, v13, v14, vcc
	s_add_u32 s16, s34, s0
	v_mov_b32_e32 v15, v14
	s_addc_u32 s0, s35, s1
	;;#ASMSTART
	v_pk_mul_f32 v[10:11], v[10:11], v[14:15]
	;;#ASMEND
	;;#ASMSTART
	v_pk_mul_f32 v[8:9], v[8:9], v[14:15]
	;;#ASMEND
	;; [unrolled: 3-line block ×4, first 2 shown]
	s_waitcnt vmcnt(0)
	v_cvt_f32_u32_sdwa v15, v0 dst_sel:DWORD dst_unused:UNUSED_PAD src0_sel:WORD_1
	v_cvt_f32_u32_sdwa v14, v0 dst_sel:DWORD dst_unused:UNUSED_PAD src0_sel:WORD_0
	v_cvt_f32_u32_sdwa v17, v1 dst_sel:DWORD dst_unused:UNUSED_PAD src0_sel:WORD_1
	v_cvt_f32_u32_sdwa v16, v1 dst_sel:DWORD dst_unused:UNUSED_PAD src0_sel:WORD_0
	;; [unrolled: 2-line block ×4, first 2 shown]
	;;#ASMSTART
	v_pk_mul_f32 v[2:3], v[10:11], v[14:15]
	;;#ASMEND
	s_and_b32 s17, s0, 0xffff
	s_mov_b32 s0, 0x7060302
	;;#ASMSTART
	v_pk_mul_f32 v[8:9], v[8:9], v[16:17]
	;;#ASMEND
	;;#ASMSTART
	v_pk_mul_f32 v[6:7], v[6:7], v[0:1]
	;;#ASMEND
	;;#ASMSTART
	v_pk_mul_f32 v[4:5], v[4:5], v[18:19]
	;;#ASMEND
	v_perm_b32 v0, v3, v2, s0
	v_perm_b32 v1, v9, v8, s0
	;; [unrolled: 1-line block ×4, first 2 shown]
	buffer_store_dwordx4 v[0:3], v12, s[16:19], 0 offen
	;;#ASMSTART
	s_nop 0
	;;#ASMEND
	s_endpgm
	.section	.rodata,"a",@progbits
	.p2align	6, 0x0
	.amdhsa_kernel _ZN5aiter35fused_qk_rmsnorm_group_quant_kernelItN4opus5fp4_tELi64ELi8ELi8ELb1ELb0ELb0ELb0ELb0ELb0EEEvPT0_PvPT_S7_S7_PKS6_S9_S9_S9_S9_ffiiiiiiiiiiiii
		.amdhsa_group_segment_fixed_size 0
		.amdhsa_private_segment_fixed_size 0
		.amdhsa_kernarg_size 400
		.amdhsa_user_sgpr_count 6
		.amdhsa_user_sgpr_private_segment_buffer 1
		.amdhsa_user_sgpr_dispatch_ptr 0
		.amdhsa_user_sgpr_queue_ptr 0
		.amdhsa_user_sgpr_kernarg_segment_ptr 1
		.amdhsa_user_sgpr_dispatch_id 0
		.amdhsa_user_sgpr_flat_scratch_init 0
		.amdhsa_user_sgpr_kernarg_preload_length 0
		.amdhsa_user_sgpr_kernarg_preload_offset 0
		.amdhsa_user_sgpr_private_segment_size 0
		.amdhsa_uses_dynamic_stack 0
		.amdhsa_system_sgpr_private_segment_wavefront_offset 0
		.amdhsa_system_sgpr_workgroup_id_x 1
		.amdhsa_system_sgpr_workgroup_id_y 1
		.amdhsa_system_sgpr_workgroup_id_z 0
		.amdhsa_system_sgpr_workgroup_info 0
		.amdhsa_system_vgpr_workitem_id 0
		.amdhsa_next_free_vgpr 27
		.amdhsa_next_free_sgpr 44
		.amdhsa_accum_offset 28
		.amdhsa_reserve_vcc 1
		.amdhsa_reserve_flat_scratch 0
		.amdhsa_float_round_mode_32 0
		.amdhsa_float_round_mode_16_64 0
		.amdhsa_float_denorm_mode_32 3
		.amdhsa_float_denorm_mode_16_64 3
		.amdhsa_dx10_clamp 1
		.amdhsa_ieee_mode 1
		.amdhsa_fp16_overflow 0
		.amdhsa_tg_split 0
		.amdhsa_exception_fp_ieee_invalid_op 0
		.amdhsa_exception_fp_denorm_src 0
		.amdhsa_exception_fp_ieee_div_zero 0
		.amdhsa_exception_fp_ieee_overflow 0
		.amdhsa_exception_fp_ieee_underflow 0
		.amdhsa_exception_fp_ieee_inexact 0
		.amdhsa_exception_int_div_zero 0
	.end_amdhsa_kernel
	.section	.text._ZN5aiter35fused_qk_rmsnorm_group_quant_kernelItN4opus5fp4_tELi64ELi8ELi8ELb1ELb0ELb0ELb0ELb0ELb0EEEvPT0_PvPT_S7_S7_PKS6_S9_S9_S9_S9_ffiiiiiiiiiiiii,"axG",@progbits,_ZN5aiter35fused_qk_rmsnorm_group_quant_kernelItN4opus5fp4_tELi64ELi8ELi8ELb1ELb0ELb0ELb0ELb0ELb0EEEvPT0_PvPT_S7_S7_PKS6_S9_S9_S9_S9_ffiiiiiiiiiiiii,comdat
.Lfunc_end176:
	.size	_ZN5aiter35fused_qk_rmsnorm_group_quant_kernelItN4opus5fp4_tELi64ELi8ELi8ELb1ELb0ELb0ELb0ELb0ELb0EEEvPT0_PvPT_S7_S7_PKS6_S9_S9_S9_S9_ffiiiiiiiiiiiii, .Lfunc_end176-_ZN5aiter35fused_qk_rmsnorm_group_quant_kernelItN4opus5fp4_tELi64ELi8ELi8ELb1ELb0ELb0ELb0ELb0ELb0EEEvPT0_PvPT_S7_S7_PKS6_S9_S9_S9_S9_ffiiiiiiiiiiiii
                                        ; -- End function
	.section	.AMDGPU.csdata,"",@progbits
; Kernel info:
; codeLenInByte = 2624
; NumSgprs: 48
; NumVgprs: 27
; NumAgprs: 0
; TotalNumVgprs: 27
; ScratchSize: 0
; MemoryBound: 0
; FloatMode: 240
; IeeeMode: 1
; LDSByteSize: 0 bytes/workgroup (compile time only)
; SGPRBlocks: 5
; VGPRBlocks: 3
; NumSGPRsForWavesPerEU: 48
; NumVGPRsForWavesPerEU: 27
; AccumOffset: 28
; Occupancy: 8
; WaveLimiterHint : 0
; COMPUTE_PGM_RSRC2:SCRATCH_EN: 0
; COMPUTE_PGM_RSRC2:USER_SGPR: 6
; COMPUTE_PGM_RSRC2:TRAP_HANDLER: 0
; COMPUTE_PGM_RSRC2:TGID_X_EN: 1
; COMPUTE_PGM_RSRC2:TGID_Y_EN: 1
; COMPUTE_PGM_RSRC2:TGID_Z_EN: 0
; COMPUTE_PGM_RSRC2:TIDIG_COMP_CNT: 0
; COMPUTE_PGM_RSRC3_GFX90A:ACCUM_OFFSET: 6
; COMPUTE_PGM_RSRC3_GFX90A:TG_SPLIT: 0
	.section	.text._ZN5aiter35fused_qk_rmsnorm_group_quant_kernelIDF16_DB8_Li64ELi8ELi8ELb0ELb1ELb1ELb0ELb0ELb0EEEvPT0_PvPT_S6_S6_PKS5_S8_S8_S8_S8_ffiiiiiiiiiiiii,"axG",@progbits,_ZN5aiter35fused_qk_rmsnorm_group_quant_kernelIDF16_DB8_Li64ELi8ELi8ELb0ELb1ELb1ELb0ELb0ELb0EEEvPT0_PvPT_S6_S6_PKS5_S8_S8_S8_S8_ffiiiiiiiiiiiii,comdat
	.protected	_ZN5aiter35fused_qk_rmsnorm_group_quant_kernelIDF16_DB8_Li64ELi8ELi8ELb0ELb1ELb1ELb0ELb0ELb0EEEvPT0_PvPT_S6_S6_PKS5_S8_S8_S8_S8_ffiiiiiiiiiiiii ; -- Begin function _ZN5aiter35fused_qk_rmsnorm_group_quant_kernelIDF16_DB8_Li64ELi8ELi8ELb0ELb1ELb1ELb0ELb0ELb0EEEvPT0_PvPT_S6_S6_PKS5_S8_S8_S8_S8_ffiiiiiiiiiiiii
	.globl	_ZN5aiter35fused_qk_rmsnorm_group_quant_kernelIDF16_DB8_Li64ELi8ELi8ELb0ELb1ELb1ELb0ELb0ELb0EEEvPT0_PvPT_S6_S6_PKS5_S8_S8_S8_S8_ffiiiiiiiiiiiii
	.p2align	8
	.type	_ZN5aiter35fused_qk_rmsnorm_group_quant_kernelIDF16_DB8_Li64ELi8ELi8ELb0ELb1ELb1ELb0ELb0ELb0EEEvPT0_PvPT_S6_S6_PKS5_S8_S8_S8_S8_ffiiiiiiiiiiiii,@function
_ZN5aiter35fused_qk_rmsnorm_group_quant_kernelIDF16_DB8_Li64ELi8ELi8ELb0ELb1ELb1ELb0ELb0ELb0EEEvPT0_PvPT_S6_S6_PKS5_S8_S8_S8_S8_ffiiiiiiiiiiiii: ; @_ZN5aiter35fused_qk_rmsnorm_group_quant_kernelIDF16_DB8_Li64ELi8ELi8ELb0ELb1ELb1ELb0ELb0ELb0EEEvPT0_PvPT_S6_S6_PKS5_S8_S8_S8_S8_ffiiiiiiiiiiiii
; %bb.0:
	s_load_dwordx4 s[12:15], s[4:5], 0x50
	s_waitcnt lgkmcnt(0)
	s_cmp_ge_i32 s6, s14
	s_cbranch_scc1 .LBB177_10
; %bb.1:
	s_load_dwordx2 s[8:9], s[4:5], 0x48
	s_load_dwordx2 s[30:31], s[4:5], 0x30
	s_load_dwordx4 s[16:19], s[4:5], 0x60
	s_cmp_lg_u32 s7, 0
	s_cselect_b64 s[2:3], -1, 0
	s_cmp_eq_u32 s7, 0
	s_cselect_b64 vcc, -1, 0
	s_and_b64 s[0:1], vcc, exec
	s_waitcnt lgkmcnt(0)
	s_cselect_b32 s7, s15, s16
	s_add_i32 s0, s7, 1
	s_lshr_b32 s1, s0, 31
	s_add_i32 s0, s0, s1
	s_lshl_b32 s0, s0, 1
	v_lshlrev_b32_e32 v1, 3, v0
	s_and_b32 s22, s0, -4
	v_cmp_gt_i32_e64 s[0:1], s7, v1
	v_mov_b32_e32 v10, 0
	v_mov_b32_e32 v2, 0
	;; [unrolled: 1-line block ×9, first 2 shown]
	s_and_saveexec_b64 s[10:11], s[0:1]
	s_cbranch_execz .LBB177_3
; %bb.2:
	s_load_dwordx2 s[20:21], s[4:5], 0x28
	s_load_dwordx2 s[26:27], s[4:5], 0x40
	s_and_b64 s[24:25], vcc, exec
	s_cselect_b32 s14, s17, s18
	s_mov_b32 s23, 0x20000
	s_waitcnt lgkmcnt(0)
	s_cselect_b32 s17, s21, s31
	s_cselect_b32 s19, s20, s30
	s_mul_hi_i32 s21, s14, s6
	s_mul_i32 s20, s14, s6
	s_lshl_b64 s[20:21], s[20:21], 1
	s_add_u32 s24, s19, s20
	s_addc_u32 s14, s17, s21
	s_and_b64 s[20:21], vcc, exec
	s_cselect_b32 s20, s26, s8
	s_cselect_b32 s17, s27, s9
	v_lshlrev_b32_e32 v11, 4, v0
	s_and_b32 s25, s14, 0xffff
	s_mov_b32 s26, s22
	s_mov_b32 s27, s23
	s_and_b32 s21, s17, 0xffff
	buffer_load_dwordx4 v[6:9], v11, s[24:27], 0 offen glc slc
	buffer_load_dwordx4 v[2:5], v11, s[20:23], 0 offen
.LBB177_3:
	s_or_b64 exec, exec, s[10:11]
	v_mov_b32_e32 v11, 0
	v_mov_b32_e32 v16, 0
	;; [unrolled: 1-line block ×7, first 2 shown]
	s_and_saveexec_b64 s[10:11], s[0:1]
	s_cbranch_execz .LBB177_5
; %bb.4:
	s_waitcnt vmcnt(1)
	v_cvt_f32_f16_sdwa v11, v6 dst_sel:DWORD dst_unused:UNUSED_PAD src0_sel:WORD_1
	v_cvt_f32_f16_e32 v10, v6
	v_cvt_f32_f16_sdwa v17, v7 dst_sel:DWORD dst_unused:UNUSED_PAD src0_sel:WORD_1
	v_cvt_f32_f16_e32 v16, v7
	;; [unrolled: 2-line block ×4, first 2 shown]
.LBB177_5:
	s_or_b64 exec, exec, s[10:11]
	s_waitcnt vmcnt(1)
	v_mul_f32_e32 v6, v11, v11
	v_fmac_f32_e32 v6, v10, v10
	v_fmac_f32_e32 v6, v16, v16
	;; [unrolled: 1-line block ×7, first 2 shown]
	v_bfrev_b32_e32 v8, 0.5
	s_load_dwordx2 s[28:29], s[4:5], 0x18
	v_mov_b32_dpp v7, v6 quad_perm:[1,0,3,2] row_mask:0xf bank_mask:0xf
	v_add_f32_e32 v6, v6, v7
	s_nop 1
	v_mov_b32_dpp v7, v6 quad_perm:[2,3,0,1] row_mask:0xf bank_mask:0xf
	v_add_f32_e32 v6, v6, v7
	s_nop 1
	v_mov_b32_dpp v7, v6 row_half_mirror row_mask:0xf bank_mask:0xf
	v_add_f32_e32 v6, v6, v7
	s_nop 1
	v_mov_b32_dpp v7, v6 row_mirror row_mask:0xf bank_mask:0xf
	v_add_f32_e32 v6, v6, v7
	s_nop 1
	v_mov_b32_dpp v7, v6 row_bcast:15 row_mask:0xf bank_mask:0xf
	v_add_f32_e32 v6, v6, v7
	s_nop 1
	v_mov_b32_dpp v7, v6 row_bcast:31 row_mask:0xf bank_mask:0xf
	v_add_f32_e32 v6, v6, v7
	v_mbcnt_lo_u32_b32 v7, -1, 0
	v_mbcnt_hi_u32_b32 v7, -1, v7
	v_lshl_or_b32 v18, v7, 2, v8
	ds_bpermute_b32 v6, v18, v6
	s_and_saveexec_b64 s[10:11], s[0:1]
	s_cbranch_execz .LBB177_7
; %bb.6:
	v_cvt_f32_u32_e32 v7, s7
	v_mov_b32_e32 v8, s13
	v_mov_b32_e32 v9, s12
	v_cndmask_b32_e32 v8, v8, v9, vcc
	s_waitcnt lgkmcnt(0)
	v_div_scale_f32 v19, s[20:21], v7, v7, v6
	v_rcp_f32_e32 v20, v19
	v_div_scale_f32 v9, vcc, v6, v7, v6
	s_mov_b32 s7, 0x800000
	v_fma_f32 v21, -v19, v20, 1.0
	v_fmac_f32_e32 v20, v21, v20
	v_mul_f32_e32 v21, v9, v20
	v_fma_f32 v22, -v19, v21, v9
	v_fmac_f32_e32 v21, v22, v20
	v_fma_f32 v9, -v19, v21, v9
	v_div_fmas_f32 v9, v9, v20, v21
	v_div_fixup_f32 v6, v9, v7, v6
	v_add_f32_e32 v6, v8, v6
	v_mul_f32_e32 v7, 0x4b800000, v6
	v_cmp_gt_f32_e32 vcc, s7, v6
	v_cndmask_b32_e32 v6, v6, v7, vcc
	v_rsq_f32_e32 v6, v6
	s_waitcnt vmcnt(0)
	v_cvt_f32_f16_sdwa v21, v3 dst_sel:DWORD dst_unused:UNUSED_PAD src0_sel:WORD_1
	v_cvt_f32_f16_e32 v20, v3
	v_mul_f32_e32 v7, 0x45800000, v6
	v_cndmask_b32_e32 v6, v6, v7, vcc
	v_mov_b32_e32 v7, v6
	;;#ASMSTART
	v_pk_mul_f32 v[8:9], v[10:11], v[6:7]
	;;#ASMEND
	v_cvt_f32_f16_sdwa v11, v2 dst_sel:DWORD dst_unused:UNUSED_PAD src0_sel:WORD_1
	v_cvt_f32_f16_e32 v10, v2
	;;#ASMSTART
	v_pk_mul_f32 v[16:17], v[16:17], v[6:7]
	;;#ASMEND
	;;#ASMSTART
	v_pk_mul_f32 v[14:15], v[14:15], v[6:7]
	;;#ASMEND
	;; [unrolled: 3-line block ×3, first 2 shown]
	v_pk_add_f32 v[6:7], v[10:11], 1.0 op_sel_hi:[1,0]
	;;#ASMSTART
	v_pk_mul_f32 v[10:11], v[8:9], v[6:7]
	;;#ASMEND
	v_cvt_f32_f16_sdwa v9, v4 dst_sel:DWORD dst_unused:UNUSED_PAD src0_sel:WORD_1
	v_cvt_f32_f16_e32 v8, v4
	v_cvt_f32_f16_sdwa v13, v5 dst_sel:DWORD dst_unused:UNUSED_PAD src0_sel:WORD_1
	v_cvt_f32_f16_e32 v12, v5
	v_pk_add_f32 v[6:7], v[20:21], 1.0 op_sel_hi:[1,0]
	v_pk_add_f32 v[4:5], v[8:9], 1.0 op_sel_hi:[1,0]
	;;#ASMSTART
	v_pk_mul_f32 v[16:17], v[16:17], v[6:7]
	;;#ASMEND
	;;#ASMSTART
	v_pk_mul_f32 v[14:15], v[14:15], v[4:5]
	;;#ASMEND
	v_pk_add_f32 v[4:5], v[12:13], 1.0 op_sel_hi:[1,0]
	;;#ASMSTART
	v_pk_mul_f32 v[12:13], v[2:3], v[4:5]
	;;#ASMEND
.LBB177_7:
	s_or_b64 exec, exec, s[10:11]
	s_load_dword s7, s[4:5], 0x80
	s_mov_b64 s[10:11], -1
	s_and_b64 vcc, exec, s[2:3]
	s_cbranch_vccnz .LBB177_11
; %bb.8:
	s_andn2_b64 vcc, exec, s[10:11]
	s_cbranch_vccz .LBB177_14
.LBB177_9:
	s_cmp_lt_i32 s16, 1
	s_cbranch_scc0 .LBB177_23
.LBB177_10:
	s_endpgm
.LBB177_11:
	s_and_saveexec_b64 s[2:3], s[0:1]
	s_cbranch_execz .LBB177_13
; %bb.12:
	s_waitcnt lgkmcnt(0)
	s_mul_hi_i32 s11, s7, s6
	s_mul_i32 s10, s7, s6
	s_waitcnt vmcnt(0)
	v_cvt_f16_f32_e32 v2, v10
	v_cvt_f16_f32_e32 v3, v16
	;; [unrolled: 1-line block ×8, first 2 shown]
	s_lshl_b64 s[10:11], s[10:11], 1
	s_add_u32 s20, s28, s10
	s_addc_u32 s10, s29, s11
	s_and_b32 s21, s10, 0xffff
	s_mov_b32 s23, 0x20000
	v_pack_b32_f16 v5, v5, v6
	v_pack_b32_f16 v4, v4, v7
	;; [unrolled: 1-line block ×4, first 2 shown]
	v_lshlrev_b32_e32 v6, 4, v0
	buffer_store_dwordx4 v[2:5], v6, s[20:23], 0 offen
	;;#ASMSTART
	s_nop 0
	;;#ASMEND
.LBB177_13:
	s_or_b64 exec, exec, s[2:3]
	s_cbranch_execnz .LBB177_9
.LBB177_14:
	s_load_dwordx4 s[24:27], s[4:5], 0x70
	s_waitcnt vmcnt(0)
	v_mov_b32_e32 v2, 0
	s_and_saveexec_b64 s[2:3], s[0:1]
	s_cbranch_execz .LBB177_16
; %bb.15:
	s_load_dwordx2 s[10:11], s[4:5], 0x10
	s_waitcnt lgkmcnt(0)
	s_mul_hi_i32 s21, s27, s6
	s_mul_i32 s20, s27, s6
	v_cvt_f16_f32_e32 v2, v10
	v_cvt_f16_f32_e32 v3, v16
	;; [unrolled: 1-line block ×8, first 2 shown]
	s_lshl_b64 s[20:21], s[20:21], 1
	s_add_u32 s20, s10, s20
	s_addc_u32 s10, s11, s21
	s_mov_b32 s23, 0x20000
	s_and_b32 s21, s10, 0xffff
	v_pack_b32_f16 v5, v5, v6
	v_pack_b32_f16 v4, v4, v7
	;; [unrolled: 1-line block ×4, first 2 shown]
	v_lshlrev_b32_e32 v6, 4, v0
	buffer_store_dwordx4 v[2:5], v6, s[20:23], 0 offen
	;;#ASMSTART
	s_nop 0
	;;#ASMEND
	s_nop 0
	v_mov_b32_e32 v2, 0x2edbe6ff
.LBB177_16:
	s_or_b64 exec, exec, s[2:3]
	s_and_saveexec_b64 s[2:3], s[0:1]
	s_cbranch_execz .LBB177_18
; %bb.17:
	v_and_b32_e32 v3, 0x7fffffff, v10
	v_and_b32_e32 v4, 0x7fffffff, v11
	;;#ASMSTART
	v_max3_f32 v2, v2, v3, v4

	;;#ASMEND
	v_and_b32_e32 v3, 0x7fffffff, v16
	v_and_b32_e32 v4, 0x7fffffff, v17
	;;#ASMSTART
	v_max3_f32 v2, v2, v3, v4

	;;#ASMEND
	;; [unrolled: 6-line block ×4, first 2 shown]
.LBB177_18:
	s_or_b64 exec, exec, s[2:3]
	;;#ASMSTART
	v_max_f32 v3, v2, v2 quad_perm:[1,0,3,2] row_mask:0xf bank_mask:0xf bound_ctrl:1
	;;#ASMEND
	;;#ASMSTART
	v_max_f32 v2, v3, v3 quad_perm:[2,3,0,1] row_mask:0xf bank_mask:0xf bound_ctrl:1
	;;#ASMEND
	;;#ASMSTART
	v_max_f32 v3, v2, v2 row_half_mirror row_mask:0xf bank_mask:0xf bound_ctrl:1
	;;#ASMEND
	v_mul_f32_e32 v2, 0x3b124925, v3
	v_and_b32_e32 v3, 7, v0
	v_cmp_eq_u32_e32 vcc, 0, v3
	v_cmp_gt_i32_e64 s[2:3], s15, v1
	s_and_b64 s[10:11], vcc, s[2:3]
	s_and_saveexec_b64 s[2:3], s[10:11]
	s_cbranch_execz .LBB177_20
; %bb.19:
	s_load_dwordx2 s[10:11], s[4:5], 0x8
	s_waitcnt lgkmcnt(0)
	s_mul_hi_i32 s21, s25, s6
	s_mul_i32 s20, s25, s6
	v_lshrrev_b32_e32 v3, 3, v0
	s_lshl_b64 s[20:21], s[20:21], 2
	v_mad_i64_i32 v[4:5], s[22:23], s26, v3, 0
	s_add_u32 s10, s10, s20
	s_addc_u32 s11, s11, s21
	v_lshlrev_b64 v[4:5], 2, v[4:5]
	v_mov_b32_e32 v3, s11
	v_add_co_u32_e32 v4, vcc, s10, v4
	v_addc_co_u32_e32 v5, vcc, v3, v5, vcc
	global_store_dword v[4:5], v2, off
.LBB177_20:
	s_or_b64 exec, exec, s[2:3]
	;;#ASMSTART
	v_rcp_f32 v2, v2
	;;#ASMEND
	s_and_saveexec_b64 s[10:11], s[0:1]
	s_cbranch_execz .LBB177_22
; %bb.21:
	v_mov_b32_e32 v3, v2
	;;#ASMSTART
	v_pk_mul_f32 v[4:5], v[10:11], v[2:3]
	;;#ASMEND
	s_load_dwordx2 s[0:1], s[4:5], 0x0
	v_mov_b32_e32 v8, 0xc3e00000
	v_mov_b32_e32 v9, 0x43e00000
	s_waitcnt lgkmcnt(0)
	;;#ASMSTART
	v_med3_f32 v4, v4, v8, v9
v_med3_f32 v5, v5, v8, v9
v_cvt_pk_fp8_f32 v6, v4, v5
	;;#ASMEND
	;;#ASMSTART
	v_pk_mul_f32 v[4:5], v[16:17], v[2:3]
	;;#ASMEND
	;;#ASMSTART
	v_med3_f32 v4, v4, v8, v9
v_med3_f32 v5, v5, v8, v9
v_cvt_pk_fp8_f32 v7, v4, v5
	;;#ASMEND
	s_mov_b32 s14, 0x5040100
	v_perm_b32 v5, v7, v6, s14
	s_movk_i32 s14, 0xff
	s_mul_i32 s3, s24, s6
	v_and_b32_e32 v4, 0xffffff00, v7
	v_and_b32_sdwa v6, v5, s14 dst_sel:DWORD dst_unused:UNUSED_PAD src0_sel:WORD_1 src1_sel:DWORD
	s_mul_hi_i32 s2, s24, s6
	s_mov_b32 s12, 0xffff
	s_add_u32 s0, s0, s3
	v_or_b32_sdwa v4, v6, v4 dst_sel:WORD_1 dst_unused:UNUSED_PAD src0_sel:DWORD src1_sel:DWORD
	s_addc_u32 s1, s1, s2
	s_add_i32 s2, s15, 3
	v_and_or_b32 v4, v5, s12, v4
	;;#ASMSTART
	v_pk_mul_f32 v[6:7], v[14:15], v[2:3]
	;;#ASMEND
	v_mov_b32_e32 v5, v6
	s_ashr_i32 s3, s2, 31
	;;#ASMSTART
	v_med3_f32 v5, v5, v8, v9
v_med3_f32 v7, v7, v8, v9
v_cvt_pk_fp8_f32 v6, v5, v7
	;;#ASMEND
	;;#ASMSTART
	v_pk_mul_f32 v[2:3], v[12:13], v[2:3]
	;;#ASMEND
	s_lshr_b32 s3, s3, 30
	;;#ASMSTART
	v_med3_f32 v2, v2, v8, v9
v_med3_f32 v3, v3, v8, v9
v_cvt_pk_fp8_f32 v5, v2, v3
	;;#ASMEND
	s_add_i32 s2, s2, s3
	v_lshlrev_b32_e32 v2, 16, v5
	s_and_b32 s2, s2, -4
	s_and_b32 s1, s1, 0xffff
	s_mov_b32 s3, 0x20000
	v_and_or_b32 v5, v6, s12, v2
	buffer_store_dwordx2 v[4:5], v1, s[0:3], 0 offen
	;;#ASMSTART
	s_nop 0
	;;#ASMEND
.LBB177_22:
	s_or_b64 exec, exec, s[10:11]
	s_cmp_lt_i32 s16, 1
	s_cbranch_scc1 .LBB177_10
.LBB177_23:
	s_load_dword s0, s[4:5], 0x94
	s_waitcnt lgkmcnt(0)
	s_cmp_lg_u32 s0, 1
	s_cbranch_scc1 .LBB177_10
; %bb.24:
	s_lshl_b32 s0, s16, 1
	s_add_i32 s0, s0, 2
	v_cmp_gt_u32_e32 vcc, s16, v1
	s_and_b32 s10, s0, -4
	v_mov_b32_e32 v8, 0
	v_lshlrev_b32_e32 v16, 4, v0
	s_waitcnt vmcnt(0)
	v_mov_b32_e32 v4, 0
	v_mov_b32_e32 v5, 0
	;; [unrolled: 1-line block ×8, first 2 shown]
	s_barrier
	s_and_saveexec_b64 s[0:1], vcc
	s_cbranch_execz .LBB177_26
; %bb.25:
	s_mul_hi_i32 s3, s18, s6
	s_mul_i32 s2, s18, s6
	s_and_b32 s9, s9, 0xffff
	s_lshl_b64 s[2:3], s[2:3], 1
	s_add_u32 s20, s30, s2
	s_mov_b32 s11, 0x20000
	s_addc_u32 s2, s31, s3
	s_and_b32 s21, s2, 0xffff
	s_mov_b32 s22, s10
	s_mov_b32 s23, s11
	buffer_load_dwordx4 v[4:7], v16, s[20:23], 0 offen glc slc
	buffer_load_dwordx4 v[0:3], v16, s[8:11], 0 offen
.LBB177_26:
	s_or_b64 exec, exec, s[0:1]
	v_mov_b32_e32 v9, 0
	v_mov_b32_e32 v12, 0
	v_mov_b32_e32 v13, 0
	v_mov_b32_e32 v14, 0
	v_mov_b32_e32 v15, 0
	v_mov_b32_e32 v10, 0
	v_mov_b32_e32 v11, 0
	s_and_saveexec_b64 s[0:1], vcc
	s_cbranch_execz .LBB177_28
; %bb.27:
	s_waitcnt vmcnt(1)
	v_cvt_f32_f16_sdwa v9, v4 dst_sel:DWORD dst_unused:UNUSED_PAD src0_sel:WORD_1
	v_cvt_f32_f16_e32 v8, v4
	v_cvt_f32_f16_sdwa v13, v5 dst_sel:DWORD dst_unused:UNUSED_PAD src0_sel:WORD_1
	v_cvt_f32_f16_e32 v12, v5
	;; [unrolled: 2-line block ×4, first 2 shown]
.LBB177_28:
	s_or_b64 exec, exec, s[0:1]
	s_waitcnt vmcnt(1)
	v_mul_f32_e32 v4, v9, v9
	v_fmac_f32_e32 v4, v8, v8
	v_fmac_f32_e32 v4, v12, v12
	;; [unrolled: 1-line block ×7, first 2 shown]
	s_nop 1
	v_mov_b32_dpp v5, v4 quad_perm:[1,0,3,2] row_mask:0xf bank_mask:0xf
	v_add_f32_e32 v4, v4, v5
	s_nop 1
	v_mov_b32_dpp v5, v4 quad_perm:[2,3,0,1] row_mask:0xf bank_mask:0xf
	v_add_f32_e32 v4, v4, v5
	s_nop 1
	v_mov_b32_dpp v5, v4 row_half_mirror row_mask:0xf bank_mask:0xf
	v_add_f32_e32 v4, v4, v5
	s_nop 1
	v_mov_b32_dpp v5, v4 row_mirror row_mask:0xf bank_mask:0xf
	v_add_f32_e32 v4, v4, v5
	s_nop 1
	v_mov_b32_dpp v5, v4 row_bcast:15 row_mask:0xf bank_mask:0xf
	v_add_f32_e32 v4, v4, v5
	s_nop 1
	v_mov_b32_dpp v5, v4 row_bcast:31 row_mask:0xf bank_mask:0xf
	v_add_f32_e32 v4, v4, v5
	ds_bpermute_b32 v4, v18, v4
	s_and_saveexec_b64 s[0:1], vcc
	s_cbranch_execz .LBB177_10
; %bb.29:
	v_cvt_f32_u32_e32 v5, s16
	s_mov_b32 s11, 0x20000
	s_waitcnt lgkmcnt(0)
	v_div_scale_f32 v6, s[0:1], v5, v5, v4
	v_rcp_f32_e32 v7, v6
	v_div_scale_f32 v17, vcc, v4, v5, v4
	s_mov_b32 s0, 0x800000
	v_fma_f32 v18, -v6, v7, 1.0
	v_fmac_f32_e32 v7, v18, v7
	v_mul_f32_e32 v18, v17, v7
	v_fma_f32 v19, -v6, v18, v17
	v_fmac_f32_e32 v18, v19, v7
	v_fma_f32 v6, -v6, v18, v17
	v_div_fmas_f32 v6, v6, v7, v18
	v_div_fixup_f32 v4, v6, v5, v4
	v_add_f32_e32 v4, s13, v4
	v_mul_f32_e32 v5, 0x4b800000, v4
	v_cmp_gt_f32_e32 vcc, s0, v4
	v_cndmask_b32_e32 v4, v4, v5, vcc
	v_rsq_f32_e32 v4, v4
	s_waitcnt vmcnt(0)
	v_cvt_f32_f16_sdwa v5, v0 dst_sel:DWORD dst_unused:UNUSED_PAD src0_sel:WORD_1
	v_cvt_f32_f16_sdwa v19, v1 dst_sel:DWORD dst_unused:UNUSED_PAD src0_sel:WORD_1
	v_cvt_f32_f16_e32 v18, v1
	v_mul_f32_e32 v6, 0x45800000, v4
	v_cndmask_b32_e32 v6, v4, v6, vcc
	v_cvt_f32_f16_e32 v4, v0
	v_mov_b32_e32 v7, v6
	;;#ASMSTART
	v_pk_mul_f32 v[8:9], v[8:9], v[6:7]
	;;#ASMEND
	;;#ASMSTART
	v_pk_mul_f32 v[12:13], v[12:13], v[6:7]
	;;#ASMEND
	v_pk_add_f32 v[4:5], v[4:5], 1.0 op_sel_hi:[1,0]
	;;#ASMSTART
	v_pk_mul_f32 v[14:15], v[14:15], v[6:7]
	;;#ASMEND
	;;#ASMSTART
	v_pk_mul_f32 v[0:1], v[10:11], v[6:7]
	;;#ASMEND
	;; [unrolled: 3-line block ×3, first 2 shown]
	v_cvt_f32_f16_sdwa v9, v2 dst_sel:DWORD dst_unused:UNUSED_PAD src0_sel:WORD_1
	v_cvt_f32_f16_e32 v8, v2
	v_cvt_f32_f16_sdwa v11, v3 dst_sel:DWORD dst_unused:UNUSED_PAD src0_sel:WORD_1
	v_cvt_f32_f16_e32 v10, v3
	v_pk_add_f32 v[6:7], v[18:19], 1.0 op_sel_hi:[1,0]
	;;#ASMSTART
	v_pk_mul_f32 v[2:3], v[12:13], v[6:7]
	;;#ASMEND
	v_pk_add_f32 v[6:7], v[8:9], 1.0 op_sel_hi:[1,0]
	;;#ASMSTART
	v_pk_mul_f32 v[6:7], v[14:15], v[6:7]
	;;#ASMEND
	;; [unrolled: 4-line block ×3, first 2 shown]
	s_mul_hi_i32 s1, s7, s6
	s_mul_i32 s0, s7, s6
	v_cvt_f16_f32_e32 v4, v4
	v_cvt_f16_f32_e32 v5, v5
	;; [unrolled: 1-line block ×8, first 2 shown]
	s_lshl_b64 s[0:1], s[0:1], 1
	s_add_u32 s8, s28, s0
	s_addc_u32 s0, s29, s1
	s_and_b32 s9, s0, 0xffff
	v_pack_b32_f16 v0, v4, v5
	v_pack_b32_f16 v1, v2, v3
	;; [unrolled: 1-line block ×4, first 2 shown]
	buffer_store_dwordx4 v[0:3], v16, s[8:11], 0 offen
	;;#ASMSTART
	s_nop 0
	;;#ASMEND
	s_endpgm
	.section	.rodata,"a",@progbits
	.p2align	6, 0x0
	.amdhsa_kernel _ZN5aiter35fused_qk_rmsnorm_group_quant_kernelIDF16_DB8_Li64ELi8ELi8ELb0ELb1ELb1ELb0ELb0ELb0EEEvPT0_PvPT_S6_S6_PKS5_S8_S8_S8_S8_ffiiiiiiiiiiiii
		.amdhsa_group_segment_fixed_size 0
		.amdhsa_private_segment_fixed_size 0
		.amdhsa_kernarg_size 400
		.amdhsa_user_sgpr_count 6
		.amdhsa_user_sgpr_private_segment_buffer 1
		.amdhsa_user_sgpr_dispatch_ptr 0
		.amdhsa_user_sgpr_queue_ptr 0
		.amdhsa_user_sgpr_kernarg_segment_ptr 1
		.amdhsa_user_sgpr_dispatch_id 0
		.amdhsa_user_sgpr_flat_scratch_init 0
		.amdhsa_user_sgpr_kernarg_preload_length 0
		.amdhsa_user_sgpr_kernarg_preload_offset 0
		.amdhsa_user_sgpr_private_segment_size 0
		.amdhsa_uses_dynamic_stack 0
		.amdhsa_system_sgpr_private_segment_wavefront_offset 0
		.amdhsa_system_sgpr_workgroup_id_x 1
		.amdhsa_system_sgpr_workgroup_id_y 1
		.amdhsa_system_sgpr_workgroup_id_z 0
		.amdhsa_system_sgpr_workgroup_info 0
		.amdhsa_system_vgpr_workitem_id 0
		.amdhsa_next_free_vgpr 23
		.amdhsa_next_free_sgpr 32
		.amdhsa_accum_offset 24
		.amdhsa_reserve_vcc 1
		.amdhsa_reserve_flat_scratch 0
		.amdhsa_float_round_mode_32 0
		.amdhsa_float_round_mode_16_64 0
		.amdhsa_float_denorm_mode_32 3
		.amdhsa_float_denorm_mode_16_64 3
		.amdhsa_dx10_clamp 1
		.amdhsa_ieee_mode 1
		.amdhsa_fp16_overflow 0
		.amdhsa_tg_split 0
		.amdhsa_exception_fp_ieee_invalid_op 0
		.amdhsa_exception_fp_denorm_src 0
		.amdhsa_exception_fp_ieee_div_zero 0
		.amdhsa_exception_fp_ieee_overflow 0
		.amdhsa_exception_fp_ieee_underflow 0
		.amdhsa_exception_fp_ieee_inexact 0
		.amdhsa_exception_int_div_zero 0
	.end_amdhsa_kernel
	.section	.text._ZN5aiter35fused_qk_rmsnorm_group_quant_kernelIDF16_DB8_Li64ELi8ELi8ELb0ELb1ELb1ELb0ELb0ELb0EEEvPT0_PvPT_S6_S6_PKS5_S8_S8_S8_S8_ffiiiiiiiiiiiii,"axG",@progbits,_ZN5aiter35fused_qk_rmsnorm_group_quant_kernelIDF16_DB8_Li64ELi8ELi8ELb0ELb1ELb1ELb0ELb0ELb0EEEvPT0_PvPT_S6_S6_PKS5_S8_S8_S8_S8_ffiiiiiiiiiiiii,comdat
.Lfunc_end177:
	.size	_ZN5aiter35fused_qk_rmsnorm_group_quant_kernelIDF16_DB8_Li64ELi8ELi8ELb0ELb1ELb1ELb0ELb0ELb0EEEvPT0_PvPT_S6_S6_PKS5_S8_S8_S8_S8_ffiiiiiiiiiiiii, .Lfunc_end177-_ZN5aiter35fused_qk_rmsnorm_group_quant_kernelIDF16_DB8_Li64ELi8ELi8ELb0ELb1ELb1ELb0ELb0ELb0EEEvPT0_PvPT_S6_S6_PKS5_S8_S8_S8_S8_ffiiiiiiiiiiiii
                                        ; -- End function
	.section	.AMDGPU.csdata,"",@progbits
; Kernel info:
; codeLenInByte = 2568
; NumSgprs: 36
; NumVgprs: 23
; NumAgprs: 0
; TotalNumVgprs: 23
; ScratchSize: 0
; MemoryBound: 0
; FloatMode: 240
; IeeeMode: 1
; LDSByteSize: 0 bytes/workgroup (compile time only)
; SGPRBlocks: 4
; VGPRBlocks: 2
; NumSGPRsForWavesPerEU: 36
; NumVGPRsForWavesPerEU: 23
; AccumOffset: 24
; Occupancy: 8
; WaveLimiterHint : 0
; COMPUTE_PGM_RSRC2:SCRATCH_EN: 0
; COMPUTE_PGM_RSRC2:USER_SGPR: 6
; COMPUTE_PGM_RSRC2:TRAP_HANDLER: 0
; COMPUTE_PGM_RSRC2:TGID_X_EN: 1
; COMPUTE_PGM_RSRC2:TGID_Y_EN: 1
; COMPUTE_PGM_RSRC2:TGID_Z_EN: 0
; COMPUTE_PGM_RSRC2:TIDIG_COMP_CNT: 0
; COMPUTE_PGM_RSRC3_GFX90A:ACCUM_OFFSET: 5
; COMPUTE_PGM_RSRC3_GFX90A:TG_SPLIT: 0
	.section	.text._ZN5aiter35fused_qk_rmsnorm_group_quant_kernelItDB8_Li64ELi8ELi8ELb0ELb1ELb1ELb0ELb0ELb0EEEvPT0_PvPT_S6_S6_PKS5_S8_S8_S8_S8_ffiiiiiiiiiiiii,"axG",@progbits,_ZN5aiter35fused_qk_rmsnorm_group_quant_kernelItDB8_Li64ELi8ELi8ELb0ELb1ELb1ELb0ELb0ELb0EEEvPT0_PvPT_S6_S6_PKS5_S8_S8_S8_S8_ffiiiiiiiiiiiii,comdat
	.protected	_ZN5aiter35fused_qk_rmsnorm_group_quant_kernelItDB8_Li64ELi8ELi8ELb0ELb1ELb1ELb0ELb0ELb0EEEvPT0_PvPT_S6_S6_PKS5_S8_S8_S8_S8_ffiiiiiiiiiiiii ; -- Begin function _ZN5aiter35fused_qk_rmsnorm_group_quant_kernelItDB8_Li64ELi8ELi8ELb0ELb1ELb1ELb0ELb0ELb0EEEvPT0_PvPT_S6_S6_PKS5_S8_S8_S8_S8_ffiiiiiiiiiiiii
	.globl	_ZN5aiter35fused_qk_rmsnorm_group_quant_kernelItDB8_Li64ELi8ELi8ELb0ELb1ELb1ELb0ELb0ELb0EEEvPT0_PvPT_S6_S6_PKS5_S8_S8_S8_S8_ffiiiiiiiiiiiii
	.p2align	8
	.type	_ZN5aiter35fused_qk_rmsnorm_group_quant_kernelItDB8_Li64ELi8ELi8ELb0ELb1ELb1ELb0ELb0ELb0EEEvPT0_PvPT_S6_S6_PKS5_S8_S8_S8_S8_ffiiiiiiiiiiiii,@function
_ZN5aiter35fused_qk_rmsnorm_group_quant_kernelItDB8_Li64ELi8ELi8ELb0ELb1ELb1ELb0ELb0ELb0EEEvPT0_PvPT_S6_S6_PKS5_S8_S8_S8_S8_ffiiiiiiiiiiiii: ; @_ZN5aiter35fused_qk_rmsnorm_group_quant_kernelItDB8_Li64ELi8ELi8ELb0ELb1ELb1ELb0ELb0ELb0EEEvPT0_PvPT_S6_S6_PKS5_S8_S8_S8_S8_ffiiiiiiiiiiiii
; %bb.0:
	s_load_dwordx4 s[12:15], s[4:5], 0x50
	s_waitcnt lgkmcnt(0)
	s_cmp_ge_i32 s6, s14
	s_cbranch_scc1 .LBB178_8
; %bb.1:
	s_load_dwordx2 s[8:9], s[4:5], 0x48
	s_load_dwordx2 s[30:31], s[4:5], 0x30
	s_load_dwordx4 s[16:19], s[4:5], 0x60
	s_cmp_lg_u32 s7, 0
	s_cselect_b64 s[2:3], -1, 0
	s_cmp_eq_u32 s7, 0
	s_cselect_b64 vcc, -1, 0
	s_and_b64 s[0:1], vcc, exec
	s_waitcnt lgkmcnt(0)
	s_cselect_b32 s7, s15, s16
	s_add_i32 s0, s7, 1
	s_lshr_b32 s1, s0, 31
	s_add_i32 s0, s0, s1
	s_lshl_b32 s0, s0, 1
	v_lshlrev_b32_e32 v1, 3, v0
	s_and_b32 s22, s0, -4
	v_cmp_gt_i32_e64 s[0:1], s7, v1
	v_mov_b32_e32 v2, 0
	v_mov_b32_e32 v3, 0
	;; [unrolled: 1-line block ×8, first 2 shown]
	s_and_saveexec_b64 s[10:11], s[0:1]
	s_cbranch_execz .LBB178_3
; %bb.2:
	s_load_dwordx2 s[20:21], s[4:5], 0x28
	s_load_dwordx2 s[26:27], s[4:5], 0x40
	s_and_b64 s[24:25], vcc, exec
	s_cselect_b32 s14, s17, s18
	s_mov_b32 s23, 0x20000
	s_waitcnt lgkmcnt(0)
	s_cselect_b32 s17, s21, s31
	s_cselect_b32 s19, s20, s30
	s_mul_hi_i32 s21, s14, s6
	s_mul_i32 s20, s14, s6
	s_lshl_b64 s[20:21], s[20:21], 1
	s_add_u32 s24, s19, s20
	s_addc_u32 s14, s17, s21
	s_and_b64 s[20:21], vcc, exec
	s_cselect_b32 s20, s26, s8
	s_cselect_b32 s17, s27, s9
	v_lshlrev_b32_e32 v10, 4, v0
	s_and_b32 s25, s14, 0xffff
	s_mov_b32 s26, s22
	s_mov_b32 s27, s23
	s_and_b32 s21, s17, 0xffff
	buffer_load_dwordx4 v[6:9], v10, s[24:27], 0 offen glc slc
	buffer_load_dwordx4 v[2:5], v10, s[20:23], 0 offen
.LBB178_3:
	s_or_b64 exec, exec, s[10:11]
	s_waitcnt vmcnt(1)
	v_cvt_f32_u32_sdwa v13, v6 dst_sel:DWORD dst_unused:UNUSED_PAD src0_sel:WORD_1
	v_cvt_f32_u32_sdwa v12, v6 dst_sel:DWORD dst_unused:UNUSED_PAD src0_sel:WORD_0
	v_cvt_f32_u32_sdwa v6, v9 dst_sel:DWORD dst_unused:UNUSED_PAD src0_sel:WORD_1
	v_cvt_f32_u32_sdwa v9, v9 dst_sel:DWORD dst_unused:UNUSED_PAD src0_sel:WORD_0
	;; [unrolled: 2-line block ×4, first 2 shown]
	v_cndmask_b32_e64 v13, 0, v13, s[0:1]
	v_cndmask_b32_e64 v7, 0, v6, s[0:1]
	;; [unrolled: 1-line block ×5, first 2 shown]
	v_mul_f32_e32 v14, v13, v13
	v_cndmask_b32_e64 v10, 0, v10, s[0:1]
	v_fmac_f32_e32 v14, v12, v12
	v_cndmask_b32_e64 v11, 0, v11, s[0:1]
	v_fmac_f32_e32 v14, v10, v10
	;; [unrolled: 2-line block ×3, first 2 shown]
	v_fmac_f32_e32 v14, v8, v8
	v_fmac_f32_e32 v14, v9, v9
	;; [unrolled: 1-line block ×4, first 2 shown]
	v_bfrev_b32_e32 v16, 0.5
	s_load_dwordx2 s[28:29], s[4:5], 0x18
	v_mov_b32_dpp v15, v14 quad_perm:[1,0,3,2] row_mask:0xf bank_mask:0xf
	v_add_f32_e32 v14, v14, v15
	s_nop 1
	v_mov_b32_dpp v15, v14 quad_perm:[2,3,0,1] row_mask:0xf bank_mask:0xf
	v_add_f32_e32 v14, v14, v15
	s_nop 1
	v_mov_b32_dpp v15, v14 row_half_mirror row_mask:0xf bank_mask:0xf
	v_add_f32_e32 v14, v14, v15
	s_nop 1
	v_mov_b32_dpp v15, v14 row_mirror row_mask:0xf bank_mask:0xf
	v_add_f32_e32 v14, v14, v15
	s_nop 1
	v_mov_b32_dpp v15, v14 row_bcast:15 row_mask:0xf bank_mask:0xf
	v_add_f32_e32 v14, v14, v15
	s_nop 1
	v_mov_b32_dpp v15, v14 row_bcast:31 row_mask:0xf bank_mask:0xf
	v_add_f32_e32 v15, v14, v15
	v_mbcnt_lo_u32_b32 v14, -1, 0
	v_mbcnt_hi_u32_b32 v14, -1, v14
	v_lshl_or_b32 v14, v14, 2, v16
	ds_bpermute_b32 v15, v14, v15
	s_and_saveexec_b64 s[10:11], s[0:1]
	s_cbranch_execz .LBB178_5
; %bb.4:
	v_cvt_f32_u32_e32 v16, s7
	v_mov_b32_e32 v17, s13
	v_mov_b32_e32 v18, s12
	v_cndmask_b32_e32 v17, v17, v18, vcc
	s_waitcnt lgkmcnt(0)
	v_div_scale_f32 v19, s[20:21], v16, v16, v15
	v_rcp_f32_e32 v20, v19
	v_div_scale_f32 v18, vcc, v15, v16, v15
	s_mov_b32 s7, 0x800000
	v_fma_f32 v21, -v19, v20, 1.0
	v_fmac_f32_e32 v20, v21, v20
	v_mul_f32_e32 v21, v18, v20
	v_fma_f32 v22, -v19, v21, v18
	v_fmac_f32_e32 v21, v22, v20
	v_fma_f32 v18, -v19, v21, v18
	v_div_fmas_f32 v18, v18, v20, v21
	v_div_fixup_f32 v15, v18, v16, v15
	v_add_f32_e32 v15, v17, v15
	v_mul_f32_e32 v16, 0x4b800000, v15
	v_cmp_gt_f32_e32 vcc, s7, v15
	v_cndmask_b32_e32 v15, v15, v16, vcc
	v_rsq_f32_e32 v15, v15
	s_waitcnt vmcnt(0)
	v_cvt_f32_u32_sdwa v19, v2 dst_sel:DWORD dst_unused:UNUSED_PAD src0_sel:WORD_1
	v_cvt_f32_u32_sdwa v18, v2 dst_sel:DWORD dst_unused:UNUSED_PAD src0_sel:WORD_0
	v_cvt_f32_u32_sdwa v21, v3 dst_sel:DWORD dst_unused:UNUSED_PAD src0_sel:WORD_1
	v_mul_f32_e32 v16, 0x45800000, v15
	v_cndmask_b32_e32 v16, v15, v16, vcc
	v_mov_b32_e32 v17, v16
	;;#ASMSTART
	v_pk_mul_f32 v[12:13], v[12:13], v[16:17]
	;;#ASMEND
	;;#ASMSTART
	v_pk_mul_f32 v[10:11], v[10:11], v[16:17]
	;;#ASMEND
	;; [unrolled: 3-line block ×3, first 2 shown]
	v_cvt_f32_u32_sdwa v20, v3 dst_sel:DWORD dst_unused:UNUSED_PAD src0_sel:WORD_0
	;;#ASMSTART
	v_pk_mul_f32 v[2:3], v[6:7], v[16:17]
	;;#ASMEND
	v_cvt_f32_u32_sdwa v17, v4 dst_sel:DWORD dst_unused:UNUSED_PAD src0_sel:WORD_1
	v_cvt_f32_u32_sdwa v16, v4 dst_sel:DWORD dst_unused:UNUSED_PAD src0_sel:WORD_0
	v_pk_add_f32 v[6:7], v[18:19], 1.0 op_sel_hi:[1,0]
	v_cvt_f32_u32_sdwa v19, v5 dst_sel:DWORD dst_unused:UNUSED_PAD src0_sel:WORD_1
	v_cvt_f32_u32_sdwa v18, v5 dst_sel:DWORD dst_unused:UNUSED_PAD src0_sel:WORD_0
	;;#ASMSTART
	v_pk_mul_f32 v[12:13], v[12:13], v[6:7]
	;;#ASMEND
	v_pk_add_f32 v[6:7], v[20:21], 1.0 op_sel_hi:[1,0]
	v_pk_add_f32 v[4:5], v[16:17], 1.0 op_sel_hi:[1,0]
	;;#ASMSTART
	v_pk_mul_f32 v[10:11], v[10:11], v[6:7]
	;;#ASMEND
	;;#ASMSTART
	v_pk_mul_f32 v[8:9], v[8:9], v[4:5]
	;;#ASMEND
	v_pk_add_f32 v[4:5], v[18:19], 1.0 op_sel_hi:[1,0]
	;;#ASMSTART
	v_pk_mul_f32 v[6:7], v[2:3], v[4:5]
	;;#ASMEND
.LBB178_5:
	s_or_b64 exec, exec, s[10:11]
	s_load_dword s7, s[4:5], 0x80
	s_mov_b64 s[10:11], -1
	s_and_b64 vcc, exec, s[2:3]
	s_cbranch_vccnz .LBB178_9
; %bb.6:
	s_andn2_b64 vcc, exec, s[10:11]
	s_cbranch_vccz .LBB178_12
.LBB178_7:
	s_cmp_lt_i32 s16, 1
	s_cbranch_scc0 .LBB178_21
.LBB178_8:
	s_endpgm
.LBB178_9:
	s_and_saveexec_b64 s[2:3], s[0:1]
	s_cbranch_execz .LBB178_11
; %bb.10:
	s_waitcnt lgkmcnt(0)
	s_mul_hi_i32 s11, s7, s6
	s_mul_i32 s10, s7, s6
	s_lshl_b64 s[10:11], s[10:11], 1
	s_add_u32 s20, s28, s10
	s_addc_u32 s10, s29, s11
	s_and_b32 s21, s10, 0xffff
	s_mov_b32 s10, 0x7060302
	s_mov_b32 s23, 0x20000
	s_waitcnt vmcnt(0)
	v_perm_b32 v2, v13, v12, s10
	v_perm_b32 v3, v11, v10, s10
	;; [unrolled: 1-line block ×4, first 2 shown]
	v_lshlrev_b32_e32 v15, 4, v0
	buffer_store_dwordx4 v[2:5], v15, s[20:23], 0 offen
	;;#ASMSTART
	s_nop 0
	;;#ASMEND
.LBB178_11:
	s_or_b64 exec, exec, s[2:3]
	s_cbranch_execnz .LBB178_7
.LBB178_12:
	s_load_dwordx4 s[24:27], s[4:5], 0x70
	s_waitcnt vmcnt(0)
	v_mov_b32_e32 v2, 0
	s_and_saveexec_b64 s[2:3], s[0:1]
	s_cbranch_execz .LBB178_14
; %bb.13:
	s_load_dwordx2 s[10:11], s[4:5], 0x10
	s_waitcnt lgkmcnt(0)
	s_mul_hi_i32 s21, s27, s6
	s_mul_i32 s20, s27, s6
	s_lshl_b64 s[20:21], s[20:21], 1
	s_mov_b32 s23, 0x20000
	s_add_u32 s20, s10, s20
	s_addc_u32 s10, s11, s21
	s_and_b32 s21, s10, 0xffff
	s_mov_b32 s10, 0x7060302
	v_perm_b32 v2, v13, v12, s10
	v_perm_b32 v3, v11, v10, s10
	;; [unrolled: 1-line block ×4, first 2 shown]
	v_lshlrev_b32_e32 v15, 4, v0
	buffer_store_dwordx4 v[2:5], v15, s[20:23], 0 offen
	;;#ASMSTART
	s_nop 0
	;;#ASMEND
	s_nop 0
	v_mov_b32_e32 v2, 0x2edbe6ff
.LBB178_14:
	s_or_b64 exec, exec, s[2:3]
	s_and_saveexec_b64 s[2:3], s[0:1]
	s_cbranch_execz .LBB178_16
; %bb.15:
	v_and_b32_e32 v3, 0x7fffffff, v12
	v_and_b32_e32 v4, 0x7fffffff, v13
	;;#ASMSTART
	v_max3_f32 v2, v2, v3, v4

	;;#ASMEND
	v_and_b32_e32 v3, 0x7fffffff, v10
	v_and_b32_e32 v4, 0x7fffffff, v11
	;;#ASMSTART
	v_max3_f32 v2, v2, v3, v4

	;;#ASMEND
	;; [unrolled: 6-line block ×4, first 2 shown]
.LBB178_16:
	s_or_b64 exec, exec, s[2:3]
	;;#ASMSTART
	v_max_f32 v3, v2, v2 quad_perm:[1,0,3,2] row_mask:0xf bank_mask:0xf bound_ctrl:1
	;;#ASMEND
	;;#ASMSTART
	v_max_f32 v2, v3, v3 quad_perm:[2,3,0,1] row_mask:0xf bank_mask:0xf bound_ctrl:1
	;;#ASMEND
	;;#ASMSTART
	v_max_f32 v3, v2, v2 row_half_mirror row_mask:0xf bank_mask:0xf bound_ctrl:1
	;;#ASMEND
	v_mul_f32_e32 v2, 0x3b124925, v3
	v_and_b32_e32 v3, 7, v0
	v_cmp_eq_u32_e32 vcc, 0, v3
	v_cmp_gt_i32_e64 s[2:3], s15, v1
	s_and_b64 s[10:11], vcc, s[2:3]
	s_and_saveexec_b64 s[2:3], s[10:11]
	s_cbranch_execz .LBB178_18
; %bb.17:
	s_load_dwordx2 s[10:11], s[4:5], 0x8
	s_waitcnt lgkmcnt(0)
	s_mul_hi_i32 s21, s25, s6
	s_mul_i32 s20, s25, s6
	v_lshrrev_b32_e32 v3, 3, v0
	s_lshl_b64 s[20:21], s[20:21], 2
	v_mad_i64_i32 v[4:5], s[22:23], s26, v3, 0
	s_add_u32 s10, s10, s20
	s_addc_u32 s11, s11, s21
	v_lshlrev_b64 v[4:5], 2, v[4:5]
	v_mov_b32_e32 v3, s11
	v_add_co_u32_e32 v4, vcc, s10, v4
	v_addc_co_u32_e32 v5, vcc, v3, v5, vcc
	global_store_dword v[4:5], v2, off
.LBB178_18:
	s_or_b64 exec, exec, s[2:3]
	;;#ASMSTART
	v_rcp_f32 v2, v2
	;;#ASMEND
	s_and_saveexec_b64 s[10:11], s[0:1]
	s_cbranch_execz .LBB178_20
; %bb.19:
	v_mov_b32_e32 v3, v2
	;;#ASMSTART
	v_pk_mul_f32 v[4:5], v[12:13], v[2:3]
	;;#ASMEND
	s_load_dwordx2 s[0:1], s[4:5], 0x0
	v_mov_b32_e32 v12, 0xc3e00000
	v_mov_b32_e32 v13, 0x43e00000
	s_waitcnt lgkmcnt(0)
	;;#ASMSTART
	v_med3_f32 v4, v4, v12, v13
v_med3_f32 v5, v5, v12, v13
v_cvt_pk_fp8_f32 v15, v4, v5
	;;#ASMEND
	;;#ASMSTART
	v_pk_mul_f32 v[4:5], v[10:11], v[2:3]
	;;#ASMEND
	;;#ASMSTART
	v_med3_f32 v4, v4, v12, v13
v_med3_f32 v5, v5, v12, v13
v_cvt_pk_fp8_f32 v10, v4, v5
	;;#ASMEND
	s_mov_b32 s14, 0x5040100
	v_perm_b32 v5, v10, v15, s14
	s_movk_i32 s14, 0xff
	s_mul_i32 s3, s24, s6
	v_and_b32_e32 v4, 0xffffff00, v10
	v_and_b32_sdwa v10, v5, s14 dst_sel:DWORD dst_unused:UNUSED_PAD src0_sel:WORD_1 src1_sel:DWORD
	s_mul_hi_i32 s2, s24, s6
	s_mov_b32 s12, 0xffff
	s_add_u32 s0, s0, s3
	v_or_b32_sdwa v4, v10, v4 dst_sel:WORD_1 dst_unused:UNUSED_PAD src0_sel:DWORD src1_sel:DWORD
	s_addc_u32 s1, s1, s2
	s_add_i32 s2, s15, 3
	v_and_or_b32 v4, v5, s12, v4
	;;#ASMSTART
	v_pk_mul_f32 v[8:9], v[8:9], v[2:3]
	;;#ASMEND
	v_mov_b32_e32 v5, v8
	s_ashr_i32 s3, s2, 31
	;;#ASMSTART
	v_med3_f32 v5, v5, v12, v13
v_med3_f32 v9, v9, v12, v13
v_cvt_pk_fp8_f32 v8, v5, v9
	;;#ASMEND
	;;#ASMSTART
	v_pk_mul_f32 v[2:3], v[6:7], v[2:3]
	;;#ASMEND
	s_lshr_b32 s3, s3, 30
	;;#ASMSTART
	v_med3_f32 v2, v2, v12, v13
v_med3_f32 v3, v3, v12, v13
v_cvt_pk_fp8_f32 v5, v2, v3
	;;#ASMEND
	s_add_i32 s2, s2, s3
	v_lshlrev_b32_e32 v2, 16, v5
	s_and_b32 s2, s2, -4
	s_and_b32 s1, s1, 0xffff
	s_mov_b32 s3, 0x20000
	v_and_or_b32 v5, v8, s12, v2
	buffer_store_dwordx2 v[4:5], v1, s[0:3], 0 offen
	;;#ASMSTART
	s_nop 0
	;;#ASMEND
.LBB178_20:
	s_or_b64 exec, exec, s[10:11]
	s_cmp_lt_i32 s16, 1
	s_cbranch_scc1 .LBB178_8
.LBB178_21:
	s_load_dword s0, s[4:5], 0x94
	s_waitcnt lgkmcnt(0)
	s_cmp_lg_u32 s0, 1
	s_cbranch_scc1 .LBB178_8
; %bb.22:
	s_lshl_b32 s0, s16, 1
	s_add_i32 s0, s0, 2
	v_cmp_gt_u32_e32 vcc, s16, v1
	s_and_b32 s10, s0, -4
	s_waitcnt vmcnt(0)
	v_mov_b32_e32 v4, 0
	v_lshlrev_b32_e32 v12, 4, v0
	v_mov_b32_e32 v5, 0
	v_mov_b32_e32 v6, 0
	;; [unrolled: 1-line block ×7, first 2 shown]
	s_barrier
	s_and_saveexec_b64 s[0:1], vcc
	s_cbranch_execz .LBB178_24
; %bb.23:
	s_mul_hi_i32 s3, s18, s6
	s_mul_i32 s2, s18, s6
	s_and_b32 s9, s9, 0xffff
	s_lshl_b64 s[2:3], s[2:3], 1
	s_add_u32 s20, s30, s2
	s_mov_b32 s11, 0x20000
	s_addc_u32 s2, s31, s3
	s_and_b32 s21, s2, 0xffff
	s_mov_b32 s22, s10
	s_mov_b32 s23, s11
	buffer_load_dwordx4 v[4:7], v12, s[20:23], 0 offen glc slc
	buffer_load_dwordx4 v[0:3], v12, s[8:11], 0 offen
.LBB178_24:
	s_or_b64 exec, exec, s[0:1]
	s_waitcnt vmcnt(1)
	v_cvt_f32_u32_sdwa v11, v4 dst_sel:DWORD dst_unused:UNUSED_PAD src0_sel:WORD_1
	v_cvt_f32_u32_sdwa v10, v4 dst_sel:DWORD dst_unused:UNUSED_PAD src0_sel:WORD_0
	v_cvt_f32_u32_sdwa v4, v7 dst_sel:DWORD dst_unused:UNUSED_PAD src0_sel:WORD_1
	v_cvt_f32_u32_sdwa v7, v7 dst_sel:DWORD dst_unused:UNUSED_PAD src0_sel:WORD_0
	v_cvt_f32_u32_sdwa v13, v6 dst_sel:DWORD dst_unused:UNUSED_PAD src0_sel:WORD_1
	v_cvt_f32_u32_sdwa v8, v5 dst_sel:DWORD dst_unused:UNUSED_PAD src0_sel:WORD_0
	v_cvt_f32_u32_sdwa v9, v5 dst_sel:DWORD dst_unused:UNUSED_PAD src0_sel:WORD_1
	v_cvt_f32_u32_sdwa v6, v6 dst_sel:DWORD dst_unused:UNUSED_PAD src0_sel:WORD_0
	v_cndmask_b32_e32 v11, 0, v11, vcc
	v_cndmask_b32_e32 v5, 0, v4, vcc
	;; [unrolled: 1-line block ×5, first 2 shown]
	v_mul_f32_e32 v13, v11, v11
	v_cndmask_b32_e32 v8, 0, v8, vcc
	v_fmac_f32_e32 v13, v10, v10
	v_cndmask_b32_e32 v9, 0, v9, vcc
	v_fmac_f32_e32 v13, v8, v8
	;; [unrolled: 2-line block ×3, first 2 shown]
	v_fmac_f32_e32 v13, v6, v6
	v_fmac_f32_e32 v13, v7, v7
	;; [unrolled: 1-line block ×4, first 2 shown]
	s_nop 1
	v_mov_b32_dpp v15, v13 quad_perm:[1,0,3,2] row_mask:0xf bank_mask:0xf
	v_add_f32_e32 v13, v13, v15
	s_nop 1
	v_mov_b32_dpp v15, v13 quad_perm:[2,3,0,1] row_mask:0xf bank_mask:0xf
	v_add_f32_e32 v13, v13, v15
	s_nop 1
	v_mov_b32_dpp v15, v13 row_half_mirror row_mask:0xf bank_mask:0xf
	v_add_f32_e32 v13, v13, v15
	s_nop 1
	v_mov_b32_dpp v15, v13 row_mirror row_mask:0xf bank_mask:0xf
	v_add_f32_e32 v13, v13, v15
	s_nop 1
	v_mov_b32_dpp v15, v13 row_bcast:15 row_mask:0xf bank_mask:0xf
	v_add_f32_e32 v13, v13, v15
	s_nop 1
	v_mov_b32_dpp v15, v13 row_bcast:31 row_mask:0xf bank_mask:0xf
	v_add_f32_e32 v13, v13, v15
	ds_bpermute_b32 v13, v14, v13
	s_and_saveexec_b64 s[0:1], vcc
	s_cbranch_execz .LBB178_8
; %bb.25:
	v_cvt_f32_u32_e32 v14, s16
	s_mov_b32 s11, 0x20000
	s_waitcnt lgkmcnt(0)
	v_div_scale_f32 v15, s[0:1], v14, v14, v13
	v_rcp_f32_e32 v16, v15
	v_div_scale_f32 v17, vcc, v13, v14, v13
	s_mov_b32 s0, 0x800000
	v_fma_f32 v18, -v15, v16, 1.0
	v_fmac_f32_e32 v16, v18, v16
	v_mul_f32_e32 v18, v17, v16
	v_fma_f32 v19, -v15, v18, v17
	v_fmac_f32_e32 v18, v19, v16
	v_fma_f32 v15, -v15, v18, v17
	v_div_fmas_f32 v15, v15, v16, v18
	v_div_fixup_f32 v13, v15, v14, v13
	v_add_f32_e32 v13, s13, v13
	v_mul_f32_e32 v14, 0x4b800000, v13
	v_cmp_gt_f32_e32 vcc, s0, v13
	v_cndmask_b32_e32 v13, v13, v14, vcc
	v_rsq_f32_e32 v13, v13
	s_waitcnt vmcnt(0)
	v_cvt_f32_u32_sdwa v15, v0 dst_sel:DWORD dst_unused:UNUSED_PAD src0_sel:WORD_1
	v_cvt_f32_u32_sdwa v19, v1 dst_sel:DWORD dst_unused:UNUSED_PAD src0_sel:WORD_1
	v_cvt_f32_u32_sdwa v18, v1 dst_sel:DWORD dst_unused:UNUSED_PAD src0_sel:WORD_0
	v_mul_f32_e32 v14, 0x45800000, v13
	v_cndmask_b32_e32 v16, v13, v14, vcc
	v_cvt_f32_u32_sdwa v14, v0 dst_sel:DWORD dst_unused:UNUSED_PAD src0_sel:WORD_0
	v_mov_b32_e32 v17, v16
	;;#ASMSTART
	v_pk_mul_f32 v[10:11], v[10:11], v[16:17]
	;;#ASMEND
	;;#ASMSTART
	v_pk_mul_f32 v[8:9], v[8:9], v[16:17]
	;;#ASMEND
	;; [unrolled: 3-line block ×4, first 2 shown]
	v_pk_add_f32 v[4:5], v[14:15], 1.0 op_sel_hi:[1,0]
	v_cvt_f32_u32_sdwa v15, v2 dst_sel:DWORD dst_unused:UNUSED_PAD src0_sel:WORD_1
	v_cvt_f32_u32_sdwa v14, v2 dst_sel:DWORD dst_unused:UNUSED_PAD src0_sel:WORD_0
	v_cvt_f32_u32_sdwa v17, v3 dst_sel:DWORD dst_unused:UNUSED_PAD src0_sel:WORD_1
	v_cvt_f32_u32_sdwa v16, v3 dst_sel:DWORD dst_unused:UNUSED_PAD src0_sel:WORD_0
	s_mul_hi_i32 s1, s7, s6
	s_mul_i32 s0, s7, s6
	s_lshl_b64 s[0:1], s[0:1], 1
	s_add_u32 s8, s28, s0
	;;#ASMSTART
	v_pk_mul_f32 v[4:5], v[10:11], v[4:5]
	;;#ASMEND
	v_pk_add_f32 v[10:11], v[18:19], 1.0 op_sel_hi:[1,0]
	;;#ASMSTART
	v_pk_mul_f32 v[2:3], v[8:9], v[10:11]
	;;#ASMEND
	v_pk_add_f32 v[8:9], v[14:15], 1.0 op_sel_hi:[1,0]
	s_addc_u32 s0, s29, s1
	;;#ASMSTART
	v_pk_mul_f32 v[6:7], v[6:7], v[8:9]
	;;#ASMEND
	v_pk_add_f32 v[8:9], v[16:17], 1.0 op_sel_hi:[1,0]
	s_and_b32 s9, s0, 0xffff
	s_mov_b32 s0, 0x7060302
	;;#ASMSTART
	v_pk_mul_f32 v[8:9], v[0:1], v[8:9]
	;;#ASMEND
	v_perm_b32 v0, v5, v4, s0
	v_perm_b32 v1, v3, v2, s0
	v_perm_b32 v2, v7, v6, s0
	v_perm_b32 v3, v9, v8, s0
	buffer_store_dwordx4 v[0:3], v12, s[8:11], 0 offen
	;;#ASMSTART
	s_nop 0
	;;#ASMEND
	s_endpgm
	.section	.rodata,"a",@progbits
	.p2align	6, 0x0
	.amdhsa_kernel _ZN5aiter35fused_qk_rmsnorm_group_quant_kernelItDB8_Li64ELi8ELi8ELb0ELb1ELb1ELb0ELb0ELb0EEEvPT0_PvPT_S6_S6_PKS5_S8_S8_S8_S8_ffiiiiiiiiiiiii
		.amdhsa_group_segment_fixed_size 0
		.amdhsa_private_segment_fixed_size 0
		.amdhsa_kernarg_size 400
		.amdhsa_user_sgpr_count 6
		.amdhsa_user_sgpr_private_segment_buffer 1
		.amdhsa_user_sgpr_dispatch_ptr 0
		.amdhsa_user_sgpr_queue_ptr 0
		.amdhsa_user_sgpr_kernarg_segment_ptr 1
		.amdhsa_user_sgpr_dispatch_id 0
		.amdhsa_user_sgpr_flat_scratch_init 0
		.amdhsa_user_sgpr_kernarg_preload_length 0
		.amdhsa_user_sgpr_kernarg_preload_offset 0
		.amdhsa_user_sgpr_private_segment_size 0
		.amdhsa_uses_dynamic_stack 0
		.amdhsa_system_sgpr_private_segment_wavefront_offset 0
		.amdhsa_system_sgpr_workgroup_id_x 1
		.amdhsa_system_sgpr_workgroup_id_y 1
		.amdhsa_system_sgpr_workgroup_id_z 0
		.amdhsa_system_sgpr_workgroup_info 0
		.amdhsa_system_vgpr_workitem_id 0
		.amdhsa_next_free_vgpr 23
		.amdhsa_next_free_sgpr 32
		.amdhsa_accum_offset 24
		.amdhsa_reserve_vcc 1
		.amdhsa_reserve_flat_scratch 0
		.amdhsa_float_round_mode_32 0
		.amdhsa_float_round_mode_16_64 0
		.amdhsa_float_denorm_mode_32 3
		.amdhsa_float_denorm_mode_16_64 3
		.amdhsa_dx10_clamp 1
		.amdhsa_ieee_mode 1
		.amdhsa_fp16_overflow 0
		.amdhsa_tg_split 0
		.amdhsa_exception_fp_ieee_invalid_op 0
		.amdhsa_exception_fp_denorm_src 0
		.amdhsa_exception_fp_ieee_div_zero 0
		.amdhsa_exception_fp_ieee_overflow 0
		.amdhsa_exception_fp_ieee_underflow 0
		.amdhsa_exception_fp_ieee_inexact 0
		.amdhsa_exception_int_div_zero 0
	.end_amdhsa_kernel
	.section	.text._ZN5aiter35fused_qk_rmsnorm_group_quant_kernelItDB8_Li64ELi8ELi8ELb0ELb1ELb1ELb0ELb0ELb0EEEvPT0_PvPT_S6_S6_PKS5_S8_S8_S8_S8_ffiiiiiiiiiiiii,"axG",@progbits,_ZN5aiter35fused_qk_rmsnorm_group_quant_kernelItDB8_Li64ELi8ELi8ELb0ELb1ELb1ELb0ELb0ELb0EEEvPT0_PvPT_S6_S6_PKS5_S8_S8_S8_S8_ffiiiiiiiiiiiii,comdat
.Lfunc_end178:
	.size	_ZN5aiter35fused_qk_rmsnorm_group_quant_kernelItDB8_Li64ELi8ELi8ELb0ELb1ELb1ELb0ELb0ELb0EEEvPT0_PvPT_S6_S6_PKS5_S8_S8_S8_S8_ffiiiiiiiiiiiii, .Lfunc_end178-_ZN5aiter35fused_qk_rmsnorm_group_quant_kernelItDB8_Li64ELi8ELi8ELb0ELb1ELb1ELb0ELb0ELb0EEEvPT0_PvPT_S6_S6_PKS5_S8_S8_S8_S8_ffiiiiiiiiiiiii
                                        ; -- End function
	.section	.AMDGPU.csdata,"",@progbits
; Kernel info:
; codeLenInByte = 2560
; NumSgprs: 36
; NumVgprs: 23
; NumAgprs: 0
; TotalNumVgprs: 23
; ScratchSize: 0
; MemoryBound: 0
; FloatMode: 240
; IeeeMode: 1
; LDSByteSize: 0 bytes/workgroup (compile time only)
; SGPRBlocks: 4
; VGPRBlocks: 2
; NumSGPRsForWavesPerEU: 36
; NumVGPRsForWavesPerEU: 23
; AccumOffset: 24
; Occupancy: 8
; WaveLimiterHint : 0
; COMPUTE_PGM_RSRC2:SCRATCH_EN: 0
; COMPUTE_PGM_RSRC2:USER_SGPR: 6
; COMPUTE_PGM_RSRC2:TRAP_HANDLER: 0
; COMPUTE_PGM_RSRC2:TGID_X_EN: 1
; COMPUTE_PGM_RSRC2:TGID_Y_EN: 1
; COMPUTE_PGM_RSRC2:TGID_Z_EN: 0
; COMPUTE_PGM_RSRC2:TIDIG_COMP_CNT: 0
; COMPUTE_PGM_RSRC3_GFX90A:ACCUM_OFFSET: 5
; COMPUTE_PGM_RSRC3_GFX90A:TG_SPLIT: 0
	.section	.text._ZN5aiter35fused_qk_rmsnorm_group_quant_kernelIDF16_N4opus5fp4_tELi64ELi8ELi8ELb0ELb1ELb1ELb0ELb0ELb0EEEvPT0_PvPT_S7_S7_PKS6_S9_S9_S9_S9_ffiiiiiiiiiiiii,"axG",@progbits,_ZN5aiter35fused_qk_rmsnorm_group_quant_kernelIDF16_N4opus5fp4_tELi64ELi8ELi8ELb0ELb1ELb1ELb0ELb0ELb0EEEvPT0_PvPT_S7_S7_PKS6_S9_S9_S9_S9_ffiiiiiiiiiiiii,comdat
	.protected	_ZN5aiter35fused_qk_rmsnorm_group_quant_kernelIDF16_N4opus5fp4_tELi64ELi8ELi8ELb0ELb1ELb1ELb0ELb0ELb0EEEvPT0_PvPT_S7_S7_PKS6_S9_S9_S9_S9_ffiiiiiiiiiiiii ; -- Begin function _ZN5aiter35fused_qk_rmsnorm_group_quant_kernelIDF16_N4opus5fp4_tELi64ELi8ELi8ELb0ELb1ELb1ELb0ELb0ELb0EEEvPT0_PvPT_S7_S7_PKS6_S9_S9_S9_S9_ffiiiiiiiiiiiii
	.globl	_ZN5aiter35fused_qk_rmsnorm_group_quant_kernelIDF16_N4opus5fp4_tELi64ELi8ELi8ELb0ELb1ELb1ELb0ELb0ELb0EEEvPT0_PvPT_S7_S7_PKS6_S9_S9_S9_S9_ffiiiiiiiiiiiii
	.p2align	8
	.type	_ZN5aiter35fused_qk_rmsnorm_group_quant_kernelIDF16_N4opus5fp4_tELi64ELi8ELi8ELb0ELb1ELb1ELb0ELb0ELb0EEEvPT0_PvPT_S7_S7_PKS6_S9_S9_S9_S9_ffiiiiiiiiiiiii,@function
_ZN5aiter35fused_qk_rmsnorm_group_quant_kernelIDF16_N4opus5fp4_tELi64ELi8ELi8ELb0ELb1ELb1ELb0ELb0ELb0EEEvPT0_PvPT_S7_S7_PKS6_S9_S9_S9_S9_ffiiiiiiiiiiiii: ; @_ZN5aiter35fused_qk_rmsnorm_group_quant_kernelIDF16_N4opus5fp4_tELi64ELi8ELi8ELb0ELb1ELb1ELb0ELb0ELb0EEEvPT0_PvPT_S7_S7_PKS6_S9_S9_S9_S9_ffiiiiiiiiiiiii
; %bb.0:
	s_load_dwordx4 s[12:15], s[4:5], 0x50
	s_waitcnt lgkmcnt(0)
	s_cmp_ge_i32 s6, s14
	s_cbranch_scc1 .LBB179_10
; %bb.1:
	s_load_dwordx2 s[8:9], s[4:5], 0x48
	s_load_dwordx2 s[30:31], s[4:5], 0x30
	s_load_dwordx4 s[16:19], s[4:5], 0x60
	s_cmp_lg_u32 s7, 0
	s_cselect_b64 s[2:3], -1, 0
	s_cmp_eq_u32 s7, 0
	s_cselect_b64 vcc, -1, 0
	s_and_b64 s[0:1], vcc, exec
	s_waitcnt lgkmcnt(0)
	s_cselect_b32 s7, s15, s16
	s_add_i32 s0, s7, 1
	s_lshr_b32 s1, s0, 31
	s_add_i32 s0, s0, s1
	s_lshl_b32 s0, s0, 1
	v_lshlrev_b32_e32 v1, 3, v0
	s_and_b32 s22, s0, -4
	v_cmp_gt_i32_e64 s[0:1], s7, v1
	v_mov_b32_e32 v10, 0
	v_mov_b32_e32 v2, 0
	v_mov_b32_e32 v3, 0
	v_mov_b32_e32 v4, 0
	v_mov_b32_e32 v5, 0
	v_mov_b32_e32 v6, 0
	v_mov_b32_e32 v7, 0
	v_mov_b32_e32 v8, 0
	v_mov_b32_e32 v9, 0
	s_and_saveexec_b64 s[10:11], s[0:1]
	s_cbranch_execz .LBB179_3
; %bb.2:
	s_load_dwordx2 s[20:21], s[4:5], 0x28
	s_load_dwordx2 s[26:27], s[4:5], 0x40
	s_and_b64 s[24:25], vcc, exec
	s_cselect_b32 s14, s17, s18
	s_mov_b32 s23, 0x20000
	s_waitcnt lgkmcnt(0)
	s_cselect_b32 s17, s21, s31
	s_cselect_b32 s19, s20, s30
	s_mul_hi_i32 s21, s14, s6
	s_mul_i32 s20, s14, s6
	s_lshl_b64 s[20:21], s[20:21], 1
	s_add_u32 s24, s19, s20
	s_addc_u32 s14, s17, s21
	s_and_b64 s[20:21], vcc, exec
	s_cselect_b32 s20, s26, s8
	s_cselect_b32 s17, s27, s9
	v_lshlrev_b32_e32 v11, 4, v0
	s_and_b32 s25, s14, 0xffff
	s_mov_b32 s26, s22
	s_mov_b32 s27, s23
	s_and_b32 s21, s17, 0xffff
	buffer_load_dwordx4 v[6:9], v11, s[24:27], 0 offen glc slc
	buffer_load_dwordx4 v[2:5], v11, s[20:23], 0 offen
.LBB179_3:
	s_or_b64 exec, exec, s[10:11]
	v_mov_b32_e32 v11, 0
	v_mov_b32_e32 v16, 0
	;; [unrolled: 1-line block ×7, first 2 shown]
	s_and_saveexec_b64 s[10:11], s[0:1]
	s_cbranch_execz .LBB179_5
; %bb.4:
	s_waitcnt vmcnt(1)
	v_cvt_f32_f16_sdwa v11, v6 dst_sel:DWORD dst_unused:UNUSED_PAD src0_sel:WORD_1
	v_cvt_f32_f16_e32 v10, v6
	v_cvt_f32_f16_sdwa v17, v7 dst_sel:DWORD dst_unused:UNUSED_PAD src0_sel:WORD_1
	v_cvt_f32_f16_e32 v16, v7
	;; [unrolled: 2-line block ×4, first 2 shown]
.LBB179_5:
	s_or_b64 exec, exec, s[10:11]
	s_waitcnt vmcnt(1)
	v_mul_f32_e32 v6, v11, v11
	v_fmac_f32_e32 v6, v10, v10
	v_fmac_f32_e32 v6, v16, v16
	;; [unrolled: 1-line block ×7, first 2 shown]
	v_bfrev_b32_e32 v8, 0.5
	s_load_dwordx2 s[28:29], s[4:5], 0x18
	v_mov_b32_dpp v7, v6 quad_perm:[1,0,3,2] row_mask:0xf bank_mask:0xf
	v_add_f32_e32 v6, v6, v7
	s_nop 1
	v_mov_b32_dpp v7, v6 quad_perm:[2,3,0,1] row_mask:0xf bank_mask:0xf
	v_add_f32_e32 v6, v6, v7
	s_nop 1
	v_mov_b32_dpp v7, v6 row_half_mirror row_mask:0xf bank_mask:0xf
	v_add_f32_e32 v6, v6, v7
	s_nop 1
	v_mov_b32_dpp v7, v6 row_mirror row_mask:0xf bank_mask:0xf
	v_add_f32_e32 v6, v6, v7
	s_nop 1
	v_mov_b32_dpp v7, v6 row_bcast:15 row_mask:0xf bank_mask:0xf
	v_add_f32_e32 v6, v6, v7
	s_nop 1
	v_mov_b32_dpp v7, v6 row_bcast:31 row_mask:0xf bank_mask:0xf
	v_add_f32_e32 v6, v6, v7
	v_mbcnt_lo_u32_b32 v7, -1, 0
	v_mbcnt_hi_u32_b32 v7, -1, v7
	v_lshl_or_b32 v18, v7, 2, v8
	ds_bpermute_b32 v6, v18, v6
	s_and_saveexec_b64 s[10:11], s[0:1]
	s_cbranch_execz .LBB179_7
; %bb.6:
	v_cvt_f32_u32_e32 v7, s7
	v_mov_b32_e32 v8, s13
	v_mov_b32_e32 v9, s12
	v_cndmask_b32_e32 v8, v8, v9, vcc
	s_waitcnt lgkmcnt(0)
	v_div_scale_f32 v19, s[20:21], v7, v7, v6
	v_rcp_f32_e32 v20, v19
	v_div_scale_f32 v9, vcc, v6, v7, v6
	s_mov_b32 s7, 0x800000
	v_fma_f32 v21, -v19, v20, 1.0
	v_fmac_f32_e32 v20, v21, v20
	v_mul_f32_e32 v21, v9, v20
	v_fma_f32 v22, -v19, v21, v9
	v_fmac_f32_e32 v21, v22, v20
	v_fma_f32 v9, -v19, v21, v9
	v_div_fmas_f32 v9, v9, v20, v21
	v_div_fixup_f32 v6, v9, v7, v6
	v_add_f32_e32 v6, v8, v6
	v_mul_f32_e32 v7, 0x4b800000, v6
	v_cmp_gt_f32_e32 vcc, s7, v6
	v_cndmask_b32_e32 v6, v6, v7, vcc
	v_rsq_f32_e32 v6, v6
	s_waitcnt vmcnt(0)
	v_cvt_f32_f16_sdwa v21, v3 dst_sel:DWORD dst_unused:UNUSED_PAD src0_sel:WORD_1
	v_cvt_f32_f16_e32 v20, v3
	v_mul_f32_e32 v7, 0x45800000, v6
	v_cndmask_b32_e32 v6, v6, v7, vcc
	v_mov_b32_e32 v7, v6
	;;#ASMSTART
	v_pk_mul_f32 v[8:9], v[10:11], v[6:7]
	;;#ASMEND
	v_cvt_f32_f16_sdwa v11, v2 dst_sel:DWORD dst_unused:UNUSED_PAD src0_sel:WORD_1
	v_cvt_f32_f16_e32 v10, v2
	;;#ASMSTART
	v_pk_mul_f32 v[16:17], v[16:17], v[6:7]
	;;#ASMEND
	;;#ASMSTART
	v_pk_mul_f32 v[14:15], v[14:15], v[6:7]
	;;#ASMEND
	;; [unrolled: 3-line block ×3, first 2 shown]
	v_pk_add_f32 v[6:7], v[10:11], 1.0 op_sel_hi:[1,0]
	;;#ASMSTART
	v_pk_mul_f32 v[10:11], v[8:9], v[6:7]
	;;#ASMEND
	v_cvt_f32_f16_sdwa v9, v4 dst_sel:DWORD dst_unused:UNUSED_PAD src0_sel:WORD_1
	v_cvt_f32_f16_e32 v8, v4
	v_cvt_f32_f16_sdwa v13, v5 dst_sel:DWORD dst_unused:UNUSED_PAD src0_sel:WORD_1
	v_cvt_f32_f16_e32 v12, v5
	v_pk_add_f32 v[6:7], v[20:21], 1.0 op_sel_hi:[1,0]
	v_pk_add_f32 v[4:5], v[8:9], 1.0 op_sel_hi:[1,0]
	;;#ASMSTART
	v_pk_mul_f32 v[16:17], v[16:17], v[6:7]
	;;#ASMEND
	;;#ASMSTART
	v_pk_mul_f32 v[14:15], v[14:15], v[4:5]
	;;#ASMEND
	v_pk_add_f32 v[4:5], v[12:13], 1.0 op_sel_hi:[1,0]
	;;#ASMSTART
	v_pk_mul_f32 v[12:13], v[2:3], v[4:5]
	;;#ASMEND
.LBB179_7:
	s_or_b64 exec, exec, s[10:11]
	s_load_dword s7, s[4:5], 0x80
	s_mov_b64 s[10:11], -1
	s_and_b64 vcc, exec, s[2:3]
	s_cbranch_vccnz .LBB179_11
; %bb.8:
	s_andn2_b64 vcc, exec, s[10:11]
	s_cbranch_vccz .LBB179_14
.LBB179_9:
	s_cmp_lt_i32 s16, 1
	s_cbranch_scc0 .LBB179_23
.LBB179_10:
	s_endpgm
.LBB179_11:
	s_and_saveexec_b64 s[2:3], s[0:1]
	s_cbranch_execz .LBB179_13
; %bb.12:
	s_waitcnt lgkmcnt(0)
	s_mul_hi_i32 s11, s7, s6
	s_mul_i32 s10, s7, s6
	s_waitcnt vmcnt(0)
	v_cvt_f16_f32_e32 v2, v10
	v_cvt_f16_f32_e32 v3, v16
	;; [unrolled: 1-line block ×8, first 2 shown]
	s_lshl_b64 s[10:11], s[10:11], 1
	s_add_u32 s20, s28, s10
	s_addc_u32 s10, s29, s11
	s_and_b32 s21, s10, 0xffff
	s_mov_b32 s23, 0x20000
	v_pack_b32_f16 v5, v5, v6
	v_pack_b32_f16 v4, v4, v7
	;; [unrolled: 1-line block ×4, first 2 shown]
	v_lshlrev_b32_e32 v6, 4, v0
	buffer_store_dwordx4 v[2:5], v6, s[20:23], 0 offen
	;;#ASMSTART
	s_nop 0
	;;#ASMEND
.LBB179_13:
	s_or_b64 exec, exec, s[2:3]
	s_cbranch_execnz .LBB179_9
.LBB179_14:
	s_load_dwordx4 s[24:27], s[4:5], 0x70
	s_waitcnt vmcnt(0)
	v_mov_b32_e32 v2, 0
	s_and_saveexec_b64 s[2:3], s[0:1]
	s_cbranch_execz .LBB179_16
; %bb.15:
	s_load_dwordx2 s[10:11], s[4:5], 0x10
	s_waitcnt lgkmcnt(0)
	s_mul_hi_i32 s21, s27, s6
	s_mul_i32 s20, s27, s6
	v_cvt_f16_f32_e32 v2, v10
	v_cvt_f16_f32_e32 v3, v16
	v_cvt_f16_f32_e32 v4, v14
	v_cvt_f16_f32_e32 v5, v12
	v_cvt_f16_f32_e32 v6, v13
	v_cvt_f16_f32_e32 v7, v15
	v_cvt_f16_f32_e32 v8, v17
	v_cvt_f16_f32_e32 v9, v11
	s_lshl_b64 s[20:21], s[20:21], 1
	s_add_u32 s20, s10, s20
	s_addc_u32 s10, s11, s21
	s_mov_b32 s23, 0x20000
	s_and_b32 s21, s10, 0xffff
	v_pack_b32_f16 v5, v5, v6
	v_pack_b32_f16 v4, v4, v7
	;; [unrolled: 1-line block ×4, first 2 shown]
	v_lshlrev_b32_e32 v6, 4, v0
	buffer_store_dwordx4 v[2:5], v6, s[20:23], 0 offen
	;;#ASMSTART
	s_nop 0
	;;#ASMEND
	s_nop 0
	v_mov_b32_e32 v2, 0x2edbe6ff
.LBB179_16:
	s_or_b64 exec, exec, s[2:3]
	s_and_saveexec_b64 s[2:3], s[0:1]
	s_cbranch_execz .LBB179_18
; %bb.17:
	v_and_b32_e32 v3, 0x7fffffff, v10
	v_and_b32_e32 v4, 0x7fffffff, v11
	;;#ASMSTART
	v_max3_f32 v2, v2, v3, v4

	;;#ASMEND
	v_and_b32_e32 v3, 0x7fffffff, v16
	v_and_b32_e32 v4, 0x7fffffff, v17
	;;#ASMSTART
	v_max3_f32 v2, v2, v3, v4

	;;#ASMEND
	v_and_b32_e32 v3, 0x7fffffff, v14
	v_and_b32_e32 v4, 0x7fffffff, v15
	;;#ASMSTART
	v_max3_f32 v2, v2, v3, v4

	;;#ASMEND
	v_and_b32_e32 v3, 0x7fffffff, v12
	v_and_b32_e32 v4, 0x7fffffff, v13
	;;#ASMSTART
	v_max3_f32 v2, v2, v3, v4

	;;#ASMEND
.LBB179_18:
	s_or_b64 exec, exec, s[2:3]
	;;#ASMSTART
	v_max_f32 v3, v2, v2 quad_perm:[1,0,3,2] row_mask:0xf bank_mask:0xf bound_ctrl:1
	;;#ASMEND
	;;#ASMSTART
	v_max_f32 v4, v3, v3 quad_perm:[2,3,0,1] row_mask:0xf bank_mask:0xf bound_ctrl:1
	;;#ASMEND
	v_and_b32_e32 v3, 7, v0
	v_cmp_eq_u32_e32 vcc, 0, v3
	v_cmp_gt_i32_e64 s[2:3], s15, v1
	s_and_b64 s[10:11], vcc, s[2:3]
	;;#ASMSTART
	v_max_f32 v2, v4, v4 row_half_mirror row_mask:0xf bank_mask:0xf bound_ctrl:1
	;;#ASMEND
	s_and_saveexec_b64 s[2:3], s[10:11]
	s_cbranch_execz .LBB179_20
; %bb.19:
	s_load_dwordx2 s[10:11], s[4:5], 0x8
	v_mul_f32_e32 v2, 0x3e2aaaab, v2
	v_lshrrev_b32_e32 v3, 23, v2
	v_and_b32_e32 v4, 0x7f800000, v2
	v_and_b32_e32 v2, 0x7fffff, v2
	v_cmp_ne_u32_e32 vcc, 0, v2
	s_waitcnt lgkmcnt(0)
	s_mul_i32 s17, s25, s6
	s_mov_b32 s12, 0x7f800000
	v_addc_co_u32_e32 v2, vcc, 0, v3, vcc
	s_mul_hi_i32 s14, s25, s6
	s_add_u32 s10, s10, s17
	v_cmp_ne_u32_e32 vcc, s12, v4
	s_addc_u32 s11, s11, s14
	v_lshrrev_b32_e32 v5, 3, v0
	v_cndmask_b32_e32 v4, -1, v2, vcc
	v_pk_mov_b32 v[2:3], s[10:11], s[10:11] op_sel:[0,1]
	v_mad_i64_i32 v[2:3], s[10:11], s26, v5, v[2:3]
	global_store_byte v[2:3], v4, off
.LBB179_20:
	s_or_b64 exec, exec, s[2:3]
	s_and_saveexec_b64 s[2:3], s[0:1]
	s_cbranch_execz .LBB179_22
; %bb.21:
	s_load_dwordx2 s[0:1], s[4:5], 0x0
	s_waitcnt lgkmcnt(0)
	s_mul_i32 s11, s24, s6
	s_mul_hi_i32 s10, s24, s6
	v_lshlrev_b32_e32 v2, 2, v0
	s_mov_b32 s23, 0x20000
	s_add_u32 s20, s0, s11
	s_addc_u32 s0, s1, s10
	s_lshr_b32 s1, s15, 31
	s_add_i32 s1, s15, s1
	s_ashr_i32 s1, s1, 1
	s_add_i32 s1, s1, 3
	s_ashr_i32 s10, s1, 31
	s_lshr_b32 s10, s10, 30
	s_add_i32 s1, s1, s10
	s_and_b32 s22, s1, -4
	s_and_b32 s21, s0, 0xffff
	v_mov_b32_e32 v3, 0
	buffer_store_dword v3, v2, s[20:23], 0 offen
	;;#ASMSTART
	s_nop 0
	;;#ASMEND
.LBB179_22:
	s_or_b64 exec, exec, s[2:3]
	s_cmp_lt_i32 s16, 1
	s_cbranch_scc1 .LBB179_10
.LBB179_23:
	s_load_dword s0, s[4:5], 0x94
	s_waitcnt lgkmcnt(0)
	s_cmp_lg_u32 s0, 1
	s_cbranch_scc1 .LBB179_10
; %bb.24:
	s_lshl_b32 s0, s16, 1
	s_add_i32 s0, s0, 2
	v_cmp_gt_u32_e32 vcc, s16, v1
	s_and_b32 s10, s0, -4
	v_mov_b32_e32 v8, 0
	v_lshlrev_b32_e32 v16, 4, v0
	s_waitcnt vmcnt(0)
	v_mov_b32_e32 v4, 0
	v_mov_b32_e32 v5, 0
	;; [unrolled: 1-line block ×8, first 2 shown]
	s_barrier
	s_and_saveexec_b64 s[0:1], vcc
	s_cbranch_execz .LBB179_26
; %bb.25:
	s_mul_hi_i32 s3, s18, s6
	s_mul_i32 s2, s18, s6
	s_and_b32 s9, s9, 0xffff
	s_lshl_b64 s[2:3], s[2:3], 1
	s_add_u32 s20, s30, s2
	s_mov_b32 s11, 0x20000
	s_addc_u32 s2, s31, s3
	s_and_b32 s21, s2, 0xffff
	s_mov_b32 s22, s10
	s_mov_b32 s23, s11
	buffer_load_dwordx4 v[4:7], v16, s[20:23], 0 offen glc slc
	buffer_load_dwordx4 v[0:3], v16, s[8:11], 0 offen
.LBB179_26:
	s_or_b64 exec, exec, s[0:1]
	v_mov_b32_e32 v9, 0
	v_mov_b32_e32 v12, 0
	;; [unrolled: 1-line block ×7, first 2 shown]
	s_and_saveexec_b64 s[0:1], vcc
	s_cbranch_execz .LBB179_28
; %bb.27:
	s_waitcnt vmcnt(1)
	v_cvt_f32_f16_sdwa v9, v4 dst_sel:DWORD dst_unused:UNUSED_PAD src0_sel:WORD_1
	v_cvt_f32_f16_e32 v8, v4
	v_cvt_f32_f16_sdwa v13, v5 dst_sel:DWORD dst_unused:UNUSED_PAD src0_sel:WORD_1
	v_cvt_f32_f16_e32 v12, v5
	;; [unrolled: 2-line block ×4, first 2 shown]
.LBB179_28:
	s_or_b64 exec, exec, s[0:1]
	s_waitcnt vmcnt(1)
	v_mul_f32_e32 v4, v9, v9
	v_fmac_f32_e32 v4, v8, v8
	v_fmac_f32_e32 v4, v12, v12
	;; [unrolled: 1-line block ×7, first 2 shown]
	s_nop 1
	v_mov_b32_dpp v5, v4 quad_perm:[1,0,3,2] row_mask:0xf bank_mask:0xf
	v_add_f32_e32 v4, v4, v5
	s_nop 1
	v_mov_b32_dpp v5, v4 quad_perm:[2,3,0,1] row_mask:0xf bank_mask:0xf
	v_add_f32_e32 v4, v4, v5
	s_nop 1
	v_mov_b32_dpp v5, v4 row_half_mirror row_mask:0xf bank_mask:0xf
	v_add_f32_e32 v4, v4, v5
	s_nop 1
	v_mov_b32_dpp v5, v4 row_mirror row_mask:0xf bank_mask:0xf
	v_add_f32_e32 v4, v4, v5
	s_nop 1
	v_mov_b32_dpp v5, v4 row_bcast:15 row_mask:0xf bank_mask:0xf
	v_add_f32_e32 v4, v4, v5
	s_nop 1
	v_mov_b32_dpp v5, v4 row_bcast:31 row_mask:0xf bank_mask:0xf
	v_add_f32_e32 v4, v4, v5
	ds_bpermute_b32 v4, v18, v4
	s_and_saveexec_b64 s[0:1], vcc
	s_cbranch_execz .LBB179_10
; %bb.29:
	v_cvt_f32_u32_e32 v5, s16
	s_mov_b32 s11, 0x20000
	s_waitcnt lgkmcnt(0)
	v_div_scale_f32 v6, s[0:1], v5, v5, v4
	v_rcp_f32_e32 v7, v6
	v_div_scale_f32 v17, vcc, v4, v5, v4
	s_mov_b32 s0, 0x800000
	v_fma_f32 v18, -v6, v7, 1.0
	v_fmac_f32_e32 v7, v18, v7
	v_mul_f32_e32 v18, v17, v7
	v_fma_f32 v19, -v6, v18, v17
	v_fmac_f32_e32 v18, v19, v7
	v_fma_f32 v6, -v6, v18, v17
	v_div_fmas_f32 v6, v6, v7, v18
	v_div_fixup_f32 v4, v6, v5, v4
	v_add_f32_e32 v4, s13, v4
	v_mul_f32_e32 v5, 0x4b800000, v4
	v_cmp_gt_f32_e32 vcc, s0, v4
	v_cndmask_b32_e32 v4, v4, v5, vcc
	v_rsq_f32_e32 v4, v4
	s_waitcnt vmcnt(0)
	v_cvt_f32_f16_sdwa v5, v0 dst_sel:DWORD dst_unused:UNUSED_PAD src0_sel:WORD_1
	v_cvt_f32_f16_sdwa v19, v1 dst_sel:DWORD dst_unused:UNUSED_PAD src0_sel:WORD_1
	v_cvt_f32_f16_e32 v18, v1
	v_mul_f32_e32 v6, 0x45800000, v4
	v_cndmask_b32_e32 v6, v4, v6, vcc
	v_cvt_f32_f16_e32 v4, v0
	v_mov_b32_e32 v7, v6
	;;#ASMSTART
	v_pk_mul_f32 v[8:9], v[8:9], v[6:7]
	;;#ASMEND
	;;#ASMSTART
	v_pk_mul_f32 v[12:13], v[12:13], v[6:7]
	;;#ASMEND
	v_pk_add_f32 v[4:5], v[4:5], 1.0 op_sel_hi:[1,0]
	;;#ASMSTART
	v_pk_mul_f32 v[14:15], v[14:15], v[6:7]
	;;#ASMEND
	;;#ASMSTART
	v_pk_mul_f32 v[0:1], v[10:11], v[6:7]
	;;#ASMEND
	;; [unrolled: 3-line block ×3, first 2 shown]
	v_cvt_f32_f16_sdwa v9, v2 dst_sel:DWORD dst_unused:UNUSED_PAD src0_sel:WORD_1
	v_cvt_f32_f16_e32 v8, v2
	v_cvt_f32_f16_sdwa v11, v3 dst_sel:DWORD dst_unused:UNUSED_PAD src0_sel:WORD_1
	v_cvt_f32_f16_e32 v10, v3
	v_pk_add_f32 v[6:7], v[18:19], 1.0 op_sel_hi:[1,0]
	;;#ASMSTART
	v_pk_mul_f32 v[2:3], v[12:13], v[6:7]
	;;#ASMEND
	v_pk_add_f32 v[6:7], v[8:9], 1.0 op_sel_hi:[1,0]
	;;#ASMSTART
	v_pk_mul_f32 v[6:7], v[14:15], v[6:7]
	;;#ASMEND
	;; [unrolled: 4-line block ×3, first 2 shown]
	s_mul_hi_i32 s1, s7, s6
	s_mul_i32 s0, s7, s6
	v_cvt_f16_f32_e32 v4, v4
	v_cvt_f16_f32_e32 v5, v5
	;; [unrolled: 1-line block ×8, first 2 shown]
	s_lshl_b64 s[0:1], s[0:1], 1
	s_add_u32 s8, s28, s0
	s_addc_u32 s0, s29, s1
	s_and_b32 s9, s0, 0xffff
	v_pack_b32_f16 v0, v4, v5
	v_pack_b32_f16 v1, v2, v3
	;; [unrolled: 1-line block ×4, first 2 shown]
	buffer_store_dwordx4 v[0:3], v16, s[8:11], 0 offen
	;;#ASMSTART
	s_nop 0
	;;#ASMEND
	s_endpgm
	.section	.rodata,"a",@progbits
	.p2align	6, 0x0
	.amdhsa_kernel _ZN5aiter35fused_qk_rmsnorm_group_quant_kernelIDF16_N4opus5fp4_tELi64ELi8ELi8ELb0ELb1ELb1ELb0ELb0ELb0EEEvPT0_PvPT_S7_S7_PKS6_S9_S9_S9_S9_ffiiiiiiiiiiiii
		.amdhsa_group_segment_fixed_size 0
		.amdhsa_private_segment_fixed_size 0
		.amdhsa_kernarg_size 400
		.amdhsa_user_sgpr_count 6
		.amdhsa_user_sgpr_private_segment_buffer 1
		.amdhsa_user_sgpr_dispatch_ptr 0
		.amdhsa_user_sgpr_queue_ptr 0
		.amdhsa_user_sgpr_kernarg_segment_ptr 1
		.amdhsa_user_sgpr_dispatch_id 0
		.amdhsa_user_sgpr_flat_scratch_init 0
		.amdhsa_user_sgpr_kernarg_preload_length 0
		.amdhsa_user_sgpr_kernarg_preload_offset 0
		.amdhsa_user_sgpr_private_segment_size 0
		.amdhsa_uses_dynamic_stack 0
		.amdhsa_system_sgpr_private_segment_wavefront_offset 0
		.amdhsa_system_sgpr_workgroup_id_x 1
		.amdhsa_system_sgpr_workgroup_id_y 1
		.amdhsa_system_sgpr_workgroup_id_z 0
		.amdhsa_system_sgpr_workgroup_info 0
		.amdhsa_system_vgpr_workitem_id 0
		.amdhsa_next_free_vgpr 23
		.amdhsa_next_free_sgpr 32
		.amdhsa_accum_offset 24
		.amdhsa_reserve_vcc 1
		.amdhsa_reserve_flat_scratch 0
		.amdhsa_float_round_mode_32 0
		.amdhsa_float_round_mode_16_64 0
		.amdhsa_float_denorm_mode_32 3
		.amdhsa_float_denorm_mode_16_64 3
		.amdhsa_dx10_clamp 1
		.amdhsa_ieee_mode 1
		.amdhsa_fp16_overflow 0
		.amdhsa_tg_split 0
		.amdhsa_exception_fp_ieee_invalid_op 0
		.amdhsa_exception_fp_denorm_src 0
		.amdhsa_exception_fp_ieee_div_zero 0
		.amdhsa_exception_fp_ieee_overflow 0
		.amdhsa_exception_fp_ieee_underflow 0
		.amdhsa_exception_fp_ieee_inexact 0
		.amdhsa_exception_int_div_zero 0
	.end_amdhsa_kernel
	.section	.text._ZN5aiter35fused_qk_rmsnorm_group_quant_kernelIDF16_N4opus5fp4_tELi64ELi8ELi8ELb0ELb1ELb1ELb0ELb0ELb0EEEvPT0_PvPT_S7_S7_PKS6_S9_S9_S9_S9_ffiiiiiiiiiiiii,"axG",@progbits,_ZN5aiter35fused_qk_rmsnorm_group_quant_kernelIDF16_N4opus5fp4_tELi64ELi8ELi8ELb0ELb1ELb1ELb0ELb0ELb0EEEvPT0_PvPT_S7_S7_PKS6_S9_S9_S9_S9_ffiiiiiiiiiiiii,comdat
.Lfunc_end179:
	.size	_ZN5aiter35fused_qk_rmsnorm_group_quant_kernelIDF16_N4opus5fp4_tELi64ELi8ELi8ELb0ELb1ELb1ELb0ELb0ELb0EEEvPT0_PvPT_S7_S7_PKS6_S9_S9_S9_S9_ffiiiiiiiiiiiii, .Lfunc_end179-_ZN5aiter35fused_qk_rmsnorm_group_quant_kernelIDF16_N4opus5fp4_tELi64ELi8ELi8ELb0ELb1ELb1ELb0ELb0ELb0EEEvPT0_PvPT_S7_S7_PKS6_S9_S9_S9_S9_ffiiiiiiiiiiiii
                                        ; -- End function
	.section	.AMDGPU.csdata,"",@progbits
; Kernel info:
; codeLenInByte = 2384
; NumSgprs: 36
; NumVgprs: 23
; NumAgprs: 0
; TotalNumVgprs: 23
; ScratchSize: 0
; MemoryBound: 0
; FloatMode: 240
; IeeeMode: 1
; LDSByteSize: 0 bytes/workgroup (compile time only)
; SGPRBlocks: 4
; VGPRBlocks: 2
; NumSGPRsForWavesPerEU: 36
; NumVGPRsForWavesPerEU: 23
; AccumOffset: 24
; Occupancy: 8
; WaveLimiterHint : 0
; COMPUTE_PGM_RSRC2:SCRATCH_EN: 0
; COMPUTE_PGM_RSRC2:USER_SGPR: 6
; COMPUTE_PGM_RSRC2:TRAP_HANDLER: 0
; COMPUTE_PGM_RSRC2:TGID_X_EN: 1
; COMPUTE_PGM_RSRC2:TGID_Y_EN: 1
; COMPUTE_PGM_RSRC2:TGID_Z_EN: 0
; COMPUTE_PGM_RSRC2:TIDIG_COMP_CNT: 0
; COMPUTE_PGM_RSRC3_GFX90A:ACCUM_OFFSET: 5
; COMPUTE_PGM_RSRC3_GFX90A:TG_SPLIT: 0
	.section	.text._ZN5aiter35fused_qk_rmsnorm_group_quant_kernelItN4opus5fp4_tELi64ELi8ELi8ELb0ELb1ELb1ELb0ELb0ELb0EEEvPT0_PvPT_S7_S7_PKS6_S9_S9_S9_S9_ffiiiiiiiiiiiii,"axG",@progbits,_ZN5aiter35fused_qk_rmsnorm_group_quant_kernelItN4opus5fp4_tELi64ELi8ELi8ELb0ELb1ELb1ELb0ELb0ELb0EEEvPT0_PvPT_S7_S7_PKS6_S9_S9_S9_S9_ffiiiiiiiiiiiii,comdat
	.protected	_ZN5aiter35fused_qk_rmsnorm_group_quant_kernelItN4opus5fp4_tELi64ELi8ELi8ELb0ELb1ELb1ELb0ELb0ELb0EEEvPT0_PvPT_S7_S7_PKS6_S9_S9_S9_S9_ffiiiiiiiiiiiii ; -- Begin function _ZN5aiter35fused_qk_rmsnorm_group_quant_kernelItN4opus5fp4_tELi64ELi8ELi8ELb0ELb1ELb1ELb0ELb0ELb0EEEvPT0_PvPT_S7_S7_PKS6_S9_S9_S9_S9_ffiiiiiiiiiiiii
	.globl	_ZN5aiter35fused_qk_rmsnorm_group_quant_kernelItN4opus5fp4_tELi64ELi8ELi8ELb0ELb1ELb1ELb0ELb0ELb0EEEvPT0_PvPT_S7_S7_PKS6_S9_S9_S9_S9_ffiiiiiiiiiiiii
	.p2align	8
	.type	_ZN5aiter35fused_qk_rmsnorm_group_quant_kernelItN4opus5fp4_tELi64ELi8ELi8ELb0ELb1ELb1ELb0ELb0ELb0EEEvPT0_PvPT_S7_S7_PKS6_S9_S9_S9_S9_ffiiiiiiiiiiiii,@function
_ZN5aiter35fused_qk_rmsnorm_group_quant_kernelItN4opus5fp4_tELi64ELi8ELi8ELb0ELb1ELb1ELb0ELb0ELb0EEEvPT0_PvPT_S7_S7_PKS6_S9_S9_S9_S9_ffiiiiiiiiiiiii: ; @_ZN5aiter35fused_qk_rmsnorm_group_quant_kernelItN4opus5fp4_tELi64ELi8ELi8ELb0ELb1ELb1ELb0ELb0ELb0EEEvPT0_PvPT_S7_S7_PKS6_S9_S9_S9_S9_ffiiiiiiiiiiiii
; %bb.0:
	s_load_dwordx4 s[12:15], s[4:5], 0x50
	s_waitcnt lgkmcnt(0)
	s_cmp_ge_i32 s6, s14
	s_cbranch_scc1 .LBB180_8
; %bb.1:
	s_load_dwordx2 s[8:9], s[4:5], 0x48
	s_load_dwordx2 s[30:31], s[4:5], 0x30
	s_load_dwordx4 s[16:19], s[4:5], 0x60
	s_cmp_lg_u32 s7, 0
	s_cselect_b64 s[2:3], -1, 0
	s_cmp_eq_u32 s7, 0
	s_cselect_b64 vcc, -1, 0
	s_and_b64 s[0:1], vcc, exec
	s_waitcnt lgkmcnt(0)
	s_cselect_b32 s7, s15, s16
	s_add_i32 s0, s7, 1
	s_lshr_b32 s1, s0, 31
	s_add_i32 s0, s0, s1
	s_lshl_b32 s0, s0, 1
	v_lshlrev_b32_e32 v1, 3, v0
	s_and_b32 s22, s0, -4
	v_cmp_gt_i32_e64 s[0:1], s7, v1
	v_mov_b32_e32 v2, 0
	v_mov_b32_e32 v3, 0
	;; [unrolled: 1-line block ×8, first 2 shown]
	s_and_saveexec_b64 s[10:11], s[0:1]
	s_cbranch_execz .LBB180_3
; %bb.2:
	s_load_dwordx2 s[20:21], s[4:5], 0x28
	s_load_dwordx2 s[26:27], s[4:5], 0x40
	s_and_b64 s[24:25], vcc, exec
	s_cselect_b32 s14, s17, s18
	s_mov_b32 s23, 0x20000
	s_waitcnt lgkmcnt(0)
	s_cselect_b32 s17, s21, s31
	s_cselect_b32 s19, s20, s30
	s_mul_hi_i32 s21, s14, s6
	s_mul_i32 s20, s14, s6
	s_lshl_b64 s[20:21], s[20:21], 1
	s_add_u32 s24, s19, s20
	s_addc_u32 s14, s17, s21
	s_and_b64 s[20:21], vcc, exec
	s_cselect_b32 s20, s26, s8
	s_cselect_b32 s17, s27, s9
	v_lshlrev_b32_e32 v10, 4, v0
	s_and_b32 s25, s14, 0xffff
	s_mov_b32 s26, s22
	s_mov_b32 s27, s23
	s_and_b32 s21, s17, 0xffff
	buffer_load_dwordx4 v[6:9], v10, s[24:27], 0 offen glc slc
	buffer_load_dwordx4 v[2:5], v10, s[20:23], 0 offen
.LBB180_3:
	s_or_b64 exec, exec, s[10:11]
	s_waitcnt vmcnt(1)
	v_cvt_f32_u32_sdwa v11, v6 dst_sel:DWORD dst_unused:UNUSED_PAD src0_sel:WORD_1
	v_cvt_f32_u32_sdwa v10, v6 dst_sel:DWORD dst_unused:UNUSED_PAD src0_sel:WORD_0
	v_cvt_f32_u32_sdwa v6, v9 dst_sel:DWORD dst_unused:UNUSED_PAD src0_sel:WORD_1
	v_cvt_f32_u32_sdwa v9, v9 dst_sel:DWORD dst_unused:UNUSED_PAD src0_sel:WORD_0
	;; [unrolled: 2-line block ×4, first 2 shown]
	v_cndmask_b32_e64 v11, 0, v11, s[0:1]
	v_cndmask_b32_e64 v7, 0, v6, s[0:1]
	v_cndmask_b32_e64 v6, 0, v9, s[0:1]
	v_cndmask_b32_e64 v9, 0, v14, s[0:1]
	v_cndmask_b32_e64 v10, 0, v10, s[0:1]
	v_mul_f32_e32 v14, v11, v11
	v_cndmask_b32_e64 v12, 0, v12, s[0:1]
	v_fmac_f32_e32 v14, v10, v10
	v_cndmask_b32_e64 v13, 0, v13, s[0:1]
	v_fmac_f32_e32 v14, v12, v12
	;; [unrolled: 2-line block ×3, first 2 shown]
	v_fmac_f32_e32 v14, v8, v8
	v_fmac_f32_e32 v14, v9, v9
	;; [unrolled: 1-line block ×4, first 2 shown]
	v_bfrev_b32_e32 v16, 0.5
	s_load_dwordx2 s[28:29], s[4:5], 0x18
	v_mov_b32_dpp v15, v14 quad_perm:[1,0,3,2] row_mask:0xf bank_mask:0xf
	v_add_f32_e32 v14, v14, v15
	s_nop 1
	v_mov_b32_dpp v15, v14 quad_perm:[2,3,0,1] row_mask:0xf bank_mask:0xf
	v_add_f32_e32 v14, v14, v15
	s_nop 1
	v_mov_b32_dpp v15, v14 row_half_mirror row_mask:0xf bank_mask:0xf
	v_add_f32_e32 v14, v14, v15
	s_nop 1
	v_mov_b32_dpp v15, v14 row_mirror row_mask:0xf bank_mask:0xf
	v_add_f32_e32 v14, v14, v15
	s_nop 1
	v_mov_b32_dpp v15, v14 row_bcast:15 row_mask:0xf bank_mask:0xf
	v_add_f32_e32 v14, v14, v15
	s_nop 1
	v_mov_b32_dpp v15, v14 row_bcast:31 row_mask:0xf bank_mask:0xf
	v_add_f32_e32 v15, v14, v15
	v_mbcnt_lo_u32_b32 v14, -1, 0
	v_mbcnt_hi_u32_b32 v14, -1, v14
	v_lshl_or_b32 v14, v14, 2, v16
	ds_bpermute_b32 v15, v14, v15
	s_and_saveexec_b64 s[10:11], s[0:1]
	s_cbranch_execz .LBB180_5
; %bb.4:
	v_cvt_f32_u32_e32 v16, s7
	v_mov_b32_e32 v17, s13
	v_mov_b32_e32 v18, s12
	v_cndmask_b32_e32 v17, v17, v18, vcc
	s_waitcnt lgkmcnt(0)
	v_div_scale_f32 v19, s[20:21], v16, v16, v15
	v_rcp_f32_e32 v20, v19
	v_div_scale_f32 v18, vcc, v15, v16, v15
	s_mov_b32 s7, 0x800000
	v_fma_f32 v21, -v19, v20, 1.0
	v_fmac_f32_e32 v20, v21, v20
	v_mul_f32_e32 v21, v18, v20
	v_fma_f32 v22, -v19, v21, v18
	v_fmac_f32_e32 v21, v22, v20
	v_fma_f32 v18, -v19, v21, v18
	v_div_fmas_f32 v18, v18, v20, v21
	v_div_fixup_f32 v15, v18, v16, v15
	v_add_f32_e32 v15, v17, v15
	v_mul_f32_e32 v16, 0x4b800000, v15
	v_cmp_gt_f32_e32 vcc, s7, v15
	v_cndmask_b32_e32 v15, v15, v16, vcc
	v_rsq_f32_e32 v15, v15
	s_waitcnt vmcnt(0)
	v_cvt_f32_u32_sdwa v19, v2 dst_sel:DWORD dst_unused:UNUSED_PAD src0_sel:WORD_1
	v_cvt_f32_u32_sdwa v18, v2 dst_sel:DWORD dst_unused:UNUSED_PAD src0_sel:WORD_0
	v_cvt_f32_u32_sdwa v21, v3 dst_sel:DWORD dst_unused:UNUSED_PAD src0_sel:WORD_1
	v_mul_f32_e32 v16, 0x45800000, v15
	v_cndmask_b32_e32 v16, v15, v16, vcc
	v_mov_b32_e32 v17, v16
	;;#ASMSTART
	v_pk_mul_f32 v[10:11], v[10:11], v[16:17]
	;;#ASMEND
	;;#ASMSTART
	v_pk_mul_f32 v[12:13], v[12:13], v[16:17]
	;;#ASMEND
	;; [unrolled: 3-line block ×3, first 2 shown]
	v_cvt_f32_u32_sdwa v20, v3 dst_sel:DWORD dst_unused:UNUSED_PAD src0_sel:WORD_0
	;;#ASMSTART
	v_pk_mul_f32 v[2:3], v[6:7], v[16:17]
	;;#ASMEND
	v_cvt_f32_u32_sdwa v17, v4 dst_sel:DWORD dst_unused:UNUSED_PAD src0_sel:WORD_1
	v_cvt_f32_u32_sdwa v16, v4 dst_sel:DWORD dst_unused:UNUSED_PAD src0_sel:WORD_0
	v_pk_add_f32 v[6:7], v[18:19], 1.0 op_sel_hi:[1,0]
	v_cvt_f32_u32_sdwa v19, v5 dst_sel:DWORD dst_unused:UNUSED_PAD src0_sel:WORD_1
	v_cvt_f32_u32_sdwa v18, v5 dst_sel:DWORD dst_unused:UNUSED_PAD src0_sel:WORD_0
	;;#ASMSTART
	v_pk_mul_f32 v[10:11], v[10:11], v[6:7]
	;;#ASMEND
	v_pk_add_f32 v[6:7], v[20:21], 1.0 op_sel_hi:[1,0]
	v_pk_add_f32 v[4:5], v[16:17], 1.0 op_sel_hi:[1,0]
	;;#ASMSTART
	v_pk_mul_f32 v[12:13], v[12:13], v[6:7]
	;;#ASMEND
	;;#ASMSTART
	v_pk_mul_f32 v[8:9], v[8:9], v[4:5]
	;;#ASMEND
	v_pk_add_f32 v[4:5], v[18:19], 1.0 op_sel_hi:[1,0]
	;;#ASMSTART
	v_pk_mul_f32 v[6:7], v[2:3], v[4:5]
	;;#ASMEND
.LBB180_5:
	s_or_b64 exec, exec, s[10:11]
	s_load_dword s7, s[4:5], 0x80
	s_mov_b64 s[10:11], -1
	s_and_b64 vcc, exec, s[2:3]
	s_cbranch_vccnz .LBB180_9
; %bb.6:
	s_andn2_b64 vcc, exec, s[10:11]
	s_cbranch_vccz .LBB180_12
.LBB180_7:
	s_cmp_lt_i32 s16, 1
	s_cbranch_scc0 .LBB180_21
.LBB180_8:
	s_endpgm
.LBB180_9:
	s_and_saveexec_b64 s[2:3], s[0:1]
	s_cbranch_execz .LBB180_11
; %bb.10:
	s_waitcnt lgkmcnt(0)
	s_mul_hi_i32 s11, s7, s6
	s_mul_i32 s10, s7, s6
	s_lshl_b64 s[10:11], s[10:11], 1
	s_add_u32 s20, s28, s10
	s_addc_u32 s10, s29, s11
	s_and_b32 s21, s10, 0xffff
	s_mov_b32 s10, 0x7060302
	s_mov_b32 s23, 0x20000
	s_waitcnt vmcnt(0)
	v_perm_b32 v2, v11, v10, s10
	v_perm_b32 v3, v13, v12, s10
	;; [unrolled: 1-line block ×4, first 2 shown]
	v_lshlrev_b32_e32 v15, 4, v0
	buffer_store_dwordx4 v[2:5], v15, s[20:23], 0 offen
	;;#ASMSTART
	s_nop 0
	;;#ASMEND
.LBB180_11:
	s_or_b64 exec, exec, s[2:3]
	s_cbranch_execnz .LBB180_7
.LBB180_12:
	s_load_dwordx4 s[24:27], s[4:5], 0x70
	s_waitcnt vmcnt(0)
	v_mov_b32_e32 v2, 0
	s_and_saveexec_b64 s[2:3], s[0:1]
	s_cbranch_execz .LBB180_14
; %bb.13:
	s_load_dwordx2 s[10:11], s[4:5], 0x10
	s_waitcnt lgkmcnt(0)
	s_mul_hi_i32 s21, s27, s6
	s_mul_i32 s20, s27, s6
	s_lshl_b64 s[20:21], s[20:21], 1
	s_mov_b32 s23, 0x20000
	s_add_u32 s20, s10, s20
	s_addc_u32 s10, s11, s21
	s_and_b32 s21, s10, 0xffff
	s_mov_b32 s10, 0x7060302
	v_perm_b32 v2, v11, v10, s10
	v_perm_b32 v3, v13, v12, s10
	;; [unrolled: 1-line block ×4, first 2 shown]
	v_lshlrev_b32_e32 v15, 4, v0
	buffer_store_dwordx4 v[2:5], v15, s[20:23], 0 offen
	;;#ASMSTART
	s_nop 0
	;;#ASMEND
	s_nop 0
	v_mov_b32_e32 v2, 0x2edbe6ff
.LBB180_14:
	s_or_b64 exec, exec, s[2:3]
	s_and_saveexec_b64 s[2:3], s[0:1]
	s_cbranch_execz .LBB180_16
; %bb.15:
	v_and_b32_e32 v3, 0x7fffffff, v10
	v_and_b32_e32 v4, 0x7fffffff, v11
	;;#ASMSTART
	v_max3_f32 v2, v2, v3, v4

	;;#ASMEND
	v_and_b32_e32 v3, 0x7fffffff, v12
	v_and_b32_e32 v4, 0x7fffffff, v13
	;;#ASMSTART
	v_max3_f32 v2, v2, v3, v4

	;;#ASMEND
	;; [unrolled: 6-line block ×4, first 2 shown]
.LBB180_16:
	s_or_b64 exec, exec, s[2:3]
	;;#ASMSTART
	v_max_f32 v3, v2, v2 quad_perm:[1,0,3,2] row_mask:0xf bank_mask:0xf bound_ctrl:1
	;;#ASMEND
	;;#ASMSTART
	v_max_f32 v4, v3, v3 quad_perm:[2,3,0,1] row_mask:0xf bank_mask:0xf bound_ctrl:1
	;;#ASMEND
	v_and_b32_e32 v3, 7, v0
	v_cmp_eq_u32_e32 vcc, 0, v3
	v_cmp_gt_i32_e64 s[2:3], s15, v1
	s_and_b64 s[10:11], vcc, s[2:3]
	;;#ASMSTART
	v_max_f32 v2, v4, v4 row_half_mirror row_mask:0xf bank_mask:0xf bound_ctrl:1
	;;#ASMEND
	s_and_saveexec_b64 s[2:3], s[10:11]
	s_cbranch_execz .LBB180_18
; %bb.17:
	s_load_dwordx2 s[10:11], s[4:5], 0x8
	v_mul_f32_e32 v2, 0x3e2aaaab, v2
	v_lshrrev_b32_e32 v3, 23, v2
	v_and_b32_e32 v4, 0x7f800000, v2
	v_and_b32_e32 v2, 0x7fffff, v2
	v_cmp_ne_u32_e32 vcc, 0, v2
	s_waitcnt lgkmcnt(0)
	s_mul_i32 s17, s25, s6
	s_mov_b32 s12, 0x7f800000
	v_addc_co_u32_e32 v2, vcc, 0, v3, vcc
	s_mul_hi_i32 s14, s25, s6
	s_add_u32 s10, s10, s17
	v_cmp_ne_u32_e32 vcc, s12, v4
	s_addc_u32 s11, s11, s14
	v_lshrrev_b32_e32 v5, 3, v0
	v_cndmask_b32_e32 v4, -1, v2, vcc
	v_pk_mov_b32 v[2:3], s[10:11], s[10:11] op_sel:[0,1]
	v_mad_i64_i32 v[2:3], s[10:11], s26, v5, v[2:3]
	global_store_byte v[2:3], v4, off
.LBB180_18:
	s_or_b64 exec, exec, s[2:3]
	s_and_saveexec_b64 s[2:3], s[0:1]
	s_cbranch_execz .LBB180_20
; %bb.19:
	s_load_dwordx2 s[0:1], s[4:5], 0x0
	s_waitcnt lgkmcnt(0)
	s_mul_i32 s11, s24, s6
	s_mul_hi_i32 s10, s24, s6
	v_lshlrev_b32_e32 v2, 2, v0
	s_mov_b32 s23, 0x20000
	s_add_u32 s20, s0, s11
	s_addc_u32 s0, s1, s10
	s_lshr_b32 s1, s15, 31
	s_add_i32 s1, s15, s1
	s_ashr_i32 s1, s1, 1
	s_add_i32 s1, s1, 3
	s_ashr_i32 s10, s1, 31
	s_lshr_b32 s10, s10, 30
	s_add_i32 s1, s1, s10
	s_and_b32 s22, s1, -4
	s_and_b32 s21, s0, 0xffff
	v_mov_b32_e32 v3, 0
	buffer_store_dword v3, v2, s[20:23], 0 offen
	;;#ASMSTART
	s_nop 0
	;;#ASMEND
.LBB180_20:
	s_or_b64 exec, exec, s[2:3]
	s_cmp_lt_i32 s16, 1
	s_cbranch_scc1 .LBB180_8
.LBB180_21:
	s_load_dword s0, s[4:5], 0x94
	s_waitcnt lgkmcnt(0)
	s_cmp_lg_u32 s0, 1
	s_cbranch_scc1 .LBB180_8
; %bb.22:
	s_lshl_b32 s0, s16, 1
	s_add_i32 s0, s0, 2
	v_cmp_gt_u32_e32 vcc, s16, v1
	s_and_b32 s10, s0, -4
	s_waitcnt vmcnt(0)
	v_mov_b32_e32 v4, 0
	v_lshlrev_b32_e32 v12, 4, v0
	v_mov_b32_e32 v5, 0
	v_mov_b32_e32 v6, 0
	;; [unrolled: 1-line block ×7, first 2 shown]
	s_barrier
	s_and_saveexec_b64 s[0:1], vcc
	s_cbranch_execz .LBB180_24
; %bb.23:
	s_mul_hi_i32 s3, s18, s6
	s_mul_i32 s2, s18, s6
	s_and_b32 s9, s9, 0xffff
	s_lshl_b64 s[2:3], s[2:3], 1
	s_add_u32 s20, s30, s2
	s_mov_b32 s11, 0x20000
	s_addc_u32 s2, s31, s3
	s_and_b32 s21, s2, 0xffff
	s_mov_b32 s22, s10
	s_mov_b32 s23, s11
	buffer_load_dwordx4 v[4:7], v12, s[20:23], 0 offen glc slc
	buffer_load_dwordx4 v[0:3], v12, s[8:11], 0 offen
.LBB180_24:
	s_or_b64 exec, exec, s[0:1]
	s_waitcnt vmcnt(1)
	v_cvt_f32_u32_sdwa v11, v4 dst_sel:DWORD dst_unused:UNUSED_PAD src0_sel:WORD_1
	v_cvt_f32_u32_sdwa v10, v4 dst_sel:DWORD dst_unused:UNUSED_PAD src0_sel:WORD_0
	v_cvt_f32_u32_sdwa v4, v7 dst_sel:DWORD dst_unused:UNUSED_PAD src0_sel:WORD_1
	v_cvt_f32_u32_sdwa v7, v7 dst_sel:DWORD dst_unused:UNUSED_PAD src0_sel:WORD_0
	;; [unrolled: 2-line block ×4, first 2 shown]
	v_cndmask_b32_e32 v11, 0, v11, vcc
	v_cndmask_b32_e32 v5, 0, v4, vcc
	v_cndmask_b32_e32 v4, 0, v7, vcc
	v_cndmask_b32_e32 v7, 0, v13, vcc
	v_cndmask_b32_e32 v10, 0, v10, vcc
	v_mul_f32_e32 v13, v11, v11
	v_cndmask_b32_e32 v8, 0, v8, vcc
	v_fmac_f32_e32 v13, v10, v10
	v_cndmask_b32_e32 v9, 0, v9, vcc
	v_fmac_f32_e32 v13, v8, v8
	;; [unrolled: 2-line block ×3, first 2 shown]
	v_fmac_f32_e32 v13, v6, v6
	v_fmac_f32_e32 v13, v7, v7
	;; [unrolled: 1-line block ×4, first 2 shown]
	s_nop 1
	v_mov_b32_dpp v15, v13 quad_perm:[1,0,3,2] row_mask:0xf bank_mask:0xf
	v_add_f32_e32 v13, v13, v15
	s_nop 1
	v_mov_b32_dpp v15, v13 quad_perm:[2,3,0,1] row_mask:0xf bank_mask:0xf
	v_add_f32_e32 v13, v13, v15
	s_nop 1
	v_mov_b32_dpp v15, v13 row_half_mirror row_mask:0xf bank_mask:0xf
	v_add_f32_e32 v13, v13, v15
	s_nop 1
	v_mov_b32_dpp v15, v13 row_mirror row_mask:0xf bank_mask:0xf
	v_add_f32_e32 v13, v13, v15
	s_nop 1
	v_mov_b32_dpp v15, v13 row_bcast:15 row_mask:0xf bank_mask:0xf
	v_add_f32_e32 v13, v13, v15
	s_nop 1
	v_mov_b32_dpp v15, v13 row_bcast:31 row_mask:0xf bank_mask:0xf
	v_add_f32_e32 v13, v13, v15
	ds_bpermute_b32 v13, v14, v13
	s_and_saveexec_b64 s[0:1], vcc
	s_cbranch_execz .LBB180_8
; %bb.25:
	v_cvt_f32_u32_e32 v14, s16
	s_mov_b32 s11, 0x20000
	s_waitcnt lgkmcnt(0)
	v_div_scale_f32 v15, s[0:1], v14, v14, v13
	v_rcp_f32_e32 v16, v15
	v_div_scale_f32 v17, vcc, v13, v14, v13
	s_mov_b32 s0, 0x800000
	v_fma_f32 v18, -v15, v16, 1.0
	v_fmac_f32_e32 v16, v18, v16
	v_mul_f32_e32 v18, v17, v16
	v_fma_f32 v19, -v15, v18, v17
	v_fmac_f32_e32 v18, v19, v16
	v_fma_f32 v15, -v15, v18, v17
	v_div_fmas_f32 v15, v15, v16, v18
	v_div_fixup_f32 v13, v15, v14, v13
	v_add_f32_e32 v13, s13, v13
	v_mul_f32_e32 v14, 0x4b800000, v13
	v_cmp_gt_f32_e32 vcc, s0, v13
	v_cndmask_b32_e32 v13, v13, v14, vcc
	v_rsq_f32_e32 v13, v13
	s_waitcnt vmcnt(0)
	v_cvt_f32_u32_sdwa v15, v0 dst_sel:DWORD dst_unused:UNUSED_PAD src0_sel:WORD_1
	v_cvt_f32_u32_sdwa v19, v1 dst_sel:DWORD dst_unused:UNUSED_PAD src0_sel:WORD_1
	v_cvt_f32_u32_sdwa v18, v1 dst_sel:DWORD dst_unused:UNUSED_PAD src0_sel:WORD_0
	v_mul_f32_e32 v14, 0x45800000, v13
	v_cndmask_b32_e32 v16, v13, v14, vcc
	v_cvt_f32_u32_sdwa v14, v0 dst_sel:DWORD dst_unused:UNUSED_PAD src0_sel:WORD_0
	v_mov_b32_e32 v17, v16
	;;#ASMSTART
	v_pk_mul_f32 v[10:11], v[10:11], v[16:17]
	;;#ASMEND
	;;#ASMSTART
	v_pk_mul_f32 v[8:9], v[8:9], v[16:17]
	;;#ASMEND
	;;#ASMSTART
	v_pk_mul_f32 v[6:7], v[6:7], v[16:17]
	;;#ASMEND
	;;#ASMSTART
	v_pk_mul_f32 v[0:1], v[4:5], v[16:17]
	;;#ASMEND
	v_pk_add_f32 v[4:5], v[14:15], 1.0 op_sel_hi:[1,0]
	v_cvt_f32_u32_sdwa v15, v2 dst_sel:DWORD dst_unused:UNUSED_PAD src0_sel:WORD_1
	v_cvt_f32_u32_sdwa v14, v2 dst_sel:DWORD dst_unused:UNUSED_PAD src0_sel:WORD_0
	v_cvt_f32_u32_sdwa v17, v3 dst_sel:DWORD dst_unused:UNUSED_PAD src0_sel:WORD_1
	v_cvt_f32_u32_sdwa v16, v3 dst_sel:DWORD dst_unused:UNUSED_PAD src0_sel:WORD_0
	s_mul_hi_i32 s1, s7, s6
	s_mul_i32 s0, s7, s6
	s_lshl_b64 s[0:1], s[0:1], 1
	s_add_u32 s8, s28, s0
	;;#ASMSTART
	v_pk_mul_f32 v[4:5], v[10:11], v[4:5]
	;;#ASMEND
	v_pk_add_f32 v[10:11], v[18:19], 1.0 op_sel_hi:[1,0]
	;;#ASMSTART
	v_pk_mul_f32 v[2:3], v[8:9], v[10:11]
	;;#ASMEND
	v_pk_add_f32 v[8:9], v[14:15], 1.0 op_sel_hi:[1,0]
	s_addc_u32 s0, s29, s1
	;;#ASMSTART
	v_pk_mul_f32 v[6:7], v[6:7], v[8:9]
	;;#ASMEND
	v_pk_add_f32 v[8:9], v[16:17], 1.0 op_sel_hi:[1,0]
	s_and_b32 s9, s0, 0xffff
	s_mov_b32 s0, 0x7060302
	;;#ASMSTART
	v_pk_mul_f32 v[8:9], v[0:1], v[8:9]
	;;#ASMEND
	v_perm_b32 v0, v5, v4, s0
	v_perm_b32 v1, v3, v2, s0
	;; [unrolled: 1-line block ×4, first 2 shown]
	buffer_store_dwordx4 v[0:3], v12, s[8:11], 0 offen
	;;#ASMSTART
	s_nop 0
	;;#ASMEND
	s_endpgm
	.section	.rodata,"a",@progbits
	.p2align	6, 0x0
	.amdhsa_kernel _ZN5aiter35fused_qk_rmsnorm_group_quant_kernelItN4opus5fp4_tELi64ELi8ELi8ELb0ELb1ELb1ELb0ELb0ELb0EEEvPT0_PvPT_S7_S7_PKS6_S9_S9_S9_S9_ffiiiiiiiiiiiii
		.amdhsa_group_segment_fixed_size 0
		.amdhsa_private_segment_fixed_size 0
		.amdhsa_kernarg_size 400
		.amdhsa_user_sgpr_count 6
		.amdhsa_user_sgpr_private_segment_buffer 1
		.amdhsa_user_sgpr_dispatch_ptr 0
		.amdhsa_user_sgpr_queue_ptr 0
		.amdhsa_user_sgpr_kernarg_segment_ptr 1
		.amdhsa_user_sgpr_dispatch_id 0
		.amdhsa_user_sgpr_flat_scratch_init 0
		.amdhsa_user_sgpr_kernarg_preload_length 0
		.amdhsa_user_sgpr_kernarg_preload_offset 0
		.amdhsa_user_sgpr_private_segment_size 0
		.amdhsa_uses_dynamic_stack 0
		.amdhsa_system_sgpr_private_segment_wavefront_offset 0
		.amdhsa_system_sgpr_workgroup_id_x 1
		.amdhsa_system_sgpr_workgroup_id_y 1
		.amdhsa_system_sgpr_workgroup_id_z 0
		.amdhsa_system_sgpr_workgroup_info 0
		.amdhsa_system_vgpr_workitem_id 0
		.amdhsa_next_free_vgpr 23
		.amdhsa_next_free_sgpr 32
		.amdhsa_accum_offset 24
		.amdhsa_reserve_vcc 1
		.amdhsa_reserve_flat_scratch 0
		.amdhsa_float_round_mode_32 0
		.amdhsa_float_round_mode_16_64 0
		.amdhsa_float_denorm_mode_32 3
		.amdhsa_float_denorm_mode_16_64 3
		.amdhsa_dx10_clamp 1
		.amdhsa_ieee_mode 1
		.amdhsa_fp16_overflow 0
		.amdhsa_tg_split 0
		.amdhsa_exception_fp_ieee_invalid_op 0
		.amdhsa_exception_fp_denorm_src 0
		.amdhsa_exception_fp_ieee_div_zero 0
		.amdhsa_exception_fp_ieee_overflow 0
		.amdhsa_exception_fp_ieee_underflow 0
		.amdhsa_exception_fp_ieee_inexact 0
		.amdhsa_exception_int_div_zero 0
	.end_amdhsa_kernel
	.section	.text._ZN5aiter35fused_qk_rmsnorm_group_quant_kernelItN4opus5fp4_tELi64ELi8ELi8ELb0ELb1ELb1ELb0ELb0ELb0EEEvPT0_PvPT_S7_S7_PKS6_S9_S9_S9_S9_ffiiiiiiiiiiiii,"axG",@progbits,_ZN5aiter35fused_qk_rmsnorm_group_quant_kernelItN4opus5fp4_tELi64ELi8ELi8ELb0ELb1ELb1ELb0ELb0ELb0EEEvPT0_PvPT_S7_S7_PKS6_S9_S9_S9_S9_ffiiiiiiiiiiiii,comdat
.Lfunc_end180:
	.size	_ZN5aiter35fused_qk_rmsnorm_group_quant_kernelItN4opus5fp4_tELi64ELi8ELi8ELb0ELb1ELb1ELb0ELb0ELb0EEEvPT0_PvPT_S7_S7_PKS6_S9_S9_S9_S9_ffiiiiiiiiiiiii, .Lfunc_end180-_ZN5aiter35fused_qk_rmsnorm_group_quant_kernelItN4opus5fp4_tELi64ELi8ELi8ELb0ELb1ELb1ELb0ELb0ELb0EEEvPT0_PvPT_S7_S7_PKS6_S9_S9_S9_S9_ffiiiiiiiiiiiii
                                        ; -- End function
	.section	.AMDGPU.csdata,"",@progbits
; Kernel info:
; codeLenInByte = 2376
; NumSgprs: 36
; NumVgprs: 23
; NumAgprs: 0
; TotalNumVgprs: 23
; ScratchSize: 0
; MemoryBound: 0
; FloatMode: 240
; IeeeMode: 1
; LDSByteSize: 0 bytes/workgroup (compile time only)
; SGPRBlocks: 4
; VGPRBlocks: 2
; NumSGPRsForWavesPerEU: 36
; NumVGPRsForWavesPerEU: 23
; AccumOffset: 24
; Occupancy: 8
; WaveLimiterHint : 0
; COMPUTE_PGM_RSRC2:SCRATCH_EN: 0
; COMPUTE_PGM_RSRC2:USER_SGPR: 6
; COMPUTE_PGM_RSRC2:TRAP_HANDLER: 0
; COMPUTE_PGM_RSRC2:TGID_X_EN: 1
; COMPUTE_PGM_RSRC2:TGID_Y_EN: 1
; COMPUTE_PGM_RSRC2:TGID_Z_EN: 0
; COMPUTE_PGM_RSRC2:TIDIG_COMP_CNT: 0
; COMPUTE_PGM_RSRC3_GFX90A:ACCUM_OFFSET: 5
; COMPUTE_PGM_RSRC3_GFX90A:TG_SPLIT: 0
	.section	.text._ZN5aiter35fused_qk_rmsnorm_group_quant_kernelIDF16_DB8_Li64ELi8ELi8ELb0ELb1ELb0ELb0ELb0ELb0EEEvPT0_PvPT_S6_S6_PKS5_S8_S8_S8_S8_ffiiiiiiiiiiiii,"axG",@progbits,_ZN5aiter35fused_qk_rmsnorm_group_quant_kernelIDF16_DB8_Li64ELi8ELi8ELb0ELb1ELb0ELb0ELb0ELb0EEEvPT0_PvPT_S6_S6_PKS5_S8_S8_S8_S8_ffiiiiiiiiiiiii,comdat
	.protected	_ZN5aiter35fused_qk_rmsnorm_group_quant_kernelIDF16_DB8_Li64ELi8ELi8ELb0ELb1ELb0ELb0ELb0ELb0EEEvPT0_PvPT_S6_S6_PKS5_S8_S8_S8_S8_ffiiiiiiiiiiiii ; -- Begin function _ZN5aiter35fused_qk_rmsnorm_group_quant_kernelIDF16_DB8_Li64ELi8ELi8ELb0ELb1ELb0ELb0ELb0ELb0EEEvPT0_PvPT_S6_S6_PKS5_S8_S8_S8_S8_ffiiiiiiiiiiiii
	.globl	_ZN5aiter35fused_qk_rmsnorm_group_quant_kernelIDF16_DB8_Li64ELi8ELi8ELb0ELb1ELb0ELb0ELb0ELb0EEEvPT0_PvPT_S6_S6_PKS5_S8_S8_S8_S8_ffiiiiiiiiiiiii
	.p2align	8
	.type	_ZN5aiter35fused_qk_rmsnorm_group_quant_kernelIDF16_DB8_Li64ELi8ELi8ELb0ELb1ELb0ELb0ELb0ELb0EEEvPT0_PvPT_S6_S6_PKS5_S8_S8_S8_S8_ffiiiiiiiiiiiii,@function
_ZN5aiter35fused_qk_rmsnorm_group_quant_kernelIDF16_DB8_Li64ELi8ELi8ELb0ELb1ELb0ELb0ELb0ELb0EEEvPT0_PvPT_S6_S6_PKS5_S8_S8_S8_S8_ffiiiiiiiiiiiii: ; @_ZN5aiter35fused_qk_rmsnorm_group_quant_kernelIDF16_DB8_Li64ELi8ELi8ELb0ELb1ELb0ELb0ELb0ELb0EEEvPT0_PvPT_S6_S6_PKS5_S8_S8_S8_S8_ffiiiiiiiiiiiii
; %bb.0:
	s_load_dwordx4 s[12:15], s[4:5], 0x50
	s_waitcnt lgkmcnt(0)
	s_cmp_ge_i32 s6, s14
	s_cbranch_scc1 .LBB181_10
; %bb.1:
	s_load_dwordx2 s[8:9], s[4:5], 0x48
	s_load_dwordx2 s[30:31], s[4:5], 0x30
	s_load_dwordx4 s[16:19], s[4:5], 0x60
	s_cmp_lg_u32 s7, 0
	s_cselect_b64 s[2:3], -1, 0
	s_cmp_eq_u32 s7, 0
	s_cselect_b64 vcc, -1, 0
	s_and_b64 s[0:1], vcc, exec
	s_waitcnt lgkmcnt(0)
	s_cselect_b32 s7, s15, s16
	s_add_i32 s0, s7, 1
	s_lshr_b32 s1, s0, 31
	s_add_i32 s0, s0, s1
	s_lshl_b32 s0, s0, 1
	v_lshlrev_b32_e32 v1, 3, v0
	s_and_b32 s22, s0, -4
	v_cmp_gt_i32_e64 s[0:1], s7, v1
	v_mov_b32_e32 v10, 0
	v_mov_b32_e32 v2, 0
	;; [unrolled: 1-line block ×9, first 2 shown]
	s_and_saveexec_b64 s[10:11], s[0:1]
	s_cbranch_execz .LBB181_3
; %bb.2:
	s_load_dwordx2 s[20:21], s[4:5], 0x28
	s_load_dwordx2 s[26:27], s[4:5], 0x40
	s_and_b64 s[24:25], vcc, exec
	s_cselect_b32 s14, s17, s18
	s_mov_b32 s23, 0x20000
	s_waitcnt lgkmcnt(0)
	s_cselect_b32 s17, s21, s31
	s_cselect_b32 s19, s20, s30
	s_mul_hi_i32 s21, s14, s6
	s_mul_i32 s20, s14, s6
	s_lshl_b64 s[20:21], s[20:21], 1
	s_add_u32 s24, s19, s20
	s_addc_u32 s14, s17, s21
	s_and_b64 s[20:21], vcc, exec
	s_cselect_b32 s20, s26, s8
	s_cselect_b32 s17, s27, s9
	v_lshlrev_b32_e32 v11, 4, v0
	s_and_b32 s25, s14, 0xffff
	s_mov_b32 s26, s22
	s_mov_b32 s27, s23
	s_and_b32 s21, s17, 0xffff
	buffer_load_dwordx4 v[6:9], v11, s[24:27], 0 offen glc slc
	buffer_load_dwordx4 v[2:5], v11, s[20:23], 0 offen
.LBB181_3:
	s_or_b64 exec, exec, s[10:11]
	v_mov_b32_e32 v11, 0
	v_mov_b32_e32 v16, 0
	;; [unrolled: 1-line block ×7, first 2 shown]
	s_and_saveexec_b64 s[10:11], s[0:1]
	s_cbranch_execz .LBB181_5
; %bb.4:
	s_waitcnt vmcnt(1)
	v_cvt_f32_f16_sdwa v11, v6 dst_sel:DWORD dst_unused:UNUSED_PAD src0_sel:WORD_1
	v_cvt_f32_f16_e32 v10, v6
	v_cvt_f32_f16_sdwa v17, v7 dst_sel:DWORD dst_unused:UNUSED_PAD src0_sel:WORD_1
	v_cvt_f32_f16_e32 v16, v7
	;; [unrolled: 2-line block ×4, first 2 shown]
.LBB181_5:
	s_or_b64 exec, exec, s[10:11]
	s_waitcnt vmcnt(1)
	v_mul_f32_e32 v6, v11, v11
	v_fmac_f32_e32 v6, v10, v10
	v_fmac_f32_e32 v6, v16, v16
	;; [unrolled: 1-line block ×7, first 2 shown]
	v_bfrev_b32_e32 v8, 0.5
	s_load_dwordx2 s[28:29], s[4:5], 0x18
	v_mov_b32_dpp v7, v6 quad_perm:[1,0,3,2] row_mask:0xf bank_mask:0xf
	v_add_f32_e32 v6, v6, v7
	s_nop 1
	v_mov_b32_dpp v7, v6 quad_perm:[2,3,0,1] row_mask:0xf bank_mask:0xf
	v_add_f32_e32 v6, v6, v7
	s_nop 1
	v_mov_b32_dpp v7, v6 row_half_mirror row_mask:0xf bank_mask:0xf
	v_add_f32_e32 v6, v6, v7
	s_nop 1
	v_mov_b32_dpp v7, v6 row_mirror row_mask:0xf bank_mask:0xf
	v_add_f32_e32 v6, v6, v7
	s_nop 1
	v_mov_b32_dpp v7, v6 row_bcast:15 row_mask:0xf bank_mask:0xf
	v_add_f32_e32 v6, v6, v7
	s_nop 1
	v_mov_b32_dpp v7, v6 row_bcast:31 row_mask:0xf bank_mask:0xf
	v_add_f32_e32 v6, v6, v7
	v_mbcnt_lo_u32_b32 v7, -1, 0
	v_mbcnt_hi_u32_b32 v7, -1, v7
	v_lshl_or_b32 v18, v7, 2, v8
	ds_bpermute_b32 v6, v18, v6
	s_and_saveexec_b64 s[10:11], s[0:1]
	s_cbranch_execz .LBB181_7
; %bb.6:
	v_cvt_f32_u32_e32 v7, s7
	v_mov_b32_e32 v8, s13
	v_mov_b32_e32 v9, s12
	v_cndmask_b32_e32 v8, v8, v9, vcc
	s_waitcnt lgkmcnt(0)
	v_div_scale_f32 v19, s[20:21], v7, v7, v6
	v_rcp_f32_e32 v20, v19
	v_div_scale_f32 v9, vcc, v6, v7, v6
	s_mov_b32 s7, 0x800000
	v_fma_f32 v21, -v19, v20, 1.0
	v_fmac_f32_e32 v20, v21, v20
	v_mul_f32_e32 v21, v9, v20
	v_fma_f32 v22, -v19, v21, v9
	v_fmac_f32_e32 v21, v22, v20
	v_fma_f32 v9, -v19, v21, v9
	v_div_fmas_f32 v9, v9, v20, v21
	v_div_fixup_f32 v6, v9, v7, v6
	v_add_f32_e32 v6, v8, v6
	v_mul_f32_e32 v7, 0x4b800000, v6
	v_cmp_gt_f32_e32 vcc, s7, v6
	v_cndmask_b32_e32 v6, v6, v7, vcc
	v_rsq_f32_e32 v6, v6
	s_waitcnt vmcnt(0)
	v_cvt_f32_f16_sdwa v21, v5 dst_sel:DWORD dst_unused:UNUSED_PAD src0_sel:WORD_1
	v_cvt_f32_f16_e32 v20, v5
	v_mul_f32_e32 v7, 0x45800000, v6
	v_cndmask_b32_e32 v6, v6, v7, vcc
	v_mov_b32_e32 v7, v6
	;;#ASMSTART
	v_pk_mul_f32 v[8:9], v[10:11], v[6:7]
	;;#ASMEND
	;;#ASMSTART
	v_pk_mul_f32 v[16:17], v[16:17], v[6:7]
	;;#ASMEND
	;; [unrolled: 3-line block ×4, first 2 shown]
	v_cvt_f32_f16_sdwa v11, v2 dst_sel:DWORD dst_unused:UNUSED_PAD src0_sel:WORD_1
	v_cvt_f32_f16_e32 v10, v2
	v_cvt_f32_f16_sdwa v13, v3 dst_sel:DWORD dst_unused:UNUSED_PAD src0_sel:WORD_1
	v_cvt_f32_f16_e32 v12, v3
	v_cvt_f32_f16_sdwa v3, v4 dst_sel:DWORD dst_unused:UNUSED_PAD src0_sel:WORD_1
	v_cvt_f32_f16_e32 v2, v4
	;;#ASMSTART
	v_pk_mul_f32 v[10:11], v[8:9], v[10:11]
	;;#ASMEND
	;;#ASMSTART
	v_pk_mul_f32 v[16:17], v[16:17], v[12:13]
	;;#ASMEND
	;; [unrolled: 3-line block ×4, first 2 shown]
.LBB181_7:
	s_or_b64 exec, exec, s[10:11]
	s_load_dword s7, s[4:5], 0x80
	s_mov_b64 s[10:11], -1
	s_and_b64 vcc, exec, s[2:3]
	s_cbranch_vccnz .LBB181_11
; %bb.8:
	s_andn2_b64 vcc, exec, s[10:11]
	s_cbranch_vccz .LBB181_14
.LBB181_9:
	s_cmp_lt_i32 s16, 1
	s_cbranch_scc0 .LBB181_23
.LBB181_10:
	s_endpgm
.LBB181_11:
	s_and_saveexec_b64 s[2:3], s[0:1]
	s_cbranch_execz .LBB181_13
; %bb.12:
	s_waitcnt lgkmcnt(0)
	s_mul_hi_i32 s11, s7, s6
	s_mul_i32 s10, s7, s6
	s_waitcnt vmcnt(0)
	v_cvt_f16_f32_e32 v2, v10
	v_cvt_f16_f32_e32 v3, v16
	;; [unrolled: 1-line block ×8, first 2 shown]
	s_lshl_b64 s[10:11], s[10:11], 1
	s_add_u32 s20, s28, s10
	s_addc_u32 s10, s29, s11
	s_and_b32 s21, s10, 0xffff
	s_mov_b32 s23, 0x20000
	v_pack_b32_f16 v5, v5, v6
	v_pack_b32_f16 v4, v4, v7
	;; [unrolled: 1-line block ×4, first 2 shown]
	v_lshlrev_b32_e32 v6, 4, v0
	buffer_store_dwordx4 v[2:5], v6, s[20:23], 0 offen
	;;#ASMSTART
	s_nop 0
	;;#ASMEND
.LBB181_13:
	s_or_b64 exec, exec, s[2:3]
	s_cbranch_execnz .LBB181_9
.LBB181_14:
	s_load_dwordx4 s[24:27], s[4:5], 0x70
	s_waitcnt vmcnt(0)
	v_mov_b32_e32 v2, 0
	s_and_saveexec_b64 s[2:3], s[0:1]
	s_cbranch_execz .LBB181_16
; %bb.15:
	s_load_dwordx2 s[10:11], s[4:5], 0x10
	s_waitcnt lgkmcnt(0)
	s_mul_hi_i32 s21, s27, s6
	s_mul_i32 s20, s27, s6
	v_cvt_f16_f32_e32 v2, v10
	v_cvt_f16_f32_e32 v3, v16
	;; [unrolled: 1-line block ×8, first 2 shown]
	s_lshl_b64 s[20:21], s[20:21], 1
	s_add_u32 s20, s10, s20
	s_addc_u32 s10, s11, s21
	s_mov_b32 s23, 0x20000
	s_and_b32 s21, s10, 0xffff
	v_pack_b32_f16 v5, v5, v6
	v_pack_b32_f16 v4, v4, v7
	;; [unrolled: 1-line block ×4, first 2 shown]
	v_lshlrev_b32_e32 v6, 4, v0
	buffer_store_dwordx4 v[2:5], v6, s[20:23], 0 offen
	;;#ASMSTART
	s_nop 0
	;;#ASMEND
	s_nop 0
	v_mov_b32_e32 v2, 0x2edbe6ff
.LBB181_16:
	s_or_b64 exec, exec, s[2:3]
	s_and_saveexec_b64 s[2:3], s[0:1]
	s_cbranch_execz .LBB181_18
; %bb.17:
	v_and_b32_e32 v3, 0x7fffffff, v10
	v_and_b32_e32 v4, 0x7fffffff, v11
	;;#ASMSTART
	v_max3_f32 v2, v2, v3, v4

	;;#ASMEND
	v_and_b32_e32 v3, 0x7fffffff, v16
	v_and_b32_e32 v4, 0x7fffffff, v17
	;;#ASMSTART
	v_max3_f32 v2, v2, v3, v4

	;;#ASMEND
	;; [unrolled: 6-line block ×4, first 2 shown]
.LBB181_18:
	s_or_b64 exec, exec, s[2:3]
	;;#ASMSTART
	v_max_f32 v3, v2, v2 quad_perm:[1,0,3,2] row_mask:0xf bank_mask:0xf bound_ctrl:1
	;;#ASMEND
	;;#ASMSTART
	v_max_f32 v2, v3, v3 quad_perm:[2,3,0,1] row_mask:0xf bank_mask:0xf bound_ctrl:1
	;;#ASMEND
	;;#ASMSTART
	v_max_f32 v3, v2, v2 row_half_mirror row_mask:0xf bank_mask:0xf bound_ctrl:1
	;;#ASMEND
	v_mul_f32_e32 v2, 0x3b124925, v3
	v_and_b32_e32 v3, 7, v0
	v_cmp_eq_u32_e32 vcc, 0, v3
	v_cmp_gt_i32_e64 s[2:3], s15, v1
	s_and_b64 s[10:11], vcc, s[2:3]
	s_and_saveexec_b64 s[2:3], s[10:11]
	s_cbranch_execz .LBB181_20
; %bb.19:
	s_load_dwordx2 s[10:11], s[4:5], 0x8
	s_waitcnt lgkmcnt(0)
	s_mul_hi_i32 s21, s25, s6
	s_mul_i32 s20, s25, s6
	v_lshrrev_b32_e32 v3, 3, v0
	s_lshl_b64 s[20:21], s[20:21], 2
	v_mad_i64_i32 v[4:5], s[22:23], s26, v3, 0
	s_add_u32 s10, s10, s20
	s_addc_u32 s11, s11, s21
	v_lshlrev_b64 v[4:5], 2, v[4:5]
	v_mov_b32_e32 v3, s11
	v_add_co_u32_e32 v4, vcc, s10, v4
	v_addc_co_u32_e32 v5, vcc, v3, v5, vcc
	global_store_dword v[4:5], v2, off
.LBB181_20:
	s_or_b64 exec, exec, s[2:3]
	;;#ASMSTART
	v_rcp_f32 v2, v2
	;;#ASMEND
	s_and_saveexec_b64 s[10:11], s[0:1]
	s_cbranch_execz .LBB181_22
; %bb.21:
	v_mov_b32_e32 v3, v2
	;;#ASMSTART
	v_pk_mul_f32 v[4:5], v[10:11], v[2:3]
	;;#ASMEND
	s_load_dwordx2 s[0:1], s[4:5], 0x0
	v_mov_b32_e32 v8, 0xc3e00000
	v_mov_b32_e32 v9, 0x43e00000
	s_waitcnt lgkmcnt(0)
	;;#ASMSTART
	v_med3_f32 v4, v4, v8, v9
v_med3_f32 v5, v5, v8, v9
v_cvt_pk_fp8_f32 v6, v4, v5
	;;#ASMEND
	;;#ASMSTART
	v_pk_mul_f32 v[4:5], v[16:17], v[2:3]
	;;#ASMEND
	;;#ASMSTART
	v_med3_f32 v4, v4, v8, v9
v_med3_f32 v5, v5, v8, v9
v_cvt_pk_fp8_f32 v7, v4, v5
	;;#ASMEND
	s_mov_b32 s14, 0x5040100
	v_perm_b32 v5, v7, v6, s14
	s_movk_i32 s14, 0xff
	s_mul_i32 s3, s24, s6
	v_and_b32_e32 v4, 0xffffff00, v7
	v_and_b32_sdwa v6, v5, s14 dst_sel:DWORD dst_unused:UNUSED_PAD src0_sel:WORD_1 src1_sel:DWORD
	s_mul_hi_i32 s2, s24, s6
	s_mov_b32 s12, 0xffff
	s_add_u32 s0, s0, s3
	v_or_b32_sdwa v4, v6, v4 dst_sel:WORD_1 dst_unused:UNUSED_PAD src0_sel:DWORD src1_sel:DWORD
	s_addc_u32 s1, s1, s2
	s_add_i32 s2, s15, 3
	v_and_or_b32 v4, v5, s12, v4
	;;#ASMSTART
	v_pk_mul_f32 v[6:7], v[14:15], v[2:3]
	;;#ASMEND
	v_mov_b32_e32 v5, v6
	s_ashr_i32 s3, s2, 31
	;;#ASMSTART
	v_med3_f32 v5, v5, v8, v9
v_med3_f32 v7, v7, v8, v9
v_cvt_pk_fp8_f32 v6, v5, v7
	;;#ASMEND
	;;#ASMSTART
	v_pk_mul_f32 v[2:3], v[12:13], v[2:3]
	;;#ASMEND
	s_lshr_b32 s3, s3, 30
	;;#ASMSTART
	v_med3_f32 v2, v2, v8, v9
v_med3_f32 v3, v3, v8, v9
v_cvt_pk_fp8_f32 v5, v2, v3
	;;#ASMEND
	s_add_i32 s2, s2, s3
	v_lshlrev_b32_e32 v2, 16, v5
	s_and_b32 s2, s2, -4
	s_and_b32 s1, s1, 0xffff
	s_mov_b32 s3, 0x20000
	v_and_or_b32 v5, v6, s12, v2
	buffer_store_dwordx2 v[4:5], v1, s[0:3], 0 offen
	;;#ASMSTART
	s_nop 0
	;;#ASMEND
.LBB181_22:
	s_or_b64 exec, exec, s[10:11]
	s_cmp_lt_i32 s16, 1
	s_cbranch_scc1 .LBB181_10
.LBB181_23:
	s_load_dword s0, s[4:5], 0x94
	s_waitcnt lgkmcnt(0)
	s_cmp_lg_u32 s0, 1
	s_cbranch_scc1 .LBB181_10
; %bb.24:
	s_lshl_b32 s0, s16, 1
	s_add_i32 s0, s0, 2
	v_cmp_gt_u32_e32 vcc, s16, v1
	s_and_b32 s10, s0, -4
	v_mov_b32_e32 v8, 0
	v_lshlrev_b32_e32 v16, 4, v0
	s_waitcnt vmcnt(0)
	v_mov_b32_e32 v4, 0
	v_mov_b32_e32 v5, 0
	;; [unrolled: 1-line block ×8, first 2 shown]
	s_barrier
	s_and_saveexec_b64 s[0:1], vcc
	s_cbranch_execz .LBB181_26
; %bb.25:
	s_mul_hi_i32 s3, s18, s6
	s_mul_i32 s2, s18, s6
	s_and_b32 s9, s9, 0xffff
	s_lshl_b64 s[2:3], s[2:3], 1
	s_add_u32 s20, s30, s2
	s_mov_b32 s11, 0x20000
	s_addc_u32 s2, s31, s3
	s_and_b32 s21, s2, 0xffff
	s_mov_b32 s22, s10
	s_mov_b32 s23, s11
	buffer_load_dwordx4 v[4:7], v16, s[20:23], 0 offen glc slc
	buffer_load_dwordx4 v[0:3], v16, s[8:11], 0 offen
.LBB181_26:
	s_or_b64 exec, exec, s[0:1]
	v_mov_b32_e32 v9, 0
	v_mov_b32_e32 v14, 0
	;; [unrolled: 1-line block ×7, first 2 shown]
	s_and_saveexec_b64 s[0:1], vcc
	s_cbranch_execz .LBB181_28
; %bb.27:
	s_waitcnt vmcnt(1)
	v_cvt_f32_f16_sdwa v9, v4 dst_sel:DWORD dst_unused:UNUSED_PAD src0_sel:WORD_1
	v_cvt_f32_f16_e32 v8, v4
	v_cvt_f32_f16_sdwa v15, v5 dst_sel:DWORD dst_unused:UNUSED_PAD src0_sel:WORD_1
	v_cvt_f32_f16_e32 v14, v5
	;; [unrolled: 2-line block ×4, first 2 shown]
.LBB181_28:
	s_or_b64 exec, exec, s[0:1]
	s_waitcnt vmcnt(1)
	v_mul_f32_e32 v4, v9, v9
	v_fmac_f32_e32 v4, v8, v8
	v_fmac_f32_e32 v4, v14, v14
	;; [unrolled: 1-line block ×7, first 2 shown]
	s_nop 1
	v_mov_b32_dpp v5, v4 quad_perm:[1,0,3,2] row_mask:0xf bank_mask:0xf
	v_add_f32_e32 v4, v4, v5
	s_nop 1
	v_mov_b32_dpp v5, v4 quad_perm:[2,3,0,1] row_mask:0xf bank_mask:0xf
	v_add_f32_e32 v4, v4, v5
	s_nop 1
	v_mov_b32_dpp v5, v4 row_half_mirror row_mask:0xf bank_mask:0xf
	v_add_f32_e32 v4, v4, v5
	s_nop 1
	v_mov_b32_dpp v5, v4 row_mirror row_mask:0xf bank_mask:0xf
	v_add_f32_e32 v4, v4, v5
	s_nop 1
	v_mov_b32_dpp v5, v4 row_bcast:15 row_mask:0xf bank_mask:0xf
	v_add_f32_e32 v4, v4, v5
	s_nop 1
	v_mov_b32_dpp v5, v4 row_bcast:31 row_mask:0xf bank_mask:0xf
	v_add_f32_e32 v4, v4, v5
	ds_bpermute_b32 v4, v18, v4
	s_and_saveexec_b64 s[0:1], vcc
	s_cbranch_execz .LBB181_10
; %bb.29:
	v_cvt_f32_u32_e32 v5, s16
	s_mov_b32 s11, 0x20000
	s_waitcnt lgkmcnt(0)
	v_div_scale_f32 v6, s[0:1], v5, v5, v4
	v_rcp_f32_e32 v7, v6
	v_div_scale_f32 v17, vcc, v4, v5, v4
	s_mov_b32 s0, 0x800000
	v_fma_f32 v18, -v6, v7, 1.0
	v_fmac_f32_e32 v7, v18, v7
	v_mul_f32_e32 v18, v17, v7
	v_fma_f32 v19, -v6, v18, v17
	v_fmac_f32_e32 v18, v19, v7
	v_fma_f32 v6, -v6, v18, v17
	v_div_fmas_f32 v6, v6, v7, v18
	v_div_fixup_f32 v4, v6, v5, v4
	v_add_f32_e32 v4, s13, v4
	v_mul_f32_e32 v5, 0x4b800000, v4
	v_cmp_gt_f32_e32 vcc, s0, v4
	v_cndmask_b32_e32 v4, v4, v5, vcc
	v_rsq_f32_e32 v4, v4
	s_waitcnt vmcnt(0)
	v_cvt_f32_f16_sdwa v19, v3 dst_sel:DWORD dst_unused:UNUSED_PAD src0_sel:WORD_1
	v_cvt_f32_f16_e32 v18, v3
	s_mul_hi_i32 s1, s7, s6
	v_mul_f32_e32 v5, 0x45800000, v4
	v_cndmask_b32_e32 v4, v4, v5, vcc
	v_mov_b32_e32 v5, v4
	;;#ASMSTART
	v_pk_mul_f32 v[6:7], v[8:9], v[4:5]
	;;#ASMEND
	;;#ASMSTART
	v_pk_mul_f32 v[8:9], v[14:15], v[4:5]
	;;#ASMEND
	;; [unrolled: 3-line block ×4, first 2 shown]
	v_cvt_f32_f16_sdwa v11, v0 dst_sel:DWORD dst_unused:UNUSED_PAD src0_sel:WORD_1
	v_cvt_f32_f16_e32 v10, v0
	v_cvt_f32_f16_sdwa v15, v1 dst_sel:DWORD dst_unused:UNUSED_PAD src0_sel:WORD_1
	v_cvt_f32_f16_e32 v14, v1
	;; [unrolled: 2-line block ×3, first 2 shown]
	;;#ASMSTART
	v_pk_mul_f32 v[2:3], v[6:7], v[10:11]
	;;#ASMEND
	;;#ASMSTART
	v_pk_mul_f32 v[6:7], v[8:9], v[14:15]
	;;#ASMEND
	;; [unrolled: 3-line block ×4, first 2 shown]
	s_mul_i32 s0, s7, s6
	v_cvt_f16_f32_e32 v2, v2
	v_cvt_f16_f32_e32 v3, v3
	;; [unrolled: 1-line block ×8, first 2 shown]
	s_lshl_b64 s[0:1], s[0:1], 1
	s_add_u32 s8, s28, s0
	s_addc_u32 s0, s29, s1
	s_and_b32 s9, s0, 0xffff
	v_pack_b32_f16 v0, v2, v3
	v_pack_b32_f16 v1, v6, v7
	;; [unrolled: 1-line block ×4, first 2 shown]
	buffer_store_dwordx4 v[0:3], v16, s[8:11], 0 offen
	;;#ASMSTART
	s_nop 0
	;;#ASMEND
	s_endpgm
	.section	.rodata,"a",@progbits
	.p2align	6, 0x0
	.amdhsa_kernel _ZN5aiter35fused_qk_rmsnorm_group_quant_kernelIDF16_DB8_Li64ELi8ELi8ELb0ELb1ELb0ELb0ELb0ELb0EEEvPT0_PvPT_S6_S6_PKS5_S8_S8_S8_S8_ffiiiiiiiiiiiii
		.amdhsa_group_segment_fixed_size 0
		.amdhsa_private_segment_fixed_size 0
		.amdhsa_kernarg_size 400
		.amdhsa_user_sgpr_count 6
		.amdhsa_user_sgpr_private_segment_buffer 1
		.amdhsa_user_sgpr_dispatch_ptr 0
		.amdhsa_user_sgpr_queue_ptr 0
		.amdhsa_user_sgpr_kernarg_segment_ptr 1
		.amdhsa_user_sgpr_dispatch_id 0
		.amdhsa_user_sgpr_flat_scratch_init 0
		.amdhsa_user_sgpr_kernarg_preload_length 0
		.amdhsa_user_sgpr_kernarg_preload_offset 0
		.amdhsa_user_sgpr_private_segment_size 0
		.amdhsa_uses_dynamic_stack 0
		.amdhsa_system_sgpr_private_segment_wavefront_offset 0
		.amdhsa_system_sgpr_workgroup_id_x 1
		.amdhsa_system_sgpr_workgroup_id_y 1
		.amdhsa_system_sgpr_workgroup_id_z 0
		.amdhsa_system_sgpr_workgroup_info 0
		.amdhsa_system_vgpr_workitem_id 0
		.amdhsa_next_free_vgpr 23
		.amdhsa_next_free_sgpr 32
		.amdhsa_accum_offset 24
		.amdhsa_reserve_vcc 1
		.amdhsa_reserve_flat_scratch 0
		.amdhsa_float_round_mode_32 0
		.amdhsa_float_round_mode_16_64 0
		.amdhsa_float_denorm_mode_32 3
		.amdhsa_float_denorm_mode_16_64 3
		.amdhsa_dx10_clamp 1
		.amdhsa_ieee_mode 1
		.amdhsa_fp16_overflow 0
		.amdhsa_tg_split 0
		.amdhsa_exception_fp_ieee_invalid_op 0
		.amdhsa_exception_fp_denorm_src 0
		.amdhsa_exception_fp_ieee_div_zero 0
		.amdhsa_exception_fp_ieee_overflow 0
		.amdhsa_exception_fp_ieee_underflow 0
		.amdhsa_exception_fp_ieee_inexact 0
		.amdhsa_exception_int_div_zero 0
	.end_amdhsa_kernel
	.section	.text._ZN5aiter35fused_qk_rmsnorm_group_quant_kernelIDF16_DB8_Li64ELi8ELi8ELb0ELb1ELb0ELb0ELb0ELb0EEEvPT0_PvPT_S6_S6_PKS5_S8_S8_S8_S8_ffiiiiiiiiiiiii,"axG",@progbits,_ZN5aiter35fused_qk_rmsnorm_group_quant_kernelIDF16_DB8_Li64ELi8ELi8ELb0ELb1ELb0ELb0ELb0ELb0EEEvPT0_PvPT_S6_S6_PKS5_S8_S8_S8_S8_ffiiiiiiiiiiiii,comdat
.Lfunc_end181:
	.size	_ZN5aiter35fused_qk_rmsnorm_group_quant_kernelIDF16_DB8_Li64ELi8ELi8ELb0ELb1ELb0ELb0ELb0ELb0EEEvPT0_PvPT_S6_S6_PKS5_S8_S8_S8_S8_ffiiiiiiiiiiiii, .Lfunc_end181-_ZN5aiter35fused_qk_rmsnorm_group_quant_kernelIDF16_DB8_Li64ELi8ELi8ELb0ELb1ELb0ELb0ELb0ELb0EEEvPT0_PvPT_S6_S6_PKS5_S8_S8_S8_S8_ffiiiiiiiiiiiii
                                        ; -- End function
	.section	.AMDGPU.csdata,"",@progbits
; Kernel info:
; codeLenInByte = 2504
; NumSgprs: 36
; NumVgprs: 23
; NumAgprs: 0
; TotalNumVgprs: 23
; ScratchSize: 0
; MemoryBound: 0
; FloatMode: 240
; IeeeMode: 1
; LDSByteSize: 0 bytes/workgroup (compile time only)
; SGPRBlocks: 4
; VGPRBlocks: 2
; NumSGPRsForWavesPerEU: 36
; NumVGPRsForWavesPerEU: 23
; AccumOffset: 24
; Occupancy: 8
; WaveLimiterHint : 0
; COMPUTE_PGM_RSRC2:SCRATCH_EN: 0
; COMPUTE_PGM_RSRC2:USER_SGPR: 6
; COMPUTE_PGM_RSRC2:TRAP_HANDLER: 0
; COMPUTE_PGM_RSRC2:TGID_X_EN: 1
; COMPUTE_PGM_RSRC2:TGID_Y_EN: 1
; COMPUTE_PGM_RSRC2:TGID_Z_EN: 0
; COMPUTE_PGM_RSRC2:TIDIG_COMP_CNT: 0
; COMPUTE_PGM_RSRC3_GFX90A:ACCUM_OFFSET: 5
; COMPUTE_PGM_RSRC3_GFX90A:TG_SPLIT: 0
	.section	.text._ZN5aiter35fused_qk_rmsnorm_group_quant_kernelItDB8_Li64ELi8ELi8ELb0ELb1ELb0ELb0ELb0ELb0EEEvPT0_PvPT_S6_S6_PKS5_S8_S8_S8_S8_ffiiiiiiiiiiiii,"axG",@progbits,_ZN5aiter35fused_qk_rmsnorm_group_quant_kernelItDB8_Li64ELi8ELi8ELb0ELb1ELb0ELb0ELb0ELb0EEEvPT0_PvPT_S6_S6_PKS5_S8_S8_S8_S8_ffiiiiiiiiiiiii,comdat
	.protected	_ZN5aiter35fused_qk_rmsnorm_group_quant_kernelItDB8_Li64ELi8ELi8ELb0ELb1ELb0ELb0ELb0ELb0EEEvPT0_PvPT_S6_S6_PKS5_S8_S8_S8_S8_ffiiiiiiiiiiiii ; -- Begin function _ZN5aiter35fused_qk_rmsnorm_group_quant_kernelItDB8_Li64ELi8ELi8ELb0ELb1ELb0ELb0ELb0ELb0EEEvPT0_PvPT_S6_S6_PKS5_S8_S8_S8_S8_ffiiiiiiiiiiiii
	.globl	_ZN5aiter35fused_qk_rmsnorm_group_quant_kernelItDB8_Li64ELi8ELi8ELb0ELb1ELb0ELb0ELb0ELb0EEEvPT0_PvPT_S6_S6_PKS5_S8_S8_S8_S8_ffiiiiiiiiiiiii
	.p2align	8
	.type	_ZN5aiter35fused_qk_rmsnorm_group_quant_kernelItDB8_Li64ELi8ELi8ELb0ELb1ELb0ELb0ELb0ELb0EEEvPT0_PvPT_S6_S6_PKS5_S8_S8_S8_S8_ffiiiiiiiiiiiii,@function
_ZN5aiter35fused_qk_rmsnorm_group_quant_kernelItDB8_Li64ELi8ELi8ELb0ELb1ELb0ELb0ELb0ELb0EEEvPT0_PvPT_S6_S6_PKS5_S8_S8_S8_S8_ffiiiiiiiiiiiii: ; @_ZN5aiter35fused_qk_rmsnorm_group_quant_kernelItDB8_Li64ELi8ELi8ELb0ELb1ELb0ELb0ELb0ELb0EEEvPT0_PvPT_S6_S6_PKS5_S8_S8_S8_S8_ffiiiiiiiiiiiii
; %bb.0:
	s_load_dwordx4 s[12:15], s[4:5], 0x50
	s_waitcnt lgkmcnt(0)
	s_cmp_ge_i32 s6, s14
	s_cbranch_scc1 .LBB182_8
; %bb.1:
	s_load_dwordx2 s[8:9], s[4:5], 0x48
	s_load_dwordx2 s[30:31], s[4:5], 0x30
	s_load_dwordx4 s[16:19], s[4:5], 0x60
	s_cmp_lg_u32 s7, 0
	s_cselect_b64 s[2:3], -1, 0
	s_cmp_eq_u32 s7, 0
	s_cselect_b64 vcc, -1, 0
	s_and_b64 s[0:1], vcc, exec
	s_waitcnt lgkmcnt(0)
	s_cselect_b32 s7, s15, s16
	s_add_i32 s0, s7, 1
	s_lshr_b32 s1, s0, 31
	s_add_i32 s0, s0, s1
	s_lshl_b32 s0, s0, 1
	v_lshlrev_b32_e32 v1, 3, v0
	s_and_b32 s22, s0, -4
	v_cmp_gt_i32_e64 s[0:1], s7, v1
	v_mov_b32_e32 v2, 0
	v_mov_b32_e32 v3, 0
	;; [unrolled: 1-line block ×8, first 2 shown]
	s_and_saveexec_b64 s[10:11], s[0:1]
	s_cbranch_execz .LBB182_3
; %bb.2:
	s_load_dwordx2 s[20:21], s[4:5], 0x28
	s_load_dwordx2 s[26:27], s[4:5], 0x40
	s_and_b64 s[24:25], vcc, exec
	s_cselect_b32 s14, s17, s18
	s_mov_b32 s23, 0x20000
	s_waitcnt lgkmcnt(0)
	s_cselect_b32 s17, s21, s31
	s_cselect_b32 s19, s20, s30
	s_mul_hi_i32 s21, s14, s6
	s_mul_i32 s20, s14, s6
	s_lshl_b64 s[20:21], s[20:21], 1
	s_add_u32 s24, s19, s20
	s_addc_u32 s14, s17, s21
	s_and_b64 s[20:21], vcc, exec
	s_cselect_b32 s20, s26, s8
	s_cselect_b32 s17, s27, s9
	v_lshlrev_b32_e32 v10, 4, v0
	s_and_b32 s25, s14, 0xffff
	s_mov_b32 s26, s22
	s_mov_b32 s27, s23
	s_and_b32 s21, s17, 0xffff
	buffer_load_dwordx4 v[6:9], v10, s[24:27], 0 offen glc slc
	buffer_load_dwordx4 v[2:5], v10, s[20:23], 0 offen
.LBB182_3:
	s_or_b64 exec, exec, s[10:11]
	s_waitcnt vmcnt(1)
	v_cvt_f32_u32_sdwa v13, v6 dst_sel:DWORD dst_unused:UNUSED_PAD src0_sel:WORD_1
	v_cvt_f32_u32_sdwa v12, v6 dst_sel:DWORD dst_unused:UNUSED_PAD src0_sel:WORD_0
	v_cvt_f32_u32_sdwa v6, v9 dst_sel:DWORD dst_unused:UNUSED_PAD src0_sel:WORD_1
	v_cvt_f32_u32_sdwa v9, v9 dst_sel:DWORD dst_unused:UNUSED_PAD src0_sel:WORD_0
	;; [unrolled: 2-line block ×4, first 2 shown]
	v_cndmask_b32_e64 v13, 0, v13, s[0:1]
	v_cndmask_b32_e64 v7, 0, v6, s[0:1]
	;; [unrolled: 1-line block ×5, first 2 shown]
	v_mul_f32_e32 v14, v13, v13
	v_cndmask_b32_e64 v10, 0, v10, s[0:1]
	v_fmac_f32_e32 v14, v12, v12
	v_cndmask_b32_e64 v11, 0, v11, s[0:1]
	v_fmac_f32_e32 v14, v10, v10
	v_cndmask_b32_e64 v8, 0, v8, s[0:1]
	v_fmac_f32_e32 v14, v11, v11
	v_fmac_f32_e32 v14, v8, v8
	v_fmac_f32_e32 v14, v9, v9
	;; [unrolled: 1-line block ×4, first 2 shown]
	v_bfrev_b32_e32 v16, 0.5
	s_load_dwordx2 s[28:29], s[4:5], 0x18
	v_mov_b32_dpp v15, v14 quad_perm:[1,0,3,2] row_mask:0xf bank_mask:0xf
	v_add_f32_e32 v14, v14, v15
	s_nop 1
	v_mov_b32_dpp v15, v14 quad_perm:[2,3,0,1] row_mask:0xf bank_mask:0xf
	v_add_f32_e32 v14, v14, v15
	s_nop 1
	v_mov_b32_dpp v15, v14 row_half_mirror row_mask:0xf bank_mask:0xf
	v_add_f32_e32 v14, v14, v15
	s_nop 1
	v_mov_b32_dpp v15, v14 row_mirror row_mask:0xf bank_mask:0xf
	v_add_f32_e32 v14, v14, v15
	s_nop 1
	v_mov_b32_dpp v15, v14 row_bcast:15 row_mask:0xf bank_mask:0xf
	v_add_f32_e32 v14, v14, v15
	s_nop 1
	v_mov_b32_dpp v15, v14 row_bcast:31 row_mask:0xf bank_mask:0xf
	v_add_f32_e32 v15, v14, v15
	v_mbcnt_lo_u32_b32 v14, -1, 0
	v_mbcnt_hi_u32_b32 v14, -1, v14
	v_lshl_or_b32 v14, v14, 2, v16
	ds_bpermute_b32 v15, v14, v15
	s_and_saveexec_b64 s[10:11], s[0:1]
	s_cbranch_execz .LBB182_5
; %bb.4:
	v_cvt_f32_u32_e32 v16, s7
	v_mov_b32_e32 v17, s13
	v_mov_b32_e32 v18, s12
	v_cndmask_b32_e32 v17, v17, v18, vcc
	s_waitcnt lgkmcnt(0)
	v_div_scale_f32 v19, s[20:21], v16, v16, v15
	v_rcp_f32_e32 v20, v19
	v_div_scale_f32 v18, vcc, v15, v16, v15
	s_mov_b32 s7, 0x800000
	v_fma_f32 v21, -v19, v20, 1.0
	v_fmac_f32_e32 v20, v21, v20
	v_mul_f32_e32 v21, v18, v20
	v_fma_f32 v22, -v19, v21, v18
	v_fmac_f32_e32 v21, v22, v20
	v_fma_f32 v18, -v19, v21, v18
	v_div_fmas_f32 v18, v18, v20, v21
	v_div_fixup_f32 v15, v18, v16, v15
	v_add_f32_e32 v15, v17, v15
	v_mul_f32_e32 v16, 0x4b800000, v15
	v_cmp_gt_f32_e32 vcc, s7, v15
	v_cndmask_b32_e32 v15, v15, v16, vcc
	v_rsq_f32_e32 v15, v15
	s_waitcnt vmcnt(0)
	v_cvt_f32_u32_sdwa v19, v3 dst_sel:DWORD dst_unused:UNUSED_PAD src0_sel:WORD_1
	v_cvt_f32_u32_sdwa v18, v3 dst_sel:DWORD dst_unused:UNUSED_PAD src0_sel:WORD_0
	v_cvt_f32_u32_sdwa v3, v4 dst_sel:DWORD dst_unused:UNUSED_PAD src0_sel:WORD_1
	v_mul_f32_e32 v16, 0x45800000, v15
	v_cndmask_b32_e32 v16, v15, v16, vcc
	v_mov_b32_e32 v17, v16
	;;#ASMSTART
	v_pk_mul_f32 v[12:13], v[12:13], v[16:17]
	;;#ASMEND
	;;#ASMSTART
	v_pk_mul_f32 v[10:11], v[10:11], v[16:17]
	;;#ASMEND
	;; [unrolled: 3-line block ×4, first 2 shown]
	v_cvt_f32_u32_sdwa v17, v2 dst_sel:DWORD dst_unused:UNUSED_PAD src0_sel:WORD_1
	v_cvt_f32_u32_sdwa v16, v2 dst_sel:DWORD dst_unused:UNUSED_PAD src0_sel:WORD_0
	v_cvt_f32_u32_sdwa v2, v4 dst_sel:DWORD dst_unused:UNUSED_PAD src0_sel:WORD_0
	v_cvt_f32_u32_sdwa v21, v5 dst_sel:DWORD dst_unused:UNUSED_PAD src0_sel:WORD_1
	v_cvt_f32_u32_sdwa v20, v5 dst_sel:DWORD dst_unused:UNUSED_PAD src0_sel:WORD_0
	;;#ASMSTART
	v_pk_mul_f32 v[12:13], v[12:13], v[16:17]
	;;#ASMEND
	;;#ASMSTART
	v_pk_mul_f32 v[10:11], v[10:11], v[18:19]
	;;#ASMEND
	;; [unrolled: 3-line block ×4, first 2 shown]
.LBB182_5:
	s_or_b64 exec, exec, s[10:11]
	s_load_dword s7, s[4:5], 0x80
	s_mov_b64 s[10:11], -1
	s_and_b64 vcc, exec, s[2:3]
	s_cbranch_vccnz .LBB182_9
; %bb.6:
	s_andn2_b64 vcc, exec, s[10:11]
	s_cbranch_vccz .LBB182_12
.LBB182_7:
	s_cmp_lt_i32 s16, 1
	s_cbranch_scc0 .LBB182_21
.LBB182_8:
	s_endpgm
.LBB182_9:
	s_and_saveexec_b64 s[2:3], s[0:1]
	s_cbranch_execz .LBB182_11
; %bb.10:
	s_waitcnt lgkmcnt(0)
	s_mul_hi_i32 s11, s7, s6
	s_mul_i32 s10, s7, s6
	s_lshl_b64 s[10:11], s[10:11], 1
	s_add_u32 s20, s28, s10
	s_addc_u32 s10, s29, s11
	s_and_b32 s21, s10, 0xffff
	s_mov_b32 s10, 0x7060302
	s_mov_b32 s23, 0x20000
	s_waitcnt vmcnt(0)
	v_perm_b32 v2, v13, v12, s10
	v_perm_b32 v3, v11, v10, s10
	;; [unrolled: 1-line block ×4, first 2 shown]
	v_lshlrev_b32_e32 v15, 4, v0
	buffer_store_dwordx4 v[2:5], v15, s[20:23], 0 offen
	;;#ASMSTART
	s_nop 0
	;;#ASMEND
.LBB182_11:
	s_or_b64 exec, exec, s[2:3]
	s_cbranch_execnz .LBB182_7
.LBB182_12:
	s_load_dwordx4 s[24:27], s[4:5], 0x70
	s_waitcnt vmcnt(0)
	v_mov_b32_e32 v2, 0
	s_and_saveexec_b64 s[2:3], s[0:1]
	s_cbranch_execz .LBB182_14
; %bb.13:
	s_load_dwordx2 s[10:11], s[4:5], 0x10
	s_waitcnt lgkmcnt(0)
	s_mul_hi_i32 s21, s27, s6
	s_mul_i32 s20, s27, s6
	s_lshl_b64 s[20:21], s[20:21], 1
	s_mov_b32 s23, 0x20000
	s_add_u32 s20, s10, s20
	s_addc_u32 s10, s11, s21
	s_and_b32 s21, s10, 0xffff
	s_mov_b32 s10, 0x7060302
	v_perm_b32 v2, v13, v12, s10
	v_perm_b32 v3, v11, v10, s10
	;; [unrolled: 1-line block ×4, first 2 shown]
	v_lshlrev_b32_e32 v15, 4, v0
	buffer_store_dwordx4 v[2:5], v15, s[20:23], 0 offen
	;;#ASMSTART
	s_nop 0
	;;#ASMEND
	s_nop 0
	v_mov_b32_e32 v2, 0x2edbe6ff
.LBB182_14:
	s_or_b64 exec, exec, s[2:3]
	s_and_saveexec_b64 s[2:3], s[0:1]
	s_cbranch_execz .LBB182_16
; %bb.15:
	v_and_b32_e32 v3, 0x7fffffff, v12
	v_and_b32_e32 v4, 0x7fffffff, v13
	;;#ASMSTART
	v_max3_f32 v2, v2, v3, v4

	;;#ASMEND
	v_and_b32_e32 v3, 0x7fffffff, v10
	v_and_b32_e32 v4, 0x7fffffff, v11
	;;#ASMSTART
	v_max3_f32 v2, v2, v3, v4

	;;#ASMEND
	;; [unrolled: 6-line block ×4, first 2 shown]
.LBB182_16:
	s_or_b64 exec, exec, s[2:3]
	;;#ASMSTART
	v_max_f32 v3, v2, v2 quad_perm:[1,0,3,2] row_mask:0xf bank_mask:0xf bound_ctrl:1
	;;#ASMEND
	;;#ASMSTART
	v_max_f32 v2, v3, v3 quad_perm:[2,3,0,1] row_mask:0xf bank_mask:0xf bound_ctrl:1
	;;#ASMEND
	;;#ASMSTART
	v_max_f32 v3, v2, v2 row_half_mirror row_mask:0xf bank_mask:0xf bound_ctrl:1
	;;#ASMEND
	v_mul_f32_e32 v2, 0x3b124925, v3
	v_and_b32_e32 v3, 7, v0
	v_cmp_eq_u32_e32 vcc, 0, v3
	v_cmp_gt_i32_e64 s[2:3], s15, v1
	s_and_b64 s[10:11], vcc, s[2:3]
	s_and_saveexec_b64 s[2:3], s[10:11]
	s_cbranch_execz .LBB182_18
; %bb.17:
	s_load_dwordx2 s[10:11], s[4:5], 0x8
	s_waitcnt lgkmcnt(0)
	s_mul_hi_i32 s21, s25, s6
	s_mul_i32 s20, s25, s6
	v_lshrrev_b32_e32 v3, 3, v0
	s_lshl_b64 s[20:21], s[20:21], 2
	v_mad_i64_i32 v[4:5], s[22:23], s26, v3, 0
	s_add_u32 s10, s10, s20
	s_addc_u32 s11, s11, s21
	v_lshlrev_b64 v[4:5], 2, v[4:5]
	v_mov_b32_e32 v3, s11
	v_add_co_u32_e32 v4, vcc, s10, v4
	v_addc_co_u32_e32 v5, vcc, v3, v5, vcc
	global_store_dword v[4:5], v2, off
.LBB182_18:
	s_or_b64 exec, exec, s[2:3]
	;;#ASMSTART
	v_rcp_f32 v2, v2
	;;#ASMEND
	s_and_saveexec_b64 s[10:11], s[0:1]
	s_cbranch_execz .LBB182_20
; %bb.19:
	v_mov_b32_e32 v3, v2
	;;#ASMSTART
	v_pk_mul_f32 v[4:5], v[12:13], v[2:3]
	;;#ASMEND
	s_load_dwordx2 s[0:1], s[4:5], 0x0
	v_mov_b32_e32 v12, 0xc3e00000
	v_mov_b32_e32 v13, 0x43e00000
	s_waitcnt lgkmcnt(0)
	;;#ASMSTART
	v_med3_f32 v4, v4, v12, v13
v_med3_f32 v5, v5, v12, v13
v_cvt_pk_fp8_f32 v15, v4, v5
	;;#ASMEND
	;;#ASMSTART
	v_pk_mul_f32 v[4:5], v[10:11], v[2:3]
	;;#ASMEND
	;;#ASMSTART
	v_med3_f32 v4, v4, v12, v13
v_med3_f32 v5, v5, v12, v13
v_cvt_pk_fp8_f32 v10, v4, v5
	;;#ASMEND
	s_mov_b32 s14, 0x5040100
	v_perm_b32 v5, v10, v15, s14
	s_movk_i32 s14, 0xff
	s_mul_i32 s3, s24, s6
	v_and_b32_e32 v4, 0xffffff00, v10
	v_and_b32_sdwa v10, v5, s14 dst_sel:DWORD dst_unused:UNUSED_PAD src0_sel:WORD_1 src1_sel:DWORD
	s_mul_hi_i32 s2, s24, s6
	s_mov_b32 s12, 0xffff
	s_add_u32 s0, s0, s3
	v_or_b32_sdwa v4, v10, v4 dst_sel:WORD_1 dst_unused:UNUSED_PAD src0_sel:DWORD src1_sel:DWORD
	s_addc_u32 s1, s1, s2
	s_add_i32 s2, s15, 3
	v_and_or_b32 v4, v5, s12, v4
	;;#ASMSTART
	v_pk_mul_f32 v[8:9], v[8:9], v[2:3]
	;;#ASMEND
	v_mov_b32_e32 v5, v8
	s_ashr_i32 s3, s2, 31
	;;#ASMSTART
	v_med3_f32 v5, v5, v12, v13
v_med3_f32 v9, v9, v12, v13
v_cvt_pk_fp8_f32 v8, v5, v9
	;;#ASMEND
	;;#ASMSTART
	v_pk_mul_f32 v[2:3], v[6:7], v[2:3]
	;;#ASMEND
	s_lshr_b32 s3, s3, 30
	;;#ASMSTART
	v_med3_f32 v2, v2, v12, v13
v_med3_f32 v3, v3, v12, v13
v_cvt_pk_fp8_f32 v5, v2, v3
	;;#ASMEND
	s_add_i32 s2, s2, s3
	v_lshlrev_b32_e32 v2, 16, v5
	s_and_b32 s2, s2, -4
	s_and_b32 s1, s1, 0xffff
	s_mov_b32 s3, 0x20000
	v_and_or_b32 v5, v8, s12, v2
	buffer_store_dwordx2 v[4:5], v1, s[0:3], 0 offen
	;;#ASMSTART
	s_nop 0
	;;#ASMEND
.LBB182_20:
	s_or_b64 exec, exec, s[10:11]
	s_cmp_lt_i32 s16, 1
	s_cbranch_scc1 .LBB182_8
.LBB182_21:
	s_load_dword s0, s[4:5], 0x94
	s_waitcnt lgkmcnt(0)
	s_cmp_lg_u32 s0, 1
	s_cbranch_scc1 .LBB182_8
; %bb.22:
	s_lshl_b32 s0, s16, 1
	s_add_i32 s0, s0, 2
	v_cmp_gt_u32_e32 vcc, s16, v1
	s_and_b32 s10, s0, -4
	s_waitcnt vmcnt(0)
	v_mov_b32_e32 v4, 0
	v_lshlrev_b32_e32 v12, 4, v0
	v_mov_b32_e32 v5, 0
	v_mov_b32_e32 v6, 0
	;; [unrolled: 1-line block ×7, first 2 shown]
	s_barrier
	s_and_saveexec_b64 s[0:1], vcc
	s_cbranch_execz .LBB182_24
; %bb.23:
	s_mul_hi_i32 s3, s18, s6
	s_mul_i32 s2, s18, s6
	s_and_b32 s9, s9, 0xffff
	s_lshl_b64 s[2:3], s[2:3], 1
	s_add_u32 s20, s30, s2
	s_mov_b32 s11, 0x20000
	s_addc_u32 s2, s31, s3
	s_and_b32 s21, s2, 0xffff
	s_mov_b32 s22, s10
	s_mov_b32 s23, s11
	buffer_load_dwordx4 v[4:7], v12, s[20:23], 0 offen glc slc
	buffer_load_dwordx4 v[0:3], v12, s[8:11], 0 offen
.LBB182_24:
	s_or_b64 exec, exec, s[0:1]
	s_waitcnt vmcnt(1)
	v_cvt_f32_u32_sdwa v11, v4 dst_sel:DWORD dst_unused:UNUSED_PAD src0_sel:WORD_1
	v_cvt_f32_u32_sdwa v10, v4 dst_sel:DWORD dst_unused:UNUSED_PAD src0_sel:WORD_0
	v_cvt_f32_u32_sdwa v4, v7 dst_sel:DWORD dst_unused:UNUSED_PAD src0_sel:WORD_1
	v_cvt_f32_u32_sdwa v7, v7 dst_sel:DWORD dst_unused:UNUSED_PAD src0_sel:WORD_0
	v_cvt_f32_u32_sdwa v13, v6 dst_sel:DWORD dst_unused:UNUSED_PAD src0_sel:WORD_1
	v_cvt_f32_u32_sdwa v8, v5 dst_sel:DWORD dst_unused:UNUSED_PAD src0_sel:WORD_0
	v_cvt_f32_u32_sdwa v9, v5 dst_sel:DWORD dst_unused:UNUSED_PAD src0_sel:WORD_1
	v_cvt_f32_u32_sdwa v6, v6 dst_sel:DWORD dst_unused:UNUSED_PAD src0_sel:WORD_0
	v_cndmask_b32_e32 v11, 0, v11, vcc
	v_cndmask_b32_e32 v5, 0, v4, vcc
	;; [unrolled: 1-line block ×5, first 2 shown]
	v_mul_f32_e32 v13, v11, v11
	v_cndmask_b32_e32 v8, 0, v8, vcc
	v_fmac_f32_e32 v13, v10, v10
	v_cndmask_b32_e32 v9, 0, v9, vcc
	v_fmac_f32_e32 v13, v8, v8
	;; [unrolled: 2-line block ×3, first 2 shown]
	v_fmac_f32_e32 v13, v6, v6
	v_fmac_f32_e32 v13, v7, v7
	;; [unrolled: 1-line block ×4, first 2 shown]
	s_nop 1
	v_mov_b32_dpp v15, v13 quad_perm:[1,0,3,2] row_mask:0xf bank_mask:0xf
	v_add_f32_e32 v13, v13, v15
	s_nop 1
	v_mov_b32_dpp v15, v13 quad_perm:[2,3,0,1] row_mask:0xf bank_mask:0xf
	v_add_f32_e32 v13, v13, v15
	s_nop 1
	v_mov_b32_dpp v15, v13 row_half_mirror row_mask:0xf bank_mask:0xf
	v_add_f32_e32 v13, v13, v15
	s_nop 1
	v_mov_b32_dpp v15, v13 row_mirror row_mask:0xf bank_mask:0xf
	v_add_f32_e32 v13, v13, v15
	s_nop 1
	v_mov_b32_dpp v15, v13 row_bcast:15 row_mask:0xf bank_mask:0xf
	v_add_f32_e32 v13, v13, v15
	s_nop 1
	v_mov_b32_dpp v15, v13 row_bcast:31 row_mask:0xf bank_mask:0xf
	v_add_f32_e32 v13, v13, v15
	ds_bpermute_b32 v13, v14, v13
	s_and_saveexec_b64 s[0:1], vcc
	s_cbranch_execz .LBB182_8
; %bb.25:
	v_cvt_f32_u32_e32 v14, s16
	s_mov_b32 s11, 0x20000
	s_waitcnt lgkmcnt(0)
	v_div_scale_f32 v15, s[0:1], v14, v14, v13
	v_rcp_f32_e32 v16, v15
	v_div_scale_f32 v17, vcc, v13, v14, v13
	s_mov_b32 s0, 0x800000
	v_fma_f32 v18, -v15, v16, 1.0
	v_fmac_f32_e32 v16, v18, v16
	v_mul_f32_e32 v18, v17, v16
	v_fma_f32 v19, -v15, v18, v17
	v_fmac_f32_e32 v18, v19, v16
	v_fma_f32 v15, -v15, v18, v17
	v_div_fmas_f32 v15, v15, v16, v18
	v_div_fixup_f32 v13, v15, v14, v13
	v_add_f32_e32 v13, s13, v13
	v_mul_f32_e32 v14, 0x4b800000, v13
	v_cmp_gt_f32_e32 vcc, s0, v13
	v_cndmask_b32_e32 v13, v13, v14, vcc
	v_rsq_f32_e32 v13, v13
	s_mul_hi_i32 s1, s7, s6
	s_mul_i32 s0, s7, s6
	s_lshl_b64 s[0:1], s[0:1], 1
	v_mul_f32_e32 v14, 0x45800000, v13
	v_cndmask_b32_e32 v14, v13, v14, vcc
	s_add_u32 s8, s28, s0
	v_mov_b32_e32 v15, v14
	s_addc_u32 s0, s29, s1
	;;#ASMSTART
	v_pk_mul_f32 v[10:11], v[10:11], v[14:15]
	;;#ASMEND
	;;#ASMSTART
	v_pk_mul_f32 v[8:9], v[8:9], v[14:15]
	;;#ASMEND
	;; [unrolled: 3-line block ×4, first 2 shown]
	s_waitcnt vmcnt(0)
	v_cvt_f32_u32_sdwa v15, v0 dst_sel:DWORD dst_unused:UNUSED_PAD src0_sel:WORD_1
	v_cvt_f32_u32_sdwa v14, v0 dst_sel:DWORD dst_unused:UNUSED_PAD src0_sel:WORD_0
	v_cvt_f32_u32_sdwa v17, v1 dst_sel:DWORD dst_unused:UNUSED_PAD src0_sel:WORD_1
	v_cvt_f32_u32_sdwa v16, v1 dst_sel:DWORD dst_unused:UNUSED_PAD src0_sel:WORD_0
	;; [unrolled: 2-line block ×4, first 2 shown]
	;;#ASMSTART
	v_pk_mul_f32 v[2:3], v[10:11], v[14:15]
	;;#ASMEND
	s_and_b32 s9, s0, 0xffff
	s_mov_b32 s0, 0x7060302
	;;#ASMSTART
	v_pk_mul_f32 v[8:9], v[8:9], v[16:17]
	;;#ASMEND
	;;#ASMSTART
	v_pk_mul_f32 v[6:7], v[6:7], v[0:1]
	;;#ASMEND
	;; [unrolled: 3-line block ×3, first 2 shown]
	v_perm_b32 v0, v3, v2, s0
	v_perm_b32 v1, v9, v8, s0
	;; [unrolled: 1-line block ×4, first 2 shown]
	buffer_store_dwordx4 v[0:3], v12, s[8:11], 0 offen
	;;#ASMSTART
	s_nop 0
	;;#ASMEND
	s_endpgm
	.section	.rodata,"a",@progbits
	.p2align	6, 0x0
	.amdhsa_kernel _ZN5aiter35fused_qk_rmsnorm_group_quant_kernelItDB8_Li64ELi8ELi8ELb0ELb1ELb0ELb0ELb0ELb0EEEvPT0_PvPT_S6_S6_PKS5_S8_S8_S8_S8_ffiiiiiiiiiiiii
		.amdhsa_group_segment_fixed_size 0
		.amdhsa_private_segment_fixed_size 0
		.amdhsa_kernarg_size 400
		.amdhsa_user_sgpr_count 6
		.amdhsa_user_sgpr_private_segment_buffer 1
		.amdhsa_user_sgpr_dispatch_ptr 0
		.amdhsa_user_sgpr_queue_ptr 0
		.amdhsa_user_sgpr_kernarg_segment_ptr 1
		.amdhsa_user_sgpr_dispatch_id 0
		.amdhsa_user_sgpr_flat_scratch_init 0
		.amdhsa_user_sgpr_kernarg_preload_length 0
		.amdhsa_user_sgpr_kernarg_preload_offset 0
		.amdhsa_user_sgpr_private_segment_size 0
		.amdhsa_uses_dynamic_stack 0
		.amdhsa_system_sgpr_private_segment_wavefront_offset 0
		.amdhsa_system_sgpr_workgroup_id_x 1
		.amdhsa_system_sgpr_workgroup_id_y 1
		.amdhsa_system_sgpr_workgroup_id_z 0
		.amdhsa_system_sgpr_workgroup_info 0
		.amdhsa_system_vgpr_workitem_id 0
		.amdhsa_next_free_vgpr 23
		.amdhsa_next_free_sgpr 32
		.amdhsa_accum_offset 24
		.amdhsa_reserve_vcc 1
		.amdhsa_reserve_flat_scratch 0
		.amdhsa_float_round_mode_32 0
		.amdhsa_float_round_mode_16_64 0
		.amdhsa_float_denorm_mode_32 3
		.amdhsa_float_denorm_mode_16_64 3
		.amdhsa_dx10_clamp 1
		.amdhsa_ieee_mode 1
		.amdhsa_fp16_overflow 0
		.amdhsa_tg_split 0
		.amdhsa_exception_fp_ieee_invalid_op 0
		.amdhsa_exception_fp_denorm_src 0
		.amdhsa_exception_fp_ieee_div_zero 0
		.amdhsa_exception_fp_ieee_overflow 0
		.amdhsa_exception_fp_ieee_underflow 0
		.amdhsa_exception_fp_ieee_inexact 0
		.amdhsa_exception_int_div_zero 0
	.end_amdhsa_kernel
	.section	.text._ZN5aiter35fused_qk_rmsnorm_group_quant_kernelItDB8_Li64ELi8ELi8ELb0ELb1ELb0ELb0ELb0ELb0EEEvPT0_PvPT_S6_S6_PKS5_S8_S8_S8_S8_ffiiiiiiiiiiiii,"axG",@progbits,_ZN5aiter35fused_qk_rmsnorm_group_quant_kernelItDB8_Li64ELi8ELi8ELb0ELb1ELb0ELb0ELb0ELb0EEEvPT0_PvPT_S6_S6_PKS5_S8_S8_S8_S8_ffiiiiiiiiiiiii,comdat
.Lfunc_end182:
	.size	_ZN5aiter35fused_qk_rmsnorm_group_quant_kernelItDB8_Li64ELi8ELi8ELb0ELb1ELb0ELb0ELb0ELb0EEEvPT0_PvPT_S6_S6_PKS5_S8_S8_S8_S8_ffiiiiiiiiiiiii, .Lfunc_end182-_ZN5aiter35fused_qk_rmsnorm_group_quant_kernelItDB8_Li64ELi8ELi8ELb0ELb1ELb0ELb0ELb0ELb0EEEvPT0_PvPT_S6_S6_PKS5_S8_S8_S8_S8_ffiiiiiiiiiiiii
                                        ; -- End function
	.section	.AMDGPU.csdata,"",@progbits
; Kernel info:
; codeLenInByte = 2496
; NumSgprs: 36
; NumVgprs: 23
; NumAgprs: 0
; TotalNumVgprs: 23
; ScratchSize: 0
; MemoryBound: 0
; FloatMode: 240
; IeeeMode: 1
; LDSByteSize: 0 bytes/workgroup (compile time only)
; SGPRBlocks: 4
; VGPRBlocks: 2
; NumSGPRsForWavesPerEU: 36
; NumVGPRsForWavesPerEU: 23
; AccumOffset: 24
; Occupancy: 8
; WaveLimiterHint : 0
; COMPUTE_PGM_RSRC2:SCRATCH_EN: 0
; COMPUTE_PGM_RSRC2:USER_SGPR: 6
; COMPUTE_PGM_RSRC2:TRAP_HANDLER: 0
; COMPUTE_PGM_RSRC2:TGID_X_EN: 1
; COMPUTE_PGM_RSRC2:TGID_Y_EN: 1
; COMPUTE_PGM_RSRC2:TGID_Z_EN: 0
; COMPUTE_PGM_RSRC2:TIDIG_COMP_CNT: 0
; COMPUTE_PGM_RSRC3_GFX90A:ACCUM_OFFSET: 5
; COMPUTE_PGM_RSRC3_GFX90A:TG_SPLIT: 0
	.section	.text._ZN5aiter35fused_qk_rmsnorm_group_quant_kernelIDF16_N4opus5fp4_tELi64ELi8ELi8ELb0ELb1ELb0ELb0ELb0ELb0EEEvPT0_PvPT_S7_S7_PKS6_S9_S9_S9_S9_ffiiiiiiiiiiiii,"axG",@progbits,_ZN5aiter35fused_qk_rmsnorm_group_quant_kernelIDF16_N4opus5fp4_tELi64ELi8ELi8ELb0ELb1ELb0ELb0ELb0ELb0EEEvPT0_PvPT_S7_S7_PKS6_S9_S9_S9_S9_ffiiiiiiiiiiiii,comdat
	.protected	_ZN5aiter35fused_qk_rmsnorm_group_quant_kernelIDF16_N4opus5fp4_tELi64ELi8ELi8ELb0ELb1ELb0ELb0ELb0ELb0EEEvPT0_PvPT_S7_S7_PKS6_S9_S9_S9_S9_ffiiiiiiiiiiiii ; -- Begin function _ZN5aiter35fused_qk_rmsnorm_group_quant_kernelIDF16_N4opus5fp4_tELi64ELi8ELi8ELb0ELb1ELb0ELb0ELb0ELb0EEEvPT0_PvPT_S7_S7_PKS6_S9_S9_S9_S9_ffiiiiiiiiiiiii
	.globl	_ZN5aiter35fused_qk_rmsnorm_group_quant_kernelIDF16_N4opus5fp4_tELi64ELi8ELi8ELb0ELb1ELb0ELb0ELb0ELb0EEEvPT0_PvPT_S7_S7_PKS6_S9_S9_S9_S9_ffiiiiiiiiiiiii
	.p2align	8
	.type	_ZN5aiter35fused_qk_rmsnorm_group_quant_kernelIDF16_N4opus5fp4_tELi64ELi8ELi8ELb0ELb1ELb0ELb0ELb0ELb0EEEvPT0_PvPT_S7_S7_PKS6_S9_S9_S9_S9_ffiiiiiiiiiiiii,@function
_ZN5aiter35fused_qk_rmsnorm_group_quant_kernelIDF16_N4opus5fp4_tELi64ELi8ELi8ELb0ELb1ELb0ELb0ELb0ELb0EEEvPT0_PvPT_S7_S7_PKS6_S9_S9_S9_S9_ffiiiiiiiiiiiii: ; @_ZN5aiter35fused_qk_rmsnorm_group_quant_kernelIDF16_N4opus5fp4_tELi64ELi8ELi8ELb0ELb1ELb0ELb0ELb0ELb0EEEvPT0_PvPT_S7_S7_PKS6_S9_S9_S9_S9_ffiiiiiiiiiiiii
; %bb.0:
	s_load_dwordx4 s[12:15], s[4:5], 0x50
	s_waitcnt lgkmcnt(0)
	s_cmp_ge_i32 s6, s14
	s_cbranch_scc1 .LBB183_10
; %bb.1:
	s_load_dwordx2 s[8:9], s[4:5], 0x48
	s_load_dwordx2 s[30:31], s[4:5], 0x30
	s_load_dwordx4 s[16:19], s[4:5], 0x60
	s_cmp_lg_u32 s7, 0
	s_cselect_b64 s[2:3], -1, 0
	s_cmp_eq_u32 s7, 0
	s_cselect_b64 vcc, -1, 0
	s_and_b64 s[0:1], vcc, exec
	s_waitcnt lgkmcnt(0)
	s_cselect_b32 s7, s15, s16
	s_add_i32 s0, s7, 1
	s_lshr_b32 s1, s0, 31
	s_add_i32 s0, s0, s1
	s_lshl_b32 s0, s0, 1
	v_lshlrev_b32_e32 v1, 3, v0
	s_and_b32 s22, s0, -4
	v_cmp_gt_i32_e64 s[0:1], s7, v1
	v_mov_b32_e32 v10, 0
	v_mov_b32_e32 v2, 0
	;; [unrolled: 1-line block ×9, first 2 shown]
	s_and_saveexec_b64 s[10:11], s[0:1]
	s_cbranch_execz .LBB183_3
; %bb.2:
	s_load_dwordx2 s[20:21], s[4:5], 0x28
	s_load_dwordx2 s[26:27], s[4:5], 0x40
	s_and_b64 s[24:25], vcc, exec
	s_cselect_b32 s14, s17, s18
	s_mov_b32 s23, 0x20000
	s_waitcnt lgkmcnt(0)
	s_cselect_b32 s17, s21, s31
	s_cselect_b32 s19, s20, s30
	s_mul_hi_i32 s21, s14, s6
	s_mul_i32 s20, s14, s6
	s_lshl_b64 s[20:21], s[20:21], 1
	s_add_u32 s24, s19, s20
	s_addc_u32 s14, s17, s21
	s_and_b64 s[20:21], vcc, exec
	s_cselect_b32 s20, s26, s8
	s_cselect_b32 s17, s27, s9
	v_lshlrev_b32_e32 v11, 4, v0
	s_and_b32 s25, s14, 0xffff
	s_mov_b32 s26, s22
	s_mov_b32 s27, s23
	s_and_b32 s21, s17, 0xffff
	buffer_load_dwordx4 v[6:9], v11, s[24:27], 0 offen glc slc
	buffer_load_dwordx4 v[2:5], v11, s[20:23], 0 offen
.LBB183_3:
	s_or_b64 exec, exec, s[10:11]
	v_mov_b32_e32 v11, 0
	v_mov_b32_e32 v16, 0
	;; [unrolled: 1-line block ×7, first 2 shown]
	s_and_saveexec_b64 s[10:11], s[0:1]
	s_cbranch_execz .LBB183_5
; %bb.4:
	s_waitcnt vmcnt(1)
	v_cvt_f32_f16_sdwa v11, v6 dst_sel:DWORD dst_unused:UNUSED_PAD src0_sel:WORD_1
	v_cvt_f32_f16_e32 v10, v6
	v_cvt_f32_f16_sdwa v17, v7 dst_sel:DWORD dst_unused:UNUSED_PAD src0_sel:WORD_1
	v_cvt_f32_f16_e32 v16, v7
	;; [unrolled: 2-line block ×4, first 2 shown]
.LBB183_5:
	s_or_b64 exec, exec, s[10:11]
	s_waitcnt vmcnt(1)
	v_mul_f32_e32 v6, v11, v11
	v_fmac_f32_e32 v6, v10, v10
	v_fmac_f32_e32 v6, v16, v16
	v_fmac_f32_e32 v6, v17, v17
	v_fmac_f32_e32 v6, v12, v12
	v_fmac_f32_e32 v6, v13, v13
	v_fmac_f32_e32 v6, v14, v14
	v_fmac_f32_e32 v6, v15, v15
	v_bfrev_b32_e32 v8, 0.5
	s_load_dwordx2 s[28:29], s[4:5], 0x18
	v_mov_b32_dpp v7, v6 quad_perm:[1,0,3,2] row_mask:0xf bank_mask:0xf
	v_add_f32_e32 v6, v6, v7
	s_nop 1
	v_mov_b32_dpp v7, v6 quad_perm:[2,3,0,1] row_mask:0xf bank_mask:0xf
	v_add_f32_e32 v6, v6, v7
	s_nop 1
	v_mov_b32_dpp v7, v6 row_half_mirror row_mask:0xf bank_mask:0xf
	v_add_f32_e32 v6, v6, v7
	s_nop 1
	v_mov_b32_dpp v7, v6 row_mirror row_mask:0xf bank_mask:0xf
	v_add_f32_e32 v6, v6, v7
	s_nop 1
	v_mov_b32_dpp v7, v6 row_bcast:15 row_mask:0xf bank_mask:0xf
	v_add_f32_e32 v6, v6, v7
	s_nop 1
	v_mov_b32_dpp v7, v6 row_bcast:31 row_mask:0xf bank_mask:0xf
	v_add_f32_e32 v6, v6, v7
	v_mbcnt_lo_u32_b32 v7, -1, 0
	v_mbcnt_hi_u32_b32 v7, -1, v7
	v_lshl_or_b32 v18, v7, 2, v8
	ds_bpermute_b32 v6, v18, v6
	s_and_saveexec_b64 s[10:11], s[0:1]
	s_cbranch_execz .LBB183_7
; %bb.6:
	v_cvt_f32_u32_e32 v7, s7
	v_mov_b32_e32 v8, s13
	v_mov_b32_e32 v9, s12
	v_cndmask_b32_e32 v8, v8, v9, vcc
	s_waitcnt lgkmcnt(0)
	v_div_scale_f32 v19, s[20:21], v7, v7, v6
	v_rcp_f32_e32 v20, v19
	v_div_scale_f32 v9, vcc, v6, v7, v6
	s_mov_b32 s7, 0x800000
	v_fma_f32 v21, -v19, v20, 1.0
	v_fmac_f32_e32 v20, v21, v20
	v_mul_f32_e32 v21, v9, v20
	v_fma_f32 v22, -v19, v21, v9
	v_fmac_f32_e32 v21, v22, v20
	v_fma_f32 v9, -v19, v21, v9
	v_div_fmas_f32 v9, v9, v20, v21
	v_div_fixup_f32 v6, v9, v7, v6
	v_add_f32_e32 v6, v8, v6
	v_mul_f32_e32 v7, 0x4b800000, v6
	v_cmp_gt_f32_e32 vcc, s7, v6
	v_cndmask_b32_e32 v6, v6, v7, vcc
	v_rsq_f32_e32 v6, v6
	s_waitcnt vmcnt(0)
	v_cvt_f32_f16_sdwa v21, v5 dst_sel:DWORD dst_unused:UNUSED_PAD src0_sel:WORD_1
	v_cvt_f32_f16_e32 v20, v5
	v_mul_f32_e32 v7, 0x45800000, v6
	v_cndmask_b32_e32 v6, v6, v7, vcc
	v_mov_b32_e32 v7, v6
	;;#ASMSTART
	v_pk_mul_f32 v[8:9], v[10:11], v[6:7]
	;;#ASMEND
	;;#ASMSTART
	v_pk_mul_f32 v[16:17], v[16:17], v[6:7]
	;;#ASMEND
	;;#ASMSTART
	v_pk_mul_f32 v[12:13], v[12:13], v[6:7]
	;;#ASMEND
	;;#ASMSTART
	v_pk_mul_f32 v[6:7], v[14:15], v[6:7]
	;;#ASMEND
	v_cvt_f32_f16_sdwa v11, v2 dst_sel:DWORD dst_unused:UNUSED_PAD src0_sel:WORD_1
	v_cvt_f32_f16_e32 v10, v2
	v_cvt_f32_f16_sdwa v15, v3 dst_sel:DWORD dst_unused:UNUSED_PAD src0_sel:WORD_1
	v_cvt_f32_f16_e32 v14, v3
	;; [unrolled: 2-line block ×3, first 2 shown]
	;;#ASMSTART
	v_pk_mul_f32 v[10:11], v[8:9], v[10:11]
	;;#ASMEND
	;;#ASMSTART
	v_pk_mul_f32 v[16:17], v[16:17], v[14:15]
	;;#ASMEND
	;; [unrolled: 3-line block ×4, first 2 shown]
.LBB183_7:
	s_or_b64 exec, exec, s[10:11]
	s_load_dword s7, s[4:5], 0x80
	s_mov_b64 s[10:11], -1
	s_and_b64 vcc, exec, s[2:3]
	s_cbranch_vccnz .LBB183_11
; %bb.8:
	s_andn2_b64 vcc, exec, s[10:11]
	s_cbranch_vccz .LBB183_14
.LBB183_9:
	s_cmp_lt_i32 s16, 1
	s_cbranch_scc0 .LBB183_23
.LBB183_10:
	s_endpgm
.LBB183_11:
	s_and_saveexec_b64 s[2:3], s[0:1]
	s_cbranch_execz .LBB183_13
; %bb.12:
	s_waitcnt lgkmcnt(0)
	s_mul_hi_i32 s11, s7, s6
	s_mul_i32 s10, s7, s6
	s_waitcnt vmcnt(0)
	v_cvt_f16_f32_e32 v2, v10
	v_cvt_f16_f32_e32 v3, v16
	;; [unrolled: 1-line block ×8, first 2 shown]
	s_lshl_b64 s[10:11], s[10:11], 1
	s_add_u32 s20, s28, s10
	s_addc_u32 s10, s29, s11
	s_and_b32 s21, s10, 0xffff
	s_mov_b32 s23, 0x20000
	v_pack_b32_f16 v5, v5, v6
	v_pack_b32_f16 v4, v4, v7
	;; [unrolled: 1-line block ×4, first 2 shown]
	v_lshlrev_b32_e32 v6, 4, v0
	buffer_store_dwordx4 v[2:5], v6, s[20:23], 0 offen
	;;#ASMSTART
	s_nop 0
	;;#ASMEND
.LBB183_13:
	s_or_b64 exec, exec, s[2:3]
	s_cbranch_execnz .LBB183_9
.LBB183_14:
	s_load_dwordx4 s[24:27], s[4:5], 0x70
	s_waitcnt vmcnt(0)
	v_mov_b32_e32 v2, 0
	s_and_saveexec_b64 s[2:3], s[0:1]
	s_cbranch_execz .LBB183_16
; %bb.15:
	s_load_dwordx2 s[10:11], s[4:5], 0x10
	s_waitcnt lgkmcnt(0)
	s_mul_hi_i32 s21, s27, s6
	s_mul_i32 s20, s27, s6
	v_cvt_f16_f32_e32 v2, v10
	v_cvt_f16_f32_e32 v3, v16
	;; [unrolled: 1-line block ×8, first 2 shown]
	s_lshl_b64 s[20:21], s[20:21], 1
	s_add_u32 s20, s10, s20
	s_addc_u32 s10, s11, s21
	s_mov_b32 s23, 0x20000
	s_and_b32 s21, s10, 0xffff
	v_pack_b32_f16 v5, v5, v6
	v_pack_b32_f16 v4, v4, v7
	;; [unrolled: 1-line block ×4, first 2 shown]
	v_lshlrev_b32_e32 v6, 4, v0
	buffer_store_dwordx4 v[2:5], v6, s[20:23], 0 offen
	;;#ASMSTART
	s_nop 0
	;;#ASMEND
	s_nop 0
	v_mov_b32_e32 v2, 0x2edbe6ff
.LBB183_16:
	s_or_b64 exec, exec, s[2:3]
	s_and_saveexec_b64 s[2:3], s[0:1]
	s_cbranch_execz .LBB183_18
; %bb.17:
	v_and_b32_e32 v3, 0x7fffffff, v10
	v_and_b32_e32 v4, 0x7fffffff, v11
	;;#ASMSTART
	v_max3_f32 v2, v2, v3, v4

	;;#ASMEND
	v_and_b32_e32 v3, 0x7fffffff, v16
	v_and_b32_e32 v4, 0x7fffffff, v17
	;;#ASMSTART
	v_max3_f32 v2, v2, v3, v4

	;;#ASMEND
	;; [unrolled: 6-line block ×4, first 2 shown]
.LBB183_18:
	s_or_b64 exec, exec, s[2:3]
	;;#ASMSTART
	v_max_f32 v3, v2, v2 quad_perm:[1,0,3,2] row_mask:0xf bank_mask:0xf bound_ctrl:1
	;;#ASMEND
	;;#ASMSTART
	v_max_f32 v4, v3, v3 quad_perm:[2,3,0,1] row_mask:0xf bank_mask:0xf bound_ctrl:1
	;;#ASMEND
	v_and_b32_e32 v3, 7, v0
	v_cmp_eq_u32_e32 vcc, 0, v3
	v_cmp_gt_i32_e64 s[2:3], s15, v1
	s_and_b64 s[10:11], vcc, s[2:3]
	;;#ASMSTART
	v_max_f32 v2, v4, v4 row_half_mirror row_mask:0xf bank_mask:0xf bound_ctrl:1
	;;#ASMEND
	s_and_saveexec_b64 s[2:3], s[10:11]
	s_cbranch_execz .LBB183_20
; %bb.19:
	s_load_dwordx2 s[10:11], s[4:5], 0x8
	v_mul_f32_e32 v2, 0x3e2aaaab, v2
	v_lshrrev_b32_e32 v3, 23, v2
	v_and_b32_e32 v4, 0x7f800000, v2
	v_and_b32_e32 v2, 0x7fffff, v2
	v_cmp_ne_u32_e32 vcc, 0, v2
	s_waitcnt lgkmcnt(0)
	s_mul_i32 s17, s25, s6
	s_mov_b32 s12, 0x7f800000
	v_addc_co_u32_e32 v2, vcc, 0, v3, vcc
	s_mul_hi_i32 s14, s25, s6
	s_add_u32 s10, s10, s17
	v_cmp_ne_u32_e32 vcc, s12, v4
	s_addc_u32 s11, s11, s14
	v_lshrrev_b32_e32 v5, 3, v0
	v_cndmask_b32_e32 v4, -1, v2, vcc
	v_pk_mov_b32 v[2:3], s[10:11], s[10:11] op_sel:[0,1]
	v_mad_i64_i32 v[2:3], s[10:11], s26, v5, v[2:3]
	global_store_byte v[2:3], v4, off
.LBB183_20:
	s_or_b64 exec, exec, s[2:3]
	s_and_saveexec_b64 s[2:3], s[0:1]
	s_cbranch_execz .LBB183_22
; %bb.21:
	s_load_dwordx2 s[0:1], s[4:5], 0x0
	s_waitcnt lgkmcnt(0)
	s_mul_i32 s11, s24, s6
	s_mul_hi_i32 s10, s24, s6
	v_lshlrev_b32_e32 v2, 2, v0
	s_mov_b32 s23, 0x20000
	s_add_u32 s20, s0, s11
	s_addc_u32 s0, s1, s10
	s_lshr_b32 s1, s15, 31
	s_add_i32 s1, s15, s1
	s_ashr_i32 s1, s1, 1
	s_add_i32 s1, s1, 3
	s_ashr_i32 s10, s1, 31
	s_lshr_b32 s10, s10, 30
	s_add_i32 s1, s1, s10
	s_and_b32 s22, s1, -4
	s_and_b32 s21, s0, 0xffff
	v_mov_b32_e32 v3, 0
	buffer_store_dword v3, v2, s[20:23], 0 offen
	;;#ASMSTART
	s_nop 0
	;;#ASMEND
.LBB183_22:
	s_or_b64 exec, exec, s[2:3]
	s_cmp_lt_i32 s16, 1
	s_cbranch_scc1 .LBB183_10
.LBB183_23:
	s_load_dword s0, s[4:5], 0x94
	s_waitcnt lgkmcnt(0)
	s_cmp_lg_u32 s0, 1
	s_cbranch_scc1 .LBB183_10
; %bb.24:
	s_lshl_b32 s0, s16, 1
	s_add_i32 s0, s0, 2
	v_cmp_gt_u32_e32 vcc, s16, v1
	s_and_b32 s10, s0, -4
	v_mov_b32_e32 v8, 0
	v_lshlrev_b32_e32 v16, 4, v0
	s_waitcnt vmcnt(0)
	v_mov_b32_e32 v4, 0
	v_mov_b32_e32 v5, 0
	;; [unrolled: 1-line block ×8, first 2 shown]
	s_barrier
	s_and_saveexec_b64 s[0:1], vcc
	s_cbranch_execz .LBB183_26
; %bb.25:
	s_mul_hi_i32 s3, s18, s6
	s_mul_i32 s2, s18, s6
	s_and_b32 s9, s9, 0xffff
	s_lshl_b64 s[2:3], s[2:3], 1
	s_add_u32 s20, s30, s2
	s_mov_b32 s11, 0x20000
	s_addc_u32 s2, s31, s3
	s_and_b32 s21, s2, 0xffff
	s_mov_b32 s22, s10
	s_mov_b32 s23, s11
	buffer_load_dwordx4 v[4:7], v16, s[20:23], 0 offen glc slc
	buffer_load_dwordx4 v[0:3], v16, s[8:11], 0 offen
.LBB183_26:
	s_or_b64 exec, exec, s[0:1]
	v_mov_b32_e32 v9, 0
	v_mov_b32_e32 v14, 0
	;; [unrolled: 1-line block ×7, first 2 shown]
	s_and_saveexec_b64 s[0:1], vcc
	s_cbranch_execz .LBB183_28
; %bb.27:
	s_waitcnt vmcnt(1)
	v_cvt_f32_f16_sdwa v9, v4 dst_sel:DWORD dst_unused:UNUSED_PAD src0_sel:WORD_1
	v_cvt_f32_f16_e32 v8, v4
	v_cvt_f32_f16_sdwa v15, v5 dst_sel:DWORD dst_unused:UNUSED_PAD src0_sel:WORD_1
	v_cvt_f32_f16_e32 v14, v5
	;; [unrolled: 2-line block ×4, first 2 shown]
.LBB183_28:
	s_or_b64 exec, exec, s[0:1]
	s_waitcnt vmcnt(1)
	v_mul_f32_e32 v4, v9, v9
	v_fmac_f32_e32 v4, v8, v8
	v_fmac_f32_e32 v4, v14, v14
	;; [unrolled: 1-line block ×7, first 2 shown]
	s_nop 1
	v_mov_b32_dpp v5, v4 quad_perm:[1,0,3,2] row_mask:0xf bank_mask:0xf
	v_add_f32_e32 v4, v4, v5
	s_nop 1
	v_mov_b32_dpp v5, v4 quad_perm:[2,3,0,1] row_mask:0xf bank_mask:0xf
	v_add_f32_e32 v4, v4, v5
	s_nop 1
	v_mov_b32_dpp v5, v4 row_half_mirror row_mask:0xf bank_mask:0xf
	v_add_f32_e32 v4, v4, v5
	s_nop 1
	v_mov_b32_dpp v5, v4 row_mirror row_mask:0xf bank_mask:0xf
	v_add_f32_e32 v4, v4, v5
	s_nop 1
	v_mov_b32_dpp v5, v4 row_bcast:15 row_mask:0xf bank_mask:0xf
	v_add_f32_e32 v4, v4, v5
	s_nop 1
	v_mov_b32_dpp v5, v4 row_bcast:31 row_mask:0xf bank_mask:0xf
	v_add_f32_e32 v4, v4, v5
	ds_bpermute_b32 v4, v18, v4
	s_and_saveexec_b64 s[0:1], vcc
	s_cbranch_execz .LBB183_10
; %bb.29:
	v_cvt_f32_u32_e32 v5, s16
	s_mov_b32 s11, 0x20000
	s_waitcnt lgkmcnt(0)
	v_div_scale_f32 v6, s[0:1], v5, v5, v4
	v_rcp_f32_e32 v7, v6
	v_div_scale_f32 v17, vcc, v4, v5, v4
	s_mov_b32 s0, 0x800000
	v_fma_f32 v18, -v6, v7, 1.0
	v_fmac_f32_e32 v7, v18, v7
	v_mul_f32_e32 v18, v17, v7
	v_fma_f32 v19, -v6, v18, v17
	v_fmac_f32_e32 v18, v19, v7
	v_fma_f32 v6, -v6, v18, v17
	v_div_fmas_f32 v6, v6, v7, v18
	v_div_fixup_f32 v4, v6, v5, v4
	v_add_f32_e32 v4, s13, v4
	v_mul_f32_e32 v5, 0x4b800000, v4
	v_cmp_gt_f32_e32 vcc, s0, v4
	v_cndmask_b32_e32 v4, v4, v5, vcc
	v_rsq_f32_e32 v4, v4
	s_waitcnt vmcnt(0)
	v_cvt_f32_f16_sdwa v19, v3 dst_sel:DWORD dst_unused:UNUSED_PAD src0_sel:WORD_1
	v_cvt_f32_f16_e32 v18, v3
	s_mul_hi_i32 s1, s7, s6
	v_mul_f32_e32 v5, 0x45800000, v4
	v_cndmask_b32_e32 v4, v4, v5, vcc
	v_mov_b32_e32 v5, v4
	;;#ASMSTART
	v_pk_mul_f32 v[6:7], v[8:9], v[4:5]
	;;#ASMEND
	;;#ASMSTART
	v_pk_mul_f32 v[8:9], v[14:15], v[4:5]
	;;#ASMEND
	;; [unrolled: 3-line block ×4, first 2 shown]
	v_cvt_f32_f16_sdwa v11, v0 dst_sel:DWORD dst_unused:UNUSED_PAD src0_sel:WORD_1
	v_cvt_f32_f16_e32 v10, v0
	v_cvt_f32_f16_sdwa v15, v1 dst_sel:DWORD dst_unused:UNUSED_PAD src0_sel:WORD_1
	v_cvt_f32_f16_e32 v14, v1
	;; [unrolled: 2-line block ×3, first 2 shown]
	;;#ASMSTART
	v_pk_mul_f32 v[2:3], v[6:7], v[10:11]
	;;#ASMEND
	;;#ASMSTART
	v_pk_mul_f32 v[6:7], v[8:9], v[14:15]
	;;#ASMEND
	;; [unrolled: 3-line block ×4, first 2 shown]
	s_mul_i32 s0, s7, s6
	v_cvt_f16_f32_e32 v2, v2
	v_cvt_f16_f32_e32 v3, v3
	;; [unrolled: 1-line block ×8, first 2 shown]
	s_lshl_b64 s[0:1], s[0:1], 1
	s_add_u32 s8, s28, s0
	s_addc_u32 s0, s29, s1
	s_and_b32 s9, s0, 0xffff
	v_pack_b32_f16 v0, v2, v3
	v_pack_b32_f16 v1, v6, v7
	;; [unrolled: 1-line block ×4, first 2 shown]
	buffer_store_dwordx4 v[0:3], v16, s[8:11], 0 offen
	;;#ASMSTART
	s_nop 0
	;;#ASMEND
	s_endpgm
	.section	.rodata,"a",@progbits
	.p2align	6, 0x0
	.amdhsa_kernel _ZN5aiter35fused_qk_rmsnorm_group_quant_kernelIDF16_N4opus5fp4_tELi64ELi8ELi8ELb0ELb1ELb0ELb0ELb0ELb0EEEvPT0_PvPT_S7_S7_PKS6_S9_S9_S9_S9_ffiiiiiiiiiiiii
		.amdhsa_group_segment_fixed_size 0
		.amdhsa_private_segment_fixed_size 0
		.amdhsa_kernarg_size 400
		.amdhsa_user_sgpr_count 6
		.amdhsa_user_sgpr_private_segment_buffer 1
		.amdhsa_user_sgpr_dispatch_ptr 0
		.amdhsa_user_sgpr_queue_ptr 0
		.amdhsa_user_sgpr_kernarg_segment_ptr 1
		.amdhsa_user_sgpr_dispatch_id 0
		.amdhsa_user_sgpr_flat_scratch_init 0
		.amdhsa_user_sgpr_kernarg_preload_length 0
		.amdhsa_user_sgpr_kernarg_preload_offset 0
		.amdhsa_user_sgpr_private_segment_size 0
		.amdhsa_uses_dynamic_stack 0
		.amdhsa_system_sgpr_private_segment_wavefront_offset 0
		.amdhsa_system_sgpr_workgroup_id_x 1
		.amdhsa_system_sgpr_workgroup_id_y 1
		.amdhsa_system_sgpr_workgroup_id_z 0
		.amdhsa_system_sgpr_workgroup_info 0
		.amdhsa_system_vgpr_workitem_id 0
		.amdhsa_next_free_vgpr 23
		.amdhsa_next_free_sgpr 32
		.amdhsa_accum_offset 24
		.amdhsa_reserve_vcc 1
		.amdhsa_reserve_flat_scratch 0
		.amdhsa_float_round_mode_32 0
		.amdhsa_float_round_mode_16_64 0
		.amdhsa_float_denorm_mode_32 3
		.amdhsa_float_denorm_mode_16_64 3
		.amdhsa_dx10_clamp 1
		.amdhsa_ieee_mode 1
		.amdhsa_fp16_overflow 0
		.amdhsa_tg_split 0
		.amdhsa_exception_fp_ieee_invalid_op 0
		.amdhsa_exception_fp_denorm_src 0
		.amdhsa_exception_fp_ieee_div_zero 0
		.amdhsa_exception_fp_ieee_overflow 0
		.amdhsa_exception_fp_ieee_underflow 0
		.amdhsa_exception_fp_ieee_inexact 0
		.amdhsa_exception_int_div_zero 0
	.end_amdhsa_kernel
	.section	.text._ZN5aiter35fused_qk_rmsnorm_group_quant_kernelIDF16_N4opus5fp4_tELi64ELi8ELi8ELb0ELb1ELb0ELb0ELb0ELb0EEEvPT0_PvPT_S7_S7_PKS6_S9_S9_S9_S9_ffiiiiiiiiiiiii,"axG",@progbits,_ZN5aiter35fused_qk_rmsnorm_group_quant_kernelIDF16_N4opus5fp4_tELi64ELi8ELi8ELb0ELb1ELb0ELb0ELb0ELb0EEEvPT0_PvPT_S7_S7_PKS6_S9_S9_S9_S9_ffiiiiiiiiiiiii,comdat
.Lfunc_end183:
	.size	_ZN5aiter35fused_qk_rmsnorm_group_quant_kernelIDF16_N4opus5fp4_tELi64ELi8ELi8ELb0ELb1ELb0ELb0ELb0ELb0EEEvPT0_PvPT_S7_S7_PKS6_S9_S9_S9_S9_ffiiiiiiiiiiiii, .Lfunc_end183-_ZN5aiter35fused_qk_rmsnorm_group_quant_kernelIDF16_N4opus5fp4_tELi64ELi8ELi8ELb0ELb1ELb0ELb0ELb0ELb0EEEvPT0_PvPT_S7_S7_PKS6_S9_S9_S9_S9_ffiiiiiiiiiiiii
                                        ; -- End function
	.section	.AMDGPU.csdata,"",@progbits
; Kernel info:
; codeLenInByte = 2320
; NumSgprs: 36
; NumVgprs: 23
; NumAgprs: 0
; TotalNumVgprs: 23
; ScratchSize: 0
; MemoryBound: 0
; FloatMode: 240
; IeeeMode: 1
; LDSByteSize: 0 bytes/workgroup (compile time only)
; SGPRBlocks: 4
; VGPRBlocks: 2
; NumSGPRsForWavesPerEU: 36
; NumVGPRsForWavesPerEU: 23
; AccumOffset: 24
; Occupancy: 8
; WaveLimiterHint : 0
; COMPUTE_PGM_RSRC2:SCRATCH_EN: 0
; COMPUTE_PGM_RSRC2:USER_SGPR: 6
; COMPUTE_PGM_RSRC2:TRAP_HANDLER: 0
; COMPUTE_PGM_RSRC2:TGID_X_EN: 1
; COMPUTE_PGM_RSRC2:TGID_Y_EN: 1
; COMPUTE_PGM_RSRC2:TGID_Z_EN: 0
; COMPUTE_PGM_RSRC2:TIDIG_COMP_CNT: 0
; COMPUTE_PGM_RSRC3_GFX90A:ACCUM_OFFSET: 5
; COMPUTE_PGM_RSRC3_GFX90A:TG_SPLIT: 0
	.section	.text._ZN5aiter35fused_qk_rmsnorm_group_quant_kernelItN4opus5fp4_tELi64ELi8ELi8ELb0ELb1ELb0ELb0ELb0ELb0EEEvPT0_PvPT_S7_S7_PKS6_S9_S9_S9_S9_ffiiiiiiiiiiiii,"axG",@progbits,_ZN5aiter35fused_qk_rmsnorm_group_quant_kernelItN4opus5fp4_tELi64ELi8ELi8ELb0ELb1ELb0ELb0ELb0ELb0EEEvPT0_PvPT_S7_S7_PKS6_S9_S9_S9_S9_ffiiiiiiiiiiiii,comdat
	.protected	_ZN5aiter35fused_qk_rmsnorm_group_quant_kernelItN4opus5fp4_tELi64ELi8ELi8ELb0ELb1ELb0ELb0ELb0ELb0EEEvPT0_PvPT_S7_S7_PKS6_S9_S9_S9_S9_ffiiiiiiiiiiiii ; -- Begin function _ZN5aiter35fused_qk_rmsnorm_group_quant_kernelItN4opus5fp4_tELi64ELi8ELi8ELb0ELb1ELb0ELb0ELb0ELb0EEEvPT0_PvPT_S7_S7_PKS6_S9_S9_S9_S9_ffiiiiiiiiiiiii
	.globl	_ZN5aiter35fused_qk_rmsnorm_group_quant_kernelItN4opus5fp4_tELi64ELi8ELi8ELb0ELb1ELb0ELb0ELb0ELb0EEEvPT0_PvPT_S7_S7_PKS6_S9_S9_S9_S9_ffiiiiiiiiiiiii
	.p2align	8
	.type	_ZN5aiter35fused_qk_rmsnorm_group_quant_kernelItN4opus5fp4_tELi64ELi8ELi8ELb0ELb1ELb0ELb0ELb0ELb0EEEvPT0_PvPT_S7_S7_PKS6_S9_S9_S9_S9_ffiiiiiiiiiiiii,@function
_ZN5aiter35fused_qk_rmsnorm_group_quant_kernelItN4opus5fp4_tELi64ELi8ELi8ELb0ELb1ELb0ELb0ELb0ELb0EEEvPT0_PvPT_S7_S7_PKS6_S9_S9_S9_S9_ffiiiiiiiiiiiii: ; @_ZN5aiter35fused_qk_rmsnorm_group_quant_kernelItN4opus5fp4_tELi64ELi8ELi8ELb0ELb1ELb0ELb0ELb0ELb0EEEvPT0_PvPT_S7_S7_PKS6_S9_S9_S9_S9_ffiiiiiiiiiiiii
; %bb.0:
	s_load_dwordx4 s[12:15], s[4:5], 0x50
	s_waitcnt lgkmcnt(0)
	s_cmp_ge_i32 s6, s14
	s_cbranch_scc1 .LBB184_8
; %bb.1:
	s_load_dwordx2 s[8:9], s[4:5], 0x48
	s_load_dwordx2 s[30:31], s[4:5], 0x30
	s_load_dwordx4 s[16:19], s[4:5], 0x60
	s_cmp_lg_u32 s7, 0
	s_cselect_b64 s[2:3], -1, 0
	s_cmp_eq_u32 s7, 0
	s_cselect_b64 vcc, -1, 0
	s_and_b64 s[0:1], vcc, exec
	s_waitcnt lgkmcnt(0)
	s_cselect_b32 s7, s15, s16
	s_add_i32 s0, s7, 1
	s_lshr_b32 s1, s0, 31
	s_add_i32 s0, s0, s1
	s_lshl_b32 s0, s0, 1
	v_lshlrev_b32_e32 v1, 3, v0
	s_and_b32 s22, s0, -4
	v_cmp_gt_i32_e64 s[0:1], s7, v1
	v_mov_b32_e32 v2, 0
	v_mov_b32_e32 v3, 0
	;; [unrolled: 1-line block ×8, first 2 shown]
	s_and_saveexec_b64 s[10:11], s[0:1]
	s_cbranch_execz .LBB184_3
; %bb.2:
	s_load_dwordx2 s[20:21], s[4:5], 0x28
	s_load_dwordx2 s[26:27], s[4:5], 0x40
	s_and_b64 s[24:25], vcc, exec
	s_cselect_b32 s14, s17, s18
	s_mov_b32 s23, 0x20000
	s_waitcnt lgkmcnt(0)
	s_cselect_b32 s17, s21, s31
	s_cselect_b32 s19, s20, s30
	s_mul_hi_i32 s21, s14, s6
	s_mul_i32 s20, s14, s6
	s_lshl_b64 s[20:21], s[20:21], 1
	s_add_u32 s24, s19, s20
	s_addc_u32 s14, s17, s21
	s_and_b64 s[20:21], vcc, exec
	s_cselect_b32 s20, s26, s8
	s_cselect_b32 s17, s27, s9
	v_lshlrev_b32_e32 v10, 4, v0
	s_and_b32 s25, s14, 0xffff
	s_mov_b32 s26, s22
	s_mov_b32 s27, s23
	s_and_b32 s21, s17, 0xffff
	buffer_load_dwordx4 v[6:9], v10, s[24:27], 0 offen glc slc
	buffer_load_dwordx4 v[2:5], v10, s[20:23], 0 offen
.LBB184_3:
	s_or_b64 exec, exec, s[10:11]
	s_waitcnt vmcnt(1)
	v_cvt_f32_u32_sdwa v13, v6 dst_sel:DWORD dst_unused:UNUSED_PAD src0_sel:WORD_1
	v_cvt_f32_u32_sdwa v12, v6 dst_sel:DWORD dst_unused:UNUSED_PAD src0_sel:WORD_0
	v_cvt_f32_u32_sdwa v6, v9 dst_sel:DWORD dst_unused:UNUSED_PAD src0_sel:WORD_1
	v_cvt_f32_u32_sdwa v9, v9 dst_sel:DWORD dst_unused:UNUSED_PAD src0_sel:WORD_0
	;; [unrolled: 2-line block ×4, first 2 shown]
	v_cndmask_b32_e64 v13, 0, v13, s[0:1]
	v_cndmask_b32_e64 v7, 0, v6, s[0:1]
	;; [unrolled: 1-line block ×5, first 2 shown]
	v_mul_f32_e32 v14, v13, v13
	v_cndmask_b32_e64 v10, 0, v10, s[0:1]
	v_fmac_f32_e32 v14, v12, v12
	v_cndmask_b32_e64 v11, 0, v11, s[0:1]
	v_fmac_f32_e32 v14, v10, v10
	;; [unrolled: 2-line block ×3, first 2 shown]
	v_fmac_f32_e32 v14, v8, v8
	v_fmac_f32_e32 v14, v9, v9
	v_fmac_f32_e32 v14, v6, v6
	v_fmac_f32_e32 v14, v7, v7
	v_bfrev_b32_e32 v16, 0.5
	s_load_dwordx2 s[28:29], s[4:5], 0x18
	v_mov_b32_dpp v15, v14 quad_perm:[1,0,3,2] row_mask:0xf bank_mask:0xf
	v_add_f32_e32 v14, v14, v15
	s_nop 1
	v_mov_b32_dpp v15, v14 quad_perm:[2,3,0,1] row_mask:0xf bank_mask:0xf
	v_add_f32_e32 v14, v14, v15
	s_nop 1
	v_mov_b32_dpp v15, v14 row_half_mirror row_mask:0xf bank_mask:0xf
	v_add_f32_e32 v14, v14, v15
	s_nop 1
	v_mov_b32_dpp v15, v14 row_mirror row_mask:0xf bank_mask:0xf
	v_add_f32_e32 v14, v14, v15
	s_nop 1
	v_mov_b32_dpp v15, v14 row_bcast:15 row_mask:0xf bank_mask:0xf
	v_add_f32_e32 v14, v14, v15
	s_nop 1
	v_mov_b32_dpp v15, v14 row_bcast:31 row_mask:0xf bank_mask:0xf
	v_add_f32_e32 v15, v14, v15
	v_mbcnt_lo_u32_b32 v14, -1, 0
	v_mbcnt_hi_u32_b32 v14, -1, v14
	v_lshl_or_b32 v14, v14, 2, v16
	ds_bpermute_b32 v15, v14, v15
	s_and_saveexec_b64 s[10:11], s[0:1]
	s_cbranch_execz .LBB184_5
; %bb.4:
	v_cvt_f32_u32_e32 v16, s7
	v_mov_b32_e32 v17, s13
	v_mov_b32_e32 v18, s12
	v_cndmask_b32_e32 v17, v17, v18, vcc
	s_waitcnt lgkmcnt(0)
	v_div_scale_f32 v19, s[20:21], v16, v16, v15
	v_rcp_f32_e32 v20, v19
	v_div_scale_f32 v18, vcc, v15, v16, v15
	s_mov_b32 s7, 0x800000
	v_fma_f32 v21, -v19, v20, 1.0
	v_fmac_f32_e32 v20, v21, v20
	v_mul_f32_e32 v21, v18, v20
	v_fma_f32 v22, -v19, v21, v18
	v_fmac_f32_e32 v21, v22, v20
	v_fma_f32 v18, -v19, v21, v18
	v_div_fmas_f32 v18, v18, v20, v21
	v_div_fixup_f32 v15, v18, v16, v15
	v_add_f32_e32 v15, v17, v15
	v_mul_f32_e32 v16, 0x4b800000, v15
	v_cmp_gt_f32_e32 vcc, s7, v15
	v_cndmask_b32_e32 v15, v15, v16, vcc
	v_rsq_f32_e32 v15, v15
	s_waitcnt vmcnt(0)
	v_cvt_f32_u32_sdwa v19, v3 dst_sel:DWORD dst_unused:UNUSED_PAD src0_sel:WORD_1
	v_cvt_f32_u32_sdwa v18, v3 dst_sel:DWORD dst_unused:UNUSED_PAD src0_sel:WORD_0
	v_cvt_f32_u32_sdwa v3, v4 dst_sel:DWORD dst_unused:UNUSED_PAD src0_sel:WORD_1
	v_mul_f32_e32 v16, 0x45800000, v15
	v_cndmask_b32_e32 v16, v15, v16, vcc
	v_mov_b32_e32 v17, v16
	;;#ASMSTART
	v_pk_mul_f32 v[12:13], v[12:13], v[16:17]
	;;#ASMEND
	;;#ASMSTART
	v_pk_mul_f32 v[10:11], v[10:11], v[16:17]
	;;#ASMEND
	;; [unrolled: 3-line block ×4, first 2 shown]
	v_cvt_f32_u32_sdwa v17, v2 dst_sel:DWORD dst_unused:UNUSED_PAD src0_sel:WORD_1
	v_cvt_f32_u32_sdwa v16, v2 dst_sel:DWORD dst_unused:UNUSED_PAD src0_sel:WORD_0
	v_cvt_f32_u32_sdwa v2, v4 dst_sel:DWORD dst_unused:UNUSED_PAD src0_sel:WORD_0
	v_cvt_f32_u32_sdwa v21, v5 dst_sel:DWORD dst_unused:UNUSED_PAD src0_sel:WORD_1
	v_cvt_f32_u32_sdwa v20, v5 dst_sel:DWORD dst_unused:UNUSED_PAD src0_sel:WORD_0
	;;#ASMSTART
	v_pk_mul_f32 v[12:13], v[12:13], v[16:17]
	;;#ASMEND
	;;#ASMSTART
	v_pk_mul_f32 v[10:11], v[10:11], v[18:19]
	;;#ASMEND
	;;#ASMSTART
	v_pk_mul_f32 v[8:9], v[8:9], v[2:3]
	;;#ASMEND
	;;#ASMSTART
	v_pk_mul_f32 v[6:7], v[6:7], v[20:21]
	;;#ASMEND
.LBB184_5:
	s_or_b64 exec, exec, s[10:11]
	s_load_dword s7, s[4:5], 0x80
	s_mov_b64 s[10:11], -1
	s_and_b64 vcc, exec, s[2:3]
	s_cbranch_vccnz .LBB184_9
; %bb.6:
	s_andn2_b64 vcc, exec, s[10:11]
	s_cbranch_vccz .LBB184_12
.LBB184_7:
	s_cmp_lt_i32 s16, 1
	s_cbranch_scc0 .LBB184_21
.LBB184_8:
	s_endpgm
.LBB184_9:
	s_and_saveexec_b64 s[2:3], s[0:1]
	s_cbranch_execz .LBB184_11
; %bb.10:
	s_waitcnt lgkmcnt(0)
	s_mul_hi_i32 s11, s7, s6
	s_mul_i32 s10, s7, s6
	s_lshl_b64 s[10:11], s[10:11], 1
	s_add_u32 s20, s28, s10
	s_addc_u32 s10, s29, s11
	s_and_b32 s21, s10, 0xffff
	s_mov_b32 s10, 0x7060302
	s_mov_b32 s23, 0x20000
	s_waitcnt vmcnt(0)
	v_perm_b32 v2, v13, v12, s10
	v_perm_b32 v3, v11, v10, s10
	;; [unrolled: 1-line block ×4, first 2 shown]
	v_lshlrev_b32_e32 v15, 4, v0
	buffer_store_dwordx4 v[2:5], v15, s[20:23], 0 offen
	;;#ASMSTART
	s_nop 0
	;;#ASMEND
.LBB184_11:
	s_or_b64 exec, exec, s[2:3]
	s_cbranch_execnz .LBB184_7
.LBB184_12:
	s_load_dwordx4 s[24:27], s[4:5], 0x70
	s_waitcnt vmcnt(0)
	v_mov_b32_e32 v2, 0
	s_and_saveexec_b64 s[2:3], s[0:1]
	s_cbranch_execz .LBB184_14
; %bb.13:
	s_load_dwordx2 s[10:11], s[4:5], 0x10
	s_waitcnt lgkmcnt(0)
	s_mul_hi_i32 s21, s27, s6
	s_mul_i32 s20, s27, s6
	s_lshl_b64 s[20:21], s[20:21], 1
	s_mov_b32 s23, 0x20000
	s_add_u32 s20, s10, s20
	s_addc_u32 s10, s11, s21
	s_and_b32 s21, s10, 0xffff
	s_mov_b32 s10, 0x7060302
	v_perm_b32 v2, v13, v12, s10
	v_perm_b32 v3, v11, v10, s10
	;; [unrolled: 1-line block ×4, first 2 shown]
	v_lshlrev_b32_e32 v15, 4, v0
	buffer_store_dwordx4 v[2:5], v15, s[20:23], 0 offen
	;;#ASMSTART
	s_nop 0
	;;#ASMEND
	s_nop 0
	v_mov_b32_e32 v2, 0x2edbe6ff
.LBB184_14:
	s_or_b64 exec, exec, s[2:3]
	s_and_saveexec_b64 s[2:3], s[0:1]
	s_cbranch_execz .LBB184_16
; %bb.15:
	v_and_b32_e32 v3, 0x7fffffff, v12
	v_and_b32_e32 v4, 0x7fffffff, v13
	;;#ASMSTART
	v_max3_f32 v2, v2, v3, v4

	;;#ASMEND
	v_and_b32_e32 v3, 0x7fffffff, v10
	v_and_b32_e32 v4, 0x7fffffff, v11
	;;#ASMSTART
	v_max3_f32 v2, v2, v3, v4

	;;#ASMEND
	;; [unrolled: 6-line block ×4, first 2 shown]
.LBB184_16:
	s_or_b64 exec, exec, s[2:3]
	;;#ASMSTART
	v_max_f32 v3, v2, v2 quad_perm:[1,0,3,2] row_mask:0xf bank_mask:0xf bound_ctrl:1
	;;#ASMEND
	;;#ASMSTART
	v_max_f32 v4, v3, v3 quad_perm:[2,3,0,1] row_mask:0xf bank_mask:0xf bound_ctrl:1
	;;#ASMEND
	v_and_b32_e32 v3, 7, v0
	v_cmp_eq_u32_e32 vcc, 0, v3
	v_cmp_gt_i32_e64 s[2:3], s15, v1
	s_and_b64 s[10:11], vcc, s[2:3]
	;;#ASMSTART
	v_max_f32 v2, v4, v4 row_half_mirror row_mask:0xf bank_mask:0xf bound_ctrl:1
	;;#ASMEND
	s_and_saveexec_b64 s[2:3], s[10:11]
	s_cbranch_execz .LBB184_18
; %bb.17:
	s_load_dwordx2 s[10:11], s[4:5], 0x8
	v_mul_f32_e32 v2, 0x3e2aaaab, v2
	v_lshrrev_b32_e32 v3, 23, v2
	v_and_b32_e32 v4, 0x7f800000, v2
	v_and_b32_e32 v2, 0x7fffff, v2
	v_cmp_ne_u32_e32 vcc, 0, v2
	s_waitcnt lgkmcnt(0)
	s_mul_i32 s17, s25, s6
	s_mov_b32 s12, 0x7f800000
	v_addc_co_u32_e32 v2, vcc, 0, v3, vcc
	s_mul_hi_i32 s14, s25, s6
	s_add_u32 s10, s10, s17
	v_cmp_ne_u32_e32 vcc, s12, v4
	s_addc_u32 s11, s11, s14
	v_lshrrev_b32_e32 v5, 3, v0
	v_cndmask_b32_e32 v4, -1, v2, vcc
	v_pk_mov_b32 v[2:3], s[10:11], s[10:11] op_sel:[0,1]
	v_mad_i64_i32 v[2:3], s[10:11], s26, v5, v[2:3]
	global_store_byte v[2:3], v4, off
.LBB184_18:
	s_or_b64 exec, exec, s[2:3]
	s_and_saveexec_b64 s[2:3], s[0:1]
	s_cbranch_execz .LBB184_20
; %bb.19:
	s_load_dwordx2 s[0:1], s[4:5], 0x0
	s_waitcnt lgkmcnt(0)
	s_mul_i32 s11, s24, s6
	s_mul_hi_i32 s10, s24, s6
	v_lshlrev_b32_e32 v2, 2, v0
	s_mov_b32 s23, 0x20000
	s_add_u32 s20, s0, s11
	s_addc_u32 s0, s1, s10
	s_lshr_b32 s1, s15, 31
	s_add_i32 s1, s15, s1
	s_ashr_i32 s1, s1, 1
	s_add_i32 s1, s1, 3
	s_ashr_i32 s10, s1, 31
	s_lshr_b32 s10, s10, 30
	s_add_i32 s1, s1, s10
	s_and_b32 s22, s1, -4
	s_and_b32 s21, s0, 0xffff
	v_mov_b32_e32 v3, 0
	buffer_store_dword v3, v2, s[20:23], 0 offen
	;;#ASMSTART
	s_nop 0
	;;#ASMEND
.LBB184_20:
	s_or_b64 exec, exec, s[2:3]
	s_cmp_lt_i32 s16, 1
	s_cbranch_scc1 .LBB184_8
.LBB184_21:
	s_load_dword s0, s[4:5], 0x94
	s_waitcnt lgkmcnt(0)
	s_cmp_lg_u32 s0, 1
	s_cbranch_scc1 .LBB184_8
; %bb.22:
	s_lshl_b32 s0, s16, 1
	s_add_i32 s0, s0, 2
	v_cmp_gt_u32_e32 vcc, s16, v1
	s_and_b32 s10, s0, -4
	s_waitcnt vmcnt(0)
	v_mov_b32_e32 v4, 0
	v_lshlrev_b32_e32 v12, 4, v0
	v_mov_b32_e32 v5, 0
	v_mov_b32_e32 v6, 0
	;; [unrolled: 1-line block ×7, first 2 shown]
	s_barrier
	s_and_saveexec_b64 s[0:1], vcc
	s_cbranch_execz .LBB184_24
; %bb.23:
	s_mul_hi_i32 s3, s18, s6
	s_mul_i32 s2, s18, s6
	s_and_b32 s9, s9, 0xffff
	s_lshl_b64 s[2:3], s[2:3], 1
	s_add_u32 s20, s30, s2
	s_mov_b32 s11, 0x20000
	s_addc_u32 s2, s31, s3
	s_and_b32 s21, s2, 0xffff
	s_mov_b32 s22, s10
	s_mov_b32 s23, s11
	buffer_load_dwordx4 v[4:7], v12, s[20:23], 0 offen glc slc
	buffer_load_dwordx4 v[0:3], v12, s[8:11], 0 offen
.LBB184_24:
	s_or_b64 exec, exec, s[0:1]
	s_waitcnt vmcnt(1)
	v_cvt_f32_u32_sdwa v11, v4 dst_sel:DWORD dst_unused:UNUSED_PAD src0_sel:WORD_1
	v_cvt_f32_u32_sdwa v10, v4 dst_sel:DWORD dst_unused:UNUSED_PAD src0_sel:WORD_0
	v_cvt_f32_u32_sdwa v4, v7 dst_sel:DWORD dst_unused:UNUSED_PAD src0_sel:WORD_1
	v_cvt_f32_u32_sdwa v7, v7 dst_sel:DWORD dst_unused:UNUSED_PAD src0_sel:WORD_0
	;; [unrolled: 2-line block ×4, first 2 shown]
	v_cndmask_b32_e32 v11, 0, v11, vcc
	v_cndmask_b32_e32 v5, 0, v4, vcc
	;; [unrolled: 1-line block ×5, first 2 shown]
	v_mul_f32_e32 v13, v11, v11
	v_cndmask_b32_e32 v8, 0, v8, vcc
	v_fmac_f32_e32 v13, v10, v10
	v_cndmask_b32_e32 v9, 0, v9, vcc
	v_fmac_f32_e32 v13, v8, v8
	;; [unrolled: 2-line block ×3, first 2 shown]
	v_fmac_f32_e32 v13, v6, v6
	v_fmac_f32_e32 v13, v7, v7
	;; [unrolled: 1-line block ×4, first 2 shown]
	s_nop 1
	v_mov_b32_dpp v15, v13 quad_perm:[1,0,3,2] row_mask:0xf bank_mask:0xf
	v_add_f32_e32 v13, v13, v15
	s_nop 1
	v_mov_b32_dpp v15, v13 quad_perm:[2,3,0,1] row_mask:0xf bank_mask:0xf
	v_add_f32_e32 v13, v13, v15
	s_nop 1
	v_mov_b32_dpp v15, v13 row_half_mirror row_mask:0xf bank_mask:0xf
	v_add_f32_e32 v13, v13, v15
	s_nop 1
	v_mov_b32_dpp v15, v13 row_mirror row_mask:0xf bank_mask:0xf
	v_add_f32_e32 v13, v13, v15
	s_nop 1
	v_mov_b32_dpp v15, v13 row_bcast:15 row_mask:0xf bank_mask:0xf
	v_add_f32_e32 v13, v13, v15
	s_nop 1
	v_mov_b32_dpp v15, v13 row_bcast:31 row_mask:0xf bank_mask:0xf
	v_add_f32_e32 v13, v13, v15
	ds_bpermute_b32 v13, v14, v13
	s_and_saveexec_b64 s[0:1], vcc
	s_cbranch_execz .LBB184_8
; %bb.25:
	v_cvt_f32_u32_e32 v14, s16
	s_mov_b32 s11, 0x20000
	s_waitcnt lgkmcnt(0)
	v_div_scale_f32 v15, s[0:1], v14, v14, v13
	v_rcp_f32_e32 v16, v15
	v_div_scale_f32 v17, vcc, v13, v14, v13
	s_mov_b32 s0, 0x800000
	v_fma_f32 v18, -v15, v16, 1.0
	v_fmac_f32_e32 v16, v18, v16
	v_mul_f32_e32 v18, v17, v16
	v_fma_f32 v19, -v15, v18, v17
	v_fmac_f32_e32 v18, v19, v16
	v_fma_f32 v15, -v15, v18, v17
	v_div_fmas_f32 v15, v15, v16, v18
	v_div_fixup_f32 v13, v15, v14, v13
	v_add_f32_e32 v13, s13, v13
	v_mul_f32_e32 v14, 0x4b800000, v13
	v_cmp_gt_f32_e32 vcc, s0, v13
	v_cndmask_b32_e32 v13, v13, v14, vcc
	v_rsq_f32_e32 v13, v13
	s_mul_hi_i32 s1, s7, s6
	s_mul_i32 s0, s7, s6
	s_lshl_b64 s[0:1], s[0:1], 1
	v_mul_f32_e32 v14, 0x45800000, v13
	v_cndmask_b32_e32 v14, v13, v14, vcc
	s_add_u32 s8, s28, s0
	v_mov_b32_e32 v15, v14
	s_addc_u32 s0, s29, s1
	;;#ASMSTART
	v_pk_mul_f32 v[10:11], v[10:11], v[14:15]
	;;#ASMEND
	;;#ASMSTART
	v_pk_mul_f32 v[8:9], v[8:9], v[14:15]
	;;#ASMEND
	;; [unrolled: 3-line block ×4, first 2 shown]
	s_waitcnt vmcnt(0)
	v_cvt_f32_u32_sdwa v15, v0 dst_sel:DWORD dst_unused:UNUSED_PAD src0_sel:WORD_1
	v_cvt_f32_u32_sdwa v14, v0 dst_sel:DWORD dst_unused:UNUSED_PAD src0_sel:WORD_0
	v_cvt_f32_u32_sdwa v17, v1 dst_sel:DWORD dst_unused:UNUSED_PAD src0_sel:WORD_1
	v_cvt_f32_u32_sdwa v16, v1 dst_sel:DWORD dst_unused:UNUSED_PAD src0_sel:WORD_0
	;; [unrolled: 2-line block ×4, first 2 shown]
	;;#ASMSTART
	v_pk_mul_f32 v[2:3], v[10:11], v[14:15]
	;;#ASMEND
	s_and_b32 s9, s0, 0xffff
	s_mov_b32 s0, 0x7060302
	;;#ASMSTART
	v_pk_mul_f32 v[8:9], v[8:9], v[16:17]
	;;#ASMEND
	;;#ASMSTART
	v_pk_mul_f32 v[6:7], v[6:7], v[0:1]
	;;#ASMEND
	;; [unrolled: 3-line block ×3, first 2 shown]
	v_perm_b32 v0, v3, v2, s0
	v_perm_b32 v1, v9, v8, s0
	;; [unrolled: 1-line block ×4, first 2 shown]
	buffer_store_dwordx4 v[0:3], v12, s[8:11], 0 offen
	;;#ASMSTART
	s_nop 0
	;;#ASMEND
	s_endpgm
	.section	.rodata,"a",@progbits
	.p2align	6, 0x0
	.amdhsa_kernel _ZN5aiter35fused_qk_rmsnorm_group_quant_kernelItN4opus5fp4_tELi64ELi8ELi8ELb0ELb1ELb0ELb0ELb0ELb0EEEvPT0_PvPT_S7_S7_PKS6_S9_S9_S9_S9_ffiiiiiiiiiiiii
		.amdhsa_group_segment_fixed_size 0
		.amdhsa_private_segment_fixed_size 0
		.amdhsa_kernarg_size 400
		.amdhsa_user_sgpr_count 6
		.amdhsa_user_sgpr_private_segment_buffer 1
		.amdhsa_user_sgpr_dispatch_ptr 0
		.amdhsa_user_sgpr_queue_ptr 0
		.amdhsa_user_sgpr_kernarg_segment_ptr 1
		.amdhsa_user_sgpr_dispatch_id 0
		.amdhsa_user_sgpr_flat_scratch_init 0
		.amdhsa_user_sgpr_kernarg_preload_length 0
		.amdhsa_user_sgpr_kernarg_preload_offset 0
		.amdhsa_user_sgpr_private_segment_size 0
		.amdhsa_uses_dynamic_stack 0
		.amdhsa_system_sgpr_private_segment_wavefront_offset 0
		.amdhsa_system_sgpr_workgroup_id_x 1
		.amdhsa_system_sgpr_workgroup_id_y 1
		.amdhsa_system_sgpr_workgroup_id_z 0
		.amdhsa_system_sgpr_workgroup_info 0
		.amdhsa_system_vgpr_workitem_id 0
		.amdhsa_next_free_vgpr 23
		.amdhsa_next_free_sgpr 32
		.amdhsa_accum_offset 24
		.amdhsa_reserve_vcc 1
		.amdhsa_reserve_flat_scratch 0
		.amdhsa_float_round_mode_32 0
		.amdhsa_float_round_mode_16_64 0
		.amdhsa_float_denorm_mode_32 3
		.amdhsa_float_denorm_mode_16_64 3
		.amdhsa_dx10_clamp 1
		.amdhsa_ieee_mode 1
		.amdhsa_fp16_overflow 0
		.amdhsa_tg_split 0
		.amdhsa_exception_fp_ieee_invalid_op 0
		.amdhsa_exception_fp_denorm_src 0
		.amdhsa_exception_fp_ieee_div_zero 0
		.amdhsa_exception_fp_ieee_overflow 0
		.amdhsa_exception_fp_ieee_underflow 0
		.amdhsa_exception_fp_ieee_inexact 0
		.amdhsa_exception_int_div_zero 0
	.end_amdhsa_kernel
	.section	.text._ZN5aiter35fused_qk_rmsnorm_group_quant_kernelItN4opus5fp4_tELi64ELi8ELi8ELb0ELb1ELb0ELb0ELb0ELb0EEEvPT0_PvPT_S7_S7_PKS6_S9_S9_S9_S9_ffiiiiiiiiiiiii,"axG",@progbits,_ZN5aiter35fused_qk_rmsnorm_group_quant_kernelItN4opus5fp4_tELi64ELi8ELi8ELb0ELb1ELb0ELb0ELb0ELb0EEEvPT0_PvPT_S7_S7_PKS6_S9_S9_S9_S9_ffiiiiiiiiiiiii,comdat
.Lfunc_end184:
	.size	_ZN5aiter35fused_qk_rmsnorm_group_quant_kernelItN4opus5fp4_tELi64ELi8ELi8ELb0ELb1ELb0ELb0ELb0ELb0EEEvPT0_PvPT_S7_S7_PKS6_S9_S9_S9_S9_ffiiiiiiiiiiiii, .Lfunc_end184-_ZN5aiter35fused_qk_rmsnorm_group_quant_kernelItN4opus5fp4_tELi64ELi8ELi8ELb0ELb1ELb0ELb0ELb0ELb0EEEvPT0_PvPT_S7_S7_PKS6_S9_S9_S9_S9_ffiiiiiiiiiiiii
                                        ; -- End function
	.section	.AMDGPU.csdata,"",@progbits
; Kernel info:
; codeLenInByte = 2312
; NumSgprs: 36
; NumVgprs: 23
; NumAgprs: 0
; TotalNumVgprs: 23
; ScratchSize: 0
; MemoryBound: 0
; FloatMode: 240
; IeeeMode: 1
; LDSByteSize: 0 bytes/workgroup (compile time only)
; SGPRBlocks: 4
; VGPRBlocks: 2
; NumSGPRsForWavesPerEU: 36
; NumVGPRsForWavesPerEU: 23
; AccumOffset: 24
; Occupancy: 8
; WaveLimiterHint : 0
; COMPUTE_PGM_RSRC2:SCRATCH_EN: 0
; COMPUTE_PGM_RSRC2:USER_SGPR: 6
; COMPUTE_PGM_RSRC2:TRAP_HANDLER: 0
; COMPUTE_PGM_RSRC2:TGID_X_EN: 1
; COMPUTE_PGM_RSRC2:TGID_Y_EN: 1
; COMPUTE_PGM_RSRC2:TGID_Z_EN: 0
; COMPUTE_PGM_RSRC2:TIDIG_COMP_CNT: 0
; COMPUTE_PGM_RSRC3_GFX90A:ACCUM_OFFSET: 5
; COMPUTE_PGM_RSRC3_GFX90A:TG_SPLIT: 0
	.section	.text._ZN5aiter35fused_qk_rmsnorm_group_quant_kernelIDF16_DB8_Li64ELi8ELi8ELb0ELb0ELb1ELb0ELb0ELb0EEEvPT0_PvPT_S6_S6_PKS5_S8_S8_S8_S8_ffiiiiiiiiiiiii,"axG",@progbits,_ZN5aiter35fused_qk_rmsnorm_group_quant_kernelIDF16_DB8_Li64ELi8ELi8ELb0ELb0ELb1ELb0ELb0ELb0EEEvPT0_PvPT_S6_S6_PKS5_S8_S8_S8_S8_ffiiiiiiiiiiiii,comdat
	.protected	_ZN5aiter35fused_qk_rmsnorm_group_quant_kernelIDF16_DB8_Li64ELi8ELi8ELb0ELb0ELb1ELb0ELb0ELb0EEEvPT0_PvPT_S6_S6_PKS5_S8_S8_S8_S8_ffiiiiiiiiiiiii ; -- Begin function _ZN5aiter35fused_qk_rmsnorm_group_quant_kernelIDF16_DB8_Li64ELi8ELi8ELb0ELb0ELb1ELb0ELb0ELb0EEEvPT0_PvPT_S6_S6_PKS5_S8_S8_S8_S8_ffiiiiiiiiiiiii
	.globl	_ZN5aiter35fused_qk_rmsnorm_group_quant_kernelIDF16_DB8_Li64ELi8ELi8ELb0ELb0ELb1ELb0ELb0ELb0EEEvPT0_PvPT_S6_S6_PKS5_S8_S8_S8_S8_ffiiiiiiiiiiiii
	.p2align	8
	.type	_ZN5aiter35fused_qk_rmsnorm_group_quant_kernelIDF16_DB8_Li64ELi8ELi8ELb0ELb0ELb1ELb0ELb0ELb0EEEvPT0_PvPT_S6_S6_PKS5_S8_S8_S8_S8_ffiiiiiiiiiiiii,@function
_ZN5aiter35fused_qk_rmsnorm_group_quant_kernelIDF16_DB8_Li64ELi8ELi8ELb0ELb0ELb1ELb0ELb0ELb0EEEvPT0_PvPT_S6_S6_PKS5_S8_S8_S8_S8_ffiiiiiiiiiiiii: ; @_ZN5aiter35fused_qk_rmsnorm_group_quant_kernelIDF16_DB8_Li64ELi8ELi8ELb0ELb0ELb1ELb0ELb0ELb0EEEvPT0_PvPT_S6_S6_PKS5_S8_S8_S8_S8_ffiiiiiiiiiiiii
; %bb.0:
	s_load_dwordx4 s[12:15], s[4:5], 0x50
	s_waitcnt lgkmcnt(0)
	s_cmp_ge_i32 s6, s14
	s_cbranch_scc1 .LBB185_10
; %bb.1:
	s_load_dwordx2 s[8:9], s[4:5], 0x48
	s_load_dwordx2 s[26:27], s[4:5], 0x30
	s_load_dwordx4 s[16:19], s[4:5], 0x60
	s_cmp_lg_u32 s7, 0
	s_cselect_b64 s[2:3], -1, 0
	s_cmp_eq_u32 s7, 0
	s_cselect_b64 vcc, -1, 0
	s_and_b64 s[0:1], vcc, exec
	s_waitcnt lgkmcnt(0)
	s_cselect_b32 s7, s15, s16
	s_add_i32 s0, s7, 1
	s_lshr_b32 s1, s0, 31
	s_add_i32 s0, s0, s1
	s_lshl_b32 s0, s0, 1
	v_lshlrev_b32_e32 v1, 3, v0
	s_and_b32 s22, s0, -4
	v_cmp_gt_i32_e64 s[0:1], s7, v1
	v_mov_b32_e32 v10, 0
	v_mov_b32_e32 v2, 0
	;; [unrolled: 1-line block ×9, first 2 shown]
	s_and_saveexec_b64 s[10:11], s[0:1]
	s_cbranch_execz .LBB185_3
; %bb.2:
	s_load_dwordx2 s[20:21], s[4:5], 0x28
	s_load_dwordx2 s[24:25], s[4:5], 0x40
	s_and_b64 s[28:29], vcc, exec
	s_cselect_b32 s14, s17, s18
	s_mov_b32 s23, 0x20000
	s_waitcnt lgkmcnt(0)
	s_cselect_b32 s17, s21, s27
	s_cselect_b32 s19, s20, s26
	s_mul_hi_i32 s21, s14, s6
	s_mul_i32 s20, s14, s6
	s_lshl_b64 s[20:21], s[20:21], 1
	s_add_u32 s28, s19, s20
	s_addc_u32 s14, s17, s21
	s_and_b64 s[20:21], vcc, exec
	s_cselect_b32 s20, s24, s8
	s_cselect_b32 s17, s25, s9
	v_lshlrev_b32_e32 v11, 4, v0
	s_and_b32 s29, s14, 0xffff
	s_mov_b32 s30, s22
	s_mov_b32 s31, s23
	s_and_b32 s21, s17, 0xffff
	buffer_load_dwordx4 v[6:9], v11, s[28:31], 0 offen glc slc
	buffer_load_dwordx4 v[2:5], v11, s[20:23], 0 offen
.LBB185_3:
	s_or_b64 exec, exec, s[10:11]
	v_mov_b32_e32 v11, 0
	v_mov_b32_e32 v16, 0
	;; [unrolled: 1-line block ×7, first 2 shown]
	s_and_saveexec_b64 s[10:11], s[0:1]
	s_cbranch_execz .LBB185_5
; %bb.4:
	s_waitcnt vmcnt(1)
	v_cvt_f32_f16_sdwa v11, v6 dst_sel:DWORD dst_unused:UNUSED_PAD src0_sel:WORD_1
	v_cvt_f32_f16_e32 v10, v6
	v_cvt_f32_f16_sdwa v17, v7 dst_sel:DWORD dst_unused:UNUSED_PAD src0_sel:WORD_1
	v_cvt_f32_f16_e32 v16, v7
	;; [unrolled: 2-line block ×4, first 2 shown]
.LBB185_5:
	s_or_b64 exec, exec, s[10:11]
	s_waitcnt vmcnt(1)
	v_mul_f32_e32 v6, v11, v11
	v_fmac_f32_e32 v6, v10, v10
	v_fmac_f32_e32 v6, v16, v16
	;; [unrolled: 1-line block ×7, first 2 shown]
	v_bfrev_b32_e32 v8, 0.5
	s_load_dwordx2 s[24:25], s[4:5], 0x18
	v_mov_b32_dpp v7, v6 quad_perm:[1,0,3,2] row_mask:0xf bank_mask:0xf
	v_add_f32_e32 v6, v6, v7
	s_nop 1
	v_mov_b32_dpp v7, v6 quad_perm:[2,3,0,1] row_mask:0xf bank_mask:0xf
	v_add_f32_e32 v6, v6, v7
	s_nop 1
	v_mov_b32_dpp v7, v6 row_half_mirror row_mask:0xf bank_mask:0xf
	v_add_f32_e32 v6, v6, v7
	s_nop 1
	v_mov_b32_dpp v7, v6 row_mirror row_mask:0xf bank_mask:0xf
	v_add_f32_e32 v6, v6, v7
	s_nop 1
	v_mov_b32_dpp v7, v6 row_bcast:15 row_mask:0xf bank_mask:0xf
	v_add_f32_e32 v6, v6, v7
	s_nop 1
	v_mov_b32_dpp v7, v6 row_bcast:31 row_mask:0xf bank_mask:0xf
	v_add_f32_e32 v6, v6, v7
	v_mbcnt_lo_u32_b32 v7, -1, 0
	v_mbcnt_hi_u32_b32 v7, -1, v7
	v_lshl_or_b32 v18, v7, 2, v8
	ds_bpermute_b32 v6, v18, v6
	s_and_saveexec_b64 s[10:11], s[0:1]
	s_cbranch_execz .LBB185_7
; %bb.6:
	v_cvt_f32_u32_e32 v7, s7
	v_mov_b32_e32 v8, s13
	v_mov_b32_e32 v9, s12
	v_cndmask_b32_e32 v8, v8, v9, vcc
	s_waitcnt lgkmcnt(0)
	v_div_scale_f32 v19, s[20:21], v7, v7, v6
	v_rcp_f32_e32 v20, v19
	v_div_scale_f32 v9, vcc, v6, v7, v6
	s_mov_b32 s7, 0x800000
	v_fma_f32 v21, -v19, v20, 1.0
	v_fmac_f32_e32 v20, v21, v20
	v_mul_f32_e32 v21, v9, v20
	v_fma_f32 v22, -v19, v21, v9
	v_fmac_f32_e32 v21, v22, v20
	v_fma_f32 v9, -v19, v21, v9
	v_div_fmas_f32 v9, v9, v20, v21
	v_div_fixup_f32 v6, v9, v7, v6
	v_add_f32_e32 v6, v8, v6
	v_mul_f32_e32 v7, 0x4b800000, v6
	v_cmp_gt_f32_e32 vcc, s7, v6
	v_cndmask_b32_e32 v6, v6, v7, vcc
	v_rsq_f32_e32 v6, v6
	s_waitcnt vmcnt(0)
	v_cvt_f32_f16_sdwa v21, v3 dst_sel:DWORD dst_unused:UNUSED_PAD src0_sel:WORD_1
	v_cvt_f32_f16_e32 v20, v3
	v_mul_f32_e32 v7, 0x45800000, v6
	v_cndmask_b32_e32 v6, v6, v7, vcc
	v_mov_b32_e32 v7, v6
	;;#ASMSTART
	v_pk_mul_f32 v[8:9], v[10:11], v[6:7]
	;;#ASMEND
	v_cvt_f32_f16_sdwa v11, v2 dst_sel:DWORD dst_unused:UNUSED_PAD src0_sel:WORD_1
	v_cvt_f32_f16_e32 v10, v2
	;;#ASMSTART
	v_pk_mul_f32 v[16:17], v[16:17], v[6:7]
	;;#ASMEND
	;;#ASMSTART
	v_pk_mul_f32 v[14:15], v[14:15], v[6:7]
	;;#ASMEND
	;; [unrolled: 3-line block ×3, first 2 shown]
	v_pk_add_f32 v[6:7], v[10:11], 1.0 op_sel_hi:[1,0]
	;;#ASMSTART
	v_pk_mul_f32 v[10:11], v[8:9], v[6:7]
	;;#ASMEND
	v_cvt_f32_f16_sdwa v9, v4 dst_sel:DWORD dst_unused:UNUSED_PAD src0_sel:WORD_1
	v_cvt_f32_f16_e32 v8, v4
	v_cvt_f32_f16_sdwa v13, v5 dst_sel:DWORD dst_unused:UNUSED_PAD src0_sel:WORD_1
	v_cvt_f32_f16_e32 v12, v5
	v_pk_add_f32 v[6:7], v[20:21], 1.0 op_sel_hi:[1,0]
	v_pk_add_f32 v[4:5], v[8:9], 1.0 op_sel_hi:[1,0]
	;;#ASMSTART
	v_pk_mul_f32 v[16:17], v[16:17], v[6:7]
	;;#ASMEND
	;;#ASMSTART
	v_pk_mul_f32 v[14:15], v[14:15], v[4:5]
	;;#ASMEND
	v_pk_add_f32 v[4:5], v[12:13], 1.0 op_sel_hi:[1,0]
	;;#ASMSTART
	v_pk_mul_f32 v[12:13], v[2:3], v[4:5]
	;;#ASMEND
.LBB185_7:
	s_or_b64 exec, exec, s[10:11]
	s_load_dword s7, s[4:5], 0x80
	s_mov_b64 s[10:11], -1
	s_and_b64 vcc, exec, s[2:3]
	s_cbranch_vccnz .LBB185_11
; %bb.8:
	s_andn2_b64 vcc, exec, s[10:11]
	s_cbranch_vccz .LBB185_14
.LBB185_9:
	s_cmp_lt_i32 s16, 1
	s_cbranch_scc0 .LBB185_21
.LBB185_10:
	s_endpgm
.LBB185_11:
	s_and_saveexec_b64 s[2:3], s[0:1]
	s_cbranch_execz .LBB185_13
; %bb.12:
	s_waitcnt lgkmcnt(0)
	s_mul_hi_i32 s11, s7, s6
	s_mul_i32 s10, s7, s6
	s_waitcnt vmcnt(0)
	v_cvt_f16_f32_e32 v2, v10
	v_cvt_f16_f32_e32 v3, v16
	;; [unrolled: 1-line block ×8, first 2 shown]
	s_lshl_b64 s[10:11], s[10:11], 1
	s_add_u32 s20, s24, s10
	s_addc_u32 s10, s25, s11
	s_and_b32 s21, s10, 0xffff
	s_mov_b32 s23, 0x20000
	v_pack_b32_f16 v5, v5, v6
	v_pack_b32_f16 v4, v4, v7
	;; [unrolled: 1-line block ×4, first 2 shown]
	v_lshlrev_b32_e32 v6, 4, v0
	buffer_store_dwordx4 v[2:5], v6, s[20:23], 0 offen
	;;#ASMSTART
	s_nop 0
	;;#ASMEND
.LBB185_13:
	s_or_b64 exec, exec, s[2:3]
	s_cbranch_execnz .LBB185_9
.LBB185_14:
	s_waitcnt vmcnt(0)
	v_mov_b32_e32 v2, 0
	s_and_saveexec_b64 s[2:3], s[0:1]
	s_cbranch_execz .LBB185_16
; %bb.15:
	v_and_b32_e32 v2, 0x7fffffff, v10
	v_and_b32_e32 v3, 0x7fffffff, v11
	v_mov_b32_e32 v4, 0x2edbe6ff
	;;#ASMSTART
	v_max3_f32 v2, v4, v2, v3

	;;#ASMEND
	v_and_b32_e32 v3, 0x7fffffff, v16
	v_and_b32_e32 v4, 0x7fffffff, v17
	;;#ASMSTART
	v_max3_f32 v2, v2, v3, v4

	;;#ASMEND
	v_and_b32_e32 v3, 0x7fffffff, v14
	v_and_b32_e32 v4, 0x7fffffff, v15
	;; [unrolled: 6-line block ×3, first 2 shown]
	;;#ASMSTART
	v_max3_f32 v2, v2, v3, v4

	;;#ASMEND
.LBB185_16:
	s_or_b64 exec, exec, s[2:3]
	s_load_dwordx4 s[20:23], s[4:5], 0x70
	;;#ASMSTART
	v_max_f32 v3, v2, v2 quad_perm:[1,0,3,2] row_mask:0xf bank_mask:0xf bound_ctrl:1
	;;#ASMEND
	;;#ASMSTART
	v_max_f32 v2, v3, v3 quad_perm:[2,3,0,1] row_mask:0xf bank_mask:0xf bound_ctrl:1
	;;#ASMEND
	;;#ASMSTART
	v_max_f32 v3, v2, v2 row_half_mirror row_mask:0xf bank_mask:0xf bound_ctrl:1
	;;#ASMEND
	v_mul_f32_e32 v2, 0x3b124925, v3
	v_and_b32_e32 v3, 7, v0
	v_cmp_eq_u32_e32 vcc, 0, v3
	v_cmp_gt_i32_e64 s[2:3], s15, v1
	s_and_b64 s[10:11], vcc, s[2:3]
	s_and_saveexec_b64 s[2:3], s[10:11]
	s_cbranch_execz .LBB185_18
; %bb.17:
	s_load_dwordx2 s[10:11], s[4:5], 0x8
	v_lshrrev_b32_e32 v3, 3, v0
	s_waitcnt lgkmcnt(0)
	s_mul_hi_i32 s29, s21, s6
	s_mul_i32 s28, s21, s6
	v_mad_i64_i32 v[4:5], s[22:23], s22, v3, 0
	s_lshl_b64 s[22:23], s[28:29], 2
	s_add_u32 s10, s10, s22
	s_addc_u32 s11, s11, s23
	v_lshlrev_b64 v[4:5], 2, v[4:5]
	v_mov_b32_e32 v3, s11
	v_add_co_u32_e32 v4, vcc, s10, v4
	v_addc_co_u32_e32 v5, vcc, v3, v5, vcc
	global_store_dword v[4:5], v2, off
.LBB185_18:
	s_or_b64 exec, exec, s[2:3]
	;;#ASMSTART
	v_rcp_f32 v2, v2
	;;#ASMEND
	s_and_saveexec_b64 s[10:11], s[0:1]
	s_cbranch_execz .LBB185_20
; %bb.19:
	v_mov_b32_e32 v3, v2
	;;#ASMSTART
	v_pk_mul_f32 v[4:5], v[10:11], v[2:3]
	;;#ASMEND
	s_load_dwordx2 s[0:1], s[4:5], 0x0
	v_mov_b32_e32 v8, 0xc3e00000
	v_mov_b32_e32 v9, 0x43e00000
	s_waitcnt lgkmcnt(0)
	;;#ASMSTART
	v_med3_f32 v4, v4, v8, v9
v_med3_f32 v5, v5, v8, v9
v_cvt_pk_fp8_f32 v6, v4, v5
	;;#ASMEND
	;;#ASMSTART
	v_pk_mul_f32 v[4:5], v[16:17], v[2:3]
	;;#ASMEND
	;;#ASMSTART
	v_med3_f32 v4, v4, v8, v9
v_med3_f32 v5, v5, v8, v9
v_cvt_pk_fp8_f32 v7, v4, v5
	;;#ASMEND
	s_mov_b32 s14, 0x5040100
	v_perm_b32 v5, v7, v6, s14
	s_movk_i32 s14, 0xff
	s_mul_i32 s3, s20, s6
	v_and_b32_e32 v4, 0xffffff00, v7
	v_and_b32_sdwa v6, v5, s14 dst_sel:DWORD dst_unused:UNUSED_PAD src0_sel:WORD_1 src1_sel:DWORD
	s_mul_hi_i32 s2, s20, s6
	s_mov_b32 s12, 0xffff
	s_add_u32 s0, s0, s3
	v_or_b32_sdwa v4, v6, v4 dst_sel:WORD_1 dst_unused:UNUSED_PAD src0_sel:DWORD src1_sel:DWORD
	s_addc_u32 s1, s1, s2
	s_add_i32 s2, s15, 3
	v_and_or_b32 v4, v5, s12, v4
	;;#ASMSTART
	v_pk_mul_f32 v[6:7], v[14:15], v[2:3]
	;;#ASMEND
	v_mov_b32_e32 v5, v7
	s_ashr_i32 s3, s2, 31
	;;#ASMSTART
	v_med3_f32 v6, v6, v8, v9
v_med3_f32 v5, v5, v8, v9
v_cvt_pk_fp8_f32 v7, v6, v5
	;;#ASMEND
	;;#ASMSTART
	v_pk_mul_f32 v[2:3], v[12:13], v[2:3]
	;;#ASMEND
	s_lshr_b32 s3, s3, 30
	;;#ASMSTART
	v_med3_f32 v2, v2, v8, v9
v_med3_f32 v3, v3, v8, v9
v_cvt_pk_fp8_f32 v5, v2, v3
	;;#ASMEND
	s_add_i32 s2, s2, s3
	v_lshlrev_b32_e32 v2, 16, v5
	s_and_b32 s2, s2, -4
	s_and_b32 s1, s1, 0xffff
	s_mov_b32 s3, 0x20000
	v_and_or_b32 v5, v7, s12, v2
	buffer_store_dwordx2 v[4:5], v1, s[0:3], 0 offen
	;;#ASMSTART
	s_nop 0
	;;#ASMEND
.LBB185_20:
	s_or_b64 exec, exec, s[10:11]
	s_cmp_lt_i32 s16, 1
	s_cbranch_scc1 .LBB185_10
.LBB185_21:
	s_load_dword s0, s[4:5], 0x94
	s_waitcnt lgkmcnt(0)
	s_cmp_lg_u32 s0, 1
	s_cbranch_scc1 .LBB185_10
; %bb.22:
	s_lshl_b32 s0, s16, 1
	s_add_i32 s0, s0, 2
	v_cmp_gt_u32_e32 vcc, s16, v1
	s_and_b32 s10, s0, -4
	v_mov_b32_e32 v8, 0
	v_lshlrev_b32_e32 v16, 4, v0
	s_waitcnt vmcnt(0)
	v_mov_b32_e32 v4, 0
	v_mov_b32_e32 v5, 0
	;; [unrolled: 1-line block ×8, first 2 shown]
	s_barrier
	s_and_saveexec_b64 s[0:1], vcc
	s_cbranch_execz .LBB185_24
; %bb.23:
	s_mul_hi_i32 s3, s18, s6
	s_mul_i32 s2, s18, s6
	s_and_b32 s9, s9, 0xffff
	s_lshl_b64 s[2:3], s[2:3], 1
	s_add_u32 s20, s26, s2
	s_mov_b32 s11, 0x20000
	s_addc_u32 s2, s27, s3
	s_and_b32 s21, s2, 0xffff
	s_mov_b32 s22, s10
	s_mov_b32 s23, s11
	buffer_load_dwordx4 v[4:7], v16, s[20:23], 0 offen glc slc
	buffer_load_dwordx4 v[0:3], v16, s[8:11], 0 offen
.LBB185_24:
	s_or_b64 exec, exec, s[0:1]
	v_mov_b32_e32 v9, 0
	v_mov_b32_e32 v12, 0
	;; [unrolled: 1-line block ×7, first 2 shown]
	s_and_saveexec_b64 s[0:1], vcc
	s_cbranch_execz .LBB185_26
; %bb.25:
	s_waitcnt vmcnt(1)
	v_cvt_f32_f16_sdwa v9, v4 dst_sel:DWORD dst_unused:UNUSED_PAD src0_sel:WORD_1
	v_cvt_f32_f16_e32 v8, v4
	v_cvt_f32_f16_sdwa v13, v5 dst_sel:DWORD dst_unused:UNUSED_PAD src0_sel:WORD_1
	v_cvt_f32_f16_e32 v12, v5
	;; [unrolled: 2-line block ×4, first 2 shown]
.LBB185_26:
	s_or_b64 exec, exec, s[0:1]
	s_waitcnt vmcnt(1)
	v_mul_f32_e32 v4, v9, v9
	v_fmac_f32_e32 v4, v8, v8
	v_fmac_f32_e32 v4, v12, v12
	;; [unrolled: 1-line block ×7, first 2 shown]
	s_nop 1
	v_mov_b32_dpp v5, v4 quad_perm:[1,0,3,2] row_mask:0xf bank_mask:0xf
	v_add_f32_e32 v4, v4, v5
	s_nop 1
	v_mov_b32_dpp v5, v4 quad_perm:[2,3,0,1] row_mask:0xf bank_mask:0xf
	v_add_f32_e32 v4, v4, v5
	s_nop 1
	v_mov_b32_dpp v5, v4 row_half_mirror row_mask:0xf bank_mask:0xf
	v_add_f32_e32 v4, v4, v5
	s_nop 1
	v_mov_b32_dpp v5, v4 row_mirror row_mask:0xf bank_mask:0xf
	v_add_f32_e32 v4, v4, v5
	s_nop 1
	v_mov_b32_dpp v5, v4 row_bcast:15 row_mask:0xf bank_mask:0xf
	v_add_f32_e32 v4, v4, v5
	s_nop 1
	v_mov_b32_dpp v5, v4 row_bcast:31 row_mask:0xf bank_mask:0xf
	v_add_f32_e32 v4, v4, v5
	ds_bpermute_b32 v4, v18, v4
	s_and_saveexec_b64 s[0:1], vcc
	s_cbranch_execz .LBB185_10
; %bb.27:
	v_cvt_f32_u32_e32 v5, s16
	s_mov_b32 s11, 0x20000
	s_waitcnt lgkmcnt(0)
	v_div_scale_f32 v6, s[0:1], v5, v5, v4
	v_rcp_f32_e32 v7, v6
	v_div_scale_f32 v17, vcc, v4, v5, v4
	s_mov_b32 s0, 0x800000
	v_fma_f32 v18, -v6, v7, 1.0
	v_fmac_f32_e32 v7, v18, v7
	v_mul_f32_e32 v18, v17, v7
	v_fma_f32 v19, -v6, v18, v17
	v_fmac_f32_e32 v18, v19, v7
	v_fma_f32 v6, -v6, v18, v17
	v_div_fmas_f32 v6, v6, v7, v18
	v_div_fixup_f32 v4, v6, v5, v4
	v_add_f32_e32 v4, s13, v4
	v_mul_f32_e32 v5, 0x4b800000, v4
	v_cmp_gt_f32_e32 vcc, s0, v4
	v_cndmask_b32_e32 v4, v4, v5, vcc
	v_rsq_f32_e32 v4, v4
	s_waitcnt vmcnt(0)
	v_cvt_f32_f16_sdwa v5, v0 dst_sel:DWORD dst_unused:UNUSED_PAD src0_sel:WORD_1
	v_cvt_f32_f16_sdwa v19, v1 dst_sel:DWORD dst_unused:UNUSED_PAD src0_sel:WORD_1
	v_cvt_f32_f16_e32 v18, v1
	v_mul_f32_e32 v6, 0x45800000, v4
	v_cndmask_b32_e32 v6, v4, v6, vcc
	v_cvt_f32_f16_e32 v4, v0
	v_mov_b32_e32 v7, v6
	;;#ASMSTART
	v_pk_mul_f32 v[8:9], v[8:9], v[6:7]
	;;#ASMEND
	;;#ASMSTART
	v_pk_mul_f32 v[12:13], v[12:13], v[6:7]
	;;#ASMEND
	v_pk_add_f32 v[4:5], v[4:5], 1.0 op_sel_hi:[1,0]
	;;#ASMSTART
	v_pk_mul_f32 v[14:15], v[14:15], v[6:7]
	;;#ASMEND
	;;#ASMSTART
	v_pk_mul_f32 v[0:1], v[10:11], v[6:7]
	;;#ASMEND
	;; [unrolled: 3-line block ×3, first 2 shown]
	v_cvt_f32_f16_sdwa v9, v2 dst_sel:DWORD dst_unused:UNUSED_PAD src0_sel:WORD_1
	v_cvt_f32_f16_e32 v8, v2
	v_cvt_f32_f16_sdwa v11, v3 dst_sel:DWORD dst_unused:UNUSED_PAD src0_sel:WORD_1
	v_cvt_f32_f16_e32 v10, v3
	v_pk_add_f32 v[6:7], v[18:19], 1.0 op_sel_hi:[1,0]
	;;#ASMSTART
	v_pk_mul_f32 v[2:3], v[12:13], v[6:7]
	;;#ASMEND
	v_pk_add_f32 v[6:7], v[8:9], 1.0 op_sel_hi:[1,0]
	;;#ASMSTART
	v_pk_mul_f32 v[6:7], v[14:15], v[6:7]
	;;#ASMEND
	;; [unrolled: 4-line block ×3, first 2 shown]
	s_mul_hi_i32 s1, s7, s6
	s_mul_i32 s0, s7, s6
	v_cvt_f16_f32_e32 v4, v4
	v_cvt_f16_f32_e32 v5, v5
	;; [unrolled: 1-line block ×8, first 2 shown]
	s_lshl_b64 s[0:1], s[0:1], 1
	s_add_u32 s8, s24, s0
	s_addc_u32 s0, s25, s1
	s_and_b32 s9, s0, 0xffff
	v_pack_b32_f16 v0, v4, v5
	v_pack_b32_f16 v1, v2, v3
	;; [unrolled: 1-line block ×4, first 2 shown]
	buffer_store_dwordx4 v[0:3], v16, s[8:11], 0 offen
	;;#ASMSTART
	s_nop 0
	;;#ASMEND
	s_endpgm
	.section	.rodata,"a",@progbits
	.p2align	6, 0x0
	.amdhsa_kernel _ZN5aiter35fused_qk_rmsnorm_group_quant_kernelIDF16_DB8_Li64ELi8ELi8ELb0ELb0ELb1ELb0ELb0ELb0EEEvPT0_PvPT_S6_S6_PKS5_S8_S8_S8_S8_ffiiiiiiiiiiiii
		.amdhsa_group_segment_fixed_size 0
		.amdhsa_private_segment_fixed_size 0
		.amdhsa_kernarg_size 400
		.amdhsa_user_sgpr_count 6
		.amdhsa_user_sgpr_private_segment_buffer 1
		.amdhsa_user_sgpr_dispatch_ptr 0
		.amdhsa_user_sgpr_queue_ptr 0
		.amdhsa_user_sgpr_kernarg_segment_ptr 1
		.amdhsa_user_sgpr_dispatch_id 0
		.amdhsa_user_sgpr_flat_scratch_init 0
		.amdhsa_user_sgpr_kernarg_preload_length 0
		.amdhsa_user_sgpr_kernarg_preload_offset 0
		.amdhsa_user_sgpr_private_segment_size 0
		.amdhsa_uses_dynamic_stack 0
		.amdhsa_system_sgpr_private_segment_wavefront_offset 0
		.amdhsa_system_sgpr_workgroup_id_x 1
		.amdhsa_system_sgpr_workgroup_id_y 1
		.amdhsa_system_sgpr_workgroup_id_z 0
		.amdhsa_system_sgpr_workgroup_info 0
		.amdhsa_system_vgpr_workitem_id 0
		.amdhsa_next_free_vgpr 23
		.amdhsa_next_free_sgpr 32
		.amdhsa_accum_offset 24
		.amdhsa_reserve_vcc 1
		.amdhsa_reserve_flat_scratch 0
		.amdhsa_float_round_mode_32 0
		.amdhsa_float_round_mode_16_64 0
		.amdhsa_float_denorm_mode_32 3
		.amdhsa_float_denorm_mode_16_64 3
		.amdhsa_dx10_clamp 1
		.amdhsa_ieee_mode 1
		.amdhsa_fp16_overflow 0
		.amdhsa_tg_split 0
		.amdhsa_exception_fp_ieee_invalid_op 0
		.amdhsa_exception_fp_denorm_src 0
		.amdhsa_exception_fp_ieee_div_zero 0
		.amdhsa_exception_fp_ieee_overflow 0
		.amdhsa_exception_fp_ieee_underflow 0
		.amdhsa_exception_fp_ieee_inexact 0
		.amdhsa_exception_int_div_zero 0
	.end_amdhsa_kernel
	.section	.text._ZN5aiter35fused_qk_rmsnorm_group_quant_kernelIDF16_DB8_Li64ELi8ELi8ELb0ELb0ELb1ELb0ELb0ELb0EEEvPT0_PvPT_S6_S6_PKS5_S8_S8_S8_S8_ffiiiiiiiiiiiii,"axG",@progbits,_ZN5aiter35fused_qk_rmsnorm_group_quant_kernelIDF16_DB8_Li64ELi8ELi8ELb0ELb0ELb1ELb0ELb0ELb0EEEvPT0_PvPT_S6_S6_PKS5_S8_S8_S8_S8_ffiiiiiiiiiiiii,comdat
.Lfunc_end185:
	.size	_ZN5aiter35fused_qk_rmsnorm_group_quant_kernelIDF16_DB8_Li64ELi8ELi8ELb0ELb0ELb1ELb0ELb0ELb0EEEvPT0_PvPT_S6_S6_PKS5_S8_S8_S8_S8_ffiiiiiiiiiiiii, .Lfunc_end185-_ZN5aiter35fused_qk_rmsnorm_group_quant_kernelIDF16_DB8_Li64ELi8ELi8ELb0ELb0ELb1ELb0ELb0ELb0EEEvPT0_PvPT_S6_S6_PKS5_S8_S8_S8_S8_ffiiiiiiiiiiiii
                                        ; -- End function
	.section	.AMDGPU.csdata,"",@progbits
; Kernel info:
; codeLenInByte = 2420
; NumSgprs: 36
; NumVgprs: 23
; NumAgprs: 0
; TotalNumVgprs: 23
; ScratchSize: 0
; MemoryBound: 0
; FloatMode: 240
; IeeeMode: 1
; LDSByteSize: 0 bytes/workgroup (compile time only)
; SGPRBlocks: 4
; VGPRBlocks: 2
; NumSGPRsForWavesPerEU: 36
; NumVGPRsForWavesPerEU: 23
; AccumOffset: 24
; Occupancy: 8
; WaveLimiterHint : 0
; COMPUTE_PGM_RSRC2:SCRATCH_EN: 0
; COMPUTE_PGM_RSRC2:USER_SGPR: 6
; COMPUTE_PGM_RSRC2:TRAP_HANDLER: 0
; COMPUTE_PGM_RSRC2:TGID_X_EN: 1
; COMPUTE_PGM_RSRC2:TGID_Y_EN: 1
; COMPUTE_PGM_RSRC2:TGID_Z_EN: 0
; COMPUTE_PGM_RSRC2:TIDIG_COMP_CNT: 0
; COMPUTE_PGM_RSRC3_GFX90A:ACCUM_OFFSET: 5
; COMPUTE_PGM_RSRC3_GFX90A:TG_SPLIT: 0
	.section	.text._ZN5aiter35fused_qk_rmsnorm_group_quant_kernelItDB8_Li64ELi8ELi8ELb0ELb0ELb1ELb0ELb0ELb0EEEvPT0_PvPT_S6_S6_PKS5_S8_S8_S8_S8_ffiiiiiiiiiiiii,"axG",@progbits,_ZN5aiter35fused_qk_rmsnorm_group_quant_kernelItDB8_Li64ELi8ELi8ELb0ELb0ELb1ELb0ELb0ELb0EEEvPT0_PvPT_S6_S6_PKS5_S8_S8_S8_S8_ffiiiiiiiiiiiii,comdat
	.protected	_ZN5aiter35fused_qk_rmsnorm_group_quant_kernelItDB8_Li64ELi8ELi8ELb0ELb0ELb1ELb0ELb0ELb0EEEvPT0_PvPT_S6_S6_PKS5_S8_S8_S8_S8_ffiiiiiiiiiiiii ; -- Begin function _ZN5aiter35fused_qk_rmsnorm_group_quant_kernelItDB8_Li64ELi8ELi8ELb0ELb0ELb1ELb0ELb0ELb0EEEvPT0_PvPT_S6_S6_PKS5_S8_S8_S8_S8_ffiiiiiiiiiiiii
	.globl	_ZN5aiter35fused_qk_rmsnorm_group_quant_kernelItDB8_Li64ELi8ELi8ELb0ELb0ELb1ELb0ELb0ELb0EEEvPT0_PvPT_S6_S6_PKS5_S8_S8_S8_S8_ffiiiiiiiiiiiii
	.p2align	8
	.type	_ZN5aiter35fused_qk_rmsnorm_group_quant_kernelItDB8_Li64ELi8ELi8ELb0ELb0ELb1ELb0ELb0ELb0EEEvPT0_PvPT_S6_S6_PKS5_S8_S8_S8_S8_ffiiiiiiiiiiiii,@function
_ZN5aiter35fused_qk_rmsnorm_group_quant_kernelItDB8_Li64ELi8ELi8ELb0ELb0ELb1ELb0ELb0ELb0EEEvPT0_PvPT_S6_S6_PKS5_S8_S8_S8_S8_ffiiiiiiiiiiiii: ; @_ZN5aiter35fused_qk_rmsnorm_group_quant_kernelItDB8_Li64ELi8ELi8ELb0ELb0ELb1ELb0ELb0ELb0EEEvPT0_PvPT_S6_S6_PKS5_S8_S8_S8_S8_ffiiiiiiiiiiiii
; %bb.0:
	s_load_dwordx4 s[12:15], s[4:5], 0x50
	s_waitcnt lgkmcnt(0)
	s_cmp_ge_i32 s6, s14
	s_cbranch_scc1 .LBB186_8
; %bb.1:
	s_load_dwordx2 s[8:9], s[4:5], 0x48
	s_load_dwordx2 s[26:27], s[4:5], 0x30
	s_load_dwordx4 s[16:19], s[4:5], 0x60
	s_cmp_lg_u32 s7, 0
	s_cselect_b64 s[2:3], -1, 0
	s_cmp_eq_u32 s7, 0
	s_cselect_b64 vcc, -1, 0
	s_and_b64 s[0:1], vcc, exec
	s_waitcnt lgkmcnt(0)
	s_cselect_b32 s7, s15, s16
	s_add_i32 s0, s7, 1
	s_lshr_b32 s1, s0, 31
	s_add_i32 s0, s0, s1
	s_lshl_b32 s0, s0, 1
	v_lshlrev_b32_e32 v1, 3, v0
	s_and_b32 s22, s0, -4
	v_cmp_gt_i32_e64 s[0:1], s7, v1
	v_mov_b32_e32 v2, 0
	v_mov_b32_e32 v3, 0
	;; [unrolled: 1-line block ×8, first 2 shown]
	s_and_saveexec_b64 s[10:11], s[0:1]
	s_cbranch_execz .LBB186_3
; %bb.2:
	s_load_dwordx2 s[20:21], s[4:5], 0x28
	s_load_dwordx2 s[24:25], s[4:5], 0x40
	s_and_b64 s[28:29], vcc, exec
	s_cselect_b32 s14, s17, s18
	s_mov_b32 s23, 0x20000
	s_waitcnt lgkmcnt(0)
	s_cselect_b32 s17, s21, s27
	s_cselect_b32 s19, s20, s26
	s_mul_hi_i32 s21, s14, s6
	s_mul_i32 s20, s14, s6
	s_lshl_b64 s[20:21], s[20:21], 1
	s_add_u32 s28, s19, s20
	s_addc_u32 s14, s17, s21
	s_and_b64 s[20:21], vcc, exec
	s_cselect_b32 s20, s24, s8
	s_cselect_b32 s17, s25, s9
	v_lshlrev_b32_e32 v10, 4, v0
	s_and_b32 s29, s14, 0xffff
	s_mov_b32 s30, s22
	s_mov_b32 s31, s23
	s_and_b32 s21, s17, 0xffff
	buffer_load_dwordx4 v[6:9], v10, s[28:31], 0 offen glc slc
	buffer_load_dwordx4 v[2:5], v10, s[20:23], 0 offen
.LBB186_3:
	s_or_b64 exec, exec, s[10:11]
	s_waitcnt vmcnt(1)
	v_cvt_f32_u32_sdwa v13, v6 dst_sel:DWORD dst_unused:UNUSED_PAD src0_sel:WORD_1
	v_cvt_f32_u32_sdwa v12, v6 dst_sel:DWORD dst_unused:UNUSED_PAD src0_sel:WORD_0
	v_cvt_f32_u32_sdwa v6, v9 dst_sel:DWORD dst_unused:UNUSED_PAD src0_sel:WORD_1
	v_cvt_f32_u32_sdwa v9, v9 dst_sel:DWORD dst_unused:UNUSED_PAD src0_sel:WORD_0
	;; [unrolled: 2-line block ×4, first 2 shown]
	v_cndmask_b32_e64 v13, 0, v13, s[0:1]
	v_cndmask_b32_e64 v7, 0, v6, s[0:1]
	;; [unrolled: 1-line block ×5, first 2 shown]
	v_mul_f32_e32 v14, v13, v13
	v_cndmask_b32_e64 v10, 0, v10, s[0:1]
	v_fmac_f32_e32 v14, v12, v12
	v_cndmask_b32_e64 v11, 0, v11, s[0:1]
	v_fmac_f32_e32 v14, v10, v10
	;; [unrolled: 2-line block ×3, first 2 shown]
	v_fmac_f32_e32 v14, v8, v8
	v_fmac_f32_e32 v14, v9, v9
	;; [unrolled: 1-line block ×4, first 2 shown]
	v_bfrev_b32_e32 v16, 0.5
	s_load_dwordx2 s[24:25], s[4:5], 0x18
	v_mov_b32_dpp v15, v14 quad_perm:[1,0,3,2] row_mask:0xf bank_mask:0xf
	v_add_f32_e32 v14, v14, v15
	s_nop 1
	v_mov_b32_dpp v15, v14 quad_perm:[2,3,0,1] row_mask:0xf bank_mask:0xf
	v_add_f32_e32 v14, v14, v15
	s_nop 1
	v_mov_b32_dpp v15, v14 row_half_mirror row_mask:0xf bank_mask:0xf
	v_add_f32_e32 v14, v14, v15
	s_nop 1
	v_mov_b32_dpp v15, v14 row_mirror row_mask:0xf bank_mask:0xf
	v_add_f32_e32 v14, v14, v15
	s_nop 1
	v_mov_b32_dpp v15, v14 row_bcast:15 row_mask:0xf bank_mask:0xf
	v_add_f32_e32 v14, v14, v15
	s_nop 1
	v_mov_b32_dpp v15, v14 row_bcast:31 row_mask:0xf bank_mask:0xf
	v_add_f32_e32 v15, v14, v15
	v_mbcnt_lo_u32_b32 v14, -1, 0
	v_mbcnt_hi_u32_b32 v14, -1, v14
	v_lshl_or_b32 v14, v14, 2, v16
	ds_bpermute_b32 v15, v14, v15
	s_and_saveexec_b64 s[10:11], s[0:1]
	s_cbranch_execz .LBB186_5
; %bb.4:
	v_cvt_f32_u32_e32 v16, s7
	v_mov_b32_e32 v17, s13
	v_mov_b32_e32 v18, s12
	v_cndmask_b32_e32 v17, v17, v18, vcc
	s_waitcnt lgkmcnt(0)
	v_div_scale_f32 v19, s[20:21], v16, v16, v15
	v_rcp_f32_e32 v20, v19
	v_div_scale_f32 v18, vcc, v15, v16, v15
	s_mov_b32 s7, 0x800000
	v_fma_f32 v21, -v19, v20, 1.0
	v_fmac_f32_e32 v20, v21, v20
	v_mul_f32_e32 v21, v18, v20
	v_fma_f32 v22, -v19, v21, v18
	v_fmac_f32_e32 v21, v22, v20
	v_fma_f32 v18, -v19, v21, v18
	v_div_fmas_f32 v18, v18, v20, v21
	v_div_fixup_f32 v15, v18, v16, v15
	v_add_f32_e32 v15, v17, v15
	v_mul_f32_e32 v16, 0x4b800000, v15
	v_cmp_gt_f32_e32 vcc, s7, v15
	v_cndmask_b32_e32 v15, v15, v16, vcc
	v_rsq_f32_e32 v15, v15
	s_waitcnt vmcnt(0)
	v_cvt_f32_u32_sdwa v19, v2 dst_sel:DWORD dst_unused:UNUSED_PAD src0_sel:WORD_1
	v_cvt_f32_u32_sdwa v18, v2 dst_sel:DWORD dst_unused:UNUSED_PAD src0_sel:WORD_0
	v_cvt_f32_u32_sdwa v21, v3 dst_sel:DWORD dst_unused:UNUSED_PAD src0_sel:WORD_1
	v_mul_f32_e32 v16, 0x45800000, v15
	v_cndmask_b32_e32 v16, v15, v16, vcc
	v_mov_b32_e32 v17, v16
	;;#ASMSTART
	v_pk_mul_f32 v[12:13], v[12:13], v[16:17]
	;;#ASMEND
	;;#ASMSTART
	v_pk_mul_f32 v[10:11], v[10:11], v[16:17]
	;;#ASMEND
	;; [unrolled: 3-line block ×3, first 2 shown]
	v_cvt_f32_u32_sdwa v20, v3 dst_sel:DWORD dst_unused:UNUSED_PAD src0_sel:WORD_0
	;;#ASMSTART
	v_pk_mul_f32 v[2:3], v[6:7], v[16:17]
	;;#ASMEND
	v_cvt_f32_u32_sdwa v17, v4 dst_sel:DWORD dst_unused:UNUSED_PAD src0_sel:WORD_1
	v_cvt_f32_u32_sdwa v16, v4 dst_sel:DWORD dst_unused:UNUSED_PAD src0_sel:WORD_0
	v_pk_add_f32 v[6:7], v[18:19], 1.0 op_sel_hi:[1,0]
	v_cvt_f32_u32_sdwa v19, v5 dst_sel:DWORD dst_unused:UNUSED_PAD src0_sel:WORD_1
	v_cvt_f32_u32_sdwa v18, v5 dst_sel:DWORD dst_unused:UNUSED_PAD src0_sel:WORD_0
	;;#ASMSTART
	v_pk_mul_f32 v[12:13], v[12:13], v[6:7]
	;;#ASMEND
	v_pk_add_f32 v[6:7], v[20:21], 1.0 op_sel_hi:[1,0]
	v_pk_add_f32 v[4:5], v[16:17], 1.0 op_sel_hi:[1,0]
	;;#ASMSTART
	v_pk_mul_f32 v[10:11], v[10:11], v[6:7]
	;;#ASMEND
	;;#ASMSTART
	v_pk_mul_f32 v[8:9], v[8:9], v[4:5]
	;;#ASMEND
	v_pk_add_f32 v[4:5], v[18:19], 1.0 op_sel_hi:[1,0]
	;;#ASMSTART
	v_pk_mul_f32 v[6:7], v[2:3], v[4:5]
	;;#ASMEND
.LBB186_5:
	s_or_b64 exec, exec, s[10:11]
	s_load_dword s7, s[4:5], 0x80
	s_mov_b64 s[10:11], -1
	s_and_b64 vcc, exec, s[2:3]
	s_cbranch_vccnz .LBB186_9
; %bb.6:
	s_andn2_b64 vcc, exec, s[10:11]
	s_cbranch_vccz .LBB186_12
.LBB186_7:
	s_cmp_lt_i32 s16, 1
	s_cbranch_scc0 .LBB186_19
.LBB186_8:
	s_endpgm
.LBB186_9:
	s_and_saveexec_b64 s[2:3], s[0:1]
	s_cbranch_execz .LBB186_11
; %bb.10:
	s_waitcnt lgkmcnt(0)
	s_mul_hi_i32 s11, s7, s6
	s_mul_i32 s10, s7, s6
	s_lshl_b64 s[10:11], s[10:11], 1
	s_add_u32 s20, s24, s10
	s_addc_u32 s10, s25, s11
	s_and_b32 s21, s10, 0xffff
	s_mov_b32 s10, 0x7060302
	s_mov_b32 s23, 0x20000
	s_waitcnt vmcnt(0)
	v_perm_b32 v2, v13, v12, s10
	v_perm_b32 v3, v11, v10, s10
	;; [unrolled: 1-line block ×4, first 2 shown]
	v_lshlrev_b32_e32 v15, 4, v0
	buffer_store_dwordx4 v[2:5], v15, s[20:23], 0 offen
	;;#ASMSTART
	s_nop 0
	;;#ASMEND
.LBB186_11:
	s_or_b64 exec, exec, s[2:3]
	s_cbranch_execnz .LBB186_7
.LBB186_12:
	s_waitcnt vmcnt(0)
	v_mov_b32_e32 v2, 0
	s_and_saveexec_b64 s[2:3], s[0:1]
	s_cbranch_execz .LBB186_14
; %bb.13:
	v_and_b32_e32 v2, 0x7fffffff, v12
	v_and_b32_e32 v3, 0x7fffffff, v13
	v_mov_b32_e32 v4, 0x2edbe6ff
	;;#ASMSTART
	v_max3_f32 v2, v4, v2, v3

	;;#ASMEND
	v_and_b32_e32 v3, 0x7fffffff, v10
	v_and_b32_e32 v4, 0x7fffffff, v11
	;;#ASMSTART
	v_max3_f32 v2, v2, v3, v4

	;;#ASMEND
	v_and_b32_e32 v3, 0x7fffffff, v8
	v_and_b32_e32 v4, 0x7fffffff, v9
	;; [unrolled: 6-line block ×3, first 2 shown]
	;;#ASMSTART
	v_max3_f32 v2, v2, v3, v4

	;;#ASMEND
.LBB186_14:
	s_or_b64 exec, exec, s[2:3]
	s_load_dwordx4 s[20:23], s[4:5], 0x70
	;;#ASMSTART
	v_max_f32 v3, v2, v2 quad_perm:[1,0,3,2] row_mask:0xf bank_mask:0xf bound_ctrl:1
	;;#ASMEND
	;;#ASMSTART
	v_max_f32 v2, v3, v3 quad_perm:[2,3,0,1] row_mask:0xf bank_mask:0xf bound_ctrl:1
	;;#ASMEND
	;;#ASMSTART
	v_max_f32 v3, v2, v2 row_half_mirror row_mask:0xf bank_mask:0xf bound_ctrl:1
	;;#ASMEND
	v_mul_f32_e32 v2, 0x3b124925, v3
	v_and_b32_e32 v3, 7, v0
	v_cmp_eq_u32_e32 vcc, 0, v3
	v_cmp_gt_i32_e64 s[2:3], s15, v1
	s_and_b64 s[10:11], vcc, s[2:3]
	s_and_saveexec_b64 s[2:3], s[10:11]
	s_cbranch_execz .LBB186_16
; %bb.15:
	s_load_dwordx2 s[10:11], s[4:5], 0x8
	v_lshrrev_b32_e32 v3, 3, v0
	s_waitcnt lgkmcnt(0)
	s_mul_hi_i32 s29, s21, s6
	s_mul_i32 s28, s21, s6
	v_mad_i64_i32 v[4:5], s[22:23], s22, v3, 0
	s_lshl_b64 s[22:23], s[28:29], 2
	s_add_u32 s10, s10, s22
	s_addc_u32 s11, s11, s23
	v_lshlrev_b64 v[4:5], 2, v[4:5]
	v_mov_b32_e32 v3, s11
	v_add_co_u32_e32 v4, vcc, s10, v4
	v_addc_co_u32_e32 v5, vcc, v3, v5, vcc
	global_store_dword v[4:5], v2, off
.LBB186_16:
	s_or_b64 exec, exec, s[2:3]
	;;#ASMSTART
	v_rcp_f32 v2, v2
	;;#ASMEND
	s_and_saveexec_b64 s[10:11], s[0:1]
	s_cbranch_execz .LBB186_18
; %bb.17:
	v_mov_b32_e32 v3, v2
	;;#ASMSTART
	v_pk_mul_f32 v[4:5], v[12:13], v[2:3]
	;;#ASMEND
	s_load_dwordx2 s[0:1], s[4:5], 0x0
	v_mov_b32_e32 v12, 0xc3e00000
	v_mov_b32_e32 v13, 0x43e00000
	s_waitcnt lgkmcnt(0)
	;;#ASMSTART
	v_med3_f32 v4, v4, v12, v13
v_med3_f32 v5, v5, v12, v13
v_cvt_pk_fp8_f32 v15, v4, v5
	;;#ASMEND
	;;#ASMSTART
	v_pk_mul_f32 v[4:5], v[10:11], v[2:3]
	;;#ASMEND
	;;#ASMSTART
	v_med3_f32 v4, v4, v12, v13
v_med3_f32 v5, v5, v12, v13
v_cvt_pk_fp8_f32 v10, v4, v5
	;;#ASMEND
	s_mov_b32 s14, 0x5040100
	v_perm_b32 v5, v10, v15, s14
	s_movk_i32 s14, 0xff
	s_mul_i32 s3, s20, s6
	v_and_b32_e32 v4, 0xffffff00, v10
	v_and_b32_sdwa v10, v5, s14 dst_sel:DWORD dst_unused:UNUSED_PAD src0_sel:WORD_1 src1_sel:DWORD
	s_mul_hi_i32 s2, s20, s6
	s_mov_b32 s12, 0xffff
	s_add_u32 s0, s0, s3
	v_or_b32_sdwa v4, v10, v4 dst_sel:WORD_1 dst_unused:UNUSED_PAD src0_sel:DWORD src1_sel:DWORD
	s_addc_u32 s1, s1, s2
	s_add_i32 s2, s15, 3
	v_and_or_b32 v4, v5, s12, v4
	;;#ASMSTART
	v_pk_mul_f32 v[8:9], v[8:9], v[2:3]
	;;#ASMEND
	v_mov_b32_e32 v5, v9
	s_ashr_i32 s3, s2, 31
	;;#ASMSTART
	v_med3_f32 v8, v8, v12, v13
v_med3_f32 v5, v5, v12, v13
v_cvt_pk_fp8_f32 v9, v8, v5
	;;#ASMEND
	;;#ASMSTART
	v_pk_mul_f32 v[2:3], v[6:7], v[2:3]
	;;#ASMEND
	s_lshr_b32 s3, s3, 30
	;;#ASMSTART
	v_med3_f32 v2, v2, v12, v13
v_med3_f32 v3, v3, v12, v13
v_cvt_pk_fp8_f32 v5, v2, v3
	;;#ASMEND
	s_add_i32 s2, s2, s3
	v_lshlrev_b32_e32 v2, 16, v5
	s_and_b32 s2, s2, -4
	s_and_b32 s1, s1, 0xffff
	s_mov_b32 s3, 0x20000
	v_and_or_b32 v5, v9, s12, v2
	buffer_store_dwordx2 v[4:5], v1, s[0:3], 0 offen
	;;#ASMSTART
	s_nop 0
	;;#ASMEND
.LBB186_18:
	s_or_b64 exec, exec, s[10:11]
	s_cmp_lt_i32 s16, 1
	s_cbranch_scc1 .LBB186_8
.LBB186_19:
	s_load_dword s0, s[4:5], 0x94
	s_waitcnt lgkmcnt(0)
	s_cmp_lg_u32 s0, 1
	s_cbranch_scc1 .LBB186_8
; %bb.20:
	s_lshl_b32 s0, s16, 1
	s_add_i32 s0, s0, 2
	v_cmp_gt_u32_e32 vcc, s16, v1
	s_and_b32 s10, s0, -4
	s_waitcnt vmcnt(0)
	v_mov_b32_e32 v4, 0
	v_lshlrev_b32_e32 v12, 4, v0
	v_mov_b32_e32 v5, 0
	v_mov_b32_e32 v6, 0
	;; [unrolled: 1-line block ×7, first 2 shown]
	s_barrier
	s_and_saveexec_b64 s[0:1], vcc
	s_cbranch_execz .LBB186_22
; %bb.21:
	s_mul_hi_i32 s3, s18, s6
	s_mul_i32 s2, s18, s6
	s_and_b32 s9, s9, 0xffff
	s_lshl_b64 s[2:3], s[2:3], 1
	s_add_u32 s20, s26, s2
	s_mov_b32 s11, 0x20000
	s_addc_u32 s2, s27, s3
	s_and_b32 s21, s2, 0xffff
	s_mov_b32 s22, s10
	s_mov_b32 s23, s11
	buffer_load_dwordx4 v[4:7], v12, s[20:23], 0 offen glc slc
	buffer_load_dwordx4 v[0:3], v12, s[8:11], 0 offen
.LBB186_22:
	s_or_b64 exec, exec, s[0:1]
	s_waitcnt vmcnt(1)
	v_cvt_f32_u32_sdwa v11, v4 dst_sel:DWORD dst_unused:UNUSED_PAD src0_sel:WORD_1
	v_cvt_f32_u32_sdwa v10, v4 dst_sel:DWORD dst_unused:UNUSED_PAD src0_sel:WORD_0
	v_cvt_f32_u32_sdwa v4, v7 dst_sel:DWORD dst_unused:UNUSED_PAD src0_sel:WORD_1
	v_cvt_f32_u32_sdwa v7, v7 dst_sel:DWORD dst_unused:UNUSED_PAD src0_sel:WORD_0
	;; [unrolled: 2-line block ×4, first 2 shown]
	v_cndmask_b32_e32 v11, 0, v11, vcc
	v_cndmask_b32_e32 v5, 0, v4, vcc
	;; [unrolled: 1-line block ×5, first 2 shown]
	v_mul_f32_e32 v13, v11, v11
	v_cndmask_b32_e32 v8, 0, v8, vcc
	v_fmac_f32_e32 v13, v10, v10
	v_cndmask_b32_e32 v9, 0, v9, vcc
	v_fmac_f32_e32 v13, v8, v8
	;; [unrolled: 2-line block ×3, first 2 shown]
	v_fmac_f32_e32 v13, v6, v6
	v_fmac_f32_e32 v13, v7, v7
	;; [unrolled: 1-line block ×4, first 2 shown]
	s_nop 1
	v_mov_b32_dpp v15, v13 quad_perm:[1,0,3,2] row_mask:0xf bank_mask:0xf
	v_add_f32_e32 v13, v13, v15
	s_nop 1
	v_mov_b32_dpp v15, v13 quad_perm:[2,3,0,1] row_mask:0xf bank_mask:0xf
	v_add_f32_e32 v13, v13, v15
	s_nop 1
	v_mov_b32_dpp v15, v13 row_half_mirror row_mask:0xf bank_mask:0xf
	v_add_f32_e32 v13, v13, v15
	s_nop 1
	v_mov_b32_dpp v15, v13 row_mirror row_mask:0xf bank_mask:0xf
	v_add_f32_e32 v13, v13, v15
	s_nop 1
	v_mov_b32_dpp v15, v13 row_bcast:15 row_mask:0xf bank_mask:0xf
	v_add_f32_e32 v13, v13, v15
	s_nop 1
	v_mov_b32_dpp v15, v13 row_bcast:31 row_mask:0xf bank_mask:0xf
	v_add_f32_e32 v13, v13, v15
	ds_bpermute_b32 v13, v14, v13
	s_and_saveexec_b64 s[0:1], vcc
	s_cbranch_execz .LBB186_8
; %bb.23:
	v_cvt_f32_u32_e32 v14, s16
	s_mov_b32 s11, 0x20000
	s_waitcnt lgkmcnt(0)
	v_div_scale_f32 v15, s[0:1], v14, v14, v13
	v_rcp_f32_e32 v16, v15
	v_div_scale_f32 v17, vcc, v13, v14, v13
	s_mov_b32 s0, 0x800000
	v_fma_f32 v18, -v15, v16, 1.0
	v_fmac_f32_e32 v16, v18, v16
	v_mul_f32_e32 v18, v17, v16
	v_fma_f32 v19, -v15, v18, v17
	v_fmac_f32_e32 v18, v19, v16
	v_fma_f32 v15, -v15, v18, v17
	v_div_fmas_f32 v15, v15, v16, v18
	v_div_fixup_f32 v13, v15, v14, v13
	v_add_f32_e32 v13, s13, v13
	v_mul_f32_e32 v14, 0x4b800000, v13
	v_cmp_gt_f32_e32 vcc, s0, v13
	v_cndmask_b32_e32 v13, v13, v14, vcc
	v_rsq_f32_e32 v13, v13
	s_waitcnt vmcnt(0)
	v_cvt_f32_u32_sdwa v15, v0 dst_sel:DWORD dst_unused:UNUSED_PAD src0_sel:WORD_1
	v_cvt_f32_u32_sdwa v19, v1 dst_sel:DWORD dst_unused:UNUSED_PAD src0_sel:WORD_1
	v_cvt_f32_u32_sdwa v18, v1 dst_sel:DWORD dst_unused:UNUSED_PAD src0_sel:WORD_0
	v_mul_f32_e32 v14, 0x45800000, v13
	v_cndmask_b32_e32 v16, v13, v14, vcc
	v_cvt_f32_u32_sdwa v14, v0 dst_sel:DWORD dst_unused:UNUSED_PAD src0_sel:WORD_0
	v_mov_b32_e32 v17, v16
	;;#ASMSTART
	v_pk_mul_f32 v[10:11], v[10:11], v[16:17]
	;;#ASMEND
	;;#ASMSTART
	v_pk_mul_f32 v[8:9], v[8:9], v[16:17]
	;;#ASMEND
	;; [unrolled: 3-line block ×4, first 2 shown]
	v_pk_add_f32 v[4:5], v[14:15], 1.0 op_sel_hi:[1,0]
	v_cvt_f32_u32_sdwa v15, v2 dst_sel:DWORD dst_unused:UNUSED_PAD src0_sel:WORD_1
	v_cvt_f32_u32_sdwa v14, v2 dst_sel:DWORD dst_unused:UNUSED_PAD src0_sel:WORD_0
	v_cvt_f32_u32_sdwa v17, v3 dst_sel:DWORD dst_unused:UNUSED_PAD src0_sel:WORD_1
	v_cvt_f32_u32_sdwa v16, v3 dst_sel:DWORD dst_unused:UNUSED_PAD src0_sel:WORD_0
	s_mul_hi_i32 s1, s7, s6
	s_mul_i32 s0, s7, s6
	s_lshl_b64 s[0:1], s[0:1], 1
	s_add_u32 s8, s24, s0
	;;#ASMSTART
	v_pk_mul_f32 v[4:5], v[10:11], v[4:5]
	;;#ASMEND
	v_pk_add_f32 v[10:11], v[18:19], 1.0 op_sel_hi:[1,0]
	;;#ASMSTART
	v_pk_mul_f32 v[2:3], v[8:9], v[10:11]
	;;#ASMEND
	v_pk_add_f32 v[8:9], v[14:15], 1.0 op_sel_hi:[1,0]
	s_addc_u32 s0, s25, s1
	;;#ASMSTART
	v_pk_mul_f32 v[6:7], v[6:7], v[8:9]
	;;#ASMEND
	v_pk_add_f32 v[8:9], v[16:17], 1.0 op_sel_hi:[1,0]
	s_and_b32 s9, s0, 0xffff
	s_mov_b32 s0, 0x7060302
	;;#ASMSTART
	v_pk_mul_f32 v[8:9], v[0:1], v[8:9]
	;;#ASMEND
	v_perm_b32 v0, v5, v4, s0
	v_perm_b32 v1, v3, v2, s0
	;; [unrolled: 1-line block ×4, first 2 shown]
	buffer_store_dwordx4 v[0:3], v12, s[8:11], 0 offen
	;;#ASMSTART
	s_nop 0
	;;#ASMEND
	s_endpgm
	.section	.rodata,"a",@progbits
	.p2align	6, 0x0
	.amdhsa_kernel _ZN5aiter35fused_qk_rmsnorm_group_quant_kernelItDB8_Li64ELi8ELi8ELb0ELb0ELb1ELb0ELb0ELb0EEEvPT0_PvPT_S6_S6_PKS5_S8_S8_S8_S8_ffiiiiiiiiiiiii
		.amdhsa_group_segment_fixed_size 0
		.amdhsa_private_segment_fixed_size 0
		.amdhsa_kernarg_size 400
		.amdhsa_user_sgpr_count 6
		.amdhsa_user_sgpr_private_segment_buffer 1
		.amdhsa_user_sgpr_dispatch_ptr 0
		.amdhsa_user_sgpr_queue_ptr 0
		.amdhsa_user_sgpr_kernarg_segment_ptr 1
		.amdhsa_user_sgpr_dispatch_id 0
		.amdhsa_user_sgpr_flat_scratch_init 0
		.amdhsa_user_sgpr_kernarg_preload_length 0
		.amdhsa_user_sgpr_kernarg_preload_offset 0
		.amdhsa_user_sgpr_private_segment_size 0
		.amdhsa_uses_dynamic_stack 0
		.amdhsa_system_sgpr_private_segment_wavefront_offset 0
		.amdhsa_system_sgpr_workgroup_id_x 1
		.amdhsa_system_sgpr_workgroup_id_y 1
		.amdhsa_system_sgpr_workgroup_id_z 0
		.amdhsa_system_sgpr_workgroup_info 0
		.amdhsa_system_vgpr_workitem_id 0
		.amdhsa_next_free_vgpr 23
		.amdhsa_next_free_sgpr 32
		.amdhsa_accum_offset 24
		.amdhsa_reserve_vcc 1
		.amdhsa_reserve_flat_scratch 0
		.amdhsa_float_round_mode_32 0
		.amdhsa_float_round_mode_16_64 0
		.amdhsa_float_denorm_mode_32 3
		.amdhsa_float_denorm_mode_16_64 3
		.amdhsa_dx10_clamp 1
		.amdhsa_ieee_mode 1
		.amdhsa_fp16_overflow 0
		.amdhsa_tg_split 0
		.amdhsa_exception_fp_ieee_invalid_op 0
		.amdhsa_exception_fp_denorm_src 0
		.amdhsa_exception_fp_ieee_div_zero 0
		.amdhsa_exception_fp_ieee_overflow 0
		.amdhsa_exception_fp_ieee_underflow 0
		.amdhsa_exception_fp_ieee_inexact 0
		.amdhsa_exception_int_div_zero 0
	.end_amdhsa_kernel
	.section	.text._ZN5aiter35fused_qk_rmsnorm_group_quant_kernelItDB8_Li64ELi8ELi8ELb0ELb0ELb1ELb0ELb0ELb0EEEvPT0_PvPT_S6_S6_PKS5_S8_S8_S8_S8_ffiiiiiiiiiiiii,"axG",@progbits,_ZN5aiter35fused_qk_rmsnorm_group_quant_kernelItDB8_Li64ELi8ELi8ELb0ELb0ELb1ELb0ELb0ELb0EEEvPT0_PvPT_S6_S6_PKS5_S8_S8_S8_S8_ffiiiiiiiiiiiii,comdat
.Lfunc_end186:
	.size	_ZN5aiter35fused_qk_rmsnorm_group_quant_kernelItDB8_Li64ELi8ELi8ELb0ELb0ELb1ELb0ELb0ELb0EEEvPT0_PvPT_S6_S6_PKS5_S8_S8_S8_S8_ffiiiiiiiiiiiii, .Lfunc_end186-_ZN5aiter35fused_qk_rmsnorm_group_quant_kernelItDB8_Li64ELi8ELi8ELb0ELb0ELb1ELb0ELb0ELb0EEEvPT0_PvPT_S6_S6_PKS5_S8_S8_S8_S8_ffiiiiiiiiiiiii
                                        ; -- End function
	.section	.AMDGPU.csdata,"",@progbits
; Kernel info:
; codeLenInByte = 2436
; NumSgprs: 36
; NumVgprs: 23
; NumAgprs: 0
; TotalNumVgprs: 23
; ScratchSize: 0
; MemoryBound: 0
; FloatMode: 240
; IeeeMode: 1
; LDSByteSize: 0 bytes/workgroup (compile time only)
; SGPRBlocks: 4
; VGPRBlocks: 2
; NumSGPRsForWavesPerEU: 36
; NumVGPRsForWavesPerEU: 23
; AccumOffset: 24
; Occupancy: 8
; WaveLimiterHint : 0
; COMPUTE_PGM_RSRC2:SCRATCH_EN: 0
; COMPUTE_PGM_RSRC2:USER_SGPR: 6
; COMPUTE_PGM_RSRC2:TRAP_HANDLER: 0
; COMPUTE_PGM_RSRC2:TGID_X_EN: 1
; COMPUTE_PGM_RSRC2:TGID_Y_EN: 1
; COMPUTE_PGM_RSRC2:TGID_Z_EN: 0
; COMPUTE_PGM_RSRC2:TIDIG_COMP_CNT: 0
; COMPUTE_PGM_RSRC3_GFX90A:ACCUM_OFFSET: 5
; COMPUTE_PGM_RSRC3_GFX90A:TG_SPLIT: 0
	.section	.text._ZN5aiter35fused_qk_rmsnorm_group_quant_kernelIDF16_N4opus5fp4_tELi64ELi8ELi8ELb0ELb0ELb1ELb0ELb0ELb0EEEvPT0_PvPT_S7_S7_PKS6_S9_S9_S9_S9_ffiiiiiiiiiiiii,"axG",@progbits,_ZN5aiter35fused_qk_rmsnorm_group_quant_kernelIDF16_N4opus5fp4_tELi64ELi8ELi8ELb0ELb0ELb1ELb0ELb0ELb0EEEvPT0_PvPT_S7_S7_PKS6_S9_S9_S9_S9_ffiiiiiiiiiiiii,comdat
	.protected	_ZN5aiter35fused_qk_rmsnorm_group_quant_kernelIDF16_N4opus5fp4_tELi64ELi8ELi8ELb0ELb0ELb1ELb0ELb0ELb0EEEvPT0_PvPT_S7_S7_PKS6_S9_S9_S9_S9_ffiiiiiiiiiiiii ; -- Begin function _ZN5aiter35fused_qk_rmsnorm_group_quant_kernelIDF16_N4opus5fp4_tELi64ELi8ELi8ELb0ELb0ELb1ELb0ELb0ELb0EEEvPT0_PvPT_S7_S7_PKS6_S9_S9_S9_S9_ffiiiiiiiiiiiii
	.globl	_ZN5aiter35fused_qk_rmsnorm_group_quant_kernelIDF16_N4opus5fp4_tELi64ELi8ELi8ELb0ELb0ELb1ELb0ELb0ELb0EEEvPT0_PvPT_S7_S7_PKS6_S9_S9_S9_S9_ffiiiiiiiiiiiii
	.p2align	8
	.type	_ZN5aiter35fused_qk_rmsnorm_group_quant_kernelIDF16_N4opus5fp4_tELi64ELi8ELi8ELb0ELb0ELb1ELb0ELb0ELb0EEEvPT0_PvPT_S7_S7_PKS6_S9_S9_S9_S9_ffiiiiiiiiiiiii,@function
_ZN5aiter35fused_qk_rmsnorm_group_quant_kernelIDF16_N4opus5fp4_tELi64ELi8ELi8ELb0ELb0ELb1ELb0ELb0ELb0EEEvPT0_PvPT_S7_S7_PKS6_S9_S9_S9_S9_ffiiiiiiiiiiiii: ; @_ZN5aiter35fused_qk_rmsnorm_group_quant_kernelIDF16_N4opus5fp4_tELi64ELi8ELi8ELb0ELb0ELb1ELb0ELb0ELb0EEEvPT0_PvPT_S7_S7_PKS6_S9_S9_S9_S9_ffiiiiiiiiiiiii
; %bb.0:
	s_load_dwordx4 s[12:15], s[4:5], 0x50
	s_waitcnt lgkmcnt(0)
	s_cmp_ge_i32 s6, s14
	s_cbranch_scc1 .LBB187_10
; %bb.1:
	s_load_dwordx2 s[8:9], s[4:5], 0x48
	s_load_dwordx2 s[26:27], s[4:5], 0x30
	s_load_dwordx4 s[16:19], s[4:5], 0x60
	s_cmp_lg_u32 s7, 0
	s_cselect_b64 s[2:3], -1, 0
	s_cmp_eq_u32 s7, 0
	s_cselect_b64 vcc, -1, 0
	s_and_b64 s[0:1], vcc, exec
	s_waitcnt lgkmcnt(0)
	s_cselect_b32 s7, s15, s16
	s_add_i32 s0, s7, 1
	s_lshr_b32 s1, s0, 31
	s_add_i32 s0, s0, s1
	s_lshl_b32 s0, s0, 1
	v_lshlrev_b32_e32 v1, 3, v0
	s_and_b32 s22, s0, -4
	v_cmp_gt_i32_e64 s[0:1], s7, v1
	v_mov_b32_e32 v10, 0
	v_mov_b32_e32 v2, 0
	;; [unrolled: 1-line block ×9, first 2 shown]
	s_and_saveexec_b64 s[10:11], s[0:1]
	s_cbranch_execz .LBB187_3
; %bb.2:
	s_load_dwordx2 s[20:21], s[4:5], 0x28
	s_load_dwordx2 s[24:25], s[4:5], 0x40
	s_and_b64 s[28:29], vcc, exec
	s_cselect_b32 s14, s17, s18
	s_mov_b32 s23, 0x20000
	s_waitcnt lgkmcnt(0)
	s_cselect_b32 s17, s21, s27
	s_cselect_b32 s19, s20, s26
	s_mul_hi_i32 s21, s14, s6
	s_mul_i32 s20, s14, s6
	s_lshl_b64 s[20:21], s[20:21], 1
	s_add_u32 s28, s19, s20
	s_addc_u32 s14, s17, s21
	s_and_b64 s[20:21], vcc, exec
	s_cselect_b32 s20, s24, s8
	s_cselect_b32 s17, s25, s9
	v_lshlrev_b32_e32 v11, 4, v0
	s_and_b32 s29, s14, 0xffff
	s_mov_b32 s30, s22
	s_mov_b32 s31, s23
	s_and_b32 s21, s17, 0xffff
	buffer_load_dwordx4 v[6:9], v11, s[28:31], 0 offen glc slc
	buffer_load_dwordx4 v[2:5], v11, s[20:23], 0 offen
.LBB187_3:
	s_or_b64 exec, exec, s[10:11]
	v_mov_b32_e32 v11, 0
	v_mov_b32_e32 v16, 0
	;; [unrolled: 1-line block ×7, first 2 shown]
	s_and_saveexec_b64 s[10:11], s[0:1]
	s_cbranch_execz .LBB187_5
; %bb.4:
	s_waitcnt vmcnt(1)
	v_cvt_f32_f16_sdwa v11, v6 dst_sel:DWORD dst_unused:UNUSED_PAD src0_sel:WORD_1
	v_cvt_f32_f16_e32 v10, v6
	v_cvt_f32_f16_sdwa v17, v7 dst_sel:DWORD dst_unused:UNUSED_PAD src0_sel:WORD_1
	v_cvt_f32_f16_e32 v16, v7
	;; [unrolled: 2-line block ×4, first 2 shown]
.LBB187_5:
	s_or_b64 exec, exec, s[10:11]
	s_waitcnt vmcnt(1)
	v_mul_f32_e32 v6, v11, v11
	v_fmac_f32_e32 v6, v10, v10
	v_fmac_f32_e32 v6, v16, v16
	;; [unrolled: 1-line block ×7, first 2 shown]
	v_bfrev_b32_e32 v8, 0.5
	s_load_dwordx2 s[24:25], s[4:5], 0x18
	v_mov_b32_dpp v7, v6 quad_perm:[1,0,3,2] row_mask:0xf bank_mask:0xf
	v_add_f32_e32 v6, v6, v7
	s_nop 1
	v_mov_b32_dpp v7, v6 quad_perm:[2,3,0,1] row_mask:0xf bank_mask:0xf
	v_add_f32_e32 v6, v6, v7
	s_nop 1
	v_mov_b32_dpp v7, v6 row_half_mirror row_mask:0xf bank_mask:0xf
	v_add_f32_e32 v6, v6, v7
	s_nop 1
	v_mov_b32_dpp v7, v6 row_mirror row_mask:0xf bank_mask:0xf
	v_add_f32_e32 v6, v6, v7
	s_nop 1
	v_mov_b32_dpp v7, v6 row_bcast:15 row_mask:0xf bank_mask:0xf
	v_add_f32_e32 v6, v6, v7
	s_nop 1
	v_mov_b32_dpp v7, v6 row_bcast:31 row_mask:0xf bank_mask:0xf
	v_add_f32_e32 v6, v6, v7
	v_mbcnt_lo_u32_b32 v7, -1, 0
	v_mbcnt_hi_u32_b32 v7, -1, v7
	v_lshl_or_b32 v18, v7, 2, v8
	ds_bpermute_b32 v6, v18, v6
	s_and_saveexec_b64 s[10:11], s[0:1]
	s_cbranch_execz .LBB187_7
; %bb.6:
	v_cvt_f32_u32_e32 v7, s7
	v_mov_b32_e32 v8, s13
	v_mov_b32_e32 v9, s12
	v_cndmask_b32_e32 v8, v8, v9, vcc
	s_waitcnt lgkmcnt(0)
	v_div_scale_f32 v19, s[20:21], v7, v7, v6
	v_rcp_f32_e32 v20, v19
	v_div_scale_f32 v9, vcc, v6, v7, v6
	s_mov_b32 s7, 0x800000
	v_fma_f32 v21, -v19, v20, 1.0
	v_fmac_f32_e32 v20, v21, v20
	v_mul_f32_e32 v21, v9, v20
	v_fma_f32 v22, -v19, v21, v9
	v_fmac_f32_e32 v21, v22, v20
	v_fma_f32 v9, -v19, v21, v9
	v_div_fmas_f32 v9, v9, v20, v21
	v_div_fixup_f32 v6, v9, v7, v6
	v_add_f32_e32 v6, v8, v6
	v_mul_f32_e32 v7, 0x4b800000, v6
	v_cmp_gt_f32_e32 vcc, s7, v6
	v_cndmask_b32_e32 v6, v6, v7, vcc
	v_rsq_f32_e32 v6, v6
	s_waitcnt vmcnt(0)
	v_cvt_f32_f16_sdwa v21, v3 dst_sel:DWORD dst_unused:UNUSED_PAD src0_sel:WORD_1
	v_cvt_f32_f16_e32 v20, v3
	v_mul_f32_e32 v7, 0x45800000, v6
	v_cndmask_b32_e32 v6, v6, v7, vcc
	v_mov_b32_e32 v7, v6
	;;#ASMSTART
	v_pk_mul_f32 v[8:9], v[10:11], v[6:7]
	;;#ASMEND
	v_cvt_f32_f16_sdwa v11, v2 dst_sel:DWORD dst_unused:UNUSED_PAD src0_sel:WORD_1
	v_cvt_f32_f16_e32 v10, v2
	;;#ASMSTART
	v_pk_mul_f32 v[16:17], v[16:17], v[6:7]
	;;#ASMEND
	;;#ASMSTART
	v_pk_mul_f32 v[14:15], v[14:15], v[6:7]
	;;#ASMEND
	;; [unrolled: 3-line block ×3, first 2 shown]
	v_pk_add_f32 v[6:7], v[10:11], 1.0 op_sel_hi:[1,0]
	;;#ASMSTART
	v_pk_mul_f32 v[10:11], v[8:9], v[6:7]
	;;#ASMEND
	v_cvt_f32_f16_sdwa v9, v4 dst_sel:DWORD dst_unused:UNUSED_PAD src0_sel:WORD_1
	v_cvt_f32_f16_e32 v8, v4
	v_cvt_f32_f16_sdwa v13, v5 dst_sel:DWORD dst_unused:UNUSED_PAD src0_sel:WORD_1
	v_cvt_f32_f16_e32 v12, v5
	v_pk_add_f32 v[6:7], v[20:21], 1.0 op_sel_hi:[1,0]
	v_pk_add_f32 v[4:5], v[8:9], 1.0 op_sel_hi:[1,0]
	;;#ASMSTART
	v_pk_mul_f32 v[16:17], v[16:17], v[6:7]
	;;#ASMEND
	;;#ASMSTART
	v_pk_mul_f32 v[14:15], v[14:15], v[4:5]
	;;#ASMEND
	v_pk_add_f32 v[4:5], v[12:13], 1.0 op_sel_hi:[1,0]
	;;#ASMSTART
	v_pk_mul_f32 v[12:13], v[2:3], v[4:5]
	;;#ASMEND
.LBB187_7:
	s_or_b64 exec, exec, s[10:11]
	s_load_dword s7, s[4:5], 0x80
	s_mov_b64 s[10:11], -1
	s_and_b64 vcc, exec, s[2:3]
	s_cbranch_vccnz .LBB187_11
; %bb.8:
	s_andn2_b64 vcc, exec, s[10:11]
	s_cbranch_vccz .LBB187_14
.LBB187_9:
	s_cmp_lt_i32 s16, 1
	s_cbranch_scc0 .LBB187_21
.LBB187_10:
	s_endpgm
.LBB187_11:
	s_and_saveexec_b64 s[2:3], s[0:1]
	s_cbranch_execz .LBB187_13
; %bb.12:
	s_waitcnt lgkmcnt(0)
	s_mul_hi_i32 s11, s7, s6
	s_mul_i32 s10, s7, s6
	s_waitcnt vmcnt(0)
	v_cvt_f16_f32_e32 v2, v10
	v_cvt_f16_f32_e32 v3, v16
	;; [unrolled: 1-line block ×8, first 2 shown]
	s_lshl_b64 s[10:11], s[10:11], 1
	s_add_u32 s20, s24, s10
	s_addc_u32 s10, s25, s11
	s_and_b32 s21, s10, 0xffff
	s_mov_b32 s23, 0x20000
	v_pack_b32_f16 v5, v5, v6
	v_pack_b32_f16 v4, v4, v7
	;; [unrolled: 1-line block ×4, first 2 shown]
	v_lshlrev_b32_e32 v6, 4, v0
	buffer_store_dwordx4 v[2:5], v6, s[20:23], 0 offen
	;;#ASMSTART
	s_nop 0
	;;#ASMEND
.LBB187_13:
	s_or_b64 exec, exec, s[2:3]
	s_cbranch_execnz .LBB187_9
.LBB187_14:
	s_waitcnt vmcnt(0)
	v_mov_b32_e32 v2, 0
	s_and_saveexec_b64 s[2:3], s[0:1]
	s_cbranch_execz .LBB187_16
; %bb.15:
	v_and_b32_e32 v2, 0x7fffffff, v10
	v_and_b32_e32 v3, 0x7fffffff, v11
	v_mov_b32_e32 v4, 0x2edbe6ff
	;;#ASMSTART
	v_max3_f32 v2, v4, v2, v3

	;;#ASMEND
	v_and_b32_e32 v3, 0x7fffffff, v16
	v_and_b32_e32 v4, 0x7fffffff, v17
	;;#ASMSTART
	v_max3_f32 v2, v2, v3, v4

	;;#ASMEND
	v_and_b32_e32 v3, 0x7fffffff, v14
	v_and_b32_e32 v4, 0x7fffffff, v15
	;; [unrolled: 6-line block ×3, first 2 shown]
	;;#ASMSTART
	v_max3_f32 v2, v2, v3, v4

	;;#ASMEND
.LBB187_16:
	s_or_b64 exec, exec, s[2:3]
	s_load_dwordx4 s[20:23], s[4:5], 0x70
	;;#ASMSTART
	v_max_f32 v3, v2, v2 quad_perm:[1,0,3,2] row_mask:0xf bank_mask:0xf bound_ctrl:1
	;;#ASMEND
	;;#ASMSTART
	v_max_f32 v4, v3, v3 quad_perm:[2,3,0,1] row_mask:0xf bank_mask:0xf bound_ctrl:1
	;;#ASMEND
	v_and_b32_e32 v3, 7, v0
	v_cmp_eq_u32_e32 vcc, 0, v3
	v_cmp_gt_i32_e64 s[2:3], s15, v1
	s_and_b64 s[10:11], vcc, s[2:3]
	;;#ASMSTART
	v_max_f32 v2, v4, v4 row_half_mirror row_mask:0xf bank_mask:0xf bound_ctrl:1
	;;#ASMEND
	s_and_saveexec_b64 s[2:3], s[10:11]
	s_cbranch_execz .LBB187_18
; %bb.17:
	s_load_dwordx2 s[10:11], s[4:5], 0x8
	v_mul_f32_e32 v2, 0x3e2aaaab, v2
	v_lshrrev_b32_e32 v3, 23, v2
	v_and_b32_e32 v4, 0x7f800000, v2
	v_and_b32_e32 v2, 0x7fffff, v2
	v_cmp_ne_u32_e32 vcc, 0, v2
	s_waitcnt lgkmcnt(0)
	s_mul_i32 s17, s21, s6
	s_mov_b32 s12, 0x7f800000
	v_addc_co_u32_e32 v2, vcc, 0, v3, vcc
	s_mul_hi_i32 s14, s21, s6
	s_add_u32 s10, s10, s17
	v_cmp_ne_u32_e32 vcc, s12, v4
	s_addc_u32 s11, s11, s14
	v_lshrrev_b32_e32 v5, 3, v0
	v_cndmask_b32_e32 v4, -1, v2, vcc
	v_pk_mov_b32 v[2:3], s[10:11], s[10:11] op_sel:[0,1]
	v_mad_i64_i32 v[2:3], s[10:11], s22, v5, v[2:3]
	global_store_byte v[2:3], v4, off
.LBB187_18:
	s_or_b64 exec, exec, s[2:3]
	s_and_saveexec_b64 s[2:3], s[0:1]
	s_cbranch_execz .LBB187_20
; %bb.19:
	s_load_dwordx2 s[0:1], s[4:5], 0x0
	s_waitcnt lgkmcnt(0)
	s_mul_i32 s11, s20, s6
	s_mul_hi_i32 s10, s20, s6
	v_lshlrev_b32_e32 v2, 2, v0
	s_mov_b32 s23, 0x20000
	s_add_u32 s20, s0, s11
	s_addc_u32 s0, s1, s10
	s_lshr_b32 s1, s15, 31
	s_add_i32 s1, s15, s1
	s_ashr_i32 s1, s1, 1
	s_add_i32 s1, s1, 3
	s_ashr_i32 s10, s1, 31
	s_lshr_b32 s10, s10, 30
	s_add_i32 s1, s1, s10
	s_and_b32 s22, s1, -4
	s_and_b32 s21, s0, 0xffff
	v_mov_b32_e32 v3, 0
	buffer_store_dword v3, v2, s[20:23], 0 offen
	;;#ASMSTART
	s_nop 0
	;;#ASMEND
.LBB187_20:
	s_or_b64 exec, exec, s[2:3]
	s_cmp_lt_i32 s16, 1
	s_cbranch_scc1 .LBB187_10
.LBB187_21:
	s_load_dword s0, s[4:5], 0x94
	s_waitcnt lgkmcnt(0)
	s_cmp_lg_u32 s0, 1
	s_cbranch_scc1 .LBB187_10
; %bb.22:
	s_lshl_b32 s0, s16, 1
	s_add_i32 s0, s0, 2
	v_cmp_gt_u32_e32 vcc, s16, v1
	s_and_b32 s10, s0, -4
	v_mov_b32_e32 v8, 0
	v_lshlrev_b32_e32 v16, 4, v0
	s_waitcnt vmcnt(0)
	v_mov_b32_e32 v4, 0
	v_mov_b32_e32 v5, 0
	;; [unrolled: 1-line block ×8, first 2 shown]
	s_barrier
	s_and_saveexec_b64 s[0:1], vcc
	s_cbranch_execz .LBB187_24
; %bb.23:
	s_mul_hi_i32 s3, s18, s6
	s_mul_i32 s2, s18, s6
	s_and_b32 s9, s9, 0xffff
	s_lshl_b64 s[2:3], s[2:3], 1
	s_add_u32 s20, s26, s2
	s_mov_b32 s11, 0x20000
	s_addc_u32 s2, s27, s3
	s_and_b32 s21, s2, 0xffff
	s_mov_b32 s22, s10
	s_mov_b32 s23, s11
	buffer_load_dwordx4 v[4:7], v16, s[20:23], 0 offen glc slc
	buffer_load_dwordx4 v[0:3], v16, s[8:11], 0 offen
.LBB187_24:
	s_or_b64 exec, exec, s[0:1]
	v_mov_b32_e32 v9, 0
	v_mov_b32_e32 v12, 0
	;; [unrolled: 1-line block ×7, first 2 shown]
	s_and_saveexec_b64 s[0:1], vcc
	s_cbranch_execz .LBB187_26
; %bb.25:
	s_waitcnt vmcnt(1)
	v_cvt_f32_f16_sdwa v9, v4 dst_sel:DWORD dst_unused:UNUSED_PAD src0_sel:WORD_1
	v_cvt_f32_f16_e32 v8, v4
	v_cvt_f32_f16_sdwa v13, v5 dst_sel:DWORD dst_unused:UNUSED_PAD src0_sel:WORD_1
	v_cvt_f32_f16_e32 v12, v5
	;; [unrolled: 2-line block ×4, first 2 shown]
.LBB187_26:
	s_or_b64 exec, exec, s[0:1]
	s_waitcnt vmcnt(1)
	v_mul_f32_e32 v4, v9, v9
	v_fmac_f32_e32 v4, v8, v8
	v_fmac_f32_e32 v4, v12, v12
	;; [unrolled: 1-line block ×7, first 2 shown]
	s_nop 1
	v_mov_b32_dpp v5, v4 quad_perm:[1,0,3,2] row_mask:0xf bank_mask:0xf
	v_add_f32_e32 v4, v4, v5
	s_nop 1
	v_mov_b32_dpp v5, v4 quad_perm:[2,3,0,1] row_mask:0xf bank_mask:0xf
	v_add_f32_e32 v4, v4, v5
	s_nop 1
	v_mov_b32_dpp v5, v4 row_half_mirror row_mask:0xf bank_mask:0xf
	v_add_f32_e32 v4, v4, v5
	s_nop 1
	v_mov_b32_dpp v5, v4 row_mirror row_mask:0xf bank_mask:0xf
	v_add_f32_e32 v4, v4, v5
	s_nop 1
	v_mov_b32_dpp v5, v4 row_bcast:15 row_mask:0xf bank_mask:0xf
	v_add_f32_e32 v4, v4, v5
	s_nop 1
	v_mov_b32_dpp v5, v4 row_bcast:31 row_mask:0xf bank_mask:0xf
	v_add_f32_e32 v4, v4, v5
	ds_bpermute_b32 v4, v18, v4
	s_and_saveexec_b64 s[0:1], vcc
	s_cbranch_execz .LBB187_10
; %bb.27:
	v_cvt_f32_u32_e32 v5, s16
	s_mov_b32 s11, 0x20000
	s_waitcnt lgkmcnt(0)
	v_div_scale_f32 v6, s[0:1], v5, v5, v4
	v_rcp_f32_e32 v7, v6
	v_div_scale_f32 v17, vcc, v4, v5, v4
	s_mov_b32 s0, 0x800000
	v_fma_f32 v18, -v6, v7, 1.0
	v_fmac_f32_e32 v7, v18, v7
	v_mul_f32_e32 v18, v17, v7
	v_fma_f32 v19, -v6, v18, v17
	v_fmac_f32_e32 v18, v19, v7
	v_fma_f32 v6, -v6, v18, v17
	v_div_fmas_f32 v6, v6, v7, v18
	v_div_fixup_f32 v4, v6, v5, v4
	v_add_f32_e32 v4, s13, v4
	v_mul_f32_e32 v5, 0x4b800000, v4
	v_cmp_gt_f32_e32 vcc, s0, v4
	v_cndmask_b32_e32 v4, v4, v5, vcc
	v_rsq_f32_e32 v4, v4
	s_waitcnt vmcnt(0)
	v_cvt_f32_f16_sdwa v5, v0 dst_sel:DWORD dst_unused:UNUSED_PAD src0_sel:WORD_1
	v_cvt_f32_f16_sdwa v19, v1 dst_sel:DWORD dst_unused:UNUSED_PAD src0_sel:WORD_1
	v_cvt_f32_f16_e32 v18, v1
	v_mul_f32_e32 v6, 0x45800000, v4
	v_cndmask_b32_e32 v6, v4, v6, vcc
	v_cvt_f32_f16_e32 v4, v0
	v_mov_b32_e32 v7, v6
	;;#ASMSTART
	v_pk_mul_f32 v[8:9], v[8:9], v[6:7]
	;;#ASMEND
	;;#ASMSTART
	v_pk_mul_f32 v[12:13], v[12:13], v[6:7]
	;;#ASMEND
	v_pk_add_f32 v[4:5], v[4:5], 1.0 op_sel_hi:[1,0]
	;;#ASMSTART
	v_pk_mul_f32 v[14:15], v[14:15], v[6:7]
	;;#ASMEND
	;;#ASMSTART
	v_pk_mul_f32 v[0:1], v[10:11], v[6:7]
	;;#ASMEND
	;;#ASMSTART
	v_pk_mul_f32 v[4:5], v[8:9], v[4:5]
	;;#ASMEND
	v_cvt_f32_f16_sdwa v9, v2 dst_sel:DWORD dst_unused:UNUSED_PAD src0_sel:WORD_1
	v_cvt_f32_f16_e32 v8, v2
	v_cvt_f32_f16_sdwa v11, v3 dst_sel:DWORD dst_unused:UNUSED_PAD src0_sel:WORD_1
	v_cvt_f32_f16_e32 v10, v3
	v_pk_add_f32 v[6:7], v[18:19], 1.0 op_sel_hi:[1,0]
	;;#ASMSTART
	v_pk_mul_f32 v[2:3], v[12:13], v[6:7]
	;;#ASMEND
	v_pk_add_f32 v[6:7], v[8:9], 1.0 op_sel_hi:[1,0]
	;;#ASMSTART
	v_pk_mul_f32 v[6:7], v[14:15], v[6:7]
	;;#ASMEND
	;; [unrolled: 4-line block ×3, first 2 shown]
	s_mul_hi_i32 s1, s7, s6
	s_mul_i32 s0, s7, s6
	v_cvt_f16_f32_e32 v4, v4
	v_cvt_f16_f32_e32 v5, v5
	;; [unrolled: 1-line block ×8, first 2 shown]
	s_lshl_b64 s[0:1], s[0:1], 1
	s_add_u32 s8, s24, s0
	s_addc_u32 s0, s25, s1
	s_and_b32 s9, s0, 0xffff
	v_pack_b32_f16 v0, v4, v5
	v_pack_b32_f16 v1, v2, v3
	;; [unrolled: 1-line block ×4, first 2 shown]
	buffer_store_dwordx4 v[0:3], v16, s[8:11], 0 offen
	;;#ASMSTART
	s_nop 0
	;;#ASMEND
	s_endpgm
	.section	.rodata,"a",@progbits
	.p2align	6, 0x0
	.amdhsa_kernel _ZN5aiter35fused_qk_rmsnorm_group_quant_kernelIDF16_N4opus5fp4_tELi64ELi8ELi8ELb0ELb0ELb1ELb0ELb0ELb0EEEvPT0_PvPT_S7_S7_PKS6_S9_S9_S9_S9_ffiiiiiiiiiiiii
		.amdhsa_group_segment_fixed_size 0
		.amdhsa_private_segment_fixed_size 0
		.amdhsa_kernarg_size 400
		.amdhsa_user_sgpr_count 6
		.amdhsa_user_sgpr_private_segment_buffer 1
		.amdhsa_user_sgpr_dispatch_ptr 0
		.amdhsa_user_sgpr_queue_ptr 0
		.amdhsa_user_sgpr_kernarg_segment_ptr 1
		.amdhsa_user_sgpr_dispatch_id 0
		.amdhsa_user_sgpr_flat_scratch_init 0
		.amdhsa_user_sgpr_kernarg_preload_length 0
		.amdhsa_user_sgpr_kernarg_preload_offset 0
		.amdhsa_user_sgpr_private_segment_size 0
		.amdhsa_uses_dynamic_stack 0
		.amdhsa_system_sgpr_private_segment_wavefront_offset 0
		.amdhsa_system_sgpr_workgroup_id_x 1
		.amdhsa_system_sgpr_workgroup_id_y 1
		.amdhsa_system_sgpr_workgroup_id_z 0
		.amdhsa_system_sgpr_workgroup_info 0
		.amdhsa_system_vgpr_workitem_id 0
		.amdhsa_next_free_vgpr 23
		.amdhsa_next_free_sgpr 32
		.amdhsa_accum_offset 24
		.amdhsa_reserve_vcc 1
		.amdhsa_reserve_flat_scratch 0
		.amdhsa_float_round_mode_32 0
		.amdhsa_float_round_mode_16_64 0
		.amdhsa_float_denorm_mode_32 3
		.amdhsa_float_denorm_mode_16_64 3
		.amdhsa_dx10_clamp 1
		.amdhsa_ieee_mode 1
		.amdhsa_fp16_overflow 0
		.amdhsa_tg_split 0
		.amdhsa_exception_fp_ieee_invalid_op 0
		.amdhsa_exception_fp_denorm_src 0
		.amdhsa_exception_fp_ieee_div_zero 0
		.amdhsa_exception_fp_ieee_overflow 0
		.amdhsa_exception_fp_ieee_underflow 0
		.amdhsa_exception_fp_ieee_inexact 0
		.amdhsa_exception_int_div_zero 0
	.end_amdhsa_kernel
	.section	.text._ZN5aiter35fused_qk_rmsnorm_group_quant_kernelIDF16_N4opus5fp4_tELi64ELi8ELi8ELb0ELb0ELb1ELb0ELb0ELb0EEEvPT0_PvPT_S7_S7_PKS6_S9_S9_S9_S9_ffiiiiiiiiiiiii,"axG",@progbits,_ZN5aiter35fused_qk_rmsnorm_group_quant_kernelIDF16_N4opus5fp4_tELi64ELi8ELi8ELb0ELb0ELb1ELb0ELb0ELb0EEEvPT0_PvPT_S7_S7_PKS6_S9_S9_S9_S9_ffiiiiiiiiiiiii,comdat
.Lfunc_end187:
	.size	_ZN5aiter35fused_qk_rmsnorm_group_quant_kernelIDF16_N4opus5fp4_tELi64ELi8ELi8ELb0ELb0ELb1ELb0ELb0ELb0EEEvPT0_PvPT_S7_S7_PKS6_S9_S9_S9_S9_ffiiiiiiiiiiiii, .Lfunc_end187-_ZN5aiter35fused_qk_rmsnorm_group_quant_kernelIDF16_N4opus5fp4_tELi64ELi8ELi8ELb0ELb0ELb1ELb0ELb0ELb0EEEvPT0_PvPT_S7_S7_PKS6_S9_S9_S9_S9_ffiiiiiiiiiiiii
                                        ; -- End function
	.section	.AMDGPU.csdata,"",@progbits
; Kernel info:
; codeLenInByte = 2236
; NumSgprs: 36
; NumVgprs: 23
; NumAgprs: 0
; TotalNumVgprs: 23
; ScratchSize: 0
; MemoryBound: 0
; FloatMode: 240
; IeeeMode: 1
; LDSByteSize: 0 bytes/workgroup (compile time only)
; SGPRBlocks: 4
; VGPRBlocks: 2
; NumSGPRsForWavesPerEU: 36
; NumVGPRsForWavesPerEU: 23
; AccumOffset: 24
; Occupancy: 8
; WaveLimiterHint : 0
; COMPUTE_PGM_RSRC2:SCRATCH_EN: 0
; COMPUTE_PGM_RSRC2:USER_SGPR: 6
; COMPUTE_PGM_RSRC2:TRAP_HANDLER: 0
; COMPUTE_PGM_RSRC2:TGID_X_EN: 1
; COMPUTE_PGM_RSRC2:TGID_Y_EN: 1
; COMPUTE_PGM_RSRC2:TGID_Z_EN: 0
; COMPUTE_PGM_RSRC2:TIDIG_COMP_CNT: 0
; COMPUTE_PGM_RSRC3_GFX90A:ACCUM_OFFSET: 5
; COMPUTE_PGM_RSRC3_GFX90A:TG_SPLIT: 0
	.section	.text._ZN5aiter35fused_qk_rmsnorm_group_quant_kernelItN4opus5fp4_tELi64ELi8ELi8ELb0ELb0ELb1ELb0ELb0ELb0EEEvPT0_PvPT_S7_S7_PKS6_S9_S9_S9_S9_ffiiiiiiiiiiiii,"axG",@progbits,_ZN5aiter35fused_qk_rmsnorm_group_quant_kernelItN4opus5fp4_tELi64ELi8ELi8ELb0ELb0ELb1ELb0ELb0ELb0EEEvPT0_PvPT_S7_S7_PKS6_S9_S9_S9_S9_ffiiiiiiiiiiiii,comdat
	.protected	_ZN5aiter35fused_qk_rmsnorm_group_quant_kernelItN4opus5fp4_tELi64ELi8ELi8ELb0ELb0ELb1ELb0ELb0ELb0EEEvPT0_PvPT_S7_S7_PKS6_S9_S9_S9_S9_ffiiiiiiiiiiiii ; -- Begin function _ZN5aiter35fused_qk_rmsnorm_group_quant_kernelItN4opus5fp4_tELi64ELi8ELi8ELb0ELb0ELb1ELb0ELb0ELb0EEEvPT0_PvPT_S7_S7_PKS6_S9_S9_S9_S9_ffiiiiiiiiiiiii
	.globl	_ZN5aiter35fused_qk_rmsnorm_group_quant_kernelItN4opus5fp4_tELi64ELi8ELi8ELb0ELb0ELb1ELb0ELb0ELb0EEEvPT0_PvPT_S7_S7_PKS6_S9_S9_S9_S9_ffiiiiiiiiiiiii
	.p2align	8
	.type	_ZN5aiter35fused_qk_rmsnorm_group_quant_kernelItN4opus5fp4_tELi64ELi8ELi8ELb0ELb0ELb1ELb0ELb0ELb0EEEvPT0_PvPT_S7_S7_PKS6_S9_S9_S9_S9_ffiiiiiiiiiiiii,@function
_ZN5aiter35fused_qk_rmsnorm_group_quant_kernelItN4opus5fp4_tELi64ELi8ELi8ELb0ELb0ELb1ELb0ELb0ELb0EEEvPT0_PvPT_S7_S7_PKS6_S9_S9_S9_S9_ffiiiiiiiiiiiii: ; @_ZN5aiter35fused_qk_rmsnorm_group_quant_kernelItN4opus5fp4_tELi64ELi8ELi8ELb0ELb0ELb1ELb0ELb0ELb0EEEvPT0_PvPT_S7_S7_PKS6_S9_S9_S9_S9_ffiiiiiiiiiiiii
; %bb.0:
	s_load_dwordx4 s[12:15], s[4:5], 0x50
	s_waitcnt lgkmcnt(0)
	s_cmp_ge_i32 s6, s14
	s_cbranch_scc1 .LBB188_8
; %bb.1:
	s_load_dwordx2 s[8:9], s[4:5], 0x48
	s_load_dwordx2 s[26:27], s[4:5], 0x30
	s_load_dwordx4 s[16:19], s[4:5], 0x60
	s_cmp_lg_u32 s7, 0
	s_cselect_b64 s[2:3], -1, 0
	s_cmp_eq_u32 s7, 0
	s_cselect_b64 vcc, -1, 0
	s_and_b64 s[0:1], vcc, exec
	s_waitcnt lgkmcnt(0)
	s_cselect_b32 s7, s15, s16
	s_add_i32 s0, s7, 1
	s_lshr_b32 s1, s0, 31
	s_add_i32 s0, s0, s1
	s_lshl_b32 s0, s0, 1
	v_lshlrev_b32_e32 v1, 3, v0
	s_and_b32 s22, s0, -4
	v_cmp_gt_i32_e64 s[0:1], s7, v1
	v_mov_b32_e32 v2, 0
	v_mov_b32_e32 v3, 0
	;; [unrolled: 1-line block ×8, first 2 shown]
	s_and_saveexec_b64 s[10:11], s[0:1]
	s_cbranch_execz .LBB188_3
; %bb.2:
	s_load_dwordx2 s[20:21], s[4:5], 0x28
	s_load_dwordx2 s[24:25], s[4:5], 0x40
	s_and_b64 s[28:29], vcc, exec
	s_cselect_b32 s14, s17, s18
	s_mov_b32 s23, 0x20000
	s_waitcnt lgkmcnt(0)
	s_cselect_b32 s17, s21, s27
	s_cselect_b32 s19, s20, s26
	s_mul_hi_i32 s21, s14, s6
	s_mul_i32 s20, s14, s6
	s_lshl_b64 s[20:21], s[20:21], 1
	s_add_u32 s28, s19, s20
	s_addc_u32 s14, s17, s21
	s_and_b64 s[20:21], vcc, exec
	s_cselect_b32 s20, s24, s8
	s_cselect_b32 s17, s25, s9
	v_lshlrev_b32_e32 v10, 4, v0
	s_and_b32 s29, s14, 0xffff
	s_mov_b32 s30, s22
	s_mov_b32 s31, s23
	s_and_b32 s21, s17, 0xffff
	buffer_load_dwordx4 v[6:9], v10, s[28:31], 0 offen glc slc
	buffer_load_dwordx4 v[2:5], v10, s[20:23], 0 offen
.LBB188_3:
	s_or_b64 exec, exec, s[10:11]
	s_waitcnt vmcnt(1)
	v_cvt_f32_u32_sdwa v11, v6 dst_sel:DWORD dst_unused:UNUSED_PAD src0_sel:WORD_1
	v_cvt_f32_u32_sdwa v10, v6 dst_sel:DWORD dst_unused:UNUSED_PAD src0_sel:WORD_0
	v_cvt_f32_u32_sdwa v6, v9 dst_sel:DWORD dst_unused:UNUSED_PAD src0_sel:WORD_1
	v_cvt_f32_u32_sdwa v9, v9 dst_sel:DWORD dst_unused:UNUSED_PAD src0_sel:WORD_0
	;; [unrolled: 2-line block ×4, first 2 shown]
	v_cndmask_b32_e64 v11, 0, v11, s[0:1]
	v_cndmask_b32_e64 v7, 0, v6, s[0:1]
	;; [unrolled: 1-line block ×5, first 2 shown]
	v_mul_f32_e32 v14, v11, v11
	v_cndmask_b32_e64 v12, 0, v12, s[0:1]
	v_fmac_f32_e32 v14, v10, v10
	v_cndmask_b32_e64 v13, 0, v13, s[0:1]
	v_fmac_f32_e32 v14, v12, v12
	;; [unrolled: 2-line block ×3, first 2 shown]
	v_fmac_f32_e32 v14, v8, v8
	v_fmac_f32_e32 v14, v9, v9
	;; [unrolled: 1-line block ×4, first 2 shown]
	v_bfrev_b32_e32 v16, 0.5
	s_load_dwordx2 s[24:25], s[4:5], 0x18
	v_mov_b32_dpp v15, v14 quad_perm:[1,0,3,2] row_mask:0xf bank_mask:0xf
	v_add_f32_e32 v14, v14, v15
	s_nop 1
	v_mov_b32_dpp v15, v14 quad_perm:[2,3,0,1] row_mask:0xf bank_mask:0xf
	v_add_f32_e32 v14, v14, v15
	s_nop 1
	v_mov_b32_dpp v15, v14 row_half_mirror row_mask:0xf bank_mask:0xf
	v_add_f32_e32 v14, v14, v15
	s_nop 1
	v_mov_b32_dpp v15, v14 row_mirror row_mask:0xf bank_mask:0xf
	v_add_f32_e32 v14, v14, v15
	s_nop 1
	v_mov_b32_dpp v15, v14 row_bcast:15 row_mask:0xf bank_mask:0xf
	v_add_f32_e32 v14, v14, v15
	s_nop 1
	v_mov_b32_dpp v15, v14 row_bcast:31 row_mask:0xf bank_mask:0xf
	v_add_f32_e32 v15, v14, v15
	v_mbcnt_lo_u32_b32 v14, -1, 0
	v_mbcnt_hi_u32_b32 v14, -1, v14
	v_lshl_or_b32 v14, v14, 2, v16
	ds_bpermute_b32 v15, v14, v15
	s_and_saveexec_b64 s[10:11], s[0:1]
	s_cbranch_execz .LBB188_5
; %bb.4:
	v_cvt_f32_u32_e32 v16, s7
	v_mov_b32_e32 v17, s13
	v_mov_b32_e32 v18, s12
	v_cndmask_b32_e32 v17, v17, v18, vcc
	s_waitcnt lgkmcnt(0)
	v_div_scale_f32 v19, s[20:21], v16, v16, v15
	v_rcp_f32_e32 v20, v19
	v_div_scale_f32 v18, vcc, v15, v16, v15
	s_mov_b32 s7, 0x800000
	v_fma_f32 v21, -v19, v20, 1.0
	v_fmac_f32_e32 v20, v21, v20
	v_mul_f32_e32 v21, v18, v20
	v_fma_f32 v22, -v19, v21, v18
	v_fmac_f32_e32 v21, v22, v20
	v_fma_f32 v18, -v19, v21, v18
	v_div_fmas_f32 v18, v18, v20, v21
	v_div_fixup_f32 v15, v18, v16, v15
	v_add_f32_e32 v15, v17, v15
	v_mul_f32_e32 v16, 0x4b800000, v15
	v_cmp_gt_f32_e32 vcc, s7, v15
	v_cndmask_b32_e32 v15, v15, v16, vcc
	v_rsq_f32_e32 v15, v15
	s_waitcnt vmcnt(0)
	v_cvt_f32_u32_sdwa v19, v2 dst_sel:DWORD dst_unused:UNUSED_PAD src0_sel:WORD_1
	v_cvt_f32_u32_sdwa v18, v2 dst_sel:DWORD dst_unused:UNUSED_PAD src0_sel:WORD_0
	v_cvt_f32_u32_sdwa v21, v3 dst_sel:DWORD dst_unused:UNUSED_PAD src0_sel:WORD_1
	v_mul_f32_e32 v16, 0x45800000, v15
	v_cndmask_b32_e32 v16, v15, v16, vcc
	v_mov_b32_e32 v17, v16
	;;#ASMSTART
	v_pk_mul_f32 v[10:11], v[10:11], v[16:17]
	;;#ASMEND
	;;#ASMSTART
	v_pk_mul_f32 v[12:13], v[12:13], v[16:17]
	;;#ASMEND
	;; [unrolled: 3-line block ×3, first 2 shown]
	v_cvt_f32_u32_sdwa v20, v3 dst_sel:DWORD dst_unused:UNUSED_PAD src0_sel:WORD_0
	;;#ASMSTART
	v_pk_mul_f32 v[2:3], v[6:7], v[16:17]
	;;#ASMEND
	v_cvt_f32_u32_sdwa v17, v4 dst_sel:DWORD dst_unused:UNUSED_PAD src0_sel:WORD_1
	v_cvt_f32_u32_sdwa v16, v4 dst_sel:DWORD dst_unused:UNUSED_PAD src0_sel:WORD_0
	v_pk_add_f32 v[6:7], v[18:19], 1.0 op_sel_hi:[1,0]
	v_cvt_f32_u32_sdwa v19, v5 dst_sel:DWORD dst_unused:UNUSED_PAD src0_sel:WORD_1
	v_cvt_f32_u32_sdwa v18, v5 dst_sel:DWORD dst_unused:UNUSED_PAD src0_sel:WORD_0
	;;#ASMSTART
	v_pk_mul_f32 v[10:11], v[10:11], v[6:7]
	;;#ASMEND
	v_pk_add_f32 v[6:7], v[20:21], 1.0 op_sel_hi:[1,0]
	v_pk_add_f32 v[4:5], v[16:17], 1.0 op_sel_hi:[1,0]
	;;#ASMSTART
	v_pk_mul_f32 v[12:13], v[12:13], v[6:7]
	;;#ASMEND
	;;#ASMSTART
	v_pk_mul_f32 v[8:9], v[8:9], v[4:5]
	;;#ASMEND
	v_pk_add_f32 v[4:5], v[18:19], 1.0 op_sel_hi:[1,0]
	;;#ASMSTART
	v_pk_mul_f32 v[6:7], v[2:3], v[4:5]
	;;#ASMEND
.LBB188_5:
	s_or_b64 exec, exec, s[10:11]
	s_load_dword s7, s[4:5], 0x80
	s_mov_b64 s[10:11], -1
	s_and_b64 vcc, exec, s[2:3]
	s_cbranch_vccnz .LBB188_9
; %bb.6:
	s_andn2_b64 vcc, exec, s[10:11]
	s_cbranch_vccz .LBB188_12
.LBB188_7:
	s_cmp_lt_i32 s16, 1
	s_cbranch_scc0 .LBB188_19
.LBB188_8:
	s_endpgm
.LBB188_9:
	s_and_saveexec_b64 s[2:3], s[0:1]
	s_cbranch_execz .LBB188_11
; %bb.10:
	s_waitcnt lgkmcnt(0)
	s_mul_hi_i32 s11, s7, s6
	s_mul_i32 s10, s7, s6
	s_lshl_b64 s[10:11], s[10:11], 1
	s_add_u32 s20, s24, s10
	s_addc_u32 s10, s25, s11
	s_and_b32 s21, s10, 0xffff
	s_mov_b32 s10, 0x7060302
	s_mov_b32 s23, 0x20000
	s_waitcnt vmcnt(0)
	v_perm_b32 v2, v11, v10, s10
	v_perm_b32 v3, v13, v12, s10
	;; [unrolled: 1-line block ×4, first 2 shown]
	v_lshlrev_b32_e32 v15, 4, v0
	buffer_store_dwordx4 v[2:5], v15, s[20:23], 0 offen
	;;#ASMSTART
	s_nop 0
	;;#ASMEND
.LBB188_11:
	s_or_b64 exec, exec, s[2:3]
	s_cbranch_execnz .LBB188_7
.LBB188_12:
	s_waitcnt vmcnt(0)
	v_mov_b32_e32 v2, 0
	s_and_saveexec_b64 s[2:3], s[0:1]
	s_cbranch_execz .LBB188_14
; %bb.13:
	v_and_b32_e32 v2, 0x7fffffff, v10
	v_and_b32_e32 v3, 0x7fffffff, v11
	v_mov_b32_e32 v4, 0x2edbe6ff
	;;#ASMSTART
	v_max3_f32 v2, v4, v2, v3

	;;#ASMEND
	v_and_b32_e32 v3, 0x7fffffff, v12
	v_and_b32_e32 v4, 0x7fffffff, v13
	;;#ASMSTART
	v_max3_f32 v2, v2, v3, v4

	;;#ASMEND
	v_and_b32_e32 v3, 0x7fffffff, v8
	v_and_b32_e32 v4, 0x7fffffff, v9
	;; [unrolled: 6-line block ×3, first 2 shown]
	;;#ASMSTART
	v_max3_f32 v2, v2, v3, v4

	;;#ASMEND
.LBB188_14:
	s_or_b64 exec, exec, s[2:3]
	s_load_dwordx4 s[20:23], s[4:5], 0x70
	;;#ASMSTART
	v_max_f32 v3, v2, v2 quad_perm:[1,0,3,2] row_mask:0xf bank_mask:0xf bound_ctrl:1
	;;#ASMEND
	;;#ASMSTART
	v_max_f32 v4, v3, v3 quad_perm:[2,3,0,1] row_mask:0xf bank_mask:0xf bound_ctrl:1
	;;#ASMEND
	v_and_b32_e32 v3, 7, v0
	v_cmp_eq_u32_e32 vcc, 0, v3
	v_cmp_gt_i32_e64 s[2:3], s15, v1
	s_and_b64 s[10:11], vcc, s[2:3]
	;;#ASMSTART
	v_max_f32 v2, v4, v4 row_half_mirror row_mask:0xf bank_mask:0xf bound_ctrl:1
	;;#ASMEND
	s_and_saveexec_b64 s[2:3], s[10:11]
	s_cbranch_execz .LBB188_16
; %bb.15:
	s_load_dwordx2 s[10:11], s[4:5], 0x8
	v_mul_f32_e32 v2, 0x3e2aaaab, v2
	v_lshrrev_b32_e32 v3, 23, v2
	v_and_b32_e32 v4, 0x7f800000, v2
	v_and_b32_e32 v2, 0x7fffff, v2
	v_cmp_ne_u32_e32 vcc, 0, v2
	s_waitcnt lgkmcnt(0)
	s_mul_i32 s17, s21, s6
	s_mov_b32 s12, 0x7f800000
	v_addc_co_u32_e32 v2, vcc, 0, v3, vcc
	s_mul_hi_i32 s14, s21, s6
	s_add_u32 s10, s10, s17
	v_cmp_ne_u32_e32 vcc, s12, v4
	s_addc_u32 s11, s11, s14
	v_lshrrev_b32_e32 v5, 3, v0
	v_cndmask_b32_e32 v4, -1, v2, vcc
	v_pk_mov_b32 v[2:3], s[10:11], s[10:11] op_sel:[0,1]
	v_mad_i64_i32 v[2:3], s[10:11], s22, v5, v[2:3]
	global_store_byte v[2:3], v4, off
.LBB188_16:
	s_or_b64 exec, exec, s[2:3]
	s_and_saveexec_b64 s[2:3], s[0:1]
	s_cbranch_execz .LBB188_18
; %bb.17:
	s_load_dwordx2 s[0:1], s[4:5], 0x0
	s_waitcnt lgkmcnt(0)
	s_mul_i32 s11, s20, s6
	s_mul_hi_i32 s10, s20, s6
	v_lshlrev_b32_e32 v2, 2, v0
	s_mov_b32 s23, 0x20000
	s_add_u32 s20, s0, s11
	s_addc_u32 s0, s1, s10
	s_lshr_b32 s1, s15, 31
	s_add_i32 s1, s15, s1
	s_ashr_i32 s1, s1, 1
	s_add_i32 s1, s1, 3
	s_ashr_i32 s10, s1, 31
	s_lshr_b32 s10, s10, 30
	s_add_i32 s1, s1, s10
	s_and_b32 s22, s1, -4
	s_and_b32 s21, s0, 0xffff
	v_mov_b32_e32 v3, 0
	buffer_store_dword v3, v2, s[20:23], 0 offen
	;;#ASMSTART
	s_nop 0
	;;#ASMEND
.LBB188_18:
	s_or_b64 exec, exec, s[2:3]
	s_cmp_lt_i32 s16, 1
	s_cbranch_scc1 .LBB188_8
.LBB188_19:
	s_load_dword s0, s[4:5], 0x94
	s_waitcnt lgkmcnt(0)
	s_cmp_lg_u32 s0, 1
	s_cbranch_scc1 .LBB188_8
; %bb.20:
	s_lshl_b32 s0, s16, 1
	s_add_i32 s0, s0, 2
	v_cmp_gt_u32_e32 vcc, s16, v1
	s_and_b32 s10, s0, -4
	s_waitcnt vmcnt(0)
	v_mov_b32_e32 v4, 0
	v_lshlrev_b32_e32 v12, 4, v0
	v_mov_b32_e32 v5, 0
	v_mov_b32_e32 v6, 0
	;; [unrolled: 1-line block ×7, first 2 shown]
	s_barrier
	s_and_saveexec_b64 s[0:1], vcc
	s_cbranch_execz .LBB188_22
; %bb.21:
	s_mul_hi_i32 s3, s18, s6
	s_mul_i32 s2, s18, s6
	s_and_b32 s9, s9, 0xffff
	s_lshl_b64 s[2:3], s[2:3], 1
	s_add_u32 s20, s26, s2
	s_mov_b32 s11, 0x20000
	s_addc_u32 s2, s27, s3
	s_and_b32 s21, s2, 0xffff
	s_mov_b32 s22, s10
	s_mov_b32 s23, s11
	buffer_load_dwordx4 v[4:7], v12, s[20:23], 0 offen glc slc
	buffer_load_dwordx4 v[0:3], v12, s[8:11], 0 offen
.LBB188_22:
	s_or_b64 exec, exec, s[0:1]
	s_waitcnt vmcnt(1)
	v_cvt_f32_u32_sdwa v11, v4 dst_sel:DWORD dst_unused:UNUSED_PAD src0_sel:WORD_1
	v_cvt_f32_u32_sdwa v10, v4 dst_sel:DWORD dst_unused:UNUSED_PAD src0_sel:WORD_0
	v_cvt_f32_u32_sdwa v4, v7 dst_sel:DWORD dst_unused:UNUSED_PAD src0_sel:WORD_1
	v_cvt_f32_u32_sdwa v7, v7 dst_sel:DWORD dst_unused:UNUSED_PAD src0_sel:WORD_0
	;; [unrolled: 2-line block ×4, first 2 shown]
	v_cndmask_b32_e32 v11, 0, v11, vcc
	v_cndmask_b32_e32 v5, 0, v4, vcc
	v_cndmask_b32_e32 v4, 0, v7, vcc
	v_cndmask_b32_e32 v7, 0, v13, vcc
	v_cndmask_b32_e32 v10, 0, v10, vcc
	v_mul_f32_e32 v13, v11, v11
	v_cndmask_b32_e32 v8, 0, v8, vcc
	v_fmac_f32_e32 v13, v10, v10
	v_cndmask_b32_e32 v9, 0, v9, vcc
	v_fmac_f32_e32 v13, v8, v8
	;; [unrolled: 2-line block ×3, first 2 shown]
	v_fmac_f32_e32 v13, v6, v6
	v_fmac_f32_e32 v13, v7, v7
	;; [unrolled: 1-line block ×4, first 2 shown]
	s_nop 1
	v_mov_b32_dpp v15, v13 quad_perm:[1,0,3,2] row_mask:0xf bank_mask:0xf
	v_add_f32_e32 v13, v13, v15
	s_nop 1
	v_mov_b32_dpp v15, v13 quad_perm:[2,3,0,1] row_mask:0xf bank_mask:0xf
	v_add_f32_e32 v13, v13, v15
	s_nop 1
	v_mov_b32_dpp v15, v13 row_half_mirror row_mask:0xf bank_mask:0xf
	v_add_f32_e32 v13, v13, v15
	s_nop 1
	v_mov_b32_dpp v15, v13 row_mirror row_mask:0xf bank_mask:0xf
	v_add_f32_e32 v13, v13, v15
	s_nop 1
	v_mov_b32_dpp v15, v13 row_bcast:15 row_mask:0xf bank_mask:0xf
	v_add_f32_e32 v13, v13, v15
	s_nop 1
	v_mov_b32_dpp v15, v13 row_bcast:31 row_mask:0xf bank_mask:0xf
	v_add_f32_e32 v13, v13, v15
	ds_bpermute_b32 v13, v14, v13
	s_and_saveexec_b64 s[0:1], vcc
	s_cbranch_execz .LBB188_8
; %bb.23:
	v_cvt_f32_u32_e32 v14, s16
	s_mov_b32 s11, 0x20000
	s_waitcnt lgkmcnt(0)
	v_div_scale_f32 v15, s[0:1], v14, v14, v13
	v_rcp_f32_e32 v16, v15
	v_div_scale_f32 v17, vcc, v13, v14, v13
	s_mov_b32 s0, 0x800000
	v_fma_f32 v18, -v15, v16, 1.0
	v_fmac_f32_e32 v16, v18, v16
	v_mul_f32_e32 v18, v17, v16
	v_fma_f32 v19, -v15, v18, v17
	v_fmac_f32_e32 v18, v19, v16
	v_fma_f32 v15, -v15, v18, v17
	v_div_fmas_f32 v15, v15, v16, v18
	v_div_fixup_f32 v13, v15, v14, v13
	v_add_f32_e32 v13, s13, v13
	v_mul_f32_e32 v14, 0x4b800000, v13
	v_cmp_gt_f32_e32 vcc, s0, v13
	v_cndmask_b32_e32 v13, v13, v14, vcc
	v_rsq_f32_e32 v13, v13
	s_waitcnt vmcnt(0)
	v_cvt_f32_u32_sdwa v15, v0 dst_sel:DWORD dst_unused:UNUSED_PAD src0_sel:WORD_1
	v_cvt_f32_u32_sdwa v19, v1 dst_sel:DWORD dst_unused:UNUSED_PAD src0_sel:WORD_1
	v_cvt_f32_u32_sdwa v18, v1 dst_sel:DWORD dst_unused:UNUSED_PAD src0_sel:WORD_0
	v_mul_f32_e32 v14, 0x45800000, v13
	v_cndmask_b32_e32 v16, v13, v14, vcc
	v_cvt_f32_u32_sdwa v14, v0 dst_sel:DWORD dst_unused:UNUSED_PAD src0_sel:WORD_0
	v_mov_b32_e32 v17, v16
	;;#ASMSTART
	v_pk_mul_f32 v[10:11], v[10:11], v[16:17]
	;;#ASMEND
	;;#ASMSTART
	v_pk_mul_f32 v[8:9], v[8:9], v[16:17]
	;;#ASMEND
	;; [unrolled: 3-line block ×4, first 2 shown]
	v_pk_add_f32 v[4:5], v[14:15], 1.0 op_sel_hi:[1,0]
	v_cvt_f32_u32_sdwa v15, v2 dst_sel:DWORD dst_unused:UNUSED_PAD src0_sel:WORD_1
	v_cvt_f32_u32_sdwa v14, v2 dst_sel:DWORD dst_unused:UNUSED_PAD src0_sel:WORD_0
	v_cvt_f32_u32_sdwa v17, v3 dst_sel:DWORD dst_unused:UNUSED_PAD src0_sel:WORD_1
	v_cvt_f32_u32_sdwa v16, v3 dst_sel:DWORD dst_unused:UNUSED_PAD src0_sel:WORD_0
	s_mul_hi_i32 s1, s7, s6
	s_mul_i32 s0, s7, s6
	s_lshl_b64 s[0:1], s[0:1], 1
	s_add_u32 s8, s24, s0
	;;#ASMSTART
	v_pk_mul_f32 v[4:5], v[10:11], v[4:5]
	;;#ASMEND
	v_pk_add_f32 v[10:11], v[18:19], 1.0 op_sel_hi:[1,0]
	;;#ASMSTART
	v_pk_mul_f32 v[2:3], v[8:9], v[10:11]
	;;#ASMEND
	v_pk_add_f32 v[8:9], v[14:15], 1.0 op_sel_hi:[1,0]
	s_addc_u32 s0, s25, s1
	;;#ASMSTART
	v_pk_mul_f32 v[6:7], v[6:7], v[8:9]
	;;#ASMEND
	v_pk_add_f32 v[8:9], v[16:17], 1.0 op_sel_hi:[1,0]
	s_and_b32 s9, s0, 0xffff
	s_mov_b32 s0, 0x7060302
	;;#ASMSTART
	v_pk_mul_f32 v[8:9], v[0:1], v[8:9]
	;;#ASMEND
	v_perm_b32 v0, v5, v4, s0
	v_perm_b32 v1, v3, v2, s0
	;; [unrolled: 1-line block ×4, first 2 shown]
	buffer_store_dwordx4 v[0:3], v12, s[8:11], 0 offen
	;;#ASMSTART
	s_nop 0
	;;#ASMEND
	s_endpgm
	.section	.rodata,"a",@progbits
	.p2align	6, 0x0
	.amdhsa_kernel _ZN5aiter35fused_qk_rmsnorm_group_quant_kernelItN4opus5fp4_tELi64ELi8ELi8ELb0ELb0ELb1ELb0ELb0ELb0EEEvPT0_PvPT_S7_S7_PKS6_S9_S9_S9_S9_ffiiiiiiiiiiiii
		.amdhsa_group_segment_fixed_size 0
		.amdhsa_private_segment_fixed_size 0
		.amdhsa_kernarg_size 400
		.amdhsa_user_sgpr_count 6
		.amdhsa_user_sgpr_private_segment_buffer 1
		.amdhsa_user_sgpr_dispatch_ptr 0
		.amdhsa_user_sgpr_queue_ptr 0
		.amdhsa_user_sgpr_kernarg_segment_ptr 1
		.amdhsa_user_sgpr_dispatch_id 0
		.amdhsa_user_sgpr_flat_scratch_init 0
		.amdhsa_user_sgpr_kernarg_preload_length 0
		.amdhsa_user_sgpr_kernarg_preload_offset 0
		.amdhsa_user_sgpr_private_segment_size 0
		.amdhsa_uses_dynamic_stack 0
		.amdhsa_system_sgpr_private_segment_wavefront_offset 0
		.amdhsa_system_sgpr_workgroup_id_x 1
		.amdhsa_system_sgpr_workgroup_id_y 1
		.amdhsa_system_sgpr_workgroup_id_z 0
		.amdhsa_system_sgpr_workgroup_info 0
		.amdhsa_system_vgpr_workitem_id 0
		.amdhsa_next_free_vgpr 23
		.amdhsa_next_free_sgpr 32
		.amdhsa_accum_offset 24
		.amdhsa_reserve_vcc 1
		.amdhsa_reserve_flat_scratch 0
		.amdhsa_float_round_mode_32 0
		.amdhsa_float_round_mode_16_64 0
		.amdhsa_float_denorm_mode_32 3
		.amdhsa_float_denorm_mode_16_64 3
		.amdhsa_dx10_clamp 1
		.amdhsa_ieee_mode 1
		.amdhsa_fp16_overflow 0
		.amdhsa_tg_split 0
		.amdhsa_exception_fp_ieee_invalid_op 0
		.amdhsa_exception_fp_denorm_src 0
		.amdhsa_exception_fp_ieee_div_zero 0
		.amdhsa_exception_fp_ieee_overflow 0
		.amdhsa_exception_fp_ieee_underflow 0
		.amdhsa_exception_fp_ieee_inexact 0
		.amdhsa_exception_int_div_zero 0
	.end_amdhsa_kernel
	.section	.text._ZN5aiter35fused_qk_rmsnorm_group_quant_kernelItN4opus5fp4_tELi64ELi8ELi8ELb0ELb0ELb1ELb0ELb0ELb0EEEvPT0_PvPT_S7_S7_PKS6_S9_S9_S9_S9_ffiiiiiiiiiiiii,"axG",@progbits,_ZN5aiter35fused_qk_rmsnorm_group_quant_kernelItN4opus5fp4_tELi64ELi8ELi8ELb0ELb0ELb1ELb0ELb0ELb0EEEvPT0_PvPT_S7_S7_PKS6_S9_S9_S9_S9_ffiiiiiiiiiiiii,comdat
.Lfunc_end188:
	.size	_ZN5aiter35fused_qk_rmsnorm_group_quant_kernelItN4opus5fp4_tELi64ELi8ELi8ELb0ELb0ELb1ELb0ELb0ELb0EEEvPT0_PvPT_S7_S7_PKS6_S9_S9_S9_S9_ffiiiiiiiiiiiii, .Lfunc_end188-_ZN5aiter35fused_qk_rmsnorm_group_quant_kernelItN4opus5fp4_tELi64ELi8ELi8ELb0ELb0ELb1ELb0ELb0ELb0EEEvPT0_PvPT_S7_S7_PKS6_S9_S9_S9_S9_ffiiiiiiiiiiiii
                                        ; -- End function
	.section	.AMDGPU.csdata,"",@progbits
; Kernel info:
; codeLenInByte = 2252
; NumSgprs: 36
; NumVgprs: 23
; NumAgprs: 0
; TotalNumVgprs: 23
; ScratchSize: 0
; MemoryBound: 0
; FloatMode: 240
; IeeeMode: 1
; LDSByteSize: 0 bytes/workgroup (compile time only)
; SGPRBlocks: 4
; VGPRBlocks: 2
; NumSGPRsForWavesPerEU: 36
; NumVGPRsForWavesPerEU: 23
; AccumOffset: 24
; Occupancy: 8
; WaveLimiterHint : 0
; COMPUTE_PGM_RSRC2:SCRATCH_EN: 0
; COMPUTE_PGM_RSRC2:USER_SGPR: 6
; COMPUTE_PGM_RSRC2:TRAP_HANDLER: 0
; COMPUTE_PGM_RSRC2:TGID_X_EN: 1
; COMPUTE_PGM_RSRC2:TGID_Y_EN: 1
; COMPUTE_PGM_RSRC2:TGID_Z_EN: 0
; COMPUTE_PGM_RSRC2:TIDIG_COMP_CNT: 0
; COMPUTE_PGM_RSRC3_GFX90A:ACCUM_OFFSET: 5
; COMPUTE_PGM_RSRC3_GFX90A:TG_SPLIT: 0
	.section	.text._ZN5aiter35fused_qk_rmsnorm_group_quant_kernelIDF16_DB8_Li64ELi8ELi8ELb0ELb0ELb0ELb0ELb0ELb0EEEvPT0_PvPT_S6_S6_PKS5_S8_S8_S8_S8_ffiiiiiiiiiiiii,"axG",@progbits,_ZN5aiter35fused_qk_rmsnorm_group_quant_kernelIDF16_DB8_Li64ELi8ELi8ELb0ELb0ELb0ELb0ELb0ELb0EEEvPT0_PvPT_S6_S6_PKS5_S8_S8_S8_S8_ffiiiiiiiiiiiii,comdat
	.protected	_ZN5aiter35fused_qk_rmsnorm_group_quant_kernelIDF16_DB8_Li64ELi8ELi8ELb0ELb0ELb0ELb0ELb0ELb0EEEvPT0_PvPT_S6_S6_PKS5_S8_S8_S8_S8_ffiiiiiiiiiiiii ; -- Begin function _ZN5aiter35fused_qk_rmsnorm_group_quant_kernelIDF16_DB8_Li64ELi8ELi8ELb0ELb0ELb0ELb0ELb0ELb0EEEvPT0_PvPT_S6_S6_PKS5_S8_S8_S8_S8_ffiiiiiiiiiiiii
	.globl	_ZN5aiter35fused_qk_rmsnorm_group_quant_kernelIDF16_DB8_Li64ELi8ELi8ELb0ELb0ELb0ELb0ELb0ELb0EEEvPT0_PvPT_S6_S6_PKS5_S8_S8_S8_S8_ffiiiiiiiiiiiii
	.p2align	8
	.type	_ZN5aiter35fused_qk_rmsnorm_group_quant_kernelIDF16_DB8_Li64ELi8ELi8ELb0ELb0ELb0ELb0ELb0ELb0EEEvPT0_PvPT_S6_S6_PKS5_S8_S8_S8_S8_ffiiiiiiiiiiiii,@function
_ZN5aiter35fused_qk_rmsnorm_group_quant_kernelIDF16_DB8_Li64ELi8ELi8ELb0ELb0ELb0ELb0ELb0ELb0EEEvPT0_PvPT_S6_S6_PKS5_S8_S8_S8_S8_ffiiiiiiiiiiiii: ; @_ZN5aiter35fused_qk_rmsnorm_group_quant_kernelIDF16_DB8_Li64ELi8ELi8ELb0ELb0ELb0ELb0ELb0ELb0EEEvPT0_PvPT_S6_S6_PKS5_S8_S8_S8_S8_ffiiiiiiiiiiiii
; %bb.0:
	s_load_dwordx4 s[12:15], s[4:5], 0x50
	s_waitcnt lgkmcnt(0)
	s_cmp_ge_i32 s6, s14
	s_cbranch_scc1 .LBB189_10
; %bb.1:
	s_load_dwordx2 s[8:9], s[4:5], 0x48
	s_load_dwordx2 s[26:27], s[4:5], 0x30
	s_load_dwordx4 s[16:19], s[4:5], 0x60
	s_cmp_lg_u32 s7, 0
	s_cselect_b64 s[2:3], -1, 0
	s_cmp_eq_u32 s7, 0
	s_cselect_b64 vcc, -1, 0
	s_and_b64 s[0:1], vcc, exec
	s_waitcnt lgkmcnt(0)
	s_cselect_b32 s7, s15, s16
	s_add_i32 s0, s7, 1
	s_lshr_b32 s1, s0, 31
	s_add_i32 s0, s0, s1
	s_lshl_b32 s0, s0, 1
	v_lshlrev_b32_e32 v1, 3, v0
	s_and_b32 s22, s0, -4
	v_cmp_gt_i32_e64 s[0:1], s7, v1
	v_mov_b32_e32 v10, 0
	v_mov_b32_e32 v2, 0
	;; [unrolled: 1-line block ×9, first 2 shown]
	s_and_saveexec_b64 s[10:11], s[0:1]
	s_cbranch_execz .LBB189_3
; %bb.2:
	s_load_dwordx2 s[20:21], s[4:5], 0x28
	s_load_dwordx2 s[24:25], s[4:5], 0x40
	s_and_b64 s[28:29], vcc, exec
	s_cselect_b32 s14, s17, s18
	s_mov_b32 s23, 0x20000
	s_waitcnt lgkmcnt(0)
	s_cselect_b32 s17, s21, s27
	s_cselect_b32 s19, s20, s26
	s_mul_hi_i32 s21, s14, s6
	s_mul_i32 s20, s14, s6
	s_lshl_b64 s[20:21], s[20:21], 1
	s_add_u32 s28, s19, s20
	s_addc_u32 s14, s17, s21
	s_and_b64 s[20:21], vcc, exec
	s_cselect_b32 s20, s24, s8
	s_cselect_b32 s17, s25, s9
	v_lshlrev_b32_e32 v11, 4, v0
	s_and_b32 s29, s14, 0xffff
	s_mov_b32 s30, s22
	s_mov_b32 s31, s23
	s_and_b32 s21, s17, 0xffff
	buffer_load_dwordx4 v[6:9], v11, s[28:31], 0 offen glc slc
	buffer_load_dwordx4 v[2:5], v11, s[20:23], 0 offen
.LBB189_3:
	s_or_b64 exec, exec, s[10:11]
	v_mov_b32_e32 v11, 0
	v_mov_b32_e32 v16, 0
	;; [unrolled: 1-line block ×7, first 2 shown]
	s_and_saveexec_b64 s[10:11], s[0:1]
	s_cbranch_execz .LBB189_5
; %bb.4:
	s_waitcnt vmcnt(1)
	v_cvt_f32_f16_sdwa v11, v6 dst_sel:DWORD dst_unused:UNUSED_PAD src0_sel:WORD_1
	v_cvt_f32_f16_e32 v10, v6
	v_cvt_f32_f16_sdwa v17, v7 dst_sel:DWORD dst_unused:UNUSED_PAD src0_sel:WORD_1
	v_cvt_f32_f16_e32 v16, v7
	;; [unrolled: 2-line block ×4, first 2 shown]
.LBB189_5:
	s_or_b64 exec, exec, s[10:11]
	s_waitcnt vmcnt(1)
	v_mul_f32_e32 v6, v11, v11
	v_fmac_f32_e32 v6, v10, v10
	v_fmac_f32_e32 v6, v16, v16
	v_fmac_f32_e32 v6, v17, v17
	v_fmac_f32_e32 v6, v14, v14
	v_fmac_f32_e32 v6, v15, v15
	v_fmac_f32_e32 v6, v12, v12
	v_fmac_f32_e32 v6, v13, v13
	v_bfrev_b32_e32 v8, 0.5
	s_load_dwordx2 s[24:25], s[4:5], 0x18
	v_mov_b32_dpp v7, v6 quad_perm:[1,0,3,2] row_mask:0xf bank_mask:0xf
	v_add_f32_e32 v6, v6, v7
	s_nop 1
	v_mov_b32_dpp v7, v6 quad_perm:[2,3,0,1] row_mask:0xf bank_mask:0xf
	v_add_f32_e32 v6, v6, v7
	s_nop 1
	v_mov_b32_dpp v7, v6 row_half_mirror row_mask:0xf bank_mask:0xf
	v_add_f32_e32 v6, v6, v7
	s_nop 1
	v_mov_b32_dpp v7, v6 row_mirror row_mask:0xf bank_mask:0xf
	v_add_f32_e32 v6, v6, v7
	s_nop 1
	v_mov_b32_dpp v7, v6 row_bcast:15 row_mask:0xf bank_mask:0xf
	v_add_f32_e32 v6, v6, v7
	s_nop 1
	v_mov_b32_dpp v7, v6 row_bcast:31 row_mask:0xf bank_mask:0xf
	v_add_f32_e32 v6, v6, v7
	v_mbcnt_lo_u32_b32 v7, -1, 0
	v_mbcnt_hi_u32_b32 v7, -1, v7
	v_lshl_or_b32 v18, v7, 2, v8
	ds_bpermute_b32 v6, v18, v6
	s_and_saveexec_b64 s[10:11], s[0:1]
	s_cbranch_execz .LBB189_7
; %bb.6:
	v_cvt_f32_u32_e32 v7, s7
	v_mov_b32_e32 v8, s13
	v_mov_b32_e32 v9, s12
	v_cndmask_b32_e32 v8, v8, v9, vcc
	s_waitcnt lgkmcnt(0)
	v_div_scale_f32 v19, s[20:21], v7, v7, v6
	v_rcp_f32_e32 v20, v19
	v_div_scale_f32 v9, vcc, v6, v7, v6
	s_mov_b32 s7, 0x800000
	v_fma_f32 v21, -v19, v20, 1.0
	v_fmac_f32_e32 v20, v21, v20
	v_mul_f32_e32 v21, v9, v20
	v_fma_f32 v22, -v19, v21, v9
	v_fmac_f32_e32 v21, v22, v20
	v_fma_f32 v9, -v19, v21, v9
	v_div_fmas_f32 v9, v9, v20, v21
	v_div_fixup_f32 v6, v9, v7, v6
	v_add_f32_e32 v6, v8, v6
	v_mul_f32_e32 v7, 0x4b800000, v6
	v_cmp_gt_f32_e32 vcc, s7, v6
	v_cndmask_b32_e32 v6, v6, v7, vcc
	v_rsq_f32_e32 v6, v6
	s_waitcnt vmcnt(0)
	v_cvt_f32_f16_sdwa v21, v5 dst_sel:DWORD dst_unused:UNUSED_PAD src0_sel:WORD_1
	v_cvt_f32_f16_e32 v20, v5
	v_mul_f32_e32 v7, 0x45800000, v6
	v_cndmask_b32_e32 v6, v6, v7, vcc
	v_mov_b32_e32 v7, v6
	;;#ASMSTART
	v_pk_mul_f32 v[8:9], v[10:11], v[6:7]
	;;#ASMEND
	;;#ASMSTART
	v_pk_mul_f32 v[16:17], v[16:17], v[6:7]
	;;#ASMEND
	;; [unrolled: 3-line block ×4, first 2 shown]
	v_cvt_f32_f16_sdwa v11, v2 dst_sel:DWORD dst_unused:UNUSED_PAD src0_sel:WORD_1
	v_cvt_f32_f16_e32 v10, v2
	v_cvt_f32_f16_sdwa v13, v3 dst_sel:DWORD dst_unused:UNUSED_PAD src0_sel:WORD_1
	v_cvt_f32_f16_e32 v12, v3
	v_cvt_f32_f16_sdwa v3, v4 dst_sel:DWORD dst_unused:UNUSED_PAD src0_sel:WORD_1
	v_cvt_f32_f16_e32 v2, v4
	;;#ASMSTART
	v_pk_mul_f32 v[10:11], v[8:9], v[10:11]
	;;#ASMEND
	;;#ASMSTART
	v_pk_mul_f32 v[16:17], v[16:17], v[12:13]
	;;#ASMEND
	;; [unrolled: 3-line block ×4, first 2 shown]
.LBB189_7:
	s_or_b64 exec, exec, s[10:11]
	s_load_dword s7, s[4:5], 0x80
	s_mov_b64 s[10:11], -1
	s_and_b64 vcc, exec, s[2:3]
	s_cbranch_vccnz .LBB189_11
; %bb.8:
	s_andn2_b64 vcc, exec, s[10:11]
	s_cbranch_vccz .LBB189_14
.LBB189_9:
	s_cmp_lt_i32 s16, 1
	s_cbranch_scc0 .LBB189_21
.LBB189_10:
	s_endpgm
.LBB189_11:
	s_and_saveexec_b64 s[2:3], s[0:1]
	s_cbranch_execz .LBB189_13
; %bb.12:
	s_waitcnt lgkmcnt(0)
	s_mul_hi_i32 s11, s7, s6
	s_mul_i32 s10, s7, s6
	s_waitcnt vmcnt(0)
	v_cvt_f16_f32_e32 v2, v10
	v_cvt_f16_f32_e32 v3, v16
	;; [unrolled: 1-line block ×8, first 2 shown]
	s_lshl_b64 s[10:11], s[10:11], 1
	s_add_u32 s20, s24, s10
	s_addc_u32 s10, s25, s11
	s_and_b32 s21, s10, 0xffff
	s_mov_b32 s23, 0x20000
	v_pack_b32_f16 v5, v5, v6
	v_pack_b32_f16 v4, v4, v7
	;; [unrolled: 1-line block ×4, first 2 shown]
	v_lshlrev_b32_e32 v6, 4, v0
	buffer_store_dwordx4 v[2:5], v6, s[20:23], 0 offen
	;;#ASMSTART
	s_nop 0
	;;#ASMEND
.LBB189_13:
	s_or_b64 exec, exec, s[2:3]
	s_cbranch_execnz .LBB189_9
.LBB189_14:
	s_waitcnt vmcnt(0)
	v_mov_b32_e32 v2, 0
	s_and_saveexec_b64 s[2:3], s[0:1]
	s_cbranch_execz .LBB189_16
; %bb.15:
	v_and_b32_e32 v2, 0x7fffffff, v10
	v_and_b32_e32 v3, 0x7fffffff, v11
	v_mov_b32_e32 v4, 0x2edbe6ff
	;;#ASMSTART
	v_max3_f32 v2, v4, v2, v3

	;;#ASMEND
	v_and_b32_e32 v3, 0x7fffffff, v16
	v_and_b32_e32 v4, 0x7fffffff, v17
	;;#ASMSTART
	v_max3_f32 v2, v2, v3, v4

	;;#ASMEND
	v_and_b32_e32 v3, 0x7fffffff, v14
	v_and_b32_e32 v4, 0x7fffffff, v15
	;; [unrolled: 6-line block ×3, first 2 shown]
	;;#ASMSTART
	v_max3_f32 v2, v2, v3, v4

	;;#ASMEND
.LBB189_16:
	s_or_b64 exec, exec, s[2:3]
	s_load_dwordx4 s[20:23], s[4:5], 0x70
	;;#ASMSTART
	v_max_f32 v3, v2, v2 quad_perm:[1,0,3,2] row_mask:0xf bank_mask:0xf bound_ctrl:1
	;;#ASMEND
	;;#ASMSTART
	v_max_f32 v2, v3, v3 quad_perm:[2,3,0,1] row_mask:0xf bank_mask:0xf bound_ctrl:1
	;;#ASMEND
	;;#ASMSTART
	v_max_f32 v3, v2, v2 row_half_mirror row_mask:0xf bank_mask:0xf bound_ctrl:1
	;;#ASMEND
	v_mul_f32_e32 v2, 0x3b124925, v3
	v_and_b32_e32 v3, 7, v0
	v_cmp_eq_u32_e32 vcc, 0, v3
	v_cmp_gt_i32_e64 s[2:3], s15, v1
	s_and_b64 s[10:11], vcc, s[2:3]
	s_and_saveexec_b64 s[2:3], s[10:11]
	s_cbranch_execz .LBB189_18
; %bb.17:
	s_load_dwordx2 s[10:11], s[4:5], 0x8
	v_lshrrev_b32_e32 v3, 3, v0
	s_waitcnt lgkmcnt(0)
	s_mul_hi_i32 s29, s21, s6
	s_mul_i32 s28, s21, s6
	v_mad_i64_i32 v[4:5], s[22:23], s22, v3, 0
	s_lshl_b64 s[22:23], s[28:29], 2
	s_add_u32 s10, s10, s22
	s_addc_u32 s11, s11, s23
	v_lshlrev_b64 v[4:5], 2, v[4:5]
	v_mov_b32_e32 v3, s11
	v_add_co_u32_e32 v4, vcc, s10, v4
	v_addc_co_u32_e32 v5, vcc, v3, v5, vcc
	global_store_dword v[4:5], v2, off
.LBB189_18:
	s_or_b64 exec, exec, s[2:3]
	;;#ASMSTART
	v_rcp_f32 v2, v2
	;;#ASMEND
	s_and_saveexec_b64 s[10:11], s[0:1]
	s_cbranch_execz .LBB189_20
; %bb.19:
	v_mov_b32_e32 v3, v2
	;;#ASMSTART
	v_pk_mul_f32 v[4:5], v[10:11], v[2:3]
	;;#ASMEND
	s_load_dwordx2 s[0:1], s[4:5], 0x0
	v_mov_b32_e32 v8, 0xc3e00000
	v_mov_b32_e32 v9, 0x43e00000
	s_waitcnt lgkmcnt(0)
	;;#ASMSTART
	v_med3_f32 v4, v4, v8, v9
v_med3_f32 v5, v5, v8, v9
v_cvt_pk_fp8_f32 v6, v4, v5
	;;#ASMEND
	;;#ASMSTART
	v_pk_mul_f32 v[4:5], v[16:17], v[2:3]
	;;#ASMEND
	;;#ASMSTART
	v_med3_f32 v4, v4, v8, v9
v_med3_f32 v5, v5, v8, v9
v_cvt_pk_fp8_f32 v7, v4, v5
	;;#ASMEND
	s_mov_b32 s14, 0x5040100
	v_perm_b32 v5, v7, v6, s14
	s_movk_i32 s14, 0xff
	s_mul_i32 s3, s20, s6
	v_and_b32_e32 v4, 0xffffff00, v7
	v_and_b32_sdwa v6, v5, s14 dst_sel:DWORD dst_unused:UNUSED_PAD src0_sel:WORD_1 src1_sel:DWORD
	s_mul_hi_i32 s2, s20, s6
	s_mov_b32 s12, 0xffff
	s_add_u32 s0, s0, s3
	v_or_b32_sdwa v4, v6, v4 dst_sel:WORD_1 dst_unused:UNUSED_PAD src0_sel:DWORD src1_sel:DWORD
	s_addc_u32 s1, s1, s2
	s_add_i32 s2, s15, 3
	v_and_or_b32 v4, v5, s12, v4
	;;#ASMSTART
	v_pk_mul_f32 v[6:7], v[14:15], v[2:3]
	;;#ASMEND
	v_mov_b32_e32 v5, v7
	s_ashr_i32 s3, s2, 31
	;;#ASMSTART
	v_med3_f32 v6, v6, v8, v9
v_med3_f32 v5, v5, v8, v9
v_cvt_pk_fp8_f32 v7, v6, v5
	;;#ASMEND
	;;#ASMSTART
	v_pk_mul_f32 v[2:3], v[12:13], v[2:3]
	;;#ASMEND
	s_lshr_b32 s3, s3, 30
	;;#ASMSTART
	v_med3_f32 v2, v2, v8, v9
v_med3_f32 v3, v3, v8, v9
v_cvt_pk_fp8_f32 v5, v2, v3
	;;#ASMEND
	s_add_i32 s2, s2, s3
	v_lshlrev_b32_e32 v2, 16, v5
	s_and_b32 s2, s2, -4
	s_and_b32 s1, s1, 0xffff
	s_mov_b32 s3, 0x20000
	v_and_or_b32 v5, v7, s12, v2
	buffer_store_dwordx2 v[4:5], v1, s[0:3], 0 offen
	;;#ASMSTART
	s_nop 0
	;;#ASMEND
.LBB189_20:
	s_or_b64 exec, exec, s[10:11]
	s_cmp_lt_i32 s16, 1
	s_cbranch_scc1 .LBB189_10
.LBB189_21:
	s_load_dword s0, s[4:5], 0x94
	s_waitcnt lgkmcnt(0)
	s_cmp_lg_u32 s0, 1
	s_cbranch_scc1 .LBB189_10
; %bb.22:
	s_lshl_b32 s0, s16, 1
	s_add_i32 s0, s0, 2
	v_cmp_gt_u32_e32 vcc, s16, v1
	s_and_b32 s10, s0, -4
	v_mov_b32_e32 v8, 0
	v_lshlrev_b32_e32 v16, 4, v0
	s_waitcnt vmcnt(0)
	v_mov_b32_e32 v4, 0
	v_mov_b32_e32 v5, 0
	;; [unrolled: 1-line block ×8, first 2 shown]
	s_barrier
	s_and_saveexec_b64 s[0:1], vcc
	s_cbranch_execz .LBB189_24
; %bb.23:
	s_mul_hi_i32 s3, s18, s6
	s_mul_i32 s2, s18, s6
	s_and_b32 s9, s9, 0xffff
	s_lshl_b64 s[2:3], s[2:3], 1
	s_add_u32 s20, s26, s2
	s_mov_b32 s11, 0x20000
	s_addc_u32 s2, s27, s3
	s_and_b32 s21, s2, 0xffff
	s_mov_b32 s22, s10
	s_mov_b32 s23, s11
	buffer_load_dwordx4 v[4:7], v16, s[20:23], 0 offen glc slc
	buffer_load_dwordx4 v[0:3], v16, s[8:11], 0 offen
.LBB189_24:
	s_or_b64 exec, exec, s[0:1]
	v_mov_b32_e32 v9, 0
	v_mov_b32_e32 v14, 0
	;; [unrolled: 1-line block ×7, first 2 shown]
	s_and_saveexec_b64 s[0:1], vcc
	s_cbranch_execz .LBB189_26
; %bb.25:
	s_waitcnt vmcnt(1)
	v_cvt_f32_f16_sdwa v9, v4 dst_sel:DWORD dst_unused:UNUSED_PAD src0_sel:WORD_1
	v_cvt_f32_f16_e32 v8, v4
	v_cvt_f32_f16_sdwa v15, v5 dst_sel:DWORD dst_unused:UNUSED_PAD src0_sel:WORD_1
	v_cvt_f32_f16_e32 v14, v5
	;; [unrolled: 2-line block ×4, first 2 shown]
.LBB189_26:
	s_or_b64 exec, exec, s[0:1]
	s_waitcnt vmcnt(1)
	v_mul_f32_e32 v4, v9, v9
	v_fmac_f32_e32 v4, v8, v8
	v_fmac_f32_e32 v4, v14, v14
	;; [unrolled: 1-line block ×7, first 2 shown]
	s_nop 1
	v_mov_b32_dpp v5, v4 quad_perm:[1,0,3,2] row_mask:0xf bank_mask:0xf
	v_add_f32_e32 v4, v4, v5
	s_nop 1
	v_mov_b32_dpp v5, v4 quad_perm:[2,3,0,1] row_mask:0xf bank_mask:0xf
	v_add_f32_e32 v4, v4, v5
	s_nop 1
	v_mov_b32_dpp v5, v4 row_half_mirror row_mask:0xf bank_mask:0xf
	v_add_f32_e32 v4, v4, v5
	s_nop 1
	v_mov_b32_dpp v5, v4 row_mirror row_mask:0xf bank_mask:0xf
	v_add_f32_e32 v4, v4, v5
	s_nop 1
	v_mov_b32_dpp v5, v4 row_bcast:15 row_mask:0xf bank_mask:0xf
	v_add_f32_e32 v4, v4, v5
	s_nop 1
	v_mov_b32_dpp v5, v4 row_bcast:31 row_mask:0xf bank_mask:0xf
	v_add_f32_e32 v4, v4, v5
	ds_bpermute_b32 v4, v18, v4
	s_and_saveexec_b64 s[0:1], vcc
	s_cbranch_execz .LBB189_10
; %bb.27:
	v_cvt_f32_u32_e32 v5, s16
	s_mov_b32 s11, 0x20000
	s_waitcnt lgkmcnt(0)
	v_div_scale_f32 v6, s[0:1], v5, v5, v4
	v_rcp_f32_e32 v7, v6
	v_div_scale_f32 v17, vcc, v4, v5, v4
	s_mov_b32 s0, 0x800000
	v_fma_f32 v18, -v6, v7, 1.0
	v_fmac_f32_e32 v7, v18, v7
	v_mul_f32_e32 v18, v17, v7
	v_fma_f32 v19, -v6, v18, v17
	v_fmac_f32_e32 v18, v19, v7
	v_fma_f32 v6, -v6, v18, v17
	v_div_fmas_f32 v6, v6, v7, v18
	v_div_fixup_f32 v4, v6, v5, v4
	v_add_f32_e32 v4, s13, v4
	v_mul_f32_e32 v5, 0x4b800000, v4
	v_cmp_gt_f32_e32 vcc, s0, v4
	v_cndmask_b32_e32 v4, v4, v5, vcc
	v_rsq_f32_e32 v4, v4
	s_waitcnt vmcnt(0)
	v_cvt_f32_f16_sdwa v19, v3 dst_sel:DWORD dst_unused:UNUSED_PAD src0_sel:WORD_1
	v_cvt_f32_f16_e32 v18, v3
	s_mul_hi_i32 s1, s7, s6
	v_mul_f32_e32 v5, 0x45800000, v4
	v_cndmask_b32_e32 v4, v4, v5, vcc
	v_mov_b32_e32 v5, v4
	;;#ASMSTART
	v_pk_mul_f32 v[6:7], v[8:9], v[4:5]
	;;#ASMEND
	;;#ASMSTART
	v_pk_mul_f32 v[8:9], v[14:15], v[4:5]
	;;#ASMEND
	;; [unrolled: 3-line block ×4, first 2 shown]
	v_cvt_f32_f16_sdwa v11, v0 dst_sel:DWORD dst_unused:UNUSED_PAD src0_sel:WORD_1
	v_cvt_f32_f16_e32 v10, v0
	v_cvt_f32_f16_sdwa v15, v1 dst_sel:DWORD dst_unused:UNUSED_PAD src0_sel:WORD_1
	v_cvt_f32_f16_e32 v14, v1
	;; [unrolled: 2-line block ×3, first 2 shown]
	;;#ASMSTART
	v_pk_mul_f32 v[2:3], v[6:7], v[10:11]
	;;#ASMEND
	;;#ASMSTART
	v_pk_mul_f32 v[6:7], v[8:9], v[14:15]
	;;#ASMEND
	;; [unrolled: 3-line block ×4, first 2 shown]
	s_mul_i32 s0, s7, s6
	v_cvt_f16_f32_e32 v2, v2
	v_cvt_f16_f32_e32 v3, v3
	v_cvt_f16_f32_e32 v6, v6
	v_cvt_f16_f32_e32 v7, v7
	v_cvt_f16_f32_e32 v8, v0
	v_cvt_f16_f32_e32 v9, v1
	v_cvt_f16_f32_e32 v4, v4
	v_cvt_f16_f32_e32 v5, v5
	s_lshl_b64 s[0:1], s[0:1], 1
	s_add_u32 s8, s24, s0
	s_addc_u32 s0, s25, s1
	s_and_b32 s9, s0, 0xffff
	v_pack_b32_f16 v0, v2, v3
	v_pack_b32_f16 v1, v6, v7
	;; [unrolled: 1-line block ×4, first 2 shown]
	buffer_store_dwordx4 v[0:3], v16, s[8:11], 0 offen
	;;#ASMSTART
	s_nop 0
	;;#ASMEND
	s_endpgm
	.section	.rodata,"a",@progbits
	.p2align	6, 0x0
	.amdhsa_kernel _ZN5aiter35fused_qk_rmsnorm_group_quant_kernelIDF16_DB8_Li64ELi8ELi8ELb0ELb0ELb0ELb0ELb0ELb0EEEvPT0_PvPT_S6_S6_PKS5_S8_S8_S8_S8_ffiiiiiiiiiiiii
		.amdhsa_group_segment_fixed_size 0
		.amdhsa_private_segment_fixed_size 0
		.amdhsa_kernarg_size 400
		.amdhsa_user_sgpr_count 6
		.amdhsa_user_sgpr_private_segment_buffer 1
		.amdhsa_user_sgpr_dispatch_ptr 0
		.amdhsa_user_sgpr_queue_ptr 0
		.amdhsa_user_sgpr_kernarg_segment_ptr 1
		.amdhsa_user_sgpr_dispatch_id 0
		.amdhsa_user_sgpr_flat_scratch_init 0
		.amdhsa_user_sgpr_kernarg_preload_length 0
		.amdhsa_user_sgpr_kernarg_preload_offset 0
		.amdhsa_user_sgpr_private_segment_size 0
		.amdhsa_uses_dynamic_stack 0
		.amdhsa_system_sgpr_private_segment_wavefront_offset 0
		.amdhsa_system_sgpr_workgroup_id_x 1
		.amdhsa_system_sgpr_workgroup_id_y 1
		.amdhsa_system_sgpr_workgroup_id_z 0
		.amdhsa_system_sgpr_workgroup_info 0
		.amdhsa_system_vgpr_workitem_id 0
		.amdhsa_next_free_vgpr 23
		.amdhsa_next_free_sgpr 32
		.amdhsa_accum_offset 24
		.amdhsa_reserve_vcc 1
		.amdhsa_reserve_flat_scratch 0
		.amdhsa_float_round_mode_32 0
		.amdhsa_float_round_mode_16_64 0
		.amdhsa_float_denorm_mode_32 3
		.amdhsa_float_denorm_mode_16_64 3
		.amdhsa_dx10_clamp 1
		.amdhsa_ieee_mode 1
		.amdhsa_fp16_overflow 0
		.amdhsa_tg_split 0
		.amdhsa_exception_fp_ieee_invalid_op 0
		.amdhsa_exception_fp_denorm_src 0
		.amdhsa_exception_fp_ieee_div_zero 0
		.amdhsa_exception_fp_ieee_overflow 0
		.amdhsa_exception_fp_ieee_underflow 0
		.amdhsa_exception_fp_ieee_inexact 0
		.amdhsa_exception_int_div_zero 0
	.end_amdhsa_kernel
	.section	.text._ZN5aiter35fused_qk_rmsnorm_group_quant_kernelIDF16_DB8_Li64ELi8ELi8ELb0ELb0ELb0ELb0ELb0ELb0EEEvPT0_PvPT_S6_S6_PKS5_S8_S8_S8_S8_ffiiiiiiiiiiiii,"axG",@progbits,_ZN5aiter35fused_qk_rmsnorm_group_quant_kernelIDF16_DB8_Li64ELi8ELi8ELb0ELb0ELb0ELb0ELb0ELb0EEEvPT0_PvPT_S6_S6_PKS5_S8_S8_S8_S8_ffiiiiiiiiiiiii,comdat
.Lfunc_end189:
	.size	_ZN5aiter35fused_qk_rmsnorm_group_quant_kernelIDF16_DB8_Li64ELi8ELi8ELb0ELb0ELb0ELb0ELb0ELb0EEEvPT0_PvPT_S6_S6_PKS5_S8_S8_S8_S8_ffiiiiiiiiiiiii, .Lfunc_end189-_ZN5aiter35fused_qk_rmsnorm_group_quant_kernelIDF16_DB8_Li64ELi8ELi8ELb0ELb0ELb0ELb0ELb0ELb0EEEvPT0_PvPT_S6_S6_PKS5_S8_S8_S8_S8_ffiiiiiiiiiiiii
                                        ; -- End function
	.section	.AMDGPU.csdata,"",@progbits
; Kernel info:
; codeLenInByte = 2356
; NumSgprs: 36
; NumVgprs: 23
; NumAgprs: 0
; TotalNumVgprs: 23
; ScratchSize: 0
; MemoryBound: 0
; FloatMode: 240
; IeeeMode: 1
; LDSByteSize: 0 bytes/workgroup (compile time only)
; SGPRBlocks: 4
; VGPRBlocks: 2
; NumSGPRsForWavesPerEU: 36
; NumVGPRsForWavesPerEU: 23
; AccumOffset: 24
; Occupancy: 8
; WaveLimiterHint : 0
; COMPUTE_PGM_RSRC2:SCRATCH_EN: 0
; COMPUTE_PGM_RSRC2:USER_SGPR: 6
; COMPUTE_PGM_RSRC2:TRAP_HANDLER: 0
; COMPUTE_PGM_RSRC2:TGID_X_EN: 1
; COMPUTE_PGM_RSRC2:TGID_Y_EN: 1
; COMPUTE_PGM_RSRC2:TGID_Z_EN: 0
; COMPUTE_PGM_RSRC2:TIDIG_COMP_CNT: 0
; COMPUTE_PGM_RSRC3_GFX90A:ACCUM_OFFSET: 5
; COMPUTE_PGM_RSRC3_GFX90A:TG_SPLIT: 0
	.section	.text._ZN5aiter35fused_qk_rmsnorm_group_quant_kernelItDB8_Li64ELi8ELi8ELb0ELb0ELb0ELb0ELb0ELb0EEEvPT0_PvPT_S6_S6_PKS5_S8_S8_S8_S8_ffiiiiiiiiiiiii,"axG",@progbits,_ZN5aiter35fused_qk_rmsnorm_group_quant_kernelItDB8_Li64ELi8ELi8ELb0ELb0ELb0ELb0ELb0ELb0EEEvPT0_PvPT_S6_S6_PKS5_S8_S8_S8_S8_ffiiiiiiiiiiiii,comdat
	.protected	_ZN5aiter35fused_qk_rmsnorm_group_quant_kernelItDB8_Li64ELi8ELi8ELb0ELb0ELb0ELb0ELb0ELb0EEEvPT0_PvPT_S6_S6_PKS5_S8_S8_S8_S8_ffiiiiiiiiiiiii ; -- Begin function _ZN5aiter35fused_qk_rmsnorm_group_quant_kernelItDB8_Li64ELi8ELi8ELb0ELb0ELb0ELb0ELb0ELb0EEEvPT0_PvPT_S6_S6_PKS5_S8_S8_S8_S8_ffiiiiiiiiiiiii
	.globl	_ZN5aiter35fused_qk_rmsnorm_group_quant_kernelItDB8_Li64ELi8ELi8ELb0ELb0ELb0ELb0ELb0ELb0EEEvPT0_PvPT_S6_S6_PKS5_S8_S8_S8_S8_ffiiiiiiiiiiiii
	.p2align	8
	.type	_ZN5aiter35fused_qk_rmsnorm_group_quant_kernelItDB8_Li64ELi8ELi8ELb0ELb0ELb0ELb0ELb0ELb0EEEvPT0_PvPT_S6_S6_PKS5_S8_S8_S8_S8_ffiiiiiiiiiiiii,@function
_ZN5aiter35fused_qk_rmsnorm_group_quant_kernelItDB8_Li64ELi8ELi8ELb0ELb0ELb0ELb0ELb0ELb0EEEvPT0_PvPT_S6_S6_PKS5_S8_S8_S8_S8_ffiiiiiiiiiiiii: ; @_ZN5aiter35fused_qk_rmsnorm_group_quant_kernelItDB8_Li64ELi8ELi8ELb0ELb0ELb0ELb0ELb0ELb0EEEvPT0_PvPT_S6_S6_PKS5_S8_S8_S8_S8_ffiiiiiiiiiiiii
; %bb.0:
	s_load_dwordx4 s[12:15], s[4:5], 0x50
	s_waitcnt lgkmcnt(0)
	s_cmp_ge_i32 s6, s14
	s_cbranch_scc1 .LBB190_8
; %bb.1:
	s_load_dwordx2 s[8:9], s[4:5], 0x48
	s_load_dwordx2 s[26:27], s[4:5], 0x30
	s_load_dwordx4 s[16:19], s[4:5], 0x60
	s_cmp_lg_u32 s7, 0
	s_cselect_b64 s[2:3], -1, 0
	s_cmp_eq_u32 s7, 0
	s_cselect_b64 vcc, -1, 0
	s_and_b64 s[0:1], vcc, exec
	s_waitcnt lgkmcnt(0)
	s_cselect_b32 s7, s15, s16
	s_add_i32 s0, s7, 1
	s_lshr_b32 s1, s0, 31
	s_add_i32 s0, s0, s1
	s_lshl_b32 s0, s0, 1
	v_lshlrev_b32_e32 v1, 3, v0
	s_and_b32 s22, s0, -4
	v_cmp_gt_i32_e64 s[0:1], s7, v1
	v_mov_b32_e32 v2, 0
	v_mov_b32_e32 v3, 0
	;; [unrolled: 1-line block ×8, first 2 shown]
	s_and_saveexec_b64 s[10:11], s[0:1]
	s_cbranch_execz .LBB190_3
; %bb.2:
	s_load_dwordx2 s[20:21], s[4:5], 0x28
	s_load_dwordx2 s[24:25], s[4:5], 0x40
	s_and_b64 s[28:29], vcc, exec
	s_cselect_b32 s14, s17, s18
	s_mov_b32 s23, 0x20000
	s_waitcnt lgkmcnt(0)
	s_cselect_b32 s17, s21, s27
	s_cselect_b32 s19, s20, s26
	s_mul_hi_i32 s21, s14, s6
	s_mul_i32 s20, s14, s6
	s_lshl_b64 s[20:21], s[20:21], 1
	s_add_u32 s28, s19, s20
	s_addc_u32 s14, s17, s21
	s_and_b64 s[20:21], vcc, exec
	s_cselect_b32 s20, s24, s8
	s_cselect_b32 s17, s25, s9
	v_lshlrev_b32_e32 v10, 4, v0
	s_and_b32 s29, s14, 0xffff
	s_mov_b32 s30, s22
	s_mov_b32 s31, s23
	s_and_b32 s21, s17, 0xffff
	buffer_load_dwordx4 v[6:9], v10, s[28:31], 0 offen glc slc
	buffer_load_dwordx4 v[2:5], v10, s[20:23], 0 offen
.LBB190_3:
	s_or_b64 exec, exec, s[10:11]
	s_waitcnt vmcnt(1)
	v_cvt_f32_u32_sdwa v13, v6 dst_sel:DWORD dst_unused:UNUSED_PAD src0_sel:WORD_1
	v_cvt_f32_u32_sdwa v12, v6 dst_sel:DWORD dst_unused:UNUSED_PAD src0_sel:WORD_0
	v_cvt_f32_u32_sdwa v6, v9 dst_sel:DWORD dst_unused:UNUSED_PAD src0_sel:WORD_1
	v_cvt_f32_u32_sdwa v9, v9 dst_sel:DWORD dst_unused:UNUSED_PAD src0_sel:WORD_0
	;; [unrolled: 2-line block ×4, first 2 shown]
	v_cndmask_b32_e64 v13, 0, v13, s[0:1]
	v_cndmask_b32_e64 v7, 0, v6, s[0:1]
	;; [unrolled: 1-line block ×5, first 2 shown]
	v_mul_f32_e32 v14, v13, v13
	v_cndmask_b32_e64 v10, 0, v10, s[0:1]
	v_fmac_f32_e32 v14, v12, v12
	v_cndmask_b32_e64 v11, 0, v11, s[0:1]
	v_fmac_f32_e32 v14, v10, v10
	;; [unrolled: 2-line block ×3, first 2 shown]
	v_fmac_f32_e32 v14, v8, v8
	v_fmac_f32_e32 v14, v9, v9
	;; [unrolled: 1-line block ×4, first 2 shown]
	v_bfrev_b32_e32 v16, 0.5
	s_load_dwordx2 s[24:25], s[4:5], 0x18
	v_mov_b32_dpp v15, v14 quad_perm:[1,0,3,2] row_mask:0xf bank_mask:0xf
	v_add_f32_e32 v14, v14, v15
	s_nop 1
	v_mov_b32_dpp v15, v14 quad_perm:[2,3,0,1] row_mask:0xf bank_mask:0xf
	v_add_f32_e32 v14, v14, v15
	s_nop 1
	v_mov_b32_dpp v15, v14 row_half_mirror row_mask:0xf bank_mask:0xf
	v_add_f32_e32 v14, v14, v15
	s_nop 1
	v_mov_b32_dpp v15, v14 row_mirror row_mask:0xf bank_mask:0xf
	v_add_f32_e32 v14, v14, v15
	s_nop 1
	v_mov_b32_dpp v15, v14 row_bcast:15 row_mask:0xf bank_mask:0xf
	v_add_f32_e32 v14, v14, v15
	s_nop 1
	v_mov_b32_dpp v15, v14 row_bcast:31 row_mask:0xf bank_mask:0xf
	v_add_f32_e32 v15, v14, v15
	v_mbcnt_lo_u32_b32 v14, -1, 0
	v_mbcnt_hi_u32_b32 v14, -1, v14
	v_lshl_or_b32 v14, v14, 2, v16
	ds_bpermute_b32 v15, v14, v15
	s_and_saveexec_b64 s[10:11], s[0:1]
	s_cbranch_execz .LBB190_5
; %bb.4:
	v_cvt_f32_u32_e32 v16, s7
	v_mov_b32_e32 v17, s13
	v_mov_b32_e32 v18, s12
	v_cndmask_b32_e32 v17, v17, v18, vcc
	s_waitcnt lgkmcnt(0)
	v_div_scale_f32 v19, s[20:21], v16, v16, v15
	v_rcp_f32_e32 v20, v19
	v_div_scale_f32 v18, vcc, v15, v16, v15
	s_mov_b32 s7, 0x800000
	v_fma_f32 v21, -v19, v20, 1.0
	v_fmac_f32_e32 v20, v21, v20
	v_mul_f32_e32 v21, v18, v20
	v_fma_f32 v22, -v19, v21, v18
	v_fmac_f32_e32 v21, v22, v20
	v_fma_f32 v18, -v19, v21, v18
	v_div_fmas_f32 v18, v18, v20, v21
	v_div_fixup_f32 v15, v18, v16, v15
	v_add_f32_e32 v15, v17, v15
	v_mul_f32_e32 v16, 0x4b800000, v15
	v_cmp_gt_f32_e32 vcc, s7, v15
	v_cndmask_b32_e32 v15, v15, v16, vcc
	v_rsq_f32_e32 v15, v15
	s_waitcnt vmcnt(0)
	v_cvt_f32_u32_sdwa v19, v3 dst_sel:DWORD dst_unused:UNUSED_PAD src0_sel:WORD_1
	v_cvt_f32_u32_sdwa v18, v3 dst_sel:DWORD dst_unused:UNUSED_PAD src0_sel:WORD_0
	v_cvt_f32_u32_sdwa v3, v4 dst_sel:DWORD dst_unused:UNUSED_PAD src0_sel:WORD_1
	v_mul_f32_e32 v16, 0x45800000, v15
	v_cndmask_b32_e32 v16, v15, v16, vcc
	v_mov_b32_e32 v17, v16
	;;#ASMSTART
	v_pk_mul_f32 v[12:13], v[12:13], v[16:17]
	;;#ASMEND
	;;#ASMSTART
	v_pk_mul_f32 v[10:11], v[10:11], v[16:17]
	;;#ASMEND
	;; [unrolled: 3-line block ×4, first 2 shown]
	v_cvt_f32_u32_sdwa v17, v2 dst_sel:DWORD dst_unused:UNUSED_PAD src0_sel:WORD_1
	v_cvt_f32_u32_sdwa v16, v2 dst_sel:DWORD dst_unused:UNUSED_PAD src0_sel:WORD_0
	v_cvt_f32_u32_sdwa v2, v4 dst_sel:DWORD dst_unused:UNUSED_PAD src0_sel:WORD_0
	v_cvt_f32_u32_sdwa v21, v5 dst_sel:DWORD dst_unused:UNUSED_PAD src0_sel:WORD_1
	v_cvt_f32_u32_sdwa v20, v5 dst_sel:DWORD dst_unused:UNUSED_PAD src0_sel:WORD_0
	;;#ASMSTART
	v_pk_mul_f32 v[12:13], v[12:13], v[16:17]
	;;#ASMEND
	;;#ASMSTART
	v_pk_mul_f32 v[10:11], v[10:11], v[18:19]
	;;#ASMEND
	;; [unrolled: 3-line block ×4, first 2 shown]
.LBB190_5:
	s_or_b64 exec, exec, s[10:11]
	s_load_dword s7, s[4:5], 0x80
	s_mov_b64 s[10:11], -1
	s_and_b64 vcc, exec, s[2:3]
	s_cbranch_vccnz .LBB190_9
; %bb.6:
	s_andn2_b64 vcc, exec, s[10:11]
	s_cbranch_vccz .LBB190_12
.LBB190_7:
	s_cmp_lt_i32 s16, 1
	s_cbranch_scc0 .LBB190_19
.LBB190_8:
	s_endpgm
.LBB190_9:
	s_and_saveexec_b64 s[2:3], s[0:1]
	s_cbranch_execz .LBB190_11
; %bb.10:
	s_waitcnt lgkmcnt(0)
	s_mul_hi_i32 s11, s7, s6
	s_mul_i32 s10, s7, s6
	s_lshl_b64 s[10:11], s[10:11], 1
	s_add_u32 s20, s24, s10
	s_addc_u32 s10, s25, s11
	s_and_b32 s21, s10, 0xffff
	s_mov_b32 s10, 0x7060302
	s_mov_b32 s23, 0x20000
	s_waitcnt vmcnt(0)
	v_perm_b32 v2, v13, v12, s10
	v_perm_b32 v3, v11, v10, s10
	;; [unrolled: 1-line block ×4, first 2 shown]
	v_lshlrev_b32_e32 v15, 4, v0
	buffer_store_dwordx4 v[2:5], v15, s[20:23], 0 offen
	;;#ASMSTART
	s_nop 0
	;;#ASMEND
.LBB190_11:
	s_or_b64 exec, exec, s[2:3]
	s_cbranch_execnz .LBB190_7
.LBB190_12:
	s_waitcnt vmcnt(0)
	v_mov_b32_e32 v2, 0
	s_and_saveexec_b64 s[2:3], s[0:1]
	s_cbranch_execz .LBB190_14
; %bb.13:
	v_and_b32_e32 v2, 0x7fffffff, v12
	v_and_b32_e32 v3, 0x7fffffff, v13
	v_mov_b32_e32 v4, 0x2edbe6ff
	;;#ASMSTART
	v_max3_f32 v2, v4, v2, v3

	;;#ASMEND
	v_and_b32_e32 v3, 0x7fffffff, v10
	v_and_b32_e32 v4, 0x7fffffff, v11
	;;#ASMSTART
	v_max3_f32 v2, v2, v3, v4

	;;#ASMEND
	v_and_b32_e32 v3, 0x7fffffff, v8
	v_and_b32_e32 v4, 0x7fffffff, v9
	;; [unrolled: 6-line block ×3, first 2 shown]
	;;#ASMSTART
	v_max3_f32 v2, v2, v3, v4

	;;#ASMEND
.LBB190_14:
	s_or_b64 exec, exec, s[2:3]
	s_load_dwordx4 s[20:23], s[4:5], 0x70
	;;#ASMSTART
	v_max_f32 v3, v2, v2 quad_perm:[1,0,3,2] row_mask:0xf bank_mask:0xf bound_ctrl:1
	;;#ASMEND
	;;#ASMSTART
	v_max_f32 v2, v3, v3 quad_perm:[2,3,0,1] row_mask:0xf bank_mask:0xf bound_ctrl:1
	;;#ASMEND
	;;#ASMSTART
	v_max_f32 v3, v2, v2 row_half_mirror row_mask:0xf bank_mask:0xf bound_ctrl:1
	;;#ASMEND
	v_mul_f32_e32 v2, 0x3b124925, v3
	v_and_b32_e32 v3, 7, v0
	v_cmp_eq_u32_e32 vcc, 0, v3
	v_cmp_gt_i32_e64 s[2:3], s15, v1
	s_and_b64 s[10:11], vcc, s[2:3]
	s_and_saveexec_b64 s[2:3], s[10:11]
	s_cbranch_execz .LBB190_16
; %bb.15:
	s_load_dwordx2 s[10:11], s[4:5], 0x8
	v_lshrrev_b32_e32 v3, 3, v0
	s_waitcnt lgkmcnt(0)
	s_mul_hi_i32 s29, s21, s6
	s_mul_i32 s28, s21, s6
	v_mad_i64_i32 v[4:5], s[22:23], s22, v3, 0
	s_lshl_b64 s[22:23], s[28:29], 2
	s_add_u32 s10, s10, s22
	s_addc_u32 s11, s11, s23
	v_lshlrev_b64 v[4:5], 2, v[4:5]
	v_mov_b32_e32 v3, s11
	v_add_co_u32_e32 v4, vcc, s10, v4
	v_addc_co_u32_e32 v5, vcc, v3, v5, vcc
	global_store_dword v[4:5], v2, off
.LBB190_16:
	s_or_b64 exec, exec, s[2:3]
	;;#ASMSTART
	v_rcp_f32 v2, v2
	;;#ASMEND
	s_and_saveexec_b64 s[10:11], s[0:1]
	s_cbranch_execz .LBB190_18
; %bb.17:
	v_mov_b32_e32 v3, v2
	;;#ASMSTART
	v_pk_mul_f32 v[4:5], v[12:13], v[2:3]
	;;#ASMEND
	s_load_dwordx2 s[0:1], s[4:5], 0x0
	v_mov_b32_e32 v12, 0xc3e00000
	v_mov_b32_e32 v13, 0x43e00000
	s_waitcnt lgkmcnt(0)
	;;#ASMSTART
	v_med3_f32 v4, v4, v12, v13
v_med3_f32 v5, v5, v12, v13
v_cvt_pk_fp8_f32 v15, v4, v5
	;;#ASMEND
	;;#ASMSTART
	v_pk_mul_f32 v[4:5], v[10:11], v[2:3]
	;;#ASMEND
	;;#ASMSTART
	v_med3_f32 v4, v4, v12, v13
v_med3_f32 v5, v5, v12, v13
v_cvt_pk_fp8_f32 v10, v4, v5
	;;#ASMEND
	s_mov_b32 s14, 0x5040100
	v_perm_b32 v5, v10, v15, s14
	s_movk_i32 s14, 0xff
	s_mul_i32 s3, s20, s6
	v_and_b32_e32 v4, 0xffffff00, v10
	v_and_b32_sdwa v10, v5, s14 dst_sel:DWORD dst_unused:UNUSED_PAD src0_sel:WORD_1 src1_sel:DWORD
	s_mul_hi_i32 s2, s20, s6
	s_mov_b32 s12, 0xffff
	s_add_u32 s0, s0, s3
	v_or_b32_sdwa v4, v10, v4 dst_sel:WORD_1 dst_unused:UNUSED_PAD src0_sel:DWORD src1_sel:DWORD
	s_addc_u32 s1, s1, s2
	s_add_i32 s2, s15, 3
	v_and_or_b32 v4, v5, s12, v4
	;;#ASMSTART
	v_pk_mul_f32 v[8:9], v[8:9], v[2:3]
	;;#ASMEND
	v_mov_b32_e32 v5, v9
	s_ashr_i32 s3, s2, 31
	;;#ASMSTART
	v_med3_f32 v8, v8, v12, v13
v_med3_f32 v5, v5, v12, v13
v_cvt_pk_fp8_f32 v9, v8, v5
	;;#ASMEND
	;;#ASMSTART
	v_pk_mul_f32 v[2:3], v[6:7], v[2:3]
	;;#ASMEND
	s_lshr_b32 s3, s3, 30
	;;#ASMSTART
	v_med3_f32 v2, v2, v12, v13
v_med3_f32 v3, v3, v12, v13
v_cvt_pk_fp8_f32 v5, v2, v3
	;;#ASMEND
	s_add_i32 s2, s2, s3
	v_lshlrev_b32_e32 v2, 16, v5
	s_and_b32 s2, s2, -4
	s_and_b32 s1, s1, 0xffff
	s_mov_b32 s3, 0x20000
	v_and_or_b32 v5, v9, s12, v2
	buffer_store_dwordx2 v[4:5], v1, s[0:3], 0 offen
	;;#ASMSTART
	s_nop 0
	;;#ASMEND
.LBB190_18:
	s_or_b64 exec, exec, s[10:11]
	s_cmp_lt_i32 s16, 1
	s_cbranch_scc1 .LBB190_8
.LBB190_19:
	s_load_dword s0, s[4:5], 0x94
	s_waitcnt lgkmcnt(0)
	s_cmp_lg_u32 s0, 1
	s_cbranch_scc1 .LBB190_8
; %bb.20:
	s_lshl_b32 s0, s16, 1
	s_add_i32 s0, s0, 2
	v_cmp_gt_u32_e32 vcc, s16, v1
	s_and_b32 s10, s0, -4
	s_waitcnt vmcnt(0)
	v_mov_b32_e32 v4, 0
	v_lshlrev_b32_e32 v12, 4, v0
	v_mov_b32_e32 v5, 0
	v_mov_b32_e32 v6, 0
	;; [unrolled: 1-line block ×7, first 2 shown]
	s_barrier
	s_and_saveexec_b64 s[0:1], vcc
	s_cbranch_execz .LBB190_22
; %bb.21:
	s_mul_hi_i32 s3, s18, s6
	s_mul_i32 s2, s18, s6
	s_and_b32 s9, s9, 0xffff
	s_lshl_b64 s[2:3], s[2:3], 1
	s_add_u32 s20, s26, s2
	s_mov_b32 s11, 0x20000
	s_addc_u32 s2, s27, s3
	s_and_b32 s21, s2, 0xffff
	s_mov_b32 s22, s10
	s_mov_b32 s23, s11
	buffer_load_dwordx4 v[4:7], v12, s[20:23], 0 offen glc slc
	buffer_load_dwordx4 v[0:3], v12, s[8:11], 0 offen
.LBB190_22:
	s_or_b64 exec, exec, s[0:1]
	s_waitcnt vmcnt(1)
	v_cvt_f32_u32_sdwa v11, v4 dst_sel:DWORD dst_unused:UNUSED_PAD src0_sel:WORD_1
	v_cvt_f32_u32_sdwa v10, v4 dst_sel:DWORD dst_unused:UNUSED_PAD src0_sel:WORD_0
	v_cvt_f32_u32_sdwa v4, v7 dst_sel:DWORD dst_unused:UNUSED_PAD src0_sel:WORD_1
	v_cvt_f32_u32_sdwa v7, v7 dst_sel:DWORD dst_unused:UNUSED_PAD src0_sel:WORD_0
	;; [unrolled: 2-line block ×4, first 2 shown]
	v_cndmask_b32_e32 v11, 0, v11, vcc
	v_cndmask_b32_e32 v5, 0, v4, vcc
	;; [unrolled: 1-line block ×5, first 2 shown]
	v_mul_f32_e32 v13, v11, v11
	v_cndmask_b32_e32 v8, 0, v8, vcc
	v_fmac_f32_e32 v13, v10, v10
	v_cndmask_b32_e32 v9, 0, v9, vcc
	v_fmac_f32_e32 v13, v8, v8
	;; [unrolled: 2-line block ×3, first 2 shown]
	v_fmac_f32_e32 v13, v6, v6
	v_fmac_f32_e32 v13, v7, v7
	;; [unrolled: 1-line block ×4, first 2 shown]
	s_nop 1
	v_mov_b32_dpp v15, v13 quad_perm:[1,0,3,2] row_mask:0xf bank_mask:0xf
	v_add_f32_e32 v13, v13, v15
	s_nop 1
	v_mov_b32_dpp v15, v13 quad_perm:[2,3,0,1] row_mask:0xf bank_mask:0xf
	v_add_f32_e32 v13, v13, v15
	s_nop 1
	v_mov_b32_dpp v15, v13 row_half_mirror row_mask:0xf bank_mask:0xf
	v_add_f32_e32 v13, v13, v15
	s_nop 1
	v_mov_b32_dpp v15, v13 row_mirror row_mask:0xf bank_mask:0xf
	v_add_f32_e32 v13, v13, v15
	s_nop 1
	v_mov_b32_dpp v15, v13 row_bcast:15 row_mask:0xf bank_mask:0xf
	v_add_f32_e32 v13, v13, v15
	s_nop 1
	v_mov_b32_dpp v15, v13 row_bcast:31 row_mask:0xf bank_mask:0xf
	v_add_f32_e32 v13, v13, v15
	ds_bpermute_b32 v13, v14, v13
	s_and_saveexec_b64 s[0:1], vcc
	s_cbranch_execz .LBB190_8
; %bb.23:
	v_cvt_f32_u32_e32 v14, s16
	s_mov_b32 s11, 0x20000
	s_waitcnt lgkmcnt(0)
	v_div_scale_f32 v15, s[0:1], v14, v14, v13
	v_rcp_f32_e32 v16, v15
	v_div_scale_f32 v17, vcc, v13, v14, v13
	s_mov_b32 s0, 0x800000
	v_fma_f32 v18, -v15, v16, 1.0
	v_fmac_f32_e32 v16, v18, v16
	v_mul_f32_e32 v18, v17, v16
	v_fma_f32 v19, -v15, v18, v17
	v_fmac_f32_e32 v18, v19, v16
	v_fma_f32 v15, -v15, v18, v17
	v_div_fmas_f32 v15, v15, v16, v18
	v_div_fixup_f32 v13, v15, v14, v13
	v_add_f32_e32 v13, s13, v13
	v_mul_f32_e32 v14, 0x4b800000, v13
	v_cmp_gt_f32_e32 vcc, s0, v13
	v_cndmask_b32_e32 v13, v13, v14, vcc
	v_rsq_f32_e32 v13, v13
	s_mul_hi_i32 s1, s7, s6
	s_mul_i32 s0, s7, s6
	s_lshl_b64 s[0:1], s[0:1], 1
	v_mul_f32_e32 v14, 0x45800000, v13
	v_cndmask_b32_e32 v14, v13, v14, vcc
	s_add_u32 s8, s24, s0
	v_mov_b32_e32 v15, v14
	s_addc_u32 s0, s25, s1
	;;#ASMSTART
	v_pk_mul_f32 v[10:11], v[10:11], v[14:15]
	;;#ASMEND
	;;#ASMSTART
	v_pk_mul_f32 v[8:9], v[8:9], v[14:15]
	;;#ASMEND
	;; [unrolled: 3-line block ×4, first 2 shown]
	s_waitcnt vmcnt(0)
	v_cvt_f32_u32_sdwa v15, v0 dst_sel:DWORD dst_unused:UNUSED_PAD src0_sel:WORD_1
	v_cvt_f32_u32_sdwa v14, v0 dst_sel:DWORD dst_unused:UNUSED_PAD src0_sel:WORD_0
	v_cvt_f32_u32_sdwa v17, v1 dst_sel:DWORD dst_unused:UNUSED_PAD src0_sel:WORD_1
	v_cvt_f32_u32_sdwa v16, v1 dst_sel:DWORD dst_unused:UNUSED_PAD src0_sel:WORD_0
	;; [unrolled: 2-line block ×4, first 2 shown]
	;;#ASMSTART
	v_pk_mul_f32 v[2:3], v[10:11], v[14:15]
	;;#ASMEND
	s_and_b32 s9, s0, 0xffff
	s_mov_b32 s0, 0x7060302
	;;#ASMSTART
	v_pk_mul_f32 v[8:9], v[8:9], v[16:17]
	;;#ASMEND
	;;#ASMSTART
	v_pk_mul_f32 v[6:7], v[6:7], v[0:1]
	;;#ASMEND
	;; [unrolled: 3-line block ×3, first 2 shown]
	v_perm_b32 v0, v3, v2, s0
	v_perm_b32 v1, v9, v8, s0
	v_perm_b32 v2, v7, v6, s0
	v_perm_b32 v3, v5, v4, s0
	buffer_store_dwordx4 v[0:3], v12, s[8:11], 0 offen
	;;#ASMSTART
	s_nop 0
	;;#ASMEND
	s_endpgm
	.section	.rodata,"a",@progbits
	.p2align	6, 0x0
	.amdhsa_kernel _ZN5aiter35fused_qk_rmsnorm_group_quant_kernelItDB8_Li64ELi8ELi8ELb0ELb0ELb0ELb0ELb0ELb0EEEvPT0_PvPT_S6_S6_PKS5_S8_S8_S8_S8_ffiiiiiiiiiiiii
		.amdhsa_group_segment_fixed_size 0
		.amdhsa_private_segment_fixed_size 0
		.amdhsa_kernarg_size 400
		.amdhsa_user_sgpr_count 6
		.amdhsa_user_sgpr_private_segment_buffer 1
		.amdhsa_user_sgpr_dispatch_ptr 0
		.amdhsa_user_sgpr_queue_ptr 0
		.amdhsa_user_sgpr_kernarg_segment_ptr 1
		.amdhsa_user_sgpr_dispatch_id 0
		.amdhsa_user_sgpr_flat_scratch_init 0
		.amdhsa_user_sgpr_kernarg_preload_length 0
		.amdhsa_user_sgpr_kernarg_preload_offset 0
		.amdhsa_user_sgpr_private_segment_size 0
		.amdhsa_uses_dynamic_stack 0
		.amdhsa_system_sgpr_private_segment_wavefront_offset 0
		.amdhsa_system_sgpr_workgroup_id_x 1
		.amdhsa_system_sgpr_workgroup_id_y 1
		.amdhsa_system_sgpr_workgroup_id_z 0
		.amdhsa_system_sgpr_workgroup_info 0
		.amdhsa_system_vgpr_workitem_id 0
		.amdhsa_next_free_vgpr 23
		.amdhsa_next_free_sgpr 32
		.amdhsa_accum_offset 24
		.amdhsa_reserve_vcc 1
		.amdhsa_reserve_flat_scratch 0
		.amdhsa_float_round_mode_32 0
		.amdhsa_float_round_mode_16_64 0
		.amdhsa_float_denorm_mode_32 3
		.amdhsa_float_denorm_mode_16_64 3
		.amdhsa_dx10_clamp 1
		.amdhsa_ieee_mode 1
		.amdhsa_fp16_overflow 0
		.amdhsa_tg_split 0
		.amdhsa_exception_fp_ieee_invalid_op 0
		.amdhsa_exception_fp_denorm_src 0
		.amdhsa_exception_fp_ieee_div_zero 0
		.amdhsa_exception_fp_ieee_overflow 0
		.amdhsa_exception_fp_ieee_underflow 0
		.amdhsa_exception_fp_ieee_inexact 0
		.amdhsa_exception_int_div_zero 0
	.end_amdhsa_kernel
	.section	.text._ZN5aiter35fused_qk_rmsnorm_group_quant_kernelItDB8_Li64ELi8ELi8ELb0ELb0ELb0ELb0ELb0ELb0EEEvPT0_PvPT_S6_S6_PKS5_S8_S8_S8_S8_ffiiiiiiiiiiiii,"axG",@progbits,_ZN5aiter35fused_qk_rmsnorm_group_quant_kernelItDB8_Li64ELi8ELi8ELb0ELb0ELb0ELb0ELb0ELb0EEEvPT0_PvPT_S6_S6_PKS5_S8_S8_S8_S8_ffiiiiiiiiiiiii,comdat
.Lfunc_end190:
	.size	_ZN5aiter35fused_qk_rmsnorm_group_quant_kernelItDB8_Li64ELi8ELi8ELb0ELb0ELb0ELb0ELb0ELb0EEEvPT0_PvPT_S6_S6_PKS5_S8_S8_S8_S8_ffiiiiiiiiiiiii, .Lfunc_end190-_ZN5aiter35fused_qk_rmsnorm_group_quant_kernelItDB8_Li64ELi8ELi8ELb0ELb0ELb0ELb0ELb0ELb0EEEvPT0_PvPT_S6_S6_PKS5_S8_S8_S8_S8_ffiiiiiiiiiiiii
                                        ; -- End function
	.section	.AMDGPU.csdata,"",@progbits
; Kernel info:
; codeLenInByte = 2372
; NumSgprs: 36
; NumVgprs: 23
; NumAgprs: 0
; TotalNumVgprs: 23
; ScratchSize: 0
; MemoryBound: 0
; FloatMode: 240
; IeeeMode: 1
; LDSByteSize: 0 bytes/workgroup (compile time only)
; SGPRBlocks: 4
; VGPRBlocks: 2
; NumSGPRsForWavesPerEU: 36
; NumVGPRsForWavesPerEU: 23
; AccumOffset: 24
; Occupancy: 8
; WaveLimiterHint : 0
; COMPUTE_PGM_RSRC2:SCRATCH_EN: 0
; COMPUTE_PGM_RSRC2:USER_SGPR: 6
; COMPUTE_PGM_RSRC2:TRAP_HANDLER: 0
; COMPUTE_PGM_RSRC2:TGID_X_EN: 1
; COMPUTE_PGM_RSRC2:TGID_Y_EN: 1
; COMPUTE_PGM_RSRC2:TGID_Z_EN: 0
; COMPUTE_PGM_RSRC2:TIDIG_COMP_CNT: 0
; COMPUTE_PGM_RSRC3_GFX90A:ACCUM_OFFSET: 5
; COMPUTE_PGM_RSRC3_GFX90A:TG_SPLIT: 0
	.section	.text._ZN5aiter35fused_qk_rmsnorm_group_quant_kernelIDF16_N4opus5fp4_tELi64ELi8ELi8ELb0ELb0ELb0ELb0ELb0ELb0EEEvPT0_PvPT_S7_S7_PKS6_S9_S9_S9_S9_ffiiiiiiiiiiiii,"axG",@progbits,_ZN5aiter35fused_qk_rmsnorm_group_quant_kernelIDF16_N4opus5fp4_tELi64ELi8ELi8ELb0ELb0ELb0ELb0ELb0ELb0EEEvPT0_PvPT_S7_S7_PKS6_S9_S9_S9_S9_ffiiiiiiiiiiiii,comdat
	.protected	_ZN5aiter35fused_qk_rmsnorm_group_quant_kernelIDF16_N4opus5fp4_tELi64ELi8ELi8ELb0ELb0ELb0ELb0ELb0ELb0EEEvPT0_PvPT_S7_S7_PKS6_S9_S9_S9_S9_ffiiiiiiiiiiiii ; -- Begin function _ZN5aiter35fused_qk_rmsnorm_group_quant_kernelIDF16_N4opus5fp4_tELi64ELi8ELi8ELb0ELb0ELb0ELb0ELb0ELb0EEEvPT0_PvPT_S7_S7_PKS6_S9_S9_S9_S9_ffiiiiiiiiiiiii
	.globl	_ZN5aiter35fused_qk_rmsnorm_group_quant_kernelIDF16_N4opus5fp4_tELi64ELi8ELi8ELb0ELb0ELb0ELb0ELb0ELb0EEEvPT0_PvPT_S7_S7_PKS6_S9_S9_S9_S9_ffiiiiiiiiiiiii
	.p2align	8
	.type	_ZN5aiter35fused_qk_rmsnorm_group_quant_kernelIDF16_N4opus5fp4_tELi64ELi8ELi8ELb0ELb0ELb0ELb0ELb0ELb0EEEvPT0_PvPT_S7_S7_PKS6_S9_S9_S9_S9_ffiiiiiiiiiiiii,@function
_ZN5aiter35fused_qk_rmsnorm_group_quant_kernelIDF16_N4opus5fp4_tELi64ELi8ELi8ELb0ELb0ELb0ELb0ELb0ELb0EEEvPT0_PvPT_S7_S7_PKS6_S9_S9_S9_S9_ffiiiiiiiiiiiii: ; @_ZN5aiter35fused_qk_rmsnorm_group_quant_kernelIDF16_N4opus5fp4_tELi64ELi8ELi8ELb0ELb0ELb0ELb0ELb0ELb0EEEvPT0_PvPT_S7_S7_PKS6_S9_S9_S9_S9_ffiiiiiiiiiiiii
; %bb.0:
	s_load_dwordx4 s[12:15], s[4:5], 0x50
	s_waitcnt lgkmcnt(0)
	s_cmp_ge_i32 s6, s14
	s_cbranch_scc1 .LBB191_10
; %bb.1:
	s_load_dwordx2 s[8:9], s[4:5], 0x48
	s_load_dwordx2 s[26:27], s[4:5], 0x30
	s_load_dwordx4 s[16:19], s[4:5], 0x60
	s_cmp_lg_u32 s7, 0
	s_cselect_b64 s[2:3], -1, 0
	s_cmp_eq_u32 s7, 0
	s_cselect_b64 vcc, -1, 0
	s_and_b64 s[0:1], vcc, exec
	s_waitcnt lgkmcnt(0)
	s_cselect_b32 s7, s15, s16
	s_add_i32 s0, s7, 1
	s_lshr_b32 s1, s0, 31
	s_add_i32 s0, s0, s1
	s_lshl_b32 s0, s0, 1
	v_lshlrev_b32_e32 v1, 3, v0
	s_and_b32 s22, s0, -4
	v_cmp_gt_i32_e64 s[0:1], s7, v1
	v_mov_b32_e32 v10, 0
	v_mov_b32_e32 v2, 0
	;; [unrolled: 1-line block ×9, first 2 shown]
	s_and_saveexec_b64 s[10:11], s[0:1]
	s_cbranch_execz .LBB191_3
; %bb.2:
	s_load_dwordx2 s[20:21], s[4:5], 0x28
	s_load_dwordx2 s[24:25], s[4:5], 0x40
	s_and_b64 s[28:29], vcc, exec
	s_cselect_b32 s14, s17, s18
	s_mov_b32 s23, 0x20000
	s_waitcnt lgkmcnt(0)
	s_cselect_b32 s17, s21, s27
	s_cselect_b32 s19, s20, s26
	s_mul_hi_i32 s21, s14, s6
	s_mul_i32 s20, s14, s6
	s_lshl_b64 s[20:21], s[20:21], 1
	s_add_u32 s28, s19, s20
	s_addc_u32 s14, s17, s21
	s_and_b64 s[20:21], vcc, exec
	s_cselect_b32 s20, s24, s8
	s_cselect_b32 s17, s25, s9
	v_lshlrev_b32_e32 v11, 4, v0
	s_and_b32 s29, s14, 0xffff
	s_mov_b32 s30, s22
	s_mov_b32 s31, s23
	s_and_b32 s21, s17, 0xffff
	buffer_load_dwordx4 v[6:9], v11, s[28:31], 0 offen glc slc
	buffer_load_dwordx4 v[2:5], v11, s[20:23], 0 offen
.LBB191_3:
	s_or_b64 exec, exec, s[10:11]
	v_mov_b32_e32 v11, 0
	v_mov_b32_e32 v16, 0
	;; [unrolled: 1-line block ×7, first 2 shown]
	s_and_saveexec_b64 s[10:11], s[0:1]
	s_cbranch_execz .LBB191_5
; %bb.4:
	s_waitcnt vmcnt(1)
	v_cvt_f32_f16_sdwa v11, v6 dst_sel:DWORD dst_unused:UNUSED_PAD src0_sel:WORD_1
	v_cvt_f32_f16_e32 v10, v6
	v_cvt_f32_f16_sdwa v17, v7 dst_sel:DWORD dst_unused:UNUSED_PAD src0_sel:WORD_1
	v_cvt_f32_f16_e32 v16, v7
	;; [unrolled: 2-line block ×4, first 2 shown]
.LBB191_5:
	s_or_b64 exec, exec, s[10:11]
	s_waitcnt vmcnt(1)
	v_mul_f32_e32 v6, v11, v11
	v_fmac_f32_e32 v6, v10, v10
	v_fmac_f32_e32 v6, v16, v16
	;; [unrolled: 1-line block ×7, first 2 shown]
	v_bfrev_b32_e32 v8, 0.5
	s_load_dwordx2 s[24:25], s[4:5], 0x18
	v_mov_b32_dpp v7, v6 quad_perm:[1,0,3,2] row_mask:0xf bank_mask:0xf
	v_add_f32_e32 v6, v6, v7
	s_nop 1
	v_mov_b32_dpp v7, v6 quad_perm:[2,3,0,1] row_mask:0xf bank_mask:0xf
	v_add_f32_e32 v6, v6, v7
	s_nop 1
	v_mov_b32_dpp v7, v6 row_half_mirror row_mask:0xf bank_mask:0xf
	v_add_f32_e32 v6, v6, v7
	s_nop 1
	v_mov_b32_dpp v7, v6 row_mirror row_mask:0xf bank_mask:0xf
	v_add_f32_e32 v6, v6, v7
	s_nop 1
	v_mov_b32_dpp v7, v6 row_bcast:15 row_mask:0xf bank_mask:0xf
	v_add_f32_e32 v6, v6, v7
	s_nop 1
	v_mov_b32_dpp v7, v6 row_bcast:31 row_mask:0xf bank_mask:0xf
	v_add_f32_e32 v6, v6, v7
	v_mbcnt_lo_u32_b32 v7, -1, 0
	v_mbcnt_hi_u32_b32 v7, -1, v7
	v_lshl_or_b32 v18, v7, 2, v8
	ds_bpermute_b32 v6, v18, v6
	s_and_saveexec_b64 s[10:11], s[0:1]
	s_cbranch_execz .LBB191_7
; %bb.6:
	v_cvt_f32_u32_e32 v7, s7
	v_mov_b32_e32 v8, s13
	v_mov_b32_e32 v9, s12
	v_cndmask_b32_e32 v8, v8, v9, vcc
	s_waitcnt lgkmcnt(0)
	v_div_scale_f32 v19, s[20:21], v7, v7, v6
	v_rcp_f32_e32 v20, v19
	v_div_scale_f32 v9, vcc, v6, v7, v6
	s_mov_b32 s7, 0x800000
	v_fma_f32 v21, -v19, v20, 1.0
	v_fmac_f32_e32 v20, v21, v20
	v_mul_f32_e32 v21, v9, v20
	v_fma_f32 v22, -v19, v21, v9
	v_fmac_f32_e32 v21, v22, v20
	v_fma_f32 v9, -v19, v21, v9
	v_div_fmas_f32 v9, v9, v20, v21
	v_div_fixup_f32 v6, v9, v7, v6
	v_add_f32_e32 v6, v8, v6
	v_mul_f32_e32 v7, 0x4b800000, v6
	v_cmp_gt_f32_e32 vcc, s7, v6
	v_cndmask_b32_e32 v6, v6, v7, vcc
	v_rsq_f32_e32 v6, v6
	s_waitcnt vmcnt(0)
	v_cvt_f32_f16_sdwa v21, v5 dst_sel:DWORD dst_unused:UNUSED_PAD src0_sel:WORD_1
	v_cvt_f32_f16_e32 v20, v5
	v_mul_f32_e32 v7, 0x45800000, v6
	v_cndmask_b32_e32 v6, v6, v7, vcc
	v_mov_b32_e32 v7, v6
	;;#ASMSTART
	v_pk_mul_f32 v[8:9], v[10:11], v[6:7]
	;;#ASMEND
	;;#ASMSTART
	v_pk_mul_f32 v[16:17], v[16:17], v[6:7]
	;;#ASMEND
	;; [unrolled: 3-line block ×4, first 2 shown]
	v_cvt_f32_f16_sdwa v11, v2 dst_sel:DWORD dst_unused:UNUSED_PAD src0_sel:WORD_1
	v_cvt_f32_f16_e32 v10, v2
	v_cvt_f32_f16_sdwa v15, v3 dst_sel:DWORD dst_unused:UNUSED_PAD src0_sel:WORD_1
	v_cvt_f32_f16_e32 v14, v3
	;; [unrolled: 2-line block ×3, first 2 shown]
	;;#ASMSTART
	v_pk_mul_f32 v[10:11], v[8:9], v[10:11]
	;;#ASMEND
	;;#ASMSTART
	v_pk_mul_f32 v[16:17], v[16:17], v[14:15]
	;;#ASMEND
	;; [unrolled: 3-line block ×4, first 2 shown]
.LBB191_7:
	s_or_b64 exec, exec, s[10:11]
	s_load_dword s7, s[4:5], 0x80
	s_mov_b64 s[10:11], -1
	s_and_b64 vcc, exec, s[2:3]
	s_cbranch_vccnz .LBB191_11
; %bb.8:
	s_andn2_b64 vcc, exec, s[10:11]
	s_cbranch_vccz .LBB191_14
.LBB191_9:
	s_cmp_lt_i32 s16, 1
	s_cbranch_scc0 .LBB191_21
.LBB191_10:
	s_endpgm
.LBB191_11:
	s_and_saveexec_b64 s[2:3], s[0:1]
	s_cbranch_execz .LBB191_13
; %bb.12:
	s_waitcnt lgkmcnt(0)
	s_mul_hi_i32 s11, s7, s6
	s_mul_i32 s10, s7, s6
	s_waitcnt vmcnt(0)
	v_cvt_f16_f32_e32 v2, v10
	v_cvt_f16_f32_e32 v3, v16
	;; [unrolled: 1-line block ×8, first 2 shown]
	s_lshl_b64 s[10:11], s[10:11], 1
	s_add_u32 s20, s24, s10
	s_addc_u32 s10, s25, s11
	s_and_b32 s21, s10, 0xffff
	s_mov_b32 s23, 0x20000
	v_pack_b32_f16 v5, v5, v6
	v_pack_b32_f16 v4, v4, v7
	;; [unrolled: 1-line block ×4, first 2 shown]
	v_lshlrev_b32_e32 v6, 4, v0
	buffer_store_dwordx4 v[2:5], v6, s[20:23], 0 offen
	;;#ASMSTART
	s_nop 0
	;;#ASMEND
.LBB191_13:
	s_or_b64 exec, exec, s[2:3]
	s_cbranch_execnz .LBB191_9
.LBB191_14:
	s_waitcnt vmcnt(0)
	v_mov_b32_e32 v2, 0
	s_and_saveexec_b64 s[2:3], s[0:1]
	s_cbranch_execz .LBB191_16
; %bb.15:
	v_and_b32_e32 v2, 0x7fffffff, v10
	v_and_b32_e32 v3, 0x7fffffff, v11
	v_mov_b32_e32 v4, 0x2edbe6ff
	;;#ASMSTART
	v_max3_f32 v2, v4, v2, v3

	;;#ASMEND
	v_and_b32_e32 v3, 0x7fffffff, v16
	v_and_b32_e32 v4, 0x7fffffff, v17
	;;#ASMSTART
	v_max3_f32 v2, v2, v3, v4

	;;#ASMEND
	v_and_b32_e32 v3, 0x7fffffff, v12
	v_and_b32_e32 v4, 0x7fffffff, v13
	;; [unrolled: 6-line block ×3, first 2 shown]
	;;#ASMSTART
	v_max3_f32 v2, v2, v3, v4

	;;#ASMEND
.LBB191_16:
	s_or_b64 exec, exec, s[2:3]
	s_load_dwordx4 s[20:23], s[4:5], 0x70
	;;#ASMSTART
	v_max_f32 v3, v2, v2 quad_perm:[1,0,3,2] row_mask:0xf bank_mask:0xf bound_ctrl:1
	;;#ASMEND
	;;#ASMSTART
	v_max_f32 v4, v3, v3 quad_perm:[2,3,0,1] row_mask:0xf bank_mask:0xf bound_ctrl:1
	;;#ASMEND
	v_and_b32_e32 v3, 7, v0
	v_cmp_eq_u32_e32 vcc, 0, v3
	v_cmp_gt_i32_e64 s[2:3], s15, v1
	s_and_b64 s[10:11], vcc, s[2:3]
	;;#ASMSTART
	v_max_f32 v2, v4, v4 row_half_mirror row_mask:0xf bank_mask:0xf bound_ctrl:1
	;;#ASMEND
	s_and_saveexec_b64 s[2:3], s[10:11]
	s_cbranch_execz .LBB191_18
; %bb.17:
	s_load_dwordx2 s[10:11], s[4:5], 0x8
	v_mul_f32_e32 v2, 0x3e2aaaab, v2
	v_lshrrev_b32_e32 v3, 23, v2
	v_and_b32_e32 v4, 0x7f800000, v2
	v_and_b32_e32 v2, 0x7fffff, v2
	v_cmp_ne_u32_e32 vcc, 0, v2
	s_waitcnt lgkmcnt(0)
	s_mul_i32 s17, s21, s6
	s_mov_b32 s12, 0x7f800000
	v_addc_co_u32_e32 v2, vcc, 0, v3, vcc
	s_mul_hi_i32 s14, s21, s6
	s_add_u32 s10, s10, s17
	v_cmp_ne_u32_e32 vcc, s12, v4
	s_addc_u32 s11, s11, s14
	v_lshrrev_b32_e32 v5, 3, v0
	v_cndmask_b32_e32 v4, -1, v2, vcc
	v_pk_mov_b32 v[2:3], s[10:11], s[10:11] op_sel:[0,1]
	v_mad_i64_i32 v[2:3], s[10:11], s22, v5, v[2:3]
	global_store_byte v[2:3], v4, off
.LBB191_18:
	s_or_b64 exec, exec, s[2:3]
	s_and_saveexec_b64 s[2:3], s[0:1]
	s_cbranch_execz .LBB191_20
; %bb.19:
	s_load_dwordx2 s[0:1], s[4:5], 0x0
	s_waitcnt lgkmcnt(0)
	s_mul_i32 s11, s20, s6
	s_mul_hi_i32 s10, s20, s6
	v_lshlrev_b32_e32 v2, 2, v0
	s_mov_b32 s23, 0x20000
	s_add_u32 s20, s0, s11
	s_addc_u32 s0, s1, s10
	s_lshr_b32 s1, s15, 31
	s_add_i32 s1, s15, s1
	s_ashr_i32 s1, s1, 1
	s_add_i32 s1, s1, 3
	s_ashr_i32 s10, s1, 31
	s_lshr_b32 s10, s10, 30
	s_add_i32 s1, s1, s10
	s_and_b32 s22, s1, -4
	s_and_b32 s21, s0, 0xffff
	v_mov_b32_e32 v3, 0
	buffer_store_dword v3, v2, s[20:23], 0 offen
	;;#ASMSTART
	s_nop 0
	;;#ASMEND
.LBB191_20:
	s_or_b64 exec, exec, s[2:3]
	s_cmp_lt_i32 s16, 1
	s_cbranch_scc1 .LBB191_10
.LBB191_21:
	s_load_dword s0, s[4:5], 0x94
	s_waitcnt lgkmcnt(0)
	s_cmp_lg_u32 s0, 1
	s_cbranch_scc1 .LBB191_10
; %bb.22:
	s_lshl_b32 s0, s16, 1
	s_add_i32 s0, s0, 2
	v_cmp_gt_u32_e32 vcc, s16, v1
	s_and_b32 s10, s0, -4
	v_mov_b32_e32 v8, 0
	v_lshlrev_b32_e32 v16, 4, v0
	s_waitcnt vmcnt(0)
	v_mov_b32_e32 v4, 0
	v_mov_b32_e32 v5, 0
	;; [unrolled: 1-line block ×8, first 2 shown]
	s_barrier
	s_and_saveexec_b64 s[0:1], vcc
	s_cbranch_execz .LBB191_24
; %bb.23:
	s_mul_hi_i32 s3, s18, s6
	s_mul_i32 s2, s18, s6
	s_and_b32 s9, s9, 0xffff
	s_lshl_b64 s[2:3], s[2:3], 1
	s_add_u32 s20, s26, s2
	s_mov_b32 s11, 0x20000
	s_addc_u32 s2, s27, s3
	s_and_b32 s21, s2, 0xffff
	s_mov_b32 s22, s10
	s_mov_b32 s23, s11
	buffer_load_dwordx4 v[4:7], v16, s[20:23], 0 offen glc slc
	buffer_load_dwordx4 v[0:3], v16, s[8:11], 0 offen
.LBB191_24:
	s_or_b64 exec, exec, s[0:1]
	v_mov_b32_e32 v9, 0
	v_mov_b32_e32 v14, 0
	;; [unrolled: 1-line block ×7, first 2 shown]
	s_and_saveexec_b64 s[0:1], vcc
	s_cbranch_execz .LBB191_26
; %bb.25:
	s_waitcnt vmcnt(1)
	v_cvt_f32_f16_sdwa v9, v4 dst_sel:DWORD dst_unused:UNUSED_PAD src0_sel:WORD_1
	v_cvt_f32_f16_e32 v8, v4
	v_cvt_f32_f16_sdwa v15, v5 dst_sel:DWORD dst_unused:UNUSED_PAD src0_sel:WORD_1
	v_cvt_f32_f16_e32 v14, v5
	v_cvt_f32_f16_sdwa v13, v6 dst_sel:DWORD dst_unused:UNUSED_PAD src0_sel:WORD_1
	v_cvt_f32_f16_e32 v12, v6
	v_cvt_f32_f16_sdwa v11, v7 dst_sel:DWORD dst_unused:UNUSED_PAD src0_sel:WORD_1
	v_cvt_f32_f16_e32 v10, v7
.LBB191_26:
	s_or_b64 exec, exec, s[0:1]
	s_waitcnt vmcnt(1)
	v_mul_f32_e32 v4, v9, v9
	v_fmac_f32_e32 v4, v8, v8
	v_fmac_f32_e32 v4, v14, v14
	v_fmac_f32_e32 v4, v15, v15
	v_fmac_f32_e32 v4, v12, v12
	v_fmac_f32_e32 v4, v13, v13
	v_fmac_f32_e32 v4, v10, v10
	v_fmac_f32_e32 v4, v11, v11
	s_nop 1
	v_mov_b32_dpp v5, v4 quad_perm:[1,0,3,2] row_mask:0xf bank_mask:0xf
	v_add_f32_e32 v4, v4, v5
	s_nop 1
	v_mov_b32_dpp v5, v4 quad_perm:[2,3,0,1] row_mask:0xf bank_mask:0xf
	v_add_f32_e32 v4, v4, v5
	s_nop 1
	v_mov_b32_dpp v5, v4 row_half_mirror row_mask:0xf bank_mask:0xf
	v_add_f32_e32 v4, v4, v5
	s_nop 1
	v_mov_b32_dpp v5, v4 row_mirror row_mask:0xf bank_mask:0xf
	v_add_f32_e32 v4, v4, v5
	s_nop 1
	v_mov_b32_dpp v5, v4 row_bcast:15 row_mask:0xf bank_mask:0xf
	v_add_f32_e32 v4, v4, v5
	s_nop 1
	v_mov_b32_dpp v5, v4 row_bcast:31 row_mask:0xf bank_mask:0xf
	v_add_f32_e32 v4, v4, v5
	ds_bpermute_b32 v4, v18, v4
	s_and_saveexec_b64 s[0:1], vcc
	s_cbranch_execz .LBB191_10
; %bb.27:
	v_cvt_f32_u32_e32 v5, s16
	s_mov_b32 s11, 0x20000
	s_waitcnt lgkmcnt(0)
	v_div_scale_f32 v6, s[0:1], v5, v5, v4
	v_rcp_f32_e32 v7, v6
	v_div_scale_f32 v17, vcc, v4, v5, v4
	s_mov_b32 s0, 0x800000
	v_fma_f32 v18, -v6, v7, 1.0
	v_fmac_f32_e32 v7, v18, v7
	v_mul_f32_e32 v18, v17, v7
	v_fma_f32 v19, -v6, v18, v17
	v_fmac_f32_e32 v18, v19, v7
	v_fma_f32 v6, -v6, v18, v17
	v_div_fmas_f32 v6, v6, v7, v18
	v_div_fixup_f32 v4, v6, v5, v4
	v_add_f32_e32 v4, s13, v4
	v_mul_f32_e32 v5, 0x4b800000, v4
	v_cmp_gt_f32_e32 vcc, s0, v4
	v_cndmask_b32_e32 v4, v4, v5, vcc
	v_rsq_f32_e32 v4, v4
	s_waitcnt vmcnt(0)
	v_cvt_f32_f16_sdwa v19, v3 dst_sel:DWORD dst_unused:UNUSED_PAD src0_sel:WORD_1
	v_cvt_f32_f16_e32 v18, v3
	s_mul_hi_i32 s1, s7, s6
	v_mul_f32_e32 v5, 0x45800000, v4
	v_cndmask_b32_e32 v4, v4, v5, vcc
	v_mov_b32_e32 v5, v4
	;;#ASMSTART
	v_pk_mul_f32 v[6:7], v[8:9], v[4:5]
	;;#ASMEND
	;;#ASMSTART
	v_pk_mul_f32 v[8:9], v[14:15], v[4:5]
	;;#ASMEND
	;; [unrolled: 3-line block ×4, first 2 shown]
	v_cvt_f32_f16_sdwa v11, v0 dst_sel:DWORD dst_unused:UNUSED_PAD src0_sel:WORD_1
	v_cvt_f32_f16_e32 v10, v0
	v_cvt_f32_f16_sdwa v15, v1 dst_sel:DWORD dst_unused:UNUSED_PAD src0_sel:WORD_1
	v_cvt_f32_f16_e32 v14, v1
	;; [unrolled: 2-line block ×3, first 2 shown]
	;;#ASMSTART
	v_pk_mul_f32 v[2:3], v[6:7], v[10:11]
	;;#ASMEND
	;;#ASMSTART
	v_pk_mul_f32 v[6:7], v[8:9], v[14:15]
	;;#ASMEND
	;; [unrolled: 3-line block ×4, first 2 shown]
	s_mul_i32 s0, s7, s6
	v_cvt_f16_f32_e32 v2, v2
	v_cvt_f16_f32_e32 v3, v3
	;; [unrolled: 1-line block ×8, first 2 shown]
	s_lshl_b64 s[0:1], s[0:1], 1
	s_add_u32 s8, s24, s0
	s_addc_u32 s0, s25, s1
	s_and_b32 s9, s0, 0xffff
	v_pack_b32_f16 v0, v2, v3
	v_pack_b32_f16 v1, v6, v7
	;; [unrolled: 1-line block ×4, first 2 shown]
	buffer_store_dwordx4 v[0:3], v16, s[8:11], 0 offen
	;;#ASMSTART
	s_nop 0
	;;#ASMEND
	s_endpgm
	.section	.rodata,"a",@progbits
	.p2align	6, 0x0
	.amdhsa_kernel _ZN5aiter35fused_qk_rmsnorm_group_quant_kernelIDF16_N4opus5fp4_tELi64ELi8ELi8ELb0ELb0ELb0ELb0ELb0ELb0EEEvPT0_PvPT_S7_S7_PKS6_S9_S9_S9_S9_ffiiiiiiiiiiiii
		.amdhsa_group_segment_fixed_size 0
		.amdhsa_private_segment_fixed_size 0
		.amdhsa_kernarg_size 400
		.amdhsa_user_sgpr_count 6
		.amdhsa_user_sgpr_private_segment_buffer 1
		.amdhsa_user_sgpr_dispatch_ptr 0
		.amdhsa_user_sgpr_queue_ptr 0
		.amdhsa_user_sgpr_kernarg_segment_ptr 1
		.amdhsa_user_sgpr_dispatch_id 0
		.amdhsa_user_sgpr_flat_scratch_init 0
		.amdhsa_user_sgpr_kernarg_preload_length 0
		.amdhsa_user_sgpr_kernarg_preload_offset 0
		.amdhsa_user_sgpr_private_segment_size 0
		.amdhsa_uses_dynamic_stack 0
		.amdhsa_system_sgpr_private_segment_wavefront_offset 0
		.amdhsa_system_sgpr_workgroup_id_x 1
		.amdhsa_system_sgpr_workgroup_id_y 1
		.amdhsa_system_sgpr_workgroup_id_z 0
		.amdhsa_system_sgpr_workgroup_info 0
		.amdhsa_system_vgpr_workitem_id 0
		.amdhsa_next_free_vgpr 23
		.amdhsa_next_free_sgpr 32
		.amdhsa_accum_offset 24
		.amdhsa_reserve_vcc 1
		.amdhsa_reserve_flat_scratch 0
		.amdhsa_float_round_mode_32 0
		.amdhsa_float_round_mode_16_64 0
		.amdhsa_float_denorm_mode_32 3
		.amdhsa_float_denorm_mode_16_64 3
		.amdhsa_dx10_clamp 1
		.amdhsa_ieee_mode 1
		.amdhsa_fp16_overflow 0
		.amdhsa_tg_split 0
		.amdhsa_exception_fp_ieee_invalid_op 0
		.amdhsa_exception_fp_denorm_src 0
		.amdhsa_exception_fp_ieee_div_zero 0
		.amdhsa_exception_fp_ieee_overflow 0
		.amdhsa_exception_fp_ieee_underflow 0
		.amdhsa_exception_fp_ieee_inexact 0
		.amdhsa_exception_int_div_zero 0
	.end_amdhsa_kernel
	.section	.text._ZN5aiter35fused_qk_rmsnorm_group_quant_kernelIDF16_N4opus5fp4_tELi64ELi8ELi8ELb0ELb0ELb0ELb0ELb0ELb0EEEvPT0_PvPT_S7_S7_PKS6_S9_S9_S9_S9_ffiiiiiiiiiiiii,"axG",@progbits,_ZN5aiter35fused_qk_rmsnorm_group_quant_kernelIDF16_N4opus5fp4_tELi64ELi8ELi8ELb0ELb0ELb0ELb0ELb0ELb0EEEvPT0_PvPT_S7_S7_PKS6_S9_S9_S9_S9_ffiiiiiiiiiiiii,comdat
.Lfunc_end191:
	.size	_ZN5aiter35fused_qk_rmsnorm_group_quant_kernelIDF16_N4opus5fp4_tELi64ELi8ELi8ELb0ELb0ELb0ELb0ELb0ELb0EEEvPT0_PvPT_S7_S7_PKS6_S9_S9_S9_S9_ffiiiiiiiiiiiii, .Lfunc_end191-_ZN5aiter35fused_qk_rmsnorm_group_quant_kernelIDF16_N4opus5fp4_tELi64ELi8ELi8ELb0ELb0ELb0ELb0ELb0ELb0EEEvPT0_PvPT_S7_S7_PKS6_S9_S9_S9_S9_ffiiiiiiiiiiiii
                                        ; -- End function
	.section	.AMDGPU.csdata,"",@progbits
; Kernel info:
; codeLenInByte = 2172
; NumSgprs: 36
; NumVgprs: 23
; NumAgprs: 0
; TotalNumVgprs: 23
; ScratchSize: 0
; MemoryBound: 0
; FloatMode: 240
; IeeeMode: 1
; LDSByteSize: 0 bytes/workgroup (compile time only)
; SGPRBlocks: 4
; VGPRBlocks: 2
; NumSGPRsForWavesPerEU: 36
; NumVGPRsForWavesPerEU: 23
; AccumOffset: 24
; Occupancy: 8
; WaveLimiterHint : 0
; COMPUTE_PGM_RSRC2:SCRATCH_EN: 0
; COMPUTE_PGM_RSRC2:USER_SGPR: 6
; COMPUTE_PGM_RSRC2:TRAP_HANDLER: 0
; COMPUTE_PGM_RSRC2:TGID_X_EN: 1
; COMPUTE_PGM_RSRC2:TGID_Y_EN: 1
; COMPUTE_PGM_RSRC2:TGID_Z_EN: 0
; COMPUTE_PGM_RSRC2:TIDIG_COMP_CNT: 0
; COMPUTE_PGM_RSRC3_GFX90A:ACCUM_OFFSET: 5
; COMPUTE_PGM_RSRC3_GFX90A:TG_SPLIT: 0
	.section	.text._ZN5aiter35fused_qk_rmsnorm_group_quant_kernelItN4opus5fp4_tELi64ELi8ELi8ELb0ELb0ELb0ELb0ELb0ELb0EEEvPT0_PvPT_S7_S7_PKS6_S9_S9_S9_S9_ffiiiiiiiiiiiii,"axG",@progbits,_ZN5aiter35fused_qk_rmsnorm_group_quant_kernelItN4opus5fp4_tELi64ELi8ELi8ELb0ELb0ELb0ELb0ELb0ELb0EEEvPT0_PvPT_S7_S7_PKS6_S9_S9_S9_S9_ffiiiiiiiiiiiii,comdat
	.protected	_ZN5aiter35fused_qk_rmsnorm_group_quant_kernelItN4opus5fp4_tELi64ELi8ELi8ELb0ELb0ELb0ELb0ELb0ELb0EEEvPT0_PvPT_S7_S7_PKS6_S9_S9_S9_S9_ffiiiiiiiiiiiii ; -- Begin function _ZN5aiter35fused_qk_rmsnorm_group_quant_kernelItN4opus5fp4_tELi64ELi8ELi8ELb0ELb0ELb0ELb0ELb0ELb0EEEvPT0_PvPT_S7_S7_PKS6_S9_S9_S9_S9_ffiiiiiiiiiiiii
	.globl	_ZN5aiter35fused_qk_rmsnorm_group_quant_kernelItN4opus5fp4_tELi64ELi8ELi8ELb0ELb0ELb0ELb0ELb0ELb0EEEvPT0_PvPT_S7_S7_PKS6_S9_S9_S9_S9_ffiiiiiiiiiiiii
	.p2align	8
	.type	_ZN5aiter35fused_qk_rmsnorm_group_quant_kernelItN4opus5fp4_tELi64ELi8ELi8ELb0ELb0ELb0ELb0ELb0ELb0EEEvPT0_PvPT_S7_S7_PKS6_S9_S9_S9_S9_ffiiiiiiiiiiiii,@function
_ZN5aiter35fused_qk_rmsnorm_group_quant_kernelItN4opus5fp4_tELi64ELi8ELi8ELb0ELb0ELb0ELb0ELb0ELb0EEEvPT0_PvPT_S7_S7_PKS6_S9_S9_S9_S9_ffiiiiiiiiiiiii: ; @_ZN5aiter35fused_qk_rmsnorm_group_quant_kernelItN4opus5fp4_tELi64ELi8ELi8ELb0ELb0ELb0ELb0ELb0ELb0EEEvPT0_PvPT_S7_S7_PKS6_S9_S9_S9_S9_ffiiiiiiiiiiiii
; %bb.0:
	s_load_dwordx4 s[12:15], s[4:5], 0x50
	s_waitcnt lgkmcnt(0)
	s_cmp_ge_i32 s6, s14
	s_cbranch_scc1 .LBB192_8
; %bb.1:
	s_load_dwordx2 s[8:9], s[4:5], 0x48
	s_load_dwordx2 s[26:27], s[4:5], 0x30
	s_load_dwordx4 s[16:19], s[4:5], 0x60
	s_cmp_lg_u32 s7, 0
	s_cselect_b64 s[2:3], -1, 0
	s_cmp_eq_u32 s7, 0
	s_cselect_b64 vcc, -1, 0
	s_and_b64 s[0:1], vcc, exec
	s_waitcnt lgkmcnt(0)
	s_cselect_b32 s7, s15, s16
	s_add_i32 s0, s7, 1
	s_lshr_b32 s1, s0, 31
	s_add_i32 s0, s0, s1
	s_lshl_b32 s0, s0, 1
	v_lshlrev_b32_e32 v1, 3, v0
	s_and_b32 s22, s0, -4
	v_cmp_gt_i32_e64 s[0:1], s7, v1
	v_mov_b32_e32 v2, 0
	v_mov_b32_e32 v3, 0
	;; [unrolled: 1-line block ×8, first 2 shown]
	s_and_saveexec_b64 s[10:11], s[0:1]
	s_cbranch_execz .LBB192_3
; %bb.2:
	s_load_dwordx2 s[20:21], s[4:5], 0x28
	s_load_dwordx2 s[24:25], s[4:5], 0x40
	s_and_b64 s[28:29], vcc, exec
	s_cselect_b32 s14, s17, s18
	s_mov_b32 s23, 0x20000
	s_waitcnt lgkmcnt(0)
	s_cselect_b32 s17, s21, s27
	s_cselect_b32 s19, s20, s26
	s_mul_hi_i32 s21, s14, s6
	s_mul_i32 s20, s14, s6
	s_lshl_b64 s[20:21], s[20:21], 1
	s_add_u32 s28, s19, s20
	s_addc_u32 s14, s17, s21
	s_and_b64 s[20:21], vcc, exec
	s_cselect_b32 s20, s24, s8
	s_cselect_b32 s17, s25, s9
	v_lshlrev_b32_e32 v10, 4, v0
	s_and_b32 s29, s14, 0xffff
	s_mov_b32 s30, s22
	s_mov_b32 s31, s23
	s_and_b32 s21, s17, 0xffff
	buffer_load_dwordx4 v[6:9], v10, s[28:31], 0 offen glc slc
	buffer_load_dwordx4 v[2:5], v10, s[20:23], 0 offen
.LBB192_3:
	s_or_b64 exec, exec, s[10:11]
	s_waitcnt vmcnt(1)
	v_cvt_f32_u32_sdwa v13, v6 dst_sel:DWORD dst_unused:UNUSED_PAD src0_sel:WORD_1
	v_cvt_f32_u32_sdwa v12, v6 dst_sel:DWORD dst_unused:UNUSED_PAD src0_sel:WORD_0
	v_cvt_f32_u32_sdwa v6, v9 dst_sel:DWORD dst_unused:UNUSED_PAD src0_sel:WORD_1
	v_cvt_f32_u32_sdwa v9, v9 dst_sel:DWORD dst_unused:UNUSED_PAD src0_sel:WORD_0
	;; [unrolled: 2-line block ×4, first 2 shown]
	v_cndmask_b32_e64 v13, 0, v13, s[0:1]
	v_cndmask_b32_e64 v7, 0, v6, s[0:1]
	;; [unrolled: 1-line block ×5, first 2 shown]
	v_mul_f32_e32 v14, v13, v13
	v_cndmask_b32_e64 v10, 0, v10, s[0:1]
	v_fmac_f32_e32 v14, v12, v12
	v_cndmask_b32_e64 v11, 0, v11, s[0:1]
	v_fmac_f32_e32 v14, v10, v10
	;; [unrolled: 2-line block ×3, first 2 shown]
	v_fmac_f32_e32 v14, v8, v8
	v_fmac_f32_e32 v14, v9, v9
	;; [unrolled: 1-line block ×4, first 2 shown]
	v_bfrev_b32_e32 v16, 0.5
	s_load_dwordx2 s[24:25], s[4:5], 0x18
	v_mov_b32_dpp v15, v14 quad_perm:[1,0,3,2] row_mask:0xf bank_mask:0xf
	v_add_f32_e32 v14, v14, v15
	s_nop 1
	v_mov_b32_dpp v15, v14 quad_perm:[2,3,0,1] row_mask:0xf bank_mask:0xf
	v_add_f32_e32 v14, v14, v15
	s_nop 1
	v_mov_b32_dpp v15, v14 row_half_mirror row_mask:0xf bank_mask:0xf
	v_add_f32_e32 v14, v14, v15
	s_nop 1
	v_mov_b32_dpp v15, v14 row_mirror row_mask:0xf bank_mask:0xf
	v_add_f32_e32 v14, v14, v15
	s_nop 1
	v_mov_b32_dpp v15, v14 row_bcast:15 row_mask:0xf bank_mask:0xf
	v_add_f32_e32 v14, v14, v15
	s_nop 1
	v_mov_b32_dpp v15, v14 row_bcast:31 row_mask:0xf bank_mask:0xf
	v_add_f32_e32 v15, v14, v15
	v_mbcnt_lo_u32_b32 v14, -1, 0
	v_mbcnt_hi_u32_b32 v14, -1, v14
	v_lshl_or_b32 v14, v14, 2, v16
	ds_bpermute_b32 v15, v14, v15
	s_and_saveexec_b64 s[10:11], s[0:1]
	s_cbranch_execz .LBB192_5
; %bb.4:
	v_cvt_f32_u32_e32 v16, s7
	v_mov_b32_e32 v17, s13
	v_mov_b32_e32 v18, s12
	v_cndmask_b32_e32 v17, v17, v18, vcc
	s_waitcnt lgkmcnt(0)
	v_div_scale_f32 v19, s[20:21], v16, v16, v15
	v_rcp_f32_e32 v20, v19
	v_div_scale_f32 v18, vcc, v15, v16, v15
	s_mov_b32 s7, 0x800000
	v_fma_f32 v21, -v19, v20, 1.0
	v_fmac_f32_e32 v20, v21, v20
	v_mul_f32_e32 v21, v18, v20
	v_fma_f32 v22, -v19, v21, v18
	v_fmac_f32_e32 v21, v22, v20
	v_fma_f32 v18, -v19, v21, v18
	v_div_fmas_f32 v18, v18, v20, v21
	v_div_fixup_f32 v15, v18, v16, v15
	v_add_f32_e32 v15, v17, v15
	v_mul_f32_e32 v16, 0x4b800000, v15
	v_cmp_gt_f32_e32 vcc, s7, v15
	v_cndmask_b32_e32 v15, v15, v16, vcc
	v_rsq_f32_e32 v15, v15
	s_waitcnt vmcnt(0)
	v_cvt_f32_u32_sdwa v19, v3 dst_sel:DWORD dst_unused:UNUSED_PAD src0_sel:WORD_1
	v_cvt_f32_u32_sdwa v18, v3 dst_sel:DWORD dst_unused:UNUSED_PAD src0_sel:WORD_0
	v_cvt_f32_u32_sdwa v3, v4 dst_sel:DWORD dst_unused:UNUSED_PAD src0_sel:WORD_1
	v_mul_f32_e32 v16, 0x45800000, v15
	v_cndmask_b32_e32 v16, v15, v16, vcc
	v_mov_b32_e32 v17, v16
	;;#ASMSTART
	v_pk_mul_f32 v[12:13], v[12:13], v[16:17]
	;;#ASMEND
	;;#ASMSTART
	v_pk_mul_f32 v[10:11], v[10:11], v[16:17]
	;;#ASMEND
	;; [unrolled: 3-line block ×4, first 2 shown]
	v_cvt_f32_u32_sdwa v17, v2 dst_sel:DWORD dst_unused:UNUSED_PAD src0_sel:WORD_1
	v_cvt_f32_u32_sdwa v16, v2 dst_sel:DWORD dst_unused:UNUSED_PAD src0_sel:WORD_0
	v_cvt_f32_u32_sdwa v2, v4 dst_sel:DWORD dst_unused:UNUSED_PAD src0_sel:WORD_0
	v_cvt_f32_u32_sdwa v21, v5 dst_sel:DWORD dst_unused:UNUSED_PAD src0_sel:WORD_1
	v_cvt_f32_u32_sdwa v20, v5 dst_sel:DWORD dst_unused:UNUSED_PAD src0_sel:WORD_0
	;;#ASMSTART
	v_pk_mul_f32 v[12:13], v[12:13], v[16:17]
	;;#ASMEND
	;;#ASMSTART
	v_pk_mul_f32 v[10:11], v[10:11], v[18:19]
	;;#ASMEND
	;; [unrolled: 3-line block ×4, first 2 shown]
.LBB192_5:
	s_or_b64 exec, exec, s[10:11]
	s_load_dword s7, s[4:5], 0x80
	s_mov_b64 s[10:11], -1
	s_and_b64 vcc, exec, s[2:3]
	s_cbranch_vccnz .LBB192_9
; %bb.6:
	s_andn2_b64 vcc, exec, s[10:11]
	s_cbranch_vccz .LBB192_12
.LBB192_7:
	s_cmp_lt_i32 s16, 1
	s_cbranch_scc0 .LBB192_19
.LBB192_8:
	s_endpgm
.LBB192_9:
	s_and_saveexec_b64 s[2:3], s[0:1]
	s_cbranch_execz .LBB192_11
; %bb.10:
	s_waitcnt lgkmcnt(0)
	s_mul_hi_i32 s11, s7, s6
	s_mul_i32 s10, s7, s6
	s_lshl_b64 s[10:11], s[10:11], 1
	s_add_u32 s20, s24, s10
	s_addc_u32 s10, s25, s11
	s_and_b32 s21, s10, 0xffff
	s_mov_b32 s10, 0x7060302
	s_mov_b32 s23, 0x20000
	s_waitcnt vmcnt(0)
	v_perm_b32 v2, v13, v12, s10
	v_perm_b32 v3, v11, v10, s10
	;; [unrolled: 1-line block ×4, first 2 shown]
	v_lshlrev_b32_e32 v15, 4, v0
	buffer_store_dwordx4 v[2:5], v15, s[20:23], 0 offen
	;;#ASMSTART
	s_nop 0
	;;#ASMEND
.LBB192_11:
	s_or_b64 exec, exec, s[2:3]
	s_cbranch_execnz .LBB192_7
.LBB192_12:
	s_waitcnt vmcnt(0)
	v_mov_b32_e32 v2, 0
	s_and_saveexec_b64 s[2:3], s[0:1]
	s_cbranch_execz .LBB192_14
; %bb.13:
	v_and_b32_e32 v2, 0x7fffffff, v12
	v_and_b32_e32 v3, 0x7fffffff, v13
	v_mov_b32_e32 v4, 0x2edbe6ff
	;;#ASMSTART
	v_max3_f32 v2, v4, v2, v3

	;;#ASMEND
	v_and_b32_e32 v3, 0x7fffffff, v10
	v_and_b32_e32 v4, 0x7fffffff, v11
	;;#ASMSTART
	v_max3_f32 v2, v2, v3, v4

	;;#ASMEND
	v_and_b32_e32 v3, 0x7fffffff, v8
	v_and_b32_e32 v4, 0x7fffffff, v9
	;; [unrolled: 6-line block ×3, first 2 shown]
	;;#ASMSTART
	v_max3_f32 v2, v2, v3, v4

	;;#ASMEND
.LBB192_14:
	s_or_b64 exec, exec, s[2:3]
	s_load_dwordx4 s[20:23], s[4:5], 0x70
	;;#ASMSTART
	v_max_f32 v3, v2, v2 quad_perm:[1,0,3,2] row_mask:0xf bank_mask:0xf bound_ctrl:1
	;;#ASMEND
	;;#ASMSTART
	v_max_f32 v4, v3, v3 quad_perm:[2,3,0,1] row_mask:0xf bank_mask:0xf bound_ctrl:1
	;;#ASMEND
	v_and_b32_e32 v3, 7, v0
	v_cmp_eq_u32_e32 vcc, 0, v3
	v_cmp_gt_i32_e64 s[2:3], s15, v1
	s_and_b64 s[10:11], vcc, s[2:3]
	;;#ASMSTART
	v_max_f32 v2, v4, v4 row_half_mirror row_mask:0xf bank_mask:0xf bound_ctrl:1
	;;#ASMEND
	s_and_saveexec_b64 s[2:3], s[10:11]
	s_cbranch_execz .LBB192_16
; %bb.15:
	s_load_dwordx2 s[10:11], s[4:5], 0x8
	v_mul_f32_e32 v2, 0x3e2aaaab, v2
	v_lshrrev_b32_e32 v3, 23, v2
	v_and_b32_e32 v4, 0x7f800000, v2
	v_and_b32_e32 v2, 0x7fffff, v2
	v_cmp_ne_u32_e32 vcc, 0, v2
	s_waitcnt lgkmcnt(0)
	s_mul_i32 s17, s21, s6
	s_mov_b32 s12, 0x7f800000
	v_addc_co_u32_e32 v2, vcc, 0, v3, vcc
	s_mul_hi_i32 s14, s21, s6
	s_add_u32 s10, s10, s17
	v_cmp_ne_u32_e32 vcc, s12, v4
	s_addc_u32 s11, s11, s14
	v_lshrrev_b32_e32 v5, 3, v0
	v_cndmask_b32_e32 v4, -1, v2, vcc
	v_pk_mov_b32 v[2:3], s[10:11], s[10:11] op_sel:[0,1]
	v_mad_i64_i32 v[2:3], s[10:11], s22, v5, v[2:3]
	global_store_byte v[2:3], v4, off
.LBB192_16:
	s_or_b64 exec, exec, s[2:3]
	s_and_saveexec_b64 s[2:3], s[0:1]
	s_cbranch_execz .LBB192_18
; %bb.17:
	s_load_dwordx2 s[0:1], s[4:5], 0x0
	s_waitcnt lgkmcnt(0)
	s_mul_i32 s11, s20, s6
	s_mul_hi_i32 s10, s20, s6
	v_lshlrev_b32_e32 v2, 2, v0
	s_mov_b32 s23, 0x20000
	s_add_u32 s20, s0, s11
	s_addc_u32 s0, s1, s10
	s_lshr_b32 s1, s15, 31
	s_add_i32 s1, s15, s1
	s_ashr_i32 s1, s1, 1
	s_add_i32 s1, s1, 3
	s_ashr_i32 s10, s1, 31
	s_lshr_b32 s10, s10, 30
	s_add_i32 s1, s1, s10
	s_and_b32 s22, s1, -4
	s_and_b32 s21, s0, 0xffff
	v_mov_b32_e32 v3, 0
	buffer_store_dword v3, v2, s[20:23], 0 offen
	;;#ASMSTART
	s_nop 0
	;;#ASMEND
.LBB192_18:
	s_or_b64 exec, exec, s[2:3]
	s_cmp_lt_i32 s16, 1
	s_cbranch_scc1 .LBB192_8
.LBB192_19:
	s_load_dword s0, s[4:5], 0x94
	s_waitcnt lgkmcnt(0)
	s_cmp_lg_u32 s0, 1
	s_cbranch_scc1 .LBB192_8
; %bb.20:
	s_lshl_b32 s0, s16, 1
	s_add_i32 s0, s0, 2
	v_cmp_gt_u32_e32 vcc, s16, v1
	s_and_b32 s10, s0, -4
	s_waitcnt vmcnt(0)
	v_mov_b32_e32 v4, 0
	v_lshlrev_b32_e32 v12, 4, v0
	v_mov_b32_e32 v5, 0
	v_mov_b32_e32 v6, 0
	;; [unrolled: 1-line block ×7, first 2 shown]
	s_barrier
	s_and_saveexec_b64 s[0:1], vcc
	s_cbranch_execz .LBB192_22
; %bb.21:
	s_mul_hi_i32 s3, s18, s6
	s_mul_i32 s2, s18, s6
	s_and_b32 s9, s9, 0xffff
	s_lshl_b64 s[2:3], s[2:3], 1
	s_add_u32 s20, s26, s2
	s_mov_b32 s11, 0x20000
	s_addc_u32 s2, s27, s3
	s_and_b32 s21, s2, 0xffff
	s_mov_b32 s22, s10
	s_mov_b32 s23, s11
	buffer_load_dwordx4 v[4:7], v12, s[20:23], 0 offen glc slc
	buffer_load_dwordx4 v[0:3], v12, s[8:11], 0 offen
.LBB192_22:
	s_or_b64 exec, exec, s[0:1]
	s_waitcnt vmcnt(1)
	v_cvt_f32_u32_sdwa v11, v4 dst_sel:DWORD dst_unused:UNUSED_PAD src0_sel:WORD_1
	v_cvt_f32_u32_sdwa v10, v4 dst_sel:DWORD dst_unused:UNUSED_PAD src0_sel:WORD_0
	v_cvt_f32_u32_sdwa v4, v7 dst_sel:DWORD dst_unused:UNUSED_PAD src0_sel:WORD_1
	v_cvt_f32_u32_sdwa v7, v7 dst_sel:DWORD dst_unused:UNUSED_PAD src0_sel:WORD_0
	;; [unrolled: 2-line block ×4, first 2 shown]
	v_cndmask_b32_e32 v11, 0, v11, vcc
	v_cndmask_b32_e32 v5, 0, v4, vcc
	;; [unrolled: 1-line block ×5, first 2 shown]
	v_mul_f32_e32 v13, v11, v11
	v_cndmask_b32_e32 v8, 0, v8, vcc
	v_fmac_f32_e32 v13, v10, v10
	v_cndmask_b32_e32 v9, 0, v9, vcc
	v_fmac_f32_e32 v13, v8, v8
	;; [unrolled: 2-line block ×3, first 2 shown]
	v_fmac_f32_e32 v13, v6, v6
	v_fmac_f32_e32 v13, v7, v7
	v_fmac_f32_e32 v13, v4, v4
	v_fmac_f32_e32 v13, v5, v5
	s_nop 1
	v_mov_b32_dpp v15, v13 quad_perm:[1,0,3,2] row_mask:0xf bank_mask:0xf
	v_add_f32_e32 v13, v13, v15
	s_nop 1
	v_mov_b32_dpp v15, v13 quad_perm:[2,3,0,1] row_mask:0xf bank_mask:0xf
	v_add_f32_e32 v13, v13, v15
	s_nop 1
	v_mov_b32_dpp v15, v13 row_half_mirror row_mask:0xf bank_mask:0xf
	v_add_f32_e32 v13, v13, v15
	s_nop 1
	v_mov_b32_dpp v15, v13 row_mirror row_mask:0xf bank_mask:0xf
	v_add_f32_e32 v13, v13, v15
	s_nop 1
	v_mov_b32_dpp v15, v13 row_bcast:15 row_mask:0xf bank_mask:0xf
	v_add_f32_e32 v13, v13, v15
	s_nop 1
	v_mov_b32_dpp v15, v13 row_bcast:31 row_mask:0xf bank_mask:0xf
	v_add_f32_e32 v13, v13, v15
	ds_bpermute_b32 v13, v14, v13
	s_and_saveexec_b64 s[0:1], vcc
	s_cbranch_execz .LBB192_8
; %bb.23:
	v_cvt_f32_u32_e32 v14, s16
	s_mov_b32 s11, 0x20000
	s_waitcnt lgkmcnt(0)
	v_div_scale_f32 v15, s[0:1], v14, v14, v13
	v_rcp_f32_e32 v16, v15
	v_div_scale_f32 v17, vcc, v13, v14, v13
	s_mov_b32 s0, 0x800000
	v_fma_f32 v18, -v15, v16, 1.0
	v_fmac_f32_e32 v16, v18, v16
	v_mul_f32_e32 v18, v17, v16
	v_fma_f32 v19, -v15, v18, v17
	v_fmac_f32_e32 v18, v19, v16
	v_fma_f32 v15, -v15, v18, v17
	v_div_fmas_f32 v15, v15, v16, v18
	v_div_fixup_f32 v13, v15, v14, v13
	v_add_f32_e32 v13, s13, v13
	v_mul_f32_e32 v14, 0x4b800000, v13
	v_cmp_gt_f32_e32 vcc, s0, v13
	v_cndmask_b32_e32 v13, v13, v14, vcc
	v_rsq_f32_e32 v13, v13
	s_mul_hi_i32 s1, s7, s6
	s_mul_i32 s0, s7, s6
	s_lshl_b64 s[0:1], s[0:1], 1
	v_mul_f32_e32 v14, 0x45800000, v13
	v_cndmask_b32_e32 v14, v13, v14, vcc
	s_add_u32 s8, s24, s0
	v_mov_b32_e32 v15, v14
	s_addc_u32 s0, s25, s1
	;;#ASMSTART
	v_pk_mul_f32 v[10:11], v[10:11], v[14:15]
	;;#ASMEND
	;;#ASMSTART
	v_pk_mul_f32 v[8:9], v[8:9], v[14:15]
	;;#ASMEND
	;; [unrolled: 3-line block ×4, first 2 shown]
	s_waitcnt vmcnt(0)
	v_cvt_f32_u32_sdwa v15, v0 dst_sel:DWORD dst_unused:UNUSED_PAD src0_sel:WORD_1
	v_cvt_f32_u32_sdwa v14, v0 dst_sel:DWORD dst_unused:UNUSED_PAD src0_sel:WORD_0
	v_cvt_f32_u32_sdwa v17, v1 dst_sel:DWORD dst_unused:UNUSED_PAD src0_sel:WORD_1
	v_cvt_f32_u32_sdwa v16, v1 dst_sel:DWORD dst_unused:UNUSED_PAD src0_sel:WORD_0
	v_cvt_f32_u32_sdwa v1, v2 dst_sel:DWORD dst_unused:UNUSED_PAD src0_sel:WORD_1
	v_cvt_f32_u32_sdwa v0, v2 dst_sel:DWORD dst_unused:UNUSED_PAD src0_sel:WORD_0
	v_cvt_f32_u32_sdwa v19, v3 dst_sel:DWORD dst_unused:UNUSED_PAD src0_sel:WORD_1
	v_cvt_f32_u32_sdwa v18, v3 dst_sel:DWORD dst_unused:UNUSED_PAD src0_sel:WORD_0
	;;#ASMSTART
	v_pk_mul_f32 v[2:3], v[10:11], v[14:15]
	;;#ASMEND
	s_and_b32 s9, s0, 0xffff
	s_mov_b32 s0, 0x7060302
	;;#ASMSTART
	v_pk_mul_f32 v[8:9], v[8:9], v[16:17]
	;;#ASMEND
	;;#ASMSTART
	v_pk_mul_f32 v[6:7], v[6:7], v[0:1]
	;;#ASMEND
	;; [unrolled: 3-line block ×3, first 2 shown]
	v_perm_b32 v0, v3, v2, s0
	v_perm_b32 v1, v9, v8, s0
	;; [unrolled: 1-line block ×4, first 2 shown]
	buffer_store_dwordx4 v[0:3], v12, s[8:11], 0 offen
	;;#ASMSTART
	s_nop 0
	;;#ASMEND
	s_endpgm
	.section	.rodata,"a",@progbits
	.p2align	6, 0x0
	.amdhsa_kernel _ZN5aiter35fused_qk_rmsnorm_group_quant_kernelItN4opus5fp4_tELi64ELi8ELi8ELb0ELb0ELb0ELb0ELb0ELb0EEEvPT0_PvPT_S7_S7_PKS6_S9_S9_S9_S9_ffiiiiiiiiiiiii
		.amdhsa_group_segment_fixed_size 0
		.amdhsa_private_segment_fixed_size 0
		.amdhsa_kernarg_size 400
		.amdhsa_user_sgpr_count 6
		.amdhsa_user_sgpr_private_segment_buffer 1
		.amdhsa_user_sgpr_dispatch_ptr 0
		.amdhsa_user_sgpr_queue_ptr 0
		.amdhsa_user_sgpr_kernarg_segment_ptr 1
		.amdhsa_user_sgpr_dispatch_id 0
		.amdhsa_user_sgpr_flat_scratch_init 0
		.amdhsa_user_sgpr_kernarg_preload_length 0
		.amdhsa_user_sgpr_kernarg_preload_offset 0
		.amdhsa_user_sgpr_private_segment_size 0
		.amdhsa_uses_dynamic_stack 0
		.amdhsa_system_sgpr_private_segment_wavefront_offset 0
		.amdhsa_system_sgpr_workgroup_id_x 1
		.amdhsa_system_sgpr_workgroup_id_y 1
		.amdhsa_system_sgpr_workgroup_id_z 0
		.amdhsa_system_sgpr_workgroup_info 0
		.amdhsa_system_vgpr_workitem_id 0
		.amdhsa_next_free_vgpr 23
		.amdhsa_next_free_sgpr 32
		.amdhsa_accum_offset 24
		.amdhsa_reserve_vcc 1
		.amdhsa_reserve_flat_scratch 0
		.amdhsa_float_round_mode_32 0
		.amdhsa_float_round_mode_16_64 0
		.amdhsa_float_denorm_mode_32 3
		.amdhsa_float_denorm_mode_16_64 3
		.amdhsa_dx10_clamp 1
		.amdhsa_ieee_mode 1
		.amdhsa_fp16_overflow 0
		.amdhsa_tg_split 0
		.amdhsa_exception_fp_ieee_invalid_op 0
		.amdhsa_exception_fp_denorm_src 0
		.amdhsa_exception_fp_ieee_div_zero 0
		.amdhsa_exception_fp_ieee_overflow 0
		.amdhsa_exception_fp_ieee_underflow 0
		.amdhsa_exception_fp_ieee_inexact 0
		.amdhsa_exception_int_div_zero 0
	.end_amdhsa_kernel
	.section	.text._ZN5aiter35fused_qk_rmsnorm_group_quant_kernelItN4opus5fp4_tELi64ELi8ELi8ELb0ELb0ELb0ELb0ELb0ELb0EEEvPT0_PvPT_S7_S7_PKS6_S9_S9_S9_S9_ffiiiiiiiiiiiii,"axG",@progbits,_ZN5aiter35fused_qk_rmsnorm_group_quant_kernelItN4opus5fp4_tELi64ELi8ELi8ELb0ELb0ELb0ELb0ELb0ELb0EEEvPT0_PvPT_S7_S7_PKS6_S9_S9_S9_S9_ffiiiiiiiiiiiii,comdat
.Lfunc_end192:
	.size	_ZN5aiter35fused_qk_rmsnorm_group_quant_kernelItN4opus5fp4_tELi64ELi8ELi8ELb0ELb0ELb0ELb0ELb0ELb0EEEvPT0_PvPT_S7_S7_PKS6_S9_S9_S9_S9_ffiiiiiiiiiiiii, .Lfunc_end192-_ZN5aiter35fused_qk_rmsnorm_group_quant_kernelItN4opus5fp4_tELi64ELi8ELi8ELb0ELb0ELb0ELb0ELb0ELb0EEEvPT0_PvPT_S7_S7_PKS6_S9_S9_S9_S9_ffiiiiiiiiiiiii
                                        ; -- End function
	.section	.AMDGPU.csdata,"",@progbits
; Kernel info:
; codeLenInByte = 2188
; NumSgprs: 36
; NumVgprs: 23
; NumAgprs: 0
; TotalNumVgprs: 23
; ScratchSize: 0
; MemoryBound: 0
; FloatMode: 240
; IeeeMode: 1
; LDSByteSize: 0 bytes/workgroup (compile time only)
; SGPRBlocks: 4
; VGPRBlocks: 2
; NumSGPRsForWavesPerEU: 36
; NumVGPRsForWavesPerEU: 23
; AccumOffset: 24
; Occupancy: 8
; WaveLimiterHint : 0
; COMPUTE_PGM_RSRC2:SCRATCH_EN: 0
; COMPUTE_PGM_RSRC2:USER_SGPR: 6
; COMPUTE_PGM_RSRC2:TRAP_HANDLER: 0
; COMPUTE_PGM_RSRC2:TGID_X_EN: 1
; COMPUTE_PGM_RSRC2:TGID_Y_EN: 1
; COMPUTE_PGM_RSRC2:TGID_Z_EN: 0
; COMPUTE_PGM_RSRC2:TIDIG_COMP_CNT: 0
; COMPUTE_PGM_RSRC3_GFX90A:ACCUM_OFFSET: 5
; COMPUTE_PGM_RSRC3_GFX90A:TG_SPLIT: 0
	.section	.text._ZN5aiter35fused_qk_rmsnorm_group_quant_kernelIDF16_DB8_Li64ELi8ELi4ELb1ELb1ELb1ELb1ELb0ELb0EEEvPT0_PvPT_S6_S6_PKS5_S8_S8_S8_S8_ffiiiiiiiiiiiii,"axG",@progbits,_ZN5aiter35fused_qk_rmsnorm_group_quant_kernelIDF16_DB8_Li64ELi8ELi4ELb1ELb1ELb1ELb1ELb0ELb0EEEvPT0_PvPT_S6_S6_PKS5_S8_S8_S8_S8_ffiiiiiiiiiiiii,comdat
	.protected	_ZN5aiter35fused_qk_rmsnorm_group_quant_kernelIDF16_DB8_Li64ELi8ELi4ELb1ELb1ELb1ELb1ELb0ELb0EEEvPT0_PvPT_S6_S6_PKS5_S8_S8_S8_S8_ffiiiiiiiiiiiii ; -- Begin function _ZN5aiter35fused_qk_rmsnorm_group_quant_kernelIDF16_DB8_Li64ELi8ELi4ELb1ELb1ELb1ELb1ELb0ELb0EEEvPT0_PvPT_S6_S6_PKS5_S8_S8_S8_S8_ffiiiiiiiiiiiii
	.globl	_ZN5aiter35fused_qk_rmsnorm_group_quant_kernelIDF16_DB8_Li64ELi8ELi4ELb1ELb1ELb1ELb1ELb0ELb0EEEvPT0_PvPT_S6_S6_PKS5_S8_S8_S8_S8_ffiiiiiiiiiiiii
	.p2align	8
	.type	_ZN5aiter35fused_qk_rmsnorm_group_quant_kernelIDF16_DB8_Li64ELi8ELi4ELb1ELb1ELb1ELb1ELb0ELb0EEEvPT0_PvPT_S6_S6_PKS5_S8_S8_S8_S8_ffiiiiiiiiiiiii,@function
_ZN5aiter35fused_qk_rmsnorm_group_quant_kernelIDF16_DB8_Li64ELi8ELi4ELb1ELb1ELb1ELb1ELb0ELb0EEEvPT0_PvPT_S6_S6_PKS5_S8_S8_S8_S8_ffiiiiiiiiiiiii: ; @_ZN5aiter35fused_qk_rmsnorm_group_quant_kernelIDF16_DB8_Li64ELi8ELi4ELb1ELb1ELb1ELb1ELb0ELb0EEEvPT0_PvPT_S6_S6_PKS5_S8_S8_S8_S8_ffiiiiiiiiiiiii
; %bb.0:
	s_load_dwordx8 s[8:15], s[4:5], 0x50
	s_waitcnt lgkmcnt(0)
	s_cmp_ge_i32 s6, s10
	s_cbranch_scc1 .LBB193_15
; %bb.1:
	s_cmp_lg_u32 s7, 0
	s_cselect_b64 s[18:19], -1, 0
	s_cmp_eq_u32 s7, 0
	s_cselect_b64 s[20:21], -1, 0
	s_and_b64 s[0:1], s[20:21], exec
	s_cselect_b32 s7, s11, s12
	s_load_dwordx2 s[2:3], s[4:5], 0x30
	s_load_dwordx2 s[16:17], s[4:5], 0x48
	s_add_i32 s0, s7, 1
	s_lshr_b32 s1, s0, 31
	s_add_i32 s0, s0, s1
	s_lshl_b32 s0, s0, 1
	v_lshlrev_b32_e32 v1, 3, v0
	s_and_b32 s26, s0, -4
	v_cmp_gt_i32_e64 s[0:1], s7, v1
	v_mov_b32_e32 v2, 0
	v_mov_b32_e32 v3, 0
	v_mov_b32_e32 v4, 0
	v_mov_b32_e32 v5, 0
	v_mov_b32_e32 v6, 0
	v_mov_b32_e32 v7, 0
	v_mov_b32_e32 v8, 0
	v_mov_b32_e32 v9, 0
	s_and_saveexec_b64 s[10:11], s[0:1]
	s_cbranch_execz .LBB193_3
; %bb.2:
	s_load_dwordx2 s[22:23], s[4:5], 0x28
	s_load_dwordx2 s[24:25], s[4:5], 0x40
	s_and_b64 s[28:29], s[20:21], exec
	s_cselect_b32 s13, s13, s14
	v_lshlrev_b32_e32 v10, 4, v0
	s_waitcnt lgkmcnt(0)
	s_cselect_b32 s27, s23, s3
	s_cselect_b32 s28, s22, s2
	s_mul_hi_i32 s23, s13, s6
	s_mul_i32 s22, s13, s6
	s_lshl_b64 s[22:23], s[22:23], 1
	s_add_u32 s28, s28, s22
	s_addc_u32 s13, s27, s23
	s_and_b64 s[20:21], s[20:21], exec
	s_mov_b32 s27, 0x20000
	s_cselect_b32 s24, s24, s16
	s_cselect_b32 s20, s25, s17
	s_and_b32 s29, s13, 0xffff
	s_mov_b32 s30, s26
	s_mov_b32 s31, s27
	s_and_b32 s25, s20, 0xffff
	buffer_load_dwordx4 v[6:9], v10, s[28:31], 0 offen glc slc
	buffer_load_dwordx4 v[2:5], v10, s[24:27], 0 offen
.LBB193_3:
	s_or_b64 exec, exec, s[10:11]
	s_load_dwordx4 s[20:23], s[4:5], 0x7c
	s_and_b64 vcc, exec, s[18:19]
	s_cbranch_vccz .LBB193_7
; %bb.4:
	v_mov_b32_e32 v13, 0
	v_mov_b32_e32 v12, 0
	;; [unrolled: 1-line block ×8, first 2 shown]
	s_and_saveexec_b64 s[10:11], s[0:1]
	s_cbranch_execz .LBB193_6
; %bb.5:
	s_waitcnt vmcnt(1)
	v_cvt_f32_f16_sdwa v11, v6 dst_sel:DWORD dst_unused:UNUSED_PAD src0_sel:WORD_1
	v_cvt_f32_f16_e32 v10, v6
	v_cvt_f32_f16_sdwa v17, v7 dst_sel:DWORD dst_unused:UNUSED_PAD src0_sel:WORD_1
	v_cvt_f32_f16_e32 v16, v7
	;; [unrolled: 2-line block ×4, first 2 shown]
.LBB193_6:
	s_or_b64 exec, exec, s[10:11]
	s_mov_b32 s13, s9
	s_cbranch_execz .LBB193_8
	s_branch .LBB193_11
.LBB193_7:
                                        ; implicit-def: $vgpr13
                                        ; implicit-def: $vgpr15
                                        ; implicit-def: $vgpr17
                                        ; implicit-def: $vgpr11
	s_mov_b32 s13, s9
.LBB193_8:
	v_mov_b32_e32 v13, 0
	v_mov_b32_e32 v12, 0
	;; [unrolled: 1-line block ×8, first 2 shown]
	s_and_saveexec_b64 s[10:11], s[0:1]
	s_cbranch_execz .LBB193_10
; %bb.9:
	s_load_dwordx2 s[24:25], s[4:5], 0x38
	s_mul_hi_i32 s29, s15, s6
	s_mul_i32 s28, s15, s6
	s_lshl_b64 s[28:29], s[28:29], 1
	s_mov_b32 s27, 0x20000
	s_waitcnt lgkmcnt(0)
	s_add_u32 s24, s24, s28
	s_addc_u32 s13, s25, s29
	s_and_b32 s25, s13, 0xffff
	v_lshlrev_b32_e32 v24, 4, v0
	buffer_load_dwordx4 v[10:13], v24, s[24:27], 0 offen glc slc
	s_waitcnt vmcnt(2)
	v_cvt_f32_f16_sdwa v15, v6 dst_sel:DWORD dst_unused:UNUSED_PAD src0_sel:WORD_1
	v_cvt_f32_f16_e32 v14, v6
	v_cvt_f32_f16_sdwa v17, v7 dst_sel:DWORD dst_unused:UNUSED_PAD src0_sel:WORD_1
	v_cvt_f32_f16_e32 v16, v7
	;; [unrolled: 2-line block ×4, first 2 shown]
	s_load_dwordx2 s[24:25], s[4:5], 0x20
	s_mul_hi_i32 s23, s22, s6
	s_mul_i32 s22, s22, s6
	s_lshl_b64 s[22:23], s[22:23], 1
	s_waitcnt lgkmcnt(0)
	s_add_u32 s24, s24, s22
	s_addc_u32 s13, s25, s23
	s_and_b32 s25, s13, 0xffff
	s_waitcnt vmcnt(0)
	v_cvt_f32_f16_e32 v8, v10
	v_cvt_f32_f16_sdwa v9, v10 dst_sel:DWORD dst_unused:UNUSED_PAD src0_sel:WORD_1
	v_cvt_f32_f16_e32 v20, v11
	v_cvt_f32_f16_sdwa v21, v11 dst_sel:DWORD dst_unused:UNUSED_PAD src0_sel:WORD_1
	;; [unrolled: 2-line block ×4, first 2 shown]
	v_pk_add_f32 v[10:11], v[14:15], v[8:9]
	v_pk_add_f32 v[16:17], v[16:17], v[20:21]
	;; [unrolled: 1-line block ×4, first 2 shown]
	v_cvt_f16_f32_e32 v6, v11
	v_cvt_f16_f32_e32 v7, v17
	;; [unrolled: 1-line block ×8, first 2 shown]
	v_pack_b32_f16 v9, v18, v9
	v_pack_b32_f16 v8, v19, v8
	;; [unrolled: 1-line block ×4, first 2 shown]
	buffer_store_dwordx4 v[6:9], v24, s[24:27], 0 offen glc slc
	;;#ASMSTART
	s_nop 0
	;;#ASMEND
.LBB193_10:
	s_or_b64 exec, exec, s[10:11]
	s_mov_b32 s13, s8
.LBB193_11:
	s_waitcnt vmcnt(1)
	v_mul_f32_e32 v6, v11, v11
	v_fmac_f32_e32 v6, v10, v10
	v_fmac_f32_e32 v6, v16, v16
	v_fmac_f32_e32 v6, v17, v17
	v_fmac_f32_e32 v6, v14, v14
	v_fmac_f32_e32 v6, v15, v15
	v_fmac_f32_e32 v6, v12, v12
	v_fmac_f32_e32 v6, v13, v13
	v_bfrev_b32_e32 v8, 0.5
	s_load_dwordx2 s[10:11], s[4:5], 0x18
	v_mov_b32_dpp v7, v6 quad_perm:[1,0,3,2] row_mask:0xf bank_mask:0xf
	v_add_f32_e32 v6, v6, v7
	s_nop 1
	v_mov_b32_dpp v7, v6 quad_perm:[2,3,0,1] row_mask:0xf bank_mask:0xf
	v_add_f32_e32 v6, v6, v7
	s_nop 1
	v_mov_b32_dpp v7, v6 row_half_mirror row_mask:0xf bank_mask:0xf
	v_add_f32_e32 v6, v6, v7
	s_nop 1
	v_mov_b32_dpp v7, v6 row_mirror row_mask:0xf bank_mask:0xf
	v_add_f32_e32 v6, v6, v7
	s_nop 1
	v_mov_b32_dpp v7, v6 row_bcast:15 row_mask:0xf bank_mask:0xf
	v_add_f32_e32 v6, v6, v7
	s_nop 1
	v_mov_b32_dpp v7, v6 row_bcast:31 row_mask:0xf bank_mask:0xf
	v_add_f32_e32 v6, v6, v7
	v_mbcnt_lo_u32_b32 v7, -1, 0
	v_mbcnt_hi_u32_b32 v7, -1, v7
	v_lshl_or_b32 v18, v7, 2, v8
	ds_bpermute_b32 v6, v18, v6
	s_waitcnt lgkmcnt(0)
	s_and_saveexec_b64 s[22:23], s[0:1]
	s_cbranch_execnz .LBB193_16
; %bb.12:
	s_or_b64 exec, exec, s[22:23]
	s_mov_b64 s[22:23], -1
	s_and_b64 vcc, exec, s[18:19]
	s_cbranch_vccnz .LBB193_17
.LBB193_13:
	s_andn2_b64 vcc, exec, s[22:23]
	s_cbranch_vccz .LBB193_20
.LBB193_14:
	s_cmp_lt_i32 s12, 1
	s_cbranch_scc0 .LBB193_23
.LBB193_15:
	s_endpgm
.LBB193_16:
	v_cvt_f32_u32_e32 v7, s7
	s_mov_b32 s7, 0x800000
	v_div_scale_f32 v8, s[24:25], v7, v7, v6
	v_rcp_f32_e32 v9, v8
	v_div_scale_f32 v19, vcc, v6, v7, v6
	v_fma_f32 v20, -v8, v9, 1.0
	v_fmac_f32_e32 v9, v20, v9
	v_mul_f32_e32 v20, v19, v9
	v_fma_f32 v21, -v8, v20, v19
	v_fmac_f32_e32 v20, v21, v9
	v_fma_f32 v8, -v8, v20, v19
	v_div_fmas_f32 v8, v8, v9, v20
	v_div_fixup_f32 v6, v8, v7, v6
	v_add_f32_e32 v6, s13, v6
	v_mul_f32_e32 v7, 0x4b800000, v6
	v_cmp_gt_f32_e32 vcc, s7, v6
	v_cndmask_b32_e32 v6, v6, v7, vcc
	v_rsq_f32_e32 v6, v6
	s_waitcnt vmcnt(0)
	v_cvt_f32_f16_sdwa v7, v2 dst_sel:DWORD dst_unused:UNUSED_PAD src0_sel:WORD_1
	v_cvt_f32_f16_sdwa v21, v3 dst_sel:DWORD dst_unused:UNUSED_PAD src0_sel:WORD_1
	v_cvt_f32_f16_e32 v20, v3
	v_mul_f32_e32 v8, 0x45800000, v6
	v_cndmask_b32_e32 v8, v6, v8, vcc
	v_mov_b32_e32 v9, v8
	;;#ASMSTART
	v_pk_mul_f32 v[10:11], v[10:11], v[8:9]
	;;#ASMEND
	;;#ASMSTART
	v_pk_mul_f32 v[16:17], v[16:17], v[8:9]
	;;#ASMEND
	;; [unrolled: 3-line block ×3, first 2 shown]
	v_cvt_f32_f16_e32 v6, v2
	;;#ASMSTART
	v_pk_mul_f32 v[2:3], v[12:13], v[8:9]
	;;#ASMEND
	v_cvt_f32_f16_sdwa v9, v4 dst_sel:DWORD dst_unused:UNUSED_PAD src0_sel:WORD_1
	v_cvt_f32_f16_e32 v8, v4
	v_cvt_f32_f16_sdwa v13, v5 dst_sel:DWORD dst_unused:UNUSED_PAD src0_sel:WORD_1
	v_cvt_f32_f16_e32 v12, v5
	v_pk_add_f32 v[6:7], v[6:7], 1.0 op_sel_hi:[1,0]
	v_pk_add_f32 v[4:5], v[8:9], 1.0 op_sel_hi:[1,0]
	;;#ASMSTART
	v_pk_mul_f32 v[10:11], v[10:11], v[6:7]
	;;#ASMEND
	v_pk_add_f32 v[6:7], v[20:21], 1.0 op_sel_hi:[1,0]
	;;#ASMSTART
	v_pk_mul_f32 v[16:17], v[16:17], v[6:7]
	;;#ASMEND
	;;#ASMSTART
	v_pk_mul_f32 v[14:15], v[14:15], v[4:5]
	;;#ASMEND
	v_pk_add_f32 v[4:5], v[12:13], 1.0 op_sel_hi:[1,0]
	;;#ASMSTART
	v_pk_mul_f32 v[12:13], v[2:3], v[4:5]
	;;#ASMEND
	s_or_b64 exec, exec, s[22:23]
	s_mov_b64 s[22:23], -1
	s_and_b64 vcc, exec, s[18:19]
	s_cbranch_vccz .LBB193_13
.LBB193_17:
	s_and_saveexec_b64 s[18:19], s[0:1]
	s_cbranch_execz .LBB193_19
; %bb.18:
	s_mul_hi_i32 s23, s21, s6
	s_mul_i32 s22, s21, s6
	s_waitcnt vmcnt(0)
	v_cvt_f16_f32_e32 v2, v10
	v_cvt_f16_f32_e32 v3, v16
	;; [unrolled: 1-line block ×8, first 2 shown]
	s_lshl_b64 s[22:23], s[22:23], 1
	s_add_u32 s24, s10, s22
	s_addc_u32 s7, s11, s23
	s_and_b32 s25, s7, 0xffff
	s_mov_b32 s27, 0x20000
	v_pack_b32_f16 v5, v5, v6
	v_pack_b32_f16 v4, v4, v7
	;; [unrolled: 1-line block ×4, first 2 shown]
	v_lshlrev_b32_e32 v6, 4, v0
	buffer_store_dwordx4 v[2:5], v6, s[24:27], 0 offen
	;;#ASMSTART
	s_nop 0
	;;#ASMEND
.LBB193_19:
	s_or_b64 exec, exec, s[18:19]
	s_cbranch_execnz .LBB193_14
.LBB193_20:
	s_and_saveexec_b64 s[18:19], s[0:1]
	s_cbranch_execz .LBB193_22
; %bb.21:
	s_load_dwordx2 s[0:1], s[4:5], 0x10
	s_mul_hi_i32 s23, s20, s6
	s_mul_i32 s22, s20, s6
	s_waitcnt vmcnt(0)
	v_cvt_f16_f32_e32 v2, v10
	v_cvt_f16_f32_e32 v3, v16
	;; [unrolled: 1-line block ×8, first 2 shown]
	s_lshl_b64 s[22:23], s[22:23], 1
	s_waitcnt lgkmcnt(0)
	s_add_u32 s24, s0, s22
	s_addc_u32 s0, s1, s23
	s_mov_b32 s27, 0x20000
	s_and_b32 s25, s0, 0xffff
	v_pack_b32_f16 v5, v5, v6
	v_pack_b32_f16 v4, v4, v7
	;; [unrolled: 1-line block ×4, first 2 shown]
	v_lshlrev_b32_e32 v6, 4, v0
	buffer_store_dwordx4 v[2:5], v6, s[24:27], 0 offen
	;;#ASMSTART
	s_nop 0
	;;#ASMEND
.LBB193_22:
	s_or_b64 exec, exec, s[18:19]
	s_cmp_lt_i32 s12, 1
	s_cbranch_scc1 .LBB193_15
.LBB193_23:
	s_load_dword s0, s[4:5], 0x94
	s_waitcnt lgkmcnt(0)
	s_cmp_lg_u32 s0, 1
	s_cbranch_scc1 .LBB193_15
; %bb.24:
	s_lshl_b32 s0, s12, 1
	s_add_i32 s0, s0, 2
	v_cmp_gt_u32_e32 vcc, s12, v1
	s_and_b32 s18, s0, -4
	v_mov_b32_e32 v8, 0
	v_lshlrev_b32_e32 v16, 4, v0
	s_waitcnt vmcnt(0)
	v_mov_b32_e32 v4, 0
	v_mov_b32_e32 v5, 0
	;; [unrolled: 1-line block ×8, first 2 shown]
	s_barrier
	s_and_saveexec_b64 s[0:1], vcc
	s_cbranch_execz .LBB193_26
; %bb.25:
	s_mul_hi_i32 s5, s14, s6
	s_mul_i32 s4, s14, s6
	s_and_b32 s17, s17, 0xffff
	s_lshl_b64 s[4:5], s[4:5], 1
	s_add_u32 s24, s2, s4
	s_mov_b32 s19, 0x20000
	s_addc_u32 s2, s3, s5
	s_and_b32 s25, s2, 0xffff
	s_mov_b32 s26, s18
	s_mov_b32 s27, s19
	buffer_load_dwordx4 v[4:7], v16, s[24:27], 0 offen glc slc
	buffer_load_dwordx4 v[0:3], v16, s[16:19], 0 offen
.LBB193_26:
	s_or_b64 exec, exec, s[0:1]
	v_mov_b32_e32 v9, 0
	v_mov_b32_e32 v12, 0
	;; [unrolled: 1-line block ×7, first 2 shown]
	s_and_saveexec_b64 s[0:1], vcc
	s_cbranch_execz .LBB193_28
; %bb.27:
	s_waitcnt vmcnt(1)
	v_cvt_f32_f16_sdwa v9, v4 dst_sel:DWORD dst_unused:UNUSED_PAD src0_sel:WORD_1
	v_cvt_f32_f16_e32 v8, v4
	v_cvt_f32_f16_sdwa v13, v5 dst_sel:DWORD dst_unused:UNUSED_PAD src0_sel:WORD_1
	v_cvt_f32_f16_e32 v12, v5
	;; [unrolled: 2-line block ×4, first 2 shown]
.LBB193_28:
	s_or_b64 exec, exec, s[0:1]
	s_waitcnt vmcnt(1)
	v_mul_f32_e32 v4, v9, v9
	v_fmac_f32_e32 v4, v8, v8
	v_fmac_f32_e32 v4, v12, v12
	;; [unrolled: 1-line block ×7, first 2 shown]
	s_nop 1
	v_mov_b32_dpp v5, v4 quad_perm:[1,0,3,2] row_mask:0xf bank_mask:0xf
	v_add_f32_e32 v4, v4, v5
	s_nop 1
	v_mov_b32_dpp v5, v4 quad_perm:[2,3,0,1] row_mask:0xf bank_mask:0xf
	v_add_f32_e32 v4, v4, v5
	s_nop 1
	v_mov_b32_dpp v5, v4 row_half_mirror row_mask:0xf bank_mask:0xf
	v_add_f32_e32 v4, v4, v5
	s_nop 1
	v_mov_b32_dpp v5, v4 row_mirror row_mask:0xf bank_mask:0xf
	v_add_f32_e32 v4, v4, v5
	s_nop 1
	v_mov_b32_dpp v5, v4 row_bcast:15 row_mask:0xf bank_mask:0xf
	v_add_f32_e32 v4, v4, v5
	s_nop 1
	v_mov_b32_dpp v5, v4 row_bcast:31 row_mask:0xf bank_mask:0xf
	v_add_f32_e32 v4, v4, v5
	ds_bpermute_b32 v4, v18, v4
	s_and_saveexec_b64 s[0:1], vcc
	s_cbranch_execz .LBB193_15
; %bb.29:
	v_cvt_f32_u32_e32 v5, s12
	s_mov_b32 s19, 0x20000
	s_waitcnt lgkmcnt(0)
	v_div_scale_f32 v6, s[0:1], v5, v5, v4
	v_rcp_f32_e32 v7, v6
	v_div_scale_f32 v17, vcc, v4, v5, v4
	s_mov_b32 s0, 0x800000
	v_fma_f32 v18, -v6, v7, 1.0
	v_fmac_f32_e32 v7, v18, v7
	v_mul_f32_e32 v18, v17, v7
	v_fma_f32 v19, -v6, v18, v17
	v_fmac_f32_e32 v18, v19, v7
	v_fma_f32 v6, -v6, v18, v17
	v_div_fmas_f32 v6, v6, v7, v18
	v_div_fixup_f32 v4, v6, v5, v4
	v_add_f32_e32 v4, s9, v4
	v_mul_f32_e32 v5, 0x4b800000, v4
	v_cmp_gt_f32_e32 vcc, s0, v4
	v_cndmask_b32_e32 v4, v4, v5, vcc
	v_rsq_f32_e32 v4, v4
	s_waitcnt vmcnt(0)
	v_cvt_f32_f16_sdwa v5, v0 dst_sel:DWORD dst_unused:UNUSED_PAD src0_sel:WORD_1
	v_cvt_f32_f16_sdwa v19, v1 dst_sel:DWORD dst_unused:UNUSED_PAD src0_sel:WORD_1
	v_cvt_f32_f16_e32 v18, v1
	v_mul_f32_e32 v6, 0x45800000, v4
	v_cndmask_b32_e32 v6, v4, v6, vcc
	v_cvt_f32_f16_e32 v4, v0
	v_mov_b32_e32 v7, v6
	;;#ASMSTART
	v_pk_mul_f32 v[8:9], v[8:9], v[6:7]
	;;#ASMEND
	;;#ASMSTART
	v_pk_mul_f32 v[12:13], v[12:13], v[6:7]
	;;#ASMEND
	v_pk_add_f32 v[4:5], v[4:5], 1.0 op_sel_hi:[1,0]
	;;#ASMSTART
	v_pk_mul_f32 v[14:15], v[14:15], v[6:7]
	;;#ASMEND
	;;#ASMSTART
	v_pk_mul_f32 v[0:1], v[10:11], v[6:7]
	;;#ASMEND
	;; [unrolled: 3-line block ×3, first 2 shown]
	v_cvt_f32_f16_sdwa v9, v2 dst_sel:DWORD dst_unused:UNUSED_PAD src0_sel:WORD_1
	v_cvt_f32_f16_e32 v8, v2
	v_cvt_f32_f16_sdwa v11, v3 dst_sel:DWORD dst_unused:UNUSED_PAD src0_sel:WORD_1
	v_cvt_f32_f16_e32 v10, v3
	v_pk_add_f32 v[6:7], v[18:19], 1.0 op_sel_hi:[1,0]
	;;#ASMSTART
	v_pk_mul_f32 v[2:3], v[12:13], v[6:7]
	;;#ASMEND
	v_pk_add_f32 v[6:7], v[8:9], 1.0 op_sel_hi:[1,0]
	;;#ASMSTART
	v_pk_mul_f32 v[6:7], v[14:15], v[6:7]
	;;#ASMEND
	;; [unrolled: 4-line block ×3, first 2 shown]
	s_mul_hi_i32 s1, s21, s6
	s_mul_i32 s0, s21, s6
	v_cvt_f16_f32_e32 v4, v4
	v_cvt_f16_f32_e32 v5, v5
	;; [unrolled: 1-line block ×8, first 2 shown]
	s_lshl_b64 s[0:1], s[0:1], 1
	s_add_u32 s16, s10, s0
	s_addc_u32 s0, s11, s1
	s_and_b32 s17, s0, 0xffff
	v_pack_b32_f16 v0, v4, v5
	v_pack_b32_f16 v1, v2, v3
	;; [unrolled: 1-line block ×4, first 2 shown]
	buffer_store_dwordx4 v[0:3], v16, s[16:19], 0 offen
	;;#ASMSTART
	s_nop 0
	;;#ASMEND
	s_endpgm
	.section	.rodata,"a",@progbits
	.p2align	6, 0x0
	.amdhsa_kernel _ZN5aiter35fused_qk_rmsnorm_group_quant_kernelIDF16_DB8_Li64ELi8ELi4ELb1ELb1ELb1ELb1ELb0ELb0EEEvPT0_PvPT_S6_S6_PKS5_S8_S8_S8_S8_ffiiiiiiiiiiiii
		.amdhsa_group_segment_fixed_size 0
		.amdhsa_private_segment_fixed_size 0
		.amdhsa_kernarg_size 400
		.amdhsa_user_sgpr_count 6
		.amdhsa_user_sgpr_private_segment_buffer 1
		.amdhsa_user_sgpr_dispatch_ptr 0
		.amdhsa_user_sgpr_queue_ptr 0
		.amdhsa_user_sgpr_kernarg_segment_ptr 1
		.amdhsa_user_sgpr_dispatch_id 0
		.amdhsa_user_sgpr_flat_scratch_init 0
		.amdhsa_user_sgpr_kernarg_preload_length 0
		.amdhsa_user_sgpr_kernarg_preload_offset 0
		.amdhsa_user_sgpr_private_segment_size 0
		.amdhsa_uses_dynamic_stack 0
		.amdhsa_system_sgpr_private_segment_wavefront_offset 0
		.amdhsa_system_sgpr_workgroup_id_x 1
		.amdhsa_system_sgpr_workgroup_id_y 1
		.amdhsa_system_sgpr_workgroup_id_z 0
		.amdhsa_system_sgpr_workgroup_info 0
		.amdhsa_system_vgpr_workitem_id 0
		.amdhsa_next_free_vgpr 25
		.amdhsa_next_free_sgpr 32
		.amdhsa_accum_offset 28
		.amdhsa_reserve_vcc 1
		.amdhsa_reserve_flat_scratch 0
		.amdhsa_float_round_mode_32 0
		.amdhsa_float_round_mode_16_64 0
		.amdhsa_float_denorm_mode_32 3
		.amdhsa_float_denorm_mode_16_64 3
		.amdhsa_dx10_clamp 1
		.amdhsa_ieee_mode 1
		.amdhsa_fp16_overflow 0
		.amdhsa_tg_split 0
		.amdhsa_exception_fp_ieee_invalid_op 0
		.amdhsa_exception_fp_denorm_src 0
		.amdhsa_exception_fp_ieee_div_zero 0
		.amdhsa_exception_fp_ieee_overflow 0
		.amdhsa_exception_fp_ieee_underflow 0
		.amdhsa_exception_fp_ieee_inexact 0
		.amdhsa_exception_int_div_zero 0
	.end_amdhsa_kernel
	.section	.text._ZN5aiter35fused_qk_rmsnorm_group_quant_kernelIDF16_DB8_Li64ELi8ELi4ELb1ELb1ELb1ELb1ELb0ELb0EEEvPT0_PvPT_S6_S6_PKS5_S8_S8_S8_S8_ffiiiiiiiiiiiii,"axG",@progbits,_ZN5aiter35fused_qk_rmsnorm_group_quant_kernelIDF16_DB8_Li64ELi8ELi4ELb1ELb1ELb1ELb1ELb0ELb0EEEvPT0_PvPT_S6_S6_PKS5_S8_S8_S8_S8_ffiiiiiiiiiiiii,comdat
.Lfunc_end193:
	.size	_ZN5aiter35fused_qk_rmsnorm_group_quant_kernelIDF16_DB8_Li64ELi8ELi4ELb1ELb1ELb1ELb1ELb0ELb0EEEvPT0_PvPT_S6_S6_PKS5_S8_S8_S8_S8_ffiiiiiiiiiiiii, .Lfunc_end193-_ZN5aiter35fused_qk_rmsnorm_group_quant_kernelIDF16_DB8_Li64ELi8ELi4ELb1ELb1ELb1ELb1ELb0ELb0EEEvPT0_PvPT_S6_S6_PKS5_S8_S8_S8_S8_ffiiiiiiiiiiiii
                                        ; -- End function
	.section	.AMDGPU.csdata,"",@progbits
; Kernel info:
; codeLenInByte = 2352
; NumSgprs: 36
; NumVgprs: 25
; NumAgprs: 0
; TotalNumVgprs: 25
; ScratchSize: 0
; MemoryBound: 0
; FloatMode: 240
; IeeeMode: 1
; LDSByteSize: 0 bytes/workgroup (compile time only)
; SGPRBlocks: 4
; VGPRBlocks: 3
; NumSGPRsForWavesPerEU: 36
; NumVGPRsForWavesPerEU: 25
; AccumOffset: 28
; Occupancy: 8
; WaveLimiterHint : 0
; COMPUTE_PGM_RSRC2:SCRATCH_EN: 0
; COMPUTE_PGM_RSRC2:USER_SGPR: 6
; COMPUTE_PGM_RSRC2:TRAP_HANDLER: 0
; COMPUTE_PGM_RSRC2:TGID_X_EN: 1
; COMPUTE_PGM_RSRC2:TGID_Y_EN: 1
; COMPUTE_PGM_RSRC2:TGID_Z_EN: 0
; COMPUTE_PGM_RSRC2:TIDIG_COMP_CNT: 0
; COMPUTE_PGM_RSRC3_GFX90A:ACCUM_OFFSET: 6
; COMPUTE_PGM_RSRC3_GFX90A:TG_SPLIT: 0
	.section	.text._ZN5aiter35fused_qk_rmsnorm_group_quant_kernelItDB8_Li64ELi8ELi4ELb1ELb1ELb1ELb1ELb0ELb0EEEvPT0_PvPT_S6_S6_PKS5_S8_S8_S8_S8_ffiiiiiiiiiiiii,"axG",@progbits,_ZN5aiter35fused_qk_rmsnorm_group_quant_kernelItDB8_Li64ELi8ELi4ELb1ELb1ELb1ELb1ELb0ELb0EEEvPT0_PvPT_S6_S6_PKS5_S8_S8_S8_S8_ffiiiiiiiiiiiii,comdat
	.protected	_ZN5aiter35fused_qk_rmsnorm_group_quant_kernelItDB8_Li64ELi8ELi4ELb1ELb1ELb1ELb1ELb0ELb0EEEvPT0_PvPT_S6_S6_PKS5_S8_S8_S8_S8_ffiiiiiiiiiiiii ; -- Begin function _ZN5aiter35fused_qk_rmsnorm_group_quant_kernelItDB8_Li64ELi8ELi4ELb1ELb1ELb1ELb1ELb0ELb0EEEvPT0_PvPT_S6_S6_PKS5_S8_S8_S8_S8_ffiiiiiiiiiiiii
	.globl	_ZN5aiter35fused_qk_rmsnorm_group_quant_kernelItDB8_Li64ELi8ELi4ELb1ELb1ELb1ELb1ELb0ELb0EEEvPT0_PvPT_S6_S6_PKS5_S8_S8_S8_S8_ffiiiiiiiiiiiii
	.p2align	8
	.type	_ZN5aiter35fused_qk_rmsnorm_group_quant_kernelItDB8_Li64ELi8ELi4ELb1ELb1ELb1ELb1ELb0ELb0EEEvPT0_PvPT_S6_S6_PKS5_S8_S8_S8_S8_ffiiiiiiiiiiiii,@function
_ZN5aiter35fused_qk_rmsnorm_group_quant_kernelItDB8_Li64ELi8ELi4ELb1ELb1ELb1ELb1ELb0ELb0EEEvPT0_PvPT_S6_S6_PKS5_S8_S8_S8_S8_ffiiiiiiiiiiiii: ; @_ZN5aiter35fused_qk_rmsnorm_group_quant_kernelItDB8_Li64ELi8ELi4ELb1ELb1ELb1ELb1ELb0ELb0EEEvPT0_PvPT_S6_S6_PKS5_S8_S8_S8_S8_ffiiiiiiiiiiiii
; %bb.0:
	s_load_dwordx8 s[8:15], s[4:5], 0x50
	s_waitcnt lgkmcnt(0)
	s_cmp_ge_i32 s6, s10
	s_cbranch_scc1 .LBB194_15
; %bb.1:
	s_cmp_lg_u32 s7, 0
	s_cselect_b64 s[18:19], -1, 0
	s_cmp_eq_u32 s7, 0
	s_cselect_b64 s[20:21], -1, 0
	s_and_b64 s[0:1], s[20:21], exec
	s_cselect_b32 s7, s11, s12
	s_load_dwordx2 s[2:3], s[4:5], 0x30
	s_load_dwordx2 s[16:17], s[4:5], 0x48
	s_add_i32 s0, s7, 1
	s_lshr_b32 s1, s0, 31
	s_add_i32 s0, s0, s1
	s_lshl_b32 s0, s0, 1
	v_lshlrev_b32_e32 v1, 3, v0
	s_and_b32 s26, s0, -4
	v_cmp_gt_i32_e64 s[0:1], s7, v1
	v_mov_b32_e32 v10, 0
	v_mov_b32_e32 v11, 0
	;; [unrolled: 1-line block ×8, first 2 shown]
	s_and_saveexec_b64 s[10:11], s[0:1]
	s_cbranch_execz .LBB194_3
; %bb.2:
	s_load_dwordx2 s[22:23], s[4:5], 0x28
	s_load_dwordx2 s[24:25], s[4:5], 0x40
	s_and_b64 s[28:29], s[20:21], exec
	s_cselect_b32 s13, s13, s14
	v_lshlrev_b32_e32 v2, 4, v0
	s_waitcnt lgkmcnt(0)
	s_cselect_b32 s27, s23, s3
	s_cselect_b32 s28, s22, s2
	s_mul_hi_i32 s23, s13, s6
	s_mul_i32 s22, s13, s6
	s_lshl_b64 s[22:23], s[22:23], 1
	s_add_u32 s28, s28, s22
	s_addc_u32 s13, s27, s23
	s_and_b64 s[20:21], s[20:21], exec
	s_mov_b32 s27, 0x20000
	s_cselect_b32 s24, s24, s16
	s_cselect_b32 s20, s25, s17
	s_and_b32 s29, s13, 0xffff
	s_mov_b32 s30, s26
	s_mov_b32 s31, s27
	s_and_b32 s25, s20, 0xffff
	buffer_load_dwordx4 v[14:17], v2, s[28:31], 0 offen glc slc
	buffer_load_dwordx4 v[10:13], v2, s[24:27], 0 offen
.LBB194_3:
	s_or_b64 exec, exec, s[10:11]
	s_load_dwordx4 s[20:23], s[4:5], 0x7c
	s_and_b64 vcc, exec, s[18:19]
	s_cbranch_vccz .LBB194_7
; %bb.4:
	s_mov_b32 s36, 0
	s_mov_b32 s37, s36
	;; [unrolled: 1-line block ×8, first 2 shown]
	v_pk_mov_b32 v[2:3], s[36:37], s[36:37] op_sel:[0,1]
	v_pk_mov_b32 v[4:5], s[38:39], s[38:39] op_sel:[0,1]
	;; [unrolled: 1-line block ×4, first 2 shown]
	s_and_saveexec_b64 s[10:11], s[0:1]
	s_cbranch_execz .LBB194_6
; %bb.5:
	s_waitcnt vmcnt(1)
	v_cvt_f32_u32_sdwa v3, v14 dst_sel:DWORD dst_unused:UNUSED_PAD src0_sel:WORD_1
	v_cvt_f32_u32_sdwa v2, v14 dst_sel:DWORD dst_unused:UNUSED_PAD src0_sel:WORD_0
	v_cvt_f32_u32_sdwa v5, v15 dst_sel:DWORD dst_unused:UNUSED_PAD src0_sel:WORD_1
	v_cvt_f32_u32_sdwa v4, v15 dst_sel:DWORD dst_unused:UNUSED_PAD src0_sel:WORD_0
	;; [unrolled: 2-line block ×4, first 2 shown]
.LBB194_6:
	s_or_b64 exec, exec, s[10:11]
	s_mov_b32 s13, s9
	s_cbranch_execz .LBB194_8
	s_branch .LBB194_11
.LBB194_7:
                                        ; implicit-def: $vgpr2_vgpr3_vgpr4_vgpr5_vgpr6_vgpr7_vgpr8_vgpr9
	s_mov_b32 s13, s9
.LBB194_8:
	s_mov_b32 s36, 0
	s_mov_b32 s37, s36
	;; [unrolled: 1-line block ×8, first 2 shown]
	v_pk_mov_b32 v[2:3], s[36:37], s[36:37] op_sel:[0,1]
	v_pk_mov_b32 v[4:5], s[38:39], s[38:39] op_sel:[0,1]
	;; [unrolled: 1-line block ×4, first 2 shown]
	s_and_saveexec_b64 s[10:11], s[0:1]
	s_cbranch_execz .LBB194_10
; %bb.9:
	s_load_dwordx2 s[24:25], s[4:5], 0x38
	s_mul_hi_i32 s29, s15, s6
	s_mul_i32 s28, s15, s6
	s_lshl_b64 s[28:29], s[28:29], 1
	s_mov_b32 s27, 0x20000
	s_waitcnt lgkmcnt(0)
	s_add_u32 s24, s24, s28
	s_addc_u32 s13, s25, s29
	s_and_b32 s25, s13, 0xffff
	v_lshlrev_b32_e32 v26, 4, v0
	buffer_load_dwordx4 v[2:5], v26, s[24:27], 0 offen glc slc
	s_load_dwordx2 s[24:25], s[4:5], 0x20
	s_waitcnt vmcnt(2)
	v_cvt_f32_u32_sdwa v7, v14 dst_sel:DWORD dst_unused:UNUSED_PAD src0_sel:WORD_1
	v_cvt_f32_u32_sdwa v6, v14 dst_sel:DWORD dst_unused:UNUSED_PAD src0_sel:WORD_0
	v_cvt_f32_u32_sdwa v9, v15 dst_sel:DWORD dst_unused:UNUSED_PAD src0_sel:WORD_1
	v_cvt_f32_u32_sdwa v8, v15 dst_sel:DWORD dst_unused:UNUSED_PAD src0_sel:WORD_0
	;; [unrolled: 2-line block ×4, first 2 shown]
	s_mul_hi_i32 s23, s22, s6
	s_mul_i32 s22, s22, s6
	s_lshl_b64 s[22:23], s[22:23], 1
	s_waitcnt lgkmcnt(0)
	s_add_u32 s24, s24, s22
	s_mov_b32 s13, 0x7060302
	s_addc_u32 s15, s25, s23
	s_and_b32 s25, s15, 0xffff
	s_waitcnt vmcnt(0)
	v_cvt_f32_u32_sdwa v17, v2 dst_sel:DWORD dst_unused:UNUSED_PAD src0_sel:WORD_1
	v_cvt_f32_u32_sdwa v16, v2 dst_sel:DWORD dst_unused:UNUSED_PAD src0_sel:WORD_0
	v_cvt_f32_u32_sdwa v21, v3 dst_sel:DWORD dst_unused:UNUSED_PAD src0_sel:WORD_1
	v_cvt_f32_u32_sdwa v20, v3 dst_sel:DWORD dst_unused:UNUSED_PAD src0_sel:WORD_0
	;; [unrolled: 2-line block ×4, first 2 shown]
	v_pk_add_f32 v[2:3], v[6:7], v[16:17]
	v_pk_add_f32 v[4:5], v[8:9], v[20:21]
	;; [unrolled: 1-line block ×4, first 2 shown]
	v_perm_b32 v17, v9, v8, s13
	v_perm_b32 v16, v7, v6, s13
	;; [unrolled: 1-line block ×4, first 2 shown]
	buffer_store_dwordx4 v[14:17], v26, s[24:27], 0 offen glc slc
	;;#ASMSTART
	s_nop 0
	;;#ASMEND
.LBB194_10:
	s_or_b64 exec, exec, s[10:11]
	s_mov_b32 s13, s8
.LBB194_11:
	s_waitcnt vmcnt(1)
	v_mul_f32_e32 v14, v3, v3
	v_fmac_f32_e32 v14, v2, v2
	v_fmac_f32_e32 v14, v4, v4
	;; [unrolled: 1-line block ×7, first 2 shown]
	v_bfrev_b32_e32 v16, 0.5
	s_load_dwordx2 s[10:11], s[4:5], 0x18
	v_mov_b32_dpp v15, v14 quad_perm:[1,0,3,2] row_mask:0xf bank_mask:0xf
	v_add_f32_e32 v14, v14, v15
	s_nop 1
	v_mov_b32_dpp v15, v14 quad_perm:[2,3,0,1] row_mask:0xf bank_mask:0xf
	v_add_f32_e32 v14, v14, v15
	s_nop 1
	v_mov_b32_dpp v15, v14 row_half_mirror row_mask:0xf bank_mask:0xf
	v_add_f32_e32 v14, v14, v15
	s_nop 1
	v_mov_b32_dpp v15, v14 row_mirror row_mask:0xf bank_mask:0xf
	v_add_f32_e32 v14, v14, v15
	s_nop 1
	v_mov_b32_dpp v15, v14 row_bcast:15 row_mask:0xf bank_mask:0xf
	v_add_f32_e32 v14, v14, v15
	s_nop 1
	v_mov_b32_dpp v15, v14 row_bcast:31 row_mask:0xf bank_mask:0xf
	v_add_f32_e32 v15, v14, v15
	v_mbcnt_lo_u32_b32 v14, -1, 0
	v_mbcnt_hi_u32_b32 v14, -1, v14
	v_lshl_or_b32 v14, v14, 2, v16
	ds_bpermute_b32 v15, v14, v15
	s_waitcnt lgkmcnt(0)
	s_and_saveexec_b64 s[22:23], s[0:1]
	s_cbranch_execnz .LBB194_16
; %bb.12:
	s_or_b64 exec, exec, s[22:23]
	s_mov_b64 s[22:23], -1
	s_and_b64 vcc, exec, s[18:19]
	s_cbranch_vccnz .LBB194_17
.LBB194_13:
	s_andn2_b64 vcc, exec, s[22:23]
	s_cbranch_vccz .LBB194_20
.LBB194_14:
	s_cmp_lt_i32 s12, 1
	s_cbranch_scc0 .LBB194_23
.LBB194_15:
	s_endpgm
.LBB194_16:
	v_cvt_f32_u32_e32 v16, s7
	s_mov_b32 s7, 0x800000
	v_div_scale_f32 v17, s[24:25], v16, v16, v15
	v_rcp_f32_e32 v18, v17
	v_div_scale_f32 v19, vcc, v15, v16, v15
	v_fma_f32 v20, -v17, v18, 1.0
	v_fmac_f32_e32 v18, v20, v18
	v_mul_f32_e32 v20, v19, v18
	v_fma_f32 v21, -v17, v20, v19
	v_fmac_f32_e32 v20, v21, v18
	v_fma_f32 v17, -v17, v20, v19
	v_div_fmas_f32 v17, v17, v18, v20
	v_div_fixup_f32 v15, v17, v16, v15
	v_add_f32_e32 v15, s13, v15
	v_mul_f32_e32 v16, 0x4b800000, v15
	v_cmp_gt_f32_e32 vcc, s7, v15
	v_cndmask_b32_e32 v15, v15, v16, vcc
	v_rsq_f32_e32 v15, v15
	s_waitcnt vmcnt(0)
	v_cvt_f32_u32_sdwa v17, v10 dst_sel:DWORD dst_unused:UNUSED_PAD src0_sel:WORD_1
	v_cvt_f32_u32_sdwa v21, v11 dst_sel:DWORD dst_unused:UNUSED_PAD src0_sel:WORD_1
	v_cvt_f32_u32_sdwa v20, v11 dst_sel:DWORD dst_unused:UNUSED_PAD src0_sel:WORD_0
	v_mul_f32_e32 v16, 0x45800000, v15
	v_cndmask_b32_e32 v18, v15, v16, vcc
	v_cvt_f32_u32_sdwa v16, v10 dst_sel:DWORD dst_unused:UNUSED_PAD src0_sel:WORD_0
	v_mov_b32_e32 v19, v18
	;;#ASMSTART
	v_pk_mul_f32 v[2:3], v[2:3], v[18:19]
	;;#ASMEND
	;;#ASMSTART
	v_pk_mul_f32 v[4:5], v[4:5], v[18:19]
	;;#ASMEND
	v_pk_add_f32 v[10:11], v[16:17], 1.0 op_sel_hi:[1,0]
	v_cvt_f32_u32_sdwa v17, v12 dst_sel:DWORD dst_unused:UNUSED_PAD src0_sel:WORD_1
	v_cvt_f32_u32_sdwa v16, v12 dst_sel:DWORD dst_unused:UNUSED_PAD src0_sel:WORD_0
	;;#ASMSTART
	v_pk_mul_f32 v[6:7], v[6:7], v[18:19]
	;;#ASMEND
	;;#ASMSTART
	v_pk_mul_f32 v[8:9], v[8:9], v[18:19]
	;;#ASMEND
	v_cvt_f32_u32_sdwa v19, v13 dst_sel:DWORD dst_unused:UNUSED_PAD src0_sel:WORD_1
	v_cvt_f32_u32_sdwa v18, v13 dst_sel:DWORD dst_unused:UNUSED_PAD src0_sel:WORD_0
	;;#ASMSTART
	v_pk_mul_f32 v[2:3], v[2:3], v[10:11]
	;;#ASMEND
	v_pk_add_f32 v[10:11], v[20:21], 1.0 op_sel_hi:[1,0]
	;;#ASMSTART
	v_pk_mul_f32 v[4:5], v[4:5], v[10:11]
	;;#ASMEND
	v_pk_add_f32 v[10:11], v[16:17], 1.0 op_sel_hi:[1,0]
	;; [unrolled: 4-line block ×3, first 2 shown]
	;;#ASMSTART
	v_pk_mul_f32 v[8:9], v[8:9], v[10:11]
	;;#ASMEND
	s_or_b64 exec, exec, s[22:23]
	s_mov_b64 s[22:23], -1
	s_and_b64 vcc, exec, s[18:19]
	s_cbranch_vccz .LBB194_13
.LBB194_17:
	s_and_saveexec_b64 s[18:19], s[0:1]
	s_cbranch_execz .LBB194_19
; %bb.18:
	s_mul_hi_i32 s23, s21, s6
	s_mul_i32 s22, s21, s6
	s_lshl_b64 s[22:23], s[22:23], 1
	s_add_u32 s24, s10, s22
	s_addc_u32 s7, s11, s23
	s_and_b32 s25, s7, 0xffff
	s_mov_b32 s7, 0x7060302
	s_mov_b32 s27, 0x20000
	s_waitcnt vmcnt(0)
	v_perm_b32 v10, v3, v2, s7
	v_perm_b32 v11, v5, v4, s7
	;; [unrolled: 1-line block ×4, first 2 shown]
	v_lshlrev_b32_e32 v15, 4, v0
	buffer_store_dwordx4 v[10:13], v15, s[24:27], 0 offen
	;;#ASMSTART
	s_nop 0
	;;#ASMEND
.LBB194_19:
	s_or_b64 exec, exec, s[18:19]
	s_cbranch_execnz .LBB194_14
.LBB194_20:
	s_and_saveexec_b64 s[18:19], s[0:1]
	s_cbranch_execz .LBB194_22
; %bb.21:
	s_load_dwordx2 s[0:1], s[4:5], 0x10
	s_mul_hi_i32 s23, s20, s6
	s_mul_i32 s22, s20, s6
	s_lshl_b64 s[22:23], s[22:23], 1
	s_mov_b32 s27, 0x20000
	s_waitcnt lgkmcnt(0)
	s_add_u32 s24, s0, s22
	s_addc_u32 s0, s1, s23
	s_and_b32 s25, s0, 0xffff
	s_mov_b32 s0, 0x7060302
	v_perm_b32 v2, v3, v2, s0
	v_perm_b32 v3, v5, v4, s0
	v_perm_b32 v4, v7, v6, s0
	v_perm_b32 v5, v9, v8, s0
	v_lshlrev_b32_e32 v6, 4, v0
	buffer_store_dwordx4 v[2:5], v6, s[24:27], 0 offen
	;;#ASMSTART
	s_nop 0
	;;#ASMEND
.LBB194_22:
	s_or_b64 exec, exec, s[18:19]
	s_cmp_lt_i32 s12, 1
	s_cbranch_scc1 .LBB194_15
.LBB194_23:
	s_load_dword s0, s[4:5], 0x94
	s_waitcnt lgkmcnt(0)
	s_cmp_lg_u32 s0, 1
	s_cbranch_scc1 .LBB194_15
; %bb.24:
	s_lshl_b32 s0, s12, 1
	s_add_i32 s0, s0, 2
	v_cmp_gt_u32_e32 vcc, s12, v1
	s_and_b32 s18, s0, -4
	v_mov_b32_e32 v4, 0
	s_waitcnt vmcnt(0)
	v_lshlrev_b32_e32 v12, 4, v0
	v_mov_b32_e32 v5, 0
	v_mov_b32_e32 v6, 0
	;; [unrolled: 1-line block ×7, first 2 shown]
	s_barrier
	s_and_saveexec_b64 s[0:1], vcc
	s_cbranch_execz .LBB194_26
; %bb.25:
	s_mul_hi_i32 s5, s14, s6
	s_mul_i32 s4, s14, s6
	s_and_b32 s17, s17, 0xffff
	s_lshl_b64 s[4:5], s[4:5], 1
	s_add_u32 s24, s2, s4
	s_mov_b32 s19, 0x20000
	s_addc_u32 s2, s3, s5
	s_and_b32 s25, s2, 0xffff
	s_mov_b32 s26, s18
	s_mov_b32 s27, s19
	buffer_load_dwordx4 v[4:7], v12, s[24:27], 0 offen glc slc
	buffer_load_dwordx4 v[0:3], v12, s[16:19], 0 offen
.LBB194_26:
	s_or_b64 exec, exec, s[0:1]
	s_waitcnt vmcnt(1)
	v_cvt_f32_u32_sdwa v11, v4 dst_sel:DWORD dst_unused:UNUSED_PAD src0_sel:WORD_1
	v_cvt_f32_u32_sdwa v10, v4 dst_sel:DWORD dst_unused:UNUSED_PAD src0_sel:WORD_0
	v_cvt_f32_u32_sdwa v4, v7 dst_sel:DWORD dst_unused:UNUSED_PAD src0_sel:WORD_1
	v_cvt_f32_u32_sdwa v7, v7 dst_sel:DWORD dst_unused:UNUSED_PAD src0_sel:WORD_0
	;; [unrolled: 2-line block ×4, first 2 shown]
	v_cndmask_b32_e32 v11, 0, v11, vcc
	v_cndmask_b32_e32 v5, 0, v4, vcc
	;; [unrolled: 1-line block ×5, first 2 shown]
	v_mul_f32_e32 v13, v11, v11
	v_cndmask_b32_e32 v8, 0, v8, vcc
	v_fmac_f32_e32 v13, v10, v10
	v_cndmask_b32_e32 v9, 0, v9, vcc
	v_fmac_f32_e32 v13, v8, v8
	;; [unrolled: 2-line block ×3, first 2 shown]
	v_fmac_f32_e32 v13, v6, v6
	v_fmac_f32_e32 v13, v7, v7
	;; [unrolled: 1-line block ×4, first 2 shown]
	s_nop 1
	v_mov_b32_dpp v15, v13 quad_perm:[1,0,3,2] row_mask:0xf bank_mask:0xf
	v_add_f32_e32 v13, v13, v15
	s_nop 1
	v_mov_b32_dpp v15, v13 quad_perm:[2,3,0,1] row_mask:0xf bank_mask:0xf
	v_add_f32_e32 v13, v13, v15
	s_nop 1
	v_mov_b32_dpp v15, v13 row_half_mirror row_mask:0xf bank_mask:0xf
	v_add_f32_e32 v13, v13, v15
	s_nop 1
	v_mov_b32_dpp v15, v13 row_mirror row_mask:0xf bank_mask:0xf
	v_add_f32_e32 v13, v13, v15
	s_nop 1
	v_mov_b32_dpp v15, v13 row_bcast:15 row_mask:0xf bank_mask:0xf
	v_add_f32_e32 v13, v13, v15
	s_nop 1
	v_mov_b32_dpp v15, v13 row_bcast:31 row_mask:0xf bank_mask:0xf
	v_add_f32_e32 v13, v13, v15
	ds_bpermute_b32 v13, v14, v13
	s_and_saveexec_b64 s[0:1], vcc
	s_cbranch_execz .LBB194_15
; %bb.27:
	v_cvt_f32_u32_e32 v14, s12
	s_mov_b32 s19, 0x20000
	s_waitcnt lgkmcnt(0)
	v_div_scale_f32 v15, s[0:1], v14, v14, v13
	v_rcp_f32_e32 v16, v15
	v_div_scale_f32 v17, vcc, v13, v14, v13
	s_mov_b32 s0, 0x800000
	v_fma_f32 v18, -v15, v16, 1.0
	v_fmac_f32_e32 v16, v18, v16
	v_mul_f32_e32 v18, v17, v16
	v_fma_f32 v19, -v15, v18, v17
	v_fmac_f32_e32 v18, v19, v16
	v_fma_f32 v15, -v15, v18, v17
	v_div_fmas_f32 v15, v15, v16, v18
	v_div_fixup_f32 v13, v15, v14, v13
	v_add_f32_e32 v13, s9, v13
	v_mul_f32_e32 v14, 0x4b800000, v13
	v_cmp_gt_f32_e32 vcc, s0, v13
	v_cndmask_b32_e32 v13, v13, v14, vcc
	v_rsq_f32_e32 v13, v13
	s_waitcnt vmcnt(0)
	v_cvt_f32_u32_sdwa v15, v0 dst_sel:DWORD dst_unused:UNUSED_PAD src0_sel:WORD_1
	v_cvt_f32_u32_sdwa v19, v1 dst_sel:DWORD dst_unused:UNUSED_PAD src0_sel:WORD_1
	v_cvt_f32_u32_sdwa v18, v1 dst_sel:DWORD dst_unused:UNUSED_PAD src0_sel:WORD_0
	v_mul_f32_e32 v14, 0x45800000, v13
	v_cndmask_b32_e32 v16, v13, v14, vcc
	v_cvt_f32_u32_sdwa v14, v0 dst_sel:DWORD dst_unused:UNUSED_PAD src0_sel:WORD_0
	v_mov_b32_e32 v17, v16
	;;#ASMSTART
	v_pk_mul_f32 v[10:11], v[10:11], v[16:17]
	;;#ASMEND
	;;#ASMSTART
	v_pk_mul_f32 v[8:9], v[8:9], v[16:17]
	;;#ASMEND
	;; [unrolled: 3-line block ×4, first 2 shown]
	v_pk_add_f32 v[4:5], v[14:15], 1.0 op_sel_hi:[1,0]
	v_cvt_f32_u32_sdwa v15, v2 dst_sel:DWORD dst_unused:UNUSED_PAD src0_sel:WORD_1
	v_cvt_f32_u32_sdwa v14, v2 dst_sel:DWORD dst_unused:UNUSED_PAD src0_sel:WORD_0
	v_cvt_f32_u32_sdwa v17, v3 dst_sel:DWORD dst_unused:UNUSED_PAD src0_sel:WORD_1
	v_cvt_f32_u32_sdwa v16, v3 dst_sel:DWORD dst_unused:UNUSED_PAD src0_sel:WORD_0
	s_mul_hi_i32 s1, s21, s6
	s_mul_i32 s0, s21, s6
	s_lshl_b64 s[0:1], s[0:1], 1
	s_add_u32 s16, s10, s0
	;;#ASMSTART
	v_pk_mul_f32 v[4:5], v[10:11], v[4:5]
	;;#ASMEND
	v_pk_add_f32 v[10:11], v[18:19], 1.0 op_sel_hi:[1,0]
	;;#ASMSTART
	v_pk_mul_f32 v[2:3], v[8:9], v[10:11]
	;;#ASMEND
	v_pk_add_f32 v[8:9], v[14:15], 1.0 op_sel_hi:[1,0]
	s_addc_u32 s0, s11, s1
	;;#ASMSTART
	v_pk_mul_f32 v[6:7], v[6:7], v[8:9]
	;;#ASMEND
	v_pk_add_f32 v[8:9], v[16:17], 1.0 op_sel_hi:[1,0]
	s_and_b32 s17, s0, 0xffff
	s_mov_b32 s0, 0x7060302
	;;#ASMSTART
	v_pk_mul_f32 v[8:9], v[0:1], v[8:9]
	;;#ASMEND
	v_perm_b32 v0, v5, v4, s0
	v_perm_b32 v1, v3, v2, s0
	;; [unrolled: 1-line block ×4, first 2 shown]
	buffer_store_dwordx4 v[0:3], v12, s[16:19], 0 offen
	;;#ASMSTART
	s_nop 0
	;;#ASMEND
	s_endpgm
	.section	.rodata,"a",@progbits
	.p2align	6, 0x0
	.amdhsa_kernel _ZN5aiter35fused_qk_rmsnorm_group_quant_kernelItDB8_Li64ELi8ELi4ELb1ELb1ELb1ELb1ELb0ELb0EEEvPT0_PvPT_S6_S6_PKS5_S8_S8_S8_S8_ffiiiiiiiiiiiii
		.amdhsa_group_segment_fixed_size 0
		.amdhsa_private_segment_fixed_size 0
		.amdhsa_kernarg_size 400
		.amdhsa_user_sgpr_count 6
		.amdhsa_user_sgpr_private_segment_buffer 1
		.amdhsa_user_sgpr_dispatch_ptr 0
		.amdhsa_user_sgpr_queue_ptr 0
		.amdhsa_user_sgpr_kernarg_segment_ptr 1
		.amdhsa_user_sgpr_dispatch_id 0
		.amdhsa_user_sgpr_flat_scratch_init 0
		.amdhsa_user_sgpr_kernarg_preload_length 0
		.amdhsa_user_sgpr_kernarg_preload_offset 0
		.amdhsa_user_sgpr_private_segment_size 0
		.amdhsa_uses_dynamic_stack 0
		.amdhsa_system_sgpr_private_segment_wavefront_offset 0
		.amdhsa_system_sgpr_workgroup_id_x 1
		.amdhsa_system_sgpr_workgroup_id_y 1
		.amdhsa_system_sgpr_workgroup_id_z 0
		.amdhsa_system_sgpr_workgroup_info 0
		.amdhsa_system_vgpr_workitem_id 0
		.amdhsa_next_free_vgpr 27
		.amdhsa_next_free_sgpr 44
		.amdhsa_accum_offset 28
		.amdhsa_reserve_vcc 1
		.amdhsa_reserve_flat_scratch 0
		.amdhsa_float_round_mode_32 0
		.amdhsa_float_round_mode_16_64 0
		.amdhsa_float_denorm_mode_32 3
		.amdhsa_float_denorm_mode_16_64 3
		.amdhsa_dx10_clamp 1
		.amdhsa_ieee_mode 1
		.amdhsa_fp16_overflow 0
		.amdhsa_tg_split 0
		.amdhsa_exception_fp_ieee_invalid_op 0
		.amdhsa_exception_fp_denorm_src 0
		.amdhsa_exception_fp_ieee_div_zero 0
		.amdhsa_exception_fp_ieee_overflow 0
		.amdhsa_exception_fp_ieee_underflow 0
		.amdhsa_exception_fp_ieee_inexact 0
		.amdhsa_exception_int_div_zero 0
	.end_amdhsa_kernel
	.section	.text._ZN5aiter35fused_qk_rmsnorm_group_quant_kernelItDB8_Li64ELi8ELi4ELb1ELb1ELb1ELb1ELb0ELb0EEEvPT0_PvPT_S6_S6_PKS5_S8_S8_S8_S8_ffiiiiiiiiiiiii,"axG",@progbits,_ZN5aiter35fused_qk_rmsnorm_group_quant_kernelItDB8_Li64ELi8ELi4ELb1ELb1ELb1ELb1ELb0ELb0EEEvPT0_PvPT_S6_S6_PKS5_S8_S8_S8_S8_ffiiiiiiiiiiiii,comdat
.Lfunc_end194:
	.size	_ZN5aiter35fused_qk_rmsnorm_group_quant_kernelItDB8_Li64ELi8ELi4ELb1ELb1ELb1ELb1ELb0ELb0EEEvPT0_PvPT_S6_S6_PKS5_S8_S8_S8_S8_ffiiiiiiiiiiiii, .Lfunc_end194-_ZN5aiter35fused_qk_rmsnorm_group_quant_kernelItDB8_Li64ELi8ELi4ELb1ELb1ELb1ELb1ELb0ELb0EEEvPT0_PvPT_S6_S6_PKS5_S8_S8_S8_S8_ffiiiiiiiiiiiii
                                        ; -- End function
	.section	.AMDGPU.csdata,"",@progbits
; Kernel info:
; codeLenInByte = 2396
; NumSgprs: 48
; NumVgprs: 27
; NumAgprs: 0
; TotalNumVgprs: 27
; ScratchSize: 0
; MemoryBound: 0
; FloatMode: 240
; IeeeMode: 1
; LDSByteSize: 0 bytes/workgroup (compile time only)
; SGPRBlocks: 5
; VGPRBlocks: 3
; NumSGPRsForWavesPerEU: 48
; NumVGPRsForWavesPerEU: 27
; AccumOffset: 28
; Occupancy: 8
; WaveLimiterHint : 0
; COMPUTE_PGM_RSRC2:SCRATCH_EN: 0
; COMPUTE_PGM_RSRC2:USER_SGPR: 6
; COMPUTE_PGM_RSRC2:TRAP_HANDLER: 0
; COMPUTE_PGM_RSRC2:TGID_X_EN: 1
; COMPUTE_PGM_RSRC2:TGID_Y_EN: 1
; COMPUTE_PGM_RSRC2:TGID_Z_EN: 0
; COMPUTE_PGM_RSRC2:TIDIG_COMP_CNT: 0
; COMPUTE_PGM_RSRC3_GFX90A:ACCUM_OFFSET: 6
; COMPUTE_PGM_RSRC3_GFX90A:TG_SPLIT: 0
	.section	.text._ZN5aiter35fused_qk_rmsnorm_group_quant_kernelIDF16_N4opus5fp4_tELi64ELi8ELi4ELb1ELb1ELb1ELb1ELb0ELb0EEEvPT0_PvPT_S7_S7_PKS6_S9_S9_S9_S9_ffiiiiiiiiiiiii,"axG",@progbits,_ZN5aiter35fused_qk_rmsnorm_group_quant_kernelIDF16_N4opus5fp4_tELi64ELi8ELi4ELb1ELb1ELb1ELb1ELb0ELb0EEEvPT0_PvPT_S7_S7_PKS6_S9_S9_S9_S9_ffiiiiiiiiiiiii,comdat
	.protected	_ZN5aiter35fused_qk_rmsnorm_group_quant_kernelIDF16_N4opus5fp4_tELi64ELi8ELi4ELb1ELb1ELb1ELb1ELb0ELb0EEEvPT0_PvPT_S7_S7_PKS6_S9_S9_S9_S9_ffiiiiiiiiiiiii ; -- Begin function _ZN5aiter35fused_qk_rmsnorm_group_quant_kernelIDF16_N4opus5fp4_tELi64ELi8ELi4ELb1ELb1ELb1ELb1ELb0ELb0EEEvPT0_PvPT_S7_S7_PKS6_S9_S9_S9_S9_ffiiiiiiiiiiiii
	.globl	_ZN5aiter35fused_qk_rmsnorm_group_quant_kernelIDF16_N4opus5fp4_tELi64ELi8ELi4ELb1ELb1ELb1ELb1ELb0ELb0EEEvPT0_PvPT_S7_S7_PKS6_S9_S9_S9_S9_ffiiiiiiiiiiiii
	.p2align	8
	.type	_ZN5aiter35fused_qk_rmsnorm_group_quant_kernelIDF16_N4opus5fp4_tELi64ELi8ELi4ELb1ELb1ELb1ELb1ELb0ELb0EEEvPT0_PvPT_S7_S7_PKS6_S9_S9_S9_S9_ffiiiiiiiiiiiii,@function
_ZN5aiter35fused_qk_rmsnorm_group_quant_kernelIDF16_N4opus5fp4_tELi64ELi8ELi4ELb1ELb1ELb1ELb1ELb0ELb0EEEvPT0_PvPT_S7_S7_PKS6_S9_S9_S9_S9_ffiiiiiiiiiiiii: ; @_ZN5aiter35fused_qk_rmsnorm_group_quant_kernelIDF16_N4opus5fp4_tELi64ELi8ELi4ELb1ELb1ELb1ELb1ELb0ELb0EEEvPT0_PvPT_S7_S7_PKS6_S9_S9_S9_S9_ffiiiiiiiiiiiii
; %bb.0:
	s_load_dwordx8 s[8:15], s[4:5], 0x50
	s_waitcnt lgkmcnt(0)
	s_cmp_ge_i32 s6, s10
	s_cbranch_scc1 .LBB195_15
; %bb.1:
	s_cmp_lg_u32 s7, 0
	s_cselect_b64 s[18:19], -1, 0
	s_cmp_eq_u32 s7, 0
	s_cselect_b64 s[20:21], -1, 0
	s_and_b64 s[0:1], s[20:21], exec
	s_cselect_b32 s7, s11, s12
	s_load_dwordx2 s[2:3], s[4:5], 0x30
	s_load_dwordx2 s[16:17], s[4:5], 0x48
	s_add_i32 s0, s7, 1
	s_lshr_b32 s1, s0, 31
	s_add_i32 s0, s0, s1
	s_lshl_b32 s0, s0, 1
	v_lshlrev_b32_e32 v1, 3, v0
	s_and_b32 s26, s0, -4
	v_cmp_gt_i32_e64 s[0:1], s7, v1
	v_mov_b32_e32 v2, 0
	v_mov_b32_e32 v3, 0
	;; [unrolled: 1-line block ×8, first 2 shown]
	s_and_saveexec_b64 s[10:11], s[0:1]
	s_cbranch_execz .LBB195_3
; %bb.2:
	s_load_dwordx2 s[22:23], s[4:5], 0x28
	s_load_dwordx2 s[24:25], s[4:5], 0x40
	s_and_b64 s[28:29], s[20:21], exec
	s_cselect_b32 s13, s13, s14
	v_lshlrev_b32_e32 v10, 4, v0
	s_waitcnt lgkmcnt(0)
	s_cselect_b32 s27, s23, s3
	s_cselect_b32 s28, s22, s2
	s_mul_hi_i32 s23, s13, s6
	s_mul_i32 s22, s13, s6
	s_lshl_b64 s[22:23], s[22:23], 1
	s_add_u32 s28, s28, s22
	s_addc_u32 s13, s27, s23
	s_and_b64 s[20:21], s[20:21], exec
	s_mov_b32 s27, 0x20000
	s_cselect_b32 s24, s24, s16
	s_cselect_b32 s20, s25, s17
	s_and_b32 s29, s13, 0xffff
	s_mov_b32 s30, s26
	s_mov_b32 s31, s27
	s_and_b32 s25, s20, 0xffff
	buffer_load_dwordx4 v[6:9], v10, s[28:31], 0 offen glc slc
	buffer_load_dwordx4 v[2:5], v10, s[24:27], 0 offen
.LBB195_3:
	s_or_b64 exec, exec, s[10:11]
	s_load_dwordx4 s[20:23], s[4:5], 0x7c
	s_and_b64 vcc, exec, s[18:19]
	s_cbranch_vccz .LBB195_7
; %bb.4:
	v_mov_b32_e32 v13, 0
	v_mov_b32_e32 v12, 0
	;; [unrolled: 1-line block ×8, first 2 shown]
	s_and_saveexec_b64 s[10:11], s[0:1]
	s_cbranch_execz .LBB195_6
; %bb.5:
	s_waitcnt vmcnt(1)
	v_cvt_f32_f16_sdwa v11, v6 dst_sel:DWORD dst_unused:UNUSED_PAD src0_sel:WORD_1
	v_cvt_f32_f16_e32 v10, v6
	v_cvt_f32_f16_sdwa v17, v7 dst_sel:DWORD dst_unused:UNUSED_PAD src0_sel:WORD_1
	v_cvt_f32_f16_e32 v16, v7
	;; [unrolled: 2-line block ×4, first 2 shown]
.LBB195_6:
	s_or_b64 exec, exec, s[10:11]
	s_mov_b32 s13, s9
	s_cbranch_execz .LBB195_8
	s_branch .LBB195_11
.LBB195_7:
                                        ; implicit-def: $vgpr13
                                        ; implicit-def: $vgpr15
                                        ; implicit-def: $vgpr17
                                        ; implicit-def: $vgpr11
	s_mov_b32 s13, s9
.LBB195_8:
	v_mov_b32_e32 v13, 0
	v_mov_b32_e32 v12, 0
	;; [unrolled: 1-line block ×8, first 2 shown]
	s_and_saveexec_b64 s[10:11], s[0:1]
	s_cbranch_execz .LBB195_10
; %bb.9:
	s_load_dwordx2 s[24:25], s[4:5], 0x38
	s_mul_hi_i32 s29, s15, s6
	s_mul_i32 s28, s15, s6
	s_lshl_b64 s[28:29], s[28:29], 1
	s_mov_b32 s27, 0x20000
	s_waitcnt lgkmcnt(0)
	s_add_u32 s24, s24, s28
	s_addc_u32 s13, s25, s29
	s_and_b32 s25, s13, 0xffff
	v_lshlrev_b32_e32 v24, 4, v0
	buffer_load_dwordx4 v[10:13], v24, s[24:27], 0 offen glc slc
	s_waitcnt vmcnt(2)
	v_cvt_f32_f16_sdwa v15, v6 dst_sel:DWORD dst_unused:UNUSED_PAD src0_sel:WORD_1
	v_cvt_f32_f16_e32 v14, v6
	v_cvt_f32_f16_sdwa v17, v7 dst_sel:DWORD dst_unused:UNUSED_PAD src0_sel:WORD_1
	v_cvt_f32_f16_e32 v16, v7
	;; [unrolled: 2-line block ×4, first 2 shown]
	s_load_dwordx2 s[24:25], s[4:5], 0x20
	s_mul_hi_i32 s23, s22, s6
	s_mul_i32 s22, s22, s6
	s_lshl_b64 s[22:23], s[22:23], 1
	s_waitcnt lgkmcnt(0)
	s_add_u32 s24, s24, s22
	s_addc_u32 s13, s25, s23
	s_and_b32 s25, s13, 0xffff
	s_waitcnt vmcnt(0)
	v_cvt_f32_f16_e32 v8, v10
	v_cvt_f32_f16_sdwa v9, v10 dst_sel:DWORD dst_unused:UNUSED_PAD src0_sel:WORD_1
	v_cvt_f32_f16_e32 v20, v11
	v_cvt_f32_f16_sdwa v21, v11 dst_sel:DWORD dst_unused:UNUSED_PAD src0_sel:WORD_1
	;; [unrolled: 2-line block ×4, first 2 shown]
	v_pk_add_f32 v[10:11], v[14:15], v[8:9]
	v_pk_add_f32 v[16:17], v[16:17], v[20:21]
	;; [unrolled: 1-line block ×4, first 2 shown]
	v_cvt_f16_f32_e32 v6, v11
	v_cvt_f16_f32_e32 v7, v17
	;; [unrolled: 1-line block ×8, first 2 shown]
	v_pack_b32_f16 v9, v18, v9
	v_pack_b32_f16 v8, v19, v8
	;; [unrolled: 1-line block ×4, first 2 shown]
	buffer_store_dwordx4 v[6:9], v24, s[24:27], 0 offen glc slc
	;;#ASMSTART
	s_nop 0
	;;#ASMEND
.LBB195_10:
	s_or_b64 exec, exec, s[10:11]
	s_mov_b32 s13, s8
.LBB195_11:
	s_waitcnt vmcnt(1)
	v_mul_f32_e32 v6, v11, v11
	v_fmac_f32_e32 v6, v10, v10
	v_fmac_f32_e32 v6, v16, v16
	;; [unrolled: 1-line block ×7, first 2 shown]
	v_bfrev_b32_e32 v8, 0.5
	s_load_dwordx2 s[10:11], s[4:5], 0x18
	v_mov_b32_dpp v7, v6 quad_perm:[1,0,3,2] row_mask:0xf bank_mask:0xf
	v_add_f32_e32 v6, v6, v7
	s_nop 1
	v_mov_b32_dpp v7, v6 quad_perm:[2,3,0,1] row_mask:0xf bank_mask:0xf
	v_add_f32_e32 v6, v6, v7
	s_nop 1
	v_mov_b32_dpp v7, v6 row_half_mirror row_mask:0xf bank_mask:0xf
	v_add_f32_e32 v6, v6, v7
	s_nop 1
	v_mov_b32_dpp v7, v6 row_mirror row_mask:0xf bank_mask:0xf
	v_add_f32_e32 v6, v6, v7
	s_nop 1
	v_mov_b32_dpp v7, v6 row_bcast:15 row_mask:0xf bank_mask:0xf
	v_add_f32_e32 v6, v6, v7
	s_nop 1
	v_mov_b32_dpp v7, v6 row_bcast:31 row_mask:0xf bank_mask:0xf
	v_add_f32_e32 v6, v6, v7
	v_mbcnt_lo_u32_b32 v7, -1, 0
	v_mbcnt_hi_u32_b32 v7, -1, v7
	v_lshl_or_b32 v18, v7, 2, v8
	ds_bpermute_b32 v6, v18, v6
	s_waitcnt lgkmcnt(0)
	s_and_saveexec_b64 s[22:23], s[0:1]
	s_cbranch_execnz .LBB195_16
; %bb.12:
	s_or_b64 exec, exec, s[22:23]
	s_mov_b64 s[22:23], -1
	s_and_b64 vcc, exec, s[18:19]
	s_cbranch_vccnz .LBB195_17
.LBB195_13:
	s_andn2_b64 vcc, exec, s[22:23]
	s_cbranch_vccz .LBB195_20
.LBB195_14:
	s_cmp_lt_i32 s12, 1
	s_cbranch_scc0 .LBB195_23
.LBB195_15:
	s_endpgm
.LBB195_16:
	v_cvt_f32_u32_e32 v7, s7
	s_mov_b32 s7, 0x800000
	v_div_scale_f32 v8, s[24:25], v7, v7, v6
	v_rcp_f32_e32 v9, v8
	v_div_scale_f32 v19, vcc, v6, v7, v6
	v_fma_f32 v20, -v8, v9, 1.0
	v_fmac_f32_e32 v9, v20, v9
	v_mul_f32_e32 v20, v19, v9
	v_fma_f32 v21, -v8, v20, v19
	v_fmac_f32_e32 v20, v21, v9
	v_fma_f32 v8, -v8, v20, v19
	v_div_fmas_f32 v8, v8, v9, v20
	v_div_fixup_f32 v6, v8, v7, v6
	v_add_f32_e32 v6, s13, v6
	v_mul_f32_e32 v7, 0x4b800000, v6
	v_cmp_gt_f32_e32 vcc, s7, v6
	v_cndmask_b32_e32 v6, v6, v7, vcc
	v_rsq_f32_e32 v6, v6
	s_waitcnt vmcnt(0)
	v_cvt_f32_f16_sdwa v7, v2 dst_sel:DWORD dst_unused:UNUSED_PAD src0_sel:WORD_1
	v_cvt_f32_f16_sdwa v21, v3 dst_sel:DWORD dst_unused:UNUSED_PAD src0_sel:WORD_1
	v_cvt_f32_f16_e32 v20, v3
	v_mul_f32_e32 v8, 0x45800000, v6
	v_cndmask_b32_e32 v8, v6, v8, vcc
	v_mov_b32_e32 v9, v8
	;;#ASMSTART
	v_pk_mul_f32 v[10:11], v[10:11], v[8:9]
	;;#ASMEND
	;;#ASMSTART
	v_pk_mul_f32 v[16:17], v[16:17], v[8:9]
	;;#ASMEND
	;; [unrolled: 3-line block ×3, first 2 shown]
	v_cvt_f32_f16_e32 v6, v2
	;;#ASMSTART
	v_pk_mul_f32 v[2:3], v[12:13], v[8:9]
	;;#ASMEND
	v_cvt_f32_f16_sdwa v9, v4 dst_sel:DWORD dst_unused:UNUSED_PAD src0_sel:WORD_1
	v_cvt_f32_f16_e32 v8, v4
	v_cvt_f32_f16_sdwa v13, v5 dst_sel:DWORD dst_unused:UNUSED_PAD src0_sel:WORD_1
	v_cvt_f32_f16_e32 v12, v5
	v_pk_add_f32 v[6:7], v[6:7], 1.0 op_sel_hi:[1,0]
	v_pk_add_f32 v[4:5], v[8:9], 1.0 op_sel_hi:[1,0]
	;;#ASMSTART
	v_pk_mul_f32 v[10:11], v[10:11], v[6:7]
	;;#ASMEND
	v_pk_add_f32 v[6:7], v[20:21], 1.0 op_sel_hi:[1,0]
	;;#ASMSTART
	v_pk_mul_f32 v[16:17], v[16:17], v[6:7]
	;;#ASMEND
	;;#ASMSTART
	v_pk_mul_f32 v[14:15], v[14:15], v[4:5]
	;;#ASMEND
	v_pk_add_f32 v[4:5], v[12:13], 1.0 op_sel_hi:[1,0]
	;;#ASMSTART
	v_pk_mul_f32 v[12:13], v[2:3], v[4:5]
	;;#ASMEND
	s_or_b64 exec, exec, s[22:23]
	s_mov_b64 s[22:23], -1
	s_and_b64 vcc, exec, s[18:19]
	s_cbranch_vccz .LBB195_13
.LBB195_17:
	s_and_saveexec_b64 s[18:19], s[0:1]
	s_cbranch_execz .LBB195_19
; %bb.18:
	s_mul_hi_i32 s23, s21, s6
	s_mul_i32 s22, s21, s6
	s_waitcnt vmcnt(0)
	v_cvt_f16_f32_e32 v2, v10
	v_cvt_f16_f32_e32 v3, v16
	;; [unrolled: 1-line block ×8, first 2 shown]
	s_lshl_b64 s[22:23], s[22:23], 1
	s_add_u32 s24, s10, s22
	s_addc_u32 s7, s11, s23
	s_and_b32 s25, s7, 0xffff
	s_mov_b32 s27, 0x20000
	v_pack_b32_f16 v5, v5, v6
	v_pack_b32_f16 v4, v4, v7
	;; [unrolled: 1-line block ×4, first 2 shown]
	v_lshlrev_b32_e32 v6, 4, v0
	buffer_store_dwordx4 v[2:5], v6, s[24:27], 0 offen
	;;#ASMSTART
	s_nop 0
	;;#ASMEND
.LBB195_19:
	s_or_b64 exec, exec, s[18:19]
	s_cbranch_execnz .LBB195_14
.LBB195_20:
	s_and_saveexec_b64 s[18:19], s[0:1]
	s_cbranch_execz .LBB195_22
; %bb.21:
	s_load_dwordx2 s[0:1], s[4:5], 0x10
	s_mul_hi_i32 s23, s20, s6
	s_mul_i32 s22, s20, s6
	s_waitcnt vmcnt(0)
	v_cvt_f16_f32_e32 v2, v10
	v_cvt_f16_f32_e32 v3, v16
	v_cvt_f16_f32_e32 v4, v14
	v_cvt_f16_f32_e32 v5, v12
	v_cvt_f16_f32_e32 v6, v13
	v_cvt_f16_f32_e32 v7, v15
	v_cvt_f16_f32_e32 v8, v17
	v_cvt_f16_f32_e32 v9, v11
	s_lshl_b64 s[22:23], s[22:23], 1
	s_waitcnt lgkmcnt(0)
	s_add_u32 s24, s0, s22
	s_addc_u32 s0, s1, s23
	s_mov_b32 s27, 0x20000
	s_and_b32 s25, s0, 0xffff
	v_pack_b32_f16 v5, v5, v6
	v_pack_b32_f16 v4, v4, v7
	v_pack_b32_f16 v3, v3, v8
	v_pack_b32_f16 v2, v2, v9
	v_lshlrev_b32_e32 v6, 4, v0
	buffer_store_dwordx4 v[2:5], v6, s[24:27], 0 offen
	;;#ASMSTART
	s_nop 0
	;;#ASMEND
.LBB195_22:
	s_or_b64 exec, exec, s[18:19]
	s_cmp_lt_i32 s12, 1
	s_cbranch_scc1 .LBB195_15
.LBB195_23:
	s_load_dword s0, s[4:5], 0x94
	s_waitcnt lgkmcnt(0)
	s_cmp_lg_u32 s0, 1
	s_cbranch_scc1 .LBB195_15
; %bb.24:
	s_lshl_b32 s0, s12, 1
	s_add_i32 s0, s0, 2
	v_cmp_gt_u32_e32 vcc, s12, v1
	s_and_b32 s18, s0, -4
	v_mov_b32_e32 v8, 0
	v_lshlrev_b32_e32 v16, 4, v0
	s_waitcnt vmcnt(0)
	v_mov_b32_e32 v4, 0
	v_mov_b32_e32 v5, 0
	;; [unrolled: 1-line block ×8, first 2 shown]
	s_barrier
	s_and_saveexec_b64 s[0:1], vcc
	s_cbranch_execz .LBB195_26
; %bb.25:
	s_mul_hi_i32 s5, s14, s6
	s_mul_i32 s4, s14, s6
	s_and_b32 s17, s17, 0xffff
	s_lshl_b64 s[4:5], s[4:5], 1
	s_add_u32 s24, s2, s4
	s_mov_b32 s19, 0x20000
	s_addc_u32 s2, s3, s5
	s_and_b32 s25, s2, 0xffff
	s_mov_b32 s26, s18
	s_mov_b32 s27, s19
	buffer_load_dwordx4 v[4:7], v16, s[24:27], 0 offen glc slc
	buffer_load_dwordx4 v[0:3], v16, s[16:19], 0 offen
.LBB195_26:
	s_or_b64 exec, exec, s[0:1]
	v_mov_b32_e32 v9, 0
	v_mov_b32_e32 v12, 0
	;; [unrolled: 1-line block ×7, first 2 shown]
	s_and_saveexec_b64 s[0:1], vcc
	s_cbranch_execz .LBB195_28
; %bb.27:
	s_waitcnt vmcnt(1)
	v_cvt_f32_f16_sdwa v9, v4 dst_sel:DWORD dst_unused:UNUSED_PAD src0_sel:WORD_1
	v_cvt_f32_f16_e32 v8, v4
	v_cvt_f32_f16_sdwa v13, v5 dst_sel:DWORD dst_unused:UNUSED_PAD src0_sel:WORD_1
	v_cvt_f32_f16_e32 v12, v5
	;; [unrolled: 2-line block ×4, first 2 shown]
.LBB195_28:
	s_or_b64 exec, exec, s[0:1]
	s_waitcnt vmcnt(1)
	v_mul_f32_e32 v4, v9, v9
	v_fmac_f32_e32 v4, v8, v8
	v_fmac_f32_e32 v4, v12, v12
	;; [unrolled: 1-line block ×7, first 2 shown]
	s_nop 1
	v_mov_b32_dpp v5, v4 quad_perm:[1,0,3,2] row_mask:0xf bank_mask:0xf
	v_add_f32_e32 v4, v4, v5
	s_nop 1
	v_mov_b32_dpp v5, v4 quad_perm:[2,3,0,1] row_mask:0xf bank_mask:0xf
	v_add_f32_e32 v4, v4, v5
	s_nop 1
	v_mov_b32_dpp v5, v4 row_half_mirror row_mask:0xf bank_mask:0xf
	v_add_f32_e32 v4, v4, v5
	s_nop 1
	v_mov_b32_dpp v5, v4 row_mirror row_mask:0xf bank_mask:0xf
	v_add_f32_e32 v4, v4, v5
	s_nop 1
	v_mov_b32_dpp v5, v4 row_bcast:15 row_mask:0xf bank_mask:0xf
	v_add_f32_e32 v4, v4, v5
	s_nop 1
	v_mov_b32_dpp v5, v4 row_bcast:31 row_mask:0xf bank_mask:0xf
	v_add_f32_e32 v4, v4, v5
	ds_bpermute_b32 v4, v18, v4
	s_and_saveexec_b64 s[0:1], vcc
	s_cbranch_execz .LBB195_15
; %bb.29:
	v_cvt_f32_u32_e32 v5, s12
	s_mov_b32 s19, 0x20000
	s_waitcnt lgkmcnt(0)
	v_div_scale_f32 v6, s[0:1], v5, v5, v4
	v_rcp_f32_e32 v7, v6
	v_div_scale_f32 v17, vcc, v4, v5, v4
	s_mov_b32 s0, 0x800000
	v_fma_f32 v18, -v6, v7, 1.0
	v_fmac_f32_e32 v7, v18, v7
	v_mul_f32_e32 v18, v17, v7
	v_fma_f32 v19, -v6, v18, v17
	v_fmac_f32_e32 v18, v19, v7
	v_fma_f32 v6, -v6, v18, v17
	v_div_fmas_f32 v6, v6, v7, v18
	v_div_fixup_f32 v4, v6, v5, v4
	v_add_f32_e32 v4, s9, v4
	v_mul_f32_e32 v5, 0x4b800000, v4
	v_cmp_gt_f32_e32 vcc, s0, v4
	v_cndmask_b32_e32 v4, v4, v5, vcc
	v_rsq_f32_e32 v4, v4
	s_waitcnt vmcnt(0)
	v_cvt_f32_f16_sdwa v5, v0 dst_sel:DWORD dst_unused:UNUSED_PAD src0_sel:WORD_1
	v_cvt_f32_f16_sdwa v19, v1 dst_sel:DWORD dst_unused:UNUSED_PAD src0_sel:WORD_1
	v_cvt_f32_f16_e32 v18, v1
	v_mul_f32_e32 v6, 0x45800000, v4
	v_cndmask_b32_e32 v6, v4, v6, vcc
	v_cvt_f32_f16_e32 v4, v0
	v_mov_b32_e32 v7, v6
	;;#ASMSTART
	v_pk_mul_f32 v[8:9], v[8:9], v[6:7]
	;;#ASMEND
	;;#ASMSTART
	v_pk_mul_f32 v[12:13], v[12:13], v[6:7]
	;;#ASMEND
	v_pk_add_f32 v[4:5], v[4:5], 1.0 op_sel_hi:[1,0]
	;;#ASMSTART
	v_pk_mul_f32 v[14:15], v[14:15], v[6:7]
	;;#ASMEND
	;;#ASMSTART
	v_pk_mul_f32 v[0:1], v[10:11], v[6:7]
	;;#ASMEND
	;; [unrolled: 3-line block ×3, first 2 shown]
	v_cvt_f32_f16_sdwa v9, v2 dst_sel:DWORD dst_unused:UNUSED_PAD src0_sel:WORD_1
	v_cvt_f32_f16_e32 v8, v2
	v_cvt_f32_f16_sdwa v11, v3 dst_sel:DWORD dst_unused:UNUSED_PAD src0_sel:WORD_1
	v_cvt_f32_f16_e32 v10, v3
	v_pk_add_f32 v[6:7], v[18:19], 1.0 op_sel_hi:[1,0]
	;;#ASMSTART
	v_pk_mul_f32 v[2:3], v[12:13], v[6:7]
	;;#ASMEND
	v_pk_add_f32 v[6:7], v[8:9], 1.0 op_sel_hi:[1,0]
	;;#ASMSTART
	v_pk_mul_f32 v[6:7], v[14:15], v[6:7]
	;;#ASMEND
	;; [unrolled: 4-line block ×3, first 2 shown]
	s_mul_hi_i32 s1, s21, s6
	s_mul_i32 s0, s21, s6
	v_cvt_f16_f32_e32 v4, v4
	v_cvt_f16_f32_e32 v5, v5
	;; [unrolled: 1-line block ×8, first 2 shown]
	s_lshl_b64 s[0:1], s[0:1], 1
	s_add_u32 s16, s10, s0
	s_addc_u32 s0, s11, s1
	s_and_b32 s17, s0, 0xffff
	v_pack_b32_f16 v0, v4, v5
	v_pack_b32_f16 v1, v2, v3
	;; [unrolled: 1-line block ×4, first 2 shown]
	buffer_store_dwordx4 v[0:3], v16, s[16:19], 0 offen
	;;#ASMSTART
	s_nop 0
	;;#ASMEND
	s_endpgm
	.section	.rodata,"a",@progbits
	.p2align	6, 0x0
	.amdhsa_kernel _ZN5aiter35fused_qk_rmsnorm_group_quant_kernelIDF16_N4opus5fp4_tELi64ELi8ELi4ELb1ELb1ELb1ELb1ELb0ELb0EEEvPT0_PvPT_S7_S7_PKS6_S9_S9_S9_S9_ffiiiiiiiiiiiii
		.amdhsa_group_segment_fixed_size 0
		.amdhsa_private_segment_fixed_size 0
		.amdhsa_kernarg_size 400
		.amdhsa_user_sgpr_count 6
		.amdhsa_user_sgpr_private_segment_buffer 1
		.amdhsa_user_sgpr_dispatch_ptr 0
		.amdhsa_user_sgpr_queue_ptr 0
		.amdhsa_user_sgpr_kernarg_segment_ptr 1
		.amdhsa_user_sgpr_dispatch_id 0
		.amdhsa_user_sgpr_flat_scratch_init 0
		.amdhsa_user_sgpr_kernarg_preload_length 0
		.amdhsa_user_sgpr_kernarg_preload_offset 0
		.amdhsa_user_sgpr_private_segment_size 0
		.amdhsa_uses_dynamic_stack 0
		.amdhsa_system_sgpr_private_segment_wavefront_offset 0
		.amdhsa_system_sgpr_workgroup_id_x 1
		.amdhsa_system_sgpr_workgroup_id_y 1
		.amdhsa_system_sgpr_workgroup_id_z 0
		.amdhsa_system_sgpr_workgroup_info 0
		.amdhsa_system_vgpr_workitem_id 0
		.amdhsa_next_free_vgpr 25
		.amdhsa_next_free_sgpr 32
		.amdhsa_accum_offset 28
		.amdhsa_reserve_vcc 1
		.amdhsa_reserve_flat_scratch 0
		.amdhsa_float_round_mode_32 0
		.amdhsa_float_round_mode_16_64 0
		.amdhsa_float_denorm_mode_32 3
		.amdhsa_float_denorm_mode_16_64 3
		.amdhsa_dx10_clamp 1
		.amdhsa_ieee_mode 1
		.amdhsa_fp16_overflow 0
		.amdhsa_tg_split 0
		.amdhsa_exception_fp_ieee_invalid_op 0
		.amdhsa_exception_fp_denorm_src 0
		.amdhsa_exception_fp_ieee_div_zero 0
		.amdhsa_exception_fp_ieee_overflow 0
		.amdhsa_exception_fp_ieee_underflow 0
		.amdhsa_exception_fp_ieee_inexact 0
		.amdhsa_exception_int_div_zero 0
	.end_amdhsa_kernel
	.section	.text._ZN5aiter35fused_qk_rmsnorm_group_quant_kernelIDF16_N4opus5fp4_tELi64ELi8ELi4ELb1ELb1ELb1ELb1ELb0ELb0EEEvPT0_PvPT_S7_S7_PKS6_S9_S9_S9_S9_ffiiiiiiiiiiiii,"axG",@progbits,_ZN5aiter35fused_qk_rmsnorm_group_quant_kernelIDF16_N4opus5fp4_tELi64ELi8ELi4ELb1ELb1ELb1ELb1ELb0ELb0EEEvPT0_PvPT_S7_S7_PKS6_S9_S9_S9_S9_ffiiiiiiiiiiiii,comdat
.Lfunc_end195:
	.size	_ZN5aiter35fused_qk_rmsnorm_group_quant_kernelIDF16_N4opus5fp4_tELi64ELi8ELi4ELb1ELb1ELb1ELb1ELb0ELb0EEEvPT0_PvPT_S7_S7_PKS6_S9_S9_S9_S9_ffiiiiiiiiiiiii, .Lfunc_end195-_ZN5aiter35fused_qk_rmsnorm_group_quant_kernelIDF16_N4opus5fp4_tELi64ELi8ELi4ELb1ELb1ELb1ELb1ELb0ELb0EEEvPT0_PvPT_S7_S7_PKS6_S9_S9_S9_S9_ffiiiiiiiiiiiii
                                        ; -- End function
	.section	.AMDGPU.csdata,"",@progbits
; Kernel info:
; codeLenInByte = 2352
; NumSgprs: 36
; NumVgprs: 25
; NumAgprs: 0
; TotalNumVgprs: 25
; ScratchSize: 0
; MemoryBound: 0
; FloatMode: 240
; IeeeMode: 1
; LDSByteSize: 0 bytes/workgroup (compile time only)
; SGPRBlocks: 4
; VGPRBlocks: 3
; NumSGPRsForWavesPerEU: 36
; NumVGPRsForWavesPerEU: 25
; AccumOffset: 28
; Occupancy: 8
; WaveLimiterHint : 0
; COMPUTE_PGM_RSRC2:SCRATCH_EN: 0
; COMPUTE_PGM_RSRC2:USER_SGPR: 6
; COMPUTE_PGM_RSRC2:TRAP_HANDLER: 0
; COMPUTE_PGM_RSRC2:TGID_X_EN: 1
; COMPUTE_PGM_RSRC2:TGID_Y_EN: 1
; COMPUTE_PGM_RSRC2:TGID_Z_EN: 0
; COMPUTE_PGM_RSRC2:TIDIG_COMP_CNT: 0
; COMPUTE_PGM_RSRC3_GFX90A:ACCUM_OFFSET: 6
; COMPUTE_PGM_RSRC3_GFX90A:TG_SPLIT: 0
	.section	.text._ZN5aiter35fused_qk_rmsnorm_group_quant_kernelItN4opus5fp4_tELi64ELi8ELi4ELb1ELb1ELb1ELb1ELb0ELb0EEEvPT0_PvPT_S7_S7_PKS6_S9_S9_S9_S9_ffiiiiiiiiiiiii,"axG",@progbits,_ZN5aiter35fused_qk_rmsnorm_group_quant_kernelItN4opus5fp4_tELi64ELi8ELi4ELb1ELb1ELb1ELb1ELb0ELb0EEEvPT0_PvPT_S7_S7_PKS6_S9_S9_S9_S9_ffiiiiiiiiiiiii,comdat
	.protected	_ZN5aiter35fused_qk_rmsnorm_group_quant_kernelItN4opus5fp4_tELi64ELi8ELi4ELb1ELb1ELb1ELb1ELb0ELb0EEEvPT0_PvPT_S7_S7_PKS6_S9_S9_S9_S9_ffiiiiiiiiiiiii ; -- Begin function _ZN5aiter35fused_qk_rmsnorm_group_quant_kernelItN4opus5fp4_tELi64ELi8ELi4ELb1ELb1ELb1ELb1ELb0ELb0EEEvPT0_PvPT_S7_S7_PKS6_S9_S9_S9_S9_ffiiiiiiiiiiiii
	.globl	_ZN5aiter35fused_qk_rmsnorm_group_quant_kernelItN4opus5fp4_tELi64ELi8ELi4ELb1ELb1ELb1ELb1ELb0ELb0EEEvPT0_PvPT_S7_S7_PKS6_S9_S9_S9_S9_ffiiiiiiiiiiiii
	.p2align	8
	.type	_ZN5aiter35fused_qk_rmsnorm_group_quant_kernelItN4opus5fp4_tELi64ELi8ELi4ELb1ELb1ELb1ELb1ELb0ELb0EEEvPT0_PvPT_S7_S7_PKS6_S9_S9_S9_S9_ffiiiiiiiiiiiii,@function
_ZN5aiter35fused_qk_rmsnorm_group_quant_kernelItN4opus5fp4_tELi64ELi8ELi4ELb1ELb1ELb1ELb1ELb0ELb0EEEvPT0_PvPT_S7_S7_PKS6_S9_S9_S9_S9_ffiiiiiiiiiiiii: ; @_ZN5aiter35fused_qk_rmsnorm_group_quant_kernelItN4opus5fp4_tELi64ELi8ELi4ELb1ELb1ELb1ELb1ELb0ELb0EEEvPT0_PvPT_S7_S7_PKS6_S9_S9_S9_S9_ffiiiiiiiiiiiii
; %bb.0:
	s_load_dwordx8 s[8:15], s[4:5], 0x50
	s_waitcnt lgkmcnt(0)
	s_cmp_ge_i32 s6, s10
	s_cbranch_scc1 .LBB196_15
; %bb.1:
	s_cmp_lg_u32 s7, 0
	s_cselect_b64 s[18:19], -1, 0
	s_cmp_eq_u32 s7, 0
	s_cselect_b64 s[20:21], -1, 0
	s_and_b64 s[0:1], s[20:21], exec
	s_cselect_b32 s7, s11, s12
	s_load_dwordx2 s[2:3], s[4:5], 0x30
	s_load_dwordx2 s[16:17], s[4:5], 0x48
	s_add_i32 s0, s7, 1
	s_lshr_b32 s1, s0, 31
	s_add_i32 s0, s0, s1
	s_lshl_b32 s0, s0, 1
	v_lshlrev_b32_e32 v1, 3, v0
	s_and_b32 s26, s0, -4
	v_cmp_gt_i32_e64 s[0:1], s7, v1
	v_mov_b32_e32 v10, 0
	v_mov_b32_e32 v11, 0
	;; [unrolled: 1-line block ×8, first 2 shown]
	s_and_saveexec_b64 s[10:11], s[0:1]
	s_cbranch_execz .LBB196_3
; %bb.2:
	s_load_dwordx2 s[22:23], s[4:5], 0x28
	s_load_dwordx2 s[24:25], s[4:5], 0x40
	s_and_b64 s[28:29], s[20:21], exec
	s_cselect_b32 s13, s13, s14
	v_lshlrev_b32_e32 v2, 4, v0
	s_waitcnt lgkmcnt(0)
	s_cselect_b32 s27, s23, s3
	s_cselect_b32 s28, s22, s2
	s_mul_hi_i32 s23, s13, s6
	s_mul_i32 s22, s13, s6
	s_lshl_b64 s[22:23], s[22:23], 1
	s_add_u32 s28, s28, s22
	s_addc_u32 s13, s27, s23
	s_and_b64 s[20:21], s[20:21], exec
	s_mov_b32 s27, 0x20000
	s_cselect_b32 s24, s24, s16
	s_cselect_b32 s20, s25, s17
	s_and_b32 s29, s13, 0xffff
	s_mov_b32 s30, s26
	s_mov_b32 s31, s27
	s_and_b32 s25, s20, 0xffff
	buffer_load_dwordx4 v[14:17], v2, s[28:31], 0 offen glc slc
	buffer_load_dwordx4 v[10:13], v2, s[24:27], 0 offen
.LBB196_3:
	s_or_b64 exec, exec, s[10:11]
	s_load_dwordx4 s[20:23], s[4:5], 0x7c
	s_and_b64 vcc, exec, s[18:19]
	s_cbranch_vccz .LBB196_7
; %bb.4:
	s_mov_b32 s36, 0
	s_mov_b32 s37, s36
	;; [unrolled: 1-line block ×8, first 2 shown]
	v_pk_mov_b32 v[2:3], s[36:37], s[36:37] op_sel:[0,1]
	v_pk_mov_b32 v[4:5], s[38:39], s[38:39] op_sel:[0,1]
	;; [unrolled: 1-line block ×4, first 2 shown]
	s_and_saveexec_b64 s[10:11], s[0:1]
	s_cbranch_execz .LBB196_6
; %bb.5:
	s_waitcnt vmcnt(1)
	v_cvt_f32_u32_sdwa v3, v14 dst_sel:DWORD dst_unused:UNUSED_PAD src0_sel:WORD_1
	v_cvt_f32_u32_sdwa v2, v14 dst_sel:DWORD dst_unused:UNUSED_PAD src0_sel:WORD_0
	v_cvt_f32_u32_sdwa v5, v15 dst_sel:DWORD dst_unused:UNUSED_PAD src0_sel:WORD_1
	v_cvt_f32_u32_sdwa v4, v15 dst_sel:DWORD dst_unused:UNUSED_PAD src0_sel:WORD_0
	;; [unrolled: 2-line block ×4, first 2 shown]
.LBB196_6:
	s_or_b64 exec, exec, s[10:11]
	s_mov_b32 s13, s9
	s_cbranch_execz .LBB196_8
	s_branch .LBB196_11
.LBB196_7:
                                        ; implicit-def: $vgpr2_vgpr3_vgpr4_vgpr5_vgpr6_vgpr7_vgpr8_vgpr9
	s_mov_b32 s13, s9
.LBB196_8:
	s_mov_b32 s36, 0
	s_mov_b32 s37, s36
	;; [unrolled: 1-line block ×8, first 2 shown]
	v_pk_mov_b32 v[2:3], s[36:37], s[36:37] op_sel:[0,1]
	v_pk_mov_b32 v[4:5], s[38:39], s[38:39] op_sel:[0,1]
	;; [unrolled: 1-line block ×4, first 2 shown]
	s_and_saveexec_b64 s[10:11], s[0:1]
	s_cbranch_execz .LBB196_10
; %bb.9:
	s_load_dwordx2 s[24:25], s[4:5], 0x38
	s_mul_hi_i32 s29, s15, s6
	s_mul_i32 s28, s15, s6
	s_lshl_b64 s[28:29], s[28:29], 1
	s_mov_b32 s27, 0x20000
	s_waitcnt lgkmcnt(0)
	s_add_u32 s24, s24, s28
	s_addc_u32 s13, s25, s29
	s_and_b32 s25, s13, 0xffff
	v_lshlrev_b32_e32 v26, 4, v0
	buffer_load_dwordx4 v[2:5], v26, s[24:27], 0 offen glc slc
	s_load_dwordx2 s[24:25], s[4:5], 0x20
	s_waitcnt vmcnt(2)
	v_cvt_f32_u32_sdwa v7, v14 dst_sel:DWORD dst_unused:UNUSED_PAD src0_sel:WORD_1
	v_cvt_f32_u32_sdwa v6, v14 dst_sel:DWORD dst_unused:UNUSED_PAD src0_sel:WORD_0
	v_cvt_f32_u32_sdwa v9, v15 dst_sel:DWORD dst_unused:UNUSED_PAD src0_sel:WORD_1
	v_cvt_f32_u32_sdwa v8, v15 dst_sel:DWORD dst_unused:UNUSED_PAD src0_sel:WORD_0
	;; [unrolled: 2-line block ×4, first 2 shown]
	s_mul_hi_i32 s23, s22, s6
	s_mul_i32 s22, s22, s6
	s_lshl_b64 s[22:23], s[22:23], 1
	s_waitcnt lgkmcnt(0)
	s_add_u32 s24, s24, s22
	s_mov_b32 s13, 0x7060302
	s_addc_u32 s15, s25, s23
	s_and_b32 s25, s15, 0xffff
	s_waitcnt vmcnt(0)
	v_cvt_f32_u32_sdwa v17, v2 dst_sel:DWORD dst_unused:UNUSED_PAD src0_sel:WORD_1
	v_cvt_f32_u32_sdwa v16, v2 dst_sel:DWORD dst_unused:UNUSED_PAD src0_sel:WORD_0
	v_cvt_f32_u32_sdwa v21, v3 dst_sel:DWORD dst_unused:UNUSED_PAD src0_sel:WORD_1
	v_cvt_f32_u32_sdwa v20, v3 dst_sel:DWORD dst_unused:UNUSED_PAD src0_sel:WORD_0
	;; [unrolled: 2-line block ×4, first 2 shown]
	v_pk_add_f32 v[2:3], v[6:7], v[16:17]
	v_pk_add_f32 v[4:5], v[8:9], v[20:21]
	;; [unrolled: 1-line block ×4, first 2 shown]
	v_perm_b32 v17, v9, v8, s13
	v_perm_b32 v16, v7, v6, s13
	;; [unrolled: 1-line block ×4, first 2 shown]
	buffer_store_dwordx4 v[14:17], v26, s[24:27], 0 offen glc slc
	;;#ASMSTART
	s_nop 0
	;;#ASMEND
.LBB196_10:
	s_or_b64 exec, exec, s[10:11]
	s_mov_b32 s13, s8
.LBB196_11:
	s_waitcnt vmcnt(1)
	v_mul_f32_e32 v14, v3, v3
	v_fmac_f32_e32 v14, v2, v2
	v_fmac_f32_e32 v14, v4, v4
	;; [unrolled: 1-line block ×7, first 2 shown]
	v_bfrev_b32_e32 v16, 0.5
	s_load_dwordx2 s[10:11], s[4:5], 0x18
	v_mov_b32_dpp v15, v14 quad_perm:[1,0,3,2] row_mask:0xf bank_mask:0xf
	v_add_f32_e32 v14, v14, v15
	s_nop 1
	v_mov_b32_dpp v15, v14 quad_perm:[2,3,0,1] row_mask:0xf bank_mask:0xf
	v_add_f32_e32 v14, v14, v15
	s_nop 1
	v_mov_b32_dpp v15, v14 row_half_mirror row_mask:0xf bank_mask:0xf
	v_add_f32_e32 v14, v14, v15
	s_nop 1
	v_mov_b32_dpp v15, v14 row_mirror row_mask:0xf bank_mask:0xf
	v_add_f32_e32 v14, v14, v15
	s_nop 1
	v_mov_b32_dpp v15, v14 row_bcast:15 row_mask:0xf bank_mask:0xf
	v_add_f32_e32 v14, v14, v15
	s_nop 1
	v_mov_b32_dpp v15, v14 row_bcast:31 row_mask:0xf bank_mask:0xf
	v_add_f32_e32 v15, v14, v15
	v_mbcnt_lo_u32_b32 v14, -1, 0
	v_mbcnt_hi_u32_b32 v14, -1, v14
	v_lshl_or_b32 v14, v14, 2, v16
	ds_bpermute_b32 v15, v14, v15
	s_waitcnt lgkmcnt(0)
	s_and_saveexec_b64 s[22:23], s[0:1]
	s_cbranch_execnz .LBB196_16
; %bb.12:
	s_or_b64 exec, exec, s[22:23]
	s_mov_b64 s[22:23], -1
	s_and_b64 vcc, exec, s[18:19]
	s_cbranch_vccnz .LBB196_17
.LBB196_13:
	s_andn2_b64 vcc, exec, s[22:23]
	s_cbranch_vccz .LBB196_20
.LBB196_14:
	s_cmp_lt_i32 s12, 1
	s_cbranch_scc0 .LBB196_23
.LBB196_15:
	s_endpgm
.LBB196_16:
	v_cvt_f32_u32_e32 v16, s7
	s_mov_b32 s7, 0x800000
	v_div_scale_f32 v17, s[24:25], v16, v16, v15
	v_rcp_f32_e32 v18, v17
	v_div_scale_f32 v19, vcc, v15, v16, v15
	v_fma_f32 v20, -v17, v18, 1.0
	v_fmac_f32_e32 v18, v20, v18
	v_mul_f32_e32 v20, v19, v18
	v_fma_f32 v21, -v17, v20, v19
	v_fmac_f32_e32 v20, v21, v18
	v_fma_f32 v17, -v17, v20, v19
	v_div_fmas_f32 v17, v17, v18, v20
	v_div_fixup_f32 v15, v17, v16, v15
	v_add_f32_e32 v15, s13, v15
	v_mul_f32_e32 v16, 0x4b800000, v15
	v_cmp_gt_f32_e32 vcc, s7, v15
	v_cndmask_b32_e32 v15, v15, v16, vcc
	v_rsq_f32_e32 v15, v15
	s_waitcnt vmcnt(0)
	v_cvt_f32_u32_sdwa v17, v10 dst_sel:DWORD dst_unused:UNUSED_PAD src0_sel:WORD_1
	v_cvt_f32_u32_sdwa v21, v11 dst_sel:DWORD dst_unused:UNUSED_PAD src0_sel:WORD_1
	v_cvt_f32_u32_sdwa v20, v11 dst_sel:DWORD dst_unused:UNUSED_PAD src0_sel:WORD_0
	v_mul_f32_e32 v16, 0x45800000, v15
	v_cndmask_b32_e32 v18, v15, v16, vcc
	v_cvt_f32_u32_sdwa v16, v10 dst_sel:DWORD dst_unused:UNUSED_PAD src0_sel:WORD_0
	v_mov_b32_e32 v19, v18
	;;#ASMSTART
	v_pk_mul_f32 v[2:3], v[2:3], v[18:19]
	;;#ASMEND
	;;#ASMSTART
	v_pk_mul_f32 v[4:5], v[4:5], v[18:19]
	;;#ASMEND
	v_pk_add_f32 v[10:11], v[16:17], 1.0 op_sel_hi:[1,0]
	v_cvt_f32_u32_sdwa v17, v12 dst_sel:DWORD dst_unused:UNUSED_PAD src0_sel:WORD_1
	v_cvt_f32_u32_sdwa v16, v12 dst_sel:DWORD dst_unused:UNUSED_PAD src0_sel:WORD_0
	;;#ASMSTART
	v_pk_mul_f32 v[6:7], v[6:7], v[18:19]
	;;#ASMEND
	;;#ASMSTART
	v_pk_mul_f32 v[8:9], v[8:9], v[18:19]
	;;#ASMEND
	v_cvt_f32_u32_sdwa v19, v13 dst_sel:DWORD dst_unused:UNUSED_PAD src0_sel:WORD_1
	v_cvt_f32_u32_sdwa v18, v13 dst_sel:DWORD dst_unused:UNUSED_PAD src0_sel:WORD_0
	;;#ASMSTART
	v_pk_mul_f32 v[2:3], v[2:3], v[10:11]
	;;#ASMEND
	v_pk_add_f32 v[10:11], v[20:21], 1.0 op_sel_hi:[1,0]
	;;#ASMSTART
	v_pk_mul_f32 v[4:5], v[4:5], v[10:11]
	;;#ASMEND
	v_pk_add_f32 v[10:11], v[16:17], 1.0 op_sel_hi:[1,0]
	;; [unrolled: 4-line block ×3, first 2 shown]
	;;#ASMSTART
	v_pk_mul_f32 v[8:9], v[8:9], v[10:11]
	;;#ASMEND
	s_or_b64 exec, exec, s[22:23]
	s_mov_b64 s[22:23], -1
	s_and_b64 vcc, exec, s[18:19]
	s_cbranch_vccz .LBB196_13
.LBB196_17:
	s_and_saveexec_b64 s[18:19], s[0:1]
	s_cbranch_execz .LBB196_19
; %bb.18:
	s_mul_hi_i32 s23, s21, s6
	s_mul_i32 s22, s21, s6
	s_lshl_b64 s[22:23], s[22:23], 1
	s_add_u32 s24, s10, s22
	s_addc_u32 s7, s11, s23
	s_and_b32 s25, s7, 0xffff
	s_mov_b32 s7, 0x7060302
	s_mov_b32 s27, 0x20000
	s_waitcnt vmcnt(0)
	v_perm_b32 v10, v3, v2, s7
	v_perm_b32 v11, v5, v4, s7
	;; [unrolled: 1-line block ×4, first 2 shown]
	v_lshlrev_b32_e32 v15, 4, v0
	buffer_store_dwordx4 v[10:13], v15, s[24:27], 0 offen
	;;#ASMSTART
	s_nop 0
	;;#ASMEND
.LBB196_19:
	s_or_b64 exec, exec, s[18:19]
	s_cbranch_execnz .LBB196_14
.LBB196_20:
	s_and_saveexec_b64 s[18:19], s[0:1]
	s_cbranch_execz .LBB196_22
; %bb.21:
	s_load_dwordx2 s[0:1], s[4:5], 0x10
	s_mul_hi_i32 s23, s20, s6
	s_mul_i32 s22, s20, s6
	s_lshl_b64 s[22:23], s[22:23], 1
	s_mov_b32 s27, 0x20000
	s_waitcnt lgkmcnt(0)
	s_add_u32 s24, s0, s22
	s_addc_u32 s0, s1, s23
	s_and_b32 s25, s0, 0xffff
	s_mov_b32 s0, 0x7060302
	v_perm_b32 v2, v3, v2, s0
	v_perm_b32 v3, v5, v4, s0
	;; [unrolled: 1-line block ×4, first 2 shown]
	v_lshlrev_b32_e32 v6, 4, v0
	buffer_store_dwordx4 v[2:5], v6, s[24:27], 0 offen
	;;#ASMSTART
	s_nop 0
	;;#ASMEND
.LBB196_22:
	s_or_b64 exec, exec, s[18:19]
	s_cmp_lt_i32 s12, 1
	s_cbranch_scc1 .LBB196_15
.LBB196_23:
	s_load_dword s0, s[4:5], 0x94
	s_waitcnt lgkmcnt(0)
	s_cmp_lg_u32 s0, 1
	s_cbranch_scc1 .LBB196_15
; %bb.24:
	s_lshl_b32 s0, s12, 1
	s_add_i32 s0, s0, 2
	v_cmp_gt_u32_e32 vcc, s12, v1
	s_and_b32 s18, s0, -4
	v_mov_b32_e32 v4, 0
	s_waitcnt vmcnt(0)
	v_lshlrev_b32_e32 v12, 4, v0
	v_mov_b32_e32 v5, 0
	v_mov_b32_e32 v6, 0
	;; [unrolled: 1-line block ×7, first 2 shown]
	s_barrier
	s_and_saveexec_b64 s[0:1], vcc
	s_cbranch_execz .LBB196_26
; %bb.25:
	s_mul_hi_i32 s5, s14, s6
	s_mul_i32 s4, s14, s6
	s_and_b32 s17, s17, 0xffff
	s_lshl_b64 s[4:5], s[4:5], 1
	s_add_u32 s24, s2, s4
	s_mov_b32 s19, 0x20000
	s_addc_u32 s2, s3, s5
	s_and_b32 s25, s2, 0xffff
	s_mov_b32 s26, s18
	s_mov_b32 s27, s19
	buffer_load_dwordx4 v[4:7], v12, s[24:27], 0 offen glc slc
	buffer_load_dwordx4 v[0:3], v12, s[16:19], 0 offen
.LBB196_26:
	s_or_b64 exec, exec, s[0:1]
	s_waitcnt vmcnt(1)
	v_cvt_f32_u32_sdwa v11, v4 dst_sel:DWORD dst_unused:UNUSED_PAD src0_sel:WORD_1
	v_cvt_f32_u32_sdwa v10, v4 dst_sel:DWORD dst_unused:UNUSED_PAD src0_sel:WORD_0
	v_cvt_f32_u32_sdwa v4, v7 dst_sel:DWORD dst_unused:UNUSED_PAD src0_sel:WORD_1
	v_cvt_f32_u32_sdwa v7, v7 dst_sel:DWORD dst_unused:UNUSED_PAD src0_sel:WORD_0
	;; [unrolled: 2-line block ×4, first 2 shown]
	v_cndmask_b32_e32 v11, 0, v11, vcc
	v_cndmask_b32_e32 v5, 0, v4, vcc
	v_cndmask_b32_e32 v4, 0, v7, vcc
	v_cndmask_b32_e32 v7, 0, v13, vcc
	v_cndmask_b32_e32 v10, 0, v10, vcc
	v_mul_f32_e32 v13, v11, v11
	v_cndmask_b32_e32 v8, 0, v8, vcc
	v_fmac_f32_e32 v13, v10, v10
	v_cndmask_b32_e32 v9, 0, v9, vcc
	v_fmac_f32_e32 v13, v8, v8
	;; [unrolled: 2-line block ×3, first 2 shown]
	v_fmac_f32_e32 v13, v6, v6
	v_fmac_f32_e32 v13, v7, v7
	v_fmac_f32_e32 v13, v4, v4
	v_fmac_f32_e32 v13, v5, v5
	s_nop 1
	v_mov_b32_dpp v15, v13 quad_perm:[1,0,3,2] row_mask:0xf bank_mask:0xf
	v_add_f32_e32 v13, v13, v15
	s_nop 1
	v_mov_b32_dpp v15, v13 quad_perm:[2,3,0,1] row_mask:0xf bank_mask:0xf
	v_add_f32_e32 v13, v13, v15
	s_nop 1
	v_mov_b32_dpp v15, v13 row_half_mirror row_mask:0xf bank_mask:0xf
	v_add_f32_e32 v13, v13, v15
	s_nop 1
	v_mov_b32_dpp v15, v13 row_mirror row_mask:0xf bank_mask:0xf
	v_add_f32_e32 v13, v13, v15
	s_nop 1
	v_mov_b32_dpp v15, v13 row_bcast:15 row_mask:0xf bank_mask:0xf
	v_add_f32_e32 v13, v13, v15
	s_nop 1
	v_mov_b32_dpp v15, v13 row_bcast:31 row_mask:0xf bank_mask:0xf
	v_add_f32_e32 v13, v13, v15
	ds_bpermute_b32 v13, v14, v13
	s_and_saveexec_b64 s[0:1], vcc
	s_cbranch_execz .LBB196_15
; %bb.27:
	v_cvt_f32_u32_e32 v14, s12
	s_mov_b32 s19, 0x20000
	s_waitcnt lgkmcnt(0)
	v_div_scale_f32 v15, s[0:1], v14, v14, v13
	v_rcp_f32_e32 v16, v15
	v_div_scale_f32 v17, vcc, v13, v14, v13
	s_mov_b32 s0, 0x800000
	v_fma_f32 v18, -v15, v16, 1.0
	v_fmac_f32_e32 v16, v18, v16
	v_mul_f32_e32 v18, v17, v16
	v_fma_f32 v19, -v15, v18, v17
	v_fmac_f32_e32 v18, v19, v16
	v_fma_f32 v15, -v15, v18, v17
	v_div_fmas_f32 v15, v15, v16, v18
	v_div_fixup_f32 v13, v15, v14, v13
	v_add_f32_e32 v13, s9, v13
	v_mul_f32_e32 v14, 0x4b800000, v13
	v_cmp_gt_f32_e32 vcc, s0, v13
	v_cndmask_b32_e32 v13, v13, v14, vcc
	v_rsq_f32_e32 v13, v13
	s_waitcnt vmcnt(0)
	v_cvt_f32_u32_sdwa v15, v0 dst_sel:DWORD dst_unused:UNUSED_PAD src0_sel:WORD_1
	v_cvt_f32_u32_sdwa v19, v1 dst_sel:DWORD dst_unused:UNUSED_PAD src0_sel:WORD_1
	v_cvt_f32_u32_sdwa v18, v1 dst_sel:DWORD dst_unused:UNUSED_PAD src0_sel:WORD_0
	v_mul_f32_e32 v14, 0x45800000, v13
	v_cndmask_b32_e32 v16, v13, v14, vcc
	v_cvt_f32_u32_sdwa v14, v0 dst_sel:DWORD dst_unused:UNUSED_PAD src0_sel:WORD_0
	v_mov_b32_e32 v17, v16
	;;#ASMSTART
	v_pk_mul_f32 v[10:11], v[10:11], v[16:17]
	;;#ASMEND
	;;#ASMSTART
	v_pk_mul_f32 v[8:9], v[8:9], v[16:17]
	;;#ASMEND
	;;#ASMSTART
	v_pk_mul_f32 v[6:7], v[6:7], v[16:17]
	;;#ASMEND
	;;#ASMSTART
	v_pk_mul_f32 v[0:1], v[4:5], v[16:17]
	;;#ASMEND
	v_pk_add_f32 v[4:5], v[14:15], 1.0 op_sel_hi:[1,0]
	v_cvt_f32_u32_sdwa v15, v2 dst_sel:DWORD dst_unused:UNUSED_PAD src0_sel:WORD_1
	v_cvt_f32_u32_sdwa v14, v2 dst_sel:DWORD dst_unused:UNUSED_PAD src0_sel:WORD_0
	v_cvt_f32_u32_sdwa v17, v3 dst_sel:DWORD dst_unused:UNUSED_PAD src0_sel:WORD_1
	v_cvt_f32_u32_sdwa v16, v3 dst_sel:DWORD dst_unused:UNUSED_PAD src0_sel:WORD_0
	s_mul_hi_i32 s1, s21, s6
	s_mul_i32 s0, s21, s6
	s_lshl_b64 s[0:1], s[0:1], 1
	s_add_u32 s16, s10, s0
	;;#ASMSTART
	v_pk_mul_f32 v[4:5], v[10:11], v[4:5]
	;;#ASMEND
	v_pk_add_f32 v[10:11], v[18:19], 1.0 op_sel_hi:[1,0]
	;;#ASMSTART
	v_pk_mul_f32 v[2:3], v[8:9], v[10:11]
	;;#ASMEND
	v_pk_add_f32 v[8:9], v[14:15], 1.0 op_sel_hi:[1,0]
	s_addc_u32 s0, s11, s1
	;;#ASMSTART
	v_pk_mul_f32 v[6:7], v[6:7], v[8:9]
	;;#ASMEND
	v_pk_add_f32 v[8:9], v[16:17], 1.0 op_sel_hi:[1,0]
	s_and_b32 s17, s0, 0xffff
	s_mov_b32 s0, 0x7060302
	;;#ASMSTART
	v_pk_mul_f32 v[8:9], v[0:1], v[8:9]
	;;#ASMEND
	v_perm_b32 v0, v5, v4, s0
	v_perm_b32 v1, v3, v2, s0
	;; [unrolled: 1-line block ×4, first 2 shown]
	buffer_store_dwordx4 v[0:3], v12, s[16:19], 0 offen
	;;#ASMSTART
	s_nop 0
	;;#ASMEND
	s_endpgm
	.section	.rodata,"a",@progbits
	.p2align	6, 0x0
	.amdhsa_kernel _ZN5aiter35fused_qk_rmsnorm_group_quant_kernelItN4opus5fp4_tELi64ELi8ELi4ELb1ELb1ELb1ELb1ELb0ELb0EEEvPT0_PvPT_S7_S7_PKS6_S9_S9_S9_S9_ffiiiiiiiiiiiii
		.amdhsa_group_segment_fixed_size 0
		.amdhsa_private_segment_fixed_size 0
		.amdhsa_kernarg_size 400
		.amdhsa_user_sgpr_count 6
		.amdhsa_user_sgpr_private_segment_buffer 1
		.amdhsa_user_sgpr_dispatch_ptr 0
		.amdhsa_user_sgpr_queue_ptr 0
		.amdhsa_user_sgpr_kernarg_segment_ptr 1
		.amdhsa_user_sgpr_dispatch_id 0
		.amdhsa_user_sgpr_flat_scratch_init 0
		.amdhsa_user_sgpr_kernarg_preload_length 0
		.amdhsa_user_sgpr_kernarg_preload_offset 0
		.amdhsa_user_sgpr_private_segment_size 0
		.amdhsa_uses_dynamic_stack 0
		.amdhsa_system_sgpr_private_segment_wavefront_offset 0
		.amdhsa_system_sgpr_workgroup_id_x 1
		.amdhsa_system_sgpr_workgroup_id_y 1
		.amdhsa_system_sgpr_workgroup_id_z 0
		.amdhsa_system_sgpr_workgroup_info 0
		.amdhsa_system_vgpr_workitem_id 0
		.amdhsa_next_free_vgpr 27
		.amdhsa_next_free_sgpr 44
		.amdhsa_accum_offset 28
		.amdhsa_reserve_vcc 1
		.amdhsa_reserve_flat_scratch 0
		.amdhsa_float_round_mode_32 0
		.amdhsa_float_round_mode_16_64 0
		.amdhsa_float_denorm_mode_32 3
		.amdhsa_float_denorm_mode_16_64 3
		.amdhsa_dx10_clamp 1
		.amdhsa_ieee_mode 1
		.amdhsa_fp16_overflow 0
		.amdhsa_tg_split 0
		.amdhsa_exception_fp_ieee_invalid_op 0
		.amdhsa_exception_fp_denorm_src 0
		.amdhsa_exception_fp_ieee_div_zero 0
		.amdhsa_exception_fp_ieee_overflow 0
		.amdhsa_exception_fp_ieee_underflow 0
		.amdhsa_exception_fp_ieee_inexact 0
		.amdhsa_exception_int_div_zero 0
	.end_amdhsa_kernel
	.section	.text._ZN5aiter35fused_qk_rmsnorm_group_quant_kernelItN4opus5fp4_tELi64ELi8ELi4ELb1ELb1ELb1ELb1ELb0ELb0EEEvPT0_PvPT_S7_S7_PKS6_S9_S9_S9_S9_ffiiiiiiiiiiiii,"axG",@progbits,_ZN5aiter35fused_qk_rmsnorm_group_quant_kernelItN4opus5fp4_tELi64ELi8ELi4ELb1ELb1ELb1ELb1ELb0ELb0EEEvPT0_PvPT_S7_S7_PKS6_S9_S9_S9_S9_ffiiiiiiiiiiiii,comdat
.Lfunc_end196:
	.size	_ZN5aiter35fused_qk_rmsnorm_group_quant_kernelItN4opus5fp4_tELi64ELi8ELi4ELb1ELb1ELb1ELb1ELb0ELb0EEEvPT0_PvPT_S7_S7_PKS6_S9_S9_S9_S9_ffiiiiiiiiiiiii, .Lfunc_end196-_ZN5aiter35fused_qk_rmsnorm_group_quant_kernelItN4opus5fp4_tELi64ELi8ELi4ELb1ELb1ELb1ELb1ELb0ELb0EEEvPT0_PvPT_S7_S7_PKS6_S9_S9_S9_S9_ffiiiiiiiiiiiii
                                        ; -- End function
	.section	.AMDGPU.csdata,"",@progbits
; Kernel info:
; codeLenInByte = 2396
; NumSgprs: 48
; NumVgprs: 27
; NumAgprs: 0
; TotalNumVgprs: 27
; ScratchSize: 0
; MemoryBound: 0
; FloatMode: 240
; IeeeMode: 1
; LDSByteSize: 0 bytes/workgroup (compile time only)
; SGPRBlocks: 5
; VGPRBlocks: 3
; NumSGPRsForWavesPerEU: 48
; NumVGPRsForWavesPerEU: 27
; AccumOffset: 28
; Occupancy: 8
; WaveLimiterHint : 0
; COMPUTE_PGM_RSRC2:SCRATCH_EN: 0
; COMPUTE_PGM_RSRC2:USER_SGPR: 6
; COMPUTE_PGM_RSRC2:TRAP_HANDLER: 0
; COMPUTE_PGM_RSRC2:TGID_X_EN: 1
; COMPUTE_PGM_RSRC2:TGID_Y_EN: 1
; COMPUTE_PGM_RSRC2:TGID_Z_EN: 0
; COMPUTE_PGM_RSRC2:TIDIG_COMP_CNT: 0
; COMPUTE_PGM_RSRC3_GFX90A:ACCUM_OFFSET: 6
; COMPUTE_PGM_RSRC3_GFX90A:TG_SPLIT: 0
	.section	.text._ZN5aiter35fused_qk_rmsnorm_group_quant_kernelIDF16_DB8_Li64ELi8ELi4ELb1ELb1ELb0ELb1ELb0ELb0EEEvPT0_PvPT_S6_S6_PKS5_S8_S8_S8_S8_ffiiiiiiiiiiiii,"axG",@progbits,_ZN5aiter35fused_qk_rmsnorm_group_quant_kernelIDF16_DB8_Li64ELi8ELi4ELb1ELb1ELb0ELb1ELb0ELb0EEEvPT0_PvPT_S6_S6_PKS5_S8_S8_S8_S8_ffiiiiiiiiiiiii,comdat
	.protected	_ZN5aiter35fused_qk_rmsnorm_group_quant_kernelIDF16_DB8_Li64ELi8ELi4ELb1ELb1ELb0ELb1ELb0ELb0EEEvPT0_PvPT_S6_S6_PKS5_S8_S8_S8_S8_ffiiiiiiiiiiiii ; -- Begin function _ZN5aiter35fused_qk_rmsnorm_group_quant_kernelIDF16_DB8_Li64ELi8ELi4ELb1ELb1ELb0ELb1ELb0ELb0EEEvPT0_PvPT_S6_S6_PKS5_S8_S8_S8_S8_ffiiiiiiiiiiiii
	.globl	_ZN5aiter35fused_qk_rmsnorm_group_quant_kernelIDF16_DB8_Li64ELi8ELi4ELb1ELb1ELb0ELb1ELb0ELb0EEEvPT0_PvPT_S6_S6_PKS5_S8_S8_S8_S8_ffiiiiiiiiiiiii
	.p2align	8
	.type	_ZN5aiter35fused_qk_rmsnorm_group_quant_kernelIDF16_DB8_Li64ELi8ELi4ELb1ELb1ELb0ELb1ELb0ELb0EEEvPT0_PvPT_S6_S6_PKS5_S8_S8_S8_S8_ffiiiiiiiiiiiii,@function
_ZN5aiter35fused_qk_rmsnorm_group_quant_kernelIDF16_DB8_Li64ELi8ELi4ELb1ELb1ELb0ELb1ELb0ELb0EEEvPT0_PvPT_S6_S6_PKS5_S8_S8_S8_S8_ffiiiiiiiiiiiii: ; @_ZN5aiter35fused_qk_rmsnorm_group_quant_kernelIDF16_DB8_Li64ELi8ELi4ELb1ELb1ELb0ELb1ELb0ELb0EEEvPT0_PvPT_S6_S6_PKS5_S8_S8_S8_S8_ffiiiiiiiiiiiii
; %bb.0:
	s_load_dwordx8 s[8:15], s[4:5], 0x50
	s_waitcnt lgkmcnt(0)
	s_cmp_ge_i32 s6, s10
	s_cbranch_scc1 .LBB197_15
; %bb.1:
	s_cmp_lg_u32 s7, 0
	s_cselect_b64 s[18:19], -1, 0
	s_cmp_eq_u32 s7, 0
	s_cselect_b64 s[20:21], -1, 0
	s_and_b64 s[0:1], s[20:21], exec
	s_cselect_b32 s7, s11, s12
	s_load_dwordx2 s[2:3], s[4:5], 0x30
	s_load_dwordx2 s[16:17], s[4:5], 0x48
	s_add_i32 s0, s7, 1
	s_lshr_b32 s1, s0, 31
	s_add_i32 s0, s0, s1
	s_lshl_b32 s0, s0, 1
	v_lshlrev_b32_e32 v1, 3, v0
	s_and_b32 s26, s0, -4
	v_cmp_gt_i32_e64 s[0:1], s7, v1
	v_mov_b32_e32 v2, 0
	v_mov_b32_e32 v3, 0
	;; [unrolled: 1-line block ×8, first 2 shown]
	s_and_saveexec_b64 s[10:11], s[0:1]
	s_cbranch_execz .LBB197_3
; %bb.2:
	s_load_dwordx2 s[22:23], s[4:5], 0x28
	s_load_dwordx2 s[24:25], s[4:5], 0x40
	s_and_b64 s[28:29], s[20:21], exec
	s_cselect_b32 s13, s13, s14
	v_lshlrev_b32_e32 v10, 4, v0
	s_waitcnt lgkmcnt(0)
	s_cselect_b32 s27, s23, s3
	s_cselect_b32 s28, s22, s2
	s_mul_hi_i32 s23, s13, s6
	s_mul_i32 s22, s13, s6
	s_lshl_b64 s[22:23], s[22:23], 1
	s_add_u32 s28, s28, s22
	s_addc_u32 s13, s27, s23
	s_and_b64 s[20:21], s[20:21], exec
	s_mov_b32 s27, 0x20000
	s_cselect_b32 s24, s24, s16
	s_cselect_b32 s20, s25, s17
	s_and_b32 s29, s13, 0xffff
	s_mov_b32 s30, s26
	s_mov_b32 s31, s27
	s_and_b32 s25, s20, 0xffff
	buffer_load_dwordx4 v[6:9], v10, s[28:31], 0 offen glc slc
	buffer_load_dwordx4 v[2:5], v10, s[24:27], 0 offen
.LBB197_3:
	s_or_b64 exec, exec, s[10:11]
	s_load_dwordx4 s[20:23], s[4:5], 0x7c
	s_and_b64 vcc, exec, s[18:19]
	s_cbranch_vccz .LBB197_7
; %bb.4:
	v_mov_b32_e32 v11, 0
	v_mov_b32_e32 v10, 0
	;; [unrolled: 1-line block ×8, first 2 shown]
	s_and_saveexec_b64 s[10:11], s[0:1]
	s_cbranch_execz .LBB197_6
; %bb.5:
	s_waitcnt vmcnt(1)
	v_cvt_f32_f16_sdwa v17, v6 dst_sel:DWORD dst_unused:UNUSED_PAD src0_sel:WORD_1
	v_cvt_f32_f16_e32 v16, v6
	v_cvt_f32_f16_sdwa v15, v7 dst_sel:DWORD dst_unused:UNUSED_PAD src0_sel:WORD_1
	v_cvt_f32_f16_e32 v14, v7
	;; [unrolled: 2-line block ×4, first 2 shown]
.LBB197_6:
	s_or_b64 exec, exec, s[10:11]
	s_mov_b32 s13, s9
	s_cbranch_execz .LBB197_8
	s_branch .LBB197_11
.LBB197_7:
                                        ; implicit-def: $vgpr11
                                        ; implicit-def: $vgpr13
                                        ; implicit-def: $vgpr15
                                        ; implicit-def: $vgpr17
	s_mov_b32 s13, s9
.LBB197_8:
	v_mov_b32_e32 v11, 0
	v_mov_b32_e32 v10, 0
	;; [unrolled: 1-line block ×8, first 2 shown]
	s_and_saveexec_b64 s[10:11], s[0:1]
	s_cbranch_execz .LBB197_10
; %bb.9:
	s_load_dwordx2 s[24:25], s[4:5], 0x38
	s_mul_hi_i32 s29, s15, s6
	s_mul_i32 s28, s15, s6
	s_lshl_b64 s[28:29], s[28:29], 1
	s_mov_b32 s27, 0x20000
	s_waitcnt lgkmcnt(0)
	s_add_u32 s24, s24, s28
	s_addc_u32 s13, s25, s29
	s_and_b32 s25, s13, 0xffff
	v_lshlrev_b32_e32 v26, 4, v0
	buffer_load_dwordx4 v[10:13], v26, s[24:27], 0 offen glc slc
	s_waitcnt vmcnt(2)
	v_cvt_f32_f16_sdwa v15, v6 dst_sel:DWORD dst_unused:UNUSED_PAD src0_sel:WORD_1
	v_cvt_f32_f16_e32 v14, v6
	v_cvt_f32_f16_sdwa v19, v7 dst_sel:DWORD dst_unused:UNUSED_PAD src0_sel:WORD_1
	v_cvt_f32_f16_e32 v18, v7
	;; [unrolled: 2-line block ×4, first 2 shown]
	s_load_dwordx2 s[24:25], s[4:5], 0x20
	s_mul_hi_i32 s23, s22, s6
	s_mul_i32 s22, s22, s6
	s_lshl_b64 s[22:23], s[22:23], 1
	s_waitcnt lgkmcnt(0)
	s_add_u32 s24, s24, s22
	s_addc_u32 s13, s25, s23
	s_and_b32 s25, s13, 0xffff
	s_waitcnt vmcnt(0)
	v_cvt_f32_f16_e32 v8, v10
	v_cvt_f32_f16_sdwa v9, v10 dst_sel:DWORD dst_unused:UNUSED_PAD src0_sel:WORD_1
	v_cvt_f32_f16_e32 v10, v11
	v_cvt_f32_f16_sdwa v11, v11 dst_sel:DWORD dst_unused:UNUSED_PAD src0_sel:WORD_1
	;; [unrolled: 2-line block ×4, first 2 shown]
	v_pk_add_f32 v[16:17], v[14:15], v[8:9]
	v_pk_add_f32 v[14:15], v[18:19], v[10:11]
	;; [unrolled: 1-line block ×4, first 2 shown]
	v_cvt_f16_f32_e32 v6, v17
	v_cvt_f16_f32_e32 v7, v15
	;; [unrolled: 1-line block ×8, first 2 shown]
	v_pack_b32_f16 v9, v18, v9
	v_pack_b32_f16 v8, v19, v8
	;; [unrolled: 1-line block ×4, first 2 shown]
	buffer_store_dwordx4 v[6:9], v26, s[24:27], 0 offen glc slc
	;;#ASMSTART
	s_nop 0
	;;#ASMEND
.LBB197_10:
	s_or_b64 exec, exec, s[10:11]
	s_mov_b32 s13, s8
.LBB197_11:
	s_waitcnt vmcnt(1)
	v_mul_f32_e32 v6, v17, v17
	v_fmac_f32_e32 v6, v16, v16
	v_fmac_f32_e32 v6, v14, v14
	;; [unrolled: 1-line block ×7, first 2 shown]
	v_bfrev_b32_e32 v8, 0.5
	s_load_dwordx2 s[10:11], s[4:5], 0x18
	v_mov_b32_dpp v7, v6 quad_perm:[1,0,3,2] row_mask:0xf bank_mask:0xf
	v_add_f32_e32 v6, v6, v7
	s_nop 1
	v_mov_b32_dpp v7, v6 quad_perm:[2,3,0,1] row_mask:0xf bank_mask:0xf
	v_add_f32_e32 v6, v6, v7
	s_nop 1
	v_mov_b32_dpp v7, v6 row_half_mirror row_mask:0xf bank_mask:0xf
	v_add_f32_e32 v6, v6, v7
	s_nop 1
	v_mov_b32_dpp v7, v6 row_mirror row_mask:0xf bank_mask:0xf
	v_add_f32_e32 v6, v6, v7
	s_nop 1
	v_mov_b32_dpp v7, v6 row_bcast:15 row_mask:0xf bank_mask:0xf
	v_add_f32_e32 v6, v6, v7
	s_nop 1
	v_mov_b32_dpp v7, v6 row_bcast:31 row_mask:0xf bank_mask:0xf
	v_add_f32_e32 v6, v6, v7
	v_mbcnt_lo_u32_b32 v7, -1, 0
	v_mbcnt_hi_u32_b32 v7, -1, v7
	v_lshl_or_b32 v18, v7, 2, v8
	ds_bpermute_b32 v6, v18, v6
	s_waitcnt lgkmcnt(0)
	s_and_saveexec_b64 s[22:23], s[0:1]
	s_cbranch_execnz .LBB197_16
; %bb.12:
	s_or_b64 exec, exec, s[22:23]
	s_mov_b64 s[22:23], -1
	s_and_b64 vcc, exec, s[18:19]
	s_cbranch_vccnz .LBB197_17
.LBB197_13:
	s_andn2_b64 vcc, exec, s[22:23]
	s_cbranch_vccz .LBB197_20
.LBB197_14:
	s_cmp_lt_i32 s12, 1
	s_cbranch_scc0 .LBB197_23
.LBB197_15:
	s_endpgm
.LBB197_16:
	v_cvt_f32_u32_e32 v7, s7
	s_mov_b32 s7, 0x800000
	s_waitcnt vmcnt(0)
	v_cvt_f32_f16_sdwa v23, v5 dst_sel:DWORD dst_unused:UNUSED_PAD src0_sel:WORD_1
	v_cvt_f32_f16_e32 v22, v5
	v_div_scale_f32 v8, s[24:25], v7, v7, v6
	v_rcp_f32_e32 v9, v8
	v_div_scale_f32 v19, vcc, v6, v7, v6
	v_fma_f32 v20, -v8, v9, 1.0
	v_fmac_f32_e32 v9, v20, v9
	v_mul_f32_e32 v20, v19, v9
	v_fma_f32 v21, -v8, v20, v19
	v_fmac_f32_e32 v20, v21, v9
	v_fma_f32 v8, -v8, v20, v19
	v_div_fmas_f32 v8, v8, v9, v20
	v_div_fixup_f32 v6, v8, v7, v6
	v_add_f32_e32 v6, s13, v6
	v_mul_f32_e32 v7, 0x4b800000, v6
	v_cmp_gt_f32_e32 vcc, s7, v6
	v_cndmask_b32_e32 v6, v6, v7, vcc
	v_rsq_f32_e32 v6, v6
	v_cvt_f32_f16_sdwa v21, v3 dst_sel:DWORD dst_unused:UNUSED_PAD src0_sel:WORD_1
	v_cvt_f32_f16_e32 v20, v3
	v_cvt_f32_f16_sdwa v3, v4 dst_sel:DWORD dst_unused:UNUSED_PAD src0_sel:WORD_1
	v_mul_f32_e32 v7, 0x45800000, v6
	v_cndmask_b32_e32 v6, v6, v7, vcc
	v_mov_b32_e32 v7, v6
	;;#ASMSTART
	v_pk_mul_f32 v[8:9], v[16:17], v[6:7]
	;;#ASMEND
	;;#ASMSTART
	v_pk_mul_f32 v[14:15], v[14:15], v[6:7]
	;;#ASMEND
	;; [unrolled: 3-line block ×4, first 2 shown]
	v_cvt_f32_f16_sdwa v11, v2 dst_sel:DWORD dst_unused:UNUSED_PAD src0_sel:WORD_1
	v_cvt_f32_f16_e32 v10, v2
	v_cvt_f32_f16_e32 v2, v4
	;;#ASMSTART
	v_pk_mul_f32 v[16:17], v[8:9], v[10:11]
	;;#ASMEND
	;;#ASMSTART
	v_pk_mul_f32 v[14:15], v[14:15], v[20:21]
	;;#ASMEND
	;; [unrolled: 3-line block ×4, first 2 shown]
	s_or_b64 exec, exec, s[22:23]
	s_mov_b64 s[22:23], -1
	s_and_b64 vcc, exec, s[18:19]
	s_cbranch_vccz .LBB197_13
.LBB197_17:
	s_and_saveexec_b64 s[18:19], s[0:1]
	s_cbranch_execz .LBB197_19
; %bb.18:
	s_mul_hi_i32 s23, s21, s6
	s_mul_i32 s22, s21, s6
	s_waitcnt vmcnt(0)
	v_cvt_f16_f32_e32 v2, v16
	v_cvt_f16_f32_e32 v3, v14
	;; [unrolled: 1-line block ×8, first 2 shown]
	s_lshl_b64 s[22:23], s[22:23], 1
	s_add_u32 s24, s10, s22
	s_addc_u32 s7, s11, s23
	s_and_b32 s25, s7, 0xffff
	s_mov_b32 s27, 0x20000
	v_pack_b32_f16 v5, v5, v6
	v_pack_b32_f16 v4, v4, v7
	;; [unrolled: 1-line block ×4, first 2 shown]
	v_lshlrev_b32_e32 v6, 4, v0
	buffer_store_dwordx4 v[2:5], v6, s[24:27], 0 offen
	;;#ASMSTART
	s_nop 0
	;;#ASMEND
.LBB197_19:
	s_or_b64 exec, exec, s[18:19]
	s_cbranch_execnz .LBB197_14
.LBB197_20:
	s_and_saveexec_b64 s[18:19], s[0:1]
	s_cbranch_execz .LBB197_22
; %bb.21:
	s_load_dwordx2 s[0:1], s[4:5], 0x10
	s_mul_hi_i32 s23, s20, s6
	s_mul_i32 s22, s20, s6
	s_waitcnt vmcnt(0)
	v_cvt_f16_f32_e32 v2, v16
	v_cvt_f16_f32_e32 v3, v14
	;; [unrolled: 1-line block ×8, first 2 shown]
	s_lshl_b64 s[22:23], s[22:23], 1
	s_waitcnt lgkmcnt(0)
	s_add_u32 s24, s0, s22
	s_addc_u32 s0, s1, s23
	s_mov_b32 s27, 0x20000
	s_and_b32 s25, s0, 0xffff
	v_pack_b32_f16 v5, v5, v6
	v_pack_b32_f16 v4, v4, v7
	v_pack_b32_f16 v3, v3, v8
	v_pack_b32_f16 v2, v2, v9
	v_lshlrev_b32_e32 v6, 4, v0
	buffer_store_dwordx4 v[2:5], v6, s[24:27], 0 offen
	;;#ASMSTART
	s_nop 0
	;;#ASMEND
.LBB197_22:
	s_or_b64 exec, exec, s[18:19]
	s_cmp_lt_i32 s12, 1
	s_cbranch_scc1 .LBB197_15
.LBB197_23:
	s_load_dword s0, s[4:5], 0x94
	s_waitcnt lgkmcnt(0)
	s_cmp_lg_u32 s0, 1
	s_cbranch_scc1 .LBB197_15
; %bb.24:
	s_lshl_b32 s0, s12, 1
	s_add_i32 s0, s0, 2
	v_cmp_gt_u32_e32 vcc, s12, v1
	s_and_b32 s18, s0, -4
	v_mov_b32_e32 v8, 0
	v_lshlrev_b32_e32 v16, 4, v0
	s_waitcnt vmcnt(0)
	v_mov_b32_e32 v4, 0
	v_mov_b32_e32 v5, 0
	;; [unrolled: 1-line block ×8, first 2 shown]
	s_barrier
	s_and_saveexec_b64 s[0:1], vcc
	s_cbranch_execz .LBB197_26
; %bb.25:
	s_mul_hi_i32 s5, s14, s6
	s_mul_i32 s4, s14, s6
	s_and_b32 s17, s17, 0xffff
	s_lshl_b64 s[4:5], s[4:5], 1
	s_add_u32 s24, s2, s4
	s_mov_b32 s19, 0x20000
	s_addc_u32 s2, s3, s5
	s_and_b32 s25, s2, 0xffff
	s_mov_b32 s26, s18
	s_mov_b32 s27, s19
	buffer_load_dwordx4 v[4:7], v16, s[24:27], 0 offen glc slc
	buffer_load_dwordx4 v[0:3], v16, s[16:19], 0 offen
.LBB197_26:
	s_or_b64 exec, exec, s[0:1]
	v_mov_b32_e32 v9, 0
	v_mov_b32_e32 v14, 0
	;; [unrolled: 1-line block ×7, first 2 shown]
	s_and_saveexec_b64 s[0:1], vcc
	s_cbranch_execz .LBB197_28
; %bb.27:
	s_waitcnt vmcnt(1)
	v_cvt_f32_f16_sdwa v9, v4 dst_sel:DWORD dst_unused:UNUSED_PAD src0_sel:WORD_1
	v_cvt_f32_f16_e32 v8, v4
	v_cvt_f32_f16_sdwa v15, v5 dst_sel:DWORD dst_unused:UNUSED_PAD src0_sel:WORD_1
	v_cvt_f32_f16_e32 v14, v5
	;; [unrolled: 2-line block ×4, first 2 shown]
.LBB197_28:
	s_or_b64 exec, exec, s[0:1]
	s_waitcnt vmcnt(1)
	v_mul_f32_e32 v4, v9, v9
	v_fmac_f32_e32 v4, v8, v8
	v_fmac_f32_e32 v4, v14, v14
	;; [unrolled: 1-line block ×7, first 2 shown]
	s_nop 1
	v_mov_b32_dpp v5, v4 quad_perm:[1,0,3,2] row_mask:0xf bank_mask:0xf
	v_add_f32_e32 v4, v4, v5
	s_nop 1
	v_mov_b32_dpp v5, v4 quad_perm:[2,3,0,1] row_mask:0xf bank_mask:0xf
	v_add_f32_e32 v4, v4, v5
	s_nop 1
	v_mov_b32_dpp v5, v4 row_half_mirror row_mask:0xf bank_mask:0xf
	v_add_f32_e32 v4, v4, v5
	s_nop 1
	v_mov_b32_dpp v5, v4 row_mirror row_mask:0xf bank_mask:0xf
	v_add_f32_e32 v4, v4, v5
	s_nop 1
	v_mov_b32_dpp v5, v4 row_bcast:15 row_mask:0xf bank_mask:0xf
	v_add_f32_e32 v4, v4, v5
	s_nop 1
	v_mov_b32_dpp v5, v4 row_bcast:31 row_mask:0xf bank_mask:0xf
	v_add_f32_e32 v4, v4, v5
	ds_bpermute_b32 v4, v18, v4
	s_and_saveexec_b64 s[0:1], vcc
	s_cbranch_execz .LBB197_15
; %bb.29:
	v_cvt_f32_u32_e32 v5, s12
	s_mov_b32 s19, 0x20000
	s_waitcnt lgkmcnt(0)
	v_div_scale_f32 v6, s[0:1], v5, v5, v4
	v_rcp_f32_e32 v7, v6
	v_div_scale_f32 v17, vcc, v4, v5, v4
	s_mov_b32 s0, 0x800000
	v_fma_f32 v18, -v6, v7, 1.0
	v_fmac_f32_e32 v7, v18, v7
	v_mul_f32_e32 v18, v17, v7
	v_fma_f32 v19, -v6, v18, v17
	v_fmac_f32_e32 v18, v19, v7
	v_fma_f32 v6, -v6, v18, v17
	v_div_fmas_f32 v6, v6, v7, v18
	v_div_fixup_f32 v4, v6, v5, v4
	v_add_f32_e32 v4, s9, v4
	v_mul_f32_e32 v5, 0x4b800000, v4
	v_cmp_gt_f32_e32 vcc, s0, v4
	v_cndmask_b32_e32 v4, v4, v5, vcc
	v_rsq_f32_e32 v4, v4
	s_waitcnt vmcnt(0)
	v_cvt_f32_f16_sdwa v19, v3 dst_sel:DWORD dst_unused:UNUSED_PAD src0_sel:WORD_1
	v_cvt_f32_f16_e32 v18, v3
	s_mul_hi_i32 s1, s21, s6
	v_mul_f32_e32 v5, 0x45800000, v4
	v_cndmask_b32_e32 v4, v4, v5, vcc
	v_mov_b32_e32 v5, v4
	;;#ASMSTART
	v_pk_mul_f32 v[6:7], v[8:9], v[4:5]
	;;#ASMEND
	;;#ASMSTART
	v_pk_mul_f32 v[8:9], v[14:15], v[4:5]
	;;#ASMEND
	;; [unrolled: 3-line block ×4, first 2 shown]
	v_cvt_f32_f16_sdwa v11, v0 dst_sel:DWORD dst_unused:UNUSED_PAD src0_sel:WORD_1
	v_cvt_f32_f16_e32 v10, v0
	v_cvt_f32_f16_sdwa v15, v1 dst_sel:DWORD dst_unused:UNUSED_PAD src0_sel:WORD_1
	v_cvt_f32_f16_e32 v14, v1
	;; [unrolled: 2-line block ×3, first 2 shown]
	;;#ASMSTART
	v_pk_mul_f32 v[2:3], v[6:7], v[10:11]
	;;#ASMEND
	;;#ASMSTART
	v_pk_mul_f32 v[6:7], v[8:9], v[14:15]
	;;#ASMEND
	;; [unrolled: 3-line block ×4, first 2 shown]
	s_mul_i32 s0, s21, s6
	v_cvt_f16_f32_e32 v2, v2
	v_cvt_f16_f32_e32 v3, v3
	;; [unrolled: 1-line block ×8, first 2 shown]
	s_lshl_b64 s[0:1], s[0:1], 1
	s_add_u32 s16, s10, s0
	s_addc_u32 s0, s11, s1
	s_and_b32 s17, s0, 0xffff
	v_pack_b32_f16 v0, v2, v3
	v_pack_b32_f16 v1, v6, v7
	;; [unrolled: 1-line block ×4, first 2 shown]
	buffer_store_dwordx4 v[0:3], v16, s[16:19], 0 offen
	;;#ASMSTART
	s_nop 0
	;;#ASMEND
	s_endpgm
	.section	.rodata,"a",@progbits
	.p2align	6, 0x0
	.amdhsa_kernel _ZN5aiter35fused_qk_rmsnorm_group_quant_kernelIDF16_DB8_Li64ELi8ELi4ELb1ELb1ELb0ELb1ELb0ELb0EEEvPT0_PvPT_S6_S6_PKS5_S8_S8_S8_S8_ffiiiiiiiiiiiii
		.amdhsa_group_segment_fixed_size 0
		.amdhsa_private_segment_fixed_size 0
		.amdhsa_kernarg_size 400
		.amdhsa_user_sgpr_count 6
		.amdhsa_user_sgpr_private_segment_buffer 1
		.amdhsa_user_sgpr_dispatch_ptr 0
		.amdhsa_user_sgpr_queue_ptr 0
		.amdhsa_user_sgpr_kernarg_segment_ptr 1
		.amdhsa_user_sgpr_dispatch_id 0
		.amdhsa_user_sgpr_flat_scratch_init 0
		.amdhsa_user_sgpr_kernarg_preload_length 0
		.amdhsa_user_sgpr_kernarg_preload_offset 0
		.amdhsa_user_sgpr_private_segment_size 0
		.amdhsa_uses_dynamic_stack 0
		.amdhsa_system_sgpr_private_segment_wavefront_offset 0
		.amdhsa_system_sgpr_workgroup_id_x 1
		.amdhsa_system_sgpr_workgroup_id_y 1
		.amdhsa_system_sgpr_workgroup_id_z 0
		.amdhsa_system_sgpr_workgroup_info 0
		.amdhsa_system_vgpr_workitem_id 0
		.amdhsa_next_free_vgpr 27
		.amdhsa_next_free_sgpr 32
		.amdhsa_accum_offset 28
		.amdhsa_reserve_vcc 1
		.amdhsa_reserve_flat_scratch 0
		.amdhsa_float_round_mode_32 0
		.amdhsa_float_round_mode_16_64 0
		.amdhsa_float_denorm_mode_32 3
		.amdhsa_float_denorm_mode_16_64 3
		.amdhsa_dx10_clamp 1
		.amdhsa_ieee_mode 1
		.amdhsa_fp16_overflow 0
		.amdhsa_tg_split 0
		.amdhsa_exception_fp_ieee_invalid_op 0
		.amdhsa_exception_fp_denorm_src 0
		.amdhsa_exception_fp_ieee_div_zero 0
		.amdhsa_exception_fp_ieee_overflow 0
		.amdhsa_exception_fp_ieee_underflow 0
		.amdhsa_exception_fp_ieee_inexact 0
		.amdhsa_exception_int_div_zero 0
	.end_amdhsa_kernel
	.section	.text._ZN5aiter35fused_qk_rmsnorm_group_quant_kernelIDF16_DB8_Li64ELi8ELi4ELb1ELb1ELb0ELb1ELb0ELb0EEEvPT0_PvPT_S6_S6_PKS5_S8_S8_S8_S8_ffiiiiiiiiiiiii,"axG",@progbits,_ZN5aiter35fused_qk_rmsnorm_group_quant_kernelIDF16_DB8_Li64ELi8ELi4ELb1ELb1ELb0ELb1ELb0ELb0EEEvPT0_PvPT_S6_S6_PKS5_S8_S8_S8_S8_ffiiiiiiiiiiiii,comdat
.Lfunc_end197:
	.size	_ZN5aiter35fused_qk_rmsnorm_group_quant_kernelIDF16_DB8_Li64ELi8ELi4ELb1ELb1ELb0ELb1ELb0ELb0EEEvPT0_PvPT_S6_S6_PKS5_S8_S8_S8_S8_ffiiiiiiiiiiiii, .Lfunc_end197-_ZN5aiter35fused_qk_rmsnorm_group_quant_kernelIDF16_DB8_Li64ELi8ELi4ELb1ELb1ELb0ELb1ELb0ELb0EEEvPT0_PvPT_S6_S6_PKS5_S8_S8_S8_S8_ffiiiiiiiiiiiii
                                        ; -- End function
	.section	.AMDGPU.csdata,"",@progbits
; Kernel info:
; codeLenInByte = 2288
; NumSgprs: 36
; NumVgprs: 27
; NumAgprs: 0
; TotalNumVgprs: 27
; ScratchSize: 0
; MemoryBound: 0
; FloatMode: 240
; IeeeMode: 1
; LDSByteSize: 0 bytes/workgroup (compile time only)
; SGPRBlocks: 4
; VGPRBlocks: 3
; NumSGPRsForWavesPerEU: 36
; NumVGPRsForWavesPerEU: 27
; AccumOffset: 28
; Occupancy: 8
; WaveLimiterHint : 0
; COMPUTE_PGM_RSRC2:SCRATCH_EN: 0
; COMPUTE_PGM_RSRC2:USER_SGPR: 6
; COMPUTE_PGM_RSRC2:TRAP_HANDLER: 0
; COMPUTE_PGM_RSRC2:TGID_X_EN: 1
; COMPUTE_PGM_RSRC2:TGID_Y_EN: 1
; COMPUTE_PGM_RSRC2:TGID_Z_EN: 0
; COMPUTE_PGM_RSRC2:TIDIG_COMP_CNT: 0
; COMPUTE_PGM_RSRC3_GFX90A:ACCUM_OFFSET: 6
; COMPUTE_PGM_RSRC3_GFX90A:TG_SPLIT: 0
	.section	.text._ZN5aiter35fused_qk_rmsnorm_group_quant_kernelItDB8_Li64ELi8ELi4ELb1ELb1ELb0ELb1ELb0ELb0EEEvPT0_PvPT_S6_S6_PKS5_S8_S8_S8_S8_ffiiiiiiiiiiiii,"axG",@progbits,_ZN5aiter35fused_qk_rmsnorm_group_quant_kernelItDB8_Li64ELi8ELi4ELb1ELb1ELb0ELb1ELb0ELb0EEEvPT0_PvPT_S6_S6_PKS5_S8_S8_S8_S8_ffiiiiiiiiiiiii,comdat
	.protected	_ZN5aiter35fused_qk_rmsnorm_group_quant_kernelItDB8_Li64ELi8ELi4ELb1ELb1ELb0ELb1ELb0ELb0EEEvPT0_PvPT_S6_S6_PKS5_S8_S8_S8_S8_ffiiiiiiiiiiiii ; -- Begin function _ZN5aiter35fused_qk_rmsnorm_group_quant_kernelItDB8_Li64ELi8ELi4ELb1ELb1ELb0ELb1ELb0ELb0EEEvPT0_PvPT_S6_S6_PKS5_S8_S8_S8_S8_ffiiiiiiiiiiiii
	.globl	_ZN5aiter35fused_qk_rmsnorm_group_quant_kernelItDB8_Li64ELi8ELi4ELb1ELb1ELb0ELb1ELb0ELb0EEEvPT0_PvPT_S6_S6_PKS5_S8_S8_S8_S8_ffiiiiiiiiiiiii
	.p2align	8
	.type	_ZN5aiter35fused_qk_rmsnorm_group_quant_kernelItDB8_Li64ELi8ELi4ELb1ELb1ELb0ELb1ELb0ELb0EEEvPT0_PvPT_S6_S6_PKS5_S8_S8_S8_S8_ffiiiiiiiiiiiii,@function
_ZN5aiter35fused_qk_rmsnorm_group_quant_kernelItDB8_Li64ELi8ELi4ELb1ELb1ELb0ELb1ELb0ELb0EEEvPT0_PvPT_S6_S6_PKS5_S8_S8_S8_S8_ffiiiiiiiiiiiii: ; @_ZN5aiter35fused_qk_rmsnorm_group_quant_kernelItDB8_Li64ELi8ELi4ELb1ELb1ELb0ELb1ELb0ELb0EEEvPT0_PvPT_S6_S6_PKS5_S8_S8_S8_S8_ffiiiiiiiiiiiii
; %bb.0:
	s_load_dwordx8 s[8:15], s[4:5], 0x50
	s_waitcnt lgkmcnt(0)
	s_cmp_ge_i32 s6, s10
	s_cbranch_scc1 .LBB198_15
; %bb.1:
	s_cmp_lg_u32 s7, 0
	s_cselect_b64 s[18:19], -1, 0
	s_cmp_eq_u32 s7, 0
	s_cselect_b64 s[20:21], -1, 0
	s_and_b64 s[0:1], s[20:21], exec
	s_cselect_b32 s7, s11, s12
	s_load_dwordx2 s[2:3], s[4:5], 0x30
	s_load_dwordx2 s[16:17], s[4:5], 0x48
	s_add_i32 s0, s7, 1
	s_lshr_b32 s1, s0, 31
	s_add_i32 s0, s0, s1
	s_lshl_b32 s0, s0, 1
	v_lshlrev_b32_e32 v1, 3, v0
	s_and_b32 s26, s0, -4
	v_cmp_gt_i32_e64 s[0:1], s7, v1
	v_mov_b32_e32 v10, 0
	v_mov_b32_e32 v11, 0
	;; [unrolled: 1-line block ×8, first 2 shown]
	s_and_saveexec_b64 s[10:11], s[0:1]
	s_cbranch_execz .LBB198_3
; %bb.2:
	s_load_dwordx2 s[22:23], s[4:5], 0x28
	s_load_dwordx2 s[24:25], s[4:5], 0x40
	s_and_b64 s[28:29], s[20:21], exec
	s_cselect_b32 s13, s13, s14
	v_lshlrev_b32_e32 v2, 4, v0
	s_waitcnt lgkmcnt(0)
	s_cselect_b32 s27, s23, s3
	s_cselect_b32 s28, s22, s2
	s_mul_hi_i32 s23, s13, s6
	s_mul_i32 s22, s13, s6
	s_lshl_b64 s[22:23], s[22:23], 1
	s_add_u32 s28, s28, s22
	s_addc_u32 s13, s27, s23
	s_and_b64 s[20:21], s[20:21], exec
	s_mov_b32 s27, 0x20000
	s_cselect_b32 s24, s24, s16
	s_cselect_b32 s20, s25, s17
	s_and_b32 s29, s13, 0xffff
	s_mov_b32 s30, s26
	s_mov_b32 s31, s27
	s_and_b32 s25, s20, 0xffff
	buffer_load_dwordx4 v[14:17], v2, s[28:31], 0 offen glc slc
	buffer_load_dwordx4 v[10:13], v2, s[24:27], 0 offen
.LBB198_3:
	s_or_b64 exec, exec, s[10:11]
	s_load_dwordx4 s[20:23], s[4:5], 0x7c
	s_and_b64 vcc, exec, s[18:19]
	s_cbranch_vccz .LBB198_7
; %bb.4:
	s_mov_b32 s36, 0
	s_mov_b32 s37, s36
	s_mov_b32 s38, s36
	s_mov_b32 s39, s36
	s_mov_b32 s40, s36
	s_mov_b32 s41, s36
	s_mov_b32 s42, s36
	s_mov_b32 s43, s36
	v_pk_mov_b32 v[2:3], s[36:37], s[36:37] op_sel:[0,1]
	v_pk_mov_b32 v[4:5], s[38:39], s[38:39] op_sel:[0,1]
	;; [unrolled: 1-line block ×4, first 2 shown]
	s_and_saveexec_b64 s[10:11], s[0:1]
	s_cbranch_execz .LBB198_6
; %bb.5:
	s_waitcnt vmcnt(1)
	v_cvt_f32_u32_sdwa v3, v14 dst_sel:DWORD dst_unused:UNUSED_PAD src0_sel:WORD_1
	v_cvt_f32_u32_sdwa v2, v14 dst_sel:DWORD dst_unused:UNUSED_PAD src0_sel:WORD_0
	v_cvt_f32_u32_sdwa v5, v15 dst_sel:DWORD dst_unused:UNUSED_PAD src0_sel:WORD_1
	v_cvt_f32_u32_sdwa v4, v15 dst_sel:DWORD dst_unused:UNUSED_PAD src0_sel:WORD_0
	v_cvt_f32_u32_sdwa v7, v16 dst_sel:DWORD dst_unused:UNUSED_PAD src0_sel:WORD_1
	v_cvt_f32_u32_sdwa v6, v16 dst_sel:DWORD dst_unused:UNUSED_PAD src0_sel:WORD_0
	v_cvt_f32_u32_sdwa v9, v17 dst_sel:DWORD dst_unused:UNUSED_PAD src0_sel:WORD_1
	v_cvt_f32_u32_sdwa v8, v17 dst_sel:DWORD dst_unused:UNUSED_PAD src0_sel:WORD_0
.LBB198_6:
	s_or_b64 exec, exec, s[10:11]
	s_mov_b32 s13, s9
	s_cbranch_execz .LBB198_8
	s_branch .LBB198_11
.LBB198_7:
                                        ; implicit-def: $vgpr2_vgpr3_vgpr4_vgpr5_vgpr6_vgpr7_vgpr8_vgpr9
	s_mov_b32 s13, s9
.LBB198_8:
	s_mov_b32 s36, 0
	s_mov_b32 s37, s36
	;; [unrolled: 1-line block ×8, first 2 shown]
	v_pk_mov_b32 v[2:3], s[36:37], s[36:37] op_sel:[0,1]
	v_pk_mov_b32 v[4:5], s[38:39], s[38:39] op_sel:[0,1]
	;; [unrolled: 1-line block ×4, first 2 shown]
	s_and_saveexec_b64 s[10:11], s[0:1]
	s_cbranch_execz .LBB198_10
; %bb.9:
	s_load_dwordx2 s[24:25], s[4:5], 0x38
	s_mul_hi_i32 s29, s15, s6
	s_mul_i32 s28, s15, s6
	s_lshl_b64 s[28:29], s[28:29], 1
	s_mov_b32 s27, 0x20000
	s_waitcnt lgkmcnt(0)
	s_add_u32 s24, s24, s28
	s_addc_u32 s13, s25, s29
	s_and_b32 s25, s13, 0xffff
	v_lshlrev_b32_e32 v26, 4, v0
	buffer_load_dwordx4 v[2:5], v26, s[24:27], 0 offen glc slc
	s_load_dwordx2 s[24:25], s[4:5], 0x20
	s_waitcnt vmcnt(2)
	v_cvt_f32_u32_sdwa v7, v14 dst_sel:DWORD dst_unused:UNUSED_PAD src0_sel:WORD_1
	v_cvt_f32_u32_sdwa v6, v14 dst_sel:DWORD dst_unused:UNUSED_PAD src0_sel:WORD_0
	v_cvt_f32_u32_sdwa v9, v15 dst_sel:DWORD dst_unused:UNUSED_PAD src0_sel:WORD_1
	v_cvt_f32_u32_sdwa v8, v15 dst_sel:DWORD dst_unused:UNUSED_PAD src0_sel:WORD_0
	v_cvt_f32_u32_sdwa v15, v16 dst_sel:DWORD dst_unused:UNUSED_PAD src0_sel:WORD_1
	v_cvt_f32_u32_sdwa v14, v16 dst_sel:DWORD dst_unused:UNUSED_PAD src0_sel:WORD_0
	v_cvt_f32_u32_sdwa v19, v17 dst_sel:DWORD dst_unused:UNUSED_PAD src0_sel:WORD_1
	v_cvt_f32_u32_sdwa v18, v17 dst_sel:DWORD dst_unused:UNUSED_PAD src0_sel:WORD_0
	s_mul_hi_i32 s23, s22, s6
	s_mul_i32 s22, s22, s6
	s_lshl_b64 s[22:23], s[22:23], 1
	s_waitcnt lgkmcnt(0)
	s_add_u32 s24, s24, s22
	s_mov_b32 s13, 0x7060302
	s_addc_u32 s15, s25, s23
	s_and_b32 s25, s15, 0xffff
	s_waitcnt vmcnt(0)
	v_cvt_f32_u32_sdwa v17, v2 dst_sel:DWORD dst_unused:UNUSED_PAD src0_sel:WORD_1
	v_cvt_f32_u32_sdwa v16, v2 dst_sel:DWORD dst_unused:UNUSED_PAD src0_sel:WORD_0
	v_cvt_f32_u32_sdwa v21, v3 dst_sel:DWORD dst_unused:UNUSED_PAD src0_sel:WORD_1
	v_cvt_f32_u32_sdwa v20, v3 dst_sel:DWORD dst_unused:UNUSED_PAD src0_sel:WORD_0
	;; [unrolled: 2-line block ×4, first 2 shown]
	v_pk_add_f32 v[2:3], v[6:7], v[16:17]
	v_pk_add_f32 v[4:5], v[8:9], v[20:21]
	;; [unrolled: 1-line block ×4, first 2 shown]
	v_perm_b32 v17, v9, v8, s13
	v_perm_b32 v16, v7, v6, s13
	;; [unrolled: 1-line block ×4, first 2 shown]
	buffer_store_dwordx4 v[14:17], v26, s[24:27], 0 offen glc slc
	;;#ASMSTART
	s_nop 0
	;;#ASMEND
.LBB198_10:
	s_or_b64 exec, exec, s[10:11]
	s_mov_b32 s13, s8
.LBB198_11:
	s_waitcnt vmcnt(1)
	v_mul_f32_e32 v14, v3, v3
	v_fmac_f32_e32 v14, v2, v2
	v_fmac_f32_e32 v14, v4, v4
	;; [unrolled: 1-line block ×7, first 2 shown]
	v_bfrev_b32_e32 v16, 0.5
	s_load_dwordx2 s[10:11], s[4:5], 0x18
	v_mov_b32_dpp v15, v14 quad_perm:[1,0,3,2] row_mask:0xf bank_mask:0xf
	v_add_f32_e32 v14, v14, v15
	s_nop 1
	v_mov_b32_dpp v15, v14 quad_perm:[2,3,0,1] row_mask:0xf bank_mask:0xf
	v_add_f32_e32 v14, v14, v15
	s_nop 1
	v_mov_b32_dpp v15, v14 row_half_mirror row_mask:0xf bank_mask:0xf
	v_add_f32_e32 v14, v14, v15
	s_nop 1
	v_mov_b32_dpp v15, v14 row_mirror row_mask:0xf bank_mask:0xf
	v_add_f32_e32 v14, v14, v15
	s_nop 1
	v_mov_b32_dpp v15, v14 row_bcast:15 row_mask:0xf bank_mask:0xf
	v_add_f32_e32 v14, v14, v15
	s_nop 1
	v_mov_b32_dpp v15, v14 row_bcast:31 row_mask:0xf bank_mask:0xf
	v_add_f32_e32 v15, v14, v15
	v_mbcnt_lo_u32_b32 v14, -1, 0
	v_mbcnt_hi_u32_b32 v14, -1, v14
	v_lshl_or_b32 v14, v14, 2, v16
	ds_bpermute_b32 v15, v14, v15
	s_waitcnt lgkmcnt(0)
	s_and_saveexec_b64 s[22:23], s[0:1]
	s_cbranch_execnz .LBB198_16
; %bb.12:
	s_or_b64 exec, exec, s[22:23]
	s_mov_b64 s[22:23], -1
	s_and_b64 vcc, exec, s[18:19]
	s_cbranch_vccnz .LBB198_17
.LBB198_13:
	s_andn2_b64 vcc, exec, s[22:23]
	s_cbranch_vccz .LBB198_20
.LBB198_14:
	s_cmp_lt_i32 s12, 1
	s_cbranch_scc0 .LBB198_23
.LBB198_15:
	s_endpgm
.LBB198_16:
	v_cvt_f32_u32_e32 v16, s7
	s_mov_b32 s7, 0x800000
	v_div_scale_f32 v17, s[24:25], v16, v16, v15
	v_rcp_f32_e32 v18, v17
	v_div_scale_f32 v19, vcc, v15, v16, v15
	v_fma_f32 v20, -v17, v18, 1.0
	v_fmac_f32_e32 v18, v20, v18
	v_mul_f32_e32 v20, v19, v18
	v_fma_f32 v21, -v17, v20, v19
	v_fmac_f32_e32 v20, v21, v18
	v_fma_f32 v17, -v17, v20, v19
	v_div_fmas_f32 v17, v17, v18, v20
	v_div_fixup_f32 v15, v17, v16, v15
	v_add_f32_e32 v15, s13, v15
	v_mul_f32_e32 v16, 0x4b800000, v15
	v_cmp_gt_f32_e32 vcc, s7, v15
	v_cndmask_b32_e32 v15, v15, v16, vcc
	v_rsq_f32_e32 v15, v15
	s_waitcnt vmcnt(0)
	v_cvt_f32_u32_sdwa v19, v11 dst_sel:DWORD dst_unused:UNUSED_PAD src0_sel:WORD_1
	v_cvt_f32_u32_sdwa v18, v11 dst_sel:DWORD dst_unused:UNUSED_PAD src0_sel:WORD_0
	v_cvt_f32_u32_sdwa v11, v12 dst_sel:DWORD dst_unused:UNUSED_PAD src0_sel:WORD_1
	v_mul_f32_e32 v16, 0x45800000, v15
	v_cndmask_b32_e32 v16, v15, v16, vcc
	v_mov_b32_e32 v17, v16
	;;#ASMSTART
	v_pk_mul_f32 v[2:3], v[2:3], v[16:17]
	;;#ASMEND
	;;#ASMSTART
	v_pk_mul_f32 v[4:5], v[4:5], v[16:17]
	;;#ASMEND
	;; [unrolled: 3-line block ×4, first 2 shown]
	v_cvt_f32_u32_sdwa v17, v10 dst_sel:DWORD dst_unused:UNUSED_PAD src0_sel:WORD_1
	v_cvt_f32_u32_sdwa v16, v10 dst_sel:DWORD dst_unused:UNUSED_PAD src0_sel:WORD_0
	v_cvt_f32_u32_sdwa v10, v12 dst_sel:DWORD dst_unused:UNUSED_PAD src0_sel:WORD_0
	v_cvt_f32_u32_sdwa v21, v13 dst_sel:DWORD dst_unused:UNUSED_PAD src0_sel:WORD_1
	v_cvt_f32_u32_sdwa v20, v13 dst_sel:DWORD dst_unused:UNUSED_PAD src0_sel:WORD_0
	;;#ASMSTART
	v_pk_mul_f32 v[2:3], v[2:3], v[16:17]
	;;#ASMEND
	;;#ASMSTART
	v_pk_mul_f32 v[4:5], v[4:5], v[18:19]
	;;#ASMEND
	;; [unrolled: 3-line block ×4, first 2 shown]
	s_or_b64 exec, exec, s[22:23]
	s_mov_b64 s[22:23], -1
	s_and_b64 vcc, exec, s[18:19]
	s_cbranch_vccz .LBB198_13
.LBB198_17:
	s_and_saveexec_b64 s[18:19], s[0:1]
	s_cbranch_execz .LBB198_19
; %bb.18:
	s_mul_hi_i32 s23, s21, s6
	s_mul_i32 s22, s21, s6
	s_lshl_b64 s[22:23], s[22:23], 1
	s_add_u32 s24, s10, s22
	s_addc_u32 s7, s11, s23
	s_and_b32 s25, s7, 0xffff
	s_mov_b32 s7, 0x7060302
	s_mov_b32 s27, 0x20000
	s_waitcnt vmcnt(0)
	v_perm_b32 v10, v3, v2, s7
	v_perm_b32 v11, v5, v4, s7
	;; [unrolled: 1-line block ×4, first 2 shown]
	v_lshlrev_b32_e32 v15, 4, v0
	buffer_store_dwordx4 v[10:13], v15, s[24:27], 0 offen
	;;#ASMSTART
	s_nop 0
	;;#ASMEND
.LBB198_19:
	s_or_b64 exec, exec, s[18:19]
	s_cbranch_execnz .LBB198_14
.LBB198_20:
	s_and_saveexec_b64 s[18:19], s[0:1]
	s_cbranch_execz .LBB198_22
; %bb.21:
	s_load_dwordx2 s[0:1], s[4:5], 0x10
	s_mul_hi_i32 s23, s20, s6
	s_mul_i32 s22, s20, s6
	s_lshl_b64 s[22:23], s[22:23], 1
	s_mov_b32 s27, 0x20000
	s_waitcnt lgkmcnt(0)
	s_add_u32 s24, s0, s22
	s_addc_u32 s0, s1, s23
	s_and_b32 s25, s0, 0xffff
	s_mov_b32 s0, 0x7060302
	v_perm_b32 v2, v3, v2, s0
	v_perm_b32 v3, v5, v4, s0
	;; [unrolled: 1-line block ×4, first 2 shown]
	v_lshlrev_b32_e32 v6, 4, v0
	buffer_store_dwordx4 v[2:5], v6, s[24:27], 0 offen
	;;#ASMSTART
	s_nop 0
	;;#ASMEND
.LBB198_22:
	s_or_b64 exec, exec, s[18:19]
	s_cmp_lt_i32 s12, 1
	s_cbranch_scc1 .LBB198_15
.LBB198_23:
	s_load_dword s0, s[4:5], 0x94
	s_waitcnt lgkmcnt(0)
	s_cmp_lg_u32 s0, 1
	s_cbranch_scc1 .LBB198_15
; %bb.24:
	s_lshl_b32 s0, s12, 1
	s_add_i32 s0, s0, 2
	v_cmp_gt_u32_e32 vcc, s12, v1
	s_and_b32 s18, s0, -4
	v_mov_b32_e32 v4, 0
	s_waitcnt vmcnt(0)
	v_lshlrev_b32_e32 v12, 4, v0
	v_mov_b32_e32 v5, 0
	v_mov_b32_e32 v6, 0
	;; [unrolled: 1-line block ×7, first 2 shown]
	s_barrier
	s_and_saveexec_b64 s[0:1], vcc
	s_cbranch_execz .LBB198_26
; %bb.25:
	s_mul_hi_i32 s5, s14, s6
	s_mul_i32 s4, s14, s6
	s_and_b32 s17, s17, 0xffff
	s_lshl_b64 s[4:5], s[4:5], 1
	s_add_u32 s24, s2, s4
	s_mov_b32 s19, 0x20000
	s_addc_u32 s2, s3, s5
	s_and_b32 s25, s2, 0xffff
	s_mov_b32 s26, s18
	s_mov_b32 s27, s19
	buffer_load_dwordx4 v[4:7], v12, s[24:27], 0 offen glc slc
	buffer_load_dwordx4 v[0:3], v12, s[16:19], 0 offen
.LBB198_26:
	s_or_b64 exec, exec, s[0:1]
	s_waitcnt vmcnt(1)
	v_cvt_f32_u32_sdwa v11, v4 dst_sel:DWORD dst_unused:UNUSED_PAD src0_sel:WORD_1
	v_cvt_f32_u32_sdwa v10, v4 dst_sel:DWORD dst_unused:UNUSED_PAD src0_sel:WORD_0
	v_cvt_f32_u32_sdwa v4, v7 dst_sel:DWORD dst_unused:UNUSED_PAD src0_sel:WORD_1
	v_cvt_f32_u32_sdwa v7, v7 dst_sel:DWORD dst_unused:UNUSED_PAD src0_sel:WORD_0
	;; [unrolled: 2-line block ×4, first 2 shown]
	v_cndmask_b32_e32 v11, 0, v11, vcc
	v_cndmask_b32_e32 v5, 0, v4, vcc
	;; [unrolled: 1-line block ×5, first 2 shown]
	v_mul_f32_e32 v13, v11, v11
	v_cndmask_b32_e32 v8, 0, v8, vcc
	v_fmac_f32_e32 v13, v10, v10
	v_cndmask_b32_e32 v9, 0, v9, vcc
	v_fmac_f32_e32 v13, v8, v8
	;; [unrolled: 2-line block ×3, first 2 shown]
	v_fmac_f32_e32 v13, v6, v6
	v_fmac_f32_e32 v13, v7, v7
	;; [unrolled: 1-line block ×4, first 2 shown]
	s_nop 1
	v_mov_b32_dpp v15, v13 quad_perm:[1,0,3,2] row_mask:0xf bank_mask:0xf
	v_add_f32_e32 v13, v13, v15
	s_nop 1
	v_mov_b32_dpp v15, v13 quad_perm:[2,3,0,1] row_mask:0xf bank_mask:0xf
	v_add_f32_e32 v13, v13, v15
	s_nop 1
	v_mov_b32_dpp v15, v13 row_half_mirror row_mask:0xf bank_mask:0xf
	v_add_f32_e32 v13, v13, v15
	s_nop 1
	v_mov_b32_dpp v15, v13 row_mirror row_mask:0xf bank_mask:0xf
	v_add_f32_e32 v13, v13, v15
	s_nop 1
	v_mov_b32_dpp v15, v13 row_bcast:15 row_mask:0xf bank_mask:0xf
	v_add_f32_e32 v13, v13, v15
	s_nop 1
	v_mov_b32_dpp v15, v13 row_bcast:31 row_mask:0xf bank_mask:0xf
	v_add_f32_e32 v13, v13, v15
	ds_bpermute_b32 v13, v14, v13
	s_and_saveexec_b64 s[0:1], vcc
	s_cbranch_execz .LBB198_15
; %bb.27:
	v_cvt_f32_u32_e32 v14, s12
	s_mov_b32 s19, 0x20000
	s_waitcnt lgkmcnt(0)
	v_div_scale_f32 v15, s[0:1], v14, v14, v13
	v_rcp_f32_e32 v16, v15
	v_div_scale_f32 v17, vcc, v13, v14, v13
	s_mov_b32 s0, 0x800000
	v_fma_f32 v18, -v15, v16, 1.0
	v_fmac_f32_e32 v16, v18, v16
	v_mul_f32_e32 v18, v17, v16
	v_fma_f32 v19, -v15, v18, v17
	v_fmac_f32_e32 v18, v19, v16
	v_fma_f32 v15, -v15, v18, v17
	v_div_fmas_f32 v15, v15, v16, v18
	v_div_fixup_f32 v13, v15, v14, v13
	v_add_f32_e32 v13, s9, v13
	v_mul_f32_e32 v14, 0x4b800000, v13
	v_cmp_gt_f32_e32 vcc, s0, v13
	v_cndmask_b32_e32 v13, v13, v14, vcc
	v_rsq_f32_e32 v13, v13
	s_mul_hi_i32 s1, s21, s6
	s_mul_i32 s0, s21, s6
	s_lshl_b64 s[0:1], s[0:1], 1
	v_mul_f32_e32 v14, 0x45800000, v13
	v_cndmask_b32_e32 v14, v13, v14, vcc
	s_add_u32 s16, s10, s0
	v_mov_b32_e32 v15, v14
	s_addc_u32 s0, s11, s1
	;;#ASMSTART
	v_pk_mul_f32 v[10:11], v[10:11], v[14:15]
	;;#ASMEND
	;;#ASMSTART
	v_pk_mul_f32 v[8:9], v[8:9], v[14:15]
	;;#ASMEND
	;; [unrolled: 3-line block ×4, first 2 shown]
	s_waitcnt vmcnt(0)
	v_cvt_f32_u32_sdwa v15, v0 dst_sel:DWORD dst_unused:UNUSED_PAD src0_sel:WORD_1
	v_cvt_f32_u32_sdwa v14, v0 dst_sel:DWORD dst_unused:UNUSED_PAD src0_sel:WORD_0
	v_cvt_f32_u32_sdwa v17, v1 dst_sel:DWORD dst_unused:UNUSED_PAD src0_sel:WORD_1
	v_cvt_f32_u32_sdwa v16, v1 dst_sel:DWORD dst_unused:UNUSED_PAD src0_sel:WORD_0
	;; [unrolled: 2-line block ×4, first 2 shown]
	;;#ASMSTART
	v_pk_mul_f32 v[2:3], v[10:11], v[14:15]
	;;#ASMEND
	s_and_b32 s17, s0, 0xffff
	s_mov_b32 s0, 0x7060302
	;;#ASMSTART
	v_pk_mul_f32 v[8:9], v[8:9], v[16:17]
	;;#ASMEND
	;;#ASMSTART
	v_pk_mul_f32 v[6:7], v[6:7], v[0:1]
	;;#ASMEND
	;; [unrolled: 3-line block ×3, first 2 shown]
	v_perm_b32 v0, v3, v2, s0
	v_perm_b32 v1, v9, v8, s0
	v_perm_b32 v2, v7, v6, s0
	v_perm_b32 v3, v5, v4, s0
	buffer_store_dwordx4 v[0:3], v12, s[16:19], 0 offen
	;;#ASMSTART
	s_nop 0
	;;#ASMEND
	s_endpgm
	.section	.rodata,"a",@progbits
	.p2align	6, 0x0
	.amdhsa_kernel _ZN5aiter35fused_qk_rmsnorm_group_quant_kernelItDB8_Li64ELi8ELi4ELb1ELb1ELb0ELb1ELb0ELb0EEEvPT0_PvPT_S6_S6_PKS5_S8_S8_S8_S8_ffiiiiiiiiiiiii
		.amdhsa_group_segment_fixed_size 0
		.amdhsa_private_segment_fixed_size 0
		.amdhsa_kernarg_size 400
		.amdhsa_user_sgpr_count 6
		.amdhsa_user_sgpr_private_segment_buffer 1
		.amdhsa_user_sgpr_dispatch_ptr 0
		.amdhsa_user_sgpr_queue_ptr 0
		.amdhsa_user_sgpr_kernarg_segment_ptr 1
		.amdhsa_user_sgpr_dispatch_id 0
		.amdhsa_user_sgpr_flat_scratch_init 0
		.amdhsa_user_sgpr_kernarg_preload_length 0
		.amdhsa_user_sgpr_kernarg_preload_offset 0
		.amdhsa_user_sgpr_private_segment_size 0
		.amdhsa_uses_dynamic_stack 0
		.amdhsa_system_sgpr_private_segment_wavefront_offset 0
		.amdhsa_system_sgpr_workgroup_id_x 1
		.amdhsa_system_sgpr_workgroup_id_y 1
		.amdhsa_system_sgpr_workgroup_id_z 0
		.amdhsa_system_sgpr_workgroup_info 0
		.amdhsa_system_vgpr_workitem_id 0
		.amdhsa_next_free_vgpr 27
		.amdhsa_next_free_sgpr 44
		.amdhsa_accum_offset 28
		.amdhsa_reserve_vcc 1
		.amdhsa_reserve_flat_scratch 0
		.amdhsa_float_round_mode_32 0
		.amdhsa_float_round_mode_16_64 0
		.amdhsa_float_denorm_mode_32 3
		.amdhsa_float_denorm_mode_16_64 3
		.amdhsa_dx10_clamp 1
		.amdhsa_ieee_mode 1
		.amdhsa_fp16_overflow 0
		.amdhsa_tg_split 0
		.amdhsa_exception_fp_ieee_invalid_op 0
		.amdhsa_exception_fp_denorm_src 0
		.amdhsa_exception_fp_ieee_div_zero 0
		.amdhsa_exception_fp_ieee_overflow 0
		.amdhsa_exception_fp_ieee_underflow 0
		.amdhsa_exception_fp_ieee_inexact 0
		.amdhsa_exception_int_div_zero 0
	.end_amdhsa_kernel
	.section	.text._ZN5aiter35fused_qk_rmsnorm_group_quant_kernelItDB8_Li64ELi8ELi4ELb1ELb1ELb0ELb1ELb0ELb0EEEvPT0_PvPT_S6_S6_PKS5_S8_S8_S8_S8_ffiiiiiiiiiiiii,"axG",@progbits,_ZN5aiter35fused_qk_rmsnorm_group_quant_kernelItDB8_Li64ELi8ELi4ELb1ELb1ELb0ELb1ELb0ELb0EEEvPT0_PvPT_S6_S6_PKS5_S8_S8_S8_S8_ffiiiiiiiiiiiii,comdat
.Lfunc_end198:
	.size	_ZN5aiter35fused_qk_rmsnorm_group_quant_kernelItDB8_Li64ELi8ELi4ELb1ELb1ELb0ELb1ELb0ELb0EEEvPT0_PvPT_S6_S6_PKS5_S8_S8_S8_S8_ffiiiiiiiiiiiii, .Lfunc_end198-_ZN5aiter35fused_qk_rmsnorm_group_quant_kernelItDB8_Li64ELi8ELi4ELb1ELb1ELb0ELb1ELb0ELb0EEEvPT0_PvPT_S6_S6_PKS5_S8_S8_S8_S8_ffiiiiiiiiiiiii
                                        ; -- End function
	.section	.AMDGPU.csdata,"",@progbits
; Kernel info:
; codeLenInByte = 2332
; NumSgprs: 48
; NumVgprs: 27
; NumAgprs: 0
; TotalNumVgprs: 27
; ScratchSize: 0
; MemoryBound: 0
; FloatMode: 240
; IeeeMode: 1
; LDSByteSize: 0 bytes/workgroup (compile time only)
; SGPRBlocks: 5
; VGPRBlocks: 3
; NumSGPRsForWavesPerEU: 48
; NumVGPRsForWavesPerEU: 27
; AccumOffset: 28
; Occupancy: 8
; WaveLimiterHint : 0
; COMPUTE_PGM_RSRC2:SCRATCH_EN: 0
; COMPUTE_PGM_RSRC2:USER_SGPR: 6
; COMPUTE_PGM_RSRC2:TRAP_HANDLER: 0
; COMPUTE_PGM_RSRC2:TGID_X_EN: 1
; COMPUTE_PGM_RSRC2:TGID_Y_EN: 1
; COMPUTE_PGM_RSRC2:TGID_Z_EN: 0
; COMPUTE_PGM_RSRC2:TIDIG_COMP_CNT: 0
; COMPUTE_PGM_RSRC3_GFX90A:ACCUM_OFFSET: 6
; COMPUTE_PGM_RSRC3_GFX90A:TG_SPLIT: 0
	.section	.text._ZN5aiter35fused_qk_rmsnorm_group_quant_kernelIDF16_N4opus5fp4_tELi64ELi8ELi4ELb1ELb1ELb0ELb1ELb0ELb0EEEvPT0_PvPT_S7_S7_PKS6_S9_S9_S9_S9_ffiiiiiiiiiiiii,"axG",@progbits,_ZN5aiter35fused_qk_rmsnorm_group_quant_kernelIDF16_N4opus5fp4_tELi64ELi8ELi4ELb1ELb1ELb0ELb1ELb0ELb0EEEvPT0_PvPT_S7_S7_PKS6_S9_S9_S9_S9_ffiiiiiiiiiiiii,comdat
	.protected	_ZN5aiter35fused_qk_rmsnorm_group_quant_kernelIDF16_N4opus5fp4_tELi64ELi8ELi4ELb1ELb1ELb0ELb1ELb0ELb0EEEvPT0_PvPT_S7_S7_PKS6_S9_S9_S9_S9_ffiiiiiiiiiiiii ; -- Begin function _ZN5aiter35fused_qk_rmsnorm_group_quant_kernelIDF16_N4opus5fp4_tELi64ELi8ELi4ELb1ELb1ELb0ELb1ELb0ELb0EEEvPT0_PvPT_S7_S7_PKS6_S9_S9_S9_S9_ffiiiiiiiiiiiii
	.globl	_ZN5aiter35fused_qk_rmsnorm_group_quant_kernelIDF16_N4opus5fp4_tELi64ELi8ELi4ELb1ELb1ELb0ELb1ELb0ELb0EEEvPT0_PvPT_S7_S7_PKS6_S9_S9_S9_S9_ffiiiiiiiiiiiii
	.p2align	8
	.type	_ZN5aiter35fused_qk_rmsnorm_group_quant_kernelIDF16_N4opus5fp4_tELi64ELi8ELi4ELb1ELb1ELb0ELb1ELb0ELb0EEEvPT0_PvPT_S7_S7_PKS6_S9_S9_S9_S9_ffiiiiiiiiiiiii,@function
_ZN5aiter35fused_qk_rmsnorm_group_quant_kernelIDF16_N4opus5fp4_tELi64ELi8ELi4ELb1ELb1ELb0ELb1ELb0ELb0EEEvPT0_PvPT_S7_S7_PKS6_S9_S9_S9_S9_ffiiiiiiiiiiiii: ; @_ZN5aiter35fused_qk_rmsnorm_group_quant_kernelIDF16_N4opus5fp4_tELi64ELi8ELi4ELb1ELb1ELb0ELb1ELb0ELb0EEEvPT0_PvPT_S7_S7_PKS6_S9_S9_S9_S9_ffiiiiiiiiiiiii
; %bb.0:
	s_load_dwordx8 s[8:15], s[4:5], 0x50
	s_waitcnt lgkmcnt(0)
	s_cmp_ge_i32 s6, s10
	s_cbranch_scc1 .LBB199_15
; %bb.1:
	s_cmp_lg_u32 s7, 0
	s_cselect_b64 s[18:19], -1, 0
	s_cmp_eq_u32 s7, 0
	s_cselect_b64 s[20:21], -1, 0
	s_and_b64 s[0:1], s[20:21], exec
	s_cselect_b32 s7, s11, s12
	s_load_dwordx2 s[2:3], s[4:5], 0x30
	s_load_dwordx2 s[16:17], s[4:5], 0x48
	s_add_i32 s0, s7, 1
	s_lshr_b32 s1, s0, 31
	s_add_i32 s0, s0, s1
	s_lshl_b32 s0, s0, 1
	v_lshlrev_b32_e32 v1, 3, v0
	s_and_b32 s26, s0, -4
	v_cmp_gt_i32_e64 s[0:1], s7, v1
	v_mov_b32_e32 v2, 0
	v_mov_b32_e32 v3, 0
	v_mov_b32_e32 v4, 0
	v_mov_b32_e32 v5, 0
	v_mov_b32_e32 v6, 0
	v_mov_b32_e32 v7, 0
	v_mov_b32_e32 v8, 0
	v_mov_b32_e32 v9, 0
	s_and_saveexec_b64 s[10:11], s[0:1]
	s_cbranch_execz .LBB199_3
; %bb.2:
	s_load_dwordx2 s[22:23], s[4:5], 0x28
	s_load_dwordx2 s[24:25], s[4:5], 0x40
	s_and_b64 s[28:29], s[20:21], exec
	s_cselect_b32 s13, s13, s14
	v_lshlrev_b32_e32 v10, 4, v0
	s_waitcnt lgkmcnt(0)
	s_cselect_b32 s27, s23, s3
	s_cselect_b32 s28, s22, s2
	s_mul_hi_i32 s23, s13, s6
	s_mul_i32 s22, s13, s6
	s_lshl_b64 s[22:23], s[22:23], 1
	s_add_u32 s28, s28, s22
	s_addc_u32 s13, s27, s23
	s_and_b64 s[20:21], s[20:21], exec
	s_mov_b32 s27, 0x20000
	s_cselect_b32 s24, s24, s16
	s_cselect_b32 s20, s25, s17
	s_and_b32 s29, s13, 0xffff
	s_mov_b32 s30, s26
	s_mov_b32 s31, s27
	s_and_b32 s25, s20, 0xffff
	buffer_load_dwordx4 v[6:9], v10, s[28:31], 0 offen glc slc
	buffer_load_dwordx4 v[2:5], v10, s[24:27], 0 offen
.LBB199_3:
	s_or_b64 exec, exec, s[10:11]
	s_load_dwordx4 s[20:23], s[4:5], 0x7c
	s_and_b64 vcc, exec, s[18:19]
	s_cbranch_vccz .LBB199_7
; %bb.4:
	v_mov_b32_e32 v11, 0
	v_mov_b32_e32 v10, 0
	;; [unrolled: 1-line block ×8, first 2 shown]
	s_and_saveexec_b64 s[10:11], s[0:1]
	s_cbranch_execz .LBB199_6
; %bb.5:
	s_waitcnt vmcnt(1)
	v_cvt_f32_f16_sdwa v17, v6 dst_sel:DWORD dst_unused:UNUSED_PAD src0_sel:WORD_1
	v_cvt_f32_f16_e32 v16, v6
	v_cvt_f32_f16_sdwa v15, v7 dst_sel:DWORD dst_unused:UNUSED_PAD src0_sel:WORD_1
	v_cvt_f32_f16_e32 v14, v7
	;; [unrolled: 2-line block ×4, first 2 shown]
.LBB199_6:
	s_or_b64 exec, exec, s[10:11]
	s_mov_b32 s13, s9
	s_cbranch_execz .LBB199_8
	s_branch .LBB199_11
.LBB199_7:
                                        ; implicit-def: $vgpr11
                                        ; implicit-def: $vgpr13
                                        ; implicit-def: $vgpr15
                                        ; implicit-def: $vgpr17
	s_mov_b32 s13, s9
.LBB199_8:
	v_mov_b32_e32 v11, 0
	v_mov_b32_e32 v10, 0
	;; [unrolled: 1-line block ×8, first 2 shown]
	s_and_saveexec_b64 s[10:11], s[0:1]
	s_cbranch_execz .LBB199_10
; %bb.9:
	s_load_dwordx2 s[24:25], s[4:5], 0x38
	s_mul_hi_i32 s29, s15, s6
	s_mul_i32 s28, s15, s6
	s_lshl_b64 s[28:29], s[28:29], 1
	s_mov_b32 s27, 0x20000
	s_waitcnt lgkmcnt(0)
	s_add_u32 s24, s24, s28
	s_addc_u32 s13, s25, s29
	s_and_b32 s25, s13, 0xffff
	v_lshlrev_b32_e32 v26, 4, v0
	buffer_load_dwordx4 v[10:13], v26, s[24:27], 0 offen glc slc
	s_waitcnt vmcnt(2)
	v_cvt_f32_f16_sdwa v15, v6 dst_sel:DWORD dst_unused:UNUSED_PAD src0_sel:WORD_1
	v_cvt_f32_f16_e32 v14, v6
	v_cvt_f32_f16_sdwa v19, v7 dst_sel:DWORD dst_unused:UNUSED_PAD src0_sel:WORD_1
	v_cvt_f32_f16_e32 v18, v7
	;; [unrolled: 2-line block ×4, first 2 shown]
	s_load_dwordx2 s[24:25], s[4:5], 0x20
	s_mul_hi_i32 s23, s22, s6
	s_mul_i32 s22, s22, s6
	s_lshl_b64 s[22:23], s[22:23], 1
	s_waitcnt lgkmcnt(0)
	s_add_u32 s24, s24, s22
	s_addc_u32 s13, s25, s23
	s_and_b32 s25, s13, 0xffff
	s_waitcnt vmcnt(0)
	v_cvt_f32_f16_e32 v8, v10
	v_cvt_f32_f16_sdwa v9, v10 dst_sel:DWORD dst_unused:UNUSED_PAD src0_sel:WORD_1
	v_cvt_f32_f16_e32 v10, v11
	v_cvt_f32_f16_sdwa v11, v11 dst_sel:DWORD dst_unused:UNUSED_PAD src0_sel:WORD_1
	v_cvt_f32_f16_e32 v22, v12
	v_cvt_f32_f16_sdwa v23, v12 dst_sel:DWORD dst_unused:UNUSED_PAD src0_sel:WORD_1
	v_cvt_f32_f16_e32 v24, v13
	v_cvt_f32_f16_sdwa v25, v13 dst_sel:DWORD dst_unused:UNUSED_PAD src0_sel:WORD_1
	v_pk_add_f32 v[16:17], v[14:15], v[8:9]
	v_pk_add_f32 v[14:15], v[18:19], v[10:11]
	;; [unrolled: 1-line block ×4, first 2 shown]
	v_cvt_f16_f32_e32 v6, v17
	v_cvt_f16_f32_e32 v7, v15
	;; [unrolled: 1-line block ×8, first 2 shown]
	v_pack_b32_f16 v9, v18, v9
	v_pack_b32_f16 v8, v19, v8
	;; [unrolled: 1-line block ×4, first 2 shown]
	buffer_store_dwordx4 v[6:9], v26, s[24:27], 0 offen glc slc
	;;#ASMSTART
	s_nop 0
	;;#ASMEND
.LBB199_10:
	s_or_b64 exec, exec, s[10:11]
	s_mov_b32 s13, s8
.LBB199_11:
	s_waitcnt vmcnt(1)
	v_mul_f32_e32 v6, v17, v17
	v_fmac_f32_e32 v6, v16, v16
	v_fmac_f32_e32 v6, v14, v14
	v_fmac_f32_e32 v6, v15, v15
	v_fmac_f32_e32 v6, v12, v12
	v_fmac_f32_e32 v6, v13, v13
	v_fmac_f32_e32 v6, v10, v10
	v_fmac_f32_e32 v6, v11, v11
	v_bfrev_b32_e32 v8, 0.5
	s_load_dwordx2 s[10:11], s[4:5], 0x18
	v_mov_b32_dpp v7, v6 quad_perm:[1,0,3,2] row_mask:0xf bank_mask:0xf
	v_add_f32_e32 v6, v6, v7
	s_nop 1
	v_mov_b32_dpp v7, v6 quad_perm:[2,3,0,1] row_mask:0xf bank_mask:0xf
	v_add_f32_e32 v6, v6, v7
	s_nop 1
	v_mov_b32_dpp v7, v6 row_half_mirror row_mask:0xf bank_mask:0xf
	v_add_f32_e32 v6, v6, v7
	s_nop 1
	v_mov_b32_dpp v7, v6 row_mirror row_mask:0xf bank_mask:0xf
	v_add_f32_e32 v6, v6, v7
	s_nop 1
	v_mov_b32_dpp v7, v6 row_bcast:15 row_mask:0xf bank_mask:0xf
	v_add_f32_e32 v6, v6, v7
	s_nop 1
	v_mov_b32_dpp v7, v6 row_bcast:31 row_mask:0xf bank_mask:0xf
	v_add_f32_e32 v6, v6, v7
	v_mbcnt_lo_u32_b32 v7, -1, 0
	v_mbcnt_hi_u32_b32 v7, -1, v7
	v_lshl_or_b32 v18, v7, 2, v8
	ds_bpermute_b32 v6, v18, v6
	s_waitcnt lgkmcnt(0)
	s_and_saveexec_b64 s[22:23], s[0:1]
	s_cbranch_execnz .LBB199_16
; %bb.12:
	s_or_b64 exec, exec, s[22:23]
	s_mov_b64 s[22:23], -1
	s_and_b64 vcc, exec, s[18:19]
	s_cbranch_vccnz .LBB199_17
.LBB199_13:
	s_andn2_b64 vcc, exec, s[22:23]
	s_cbranch_vccz .LBB199_20
.LBB199_14:
	s_cmp_lt_i32 s12, 1
	s_cbranch_scc0 .LBB199_23
.LBB199_15:
	s_endpgm
.LBB199_16:
	v_cvt_f32_u32_e32 v7, s7
	s_mov_b32 s7, 0x800000
	s_waitcnt vmcnt(0)
	v_cvt_f32_f16_sdwa v23, v5 dst_sel:DWORD dst_unused:UNUSED_PAD src0_sel:WORD_1
	v_cvt_f32_f16_e32 v22, v5
	v_div_scale_f32 v8, s[24:25], v7, v7, v6
	v_rcp_f32_e32 v9, v8
	v_div_scale_f32 v19, vcc, v6, v7, v6
	v_fma_f32 v20, -v8, v9, 1.0
	v_fmac_f32_e32 v9, v20, v9
	v_mul_f32_e32 v20, v19, v9
	v_fma_f32 v21, -v8, v20, v19
	v_fmac_f32_e32 v20, v21, v9
	v_fma_f32 v8, -v8, v20, v19
	v_div_fmas_f32 v8, v8, v9, v20
	v_div_fixup_f32 v6, v8, v7, v6
	v_add_f32_e32 v6, s13, v6
	v_mul_f32_e32 v7, 0x4b800000, v6
	v_cmp_gt_f32_e32 vcc, s7, v6
	v_cndmask_b32_e32 v6, v6, v7, vcc
	v_rsq_f32_e32 v6, v6
	v_cvt_f32_f16_sdwa v21, v3 dst_sel:DWORD dst_unused:UNUSED_PAD src0_sel:WORD_1
	v_cvt_f32_f16_e32 v20, v3
	v_cvt_f32_f16_sdwa v3, v4 dst_sel:DWORD dst_unused:UNUSED_PAD src0_sel:WORD_1
	v_mul_f32_e32 v7, 0x45800000, v6
	v_cndmask_b32_e32 v6, v6, v7, vcc
	v_mov_b32_e32 v7, v6
	;;#ASMSTART
	v_pk_mul_f32 v[8:9], v[16:17], v[6:7]
	;;#ASMEND
	;;#ASMSTART
	v_pk_mul_f32 v[14:15], v[14:15], v[6:7]
	;;#ASMEND
	;; [unrolled: 3-line block ×4, first 2 shown]
	v_cvt_f32_f16_sdwa v11, v2 dst_sel:DWORD dst_unused:UNUSED_PAD src0_sel:WORD_1
	v_cvt_f32_f16_e32 v10, v2
	v_cvt_f32_f16_e32 v2, v4
	;;#ASMSTART
	v_pk_mul_f32 v[16:17], v[8:9], v[10:11]
	;;#ASMEND
	;;#ASMSTART
	v_pk_mul_f32 v[14:15], v[14:15], v[20:21]
	;;#ASMEND
	;;#ASMSTART
	v_pk_mul_f32 v[12:13], v[12:13], v[2:3]
	;;#ASMEND
	;;#ASMSTART
	v_pk_mul_f32 v[10:11], v[6:7], v[22:23]
	;;#ASMEND
	s_or_b64 exec, exec, s[22:23]
	s_mov_b64 s[22:23], -1
	s_and_b64 vcc, exec, s[18:19]
	s_cbranch_vccz .LBB199_13
.LBB199_17:
	s_and_saveexec_b64 s[18:19], s[0:1]
	s_cbranch_execz .LBB199_19
; %bb.18:
	s_mul_hi_i32 s23, s21, s6
	s_mul_i32 s22, s21, s6
	s_waitcnt vmcnt(0)
	v_cvt_f16_f32_e32 v2, v16
	v_cvt_f16_f32_e32 v3, v14
	;; [unrolled: 1-line block ×8, first 2 shown]
	s_lshl_b64 s[22:23], s[22:23], 1
	s_add_u32 s24, s10, s22
	s_addc_u32 s7, s11, s23
	s_and_b32 s25, s7, 0xffff
	s_mov_b32 s27, 0x20000
	v_pack_b32_f16 v5, v5, v6
	v_pack_b32_f16 v4, v4, v7
	v_pack_b32_f16 v3, v3, v8
	v_pack_b32_f16 v2, v2, v9
	v_lshlrev_b32_e32 v6, 4, v0
	buffer_store_dwordx4 v[2:5], v6, s[24:27], 0 offen
	;;#ASMSTART
	s_nop 0
	;;#ASMEND
.LBB199_19:
	s_or_b64 exec, exec, s[18:19]
	s_cbranch_execnz .LBB199_14
.LBB199_20:
	s_and_saveexec_b64 s[18:19], s[0:1]
	s_cbranch_execz .LBB199_22
; %bb.21:
	s_load_dwordx2 s[0:1], s[4:5], 0x10
	s_mul_hi_i32 s23, s20, s6
	s_mul_i32 s22, s20, s6
	s_waitcnt vmcnt(0)
	v_cvt_f16_f32_e32 v2, v16
	v_cvt_f16_f32_e32 v3, v14
	;; [unrolled: 1-line block ×8, first 2 shown]
	s_lshl_b64 s[22:23], s[22:23], 1
	s_waitcnt lgkmcnt(0)
	s_add_u32 s24, s0, s22
	s_addc_u32 s0, s1, s23
	s_mov_b32 s27, 0x20000
	s_and_b32 s25, s0, 0xffff
	v_pack_b32_f16 v5, v5, v6
	v_pack_b32_f16 v4, v4, v7
	;; [unrolled: 1-line block ×4, first 2 shown]
	v_lshlrev_b32_e32 v6, 4, v0
	buffer_store_dwordx4 v[2:5], v6, s[24:27], 0 offen
	;;#ASMSTART
	s_nop 0
	;;#ASMEND
.LBB199_22:
	s_or_b64 exec, exec, s[18:19]
	s_cmp_lt_i32 s12, 1
	s_cbranch_scc1 .LBB199_15
.LBB199_23:
	s_load_dword s0, s[4:5], 0x94
	s_waitcnt lgkmcnt(0)
	s_cmp_lg_u32 s0, 1
	s_cbranch_scc1 .LBB199_15
; %bb.24:
	s_lshl_b32 s0, s12, 1
	s_add_i32 s0, s0, 2
	v_cmp_gt_u32_e32 vcc, s12, v1
	s_and_b32 s18, s0, -4
	v_mov_b32_e32 v8, 0
	v_lshlrev_b32_e32 v16, 4, v0
	s_waitcnt vmcnt(0)
	v_mov_b32_e32 v4, 0
	v_mov_b32_e32 v5, 0
	;; [unrolled: 1-line block ×8, first 2 shown]
	s_barrier
	s_and_saveexec_b64 s[0:1], vcc
	s_cbranch_execz .LBB199_26
; %bb.25:
	s_mul_hi_i32 s5, s14, s6
	s_mul_i32 s4, s14, s6
	s_and_b32 s17, s17, 0xffff
	s_lshl_b64 s[4:5], s[4:5], 1
	s_add_u32 s24, s2, s4
	s_mov_b32 s19, 0x20000
	s_addc_u32 s2, s3, s5
	s_and_b32 s25, s2, 0xffff
	s_mov_b32 s26, s18
	s_mov_b32 s27, s19
	buffer_load_dwordx4 v[4:7], v16, s[24:27], 0 offen glc slc
	buffer_load_dwordx4 v[0:3], v16, s[16:19], 0 offen
.LBB199_26:
	s_or_b64 exec, exec, s[0:1]
	v_mov_b32_e32 v9, 0
	v_mov_b32_e32 v14, 0
	;; [unrolled: 1-line block ×7, first 2 shown]
	s_and_saveexec_b64 s[0:1], vcc
	s_cbranch_execz .LBB199_28
; %bb.27:
	s_waitcnt vmcnt(1)
	v_cvt_f32_f16_sdwa v9, v4 dst_sel:DWORD dst_unused:UNUSED_PAD src0_sel:WORD_1
	v_cvt_f32_f16_e32 v8, v4
	v_cvt_f32_f16_sdwa v15, v5 dst_sel:DWORD dst_unused:UNUSED_PAD src0_sel:WORD_1
	v_cvt_f32_f16_e32 v14, v5
	;; [unrolled: 2-line block ×4, first 2 shown]
.LBB199_28:
	s_or_b64 exec, exec, s[0:1]
	s_waitcnt vmcnt(1)
	v_mul_f32_e32 v4, v9, v9
	v_fmac_f32_e32 v4, v8, v8
	v_fmac_f32_e32 v4, v14, v14
	;; [unrolled: 1-line block ×7, first 2 shown]
	s_nop 1
	v_mov_b32_dpp v5, v4 quad_perm:[1,0,3,2] row_mask:0xf bank_mask:0xf
	v_add_f32_e32 v4, v4, v5
	s_nop 1
	v_mov_b32_dpp v5, v4 quad_perm:[2,3,0,1] row_mask:0xf bank_mask:0xf
	v_add_f32_e32 v4, v4, v5
	s_nop 1
	v_mov_b32_dpp v5, v4 row_half_mirror row_mask:0xf bank_mask:0xf
	v_add_f32_e32 v4, v4, v5
	s_nop 1
	v_mov_b32_dpp v5, v4 row_mirror row_mask:0xf bank_mask:0xf
	v_add_f32_e32 v4, v4, v5
	s_nop 1
	v_mov_b32_dpp v5, v4 row_bcast:15 row_mask:0xf bank_mask:0xf
	v_add_f32_e32 v4, v4, v5
	s_nop 1
	v_mov_b32_dpp v5, v4 row_bcast:31 row_mask:0xf bank_mask:0xf
	v_add_f32_e32 v4, v4, v5
	ds_bpermute_b32 v4, v18, v4
	s_and_saveexec_b64 s[0:1], vcc
	s_cbranch_execz .LBB199_15
; %bb.29:
	v_cvt_f32_u32_e32 v5, s12
	s_mov_b32 s19, 0x20000
	s_waitcnt lgkmcnt(0)
	v_div_scale_f32 v6, s[0:1], v5, v5, v4
	v_rcp_f32_e32 v7, v6
	v_div_scale_f32 v17, vcc, v4, v5, v4
	s_mov_b32 s0, 0x800000
	v_fma_f32 v18, -v6, v7, 1.0
	v_fmac_f32_e32 v7, v18, v7
	v_mul_f32_e32 v18, v17, v7
	v_fma_f32 v19, -v6, v18, v17
	v_fmac_f32_e32 v18, v19, v7
	v_fma_f32 v6, -v6, v18, v17
	v_div_fmas_f32 v6, v6, v7, v18
	v_div_fixup_f32 v4, v6, v5, v4
	v_add_f32_e32 v4, s9, v4
	v_mul_f32_e32 v5, 0x4b800000, v4
	v_cmp_gt_f32_e32 vcc, s0, v4
	v_cndmask_b32_e32 v4, v4, v5, vcc
	v_rsq_f32_e32 v4, v4
	s_waitcnt vmcnt(0)
	v_cvt_f32_f16_sdwa v19, v3 dst_sel:DWORD dst_unused:UNUSED_PAD src0_sel:WORD_1
	v_cvt_f32_f16_e32 v18, v3
	s_mul_hi_i32 s1, s21, s6
	v_mul_f32_e32 v5, 0x45800000, v4
	v_cndmask_b32_e32 v4, v4, v5, vcc
	v_mov_b32_e32 v5, v4
	;;#ASMSTART
	v_pk_mul_f32 v[6:7], v[8:9], v[4:5]
	;;#ASMEND
	;;#ASMSTART
	v_pk_mul_f32 v[8:9], v[14:15], v[4:5]
	;;#ASMEND
	;; [unrolled: 3-line block ×4, first 2 shown]
	v_cvt_f32_f16_sdwa v11, v0 dst_sel:DWORD dst_unused:UNUSED_PAD src0_sel:WORD_1
	v_cvt_f32_f16_e32 v10, v0
	v_cvt_f32_f16_sdwa v15, v1 dst_sel:DWORD dst_unused:UNUSED_PAD src0_sel:WORD_1
	v_cvt_f32_f16_e32 v14, v1
	;; [unrolled: 2-line block ×3, first 2 shown]
	;;#ASMSTART
	v_pk_mul_f32 v[2:3], v[6:7], v[10:11]
	;;#ASMEND
	;;#ASMSTART
	v_pk_mul_f32 v[6:7], v[8:9], v[14:15]
	;;#ASMEND
	;; [unrolled: 3-line block ×4, first 2 shown]
	s_mul_i32 s0, s21, s6
	v_cvt_f16_f32_e32 v2, v2
	v_cvt_f16_f32_e32 v3, v3
	;; [unrolled: 1-line block ×8, first 2 shown]
	s_lshl_b64 s[0:1], s[0:1], 1
	s_add_u32 s16, s10, s0
	s_addc_u32 s0, s11, s1
	s_and_b32 s17, s0, 0xffff
	v_pack_b32_f16 v0, v2, v3
	v_pack_b32_f16 v1, v6, v7
	v_pack_b32_f16 v2, v8, v9
	v_pack_b32_f16 v3, v4, v5
	buffer_store_dwordx4 v[0:3], v16, s[16:19], 0 offen
	;;#ASMSTART
	s_nop 0
	;;#ASMEND
	s_endpgm
	.section	.rodata,"a",@progbits
	.p2align	6, 0x0
	.amdhsa_kernel _ZN5aiter35fused_qk_rmsnorm_group_quant_kernelIDF16_N4opus5fp4_tELi64ELi8ELi4ELb1ELb1ELb0ELb1ELb0ELb0EEEvPT0_PvPT_S7_S7_PKS6_S9_S9_S9_S9_ffiiiiiiiiiiiii
		.amdhsa_group_segment_fixed_size 0
		.amdhsa_private_segment_fixed_size 0
		.amdhsa_kernarg_size 400
		.amdhsa_user_sgpr_count 6
		.amdhsa_user_sgpr_private_segment_buffer 1
		.amdhsa_user_sgpr_dispatch_ptr 0
		.amdhsa_user_sgpr_queue_ptr 0
		.amdhsa_user_sgpr_kernarg_segment_ptr 1
		.amdhsa_user_sgpr_dispatch_id 0
		.amdhsa_user_sgpr_flat_scratch_init 0
		.amdhsa_user_sgpr_kernarg_preload_length 0
		.amdhsa_user_sgpr_kernarg_preload_offset 0
		.amdhsa_user_sgpr_private_segment_size 0
		.amdhsa_uses_dynamic_stack 0
		.amdhsa_system_sgpr_private_segment_wavefront_offset 0
		.amdhsa_system_sgpr_workgroup_id_x 1
		.amdhsa_system_sgpr_workgroup_id_y 1
		.amdhsa_system_sgpr_workgroup_id_z 0
		.amdhsa_system_sgpr_workgroup_info 0
		.amdhsa_system_vgpr_workitem_id 0
		.amdhsa_next_free_vgpr 27
		.amdhsa_next_free_sgpr 32
		.amdhsa_accum_offset 28
		.amdhsa_reserve_vcc 1
		.amdhsa_reserve_flat_scratch 0
		.amdhsa_float_round_mode_32 0
		.amdhsa_float_round_mode_16_64 0
		.amdhsa_float_denorm_mode_32 3
		.amdhsa_float_denorm_mode_16_64 3
		.amdhsa_dx10_clamp 1
		.amdhsa_ieee_mode 1
		.amdhsa_fp16_overflow 0
		.amdhsa_tg_split 0
		.amdhsa_exception_fp_ieee_invalid_op 0
		.amdhsa_exception_fp_denorm_src 0
		.amdhsa_exception_fp_ieee_div_zero 0
		.amdhsa_exception_fp_ieee_overflow 0
		.amdhsa_exception_fp_ieee_underflow 0
		.amdhsa_exception_fp_ieee_inexact 0
		.amdhsa_exception_int_div_zero 0
	.end_amdhsa_kernel
	.section	.text._ZN5aiter35fused_qk_rmsnorm_group_quant_kernelIDF16_N4opus5fp4_tELi64ELi8ELi4ELb1ELb1ELb0ELb1ELb0ELb0EEEvPT0_PvPT_S7_S7_PKS6_S9_S9_S9_S9_ffiiiiiiiiiiiii,"axG",@progbits,_ZN5aiter35fused_qk_rmsnorm_group_quant_kernelIDF16_N4opus5fp4_tELi64ELi8ELi4ELb1ELb1ELb0ELb1ELb0ELb0EEEvPT0_PvPT_S7_S7_PKS6_S9_S9_S9_S9_ffiiiiiiiiiiiii,comdat
.Lfunc_end199:
	.size	_ZN5aiter35fused_qk_rmsnorm_group_quant_kernelIDF16_N4opus5fp4_tELi64ELi8ELi4ELb1ELb1ELb0ELb1ELb0ELb0EEEvPT0_PvPT_S7_S7_PKS6_S9_S9_S9_S9_ffiiiiiiiiiiiii, .Lfunc_end199-_ZN5aiter35fused_qk_rmsnorm_group_quant_kernelIDF16_N4opus5fp4_tELi64ELi8ELi4ELb1ELb1ELb0ELb1ELb0ELb0EEEvPT0_PvPT_S7_S7_PKS6_S9_S9_S9_S9_ffiiiiiiiiiiiii
                                        ; -- End function
	.section	.AMDGPU.csdata,"",@progbits
; Kernel info:
; codeLenInByte = 2288
; NumSgprs: 36
; NumVgprs: 27
; NumAgprs: 0
; TotalNumVgprs: 27
; ScratchSize: 0
; MemoryBound: 0
; FloatMode: 240
; IeeeMode: 1
; LDSByteSize: 0 bytes/workgroup (compile time only)
; SGPRBlocks: 4
; VGPRBlocks: 3
; NumSGPRsForWavesPerEU: 36
; NumVGPRsForWavesPerEU: 27
; AccumOffset: 28
; Occupancy: 8
; WaveLimiterHint : 0
; COMPUTE_PGM_RSRC2:SCRATCH_EN: 0
; COMPUTE_PGM_RSRC2:USER_SGPR: 6
; COMPUTE_PGM_RSRC2:TRAP_HANDLER: 0
; COMPUTE_PGM_RSRC2:TGID_X_EN: 1
; COMPUTE_PGM_RSRC2:TGID_Y_EN: 1
; COMPUTE_PGM_RSRC2:TGID_Z_EN: 0
; COMPUTE_PGM_RSRC2:TIDIG_COMP_CNT: 0
; COMPUTE_PGM_RSRC3_GFX90A:ACCUM_OFFSET: 6
; COMPUTE_PGM_RSRC3_GFX90A:TG_SPLIT: 0
	.section	.text._ZN5aiter35fused_qk_rmsnorm_group_quant_kernelItN4opus5fp4_tELi64ELi8ELi4ELb1ELb1ELb0ELb1ELb0ELb0EEEvPT0_PvPT_S7_S7_PKS6_S9_S9_S9_S9_ffiiiiiiiiiiiii,"axG",@progbits,_ZN5aiter35fused_qk_rmsnorm_group_quant_kernelItN4opus5fp4_tELi64ELi8ELi4ELb1ELb1ELb0ELb1ELb0ELb0EEEvPT0_PvPT_S7_S7_PKS6_S9_S9_S9_S9_ffiiiiiiiiiiiii,comdat
	.protected	_ZN5aiter35fused_qk_rmsnorm_group_quant_kernelItN4opus5fp4_tELi64ELi8ELi4ELb1ELb1ELb0ELb1ELb0ELb0EEEvPT0_PvPT_S7_S7_PKS6_S9_S9_S9_S9_ffiiiiiiiiiiiii ; -- Begin function _ZN5aiter35fused_qk_rmsnorm_group_quant_kernelItN4opus5fp4_tELi64ELi8ELi4ELb1ELb1ELb0ELb1ELb0ELb0EEEvPT0_PvPT_S7_S7_PKS6_S9_S9_S9_S9_ffiiiiiiiiiiiii
	.globl	_ZN5aiter35fused_qk_rmsnorm_group_quant_kernelItN4opus5fp4_tELi64ELi8ELi4ELb1ELb1ELb0ELb1ELb0ELb0EEEvPT0_PvPT_S7_S7_PKS6_S9_S9_S9_S9_ffiiiiiiiiiiiii
	.p2align	8
	.type	_ZN5aiter35fused_qk_rmsnorm_group_quant_kernelItN4opus5fp4_tELi64ELi8ELi4ELb1ELb1ELb0ELb1ELb0ELb0EEEvPT0_PvPT_S7_S7_PKS6_S9_S9_S9_S9_ffiiiiiiiiiiiii,@function
_ZN5aiter35fused_qk_rmsnorm_group_quant_kernelItN4opus5fp4_tELi64ELi8ELi4ELb1ELb1ELb0ELb1ELb0ELb0EEEvPT0_PvPT_S7_S7_PKS6_S9_S9_S9_S9_ffiiiiiiiiiiiii: ; @_ZN5aiter35fused_qk_rmsnorm_group_quant_kernelItN4opus5fp4_tELi64ELi8ELi4ELb1ELb1ELb0ELb1ELb0ELb0EEEvPT0_PvPT_S7_S7_PKS6_S9_S9_S9_S9_ffiiiiiiiiiiiii
; %bb.0:
	s_load_dwordx8 s[8:15], s[4:5], 0x50
	s_waitcnt lgkmcnt(0)
	s_cmp_ge_i32 s6, s10
	s_cbranch_scc1 .LBB200_15
; %bb.1:
	s_cmp_lg_u32 s7, 0
	s_cselect_b64 s[18:19], -1, 0
	s_cmp_eq_u32 s7, 0
	s_cselect_b64 s[20:21], -1, 0
	s_and_b64 s[0:1], s[20:21], exec
	s_cselect_b32 s7, s11, s12
	s_load_dwordx2 s[2:3], s[4:5], 0x30
	s_load_dwordx2 s[16:17], s[4:5], 0x48
	s_add_i32 s0, s7, 1
	s_lshr_b32 s1, s0, 31
	s_add_i32 s0, s0, s1
	s_lshl_b32 s0, s0, 1
	v_lshlrev_b32_e32 v1, 3, v0
	s_and_b32 s26, s0, -4
	v_cmp_gt_i32_e64 s[0:1], s7, v1
	v_mov_b32_e32 v10, 0
	v_mov_b32_e32 v11, 0
	;; [unrolled: 1-line block ×8, first 2 shown]
	s_and_saveexec_b64 s[10:11], s[0:1]
	s_cbranch_execz .LBB200_3
; %bb.2:
	s_load_dwordx2 s[22:23], s[4:5], 0x28
	s_load_dwordx2 s[24:25], s[4:5], 0x40
	s_and_b64 s[28:29], s[20:21], exec
	s_cselect_b32 s13, s13, s14
	v_lshlrev_b32_e32 v2, 4, v0
	s_waitcnt lgkmcnt(0)
	s_cselect_b32 s27, s23, s3
	s_cselect_b32 s28, s22, s2
	s_mul_hi_i32 s23, s13, s6
	s_mul_i32 s22, s13, s6
	s_lshl_b64 s[22:23], s[22:23], 1
	s_add_u32 s28, s28, s22
	s_addc_u32 s13, s27, s23
	s_and_b64 s[20:21], s[20:21], exec
	s_mov_b32 s27, 0x20000
	s_cselect_b32 s24, s24, s16
	s_cselect_b32 s20, s25, s17
	s_and_b32 s29, s13, 0xffff
	s_mov_b32 s30, s26
	s_mov_b32 s31, s27
	s_and_b32 s25, s20, 0xffff
	buffer_load_dwordx4 v[14:17], v2, s[28:31], 0 offen glc slc
	buffer_load_dwordx4 v[10:13], v2, s[24:27], 0 offen
.LBB200_3:
	s_or_b64 exec, exec, s[10:11]
	s_load_dwordx4 s[20:23], s[4:5], 0x7c
	s_and_b64 vcc, exec, s[18:19]
	s_cbranch_vccz .LBB200_7
; %bb.4:
	s_mov_b32 s36, 0
	s_mov_b32 s37, s36
	;; [unrolled: 1-line block ×8, first 2 shown]
	v_pk_mov_b32 v[2:3], s[36:37], s[36:37] op_sel:[0,1]
	v_pk_mov_b32 v[4:5], s[38:39], s[38:39] op_sel:[0,1]
	;; [unrolled: 1-line block ×4, first 2 shown]
	s_and_saveexec_b64 s[10:11], s[0:1]
	s_cbranch_execz .LBB200_6
; %bb.5:
	s_waitcnt vmcnt(1)
	v_cvt_f32_u32_sdwa v3, v14 dst_sel:DWORD dst_unused:UNUSED_PAD src0_sel:WORD_1
	v_cvt_f32_u32_sdwa v2, v14 dst_sel:DWORD dst_unused:UNUSED_PAD src0_sel:WORD_0
	v_cvt_f32_u32_sdwa v5, v15 dst_sel:DWORD dst_unused:UNUSED_PAD src0_sel:WORD_1
	v_cvt_f32_u32_sdwa v4, v15 dst_sel:DWORD dst_unused:UNUSED_PAD src0_sel:WORD_0
	;; [unrolled: 2-line block ×4, first 2 shown]
.LBB200_6:
	s_or_b64 exec, exec, s[10:11]
	s_mov_b32 s13, s9
	s_cbranch_execz .LBB200_8
	s_branch .LBB200_11
.LBB200_7:
                                        ; implicit-def: $vgpr2_vgpr3_vgpr4_vgpr5_vgpr6_vgpr7_vgpr8_vgpr9
	s_mov_b32 s13, s9
.LBB200_8:
	s_mov_b32 s36, 0
	s_mov_b32 s37, s36
	;; [unrolled: 1-line block ×8, first 2 shown]
	v_pk_mov_b32 v[2:3], s[36:37], s[36:37] op_sel:[0,1]
	v_pk_mov_b32 v[4:5], s[38:39], s[38:39] op_sel:[0,1]
	;; [unrolled: 1-line block ×4, first 2 shown]
	s_and_saveexec_b64 s[10:11], s[0:1]
	s_cbranch_execz .LBB200_10
; %bb.9:
	s_load_dwordx2 s[24:25], s[4:5], 0x38
	s_mul_hi_i32 s29, s15, s6
	s_mul_i32 s28, s15, s6
	s_lshl_b64 s[28:29], s[28:29], 1
	s_mov_b32 s27, 0x20000
	s_waitcnt lgkmcnt(0)
	s_add_u32 s24, s24, s28
	s_addc_u32 s13, s25, s29
	s_and_b32 s25, s13, 0xffff
	v_lshlrev_b32_e32 v26, 4, v0
	buffer_load_dwordx4 v[2:5], v26, s[24:27], 0 offen glc slc
	s_load_dwordx2 s[24:25], s[4:5], 0x20
	s_waitcnt vmcnt(2)
	v_cvt_f32_u32_sdwa v7, v14 dst_sel:DWORD dst_unused:UNUSED_PAD src0_sel:WORD_1
	v_cvt_f32_u32_sdwa v6, v14 dst_sel:DWORD dst_unused:UNUSED_PAD src0_sel:WORD_0
	v_cvt_f32_u32_sdwa v9, v15 dst_sel:DWORD dst_unused:UNUSED_PAD src0_sel:WORD_1
	v_cvt_f32_u32_sdwa v8, v15 dst_sel:DWORD dst_unused:UNUSED_PAD src0_sel:WORD_0
	;; [unrolled: 2-line block ×4, first 2 shown]
	s_mul_hi_i32 s23, s22, s6
	s_mul_i32 s22, s22, s6
	s_lshl_b64 s[22:23], s[22:23], 1
	s_waitcnt lgkmcnt(0)
	s_add_u32 s24, s24, s22
	s_mov_b32 s13, 0x7060302
	s_addc_u32 s15, s25, s23
	s_and_b32 s25, s15, 0xffff
	s_waitcnt vmcnt(0)
	v_cvt_f32_u32_sdwa v17, v2 dst_sel:DWORD dst_unused:UNUSED_PAD src0_sel:WORD_1
	v_cvt_f32_u32_sdwa v16, v2 dst_sel:DWORD dst_unused:UNUSED_PAD src0_sel:WORD_0
	v_cvt_f32_u32_sdwa v21, v3 dst_sel:DWORD dst_unused:UNUSED_PAD src0_sel:WORD_1
	v_cvt_f32_u32_sdwa v20, v3 dst_sel:DWORD dst_unused:UNUSED_PAD src0_sel:WORD_0
	;; [unrolled: 2-line block ×4, first 2 shown]
	v_pk_add_f32 v[2:3], v[6:7], v[16:17]
	v_pk_add_f32 v[4:5], v[8:9], v[20:21]
	;; [unrolled: 1-line block ×4, first 2 shown]
	v_perm_b32 v17, v9, v8, s13
	v_perm_b32 v16, v7, v6, s13
	;; [unrolled: 1-line block ×4, first 2 shown]
	buffer_store_dwordx4 v[14:17], v26, s[24:27], 0 offen glc slc
	;;#ASMSTART
	s_nop 0
	;;#ASMEND
.LBB200_10:
	s_or_b64 exec, exec, s[10:11]
	s_mov_b32 s13, s8
.LBB200_11:
	s_waitcnt vmcnt(1)
	v_mul_f32_e32 v14, v3, v3
	v_fmac_f32_e32 v14, v2, v2
	v_fmac_f32_e32 v14, v4, v4
	;; [unrolled: 1-line block ×7, first 2 shown]
	v_bfrev_b32_e32 v16, 0.5
	s_load_dwordx2 s[10:11], s[4:5], 0x18
	v_mov_b32_dpp v15, v14 quad_perm:[1,0,3,2] row_mask:0xf bank_mask:0xf
	v_add_f32_e32 v14, v14, v15
	s_nop 1
	v_mov_b32_dpp v15, v14 quad_perm:[2,3,0,1] row_mask:0xf bank_mask:0xf
	v_add_f32_e32 v14, v14, v15
	s_nop 1
	v_mov_b32_dpp v15, v14 row_half_mirror row_mask:0xf bank_mask:0xf
	v_add_f32_e32 v14, v14, v15
	s_nop 1
	v_mov_b32_dpp v15, v14 row_mirror row_mask:0xf bank_mask:0xf
	v_add_f32_e32 v14, v14, v15
	s_nop 1
	v_mov_b32_dpp v15, v14 row_bcast:15 row_mask:0xf bank_mask:0xf
	v_add_f32_e32 v14, v14, v15
	s_nop 1
	v_mov_b32_dpp v15, v14 row_bcast:31 row_mask:0xf bank_mask:0xf
	v_add_f32_e32 v15, v14, v15
	v_mbcnt_lo_u32_b32 v14, -1, 0
	v_mbcnt_hi_u32_b32 v14, -1, v14
	v_lshl_or_b32 v14, v14, 2, v16
	ds_bpermute_b32 v15, v14, v15
	s_waitcnt lgkmcnt(0)
	s_and_saveexec_b64 s[22:23], s[0:1]
	s_cbranch_execnz .LBB200_16
; %bb.12:
	s_or_b64 exec, exec, s[22:23]
	s_mov_b64 s[22:23], -1
	s_and_b64 vcc, exec, s[18:19]
	s_cbranch_vccnz .LBB200_17
.LBB200_13:
	s_andn2_b64 vcc, exec, s[22:23]
	s_cbranch_vccz .LBB200_20
.LBB200_14:
	s_cmp_lt_i32 s12, 1
	s_cbranch_scc0 .LBB200_23
.LBB200_15:
	s_endpgm
.LBB200_16:
	v_cvt_f32_u32_e32 v16, s7
	s_mov_b32 s7, 0x800000
	v_div_scale_f32 v17, s[24:25], v16, v16, v15
	v_rcp_f32_e32 v18, v17
	v_div_scale_f32 v19, vcc, v15, v16, v15
	v_fma_f32 v20, -v17, v18, 1.0
	v_fmac_f32_e32 v18, v20, v18
	v_mul_f32_e32 v20, v19, v18
	v_fma_f32 v21, -v17, v20, v19
	v_fmac_f32_e32 v20, v21, v18
	v_fma_f32 v17, -v17, v20, v19
	v_div_fmas_f32 v17, v17, v18, v20
	v_div_fixup_f32 v15, v17, v16, v15
	v_add_f32_e32 v15, s13, v15
	v_mul_f32_e32 v16, 0x4b800000, v15
	v_cmp_gt_f32_e32 vcc, s7, v15
	v_cndmask_b32_e32 v15, v15, v16, vcc
	v_rsq_f32_e32 v15, v15
	s_waitcnt vmcnt(0)
	v_cvt_f32_u32_sdwa v19, v11 dst_sel:DWORD dst_unused:UNUSED_PAD src0_sel:WORD_1
	v_cvt_f32_u32_sdwa v18, v11 dst_sel:DWORD dst_unused:UNUSED_PAD src0_sel:WORD_0
	v_cvt_f32_u32_sdwa v11, v12 dst_sel:DWORD dst_unused:UNUSED_PAD src0_sel:WORD_1
	v_mul_f32_e32 v16, 0x45800000, v15
	v_cndmask_b32_e32 v16, v15, v16, vcc
	v_mov_b32_e32 v17, v16
	;;#ASMSTART
	v_pk_mul_f32 v[2:3], v[2:3], v[16:17]
	;;#ASMEND
	;;#ASMSTART
	v_pk_mul_f32 v[4:5], v[4:5], v[16:17]
	;;#ASMEND
	;; [unrolled: 3-line block ×4, first 2 shown]
	v_cvt_f32_u32_sdwa v17, v10 dst_sel:DWORD dst_unused:UNUSED_PAD src0_sel:WORD_1
	v_cvt_f32_u32_sdwa v16, v10 dst_sel:DWORD dst_unused:UNUSED_PAD src0_sel:WORD_0
	v_cvt_f32_u32_sdwa v10, v12 dst_sel:DWORD dst_unused:UNUSED_PAD src0_sel:WORD_0
	v_cvt_f32_u32_sdwa v21, v13 dst_sel:DWORD dst_unused:UNUSED_PAD src0_sel:WORD_1
	v_cvt_f32_u32_sdwa v20, v13 dst_sel:DWORD dst_unused:UNUSED_PAD src0_sel:WORD_0
	;;#ASMSTART
	v_pk_mul_f32 v[2:3], v[2:3], v[16:17]
	;;#ASMEND
	;;#ASMSTART
	v_pk_mul_f32 v[4:5], v[4:5], v[18:19]
	;;#ASMEND
	;; [unrolled: 3-line block ×4, first 2 shown]
	s_or_b64 exec, exec, s[22:23]
	s_mov_b64 s[22:23], -1
	s_and_b64 vcc, exec, s[18:19]
	s_cbranch_vccz .LBB200_13
.LBB200_17:
	s_and_saveexec_b64 s[18:19], s[0:1]
	s_cbranch_execz .LBB200_19
; %bb.18:
	s_mul_hi_i32 s23, s21, s6
	s_mul_i32 s22, s21, s6
	s_lshl_b64 s[22:23], s[22:23], 1
	s_add_u32 s24, s10, s22
	s_addc_u32 s7, s11, s23
	s_and_b32 s25, s7, 0xffff
	s_mov_b32 s7, 0x7060302
	s_mov_b32 s27, 0x20000
	s_waitcnt vmcnt(0)
	v_perm_b32 v10, v3, v2, s7
	v_perm_b32 v11, v5, v4, s7
	;; [unrolled: 1-line block ×4, first 2 shown]
	v_lshlrev_b32_e32 v15, 4, v0
	buffer_store_dwordx4 v[10:13], v15, s[24:27], 0 offen
	;;#ASMSTART
	s_nop 0
	;;#ASMEND
.LBB200_19:
	s_or_b64 exec, exec, s[18:19]
	s_cbranch_execnz .LBB200_14
.LBB200_20:
	s_and_saveexec_b64 s[18:19], s[0:1]
	s_cbranch_execz .LBB200_22
; %bb.21:
	s_load_dwordx2 s[0:1], s[4:5], 0x10
	s_mul_hi_i32 s23, s20, s6
	s_mul_i32 s22, s20, s6
	s_lshl_b64 s[22:23], s[22:23], 1
	s_mov_b32 s27, 0x20000
	s_waitcnt lgkmcnt(0)
	s_add_u32 s24, s0, s22
	s_addc_u32 s0, s1, s23
	s_and_b32 s25, s0, 0xffff
	s_mov_b32 s0, 0x7060302
	v_perm_b32 v2, v3, v2, s0
	v_perm_b32 v3, v5, v4, s0
	;; [unrolled: 1-line block ×4, first 2 shown]
	v_lshlrev_b32_e32 v6, 4, v0
	buffer_store_dwordx4 v[2:5], v6, s[24:27], 0 offen
	;;#ASMSTART
	s_nop 0
	;;#ASMEND
.LBB200_22:
	s_or_b64 exec, exec, s[18:19]
	s_cmp_lt_i32 s12, 1
	s_cbranch_scc1 .LBB200_15
.LBB200_23:
	s_load_dword s0, s[4:5], 0x94
	s_waitcnt lgkmcnt(0)
	s_cmp_lg_u32 s0, 1
	s_cbranch_scc1 .LBB200_15
; %bb.24:
	s_lshl_b32 s0, s12, 1
	s_add_i32 s0, s0, 2
	v_cmp_gt_u32_e32 vcc, s12, v1
	s_and_b32 s18, s0, -4
	v_mov_b32_e32 v4, 0
	s_waitcnt vmcnt(0)
	v_lshlrev_b32_e32 v12, 4, v0
	v_mov_b32_e32 v5, 0
	v_mov_b32_e32 v6, 0
	;; [unrolled: 1-line block ×7, first 2 shown]
	s_barrier
	s_and_saveexec_b64 s[0:1], vcc
	s_cbranch_execz .LBB200_26
; %bb.25:
	s_mul_hi_i32 s5, s14, s6
	s_mul_i32 s4, s14, s6
	s_and_b32 s17, s17, 0xffff
	s_lshl_b64 s[4:5], s[4:5], 1
	s_add_u32 s24, s2, s4
	s_mov_b32 s19, 0x20000
	s_addc_u32 s2, s3, s5
	s_and_b32 s25, s2, 0xffff
	s_mov_b32 s26, s18
	s_mov_b32 s27, s19
	buffer_load_dwordx4 v[4:7], v12, s[24:27], 0 offen glc slc
	buffer_load_dwordx4 v[0:3], v12, s[16:19], 0 offen
.LBB200_26:
	s_or_b64 exec, exec, s[0:1]
	s_waitcnt vmcnt(1)
	v_cvt_f32_u32_sdwa v11, v4 dst_sel:DWORD dst_unused:UNUSED_PAD src0_sel:WORD_1
	v_cvt_f32_u32_sdwa v10, v4 dst_sel:DWORD dst_unused:UNUSED_PAD src0_sel:WORD_0
	v_cvt_f32_u32_sdwa v4, v7 dst_sel:DWORD dst_unused:UNUSED_PAD src0_sel:WORD_1
	v_cvt_f32_u32_sdwa v7, v7 dst_sel:DWORD dst_unused:UNUSED_PAD src0_sel:WORD_0
	;; [unrolled: 2-line block ×4, first 2 shown]
	v_cndmask_b32_e32 v11, 0, v11, vcc
	v_cndmask_b32_e32 v5, 0, v4, vcc
	;; [unrolled: 1-line block ×5, first 2 shown]
	v_mul_f32_e32 v13, v11, v11
	v_cndmask_b32_e32 v8, 0, v8, vcc
	v_fmac_f32_e32 v13, v10, v10
	v_cndmask_b32_e32 v9, 0, v9, vcc
	v_fmac_f32_e32 v13, v8, v8
	;; [unrolled: 2-line block ×3, first 2 shown]
	v_fmac_f32_e32 v13, v6, v6
	v_fmac_f32_e32 v13, v7, v7
	;; [unrolled: 1-line block ×4, first 2 shown]
	s_nop 1
	v_mov_b32_dpp v15, v13 quad_perm:[1,0,3,2] row_mask:0xf bank_mask:0xf
	v_add_f32_e32 v13, v13, v15
	s_nop 1
	v_mov_b32_dpp v15, v13 quad_perm:[2,3,0,1] row_mask:0xf bank_mask:0xf
	v_add_f32_e32 v13, v13, v15
	s_nop 1
	v_mov_b32_dpp v15, v13 row_half_mirror row_mask:0xf bank_mask:0xf
	v_add_f32_e32 v13, v13, v15
	s_nop 1
	v_mov_b32_dpp v15, v13 row_mirror row_mask:0xf bank_mask:0xf
	v_add_f32_e32 v13, v13, v15
	s_nop 1
	v_mov_b32_dpp v15, v13 row_bcast:15 row_mask:0xf bank_mask:0xf
	v_add_f32_e32 v13, v13, v15
	s_nop 1
	v_mov_b32_dpp v15, v13 row_bcast:31 row_mask:0xf bank_mask:0xf
	v_add_f32_e32 v13, v13, v15
	ds_bpermute_b32 v13, v14, v13
	s_and_saveexec_b64 s[0:1], vcc
	s_cbranch_execz .LBB200_15
; %bb.27:
	v_cvt_f32_u32_e32 v14, s12
	s_mov_b32 s19, 0x20000
	s_waitcnt lgkmcnt(0)
	v_div_scale_f32 v15, s[0:1], v14, v14, v13
	v_rcp_f32_e32 v16, v15
	v_div_scale_f32 v17, vcc, v13, v14, v13
	s_mov_b32 s0, 0x800000
	v_fma_f32 v18, -v15, v16, 1.0
	v_fmac_f32_e32 v16, v18, v16
	v_mul_f32_e32 v18, v17, v16
	v_fma_f32 v19, -v15, v18, v17
	v_fmac_f32_e32 v18, v19, v16
	v_fma_f32 v15, -v15, v18, v17
	v_div_fmas_f32 v15, v15, v16, v18
	v_div_fixup_f32 v13, v15, v14, v13
	v_add_f32_e32 v13, s9, v13
	v_mul_f32_e32 v14, 0x4b800000, v13
	v_cmp_gt_f32_e32 vcc, s0, v13
	v_cndmask_b32_e32 v13, v13, v14, vcc
	v_rsq_f32_e32 v13, v13
	s_mul_hi_i32 s1, s21, s6
	s_mul_i32 s0, s21, s6
	s_lshl_b64 s[0:1], s[0:1], 1
	v_mul_f32_e32 v14, 0x45800000, v13
	v_cndmask_b32_e32 v14, v13, v14, vcc
	s_add_u32 s16, s10, s0
	v_mov_b32_e32 v15, v14
	s_addc_u32 s0, s11, s1
	;;#ASMSTART
	v_pk_mul_f32 v[10:11], v[10:11], v[14:15]
	;;#ASMEND
	;;#ASMSTART
	v_pk_mul_f32 v[8:9], v[8:9], v[14:15]
	;;#ASMEND
	;; [unrolled: 3-line block ×4, first 2 shown]
	s_waitcnt vmcnt(0)
	v_cvt_f32_u32_sdwa v15, v0 dst_sel:DWORD dst_unused:UNUSED_PAD src0_sel:WORD_1
	v_cvt_f32_u32_sdwa v14, v0 dst_sel:DWORD dst_unused:UNUSED_PAD src0_sel:WORD_0
	v_cvt_f32_u32_sdwa v17, v1 dst_sel:DWORD dst_unused:UNUSED_PAD src0_sel:WORD_1
	v_cvt_f32_u32_sdwa v16, v1 dst_sel:DWORD dst_unused:UNUSED_PAD src0_sel:WORD_0
	;; [unrolled: 2-line block ×4, first 2 shown]
	;;#ASMSTART
	v_pk_mul_f32 v[2:3], v[10:11], v[14:15]
	;;#ASMEND
	s_and_b32 s17, s0, 0xffff
	s_mov_b32 s0, 0x7060302
	;;#ASMSTART
	v_pk_mul_f32 v[8:9], v[8:9], v[16:17]
	;;#ASMEND
	;;#ASMSTART
	v_pk_mul_f32 v[6:7], v[6:7], v[0:1]
	;;#ASMEND
	;; [unrolled: 3-line block ×3, first 2 shown]
	v_perm_b32 v0, v3, v2, s0
	v_perm_b32 v1, v9, v8, s0
	;; [unrolled: 1-line block ×4, first 2 shown]
	buffer_store_dwordx4 v[0:3], v12, s[16:19], 0 offen
	;;#ASMSTART
	s_nop 0
	;;#ASMEND
	s_endpgm
	.section	.rodata,"a",@progbits
	.p2align	6, 0x0
	.amdhsa_kernel _ZN5aiter35fused_qk_rmsnorm_group_quant_kernelItN4opus5fp4_tELi64ELi8ELi4ELb1ELb1ELb0ELb1ELb0ELb0EEEvPT0_PvPT_S7_S7_PKS6_S9_S9_S9_S9_ffiiiiiiiiiiiii
		.amdhsa_group_segment_fixed_size 0
		.amdhsa_private_segment_fixed_size 0
		.amdhsa_kernarg_size 400
		.amdhsa_user_sgpr_count 6
		.amdhsa_user_sgpr_private_segment_buffer 1
		.amdhsa_user_sgpr_dispatch_ptr 0
		.amdhsa_user_sgpr_queue_ptr 0
		.amdhsa_user_sgpr_kernarg_segment_ptr 1
		.amdhsa_user_sgpr_dispatch_id 0
		.amdhsa_user_sgpr_flat_scratch_init 0
		.amdhsa_user_sgpr_kernarg_preload_length 0
		.amdhsa_user_sgpr_kernarg_preload_offset 0
		.amdhsa_user_sgpr_private_segment_size 0
		.amdhsa_uses_dynamic_stack 0
		.amdhsa_system_sgpr_private_segment_wavefront_offset 0
		.amdhsa_system_sgpr_workgroup_id_x 1
		.amdhsa_system_sgpr_workgroup_id_y 1
		.amdhsa_system_sgpr_workgroup_id_z 0
		.amdhsa_system_sgpr_workgroup_info 0
		.amdhsa_system_vgpr_workitem_id 0
		.amdhsa_next_free_vgpr 27
		.amdhsa_next_free_sgpr 44
		.amdhsa_accum_offset 28
		.amdhsa_reserve_vcc 1
		.amdhsa_reserve_flat_scratch 0
		.amdhsa_float_round_mode_32 0
		.amdhsa_float_round_mode_16_64 0
		.amdhsa_float_denorm_mode_32 3
		.amdhsa_float_denorm_mode_16_64 3
		.amdhsa_dx10_clamp 1
		.amdhsa_ieee_mode 1
		.amdhsa_fp16_overflow 0
		.amdhsa_tg_split 0
		.amdhsa_exception_fp_ieee_invalid_op 0
		.amdhsa_exception_fp_denorm_src 0
		.amdhsa_exception_fp_ieee_div_zero 0
		.amdhsa_exception_fp_ieee_overflow 0
		.amdhsa_exception_fp_ieee_underflow 0
		.amdhsa_exception_fp_ieee_inexact 0
		.amdhsa_exception_int_div_zero 0
	.end_amdhsa_kernel
	.section	.text._ZN5aiter35fused_qk_rmsnorm_group_quant_kernelItN4opus5fp4_tELi64ELi8ELi4ELb1ELb1ELb0ELb1ELb0ELb0EEEvPT0_PvPT_S7_S7_PKS6_S9_S9_S9_S9_ffiiiiiiiiiiiii,"axG",@progbits,_ZN5aiter35fused_qk_rmsnorm_group_quant_kernelItN4opus5fp4_tELi64ELi8ELi4ELb1ELb1ELb0ELb1ELb0ELb0EEEvPT0_PvPT_S7_S7_PKS6_S9_S9_S9_S9_ffiiiiiiiiiiiii,comdat
.Lfunc_end200:
	.size	_ZN5aiter35fused_qk_rmsnorm_group_quant_kernelItN4opus5fp4_tELi64ELi8ELi4ELb1ELb1ELb0ELb1ELb0ELb0EEEvPT0_PvPT_S7_S7_PKS6_S9_S9_S9_S9_ffiiiiiiiiiiiii, .Lfunc_end200-_ZN5aiter35fused_qk_rmsnorm_group_quant_kernelItN4opus5fp4_tELi64ELi8ELi4ELb1ELb1ELb0ELb1ELb0ELb0EEEvPT0_PvPT_S7_S7_PKS6_S9_S9_S9_S9_ffiiiiiiiiiiiii
                                        ; -- End function
	.section	.AMDGPU.csdata,"",@progbits
; Kernel info:
; codeLenInByte = 2332
; NumSgprs: 48
; NumVgprs: 27
; NumAgprs: 0
; TotalNumVgprs: 27
; ScratchSize: 0
; MemoryBound: 0
; FloatMode: 240
; IeeeMode: 1
; LDSByteSize: 0 bytes/workgroup (compile time only)
; SGPRBlocks: 5
; VGPRBlocks: 3
; NumSGPRsForWavesPerEU: 48
; NumVGPRsForWavesPerEU: 27
; AccumOffset: 28
; Occupancy: 8
; WaveLimiterHint : 0
; COMPUTE_PGM_RSRC2:SCRATCH_EN: 0
; COMPUTE_PGM_RSRC2:USER_SGPR: 6
; COMPUTE_PGM_RSRC2:TRAP_HANDLER: 0
; COMPUTE_PGM_RSRC2:TGID_X_EN: 1
; COMPUTE_PGM_RSRC2:TGID_Y_EN: 1
; COMPUTE_PGM_RSRC2:TGID_Z_EN: 0
; COMPUTE_PGM_RSRC2:TIDIG_COMP_CNT: 0
; COMPUTE_PGM_RSRC3_GFX90A:ACCUM_OFFSET: 6
; COMPUTE_PGM_RSRC3_GFX90A:TG_SPLIT: 0
	.section	.text._ZN5aiter35fused_qk_rmsnorm_group_quant_kernelIDF16_DB8_Li64ELi8ELi4ELb0ELb1ELb1ELb1ELb0ELb0EEEvPT0_PvPT_S6_S6_PKS5_S8_S8_S8_S8_ffiiiiiiiiiiiii,"axG",@progbits,_ZN5aiter35fused_qk_rmsnorm_group_quant_kernelIDF16_DB8_Li64ELi8ELi4ELb0ELb1ELb1ELb1ELb0ELb0EEEvPT0_PvPT_S6_S6_PKS5_S8_S8_S8_S8_ffiiiiiiiiiiiii,comdat
	.protected	_ZN5aiter35fused_qk_rmsnorm_group_quant_kernelIDF16_DB8_Li64ELi8ELi4ELb0ELb1ELb1ELb1ELb0ELb0EEEvPT0_PvPT_S6_S6_PKS5_S8_S8_S8_S8_ffiiiiiiiiiiiii ; -- Begin function _ZN5aiter35fused_qk_rmsnorm_group_quant_kernelIDF16_DB8_Li64ELi8ELi4ELb0ELb1ELb1ELb1ELb0ELb0EEEvPT0_PvPT_S6_S6_PKS5_S8_S8_S8_S8_ffiiiiiiiiiiiii
	.globl	_ZN5aiter35fused_qk_rmsnorm_group_quant_kernelIDF16_DB8_Li64ELi8ELi4ELb0ELb1ELb1ELb1ELb0ELb0EEEvPT0_PvPT_S6_S6_PKS5_S8_S8_S8_S8_ffiiiiiiiiiiiii
	.p2align	8
	.type	_ZN5aiter35fused_qk_rmsnorm_group_quant_kernelIDF16_DB8_Li64ELi8ELi4ELb0ELb1ELb1ELb1ELb0ELb0EEEvPT0_PvPT_S6_S6_PKS5_S8_S8_S8_S8_ffiiiiiiiiiiiii,@function
_ZN5aiter35fused_qk_rmsnorm_group_quant_kernelIDF16_DB8_Li64ELi8ELi4ELb0ELb1ELb1ELb1ELb0ELb0EEEvPT0_PvPT_S6_S6_PKS5_S8_S8_S8_S8_ffiiiiiiiiiiiii: ; @_ZN5aiter35fused_qk_rmsnorm_group_quant_kernelIDF16_DB8_Li64ELi8ELi4ELb0ELb1ELb1ELb1ELb0ELb0EEEvPT0_PvPT_S6_S6_PKS5_S8_S8_S8_S8_ffiiiiiiiiiiiii
; %bb.0:
	s_load_dwordx4 s[12:15], s[4:5], 0x50
	s_waitcnt lgkmcnt(0)
	s_cmp_ge_i32 s6, s14
	s_cbranch_scc1 .LBB201_10
; %bb.1:
	s_load_dwordx2 s[24:25], s[4:5], 0x30
	s_load_dwordx2 s[8:9], s[4:5], 0x48
	s_load_dwordx4 s[16:19], s[4:5], 0x60
	s_cmp_lg_u32 s7, 0
	s_cselect_b64 s[10:11], -1, 0
	s_cmp_eq_u32 s7, 0
	s_cselect_b64 vcc, -1, 0
	s_and_b64 s[0:1], vcc, exec
	s_waitcnt lgkmcnt(0)
	s_cselect_b32 s7, s15, s16
	s_add_i32 s0, s7, 1
	s_lshr_b32 s1, s0, 31
	s_add_i32 s0, s0, s1
	s_lshl_b32 s0, s0, 1
	v_lshlrev_b32_e32 v1, 3, v0
	s_and_b32 s22, s0, -4
	v_cmp_gt_i32_e64 s[0:1], s7, v1
	v_mov_b32_e32 v10, 0
	v_mov_b32_e32 v2, 0
	v_mov_b32_e32 v3, 0
	v_mov_b32_e32 v4, 0
	v_mov_b32_e32 v5, 0
	v_mov_b32_e32 v6, 0
	v_mov_b32_e32 v7, 0
	v_mov_b32_e32 v8, 0
	v_mov_b32_e32 v9, 0
	s_and_saveexec_b64 s[2:3], s[0:1]
	s_cbranch_execz .LBB201_3
; %bb.2:
	s_load_dwordx2 s[14:15], s[4:5], 0x28
	s_load_dwordx2 s[20:21], s[4:5], 0x40
	s_and_b64 s[26:27], vcc, exec
	s_cselect_b32 s17, s17, s18
	v_lshlrev_b32_e32 v11, 4, v0
	s_waitcnt lgkmcnt(0)
	s_cselect_b32 s19, s15, s25
	s_cselect_b32 s23, s14, s24
	s_mul_hi_i32 s15, s17, s6
	s_mul_i32 s14, s17, s6
	s_lshl_b64 s[14:15], s[14:15], 1
	s_add_u32 s28, s23, s14
	s_addc_u32 s17, s19, s15
	s_and_b64 s[14:15], vcc, exec
	s_mov_b32 s23, 0x20000
	s_cselect_b32 s20, s20, s8
	s_cselect_b32 s14, s21, s9
	s_and_b32 s29, s17, 0xffff
	s_mov_b32 s30, s22
	s_mov_b32 s31, s23
	s_and_b32 s21, s14, 0xffff
	buffer_load_dwordx4 v[6:9], v11, s[28:31], 0 offen glc slc
	buffer_load_dwordx4 v[2:5], v11, s[20:23], 0 offen
.LBB201_3:
	s_or_b64 exec, exec, s[2:3]
	v_mov_b32_e32 v11, 0
	v_mov_b32_e32 v14, 0
	;; [unrolled: 1-line block ×7, first 2 shown]
	s_and_saveexec_b64 s[2:3], s[0:1]
	s_cbranch_execz .LBB201_5
; %bb.4:
	s_waitcnt vmcnt(1)
	v_cvt_f32_f16_sdwa v11, v6 dst_sel:DWORD dst_unused:UNUSED_PAD src0_sel:WORD_1
	v_cvt_f32_f16_e32 v10, v6
	v_cvt_f32_f16_sdwa v15, v7 dst_sel:DWORD dst_unused:UNUSED_PAD src0_sel:WORD_1
	v_cvt_f32_f16_e32 v14, v7
	;; [unrolled: 2-line block ×4, first 2 shown]
.LBB201_5:
	s_or_b64 exec, exec, s[2:3]
	s_waitcnt vmcnt(1)
	v_mul_f32_e32 v6, v11, v11
	v_fmac_f32_e32 v6, v10, v10
	v_fmac_f32_e32 v6, v14, v14
	;; [unrolled: 1-line block ×7, first 2 shown]
	v_bfrev_b32_e32 v8, 0.5
	s_load_dwordx2 s[2:3], s[4:5], 0x18
	v_mov_b32_dpp v7, v6 quad_perm:[1,0,3,2] row_mask:0xf bank_mask:0xf
	v_add_f32_e32 v6, v6, v7
	s_nop 1
	v_mov_b32_dpp v7, v6 quad_perm:[2,3,0,1] row_mask:0xf bank_mask:0xf
	v_add_f32_e32 v6, v6, v7
	s_nop 1
	v_mov_b32_dpp v7, v6 row_half_mirror row_mask:0xf bank_mask:0xf
	v_add_f32_e32 v6, v6, v7
	s_nop 1
	v_mov_b32_dpp v7, v6 row_mirror row_mask:0xf bank_mask:0xf
	v_add_f32_e32 v6, v6, v7
	s_nop 1
	v_mov_b32_dpp v7, v6 row_bcast:15 row_mask:0xf bank_mask:0xf
	v_add_f32_e32 v6, v6, v7
	s_nop 1
	v_mov_b32_dpp v7, v6 row_bcast:31 row_mask:0xf bank_mask:0xf
	v_add_f32_e32 v6, v6, v7
	v_mbcnt_lo_u32_b32 v7, -1, 0
	v_mbcnt_hi_u32_b32 v7, -1, v7
	v_lshl_or_b32 v18, v7, 2, v8
	ds_bpermute_b32 v6, v18, v6
	s_and_saveexec_b64 s[14:15], s[0:1]
	s_cbranch_execz .LBB201_7
; %bb.6:
	v_cvt_f32_u32_e32 v7, s7
	v_mov_b32_e32 v8, s13
	v_mov_b32_e32 v9, s12
	v_cndmask_b32_e32 v8, v8, v9, vcc
	s_waitcnt lgkmcnt(0)
	v_div_scale_f32 v19, s[20:21], v7, v7, v6
	v_rcp_f32_e32 v20, v19
	v_div_scale_f32 v9, vcc, v6, v7, v6
	s_mov_b32 s7, 0x800000
	v_fma_f32 v21, -v19, v20, 1.0
	v_fmac_f32_e32 v20, v21, v20
	v_mul_f32_e32 v21, v9, v20
	v_fma_f32 v22, -v19, v21, v9
	v_fmac_f32_e32 v21, v22, v20
	v_fma_f32 v9, -v19, v21, v9
	v_div_fmas_f32 v9, v9, v20, v21
	v_div_fixup_f32 v6, v9, v7, v6
	v_add_f32_e32 v6, v8, v6
	v_mul_f32_e32 v7, 0x4b800000, v6
	v_cmp_gt_f32_e32 vcc, s7, v6
	v_cndmask_b32_e32 v6, v6, v7, vcc
	v_rsq_f32_e32 v6, v6
	s_waitcnt vmcnt(0)
	v_cvt_f32_f16_sdwa v21, v3 dst_sel:DWORD dst_unused:UNUSED_PAD src0_sel:WORD_1
	v_cvt_f32_f16_e32 v20, v3
	v_mul_f32_e32 v7, 0x45800000, v6
	v_cndmask_b32_e32 v6, v6, v7, vcc
	v_mov_b32_e32 v7, v6
	;;#ASMSTART
	v_pk_mul_f32 v[8:9], v[10:11], v[6:7]
	;;#ASMEND
	v_cvt_f32_f16_sdwa v11, v2 dst_sel:DWORD dst_unused:UNUSED_PAD src0_sel:WORD_1
	v_cvt_f32_f16_e32 v10, v2
	;;#ASMSTART
	v_pk_mul_f32 v[14:15], v[14:15], v[6:7]
	;;#ASMEND
	;;#ASMSTART
	v_pk_mul_f32 v[16:17], v[16:17], v[6:7]
	;;#ASMEND
	;; [unrolled: 3-line block ×3, first 2 shown]
	v_pk_add_f32 v[6:7], v[10:11], 1.0 op_sel_hi:[1,0]
	;;#ASMSTART
	v_pk_mul_f32 v[10:11], v[8:9], v[6:7]
	;;#ASMEND
	v_cvt_f32_f16_sdwa v9, v4 dst_sel:DWORD dst_unused:UNUSED_PAD src0_sel:WORD_1
	v_cvt_f32_f16_e32 v8, v4
	v_cvt_f32_f16_sdwa v13, v5 dst_sel:DWORD dst_unused:UNUSED_PAD src0_sel:WORD_1
	v_cvt_f32_f16_e32 v12, v5
	v_pk_add_f32 v[6:7], v[20:21], 1.0 op_sel_hi:[1,0]
	v_pk_add_f32 v[4:5], v[8:9], 1.0 op_sel_hi:[1,0]
	;;#ASMSTART
	v_pk_mul_f32 v[14:15], v[14:15], v[6:7]
	;;#ASMEND
	;;#ASMSTART
	v_pk_mul_f32 v[16:17], v[16:17], v[4:5]
	;;#ASMEND
	v_pk_add_f32 v[4:5], v[12:13], 1.0 op_sel_hi:[1,0]
	;;#ASMSTART
	v_pk_mul_f32 v[12:13], v[2:3], v[4:5]
	;;#ASMEND
.LBB201_7:
	s_or_b64 exec, exec, s[14:15]
	s_load_dwordx2 s[14:15], s[4:5], 0x7c
	s_mov_b64 s[20:21], -1
	s_and_b64 vcc, exec, s[10:11]
	s_cbranch_vccnz .LBB201_11
; %bb.8:
	s_andn2_b64 vcc, exec, s[20:21]
	s_cbranch_vccz .LBB201_14
.LBB201_9:
	s_cmp_lt_i32 s16, 1
	s_cbranch_scc0 .LBB201_17
.LBB201_10:
	s_endpgm
.LBB201_11:
	s_and_saveexec_b64 s[10:11], s[0:1]
	s_cbranch_execz .LBB201_13
; %bb.12:
	s_waitcnt lgkmcnt(0)
	s_mul_hi_i32 s21, s15, s6
	s_mul_i32 s20, s15, s6
	s_waitcnt vmcnt(0)
	v_cvt_f16_f32_e32 v2, v10
	v_cvt_f16_f32_e32 v3, v14
	;; [unrolled: 1-line block ×8, first 2 shown]
	s_lshl_b64 s[20:21], s[20:21], 1
	s_add_u32 s20, s2, s20
	s_addc_u32 s7, s3, s21
	s_and_b32 s21, s7, 0xffff
	s_mov_b32 s23, 0x20000
	v_pack_b32_f16 v5, v5, v6
	v_pack_b32_f16 v4, v4, v7
	;; [unrolled: 1-line block ×4, first 2 shown]
	v_lshlrev_b32_e32 v6, 4, v0
	buffer_store_dwordx4 v[2:5], v6, s[20:23], 0 offen
	;;#ASMSTART
	s_nop 0
	;;#ASMEND
.LBB201_13:
	s_or_b64 exec, exec, s[10:11]
	s_cbranch_execnz .LBB201_9
.LBB201_14:
	s_and_saveexec_b64 s[10:11], s[0:1]
	s_cbranch_execz .LBB201_16
; %bb.15:
	s_load_dwordx2 s[0:1], s[4:5], 0x10
	s_waitcnt lgkmcnt(0)
	s_mul_hi_i32 s21, s14, s6
	s_mul_i32 s20, s14, s6
	s_waitcnt vmcnt(0)
	v_cvt_f16_f32_e32 v2, v10
	v_cvt_f16_f32_e32 v3, v14
	;; [unrolled: 1-line block ×8, first 2 shown]
	s_lshl_b64 s[20:21], s[20:21], 1
	s_add_u32 s20, s0, s20
	s_addc_u32 s0, s1, s21
	s_mov_b32 s23, 0x20000
	s_and_b32 s21, s0, 0xffff
	v_pack_b32_f16 v5, v5, v6
	v_pack_b32_f16 v4, v4, v7
	;; [unrolled: 1-line block ×4, first 2 shown]
	v_lshlrev_b32_e32 v6, 4, v0
	buffer_store_dwordx4 v[2:5], v6, s[20:23], 0 offen
	;;#ASMSTART
	s_nop 0
	;;#ASMEND
.LBB201_16:
	s_or_b64 exec, exec, s[10:11]
	s_cmp_lt_i32 s16, 1
	s_cbranch_scc1 .LBB201_10
.LBB201_17:
	s_load_dword s0, s[4:5], 0x94
	s_waitcnt lgkmcnt(0)
	s_cmp_lg_u32 s0, 1
	s_cbranch_scc1 .LBB201_10
; %bb.18:
	s_lshl_b32 s0, s16, 1
	s_add_i32 s0, s0, 2
	v_cmp_gt_u32_e32 vcc, s16, v1
	s_and_b32 s10, s0, -4
	v_mov_b32_e32 v8, 0
	v_lshlrev_b32_e32 v16, 4, v0
	s_waitcnt vmcnt(0)
	v_mov_b32_e32 v4, 0
	v_mov_b32_e32 v5, 0
	;; [unrolled: 1-line block ×8, first 2 shown]
	s_barrier
	s_and_saveexec_b64 s[0:1], vcc
	s_cbranch_execz .LBB201_20
; %bb.19:
	s_mul_hi_i32 s5, s18, s6
	s_mul_i32 s4, s18, s6
	s_and_b32 s9, s9, 0xffff
	s_lshl_b64 s[4:5], s[4:5], 1
	s_add_u32 s20, s24, s4
	s_mov_b32 s11, 0x20000
	s_addc_u32 s4, s25, s5
	s_and_b32 s21, s4, 0xffff
	s_mov_b32 s22, s10
	s_mov_b32 s23, s11
	buffer_load_dwordx4 v[4:7], v16, s[20:23], 0 offen glc slc
	buffer_load_dwordx4 v[0:3], v16, s[8:11], 0 offen
.LBB201_20:
	s_or_b64 exec, exec, s[0:1]
	v_mov_b32_e32 v9, 0
	v_mov_b32_e32 v12, 0
	;; [unrolled: 1-line block ×7, first 2 shown]
	s_and_saveexec_b64 s[0:1], vcc
	s_cbranch_execz .LBB201_22
; %bb.21:
	s_waitcnt vmcnt(1)
	v_cvt_f32_f16_sdwa v9, v4 dst_sel:DWORD dst_unused:UNUSED_PAD src0_sel:WORD_1
	v_cvt_f32_f16_e32 v8, v4
	v_cvt_f32_f16_sdwa v13, v5 dst_sel:DWORD dst_unused:UNUSED_PAD src0_sel:WORD_1
	v_cvt_f32_f16_e32 v12, v5
	;; [unrolled: 2-line block ×4, first 2 shown]
.LBB201_22:
	s_or_b64 exec, exec, s[0:1]
	s_waitcnt vmcnt(1)
	v_mul_f32_e32 v4, v9, v9
	v_fmac_f32_e32 v4, v8, v8
	v_fmac_f32_e32 v4, v12, v12
	;; [unrolled: 1-line block ×7, first 2 shown]
	s_nop 1
	v_mov_b32_dpp v5, v4 quad_perm:[1,0,3,2] row_mask:0xf bank_mask:0xf
	v_add_f32_e32 v4, v4, v5
	s_nop 1
	v_mov_b32_dpp v5, v4 quad_perm:[2,3,0,1] row_mask:0xf bank_mask:0xf
	v_add_f32_e32 v4, v4, v5
	s_nop 1
	v_mov_b32_dpp v5, v4 row_half_mirror row_mask:0xf bank_mask:0xf
	v_add_f32_e32 v4, v4, v5
	s_nop 1
	v_mov_b32_dpp v5, v4 row_mirror row_mask:0xf bank_mask:0xf
	v_add_f32_e32 v4, v4, v5
	s_nop 1
	v_mov_b32_dpp v5, v4 row_bcast:15 row_mask:0xf bank_mask:0xf
	v_add_f32_e32 v4, v4, v5
	s_nop 1
	v_mov_b32_dpp v5, v4 row_bcast:31 row_mask:0xf bank_mask:0xf
	v_add_f32_e32 v4, v4, v5
	ds_bpermute_b32 v4, v18, v4
	s_and_saveexec_b64 s[0:1], vcc
	s_cbranch_execz .LBB201_10
; %bb.23:
	v_cvt_f32_u32_e32 v5, s16
	s_mov_b32 s11, 0x20000
	s_waitcnt lgkmcnt(0)
	v_div_scale_f32 v6, s[0:1], v5, v5, v4
	v_rcp_f32_e32 v7, v6
	v_div_scale_f32 v17, vcc, v4, v5, v4
	s_mov_b32 s0, 0x800000
	v_fma_f32 v18, -v6, v7, 1.0
	v_fmac_f32_e32 v7, v18, v7
	v_mul_f32_e32 v18, v17, v7
	v_fma_f32 v19, -v6, v18, v17
	v_fmac_f32_e32 v18, v19, v7
	v_fma_f32 v6, -v6, v18, v17
	v_div_fmas_f32 v6, v6, v7, v18
	v_div_fixup_f32 v4, v6, v5, v4
	v_add_f32_e32 v4, s13, v4
	v_mul_f32_e32 v5, 0x4b800000, v4
	v_cmp_gt_f32_e32 vcc, s0, v4
	v_cndmask_b32_e32 v4, v4, v5, vcc
	v_rsq_f32_e32 v4, v4
	s_waitcnt vmcnt(0)
	v_cvt_f32_f16_sdwa v5, v0 dst_sel:DWORD dst_unused:UNUSED_PAD src0_sel:WORD_1
	v_cvt_f32_f16_sdwa v19, v1 dst_sel:DWORD dst_unused:UNUSED_PAD src0_sel:WORD_1
	v_cvt_f32_f16_e32 v18, v1
	v_mul_f32_e32 v6, 0x45800000, v4
	v_cndmask_b32_e32 v6, v4, v6, vcc
	v_cvt_f32_f16_e32 v4, v0
	v_mov_b32_e32 v7, v6
	;;#ASMSTART
	v_pk_mul_f32 v[8:9], v[8:9], v[6:7]
	;;#ASMEND
	;;#ASMSTART
	v_pk_mul_f32 v[12:13], v[12:13], v[6:7]
	;;#ASMEND
	v_pk_add_f32 v[4:5], v[4:5], 1.0 op_sel_hi:[1,0]
	;;#ASMSTART
	v_pk_mul_f32 v[14:15], v[14:15], v[6:7]
	;;#ASMEND
	;;#ASMSTART
	v_pk_mul_f32 v[0:1], v[10:11], v[6:7]
	;;#ASMEND
	;; [unrolled: 3-line block ×3, first 2 shown]
	v_cvt_f32_f16_sdwa v9, v2 dst_sel:DWORD dst_unused:UNUSED_PAD src0_sel:WORD_1
	v_cvt_f32_f16_e32 v8, v2
	v_cvt_f32_f16_sdwa v11, v3 dst_sel:DWORD dst_unused:UNUSED_PAD src0_sel:WORD_1
	v_cvt_f32_f16_e32 v10, v3
	v_pk_add_f32 v[6:7], v[18:19], 1.0 op_sel_hi:[1,0]
	;;#ASMSTART
	v_pk_mul_f32 v[2:3], v[12:13], v[6:7]
	;;#ASMEND
	v_pk_add_f32 v[6:7], v[8:9], 1.0 op_sel_hi:[1,0]
	;;#ASMSTART
	v_pk_mul_f32 v[6:7], v[14:15], v[6:7]
	;;#ASMEND
	;; [unrolled: 4-line block ×3, first 2 shown]
	s_mul_hi_i32 s1, s15, s6
	s_mul_i32 s0, s15, s6
	v_cvt_f16_f32_e32 v4, v4
	v_cvt_f16_f32_e32 v5, v5
	;; [unrolled: 1-line block ×8, first 2 shown]
	s_lshl_b64 s[0:1], s[0:1], 1
	s_add_u32 s8, s2, s0
	s_addc_u32 s0, s3, s1
	s_and_b32 s9, s0, 0xffff
	v_pack_b32_f16 v0, v4, v5
	v_pack_b32_f16 v1, v2, v3
	;; [unrolled: 1-line block ×4, first 2 shown]
	buffer_store_dwordx4 v[0:3], v16, s[8:11], 0 offen
	;;#ASMSTART
	s_nop 0
	;;#ASMEND
	s_endpgm
	.section	.rodata,"a",@progbits
	.p2align	6, 0x0
	.amdhsa_kernel _ZN5aiter35fused_qk_rmsnorm_group_quant_kernelIDF16_DB8_Li64ELi8ELi4ELb0ELb1ELb1ELb1ELb0ELb0EEEvPT0_PvPT_S6_S6_PKS5_S8_S8_S8_S8_ffiiiiiiiiiiiii
		.amdhsa_group_segment_fixed_size 0
		.amdhsa_private_segment_fixed_size 0
		.amdhsa_kernarg_size 400
		.amdhsa_user_sgpr_count 6
		.amdhsa_user_sgpr_private_segment_buffer 1
		.amdhsa_user_sgpr_dispatch_ptr 0
		.amdhsa_user_sgpr_queue_ptr 0
		.amdhsa_user_sgpr_kernarg_segment_ptr 1
		.amdhsa_user_sgpr_dispatch_id 0
		.amdhsa_user_sgpr_flat_scratch_init 0
		.amdhsa_user_sgpr_kernarg_preload_length 0
		.amdhsa_user_sgpr_kernarg_preload_offset 0
		.amdhsa_user_sgpr_private_segment_size 0
		.amdhsa_uses_dynamic_stack 0
		.amdhsa_system_sgpr_private_segment_wavefront_offset 0
		.amdhsa_system_sgpr_workgroup_id_x 1
		.amdhsa_system_sgpr_workgroup_id_y 1
		.amdhsa_system_sgpr_workgroup_id_z 0
		.amdhsa_system_sgpr_workgroup_info 0
		.amdhsa_system_vgpr_workitem_id 0
		.amdhsa_next_free_vgpr 23
		.amdhsa_next_free_sgpr 32
		.amdhsa_accum_offset 24
		.amdhsa_reserve_vcc 1
		.amdhsa_reserve_flat_scratch 0
		.amdhsa_float_round_mode_32 0
		.amdhsa_float_round_mode_16_64 0
		.amdhsa_float_denorm_mode_32 3
		.amdhsa_float_denorm_mode_16_64 3
		.amdhsa_dx10_clamp 1
		.amdhsa_ieee_mode 1
		.amdhsa_fp16_overflow 0
		.amdhsa_tg_split 0
		.amdhsa_exception_fp_ieee_invalid_op 0
		.amdhsa_exception_fp_denorm_src 0
		.amdhsa_exception_fp_ieee_div_zero 0
		.amdhsa_exception_fp_ieee_overflow 0
		.amdhsa_exception_fp_ieee_underflow 0
		.amdhsa_exception_fp_ieee_inexact 0
		.amdhsa_exception_int_div_zero 0
	.end_amdhsa_kernel
	.section	.text._ZN5aiter35fused_qk_rmsnorm_group_quant_kernelIDF16_DB8_Li64ELi8ELi4ELb0ELb1ELb1ELb1ELb0ELb0EEEvPT0_PvPT_S6_S6_PKS5_S8_S8_S8_S8_ffiiiiiiiiiiiii,"axG",@progbits,_ZN5aiter35fused_qk_rmsnorm_group_quant_kernelIDF16_DB8_Li64ELi8ELi4ELb0ELb1ELb1ELb1ELb0ELb0EEEvPT0_PvPT_S6_S6_PKS5_S8_S8_S8_S8_ffiiiiiiiiiiiii,comdat
.Lfunc_end201:
	.size	_ZN5aiter35fused_qk_rmsnorm_group_quant_kernelIDF16_DB8_Li64ELi8ELi4ELb0ELb1ELb1ELb1ELb0ELb0EEEvPT0_PvPT_S6_S6_PKS5_S8_S8_S8_S8_ffiiiiiiiiiiiii, .Lfunc_end201-_ZN5aiter35fused_qk_rmsnorm_group_quant_kernelIDF16_DB8_Li64ELi8ELi4ELb0ELb1ELb1ELb1ELb0ELb0EEEvPT0_PvPT_S6_S6_PKS5_S8_S8_S8_S8_ffiiiiiiiiiiiii
                                        ; -- End function
	.section	.AMDGPU.csdata,"",@progbits
; Kernel info:
; codeLenInByte = 1976
; NumSgprs: 36
; NumVgprs: 23
; NumAgprs: 0
; TotalNumVgprs: 23
; ScratchSize: 0
; MemoryBound: 0
; FloatMode: 240
; IeeeMode: 1
; LDSByteSize: 0 bytes/workgroup (compile time only)
; SGPRBlocks: 4
; VGPRBlocks: 2
; NumSGPRsForWavesPerEU: 36
; NumVGPRsForWavesPerEU: 23
; AccumOffset: 24
; Occupancy: 8
; WaveLimiterHint : 0
; COMPUTE_PGM_RSRC2:SCRATCH_EN: 0
; COMPUTE_PGM_RSRC2:USER_SGPR: 6
; COMPUTE_PGM_RSRC2:TRAP_HANDLER: 0
; COMPUTE_PGM_RSRC2:TGID_X_EN: 1
; COMPUTE_PGM_RSRC2:TGID_Y_EN: 1
; COMPUTE_PGM_RSRC2:TGID_Z_EN: 0
; COMPUTE_PGM_RSRC2:TIDIG_COMP_CNT: 0
; COMPUTE_PGM_RSRC3_GFX90A:ACCUM_OFFSET: 5
; COMPUTE_PGM_RSRC3_GFX90A:TG_SPLIT: 0
	.section	.text._ZN5aiter35fused_qk_rmsnorm_group_quant_kernelItDB8_Li64ELi8ELi4ELb0ELb1ELb1ELb1ELb0ELb0EEEvPT0_PvPT_S6_S6_PKS5_S8_S8_S8_S8_ffiiiiiiiiiiiii,"axG",@progbits,_ZN5aiter35fused_qk_rmsnorm_group_quant_kernelItDB8_Li64ELi8ELi4ELb0ELb1ELb1ELb1ELb0ELb0EEEvPT0_PvPT_S6_S6_PKS5_S8_S8_S8_S8_ffiiiiiiiiiiiii,comdat
	.protected	_ZN5aiter35fused_qk_rmsnorm_group_quant_kernelItDB8_Li64ELi8ELi4ELb0ELb1ELb1ELb1ELb0ELb0EEEvPT0_PvPT_S6_S6_PKS5_S8_S8_S8_S8_ffiiiiiiiiiiiii ; -- Begin function _ZN5aiter35fused_qk_rmsnorm_group_quant_kernelItDB8_Li64ELi8ELi4ELb0ELb1ELb1ELb1ELb0ELb0EEEvPT0_PvPT_S6_S6_PKS5_S8_S8_S8_S8_ffiiiiiiiiiiiii
	.globl	_ZN5aiter35fused_qk_rmsnorm_group_quant_kernelItDB8_Li64ELi8ELi4ELb0ELb1ELb1ELb1ELb0ELb0EEEvPT0_PvPT_S6_S6_PKS5_S8_S8_S8_S8_ffiiiiiiiiiiiii
	.p2align	8
	.type	_ZN5aiter35fused_qk_rmsnorm_group_quant_kernelItDB8_Li64ELi8ELi4ELb0ELb1ELb1ELb1ELb0ELb0EEEvPT0_PvPT_S6_S6_PKS5_S8_S8_S8_S8_ffiiiiiiiiiiiii,@function
_ZN5aiter35fused_qk_rmsnorm_group_quant_kernelItDB8_Li64ELi8ELi4ELb0ELb1ELb1ELb1ELb0ELb0EEEvPT0_PvPT_S6_S6_PKS5_S8_S8_S8_S8_ffiiiiiiiiiiiii: ; @_ZN5aiter35fused_qk_rmsnorm_group_quant_kernelItDB8_Li64ELi8ELi4ELb0ELb1ELb1ELb1ELb0ELb0EEEvPT0_PvPT_S6_S6_PKS5_S8_S8_S8_S8_ffiiiiiiiiiiiii
; %bb.0:
	s_load_dwordx4 s[12:15], s[4:5], 0x50
	s_waitcnt lgkmcnt(0)
	s_cmp_ge_i32 s6, s14
	s_cbranch_scc1 .LBB202_8
; %bb.1:
	s_load_dwordx2 s[24:25], s[4:5], 0x30
	s_load_dwordx2 s[8:9], s[4:5], 0x48
	s_load_dwordx4 s[16:19], s[4:5], 0x60
	s_cmp_lg_u32 s7, 0
	s_cselect_b64 s[10:11], -1, 0
	s_cmp_eq_u32 s7, 0
	s_cselect_b64 vcc, -1, 0
	s_and_b64 s[0:1], vcc, exec
	s_waitcnt lgkmcnt(0)
	s_cselect_b32 s7, s15, s16
	s_add_i32 s0, s7, 1
	s_lshr_b32 s1, s0, 31
	s_add_i32 s0, s0, s1
	s_lshl_b32 s0, s0, 1
	v_lshlrev_b32_e32 v1, 3, v0
	s_and_b32 s22, s0, -4
	v_cmp_gt_i32_e64 s[0:1], s7, v1
	v_mov_b32_e32 v2, 0
	v_mov_b32_e32 v3, 0
	v_mov_b32_e32 v4, 0
	v_mov_b32_e32 v5, 0
	v_mov_b32_e32 v6, 0
	v_mov_b32_e32 v7, 0
	v_mov_b32_e32 v8, 0
	v_mov_b32_e32 v9, 0
	s_and_saveexec_b64 s[2:3], s[0:1]
	s_cbranch_execz .LBB202_3
; %bb.2:
	s_load_dwordx2 s[14:15], s[4:5], 0x28
	s_load_dwordx2 s[20:21], s[4:5], 0x40
	s_and_b64 s[26:27], vcc, exec
	s_cselect_b32 s17, s17, s18
	v_lshlrev_b32_e32 v10, 4, v0
	s_waitcnt lgkmcnt(0)
	s_cselect_b32 s19, s15, s25
	s_cselect_b32 s23, s14, s24
	s_mul_hi_i32 s15, s17, s6
	s_mul_i32 s14, s17, s6
	s_lshl_b64 s[14:15], s[14:15], 1
	s_add_u32 s28, s23, s14
	s_addc_u32 s17, s19, s15
	s_and_b64 s[14:15], vcc, exec
	s_mov_b32 s23, 0x20000
	s_cselect_b32 s20, s20, s8
	s_cselect_b32 s14, s21, s9
	s_and_b32 s29, s17, 0xffff
	s_mov_b32 s30, s22
	s_mov_b32 s31, s23
	s_and_b32 s21, s14, 0xffff
	buffer_load_dwordx4 v[6:9], v10, s[28:31], 0 offen glc slc
	buffer_load_dwordx4 v[2:5], v10, s[20:23], 0 offen
.LBB202_3:
	s_or_b64 exec, exec, s[2:3]
	s_waitcnt vmcnt(1)
	v_cvt_f32_u32_sdwa v14, v6 dst_sel:DWORD dst_unused:UNUSED_PAD src0_sel:WORD_0
	v_cvt_f32_u32_sdwa v15, v6 dst_sel:DWORD dst_unused:UNUSED_PAD src0_sel:WORD_1
	v_cvt_f32_u32_sdwa v6, v9 dst_sel:DWORD dst_unused:UNUSED_PAD src0_sel:WORD_1
	v_cvt_f32_u32_sdwa v9, v9 dst_sel:DWORD dst_unused:UNUSED_PAD src0_sel:WORD_0
	v_cvt_f32_u32_sdwa v10, v8 dst_sel:DWORD dst_unused:UNUSED_PAD src0_sel:WORD_1
	v_cvt_f32_u32_sdwa v8, v8 dst_sel:DWORD dst_unused:UNUSED_PAD src0_sel:WORD_0
	v_cvt_f32_u32_sdwa v12, v7 dst_sel:DWORD dst_unused:UNUSED_PAD src0_sel:WORD_0
	v_cvt_f32_u32_sdwa v13, v7 dst_sel:DWORD dst_unused:UNUSED_PAD src0_sel:WORD_1
	v_cndmask_b32_e64 v7, 0, v6, s[0:1]
	v_cndmask_b32_e64 v6, 0, v9, s[0:1]
	;; [unrolled: 1-line block ×6, first 2 shown]
	v_mul_f32_e32 v14, v9, v9
	v_cndmask_b32_e64 v12, 0, v12, s[0:1]
	v_fmac_f32_e32 v14, v8, v8
	v_cndmask_b32_e64 v13, 0, v13, s[0:1]
	v_fmac_f32_e32 v14, v12, v12
	v_fmac_f32_e32 v14, v13, v13
	;; [unrolled: 1-line block ×6, first 2 shown]
	v_bfrev_b32_e32 v16, 0.5
	s_load_dwordx2 s[2:3], s[4:5], 0x18
	v_mov_b32_dpp v15, v14 quad_perm:[1,0,3,2] row_mask:0xf bank_mask:0xf
	v_add_f32_e32 v14, v14, v15
	s_nop 1
	v_mov_b32_dpp v15, v14 quad_perm:[2,3,0,1] row_mask:0xf bank_mask:0xf
	v_add_f32_e32 v14, v14, v15
	s_nop 1
	v_mov_b32_dpp v15, v14 row_half_mirror row_mask:0xf bank_mask:0xf
	v_add_f32_e32 v14, v14, v15
	s_nop 1
	v_mov_b32_dpp v15, v14 row_mirror row_mask:0xf bank_mask:0xf
	v_add_f32_e32 v14, v14, v15
	s_nop 1
	v_mov_b32_dpp v15, v14 row_bcast:15 row_mask:0xf bank_mask:0xf
	v_add_f32_e32 v14, v14, v15
	s_nop 1
	v_mov_b32_dpp v15, v14 row_bcast:31 row_mask:0xf bank_mask:0xf
	v_add_f32_e32 v15, v14, v15
	v_mbcnt_lo_u32_b32 v14, -1, 0
	v_mbcnt_hi_u32_b32 v14, -1, v14
	v_lshl_or_b32 v14, v14, 2, v16
	ds_bpermute_b32 v15, v14, v15
	s_and_saveexec_b64 s[14:15], s[0:1]
	s_cbranch_execz .LBB202_5
; %bb.4:
	v_cvt_f32_u32_e32 v16, s7
	v_mov_b32_e32 v17, s13
	v_mov_b32_e32 v18, s12
	v_cndmask_b32_e32 v17, v17, v18, vcc
	s_waitcnt lgkmcnt(0)
	v_div_scale_f32 v19, s[20:21], v16, v16, v15
	v_rcp_f32_e32 v20, v19
	v_div_scale_f32 v18, vcc, v15, v16, v15
	s_mov_b32 s7, 0x800000
	v_fma_f32 v21, -v19, v20, 1.0
	v_fmac_f32_e32 v20, v21, v20
	v_mul_f32_e32 v21, v18, v20
	v_fma_f32 v22, -v19, v21, v18
	v_fmac_f32_e32 v21, v22, v20
	v_fma_f32 v18, -v19, v21, v18
	v_div_fmas_f32 v18, v18, v20, v21
	v_div_fixup_f32 v15, v18, v16, v15
	v_add_f32_e32 v15, v17, v15
	v_mul_f32_e32 v16, 0x4b800000, v15
	v_cmp_gt_f32_e32 vcc, s7, v15
	v_cndmask_b32_e32 v15, v15, v16, vcc
	v_rsq_f32_e32 v15, v15
	s_waitcnt vmcnt(0)
	v_cvt_f32_u32_sdwa v19, v2 dst_sel:DWORD dst_unused:UNUSED_PAD src0_sel:WORD_1
	v_cvt_f32_u32_sdwa v18, v2 dst_sel:DWORD dst_unused:UNUSED_PAD src0_sel:WORD_0
	v_cvt_f32_u32_sdwa v21, v3 dst_sel:DWORD dst_unused:UNUSED_PAD src0_sel:WORD_1
	v_mul_f32_e32 v16, 0x45800000, v15
	v_cndmask_b32_e32 v16, v15, v16, vcc
	v_mov_b32_e32 v17, v16
	;;#ASMSTART
	v_pk_mul_f32 v[8:9], v[8:9], v[16:17]
	;;#ASMEND
	;;#ASMSTART
	v_pk_mul_f32 v[12:13], v[12:13], v[16:17]
	;;#ASMEND
	;; [unrolled: 3-line block ×3, first 2 shown]
	v_cvt_f32_u32_sdwa v20, v3 dst_sel:DWORD dst_unused:UNUSED_PAD src0_sel:WORD_0
	;;#ASMSTART
	v_pk_mul_f32 v[2:3], v[6:7], v[16:17]
	;;#ASMEND
	v_cvt_f32_u32_sdwa v17, v4 dst_sel:DWORD dst_unused:UNUSED_PAD src0_sel:WORD_1
	v_cvt_f32_u32_sdwa v16, v4 dst_sel:DWORD dst_unused:UNUSED_PAD src0_sel:WORD_0
	v_pk_add_f32 v[6:7], v[18:19], 1.0 op_sel_hi:[1,0]
	v_cvt_f32_u32_sdwa v19, v5 dst_sel:DWORD dst_unused:UNUSED_PAD src0_sel:WORD_1
	v_cvt_f32_u32_sdwa v18, v5 dst_sel:DWORD dst_unused:UNUSED_PAD src0_sel:WORD_0
	;;#ASMSTART
	v_pk_mul_f32 v[8:9], v[8:9], v[6:7]
	;;#ASMEND
	v_pk_add_f32 v[6:7], v[20:21], 1.0 op_sel_hi:[1,0]
	v_pk_add_f32 v[4:5], v[16:17], 1.0 op_sel_hi:[1,0]
	;;#ASMSTART
	v_pk_mul_f32 v[12:13], v[12:13], v[6:7]
	;;#ASMEND
	;;#ASMSTART
	v_pk_mul_f32 v[10:11], v[10:11], v[4:5]
	;;#ASMEND
	v_pk_add_f32 v[4:5], v[18:19], 1.0 op_sel_hi:[1,0]
	;;#ASMSTART
	v_pk_mul_f32 v[6:7], v[2:3], v[4:5]
	;;#ASMEND
.LBB202_5:
	s_or_b64 exec, exec, s[14:15]
	s_load_dwordx2 s[14:15], s[4:5], 0x7c
	s_mov_b64 s[20:21], -1
	s_and_b64 vcc, exec, s[10:11]
	s_cbranch_vccnz .LBB202_9
; %bb.6:
	s_andn2_b64 vcc, exec, s[20:21]
	s_cbranch_vccz .LBB202_12
.LBB202_7:
	s_cmp_lt_i32 s16, 1
	s_cbranch_scc0 .LBB202_15
.LBB202_8:
	s_endpgm
.LBB202_9:
	s_and_saveexec_b64 s[10:11], s[0:1]
	s_cbranch_execz .LBB202_11
; %bb.10:
	s_waitcnt lgkmcnt(0)
	s_mul_hi_i32 s21, s15, s6
	s_mul_i32 s20, s15, s6
	s_lshl_b64 s[20:21], s[20:21], 1
	s_add_u32 s20, s2, s20
	s_addc_u32 s7, s3, s21
	s_and_b32 s21, s7, 0xffff
	s_mov_b32 s7, 0x7060302
	s_mov_b32 s23, 0x20000
	s_waitcnt vmcnt(0)
	v_perm_b32 v2, v9, v8, s7
	v_perm_b32 v3, v13, v12, s7
	;; [unrolled: 1-line block ×4, first 2 shown]
	v_lshlrev_b32_e32 v15, 4, v0
	buffer_store_dwordx4 v[2:5], v15, s[20:23], 0 offen
	;;#ASMSTART
	s_nop 0
	;;#ASMEND
.LBB202_11:
	s_or_b64 exec, exec, s[10:11]
	s_cbranch_execnz .LBB202_7
.LBB202_12:
	s_and_saveexec_b64 s[10:11], s[0:1]
	s_cbranch_execz .LBB202_14
; %bb.13:
	s_load_dwordx2 s[0:1], s[4:5], 0x10
	s_waitcnt lgkmcnt(0)
	s_mul_hi_i32 s21, s14, s6
	s_mul_i32 s20, s14, s6
	s_lshl_b64 s[20:21], s[20:21], 1
	s_mov_b32 s23, 0x20000
	s_add_u32 s20, s0, s20
	s_addc_u32 s0, s1, s21
	s_and_b32 s21, s0, 0xffff
	s_mov_b32 s0, 0x7060302
	s_waitcnt vmcnt(0)
	v_perm_b32 v2, v9, v8, s0
	v_perm_b32 v3, v13, v12, s0
	;; [unrolled: 1-line block ×4, first 2 shown]
	v_lshlrev_b32_e32 v6, 4, v0
	buffer_store_dwordx4 v[2:5], v6, s[20:23], 0 offen
	;;#ASMSTART
	s_nop 0
	;;#ASMEND
.LBB202_14:
	s_or_b64 exec, exec, s[10:11]
	s_cmp_lt_i32 s16, 1
	s_cbranch_scc1 .LBB202_8
.LBB202_15:
	s_load_dword s0, s[4:5], 0x94
	s_waitcnt lgkmcnt(0)
	s_cmp_lg_u32 s0, 1
	s_cbranch_scc1 .LBB202_8
; %bb.16:
	s_lshl_b32 s0, s16, 1
	s_add_i32 s0, s0, 2
	v_cmp_gt_u32_e32 vcc, s16, v1
	s_and_b32 s10, s0, -4
	s_waitcnt vmcnt(0)
	v_mov_b32_e32 v4, 0
	v_lshlrev_b32_e32 v12, 4, v0
	v_mov_b32_e32 v5, 0
	v_mov_b32_e32 v6, 0
	;; [unrolled: 1-line block ×7, first 2 shown]
	s_barrier
	s_and_saveexec_b64 s[0:1], vcc
	s_cbranch_execz .LBB202_18
; %bb.17:
	s_mul_hi_i32 s5, s18, s6
	s_mul_i32 s4, s18, s6
	s_and_b32 s9, s9, 0xffff
	s_lshl_b64 s[4:5], s[4:5], 1
	s_add_u32 s20, s24, s4
	s_mov_b32 s11, 0x20000
	s_addc_u32 s4, s25, s5
	s_and_b32 s21, s4, 0xffff
	s_mov_b32 s22, s10
	s_mov_b32 s23, s11
	buffer_load_dwordx4 v[4:7], v12, s[20:23], 0 offen glc slc
	buffer_load_dwordx4 v[0:3], v12, s[8:11], 0 offen
.LBB202_18:
	s_or_b64 exec, exec, s[0:1]
	s_waitcnt vmcnt(1)
	v_cvt_f32_u32_sdwa v11, v4 dst_sel:DWORD dst_unused:UNUSED_PAD src0_sel:WORD_1
	v_cvt_f32_u32_sdwa v10, v4 dst_sel:DWORD dst_unused:UNUSED_PAD src0_sel:WORD_0
	v_cvt_f32_u32_sdwa v4, v7 dst_sel:DWORD dst_unused:UNUSED_PAD src0_sel:WORD_1
	v_cvt_f32_u32_sdwa v7, v7 dst_sel:DWORD dst_unused:UNUSED_PAD src0_sel:WORD_0
	v_cvt_f32_u32_sdwa v13, v6 dst_sel:DWORD dst_unused:UNUSED_PAD src0_sel:WORD_1
	v_cvt_f32_u32_sdwa v8, v5 dst_sel:DWORD dst_unused:UNUSED_PAD src0_sel:WORD_0
	v_cvt_f32_u32_sdwa v9, v5 dst_sel:DWORD dst_unused:UNUSED_PAD src0_sel:WORD_1
	v_cvt_f32_u32_sdwa v6, v6 dst_sel:DWORD dst_unused:UNUSED_PAD src0_sel:WORD_0
	v_cndmask_b32_e32 v11, 0, v11, vcc
	v_cndmask_b32_e32 v5, 0, v4, vcc
	;; [unrolled: 1-line block ×5, first 2 shown]
	v_mul_f32_e32 v13, v11, v11
	v_cndmask_b32_e32 v8, 0, v8, vcc
	v_fmac_f32_e32 v13, v10, v10
	v_cndmask_b32_e32 v9, 0, v9, vcc
	v_fmac_f32_e32 v13, v8, v8
	;; [unrolled: 2-line block ×3, first 2 shown]
	v_fmac_f32_e32 v13, v6, v6
	v_fmac_f32_e32 v13, v7, v7
	;; [unrolled: 1-line block ×4, first 2 shown]
	s_nop 1
	v_mov_b32_dpp v15, v13 quad_perm:[1,0,3,2] row_mask:0xf bank_mask:0xf
	v_add_f32_e32 v13, v13, v15
	s_nop 1
	v_mov_b32_dpp v15, v13 quad_perm:[2,3,0,1] row_mask:0xf bank_mask:0xf
	v_add_f32_e32 v13, v13, v15
	s_nop 1
	v_mov_b32_dpp v15, v13 row_half_mirror row_mask:0xf bank_mask:0xf
	v_add_f32_e32 v13, v13, v15
	s_nop 1
	v_mov_b32_dpp v15, v13 row_mirror row_mask:0xf bank_mask:0xf
	v_add_f32_e32 v13, v13, v15
	s_nop 1
	v_mov_b32_dpp v15, v13 row_bcast:15 row_mask:0xf bank_mask:0xf
	v_add_f32_e32 v13, v13, v15
	s_nop 1
	v_mov_b32_dpp v15, v13 row_bcast:31 row_mask:0xf bank_mask:0xf
	v_add_f32_e32 v13, v13, v15
	ds_bpermute_b32 v13, v14, v13
	s_and_saveexec_b64 s[0:1], vcc
	s_cbranch_execz .LBB202_8
; %bb.19:
	v_cvt_f32_u32_e32 v14, s16
	s_mov_b32 s11, 0x20000
	s_waitcnt lgkmcnt(0)
	v_div_scale_f32 v15, s[0:1], v14, v14, v13
	v_rcp_f32_e32 v16, v15
	v_div_scale_f32 v17, vcc, v13, v14, v13
	s_mov_b32 s0, 0x800000
	v_fma_f32 v18, -v15, v16, 1.0
	v_fmac_f32_e32 v16, v18, v16
	v_mul_f32_e32 v18, v17, v16
	v_fma_f32 v19, -v15, v18, v17
	v_fmac_f32_e32 v18, v19, v16
	v_fma_f32 v15, -v15, v18, v17
	v_div_fmas_f32 v15, v15, v16, v18
	v_div_fixup_f32 v13, v15, v14, v13
	v_add_f32_e32 v13, s13, v13
	v_mul_f32_e32 v14, 0x4b800000, v13
	v_cmp_gt_f32_e32 vcc, s0, v13
	v_cndmask_b32_e32 v13, v13, v14, vcc
	v_rsq_f32_e32 v13, v13
	s_waitcnt vmcnt(0)
	v_cvt_f32_u32_sdwa v15, v0 dst_sel:DWORD dst_unused:UNUSED_PAD src0_sel:WORD_1
	v_cvt_f32_u32_sdwa v19, v1 dst_sel:DWORD dst_unused:UNUSED_PAD src0_sel:WORD_1
	v_cvt_f32_u32_sdwa v18, v1 dst_sel:DWORD dst_unused:UNUSED_PAD src0_sel:WORD_0
	v_mul_f32_e32 v14, 0x45800000, v13
	v_cndmask_b32_e32 v16, v13, v14, vcc
	v_cvt_f32_u32_sdwa v14, v0 dst_sel:DWORD dst_unused:UNUSED_PAD src0_sel:WORD_0
	v_mov_b32_e32 v17, v16
	;;#ASMSTART
	v_pk_mul_f32 v[10:11], v[10:11], v[16:17]
	;;#ASMEND
	;;#ASMSTART
	v_pk_mul_f32 v[8:9], v[8:9], v[16:17]
	;;#ASMEND
	;; [unrolled: 3-line block ×4, first 2 shown]
	v_pk_add_f32 v[4:5], v[14:15], 1.0 op_sel_hi:[1,0]
	v_cvt_f32_u32_sdwa v15, v2 dst_sel:DWORD dst_unused:UNUSED_PAD src0_sel:WORD_1
	v_cvt_f32_u32_sdwa v14, v2 dst_sel:DWORD dst_unused:UNUSED_PAD src0_sel:WORD_0
	v_cvt_f32_u32_sdwa v17, v3 dst_sel:DWORD dst_unused:UNUSED_PAD src0_sel:WORD_1
	v_cvt_f32_u32_sdwa v16, v3 dst_sel:DWORD dst_unused:UNUSED_PAD src0_sel:WORD_0
	s_mul_hi_i32 s1, s15, s6
	s_mul_i32 s0, s15, s6
	s_lshl_b64 s[0:1], s[0:1], 1
	s_add_u32 s8, s2, s0
	;;#ASMSTART
	v_pk_mul_f32 v[4:5], v[10:11], v[4:5]
	;;#ASMEND
	v_pk_add_f32 v[10:11], v[18:19], 1.0 op_sel_hi:[1,0]
	;;#ASMSTART
	v_pk_mul_f32 v[2:3], v[8:9], v[10:11]
	;;#ASMEND
	v_pk_add_f32 v[8:9], v[14:15], 1.0 op_sel_hi:[1,0]
	s_addc_u32 s0, s3, s1
	;;#ASMSTART
	v_pk_mul_f32 v[6:7], v[6:7], v[8:9]
	;;#ASMEND
	v_pk_add_f32 v[8:9], v[16:17], 1.0 op_sel_hi:[1,0]
	s_and_b32 s9, s0, 0xffff
	s_mov_b32 s0, 0x7060302
	;;#ASMSTART
	v_pk_mul_f32 v[8:9], v[0:1], v[8:9]
	;;#ASMEND
	v_perm_b32 v0, v5, v4, s0
	v_perm_b32 v1, v3, v2, s0
	;; [unrolled: 1-line block ×4, first 2 shown]
	buffer_store_dwordx4 v[0:3], v12, s[8:11], 0 offen
	;;#ASMSTART
	s_nop 0
	;;#ASMEND
	s_endpgm
	.section	.rodata,"a",@progbits
	.p2align	6, 0x0
	.amdhsa_kernel _ZN5aiter35fused_qk_rmsnorm_group_quant_kernelItDB8_Li64ELi8ELi4ELb0ELb1ELb1ELb1ELb0ELb0EEEvPT0_PvPT_S6_S6_PKS5_S8_S8_S8_S8_ffiiiiiiiiiiiii
		.amdhsa_group_segment_fixed_size 0
		.amdhsa_private_segment_fixed_size 0
		.amdhsa_kernarg_size 400
		.amdhsa_user_sgpr_count 6
		.amdhsa_user_sgpr_private_segment_buffer 1
		.amdhsa_user_sgpr_dispatch_ptr 0
		.amdhsa_user_sgpr_queue_ptr 0
		.amdhsa_user_sgpr_kernarg_segment_ptr 1
		.amdhsa_user_sgpr_dispatch_id 0
		.amdhsa_user_sgpr_flat_scratch_init 0
		.amdhsa_user_sgpr_kernarg_preload_length 0
		.amdhsa_user_sgpr_kernarg_preload_offset 0
		.amdhsa_user_sgpr_private_segment_size 0
		.amdhsa_uses_dynamic_stack 0
		.amdhsa_system_sgpr_private_segment_wavefront_offset 0
		.amdhsa_system_sgpr_workgroup_id_x 1
		.amdhsa_system_sgpr_workgroup_id_y 1
		.amdhsa_system_sgpr_workgroup_id_z 0
		.amdhsa_system_sgpr_workgroup_info 0
		.amdhsa_system_vgpr_workitem_id 0
		.amdhsa_next_free_vgpr 23
		.amdhsa_next_free_sgpr 32
		.amdhsa_accum_offset 24
		.amdhsa_reserve_vcc 1
		.amdhsa_reserve_flat_scratch 0
		.amdhsa_float_round_mode_32 0
		.amdhsa_float_round_mode_16_64 0
		.amdhsa_float_denorm_mode_32 3
		.amdhsa_float_denorm_mode_16_64 3
		.amdhsa_dx10_clamp 1
		.amdhsa_ieee_mode 1
		.amdhsa_fp16_overflow 0
		.amdhsa_tg_split 0
		.amdhsa_exception_fp_ieee_invalid_op 0
		.amdhsa_exception_fp_denorm_src 0
		.amdhsa_exception_fp_ieee_div_zero 0
		.amdhsa_exception_fp_ieee_overflow 0
		.amdhsa_exception_fp_ieee_underflow 0
		.amdhsa_exception_fp_ieee_inexact 0
		.amdhsa_exception_int_div_zero 0
	.end_amdhsa_kernel
	.section	.text._ZN5aiter35fused_qk_rmsnorm_group_quant_kernelItDB8_Li64ELi8ELi4ELb0ELb1ELb1ELb1ELb0ELb0EEEvPT0_PvPT_S6_S6_PKS5_S8_S8_S8_S8_ffiiiiiiiiiiiii,"axG",@progbits,_ZN5aiter35fused_qk_rmsnorm_group_quant_kernelItDB8_Li64ELi8ELi4ELb0ELb1ELb1ELb1ELb0ELb0EEEvPT0_PvPT_S6_S6_PKS5_S8_S8_S8_S8_ffiiiiiiiiiiiii,comdat
.Lfunc_end202:
	.size	_ZN5aiter35fused_qk_rmsnorm_group_quant_kernelItDB8_Li64ELi8ELi4ELb0ELb1ELb1ELb1ELb0ELb0EEEvPT0_PvPT_S6_S6_PKS5_S8_S8_S8_S8_ffiiiiiiiiiiiii, .Lfunc_end202-_ZN5aiter35fused_qk_rmsnorm_group_quant_kernelItDB8_Li64ELi8ELi4ELb0ELb1ELb1ELb1ELb0ELb0EEEvPT0_PvPT_S6_S6_PKS5_S8_S8_S8_S8_ffiiiiiiiiiiiii
                                        ; -- End function
	.section	.AMDGPU.csdata,"",@progbits
; Kernel info:
; codeLenInByte = 1968
; NumSgprs: 36
; NumVgprs: 23
; NumAgprs: 0
; TotalNumVgprs: 23
; ScratchSize: 0
; MemoryBound: 0
; FloatMode: 240
; IeeeMode: 1
; LDSByteSize: 0 bytes/workgroup (compile time only)
; SGPRBlocks: 4
; VGPRBlocks: 2
; NumSGPRsForWavesPerEU: 36
; NumVGPRsForWavesPerEU: 23
; AccumOffset: 24
; Occupancy: 8
; WaveLimiterHint : 0
; COMPUTE_PGM_RSRC2:SCRATCH_EN: 0
; COMPUTE_PGM_RSRC2:USER_SGPR: 6
; COMPUTE_PGM_RSRC2:TRAP_HANDLER: 0
; COMPUTE_PGM_RSRC2:TGID_X_EN: 1
; COMPUTE_PGM_RSRC2:TGID_Y_EN: 1
; COMPUTE_PGM_RSRC2:TGID_Z_EN: 0
; COMPUTE_PGM_RSRC2:TIDIG_COMP_CNT: 0
; COMPUTE_PGM_RSRC3_GFX90A:ACCUM_OFFSET: 5
; COMPUTE_PGM_RSRC3_GFX90A:TG_SPLIT: 0
	.section	.text._ZN5aiter35fused_qk_rmsnorm_group_quant_kernelIDF16_N4opus5fp4_tELi64ELi8ELi4ELb0ELb1ELb1ELb1ELb0ELb0EEEvPT0_PvPT_S7_S7_PKS6_S9_S9_S9_S9_ffiiiiiiiiiiiii,"axG",@progbits,_ZN5aiter35fused_qk_rmsnorm_group_quant_kernelIDF16_N4opus5fp4_tELi64ELi8ELi4ELb0ELb1ELb1ELb1ELb0ELb0EEEvPT0_PvPT_S7_S7_PKS6_S9_S9_S9_S9_ffiiiiiiiiiiiii,comdat
	.protected	_ZN5aiter35fused_qk_rmsnorm_group_quant_kernelIDF16_N4opus5fp4_tELi64ELi8ELi4ELb0ELb1ELb1ELb1ELb0ELb0EEEvPT0_PvPT_S7_S7_PKS6_S9_S9_S9_S9_ffiiiiiiiiiiiii ; -- Begin function _ZN5aiter35fused_qk_rmsnorm_group_quant_kernelIDF16_N4opus5fp4_tELi64ELi8ELi4ELb0ELb1ELb1ELb1ELb0ELb0EEEvPT0_PvPT_S7_S7_PKS6_S9_S9_S9_S9_ffiiiiiiiiiiiii
	.globl	_ZN5aiter35fused_qk_rmsnorm_group_quant_kernelIDF16_N4opus5fp4_tELi64ELi8ELi4ELb0ELb1ELb1ELb1ELb0ELb0EEEvPT0_PvPT_S7_S7_PKS6_S9_S9_S9_S9_ffiiiiiiiiiiiii
	.p2align	8
	.type	_ZN5aiter35fused_qk_rmsnorm_group_quant_kernelIDF16_N4opus5fp4_tELi64ELi8ELi4ELb0ELb1ELb1ELb1ELb0ELb0EEEvPT0_PvPT_S7_S7_PKS6_S9_S9_S9_S9_ffiiiiiiiiiiiii,@function
_ZN5aiter35fused_qk_rmsnorm_group_quant_kernelIDF16_N4opus5fp4_tELi64ELi8ELi4ELb0ELb1ELb1ELb1ELb0ELb0EEEvPT0_PvPT_S7_S7_PKS6_S9_S9_S9_S9_ffiiiiiiiiiiiii: ; @_ZN5aiter35fused_qk_rmsnorm_group_quant_kernelIDF16_N4opus5fp4_tELi64ELi8ELi4ELb0ELb1ELb1ELb1ELb0ELb0EEEvPT0_PvPT_S7_S7_PKS6_S9_S9_S9_S9_ffiiiiiiiiiiiii
; %bb.0:
	s_load_dwordx4 s[12:15], s[4:5], 0x50
	s_waitcnt lgkmcnt(0)
	s_cmp_ge_i32 s6, s14
	s_cbranch_scc1 .LBB203_10
; %bb.1:
	s_load_dwordx2 s[24:25], s[4:5], 0x30
	s_load_dwordx2 s[8:9], s[4:5], 0x48
	s_load_dwordx4 s[16:19], s[4:5], 0x60
	s_cmp_lg_u32 s7, 0
	s_cselect_b64 s[10:11], -1, 0
	s_cmp_eq_u32 s7, 0
	s_cselect_b64 vcc, -1, 0
	s_and_b64 s[0:1], vcc, exec
	s_waitcnt lgkmcnt(0)
	s_cselect_b32 s7, s15, s16
	s_add_i32 s0, s7, 1
	s_lshr_b32 s1, s0, 31
	s_add_i32 s0, s0, s1
	s_lshl_b32 s0, s0, 1
	v_lshlrev_b32_e32 v1, 3, v0
	s_and_b32 s22, s0, -4
	v_cmp_gt_i32_e64 s[0:1], s7, v1
	v_mov_b32_e32 v10, 0
	v_mov_b32_e32 v2, 0
	;; [unrolled: 1-line block ×9, first 2 shown]
	s_and_saveexec_b64 s[2:3], s[0:1]
	s_cbranch_execz .LBB203_3
; %bb.2:
	s_load_dwordx2 s[14:15], s[4:5], 0x28
	s_load_dwordx2 s[20:21], s[4:5], 0x40
	s_and_b64 s[26:27], vcc, exec
	s_cselect_b32 s17, s17, s18
	v_lshlrev_b32_e32 v11, 4, v0
	s_waitcnt lgkmcnt(0)
	s_cselect_b32 s19, s15, s25
	s_cselect_b32 s23, s14, s24
	s_mul_hi_i32 s15, s17, s6
	s_mul_i32 s14, s17, s6
	s_lshl_b64 s[14:15], s[14:15], 1
	s_add_u32 s28, s23, s14
	s_addc_u32 s17, s19, s15
	s_and_b64 s[14:15], vcc, exec
	s_mov_b32 s23, 0x20000
	s_cselect_b32 s20, s20, s8
	s_cselect_b32 s14, s21, s9
	s_and_b32 s29, s17, 0xffff
	s_mov_b32 s30, s22
	s_mov_b32 s31, s23
	s_and_b32 s21, s14, 0xffff
	buffer_load_dwordx4 v[6:9], v11, s[28:31], 0 offen glc slc
	buffer_load_dwordx4 v[2:5], v11, s[20:23], 0 offen
.LBB203_3:
	s_or_b64 exec, exec, s[2:3]
	v_mov_b32_e32 v11, 0
	v_mov_b32_e32 v14, 0
	;; [unrolled: 1-line block ×7, first 2 shown]
	s_and_saveexec_b64 s[2:3], s[0:1]
	s_cbranch_execz .LBB203_5
; %bb.4:
	s_waitcnt vmcnt(1)
	v_cvt_f32_f16_sdwa v11, v6 dst_sel:DWORD dst_unused:UNUSED_PAD src0_sel:WORD_1
	v_cvt_f32_f16_e32 v10, v6
	v_cvt_f32_f16_sdwa v15, v7 dst_sel:DWORD dst_unused:UNUSED_PAD src0_sel:WORD_1
	v_cvt_f32_f16_e32 v14, v7
	;; [unrolled: 2-line block ×4, first 2 shown]
.LBB203_5:
	s_or_b64 exec, exec, s[2:3]
	s_waitcnt vmcnt(1)
	v_mul_f32_e32 v6, v11, v11
	v_fmac_f32_e32 v6, v10, v10
	v_fmac_f32_e32 v6, v14, v14
	;; [unrolled: 1-line block ×7, first 2 shown]
	v_bfrev_b32_e32 v8, 0.5
	s_load_dwordx2 s[2:3], s[4:5], 0x18
	v_mov_b32_dpp v7, v6 quad_perm:[1,0,3,2] row_mask:0xf bank_mask:0xf
	v_add_f32_e32 v6, v6, v7
	s_nop 1
	v_mov_b32_dpp v7, v6 quad_perm:[2,3,0,1] row_mask:0xf bank_mask:0xf
	v_add_f32_e32 v6, v6, v7
	s_nop 1
	v_mov_b32_dpp v7, v6 row_half_mirror row_mask:0xf bank_mask:0xf
	v_add_f32_e32 v6, v6, v7
	s_nop 1
	v_mov_b32_dpp v7, v6 row_mirror row_mask:0xf bank_mask:0xf
	v_add_f32_e32 v6, v6, v7
	s_nop 1
	v_mov_b32_dpp v7, v6 row_bcast:15 row_mask:0xf bank_mask:0xf
	v_add_f32_e32 v6, v6, v7
	s_nop 1
	v_mov_b32_dpp v7, v6 row_bcast:31 row_mask:0xf bank_mask:0xf
	v_add_f32_e32 v6, v6, v7
	v_mbcnt_lo_u32_b32 v7, -1, 0
	v_mbcnt_hi_u32_b32 v7, -1, v7
	v_lshl_or_b32 v18, v7, 2, v8
	ds_bpermute_b32 v6, v18, v6
	s_and_saveexec_b64 s[14:15], s[0:1]
	s_cbranch_execz .LBB203_7
; %bb.6:
	v_cvt_f32_u32_e32 v7, s7
	v_mov_b32_e32 v8, s13
	v_mov_b32_e32 v9, s12
	v_cndmask_b32_e32 v8, v8, v9, vcc
	s_waitcnt lgkmcnt(0)
	v_div_scale_f32 v19, s[20:21], v7, v7, v6
	v_rcp_f32_e32 v20, v19
	v_div_scale_f32 v9, vcc, v6, v7, v6
	s_mov_b32 s7, 0x800000
	v_fma_f32 v21, -v19, v20, 1.0
	v_fmac_f32_e32 v20, v21, v20
	v_mul_f32_e32 v21, v9, v20
	v_fma_f32 v22, -v19, v21, v9
	v_fmac_f32_e32 v21, v22, v20
	v_fma_f32 v9, -v19, v21, v9
	v_div_fmas_f32 v9, v9, v20, v21
	v_div_fixup_f32 v6, v9, v7, v6
	v_add_f32_e32 v6, v8, v6
	v_mul_f32_e32 v7, 0x4b800000, v6
	v_cmp_gt_f32_e32 vcc, s7, v6
	v_cndmask_b32_e32 v6, v6, v7, vcc
	v_rsq_f32_e32 v6, v6
	s_waitcnt vmcnt(0)
	v_cvt_f32_f16_sdwa v21, v3 dst_sel:DWORD dst_unused:UNUSED_PAD src0_sel:WORD_1
	v_cvt_f32_f16_e32 v20, v3
	v_mul_f32_e32 v7, 0x45800000, v6
	v_cndmask_b32_e32 v6, v6, v7, vcc
	v_mov_b32_e32 v7, v6
	;;#ASMSTART
	v_pk_mul_f32 v[8:9], v[10:11], v[6:7]
	;;#ASMEND
	v_cvt_f32_f16_sdwa v11, v2 dst_sel:DWORD dst_unused:UNUSED_PAD src0_sel:WORD_1
	v_cvt_f32_f16_e32 v10, v2
	;;#ASMSTART
	v_pk_mul_f32 v[14:15], v[14:15], v[6:7]
	;;#ASMEND
	;;#ASMSTART
	v_pk_mul_f32 v[16:17], v[16:17], v[6:7]
	;;#ASMEND
	;; [unrolled: 3-line block ×3, first 2 shown]
	v_pk_add_f32 v[6:7], v[10:11], 1.0 op_sel_hi:[1,0]
	;;#ASMSTART
	v_pk_mul_f32 v[10:11], v[8:9], v[6:7]
	;;#ASMEND
	v_cvt_f32_f16_sdwa v9, v4 dst_sel:DWORD dst_unused:UNUSED_PAD src0_sel:WORD_1
	v_cvt_f32_f16_e32 v8, v4
	v_cvt_f32_f16_sdwa v13, v5 dst_sel:DWORD dst_unused:UNUSED_PAD src0_sel:WORD_1
	v_cvt_f32_f16_e32 v12, v5
	v_pk_add_f32 v[6:7], v[20:21], 1.0 op_sel_hi:[1,0]
	v_pk_add_f32 v[4:5], v[8:9], 1.0 op_sel_hi:[1,0]
	;;#ASMSTART
	v_pk_mul_f32 v[14:15], v[14:15], v[6:7]
	;;#ASMEND
	;;#ASMSTART
	v_pk_mul_f32 v[16:17], v[16:17], v[4:5]
	;;#ASMEND
	v_pk_add_f32 v[4:5], v[12:13], 1.0 op_sel_hi:[1,0]
	;;#ASMSTART
	v_pk_mul_f32 v[12:13], v[2:3], v[4:5]
	;;#ASMEND
.LBB203_7:
	s_or_b64 exec, exec, s[14:15]
	s_load_dwordx2 s[14:15], s[4:5], 0x7c
	s_mov_b64 s[20:21], -1
	s_and_b64 vcc, exec, s[10:11]
	s_cbranch_vccnz .LBB203_11
; %bb.8:
	s_andn2_b64 vcc, exec, s[20:21]
	s_cbranch_vccz .LBB203_14
.LBB203_9:
	s_cmp_lt_i32 s16, 1
	s_cbranch_scc0 .LBB203_17
.LBB203_10:
	s_endpgm
.LBB203_11:
	s_and_saveexec_b64 s[10:11], s[0:1]
	s_cbranch_execz .LBB203_13
; %bb.12:
	s_waitcnt lgkmcnt(0)
	s_mul_hi_i32 s21, s15, s6
	s_mul_i32 s20, s15, s6
	s_waitcnt vmcnt(0)
	v_cvt_f16_f32_e32 v2, v10
	v_cvt_f16_f32_e32 v3, v14
	;; [unrolled: 1-line block ×8, first 2 shown]
	s_lshl_b64 s[20:21], s[20:21], 1
	s_add_u32 s20, s2, s20
	s_addc_u32 s7, s3, s21
	s_and_b32 s21, s7, 0xffff
	s_mov_b32 s23, 0x20000
	v_pack_b32_f16 v5, v5, v6
	v_pack_b32_f16 v4, v4, v7
	v_pack_b32_f16 v3, v3, v8
	v_pack_b32_f16 v2, v2, v9
	v_lshlrev_b32_e32 v6, 4, v0
	buffer_store_dwordx4 v[2:5], v6, s[20:23], 0 offen
	;;#ASMSTART
	s_nop 0
	;;#ASMEND
.LBB203_13:
	s_or_b64 exec, exec, s[10:11]
	s_cbranch_execnz .LBB203_9
.LBB203_14:
	s_and_saveexec_b64 s[10:11], s[0:1]
	s_cbranch_execz .LBB203_16
; %bb.15:
	s_load_dwordx2 s[0:1], s[4:5], 0x10
	s_waitcnt lgkmcnt(0)
	s_mul_hi_i32 s21, s14, s6
	s_mul_i32 s20, s14, s6
	s_waitcnt vmcnt(0)
	v_cvt_f16_f32_e32 v2, v10
	v_cvt_f16_f32_e32 v3, v14
	;; [unrolled: 1-line block ×8, first 2 shown]
	s_lshl_b64 s[20:21], s[20:21], 1
	s_add_u32 s20, s0, s20
	s_addc_u32 s0, s1, s21
	s_mov_b32 s23, 0x20000
	s_and_b32 s21, s0, 0xffff
	v_pack_b32_f16 v5, v5, v6
	v_pack_b32_f16 v4, v4, v7
	v_pack_b32_f16 v3, v3, v8
	v_pack_b32_f16 v2, v2, v9
	v_lshlrev_b32_e32 v6, 4, v0
	buffer_store_dwordx4 v[2:5], v6, s[20:23], 0 offen
	;;#ASMSTART
	s_nop 0
	;;#ASMEND
.LBB203_16:
	s_or_b64 exec, exec, s[10:11]
	s_cmp_lt_i32 s16, 1
	s_cbranch_scc1 .LBB203_10
.LBB203_17:
	s_load_dword s0, s[4:5], 0x94
	s_waitcnt lgkmcnt(0)
	s_cmp_lg_u32 s0, 1
	s_cbranch_scc1 .LBB203_10
; %bb.18:
	s_lshl_b32 s0, s16, 1
	s_add_i32 s0, s0, 2
	v_cmp_gt_u32_e32 vcc, s16, v1
	s_and_b32 s10, s0, -4
	v_mov_b32_e32 v8, 0
	v_lshlrev_b32_e32 v16, 4, v0
	s_waitcnt vmcnt(0)
	v_mov_b32_e32 v4, 0
	v_mov_b32_e32 v5, 0
	;; [unrolled: 1-line block ×8, first 2 shown]
	s_barrier
	s_and_saveexec_b64 s[0:1], vcc
	s_cbranch_execz .LBB203_20
; %bb.19:
	s_mul_hi_i32 s5, s18, s6
	s_mul_i32 s4, s18, s6
	s_and_b32 s9, s9, 0xffff
	s_lshl_b64 s[4:5], s[4:5], 1
	s_add_u32 s20, s24, s4
	s_mov_b32 s11, 0x20000
	s_addc_u32 s4, s25, s5
	s_and_b32 s21, s4, 0xffff
	s_mov_b32 s22, s10
	s_mov_b32 s23, s11
	buffer_load_dwordx4 v[4:7], v16, s[20:23], 0 offen glc slc
	buffer_load_dwordx4 v[0:3], v16, s[8:11], 0 offen
.LBB203_20:
	s_or_b64 exec, exec, s[0:1]
	v_mov_b32_e32 v9, 0
	v_mov_b32_e32 v12, 0
	;; [unrolled: 1-line block ×7, first 2 shown]
	s_and_saveexec_b64 s[0:1], vcc
	s_cbranch_execz .LBB203_22
; %bb.21:
	s_waitcnt vmcnt(1)
	v_cvt_f32_f16_sdwa v9, v4 dst_sel:DWORD dst_unused:UNUSED_PAD src0_sel:WORD_1
	v_cvt_f32_f16_e32 v8, v4
	v_cvt_f32_f16_sdwa v13, v5 dst_sel:DWORD dst_unused:UNUSED_PAD src0_sel:WORD_1
	v_cvt_f32_f16_e32 v12, v5
	v_cvt_f32_f16_sdwa v15, v6 dst_sel:DWORD dst_unused:UNUSED_PAD src0_sel:WORD_1
	v_cvt_f32_f16_e32 v14, v6
	v_cvt_f32_f16_sdwa v11, v7 dst_sel:DWORD dst_unused:UNUSED_PAD src0_sel:WORD_1
	v_cvt_f32_f16_e32 v10, v7
.LBB203_22:
	s_or_b64 exec, exec, s[0:1]
	s_waitcnt vmcnt(1)
	v_mul_f32_e32 v4, v9, v9
	v_fmac_f32_e32 v4, v8, v8
	v_fmac_f32_e32 v4, v12, v12
	;; [unrolled: 1-line block ×7, first 2 shown]
	s_nop 1
	v_mov_b32_dpp v5, v4 quad_perm:[1,0,3,2] row_mask:0xf bank_mask:0xf
	v_add_f32_e32 v4, v4, v5
	s_nop 1
	v_mov_b32_dpp v5, v4 quad_perm:[2,3,0,1] row_mask:0xf bank_mask:0xf
	v_add_f32_e32 v4, v4, v5
	s_nop 1
	v_mov_b32_dpp v5, v4 row_half_mirror row_mask:0xf bank_mask:0xf
	v_add_f32_e32 v4, v4, v5
	s_nop 1
	v_mov_b32_dpp v5, v4 row_mirror row_mask:0xf bank_mask:0xf
	v_add_f32_e32 v4, v4, v5
	s_nop 1
	v_mov_b32_dpp v5, v4 row_bcast:15 row_mask:0xf bank_mask:0xf
	v_add_f32_e32 v4, v4, v5
	s_nop 1
	v_mov_b32_dpp v5, v4 row_bcast:31 row_mask:0xf bank_mask:0xf
	v_add_f32_e32 v4, v4, v5
	ds_bpermute_b32 v4, v18, v4
	s_and_saveexec_b64 s[0:1], vcc
	s_cbranch_execz .LBB203_10
; %bb.23:
	v_cvt_f32_u32_e32 v5, s16
	s_mov_b32 s11, 0x20000
	s_waitcnt lgkmcnt(0)
	v_div_scale_f32 v6, s[0:1], v5, v5, v4
	v_rcp_f32_e32 v7, v6
	v_div_scale_f32 v17, vcc, v4, v5, v4
	s_mov_b32 s0, 0x800000
	v_fma_f32 v18, -v6, v7, 1.0
	v_fmac_f32_e32 v7, v18, v7
	v_mul_f32_e32 v18, v17, v7
	v_fma_f32 v19, -v6, v18, v17
	v_fmac_f32_e32 v18, v19, v7
	v_fma_f32 v6, -v6, v18, v17
	v_div_fmas_f32 v6, v6, v7, v18
	v_div_fixup_f32 v4, v6, v5, v4
	v_add_f32_e32 v4, s13, v4
	v_mul_f32_e32 v5, 0x4b800000, v4
	v_cmp_gt_f32_e32 vcc, s0, v4
	v_cndmask_b32_e32 v4, v4, v5, vcc
	v_rsq_f32_e32 v4, v4
	s_waitcnt vmcnt(0)
	v_cvt_f32_f16_sdwa v5, v0 dst_sel:DWORD dst_unused:UNUSED_PAD src0_sel:WORD_1
	v_cvt_f32_f16_sdwa v19, v1 dst_sel:DWORD dst_unused:UNUSED_PAD src0_sel:WORD_1
	v_cvt_f32_f16_e32 v18, v1
	v_mul_f32_e32 v6, 0x45800000, v4
	v_cndmask_b32_e32 v6, v4, v6, vcc
	v_cvt_f32_f16_e32 v4, v0
	v_mov_b32_e32 v7, v6
	;;#ASMSTART
	v_pk_mul_f32 v[8:9], v[8:9], v[6:7]
	;;#ASMEND
	;;#ASMSTART
	v_pk_mul_f32 v[12:13], v[12:13], v[6:7]
	;;#ASMEND
	v_pk_add_f32 v[4:5], v[4:5], 1.0 op_sel_hi:[1,0]
	;;#ASMSTART
	v_pk_mul_f32 v[14:15], v[14:15], v[6:7]
	;;#ASMEND
	;;#ASMSTART
	v_pk_mul_f32 v[0:1], v[10:11], v[6:7]
	;;#ASMEND
	;; [unrolled: 3-line block ×3, first 2 shown]
	v_cvt_f32_f16_sdwa v9, v2 dst_sel:DWORD dst_unused:UNUSED_PAD src0_sel:WORD_1
	v_cvt_f32_f16_e32 v8, v2
	v_cvt_f32_f16_sdwa v11, v3 dst_sel:DWORD dst_unused:UNUSED_PAD src0_sel:WORD_1
	v_cvt_f32_f16_e32 v10, v3
	v_pk_add_f32 v[6:7], v[18:19], 1.0 op_sel_hi:[1,0]
	;;#ASMSTART
	v_pk_mul_f32 v[2:3], v[12:13], v[6:7]
	;;#ASMEND
	v_pk_add_f32 v[6:7], v[8:9], 1.0 op_sel_hi:[1,0]
	;;#ASMSTART
	v_pk_mul_f32 v[6:7], v[14:15], v[6:7]
	;;#ASMEND
	;; [unrolled: 4-line block ×3, first 2 shown]
	s_mul_hi_i32 s1, s15, s6
	s_mul_i32 s0, s15, s6
	v_cvt_f16_f32_e32 v4, v4
	v_cvt_f16_f32_e32 v5, v5
	;; [unrolled: 1-line block ×8, first 2 shown]
	s_lshl_b64 s[0:1], s[0:1], 1
	s_add_u32 s8, s2, s0
	s_addc_u32 s0, s3, s1
	s_and_b32 s9, s0, 0xffff
	v_pack_b32_f16 v0, v4, v5
	v_pack_b32_f16 v1, v2, v3
	v_pack_b32_f16 v2, v6, v7
	v_pack_b32_f16 v3, v8, v9
	buffer_store_dwordx4 v[0:3], v16, s[8:11], 0 offen
	;;#ASMSTART
	s_nop 0
	;;#ASMEND
	s_endpgm
	.section	.rodata,"a",@progbits
	.p2align	6, 0x0
	.amdhsa_kernel _ZN5aiter35fused_qk_rmsnorm_group_quant_kernelIDF16_N4opus5fp4_tELi64ELi8ELi4ELb0ELb1ELb1ELb1ELb0ELb0EEEvPT0_PvPT_S7_S7_PKS6_S9_S9_S9_S9_ffiiiiiiiiiiiii
		.amdhsa_group_segment_fixed_size 0
		.amdhsa_private_segment_fixed_size 0
		.amdhsa_kernarg_size 400
		.amdhsa_user_sgpr_count 6
		.amdhsa_user_sgpr_private_segment_buffer 1
		.amdhsa_user_sgpr_dispatch_ptr 0
		.amdhsa_user_sgpr_queue_ptr 0
		.amdhsa_user_sgpr_kernarg_segment_ptr 1
		.amdhsa_user_sgpr_dispatch_id 0
		.amdhsa_user_sgpr_flat_scratch_init 0
		.amdhsa_user_sgpr_kernarg_preload_length 0
		.amdhsa_user_sgpr_kernarg_preload_offset 0
		.amdhsa_user_sgpr_private_segment_size 0
		.amdhsa_uses_dynamic_stack 0
		.amdhsa_system_sgpr_private_segment_wavefront_offset 0
		.amdhsa_system_sgpr_workgroup_id_x 1
		.amdhsa_system_sgpr_workgroup_id_y 1
		.amdhsa_system_sgpr_workgroup_id_z 0
		.amdhsa_system_sgpr_workgroup_info 0
		.amdhsa_system_vgpr_workitem_id 0
		.amdhsa_next_free_vgpr 23
		.amdhsa_next_free_sgpr 32
		.amdhsa_accum_offset 24
		.amdhsa_reserve_vcc 1
		.amdhsa_reserve_flat_scratch 0
		.amdhsa_float_round_mode_32 0
		.amdhsa_float_round_mode_16_64 0
		.amdhsa_float_denorm_mode_32 3
		.amdhsa_float_denorm_mode_16_64 3
		.amdhsa_dx10_clamp 1
		.amdhsa_ieee_mode 1
		.amdhsa_fp16_overflow 0
		.amdhsa_tg_split 0
		.amdhsa_exception_fp_ieee_invalid_op 0
		.amdhsa_exception_fp_denorm_src 0
		.amdhsa_exception_fp_ieee_div_zero 0
		.amdhsa_exception_fp_ieee_overflow 0
		.amdhsa_exception_fp_ieee_underflow 0
		.amdhsa_exception_fp_ieee_inexact 0
		.amdhsa_exception_int_div_zero 0
	.end_amdhsa_kernel
	.section	.text._ZN5aiter35fused_qk_rmsnorm_group_quant_kernelIDF16_N4opus5fp4_tELi64ELi8ELi4ELb0ELb1ELb1ELb1ELb0ELb0EEEvPT0_PvPT_S7_S7_PKS6_S9_S9_S9_S9_ffiiiiiiiiiiiii,"axG",@progbits,_ZN5aiter35fused_qk_rmsnorm_group_quant_kernelIDF16_N4opus5fp4_tELi64ELi8ELi4ELb0ELb1ELb1ELb1ELb0ELb0EEEvPT0_PvPT_S7_S7_PKS6_S9_S9_S9_S9_ffiiiiiiiiiiiii,comdat
.Lfunc_end203:
	.size	_ZN5aiter35fused_qk_rmsnorm_group_quant_kernelIDF16_N4opus5fp4_tELi64ELi8ELi4ELb0ELb1ELb1ELb1ELb0ELb0EEEvPT0_PvPT_S7_S7_PKS6_S9_S9_S9_S9_ffiiiiiiiiiiiii, .Lfunc_end203-_ZN5aiter35fused_qk_rmsnorm_group_quant_kernelIDF16_N4opus5fp4_tELi64ELi8ELi4ELb0ELb1ELb1ELb1ELb0ELb0EEEvPT0_PvPT_S7_S7_PKS6_S9_S9_S9_S9_ffiiiiiiiiiiiii
                                        ; -- End function
	.section	.AMDGPU.csdata,"",@progbits
; Kernel info:
; codeLenInByte = 1976
; NumSgprs: 36
; NumVgprs: 23
; NumAgprs: 0
; TotalNumVgprs: 23
; ScratchSize: 0
; MemoryBound: 0
; FloatMode: 240
; IeeeMode: 1
; LDSByteSize: 0 bytes/workgroup (compile time only)
; SGPRBlocks: 4
; VGPRBlocks: 2
; NumSGPRsForWavesPerEU: 36
; NumVGPRsForWavesPerEU: 23
; AccumOffset: 24
; Occupancy: 8
; WaveLimiterHint : 0
; COMPUTE_PGM_RSRC2:SCRATCH_EN: 0
; COMPUTE_PGM_RSRC2:USER_SGPR: 6
; COMPUTE_PGM_RSRC2:TRAP_HANDLER: 0
; COMPUTE_PGM_RSRC2:TGID_X_EN: 1
; COMPUTE_PGM_RSRC2:TGID_Y_EN: 1
; COMPUTE_PGM_RSRC2:TGID_Z_EN: 0
; COMPUTE_PGM_RSRC2:TIDIG_COMP_CNT: 0
; COMPUTE_PGM_RSRC3_GFX90A:ACCUM_OFFSET: 5
; COMPUTE_PGM_RSRC3_GFX90A:TG_SPLIT: 0
	.section	.text._ZN5aiter35fused_qk_rmsnorm_group_quant_kernelItN4opus5fp4_tELi64ELi8ELi4ELb0ELb1ELb1ELb1ELb0ELb0EEEvPT0_PvPT_S7_S7_PKS6_S9_S9_S9_S9_ffiiiiiiiiiiiii,"axG",@progbits,_ZN5aiter35fused_qk_rmsnorm_group_quant_kernelItN4opus5fp4_tELi64ELi8ELi4ELb0ELb1ELb1ELb1ELb0ELb0EEEvPT0_PvPT_S7_S7_PKS6_S9_S9_S9_S9_ffiiiiiiiiiiiii,comdat
	.protected	_ZN5aiter35fused_qk_rmsnorm_group_quant_kernelItN4opus5fp4_tELi64ELi8ELi4ELb0ELb1ELb1ELb1ELb0ELb0EEEvPT0_PvPT_S7_S7_PKS6_S9_S9_S9_S9_ffiiiiiiiiiiiii ; -- Begin function _ZN5aiter35fused_qk_rmsnorm_group_quant_kernelItN4opus5fp4_tELi64ELi8ELi4ELb0ELb1ELb1ELb1ELb0ELb0EEEvPT0_PvPT_S7_S7_PKS6_S9_S9_S9_S9_ffiiiiiiiiiiiii
	.globl	_ZN5aiter35fused_qk_rmsnorm_group_quant_kernelItN4opus5fp4_tELi64ELi8ELi4ELb0ELb1ELb1ELb1ELb0ELb0EEEvPT0_PvPT_S7_S7_PKS6_S9_S9_S9_S9_ffiiiiiiiiiiiii
	.p2align	8
	.type	_ZN5aiter35fused_qk_rmsnorm_group_quant_kernelItN4opus5fp4_tELi64ELi8ELi4ELb0ELb1ELb1ELb1ELb0ELb0EEEvPT0_PvPT_S7_S7_PKS6_S9_S9_S9_S9_ffiiiiiiiiiiiii,@function
_ZN5aiter35fused_qk_rmsnorm_group_quant_kernelItN4opus5fp4_tELi64ELi8ELi4ELb0ELb1ELb1ELb1ELb0ELb0EEEvPT0_PvPT_S7_S7_PKS6_S9_S9_S9_S9_ffiiiiiiiiiiiii: ; @_ZN5aiter35fused_qk_rmsnorm_group_quant_kernelItN4opus5fp4_tELi64ELi8ELi4ELb0ELb1ELb1ELb1ELb0ELb0EEEvPT0_PvPT_S7_S7_PKS6_S9_S9_S9_S9_ffiiiiiiiiiiiii
; %bb.0:
	s_load_dwordx4 s[12:15], s[4:5], 0x50
	s_waitcnt lgkmcnt(0)
	s_cmp_ge_i32 s6, s14
	s_cbranch_scc1 .LBB204_8
; %bb.1:
	s_load_dwordx2 s[24:25], s[4:5], 0x30
	s_load_dwordx2 s[8:9], s[4:5], 0x48
	s_load_dwordx4 s[16:19], s[4:5], 0x60
	s_cmp_lg_u32 s7, 0
	s_cselect_b64 s[10:11], -1, 0
	s_cmp_eq_u32 s7, 0
	s_cselect_b64 vcc, -1, 0
	s_and_b64 s[0:1], vcc, exec
	s_waitcnt lgkmcnt(0)
	s_cselect_b32 s7, s15, s16
	s_add_i32 s0, s7, 1
	s_lshr_b32 s1, s0, 31
	s_add_i32 s0, s0, s1
	s_lshl_b32 s0, s0, 1
	v_lshlrev_b32_e32 v1, 3, v0
	s_and_b32 s22, s0, -4
	v_cmp_gt_i32_e64 s[0:1], s7, v1
	v_mov_b32_e32 v2, 0
	v_mov_b32_e32 v3, 0
	;; [unrolled: 1-line block ×8, first 2 shown]
	s_and_saveexec_b64 s[2:3], s[0:1]
	s_cbranch_execz .LBB204_3
; %bb.2:
	s_load_dwordx2 s[14:15], s[4:5], 0x28
	s_load_dwordx2 s[20:21], s[4:5], 0x40
	s_and_b64 s[26:27], vcc, exec
	s_cselect_b32 s17, s17, s18
	v_lshlrev_b32_e32 v10, 4, v0
	s_waitcnt lgkmcnt(0)
	s_cselect_b32 s19, s15, s25
	s_cselect_b32 s23, s14, s24
	s_mul_hi_i32 s15, s17, s6
	s_mul_i32 s14, s17, s6
	s_lshl_b64 s[14:15], s[14:15], 1
	s_add_u32 s28, s23, s14
	s_addc_u32 s17, s19, s15
	s_and_b64 s[14:15], vcc, exec
	s_mov_b32 s23, 0x20000
	s_cselect_b32 s20, s20, s8
	s_cselect_b32 s14, s21, s9
	s_and_b32 s29, s17, 0xffff
	s_mov_b32 s30, s22
	s_mov_b32 s31, s23
	s_and_b32 s21, s14, 0xffff
	buffer_load_dwordx4 v[6:9], v10, s[28:31], 0 offen glc slc
	buffer_load_dwordx4 v[2:5], v10, s[20:23], 0 offen
.LBB204_3:
	s_or_b64 exec, exec, s[2:3]
	s_waitcnt vmcnt(1)
	v_cvt_f32_u32_sdwa v14, v6 dst_sel:DWORD dst_unused:UNUSED_PAD src0_sel:WORD_0
	v_cvt_f32_u32_sdwa v15, v6 dst_sel:DWORD dst_unused:UNUSED_PAD src0_sel:WORD_1
	v_cvt_f32_u32_sdwa v6, v9 dst_sel:DWORD dst_unused:UNUSED_PAD src0_sel:WORD_1
	v_cvt_f32_u32_sdwa v9, v9 dst_sel:DWORD dst_unused:UNUSED_PAD src0_sel:WORD_0
	v_cvt_f32_u32_sdwa v10, v8 dst_sel:DWORD dst_unused:UNUSED_PAD src0_sel:WORD_1
	v_cvt_f32_u32_sdwa v8, v8 dst_sel:DWORD dst_unused:UNUSED_PAD src0_sel:WORD_0
	v_cvt_f32_u32_sdwa v12, v7 dst_sel:DWORD dst_unused:UNUSED_PAD src0_sel:WORD_0
	v_cvt_f32_u32_sdwa v13, v7 dst_sel:DWORD dst_unused:UNUSED_PAD src0_sel:WORD_1
	v_cndmask_b32_e64 v7, 0, v6, s[0:1]
	v_cndmask_b32_e64 v6, 0, v9, s[0:1]
	;; [unrolled: 1-line block ×6, first 2 shown]
	v_mul_f32_e32 v14, v9, v9
	v_cndmask_b32_e64 v12, 0, v12, s[0:1]
	v_fmac_f32_e32 v14, v8, v8
	v_cndmask_b32_e64 v13, 0, v13, s[0:1]
	v_fmac_f32_e32 v14, v12, v12
	v_fmac_f32_e32 v14, v13, v13
	;; [unrolled: 1-line block ×6, first 2 shown]
	v_bfrev_b32_e32 v16, 0.5
	s_load_dwordx2 s[2:3], s[4:5], 0x18
	v_mov_b32_dpp v15, v14 quad_perm:[1,0,3,2] row_mask:0xf bank_mask:0xf
	v_add_f32_e32 v14, v14, v15
	s_nop 1
	v_mov_b32_dpp v15, v14 quad_perm:[2,3,0,1] row_mask:0xf bank_mask:0xf
	v_add_f32_e32 v14, v14, v15
	s_nop 1
	v_mov_b32_dpp v15, v14 row_half_mirror row_mask:0xf bank_mask:0xf
	v_add_f32_e32 v14, v14, v15
	s_nop 1
	v_mov_b32_dpp v15, v14 row_mirror row_mask:0xf bank_mask:0xf
	v_add_f32_e32 v14, v14, v15
	s_nop 1
	v_mov_b32_dpp v15, v14 row_bcast:15 row_mask:0xf bank_mask:0xf
	v_add_f32_e32 v14, v14, v15
	s_nop 1
	v_mov_b32_dpp v15, v14 row_bcast:31 row_mask:0xf bank_mask:0xf
	v_add_f32_e32 v15, v14, v15
	v_mbcnt_lo_u32_b32 v14, -1, 0
	v_mbcnt_hi_u32_b32 v14, -1, v14
	v_lshl_or_b32 v14, v14, 2, v16
	ds_bpermute_b32 v15, v14, v15
	s_and_saveexec_b64 s[14:15], s[0:1]
	s_cbranch_execz .LBB204_5
; %bb.4:
	v_cvt_f32_u32_e32 v16, s7
	v_mov_b32_e32 v17, s13
	v_mov_b32_e32 v18, s12
	v_cndmask_b32_e32 v17, v17, v18, vcc
	s_waitcnt lgkmcnt(0)
	v_div_scale_f32 v19, s[20:21], v16, v16, v15
	v_rcp_f32_e32 v20, v19
	v_div_scale_f32 v18, vcc, v15, v16, v15
	s_mov_b32 s7, 0x800000
	v_fma_f32 v21, -v19, v20, 1.0
	v_fmac_f32_e32 v20, v21, v20
	v_mul_f32_e32 v21, v18, v20
	v_fma_f32 v22, -v19, v21, v18
	v_fmac_f32_e32 v21, v22, v20
	v_fma_f32 v18, -v19, v21, v18
	v_div_fmas_f32 v18, v18, v20, v21
	v_div_fixup_f32 v15, v18, v16, v15
	v_add_f32_e32 v15, v17, v15
	v_mul_f32_e32 v16, 0x4b800000, v15
	v_cmp_gt_f32_e32 vcc, s7, v15
	v_cndmask_b32_e32 v15, v15, v16, vcc
	v_rsq_f32_e32 v15, v15
	s_waitcnt vmcnt(0)
	v_cvt_f32_u32_sdwa v19, v2 dst_sel:DWORD dst_unused:UNUSED_PAD src0_sel:WORD_1
	v_cvt_f32_u32_sdwa v18, v2 dst_sel:DWORD dst_unused:UNUSED_PAD src0_sel:WORD_0
	v_cvt_f32_u32_sdwa v21, v3 dst_sel:DWORD dst_unused:UNUSED_PAD src0_sel:WORD_1
	v_mul_f32_e32 v16, 0x45800000, v15
	v_cndmask_b32_e32 v16, v15, v16, vcc
	v_mov_b32_e32 v17, v16
	;;#ASMSTART
	v_pk_mul_f32 v[8:9], v[8:9], v[16:17]
	;;#ASMEND
	;;#ASMSTART
	v_pk_mul_f32 v[12:13], v[12:13], v[16:17]
	;;#ASMEND
	;; [unrolled: 3-line block ×3, first 2 shown]
	v_cvt_f32_u32_sdwa v20, v3 dst_sel:DWORD dst_unused:UNUSED_PAD src0_sel:WORD_0
	;;#ASMSTART
	v_pk_mul_f32 v[2:3], v[6:7], v[16:17]
	;;#ASMEND
	v_cvt_f32_u32_sdwa v17, v4 dst_sel:DWORD dst_unused:UNUSED_PAD src0_sel:WORD_1
	v_cvt_f32_u32_sdwa v16, v4 dst_sel:DWORD dst_unused:UNUSED_PAD src0_sel:WORD_0
	v_pk_add_f32 v[6:7], v[18:19], 1.0 op_sel_hi:[1,0]
	v_cvt_f32_u32_sdwa v19, v5 dst_sel:DWORD dst_unused:UNUSED_PAD src0_sel:WORD_1
	v_cvt_f32_u32_sdwa v18, v5 dst_sel:DWORD dst_unused:UNUSED_PAD src0_sel:WORD_0
	;;#ASMSTART
	v_pk_mul_f32 v[8:9], v[8:9], v[6:7]
	;;#ASMEND
	v_pk_add_f32 v[6:7], v[20:21], 1.0 op_sel_hi:[1,0]
	v_pk_add_f32 v[4:5], v[16:17], 1.0 op_sel_hi:[1,0]
	;;#ASMSTART
	v_pk_mul_f32 v[12:13], v[12:13], v[6:7]
	;;#ASMEND
	;;#ASMSTART
	v_pk_mul_f32 v[10:11], v[10:11], v[4:5]
	;;#ASMEND
	v_pk_add_f32 v[4:5], v[18:19], 1.0 op_sel_hi:[1,0]
	;;#ASMSTART
	v_pk_mul_f32 v[6:7], v[2:3], v[4:5]
	;;#ASMEND
.LBB204_5:
	s_or_b64 exec, exec, s[14:15]
	s_load_dwordx2 s[14:15], s[4:5], 0x7c
	s_mov_b64 s[20:21], -1
	s_and_b64 vcc, exec, s[10:11]
	s_cbranch_vccnz .LBB204_9
; %bb.6:
	s_andn2_b64 vcc, exec, s[20:21]
	s_cbranch_vccz .LBB204_12
.LBB204_7:
	s_cmp_lt_i32 s16, 1
	s_cbranch_scc0 .LBB204_15
.LBB204_8:
	s_endpgm
.LBB204_9:
	s_and_saveexec_b64 s[10:11], s[0:1]
	s_cbranch_execz .LBB204_11
; %bb.10:
	s_waitcnt lgkmcnt(0)
	s_mul_hi_i32 s21, s15, s6
	s_mul_i32 s20, s15, s6
	s_lshl_b64 s[20:21], s[20:21], 1
	s_add_u32 s20, s2, s20
	s_addc_u32 s7, s3, s21
	s_and_b32 s21, s7, 0xffff
	s_mov_b32 s7, 0x7060302
	s_mov_b32 s23, 0x20000
	s_waitcnt vmcnt(0)
	v_perm_b32 v2, v9, v8, s7
	v_perm_b32 v3, v13, v12, s7
	;; [unrolled: 1-line block ×4, first 2 shown]
	v_lshlrev_b32_e32 v15, 4, v0
	buffer_store_dwordx4 v[2:5], v15, s[20:23], 0 offen
	;;#ASMSTART
	s_nop 0
	;;#ASMEND
.LBB204_11:
	s_or_b64 exec, exec, s[10:11]
	s_cbranch_execnz .LBB204_7
.LBB204_12:
	s_and_saveexec_b64 s[10:11], s[0:1]
	s_cbranch_execz .LBB204_14
; %bb.13:
	s_load_dwordx2 s[0:1], s[4:5], 0x10
	s_waitcnt lgkmcnt(0)
	s_mul_hi_i32 s21, s14, s6
	s_mul_i32 s20, s14, s6
	s_lshl_b64 s[20:21], s[20:21], 1
	s_mov_b32 s23, 0x20000
	s_add_u32 s20, s0, s20
	s_addc_u32 s0, s1, s21
	s_and_b32 s21, s0, 0xffff
	s_mov_b32 s0, 0x7060302
	s_waitcnt vmcnt(0)
	v_perm_b32 v2, v9, v8, s0
	v_perm_b32 v3, v13, v12, s0
	;; [unrolled: 1-line block ×4, first 2 shown]
	v_lshlrev_b32_e32 v6, 4, v0
	buffer_store_dwordx4 v[2:5], v6, s[20:23], 0 offen
	;;#ASMSTART
	s_nop 0
	;;#ASMEND
.LBB204_14:
	s_or_b64 exec, exec, s[10:11]
	s_cmp_lt_i32 s16, 1
	s_cbranch_scc1 .LBB204_8
.LBB204_15:
	s_load_dword s0, s[4:5], 0x94
	s_waitcnt lgkmcnt(0)
	s_cmp_lg_u32 s0, 1
	s_cbranch_scc1 .LBB204_8
; %bb.16:
	s_lshl_b32 s0, s16, 1
	s_add_i32 s0, s0, 2
	v_cmp_gt_u32_e32 vcc, s16, v1
	s_and_b32 s10, s0, -4
	s_waitcnt vmcnt(0)
	v_mov_b32_e32 v4, 0
	v_lshlrev_b32_e32 v12, 4, v0
	v_mov_b32_e32 v5, 0
	v_mov_b32_e32 v6, 0
	;; [unrolled: 1-line block ×7, first 2 shown]
	s_barrier
	s_and_saveexec_b64 s[0:1], vcc
	s_cbranch_execz .LBB204_18
; %bb.17:
	s_mul_hi_i32 s5, s18, s6
	s_mul_i32 s4, s18, s6
	s_and_b32 s9, s9, 0xffff
	s_lshl_b64 s[4:5], s[4:5], 1
	s_add_u32 s20, s24, s4
	s_mov_b32 s11, 0x20000
	s_addc_u32 s4, s25, s5
	s_and_b32 s21, s4, 0xffff
	s_mov_b32 s22, s10
	s_mov_b32 s23, s11
	buffer_load_dwordx4 v[4:7], v12, s[20:23], 0 offen glc slc
	buffer_load_dwordx4 v[0:3], v12, s[8:11], 0 offen
.LBB204_18:
	s_or_b64 exec, exec, s[0:1]
	s_waitcnt vmcnt(1)
	v_cvt_f32_u32_sdwa v11, v4 dst_sel:DWORD dst_unused:UNUSED_PAD src0_sel:WORD_1
	v_cvt_f32_u32_sdwa v10, v4 dst_sel:DWORD dst_unused:UNUSED_PAD src0_sel:WORD_0
	v_cvt_f32_u32_sdwa v4, v7 dst_sel:DWORD dst_unused:UNUSED_PAD src0_sel:WORD_1
	v_cvt_f32_u32_sdwa v7, v7 dst_sel:DWORD dst_unused:UNUSED_PAD src0_sel:WORD_0
	;; [unrolled: 2-line block ×4, first 2 shown]
	v_cndmask_b32_e32 v11, 0, v11, vcc
	v_cndmask_b32_e32 v5, 0, v4, vcc
	;; [unrolled: 1-line block ×5, first 2 shown]
	v_mul_f32_e32 v13, v11, v11
	v_cndmask_b32_e32 v8, 0, v8, vcc
	v_fmac_f32_e32 v13, v10, v10
	v_cndmask_b32_e32 v9, 0, v9, vcc
	v_fmac_f32_e32 v13, v8, v8
	v_cndmask_b32_e32 v6, 0, v6, vcc
	v_fmac_f32_e32 v13, v9, v9
	v_fmac_f32_e32 v13, v6, v6
	v_fmac_f32_e32 v13, v7, v7
	;; [unrolled: 1-line block ×4, first 2 shown]
	s_nop 1
	v_mov_b32_dpp v15, v13 quad_perm:[1,0,3,2] row_mask:0xf bank_mask:0xf
	v_add_f32_e32 v13, v13, v15
	s_nop 1
	v_mov_b32_dpp v15, v13 quad_perm:[2,3,0,1] row_mask:0xf bank_mask:0xf
	v_add_f32_e32 v13, v13, v15
	s_nop 1
	v_mov_b32_dpp v15, v13 row_half_mirror row_mask:0xf bank_mask:0xf
	v_add_f32_e32 v13, v13, v15
	s_nop 1
	v_mov_b32_dpp v15, v13 row_mirror row_mask:0xf bank_mask:0xf
	v_add_f32_e32 v13, v13, v15
	s_nop 1
	v_mov_b32_dpp v15, v13 row_bcast:15 row_mask:0xf bank_mask:0xf
	v_add_f32_e32 v13, v13, v15
	s_nop 1
	v_mov_b32_dpp v15, v13 row_bcast:31 row_mask:0xf bank_mask:0xf
	v_add_f32_e32 v13, v13, v15
	ds_bpermute_b32 v13, v14, v13
	s_and_saveexec_b64 s[0:1], vcc
	s_cbranch_execz .LBB204_8
; %bb.19:
	v_cvt_f32_u32_e32 v14, s16
	s_mov_b32 s11, 0x20000
	s_waitcnt lgkmcnt(0)
	v_div_scale_f32 v15, s[0:1], v14, v14, v13
	v_rcp_f32_e32 v16, v15
	v_div_scale_f32 v17, vcc, v13, v14, v13
	s_mov_b32 s0, 0x800000
	v_fma_f32 v18, -v15, v16, 1.0
	v_fmac_f32_e32 v16, v18, v16
	v_mul_f32_e32 v18, v17, v16
	v_fma_f32 v19, -v15, v18, v17
	v_fmac_f32_e32 v18, v19, v16
	v_fma_f32 v15, -v15, v18, v17
	v_div_fmas_f32 v15, v15, v16, v18
	v_div_fixup_f32 v13, v15, v14, v13
	v_add_f32_e32 v13, s13, v13
	v_mul_f32_e32 v14, 0x4b800000, v13
	v_cmp_gt_f32_e32 vcc, s0, v13
	v_cndmask_b32_e32 v13, v13, v14, vcc
	v_rsq_f32_e32 v13, v13
	s_waitcnt vmcnt(0)
	v_cvt_f32_u32_sdwa v15, v0 dst_sel:DWORD dst_unused:UNUSED_PAD src0_sel:WORD_1
	v_cvt_f32_u32_sdwa v19, v1 dst_sel:DWORD dst_unused:UNUSED_PAD src0_sel:WORD_1
	v_cvt_f32_u32_sdwa v18, v1 dst_sel:DWORD dst_unused:UNUSED_PAD src0_sel:WORD_0
	v_mul_f32_e32 v14, 0x45800000, v13
	v_cndmask_b32_e32 v16, v13, v14, vcc
	v_cvt_f32_u32_sdwa v14, v0 dst_sel:DWORD dst_unused:UNUSED_PAD src0_sel:WORD_0
	v_mov_b32_e32 v17, v16
	;;#ASMSTART
	v_pk_mul_f32 v[10:11], v[10:11], v[16:17]
	;;#ASMEND
	;;#ASMSTART
	v_pk_mul_f32 v[8:9], v[8:9], v[16:17]
	;;#ASMEND
	;; [unrolled: 3-line block ×4, first 2 shown]
	v_pk_add_f32 v[4:5], v[14:15], 1.0 op_sel_hi:[1,0]
	v_cvt_f32_u32_sdwa v15, v2 dst_sel:DWORD dst_unused:UNUSED_PAD src0_sel:WORD_1
	v_cvt_f32_u32_sdwa v14, v2 dst_sel:DWORD dst_unused:UNUSED_PAD src0_sel:WORD_0
	v_cvt_f32_u32_sdwa v17, v3 dst_sel:DWORD dst_unused:UNUSED_PAD src0_sel:WORD_1
	v_cvt_f32_u32_sdwa v16, v3 dst_sel:DWORD dst_unused:UNUSED_PAD src0_sel:WORD_0
	s_mul_hi_i32 s1, s15, s6
	s_mul_i32 s0, s15, s6
	s_lshl_b64 s[0:1], s[0:1], 1
	s_add_u32 s8, s2, s0
	;;#ASMSTART
	v_pk_mul_f32 v[4:5], v[10:11], v[4:5]
	;;#ASMEND
	v_pk_add_f32 v[10:11], v[18:19], 1.0 op_sel_hi:[1,0]
	;;#ASMSTART
	v_pk_mul_f32 v[2:3], v[8:9], v[10:11]
	;;#ASMEND
	v_pk_add_f32 v[8:9], v[14:15], 1.0 op_sel_hi:[1,0]
	s_addc_u32 s0, s3, s1
	;;#ASMSTART
	v_pk_mul_f32 v[6:7], v[6:7], v[8:9]
	;;#ASMEND
	v_pk_add_f32 v[8:9], v[16:17], 1.0 op_sel_hi:[1,0]
	s_and_b32 s9, s0, 0xffff
	s_mov_b32 s0, 0x7060302
	;;#ASMSTART
	v_pk_mul_f32 v[8:9], v[0:1], v[8:9]
	;;#ASMEND
	v_perm_b32 v0, v5, v4, s0
	v_perm_b32 v1, v3, v2, s0
	;; [unrolled: 1-line block ×4, first 2 shown]
	buffer_store_dwordx4 v[0:3], v12, s[8:11], 0 offen
	;;#ASMSTART
	s_nop 0
	;;#ASMEND
	s_endpgm
	.section	.rodata,"a",@progbits
	.p2align	6, 0x0
	.amdhsa_kernel _ZN5aiter35fused_qk_rmsnorm_group_quant_kernelItN4opus5fp4_tELi64ELi8ELi4ELb0ELb1ELb1ELb1ELb0ELb0EEEvPT0_PvPT_S7_S7_PKS6_S9_S9_S9_S9_ffiiiiiiiiiiiii
		.amdhsa_group_segment_fixed_size 0
		.amdhsa_private_segment_fixed_size 0
		.amdhsa_kernarg_size 400
		.amdhsa_user_sgpr_count 6
		.amdhsa_user_sgpr_private_segment_buffer 1
		.amdhsa_user_sgpr_dispatch_ptr 0
		.amdhsa_user_sgpr_queue_ptr 0
		.amdhsa_user_sgpr_kernarg_segment_ptr 1
		.amdhsa_user_sgpr_dispatch_id 0
		.amdhsa_user_sgpr_flat_scratch_init 0
		.amdhsa_user_sgpr_kernarg_preload_length 0
		.amdhsa_user_sgpr_kernarg_preload_offset 0
		.amdhsa_user_sgpr_private_segment_size 0
		.amdhsa_uses_dynamic_stack 0
		.amdhsa_system_sgpr_private_segment_wavefront_offset 0
		.amdhsa_system_sgpr_workgroup_id_x 1
		.amdhsa_system_sgpr_workgroup_id_y 1
		.amdhsa_system_sgpr_workgroup_id_z 0
		.amdhsa_system_sgpr_workgroup_info 0
		.amdhsa_system_vgpr_workitem_id 0
		.amdhsa_next_free_vgpr 23
		.amdhsa_next_free_sgpr 32
		.amdhsa_accum_offset 24
		.amdhsa_reserve_vcc 1
		.amdhsa_reserve_flat_scratch 0
		.amdhsa_float_round_mode_32 0
		.amdhsa_float_round_mode_16_64 0
		.amdhsa_float_denorm_mode_32 3
		.amdhsa_float_denorm_mode_16_64 3
		.amdhsa_dx10_clamp 1
		.amdhsa_ieee_mode 1
		.amdhsa_fp16_overflow 0
		.amdhsa_tg_split 0
		.amdhsa_exception_fp_ieee_invalid_op 0
		.amdhsa_exception_fp_denorm_src 0
		.amdhsa_exception_fp_ieee_div_zero 0
		.amdhsa_exception_fp_ieee_overflow 0
		.amdhsa_exception_fp_ieee_underflow 0
		.amdhsa_exception_fp_ieee_inexact 0
		.amdhsa_exception_int_div_zero 0
	.end_amdhsa_kernel
	.section	.text._ZN5aiter35fused_qk_rmsnorm_group_quant_kernelItN4opus5fp4_tELi64ELi8ELi4ELb0ELb1ELb1ELb1ELb0ELb0EEEvPT0_PvPT_S7_S7_PKS6_S9_S9_S9_S9_ffiiiiiiiiiiiii,"axG",@progbits,_ZN5aiter35fused_qk_rmsnorm_group_quant_kernelItN4opus5fp4_tELi64ELi8ELi4ELb0ELb1ELb1ELb1ELb0ELb0EEEvPT0_PvPT_S7_S7_PKS6_S9_S9_S9_S9_ffiiiiiiiiiiiii,comdat
.Lfunc_end204:
	.size	_ZN5aiter35fused_qk_rmsnorm_group_quant_kernelItN4opus5fp4_tELi64ELi8ELi4ELb0ELb1ELb1ELb1ELb0ELb0EEEvPT0_PvPT_S7_S7_PKS6_S9_S9_S9_S9_ffiiiiiiiiiiiii, .Lfunc_end204-_ZN5aiter35fused_qk_rmsnorm_group_quant_kernelItN4opus5fp4_tELi64ELi8ELi4ELb0ELb1ELb1ELb1ELb0ELb0EEEvPT0_PvPT_S7_S7_PKS6_S9_S9_S9_S9_ffiiiiiiiiiiiii
                                        ; -- End function
	.section	.AMDGPU.csdata,"",@progbits
; Kernel info:
; codeLenInByte = 1968
; NumSgprs: 36
; NumVgprs: 23
; NumAgprs: 0
; TotalNumVgprs: 23
; ScratchSize: 0
; MemoryBound: 0
; FloatMode: 240
; IeeeMode: 1
; LDSByteSize: 0 bytes/workgroup (compile time only)
; SGPRBlocks: 4
; VGPRBlocks: 2
; NumSGPRsForWavesPerEU: 36
; NumVGPRsForWavesPerEU: 23
; AccumOffset: 24
; Occupancy: 8
; WaveLimiterHint : 0
; COMPUTE_PGM_RSRC2:SCRATCH_EN: 0
; COMPUTE_PGM_RSRC2:USER_SGPR: 6
; COMPUTE_PGM_RSRC2:TRAP_HANDLER: 0
; COMPUTE_PGM_RSRC2:TGID_X_EN: 1
; COMPUTE_PGM_RSRC2:TGID_Y_EN: 1
; COMPUTE_PGM_RSRC2:TGID_Z_EN: 0
; COMPUTE_PGM_RSRC2:TIDIG_COMP_CNT: 0
; COMPUTE_PGM_RSRC3_GFX90A:ACCUM_OFFSET: 5
; COMPUTE_PGM_RSRC3_GFX90A:TG_SPLIT: 0
	.section	.text._ZN5aiter35fused_qk_rmsnorm_group_quant_kernelIDF16_DB8_Li64ELi8ELi4ELb0ELb1ELb0ELb1ELb0ELb0EEEvPT0_PvPT_S6_S6_PKS5_S8_S8_S8_S8_ffiiiiiiiiiiiii,"axG",@progbits,_ZN5aiter35fused_qk_rmsnorm_group_quant_kernelIDF16_DB8_Li64ELi8ELi4ELb0ELb1ELb0ELb1ELb0ELb0EEEvPT0_PvPT_S6_S6_PKS5_S8_S8_S8_S8_ffiiiiiiiiiiiii,comdat
	.protected	_ZN5aiter35fused_qk_rmsnorm_group_quant_kernelIDF16_DB8_Li64ELi8ELi4ELb0ELb1ELb0ELb1ELb0ELb0EEEvPT0_PvPT_S6_S6_PKS5_S8_S8_S8_S8_ffiiiiiiiiiiiii ; -- Begin function _ZN5aiter35fused_qk_rmsnorm_group_quant_kernelIDF16_DB8_Li64ELi8ELi4ELb0ELb1ELb0ELb1ELb0ELb0EEEvPT0_PvPT_S6_S6_PKS5_S8_S8_S8_S8_ffiiiiiiiiiiiii
	.globl	_ZN5aiter35fused_qk_rmsnorm_group_quant_kernelIDF16_DB8_Li64ELi8ELi4ELb0ELb1ELb0ELb1ELb0ELb0EEEvPT0_PvPT_S6_S6_PKS5_S8_S8_S8_S8_ffiiiiiiiiiiiii
	.p2align	8
	.type	_ZN5aiter35fused_qk_rmsnorm_group_quant_kernelIDF16_DB8_Li64ELi8ELi4ELb0ELb1ELb0ELb1ELb0ELb0EEEvPT0_PvPT_S6_S6_PKS5_S8_S8_S8_S8_ffiiiiiiiiiiiii,@function
_ZN5aiter35fused_qk_rmsnorm_group_quant_kernelIDF16_DB8_Li64ELi8ELi4ELb0ELb1ELb0ELb1ELb0ELb0EEEvPT0_PvPT_S6_S6_PKS5_S8_S8_S8_S8_ffiiiiiiiiiiiii: ; @_ZN5aiter35fused_qk_rmsnorm_group_quant_kernelIDF16_DB8_Li64ELi8ELi4ELb0ELb1ELb0ELb1ELb0ELb0EEEvPT0_PvPT_S6_S6_PKS5_S8_S8_S8_S8_ffiiiiiiiiiiiii
; %bb.0:
	s_load_dwordx4 s[12:15], s[4:5], 0x50
	s_waitcnt lgkmcnt(0)
	s_cmp_ge_i32 s6, s14
	s_cbranch_scc1 .LBB205_10
; %bb.1:
	s_load_dwordx2 s[24:25], s[4:5], 0x30
	s_load_dwordx2 s[8:9], s[4:5], 0x48
	s_load_dwordx4 s[16:19], s[4:5], 0x60
	s_cmp_lg_u32 s7, 0
	s_cselect_b64 s[10:11], -1, 0
	s_cmp_eq_u32 s7, 0
	s_cselect_b64 vcc, -1, 0
	s_and_b64 s[0:1], vcc, exec
	s_waitcnt lgkmcnt(0)
	s_cselect_b32 s7, s15, s16
	s_add_i32 s0, s7, 1
	s_lshr_b32 s1, s0, 31
	s_add_i32 s0, s0, s1
	s_lshl_b32 s0, s0, 1
	v_lshlrev_b32_e32 v1, 3, v0
	s_and_b32 s22, s0, -4
	v_cmp_gt_i32_e64 s[0:1], s7, v1
	v_mov_b32_e32 v10, 0
	v_mov_b32_e32 v2, 0
	;; [unrolled: 1-line block ×9, first 2 shown]
	s_and_saveexec_b64 s[2:3], s[0:1]
	s_cbranch_execz .LBB205_3
; %bb.2:
	s_load_dwordx2 s[14:15], s[4:5], 0x28
	s_load_dwordx2 s[20:21], s[4:5], 0x40
	s_and_b64 s[26:27], vcc, exec
	s_cselect_b32 s17, s17, s18
	v_lshlrev_b32_e32 v11, 4, v0
	s_waitcnt lgkmcnt(0)
	s_cselect_b32 s19, s15, s25
	s_cselect_b32 s23, s14, s24
	s_mul_hi_i32 s15, s17, s6
	s_mul_i32 s14, s17, s6
	s_lshl_b64 s[14:15], s[14:15], 1
	s_add_u32 s28, s23, s14
	s_addc_u32 s17, s19, s15
	s_and_b64 s[14:15], vcc, exec
	s_mov_b32 s23, 0x20000
	s_cselect_b32 s20, s20, s8
	s_cselect_b32 s14, s21, s9
	s_and_b32 s29, s17, 0xffff
	s_mov_b32 s30, s22
	s_mov_b32 s31, s23
	s_and_b32 s21, s14, 0xffff
	buffer_load_dwordx4 v[6:9], v11, s[28:31], 0 offen glc slc
	buffer_load_dwordx4 v[2:5], v11, s[20:23], 0 offen
.LBB205_3:
	s_or_b64 exec, exec, s[2:3]
	v_mov_b32_e32 v11, 0
	v_mov_b32_e32 v12, 0
	;; [unrolled: 1-line block ×7, first 2 shown]
	s_and_saveexec_b64 s[2:3], s[0:1]
	s_cbranch_execz .LBB205_5
; %bb.4:
	s_waitcnt vmcnt(1)
	v_cvt_f32_f16_sdwa v11, v6 dst_sel:DWORD dst_unused:UNUSED_PAD src0_sel:WORD_1
	v_cvt_f32_f16_e32 v10, v6
	v_cvt_f32_f16_sdwa v13, v7 dst_sel:DWORD dst_unused:UNUSED_PAD src0_sel:WORD_1
	v_cvt_f32_f16_e32 v12, v7
	;; [unrolled: 2-line block ×4, first 2 shown]
.LBB205_5:
	s_or_b64 exec, exec, s[2:3]
	s_waitcnt vmcnt(1)
	v_mul_f32_e32 v6, v11, v11
	v_fmac_f32_e32 v6, v10, v10
	v_fmac_f32_e32 v6, v12, v12
	;; [unrolled: 1-line block ×7, first 2 shown]
	v_bfrev_b32_e32 v8, 0.5
	s_load_dwordx2 s[2:3], s[4:5], 0x18
	v_mov_b32_dpp v7, v6 quad_perm:[1,0,3,2] row_mask:0xf bank_mask:0xf
	v_add_f32_e32 v6, v6, v7
	s_nop 1
	v_mov_b32_dpp v7, v6 quad_perm:[2,3,0,1] row_mask:0xf bank_mask:0xf
	v_add_f32_e32 v6, v6, v7
	s_nop 1
	v_mov_b32_dpp v7, v6 row_half_mirror row_mask:0xf bank_mask:0xf
	v_add_f32_e32 v6, v6, v7
	s_nop 1
	v_mov_b32_dpp v7, v6 row_mirror row_mask:0xf bank_mask:0xf
	v_add_f32_e32 v6, v6, v7
	s_nop 1
	v_mov_b32_dpp v7, v6 row_bcast:15 row_mask:0xf bank_mask:0xf
	v_add_f32_e32 v6, v6, v7
	s_nop 1
	v_mov_b32_dpp v7, v6 row_bcast:31 row_mask:0xf bank_mask:0xf
	v_add_f32_e32 v6, v6, v7
	v_mbcnt_lo_u32_b32 v7, -1, 0
	v_mbcnt_hi_u32_b32 v7, -1, v7
	v_lshl_or_b32 v18, v7, 2, v8
	ds_bpermute_b32 v6, v18, v6
	s_and_saveexec_b64 s[14:15], s[0:1]
	s_cbranch_execz .LBB205_7
; %bb.6:
	v_cvt_f32_u32_e32 v7, s7
	v_mov_b32_e32 v8, s13
	v_mov_b32_e32 v9, s12
	v_cndmask_b32_e32 v8, v8, v9, vcc
	s_waitcnt lgkmcnt(0)
	v_div_scale_f32 v19, s[20:21], v7, v7, v6
	v_rcp_f32_e32 v20, v19
	v_div_scale_f32 v9, vcc, v6, v7, v6
	s_mov_b32 s7, 0x800000
	v_fma_f32 v21, -v19, v20, 1.0
	v_fmac_f32_e32 v20, v21, v20
	v_mul_f32_e32 v21, v9, v20
	v_fma_f32 v22, -v19, v21, v9
	v_fmac_f32_e32 v21, v22, v20
	v_fma_f32 v9, -v19, v21, v9
	v_div_fmas_f32 v9, v9, v20, v21
	v_div_fixup_f32 v6, v9, v7, v6
	v_add_f32_e32 v6, v8, v6
	v_mul_f32_e32 v7, 0x4b800000, v6
	v_cmp_gt_f32_e32 vcc, s7, v6
	v_cndmask_b32_e32 v6, v6, v7, vcc
	v_rsq_f32_e32 v6, v6
	s_waitcnt vmcnt(0)
	v_cvt_f32_f16_sdwa v21, v5 dst_sel:DWORD dst_unused:UNUSED_PAD src0_sel:WORD_1
	v_cvt_f32_f16_e32 v20, v5
	v_mul_f32_e32 v7, 0x45800000, v6
	v_cndmask_b32_e32 v6, v6, v7, vcc
	v_mov_b32_e32 v7, v6
	;;#ASMSTART
	v_pk_mul_f32 v[8:9], v[10:11], v[6:7]
	;;#ASMEND
	;;#ASMSTART
	v_pk_mul_f32 v[12:13], v[12:13], v[6:7]
	;;#ASMEND
	;; [unrolled: 3-line block ×4, first 2 shown]
	v_cvt_f32_f16_sdwa v11, v2 dst_sel:DWORD dst_unused:UNUSED_PAD src0_sel:WORD_1
	v_cvt_f32_f16_e32 v10, v2
	v_cvt_f32_f16_sdwa v17, v3 dst_sel:DWORD dst_unused:UNUSED_PAD src0_sel:WORD_1
	v_cvt_f32_f16_e32 v16, v3
	v_cvt_f32_f16_sdwa v3, v4 dst_sel:DWORD dst_unused:UNUSED_PAD src0_sel:WORD_1
	v_cvt_f32_f16_e32 v2, v4
	;;#ASMSTART
	v_pk_mul_f32 v[10:11], v[8:9], v[10:11]
	;;#ASMEND
	;;#ASMSTART
	v_pk_mul_f32 v[12:13], v[12:13], v[16:17]
	;;#ASMEND
	;; [unrolled: 3-line block ×4, first 2 shown]
.LBB205_7:
	s_or_b64 exec, exec, s[14:15]
	s_load_dwordx2 s[14:15], s[4:5], 0x7c
	s_mov_b64 s[20:21], -1
	s_and_b64 vcc, exec, s[10:11]
	s_cbranch_vccnz .LBB205_11
; %bb.8:
	s_andn2_b64 vcc, exec, s[20:21]
	s_cbranch_vccz .LBB205_14
.LBB205_9:
	s_cmp_lt_i32 s16, 1
	s_cbranch_scc0 .LBB205_17
.LBB205_10:
	s_endpgm
.LBB205_11:
	s_and_saveexec_b64 s[10:11], s[0:1]
	s_cbranch_execz .LBB205_13
; %bb.12:
	s_waitcnt lgkmcnt(0)
	s_mul_hi_i32 s21, s15, s6
	s_mul_i32 s20, s15, s6
	s_waitcnt vmcnt(0)
	v_cvt_f16_f32_e32 v2, v10
	v_cvt_f16_f32_e32 v3, v12
	;; [unrolled: 1-line block ×8, first 2 shown]
	s_lshl_b64 s[20:21], s[20:21], 1
	s_add_u32 s20, s2, s20
	s_addc_u32 s7, s3, s21
	s_and_b32 s21, s7, 0xffff
	s_mov_b32 s23, 0x20000
	v_pack_b32_f16 v5, v5, v6
	v_pack_b32_f16 v4, v4, v7
	;; [unrolled: 1-line block ×4, first 2 shown]
	v_lshlrev_b32_e32 v6, 4, v0
	buffer_store_dwordx4 v[2:5], v6, s[20:23], 0 offen
	;;#ASMSTART
	s_nop 0
	;;#ASMEND
.LBB205_13:
	s_or_b64 exec, exec, s[10:11]
	s_cbranch_execnz .LBB205_9
.LBB205_14:
	s_and_saveexec_b64 s[10:11], s[0:1]
	s_cbranch_execz .LBB205_16
; %bb.15:
	s_load_dwordx2 s[0:1], s[4:5], 0x10
	s_waitcnt lgkmcnt(0)
	s_mul_hi_i32 s21, s14, s6
	s_mul_i32 s20, s14, s6
	s_waitcnt vmcnt(0)
	v_cvt_f16_f32_e32 v2, v10
	v_cvt_f16_f32_e32 v3, v12
	;; [unrolled: 1-line block ×8, first 2 shown]
	s_lshl_b64 s[20:21], s[20:21], 1
	s_add_u32 s20, s0, s20
	s_addc_u32 s0, s1, s21
	s_mov_b32 s23, 0x20000
	s_and_b32 s21, s0, 0xffff
	v_pack_b32_f16 v5, v5, v6
	v_pack_b32_f16 v4, v4, v7
	;; [unrolled: 1-line block ×4, first 2 shown]
	v_lshlrev_b32_e32 v6, 4, v0
	buffer_store_dwordx4 v[2:5], v6, s[20:23], 0 offen
	;;#ASMSTART
	s_nop 0
	;;#ASMEND
.LBB205_16:
	s_or_b64 exec, exec, s[10:11]
	s_cmp_lt_i32 s16, 1
	s_cbranch_scc1 .LBB205_10
.LBB205_17:
	s_load_dword s0, s[4:5], 0x94
	s_waitcnt lgkmcnt(0)
	s_cmp_lg_u32 s0, 1
	s_cbranch_scc1 .LBB205_10
; %bb.18:
	s_lshl_b32 s0, s16, 1
	s_add_i32 s0, s0, 2
	v_cmp_gt_u32_e32 vcc, s16, v1
	s_and_b32 s10, s0, -4
	v_mov_b32_e32 v8, 0
	v_lshlrev_b32_e32 v16, 4, v0
	s_waitcnt vmcnt(0)
	v_mov_b32_e32 v4, 0
	v_mov_b32_e32 v5, 0
	;; [unrolled: 1-line block ×8, first 2 shown]
	s_barrier
	s_and_saveexec_b64 s[0:1], vcc
	s_cbranch_execz .LBB205_20
; %bb.19:
	s_mul_hi_i32 s5, s18, s6
	s_mul_i32 s4, s18, s6
	s_and_b32 s9, s9, 0xffff
	s_lshl_b64 s[4:5], s[4:5], 1
	s_add_u32 s20, s24, s4
	s_mov_b32 s11, 0x20000
	s_addc_u32 s4, s25, s5
	s_and_b32 s21, s4, 0xffff
	s_mov_b32 s22, s10
	s_mov_b32 s23, s11
	buffer_load_dwordx4 v[4:7], v16, s[20:23], 0 offen glc slc
	buffer_load_dwordx4 v[0:3], v16, s[8:11], 0 offen
.LBB205_20:
	s_or_b64 exec, exec, s[0:1]
	v_mov_b32_e32 v9, 0
	v_mov_b32_e32 v14, 0
	;; [unrolled: 1-line block ×7, first 2 shown]
	s_and_saveexec_b64 s[0:1], vcc
	s_cbranch_execz .LBB205_22
; %bb.21:
	s_waitcnt vmcnt(1)
	v_cvt_f32_f16_sdwa v9, v4 dst_sel:DWORD dst_unused:UNUSED_PAD src0_sel:WORD_1
	v_cvt_f32_f16_e32 v8, v4
	v_cvt_f32_f16_sdwa v15, v5 dst_sel:DWORD dst_unused:UNUSED_PAD src0_sel:WORD_1
	v_cvt_f32_f16_e32 v14, v5
	;; [unrolled: 2-line block ×4, first 2 shown]
.LBB205_22:
	s_or_b64 exec, exec, s[0:1]
	s_waitcnt vmcnt(1)
	v_mul_f32_e32 v4, v9, v9
	v_fmac_f32_e32 v4, v8, v8
	v_fmac_f32_e32 v4, v14, v14
	;; [unrolled: 1-line block ×7, first 2 shown]
	s_nop 1
	v_mov_b32_dpp v5, v4 quad_perm:[1,0,3,2] row_mask:0xf bank_mask:0xf
	v_add_f32_e32 v4, v4, v5
	s_nop 1
	v_mov_b32_dpp v5, v4 quad_perm:[2,3,0,1] row_mask:0xf bank_mask:0xf
	v_add_f32_e32 v4, v4, v5
	s_nop 1
	v_mov_b32_dpp v5, v4 row_half_mirror row_mask:0xf bank_mask:0xf
	v_add_f32_e32 v4, v4, v5
	s_nop 1
	v_mov_b32_dpp v5, v4 row_mirror row_mask:0xf bank_mask:0xf
	v_add_f32_e32 v4, v4, v5
	s_nop 1
	v_mov_b32_dpp v5, v4 row_bcast:15 row_mask:0xf bank_mask:0xf
	v_add_f32_e32 v4, v4, v5
	s_nop 1
	v_mov_b32_dpp v5, v4 row_bcast:31 row_mask:0xf bank_mask:0xf
	v_add_f32_e32 v4, v4, v5
	ds_bpermute_b32 v4, v18, v4
	s_and_saveexec_b64 s[0:1], vcc
	s_cbranch_execz .LBB205_10
; %bb.23:
	v_cvt_f32_u32_e32 v5, s16
	s_mov_b32 s11, 0x20000
	s_waitcnt lgkmcnt(0)
	v_div_scale_f32 v6, s[0:1], v5, v5, v4
	v_rcp_f32_e32 v7, v6
	v_div_scale_f32 v17, vcc, v4, v5, v4
	s_mov_b32 s0, 0x800000
	v_fma_f32 v18, -v6, v7, 1.0
	v_fmac_f32_e32 v7, v18, v7
	v_mul_f32_e32 v18, v17, v7
	v_fma_f32 v19, -v6, v18, v17
	v_fmac_f32_e32 v18, v19, v7
	v_fma_f32 v6, -v6, v18, v17
	v_div_fmas_f32 v6, v6, v7, v18
	v_div_fixup_f32 v4, v6, v5, v4
	v_add_f32_e32 v4, s13, v4
	v_mul_f32_e32 v5, 0x4b800000, v4
	v_cmp_gt_f32_e32 vcc, s0, v4
	v_cndmask_b32_e32 v4, v4, v5, vcc
	v_rsq_f32_e32 v4, v4
	s_waitcnt vmcnt(0)
	v_cvt_f32_f16_sdwa v19, v3 dst_sel:DWORD dst_unused:UNUSED_PAD src0_sel:WORD_1
	v_cvt_f32_f16_e32 v18, v3
	s_mul_hi_i32 s1, s15, s6
	v_mul_f32_e32 v5, 0x45800000, v4
	v_cndmask_b32_e32 v4, v4, v5, vcc
	v_mov_b32_e32 v5, v4
	;;#ASMSTART
	v_pk_mul_f32 v[6:7], v[8:9], v[4:5]
	;;#ASMEND
	;;#ASMSTART
	v_pk_mul_f32 v[8:9], v[14:15], v[4:5]
	;;#ASMEND
	;; [unrolled: 3-line block ×4, first 2 shown]
	v_cvt_f32_f16_sdwa v11, v0 dst_sel:DWORD dst_unused:UNUSED_PAD src0_sel:WORD_1
	v_cvt_f32_f16_e32 v10, v0
	v_cvt_f32_f16_sdwa v15, v1 dst_sel:DWORD dst_unused:UNUSED_PAD src0_sel:WORD_1
	v_cvt_f32_f16_e32 v14, v1
	;; [unrolled: 2-line block ×3, first 2 shown]
	;;#ASMSTART
	v_pk_mul_f32 v[2:3], v[6:7], v[10:11]
	;;#ASMEND
	;;#ASMSTART
	v_pk_mul_f32 v[6:7], v[8:9], v[14:15]
	;;#ASMEND
	;;#ASMSTART
	v_pk_mul_f32 v[0:1], v[12:13], v[0:1]
	;;#ASMEND
	;;#ASMSTART
	v_pk_mul_f32 v[4:5], v[4:5], v[18:19]
	;;#ASMEND
	s_mul_i32 s0, s15, s6
	v_cvt_f16_f32_e32 v2, v2
	v_cvt_f16_f32_e32 v3, v3
	v_cvt_f16_f32_e32 v6, v6
	v_cvt_f16_f32_e32 v7, v7
	v_cvt_f16_f32_e32 v8, v0
	v_cvt_f16_f32_e32 v9, v1
	v_cvt_f16_f32_e32 v4, v4
	v_cvt_f16_f32_e32 v5, v5
	s_lshl_b64 s[0:1], s[0:1], 1
	s_add_u32 s8, s2, s0
	s_addc_u32 s0, s3, s1
	s_and_b32 s9, s0, 0xffff
	v_pack_b32_f16 v0, v2, v3
	v_pack_b32_f16 v1, v6, v7
	;; [unrolled: 1-line block ×4, first 2 shown]
	buffer_store_dwordx4 v[0:3], v16, s[8:11], 0 offen
	;;#ASMSTART
	s_nop 0
	;;#ASMEND
	s_endpgm
	.section	.rodata,"a",@progbits
	.p2align	6, 0x0
	.amdhsa_kernel _ZN5aiter35fused_qk_rmsnorm_group_quant_kernelIDF16_DB8_Li64ELi8ELi4ELb0ELb1ELb0ELb1ELb0ELb0EEEvPT0_PvPT_S6_S6_PKS5_S8_S8_S8_S8_ffiiiiiiiiiiiii
		.amdhsa_group_segment_fixed_size 0
		.amdhsa_private_segment_fixed_size 0
		.amdhsa_kernarg_size 400
		.amdhsa_user_sgpr_count 6
		.amdhsa_user_sgpr_private_segment_buffer 1
		.amdhsa_user_sgpr_dispatch_ptr 0
		.amdhsa_user_sgpr_queue_ptr 0
		.amdhsa_user_sgpr_kernarg_segment_ptr 1
		.amdhsa_user_sgpr_dispatch_id 0
		.amdhsa_user_sgpr_flat_scratch_init 0
		.amdhsa_user_sgpr_kernarg_preload_length 0
		.amdhsa_user_sgpr_kernarg_preload_offset 0
		.amdhsa_user_sgpr_private_segment_size 0
		.amdhsa_uses_dynamic_stack 0
		.amdhsa_system_sgpr_private_segment_wavefront_offset 0
		.amdhsa_system_sgpr_workgroup_id_x 1
		.amdhsa_system_sgpr_workgroup_id_y 1
		.amdhsa_system_sgpr_workgroup_id_z 0
		.amdhsa_system_sgpr_workgroup_info 0
		.amdhsa_system_vgpr_workitem_id 0
		.amdhsa_next_free_vgpr 23
		.amdhsa_next_free_sgpr 32
		.amdhsa_accum_offset 24
		.amdhsa_reserve_vcc 1
		.amdhsa_reserve_flat_scratch 0
		.amdhsa_float_round_mode_32 0
		.amdhsa_float_round_mode_16_64 0
		.amdhsa_float_denorm_mode_32 3
		.amdhsa_float_denorm_mode_16_64 3
		.amdhsa_dx10_clamp 1
		.amdhsa_ieee_mode 1
		.amdhsa_fp16_overflow 0
		.amdhsa_tg_split 0
		.amdhsa_exception_fp_ieee_invalid_op 0
		.amdhsa_exception_fp_denorm_src 0
		.amdhsa_exception_fp_ieee_div_zero 0
		.amdhsa_exception_fp_ieee_overflow 0
		.amdhsa_exception_fp_ieee_underflow 0
		.amdhsa_exception_fp_ieee_inexact 0
		.amdhsa_exception_int_div_zero 0
	.end_amdhsa_kernel
	.section	.text._ZN5aiter35fused_qk_rmsnorm_group_quant_kernelIDF16_DB8_Li64ELi8ELi4ELb0ELb1ELb0ELb1ELb0ELb0EEEvPT0_PvPT_S6_S6_PKS5_S8_S8_S8_S8_ffiiiiiiiiiiiii,"axG",@progbits,_ZN5aiter35fused_qk_rmsnorm_group_quant_kernelIDF16_DB8_Li64ELi8ELi4ELb0ELb1ELb0ELb1ELb0ELb0EEEvPT0_PvPT_S6_S6_PKS5_S8_S8_S8_S8_ffiiiiiiiiiiiii,comdat
.Lfunc_end205:
	.size	_ZN5aiter35fused_qk_rmsnorm_group_quant_kernelIDF16_DB8_Li64ELi8ELi4ELb0ELb1ELb0ELb1ELb0ELb0EEEvPT0_PvPT_S6_S6_PKS5_S8_S8_S8_S8_ffiiiiiiiiiiiii, .Lfunc_end205-_ZN5aiter35fused_qk_rmsnorm_group_quant_kernelIDF16_DB8_Li64ELi8ELi4ELb0ELb1ELb0ELb1ELb0ELb0EEEvPT0_PvPT_S6_S6_PKS5_S8_S8_S8_S8_ffiiiiiiiiiiiii
                                        ; -- End function
	.section	.AMDGPU.csdata,"",@progbits
; Kernel info:
; codeLenInByte = 1912
; NumSgprs: 36
; NumVgprs: 23
; NumAgprs: 0
; TotalNumVgprs: 23
; ScratchSize: 0
; MemoryBound: 0
; FloatMode: 240
; IeeeMode: 1
; LDSByteSize: 0 bytes/workgroup (compile time only)
; SGPRBlocks: 4
; VGPRBlocks: 2
; NumSGPRsForWavesPerEU: 36
; NumVGPRsForWavesPerEU: 23
; AccumOffset: 24
; Occupancy: 8
; WaveLimiterHint : 0
; COMPUTE_PGM_RSRC2:SCRATCH_EN: 0
; COMPUTE_PGM_RSRC2:USER_SGPR: 6
; COMPUTE_PGM_RSRC2:TRAP_HANDLER: 0
; COMPUTE_PGM_RSRC2:TGID_X_EN: 1
; COMPUTE_PGM_RSRC2:TGID_Y_EN: 1
; COMPUTE_PGM_RSRC2:TGID_Z_EN: 0
; COMPUTE_PGM_RSRC2:TIDIG_COMP_CNT: 0
; COMPUTE_PGM_RSRC3_GFX90A:ACCUM_OFFSET: 5
; COMPUTE_PGM_RSRC3_GFX90A:TG_SPLIT: 0
	.section	.text._ZN5aiter35fused_qk_rmsnorm_group_quant_kernelItDB8_Li64ELi8ELi4ELb0ELb1ELb0ELb1ELb0ELb0EEEvPT0_PvPT_S6_S6_PKS5_S8_S8_S8_S8_ffiiiiiiiiiiiii,"axG",@progbits,_ZN5aiter35fused_qk_rmsnorm_group_quant_kernelItDB8_Li64ELi8ELi4ELb0ELb1ELb0ELb1ELb0ELb0EEEvPT0_PvPT_S6_S6_PKS5_S8_S8_S8_S8_ffiiiiiiiiiiiii,comdat
	.protected	_ZN5aiter35fused_qk_rmsnorm_group_quant_kernelItDB8_Li64ELi8ELi4ELb0ELb1ELb0ELb1ELb0ELb0EEEvPT0_PvPT_S6_S6_PKS5_S8_S8_S8_S8_ffiiiiiiiiiiiii ; -- Begin function _ZN5aiter35fused_qk_rmsnorm_group_quant_kernelItDB8_Li64ELi8ELi4ELb0ELb1ELb0ELb1ELb0ELb0EEEvPT0_PvPT_S6_S6_PKS5_S8_S8_S8_S8_ffiiiiiiiiiiiii
	.globl	_ZN5aiter35fused_qk_rmsnorm_group_quant_kernelItDB8_Li64ELi8ELi4ELb0ELb1ELb0ELb1ELb0ELb0EEEvPT0_PvPT_S6_S6_PKS5_S8_S8_S8_S8_ffiiiiiiiiiiiii
	.p2align	8
	.type	_ZN5aiter35fused_qk_rmsnorm_group_quant_kernelItDB8_Li64ELi8ELi4ELb0ELb1ELb0ELb1ELb0ELb0EEEvPT0_PvPT_S6_S6_PKS5_S8_S8_S8_S8_ffiiiiiiiiiiiii,@function
_ZN5aiter35fused_qk_rmsnorm_group_quant_kernelItDB8_Li64ELi8ELi4ELb0ELb1ELb0ELb1ELb0ELb0EEEvPT0_PvPT_S6_S6_PKS5_S8_S8_S8_S8_ffiiiiiiiiiiiii: ; @_ZN5aiter35fused_qk_rmsnorm_group_quant_kernelItDB8_Li64ELi8ELi4ELb0ELb1ELb0ELb1ELb0ELb0EEEvPT0_PvPT_S6_S6_PKS5_S8_S8_S8_S8_ffiiiiiiiiiiiii
; %bb.0:
	s_load_dwordx4 s[12:15], s[4:5], 0x50
	s_waitcnt lgkmcnt(0)
	s_cmp_ge_i32 s6, s14
	s_cbranch_scc1 .LBB206_8
; %bb.1:
	s_load_dwordx2 s[24:25], s[4:5], 0x30
	s_load_dwordx2 s[8:9], s[4:5], 0x48
	s_load_dwordx4 s[16:19], s[4:5], 0x60
	s_cmp_lg_u32 s7, 0
	s_cselect_b64 s[10:11], -1, 0
	s_cmp_eq_u32 s7, 0
	s_cselect_b64 vcc, -1, 0
	s_and_b64 s[0:1], vcc, exec
	s_waitcnt lgkmcnt(0)
	s_cselect_b32 s7, s15, s16
	s_add_i32 s0, s7, 1
	s_lshr_b32 s1, s0, 31
	s_add_i32 s0, s0, s1
	s_lshl_b32 s0, s0, 1
	v_lshlrev_b32_e32 v1, 3, v0
	s_and_b32 s22, s0, -4
	v_cmp_gt_i32_e64 s[0:1], s7, v1
	v_mov_b32_e32 v2, 0
	v_mov_b32_e32 v3, 0
	;; [unrolled: 1-line block ×8, first 2 shown]
	s_and_saveexec_b64 s[2:3], s[0:1]
	s_cbranch_execz .LBB206_3
; %bb.2:
	s_load_dwordx2 s[14:15], s[4:5], 0x28
	s_load_dwordx2 s[20:21], s[4:5], 0x40
	s_and_b64 s[26:27], vcc, exec
	s_cselect_b32 s17, s17, s18
	v_lshlrev_b32_e32 v10, 4, v0
	s_waitcnt lgkmcnt(0)
	s_cselect_b32 s19, s15, s25
	s_cselect_b32 s23, s14, s24
	s_mul_hi_i32 s15, s17, s6
	s_mul_i32 s14, s17, s6
	s_lshl_b64 s[14:15], s[14:15], 1
	s_add_u32 s28, s23, s14
	s_addc_u32 s17, s19, s15
	s_and_b64 s[14:15], vcc, exec
	s_mov_b32 s23, 0x20000
	s_cselect_b32 s20, s20, s8
	s_cselect_b32 s14, s21, s9
	s_and_b32 s29, s17, 0xffff
	s_mov_b32 s30, s22
	s_mov_b32 s31, s23
	s_and_b32 s21, s14, 0xffff
	buffer_load_dwordx4 v[6:9], v10, s[28:31], 0 offen glc slc
	buffer_load_dwordx4 v[2:5], v10, s[20:23], 0 offen
.LBB206_3:
	s_or_b64 exec, exec, s[2:3]
	s_waitcnt vmcnt(1)
	v_cvt_f32_u32_sdwa v13, v6 dst_sel:DWORD dst_unused:UNUSED_PAD src0_sel:WORD_1
	v_cvt_f32_u32_sdwa v12, v6 dst_sel:DWORD dst_unused:UNUSED_PAD src0_sel:WORD_0
	v_cvt_f32_u32_sdwa v6, v9 dst_sel:DWORD dst_unused:UNUSED_PAD src0_sel:WORD_1
	v_cvt_f32_u32_sdwa v9, v9 dst_sel:DWORD dst_unused:UNUSED_PAD src0_sel:WORD_0
	;; [unrolled: 2-line block ×4, first 2 shown]
	v_cndmask_b32_e64 v13, 0, v13, s[0:1]
	v_cndmask_b32_e64 v7, 0, v6, s[0:1]
	;; [unrolled: 1-line block ×5, first 2 shown]
	v_mul_f32_e32 v14, v13, v13
	v_cndmask_b32_e64 v10, 0, v10, s[0:1]
	v_fmac_f32_e32 v14, v12, v12
	v_cndmask_b32_e64 v11, 0, v11, s[0:1]
	v_fmac_f32_e32 v14, v10, v10
	;; [unrolled: 2-line block ×3, first 2 shown]
	v_fmac_f32_e32 v14, v8, v8
	v_fmac_f32_e32 v14, v9, v9
	;; [unrolled: 1-line block ×4, first 2 shown]
	v_bfrev_b32_e32 v16, 0.5
	s_load_dwordx2 s[2:3], s[4:5], 0x18
	v_mov_b32_dpp v15, v14 quad_perm:[1,0,3,2] row_mask:0xf bank_mask:0xf
	v_add_f32_e32 v14, v14, v15
	s_nop 1
	v_mov_b32_dpp v15, v14 quad_perm:[2,3,0,1] row_mask:0xf bank_mask:0xf
	v_add_f32_e32 v14, v14, v15
	s_nop 1
	v_mov_b32_dpp v15, v14 row_half_mirror row_mask:0xf bank_mask:0xf
	v_add_f32_e32 v14, v14, v15
	s_nop 1
	v_mov_b32_dpp v15, v14 row_mirror row_mask:0xf bank_mask:0xf
	v_add_f32_e32 v14, v14, v15
	s_nop 1
	v_mov_b32_dpp v15, v14 row_bcast:15 row_mask:0xf bank_mask:0xf
	v_add_f32_e32 v14, v14, v15
	s_nop 1
	v_mov_b32_dpp v15, v14 row_bcast:31 row_mask:0xf bank_mask:0xf
	v_add_f32_e32 v15, v14, v15
	v_mbcnt_lo_u32_b32 v14, -1, 0
	v_mbcnt_hi_u32_b32 v14, -1, v14
	v_lshl_or_b32 v14, v14, 2, v16
	ds_bpermute_b32 v15, v14, v15
	s_and_saveexec_b64 s[14:15], s[0:1]
	s_cbranch_execz .LBB206_5
; %bb.4:
	v_cvt_f32_u32_e32 v16, s7
	v_mov_b32_e32 v17, s13
	v_mov_b32_e32 v18, s12
	v_cndmask_b32_e32 v17, v17, v18, vcc
	s_waitcnt lgkmcnt(0)
	v_div_scale_f32 v19, s[20:21], v16, v16, v15
	v_rcp_f32_e32 v20, v19
	v_div_scale_f32 v18, vcc, v15, v16, v15
	s_mov_b32 s7, 0x800000
	v_fma_f32 v21, -v19, v20, 1.0
	v_fmac_f32_e32 v20, v21, v20
	v_mul_f32_e32 v21, v18, v20
	v_fma_f32 v22, -v19, v21, v18
	v_fmac_f32_e32 v21, v22, v20
	v_fma_f32 v18, -v19, v21, v18
	v_div_fmas_f32 v18, v18, v20, v21
	v_div_fixup_f32 v15, v18, v16, v15
	v_add_f32_e32 v15, v17, v15
	v_mul_f32_e32 v16, 0x4b800000, v15
	v_cmp_gt_f32_e32 vcc, s7, v15
	v_cndmask_b32_e32 v15, v15, v16, vcc
	v_rsq_f32_e32 v15, v15
	s_waitcnt vmcnt(0)
	v_cvt_f32_u32_sdwa v19, v3 dst_sel:DWORD dst_unused:UNUSED_PAD src0_sel:WORD_1
	v_cvt_f32_u32_sdwa v18, v3 dst_sel:DWORD dst_unused:UNUSED_PAD src0_sel:WORD_0
	v_cvt_f32_u32_sdwa v3, v4 dst_sel:DWORD dst_unused:UNUSED_PAD src0_sel:WORD_1
	v_mul_f32_e32 v16, 0x45800000, v15
	v_cndmask_b32_e32 v16, v15, v16, vcc
	v_mov_b32_e32 v17, v16
	;;#ASMSTART
	v_pk_mul_f32 v[12:13], v[12:13], v[16:17]
	;;#ASMEND
	;;#ASMSTART
	v_pk_mul_f32 v[10:11], v[10:11], v[16:17]
	;;#ASMEND
	;; [unrolled: 3-line block ×4, first 2 shown]
	v_cvt_f32_u32_sdwa v17, v2 dst_sel:DWORD dst_unused:UNUSED_PAD src0_sel:WORD_1
	v_cvt_f32_u32_sdwa v16, v2 dst_sel:DWORD dst_unused:UNUSED_PAD src0_sel:WORD_0
	v_cvt_f32_u32_sdwa v2, v4 dst_sel:DWORD dst_unused:UNUSED_PAD src0_sel:WORD_0
	v_cvt_f32_u32_sdwa v21, v5 dst_sel:DWORD dst_unused:UNUSED_PAD src0_sel:WORD_1
	v_cvt_f32_u32_sdwa v20, v5 dst_sel:DWORD dst_unused:UNUSED_PAD src0_sel:WORD_0
	;;#ASMSTART
	v_pk_mul_f32 v[12:13], v[12:13], v[16:17]
	;;#ASMEND
	;;#ASMSTART
	v_pk_mul_f32 v[10:11], v[10:11], v[18:19]
	;;#ASMEND
	;; [unrolled: 3-line block ×4, first 2 shown]
.LBB206_5:
	s_or_b64 exec, exec, s[14:15]
	s_load_dwordx2 s[14:15], s[4:5], 0x7c
	s_mov_b64 s[20:21], -1
	s_and_b64 vcc, exec, s[10:11]
	s_cbranch_vccnz .LBB206_9
; %bb.6:
	s_andn2_b64 vcc, exec, s[20:21]
	s_cbranch_vccz .LBB206_12
.LBB206_7:
	s_cmp_lt_i32 s16, 1
	s_cbranch_scc0 .LBB206_15
.LBB206_8:
	s_endpgm
.LBB206_9:
	s_and_saveexec_b64 s[10:11], s[0:1]
	s_cbranch_execz .LBB206_11
; %bb.10:
	s_waitcnt lgkmcnt(0)
	s_mul_hi_i32 s21, s15, s6
	s_mul_i32 s20, s15, s6
	s_lshl_b64 s[20:21], s[20:21], 1
	s_add_u32 s20, s2, s20
	s_addc_u32 s7, s3, s21
	s_and_b32 s21, s7, 0xffff
	s_mov_b32 s7, 0x7060302
	s_mov_b32 s23, 0x20000
	s_waitcnt vmcnt(0)
	v_perm_b32 v2, v13, v12, s7
	v_perm_b32 v3, v11, v10, s7
	;; [unrolled: 1-line block ×4, first 2 shown]
	v_lshlrev_b32_e32 v15, 4, v0
	buffer_store_dwordx4 v[2:5], v15, s[20:23], 0 offen
	;;#ASMSTART
	s_nop 0
	;;#ASMEND
.LBB206_11:
	s_or_b64 exec, exec, s[10:11]
	s_cbranch_execnz .LBB206_7
.LBB206_12:
	s_and_saveexec_b64 s[10:11], s[0:1]
	s_cbranch_execz .LBB206_14
; %bb.13:
	s_load_dwordx2 s[0:1], s[4:5], 0x10
	s_waitcnt lgkmcnt(0)
	s_mul_hi_i32 s21, s14, s6
	s_mul_i32 s20, s14, s6
	s_lshl_b64 s[20:21], s[20:21], 1
	s_mov_b32 s23, 0x20000
	s_add_u32 s20, s0, s20
	s_addc_u32 s0, s1, s21
	s_and_b32 s21, s0, 0xffff
	s_mov_b32 s0, 0x7060302
	s_waitcnt vmcnt(0)
	v_perm_b32 v2, v13, v12, s0
	v_perm_b32 v3, v11, v10, s0
	;; [unrolled: 1-line block ×4, first 2 shown]
	v_lshlrev_b32_e32 v6, 4, v0
	buffer_store_dwordx4 v[2:5], v6, s[20:23], 0 offen
	;;#ASMSTART
	s_nop 0
	;;#ASMEND
.LBB206_14:
	s_or_b64 exec, exec, s[10:11]
	s_cmp_lt_i32 s16, 1
	s_cbranch_scc1 .LBB206_8
.LBB206_15:
	s_load_dword s0, s[4:5], 0x94
	s_waitcnt lgkmcnt(0)
	s_cmp_lg_u32 s0, 1
	s_cbranch_scc1 .LBB206_8
; %bb.16:
	s_lshl_b32 s0, s16, 1
	s_add_i32 s0, s0, 2
	v_cmp_gt_u32_e32 vcc, s16, v1
	s_and_b32 s10, s0, -4
	s_waitcnt vmcnt(0)
	v_mov_b32_e32 v4, 0
	v_lshlrev_b32_e32 v12, 4, v0
	v_mov_b32_e32 v5, 0
	v_mov_b32_e32 v6, 0
	;; [unrolled: 1-line block ×7, first 2 shown]
	s_barrier
	s_and_saveexec_b64 s[0:1], vcc
	s_cbranch_execz .LBB206_18
; %bb.17:
	s_mul_hi_i32 s5, s18, s6
	s_mul_i32 s4, s18, s6
	s_and_b32 s9, s9, 0xffff
	s_lshl_b64 s[4:5], s[4:5], 1
	s_add_u32 s20, s24, s4
	s_mov_b32 s11, 0x20000
	s_addc_u32 s4, s25, s5
	s_and_b32 s21, s4, 0xffff
	s_mov_b32 s22, s10
	s_mov_b32 s23, s11
	buffer_load_dwordx4 v[4:7], v12, s[20:23], 0 offen glc slc
	buffer_load_dwordx4 v[0:3], v12, s[8:11], 0 offen
.LBB206_18:
	s_or_b64 exec, exec, s[0:1]
	s_waitcnt vmcnt(1)
	v_cvt_f32_u32_sdwa v11, v4 dst_sel:DWORD dst_unused:UNUSED_PAD src0_sel:WORD_1
	v_cvt_f32_u32_sdwa v10, v4 dst_sel:DWORD dst_unused:UNUSED_PAD src0_sel:WORD_0
	v_cvt_f32_u32_sdwa v4, v7 dst_sel:DWORD dst_unused:UNUSED_PAD src0_sel:WORD_1
	v_cvt_f32_u32_sdwa v7, v7 dst_sel:DWORD dst_unused:UNUSED_PAD src0_sel:WORD_0
	;; [unrolled: 2-line block ×4, first 2 shown]
	v_cndmask_b32_e32 v11, 0, v11, vcc
	v_cndmask_b32_e32 v5, 0, v4, vcc
	;; [unrolled: 1-line block ×5, first 2 shown]
	v_mul_f32_e32 v13, v11, v11
	v_cndmask_b32_e32 v8, 0, v8, vcc
	v_fmac_f32_e32 v13, v10, v10
	v_cndmask_b32_e32 v9, 0, v9, vcc
	v_fmac_f32_e32 v13, v8, v8
	;; [unrolled: 2-line block ×3, first 2 shown]
	v_fmac_f32_e32 v13, v6, v6
	v_fmac_f32_e32 v13, v7, v7
	v_fmac_f32_e32 v13, v4, v4
	v_fmac_f32_e32 v13, v5, v5
	s_nop 1
	v_mov_b32_dpp v15, v13 quad_perm:[1,0,3,2] row_mask:0xf bank_mask:0xf
	v_add_f32_e32 v13, v13, v15
	s_nop 1
	v_mov_b32_dpp v15, v13 quad_perm:[2,3,0,1] row_mask:0xf bank_mask:0xf
	v_add_f32_e32 v13, v13, v15
	s_nop 1
	v_mov_b32_dpp v15, v13 row_half_mirror row_mask:0xf bank_mask:0xf
	v_add_f32_e32 v13, v13, v15
	s_nop 1
	v_mov_b32_dpp v15, v13 row_mirror row_mask:0xf bank_mask:0xf
	v_add_f32_e32 v13, v13, v15
	s_nop 1
	v_mov_b32_dpp v15, v13 row_bcast:15 row_mask:0xf bank_mask:0xf
	v_add_f32_e32 v13, v13, v15
	s_nop 1
	v_mov_b32_dpp v15, v13 row_bcast:31 row_mask:0xf bank_mask:0xf
	v_add_f32_e32 v13, v13, v15
	ds_bpermute_b32 v13, v14, v13
	s_and_saveexec_b64 s[0:1], vcc
	s_cbranch_execz .LBB206_8
; %bb.19:
	v_cvt_f32_u32_e32 v14, s16
	s_mov_b32 s11, 0x20000
	s_waitcnt lgkmcnt(0)
	v_div_scale_f32 v15, s[0:1], v14, v14, v13
	v_rcp_f32_e32 v16, v15
	v_div_scale_f32 v17, vcc, v13, v14, v13
	s_mov_b32 s0, 0x800000
	v_fma_f32 v18, -v15, v16, 1.0
	v_fmac_f32_e32 v16, v18, v16
	v_mul_f32_e32 v18, v17, v16
	v_fma_f32 v19, -v15, v18, v17
	v_fmac_f32_e32 v18, v19, v16
	v_fma_f32 v15, -v15, v18, v17
	v_div_fmas_f32 v15, v15, v16, v18
	v_div_fixup_f32 v13, v15, v14, v13
	v_add_f32_e32 v13, s13, v13
	v_mul_f32_e32 v14, 0x4b800000, v13
	v_cmp_gt_f32_e32 vcc, s0, v13
	v_cndmask_b32_e32 v13, v13, v14, vcc
	v_rsq_f32_e32 v13, v13
	s_mul_hi_i32 s1, s15, s6
	s_mul_i32 s0, s15, s6
	s_lshl_b64 s[0:1], s[0:1], 1
	v_mul_f32_e32 v14, 0x45800000, v13
	v_cndmask_b32_e32 v14, v13, v14, vcc
	s_add_u32 s8, s2, s0
	v_mov_b32_e32 v15, v14
	s_addc_u32 s0, s3, s1
	;;#ASMSTART
	v_pk_mul_f32 v[10:11], v[10:11], v[14:15]
	;;#ASMEND
	;;#ASMSTART
	v_pk_mul_f32 v[8:9], v[8:9], v[14:15]
	;;#ASMEND
	;; [unrolled: 3-line block ×4, first 2 shown]
	s_waitcnt vmcnt(0)
	v_cvt_f32_u32_sdwa v15, v0 dst_sel:DWORD dst_unused:UNUSED_PAD src0_sel:WORD_1
	v_cvt_f32_u32_sdwa v14, v0 dst_sel:DWORD dst_unused:UNUSED_PAD src0_sel:WORD_0
	v_cvt_f32_u32_sdwa v17, v1 dst_sel:DWORD dst_unused:UNUSED_PAD src0_sel:WORD_1
	v_cvt_f32_u32_sdwa v16, v1 dst_sel:DWORD dst_unused:UNUSED_PAD src0_sel:WORD_0
	;; [unrolled: 2-line block ×4, first 2 shown]
	;;#ASMSTART
	v_pk_mul_f32 v[2:3], v[10:11], v[14:15]
	;;#ASMEND
	s_and_b32 s9, s0, 0xffff
	s_mov_b32 s0, 0x7060302
	;;#ASMSTART
	v_pk_mul_f32 v[8:9], v[8:9], v[16:17]
	;;#ASMEND
	;;#ASMSTART
	v_pk_mul_f32 v[6:7], v[6:7], v[0:1]
	;;#ASMEND
	;; [unrolled: 3-line block ×3, first 2 shown]
	v_perm_b32 v0, v3, v2, s0
	v_perm_b32 v1, v9, v8, s0
	;; [unrolled: 1-line block ×4, first 2 shown]
	buffer_store_dwordx4 v[0:3], v12, s[8:11], 0 offen
	;;#ASMSTART
	s_nop 0
	;;#ASMEND
	s_endpgm
	.section	.rodata,"a",@progbits
	.p2align	6, 0x0
	.amdhsa_kernel _ZN5aiter35fused_qk_rmsnorm_group_quant_kernelItDB8_Li64ELi8ELi4ELb0ELb1ELb0ELb1ELb0ELb0EEEvPT0_PvPT_S6_S6_PKS5_S8_S8_S8_S8_ffiiiiiiiiiiiii
		.amdhsa_group_segment_fixed_size 0
		.amdhsa_private_segment_fixed_size 0
		.amdhsa_kernarg_size 400
		.amdhsa_user_sgpr_count 6
		.amdhsa_user_sgpr_private_segment_buffer 1
		.amdhsa_user_sgpr_dispatch_ptr 0
		.amdhsa_user_sgpr_queue_ptr 0
		.amdhsa_user_sgpr_kernarg_segment_ptr 1
		.amdhsa_user_sgpr_dispatch_id 0
		.amdhsa_user_sgpr_flat_scratch_init 0
		.amdhsa_user_sgpr_kernarg_preload_length 0
		.amdhsa_user_sgpr_kernarg_preload_offset 0
		.amdhsa_user_sgpr_private_segment_size 0
		.amdhsa_uses_dynamic_stack 0
		.amdhsa_system_sgpr_private_segment_wavefront_offset 0
		.amdhsa_system_sgpr_workgroup_id_x 1
		.amdhsa_system_sgpr_workgroup_id_y 1
		.amdhsa_system_sgpr_workgroup_id_z 0
		.amdhsa_system_sgpr_workgroup_info 0
		.amdhsa_system_vgpr_workitem_id 0
		.amdhsa_next_free_vgpr 23
		.amdhsa_next_free_sgpr 32
		.amdhsa_accum_offset 24
		.amdhsa_reserve_vcc 1
		.amdhsa_reserve_flat_scratch 0
		.amdhsa_float_round_mode_32 0
		.amdhsa_float_round_mode_16_64 0
		.amdhsa_float_denorm_mode_32 3
		.amdhsa_float_denorm_mode_16_64 3
		.amdhsa_dx10_clamp 1
		.amdhsa_ieee_mode 1
		.amdhsa_fp16_overflow 0
		.amdhsa_tg_split 0
		.amdhsa_exception_fp_ieee_invalid_op 0
		.amdhsa_exception_fp_denorm_src 0
		.amdhsa_exception_fp_ieee_div_zero 0
		.amdhsa_exception_fp_ieee_overflow 0
		.amdhsa_exception_fp_ieee_underflow 0
		.amdhsa_exception_fp_ieee_inexact 0
		.amdhsa_exception_int_div_zero 0
	.end_amdhsa_kernel
	.section	.text._ZN5aiter35fused_qk_rmsnorm_group_quant_kernelItDB8_Li64ELi8ELi4ELb0ELb1ELb0ELb1ELb0ELb0EEEvPT0_PvPT_S6_S6_PKS5_S8_S8_S8_S8_ffiiiiiiiiiiiii,"axG",@progbits,_ZN5aiter35fused_qk_rmsnorm_group_quant_kernelItDB8_Li64ELi8ELi4ELb0ELb1ELb0ELb1ELb0ELb0EEEvPT0_PvPT_S6_S6_PKS5_S8_S8_S8_S8_ffiiiiiiiiiiiii,comdat
.Lfunc_end206:
	.size	_ZN5aiter35fused_qk_rmsnorm_group_quant_kernelItDB8_Li64ELi8ELi4ELb0ELb1ELb0ELb1ELb0ELb0EEEvPT0_PvPT_S6_S6_PKS5_S8_S8_S8_S8_ffiiiiiiiiiiiii, .Lfunc_end206-_ZN5aiter35fused_qk_rmsnorm_group_quant_kernelItDB8_Li64ELi8ELi4ELb0ELb1ELb0ELb1ELb0ELb0EEEvPT0_PvPT_S6_S6_PKS5_S8_S8_S8_S8_ffiiiiiiiiiiiii
                                        ; -- End function
	.section	.AMDGPU.csdata,"",@progbits
; Kernel info:
; codeLenInByte = 1904
; NumSgprs: 36
; NumVgprs: 23
; NumAgprs: 0
; TotalNumVgprs: 23
; ScratchSize: 0
; MemoryBound: 0
; FloatMode: 240
; IeeeMode: 1
; LDSByteSize: 0 bytes/workgroup (compile time only)
; SGPRBlocks: 4
; VGPRBlocks: 2
; NumSGPRsForWavesPerEU: 36
; NumVGPRsForWavesPerEU: 23
; AccumOffset: 24
; Occupancy: 8
; WaveLimiterHint : 0
; COMPUTE_PGM_RSRC2:SCRATCH_EN: 0
; COMPUTE_PGM_RSRC2:USER_SGPR: 6
; COMPUTE_PGM_RSRC2:TRAP_HANDLER: 0
; COMPUTE_PGM_RSRC2:TGID_X_EN: 1
; COMPUTE_PGM_RSRC2:TGID_Y_EN: 1
; COMPUTE_PGM_RSRC2:TGID_Z_EN: 0
; COMPUTE_PGM_RSRC2:TIDIG_COMP_CNT: 0
; COMPUTE_PGM_RSRC3_GFX90A:ACCUM_OFFSET: 5
; COMPUTE_PGM_RSRC3_GFX90A:TG_SPLIT: 0
	.section	.text._ZN5aiter35fused_qk_rmsnorm_group_quant_kernelIDF16_N4opus5fp4_tELi64ELi8ELi4ELb0ELb1ELb0ELb1ELb0ELb0EEEvPT0_PvPT_S7_S7_PKS6_S9_S9_S9_S9_ffiiiiiiiiiiiii,"axG",@progbits,_ZN5aiter35fused_qk_rmsnorm_group_quant_kernelIDF16_N4opus5fp4_tELi64ELi8ELi4ELb0ELb1ELb0ELb1ELb0ELb0EEEvPT0_PvPT_S7_S7_PKS6_S9_S9_S9_S9_ffiiiiiiiiiiiii,comdat
	.protected	_ZN5aiter35fused_qk_rmsnorm_group_quant_kernelIDF16_N4opus5fp4_tELi64ELi8ELi4ELb0ELb1ELb0ELb1ELb0ELb0EEEvPT0_PvPT_S7_S7_PKS6_S9_S9_S9_S9_ffiiiiiiiiiiiii ; -- Begin function _ZN5aiter35fused_qk_rmsnorm_group_quant_kernelIDF16_N4opus5fp4_tELi64ELi8ELi4ELb0ELb1ELb0ELb1ELb0ELb0EEEvPT0_PvPT_S7_S7_PKS6_S9_S9_S9_S9_ffiiiiiiiiiiiii
	.globl	_ZN5aiter35fused_qk_rmsnorm_group_quant_kernelIDF16_N4opus5fp4_tELi64ELi8ELi4ELb0ELb1ELb0ELb1ELb0ELb0EEEvPT0_PvPT_S7_S7_PKS6_S9_S9_S9_S9_ffiiiiiiiiiiiii
	.p2align	8
	.type	_ZN5aiter35fused_qk_rmsnorm_group_quant_kernelIDF16_N4opus5fp4_tELi64ELi8ELi4ELb0ELb1ELb0ELb1ELb0ELb0EEEvPT0_PvPT_S7_S7_PKS6_S9_S9_S9_S9_ffiiiiiiiiiiiii,@function
_ZN5aiter35fused_qk_rmsnorm_group_quant_kernelIDF16_N4opus5fp4_tELi64ELi8ELi4ELb0ELb1ELb0ELb1ELb0ELb0EEEvPT0_PvPT_S7_S7_PKS6_S9_S9_S9_S9_ffiiiiiiiiiiiii: ; @_ZN5aiter35fused_qk_rmsnorm_group_quant_kernelIDF16_N4opus5fp4_tELi64ELi8ELi4ELb0ELb1ELb0ELb1ELb0ELb0EEEvPT0_PvPT_S7_S7_PKS6_S9_S9_S9_S9_ffiiiiiiiiiiiii
; %bb.0:
	s_load_dwordx4 s[12:15], s[4:5], 0x50
	s_waitcnt lgkmcnt(0)
	s_cmp_ge_i32 s6, s14
	s_cbranch_scc1 .LBB207_10
; %bb.1:
	s_load_dwordx2 s[24:25], s[4:5], 0x30
	s_load_dwordx2 s[8:9], s[4:5], 0x48
	s_load_dwordx4 s[16:19], s[4:5], 0x60
	s_cmp_lg_u32 s7, 0
	s_cselect_b64 s[10:11], -1, 0
	s_cmp_eq_u32 s7, 0
	s_cselect_b64 vcc, -1, 0
	s_and_b64 s[0:1], vcc, exec
	s_waitcnt lgkmcnt(0)
	s_cselect_b32 s7, s15, s16
	s_add_i32 s0, s7, 1
	s_lshr_b32 s1, s0, 31
	s_add_i32 s0, s0, s1
	s_lshl_b32 s0, s0, 1
	v_lshlrev_b32_e32 v1, 3, v0
	s_and_b32 s22, s0, -4
	v_cmp_gt_i32_e64 s[0:1], s7, v1
	v_mov_b32_e32 v10, 0
	v_mov_b32_e32 v2, 0
	v_mov_b32_e32 v3, 0
	v_mov_b32_e32 v4, 0
	v_mov_b32_e32 v5, 0
	v_mov_b32_e32 v6, 0
	v_mov_b32_e32 v7, 0
	v_mov_b32_e32 v8, 0
	v_mov_b32_e32 v9, 0
	s_and_saveexec_b64 s[2:3], s[0:1]
	s_cbranch_execz .LBB207_3
; %bb.2:
	s_load_dwordx2 s[14:15], s[4:5], 0x28
	s_load_dwordx2 s[20:21], s[4:5], 0x40
	s_and_b64 s[26:27], vcc, exec
	s_cselect_b32 s17, s17, s18
	v_lshlrev_b32_e32 v11, 4, v0
	s_waitcnt lgkmcnt(0)
	s_cselect_b32 s19, s15, s25
	s_cselect_b32 s23, s14, s24
	s_mul_hi_i32 s15, s17, s6
	s_mul_i32 s14, s17, s6
	s_lshl_b64 s[14:15], s[14:15], 1
	s_add_u32 s28, s23, s14
	s_addc_u32 s17, s19, s15
	s_and_b64 s[14:15], vcc, exec
	s_mov_b32 s23, 0x20000
	s_cselect_b32 s20, s20, s8
	s_cselect_b32 s14, s21, s9
	s_and_b32 s29, s17, 0xffff
	s_mov_b32 s30, s22
	s_mov_b32 s31, s23
	s_and_b32 s21, s14, 0xffff
	buffer_load_dwordx4 v[6:9], v11, s[28:31], 0 offen glc slc
	buffer_load_dwordx4 v[2:5], v11, s[20:23], 0 offen
.LBB207_3:
	s_or_b64 exec, exec, s[2:3]
	v_mov_b32_e32 v11, 0
	v_mov_b32_e32 v12, 0
	;; [unrolled: 1-line block ×7, first 2 shown]
	s_and_saveexec_b64 s[2:3], s[0:1]
	s_cbranch_execz .LBB207_5
; %bb.4:
	s_waitcnt vmcnt(1)
	v_cvt_f32_f16_sdwa v11, v6 dst_sel:DWORD dst_unused:UNUSED_PAD src0_sel:WORD_1
	v_cvt_f32_f16_e32 v10, v6
	v_cvt_f32_f16_sdwa v13, v7 dst_sel:DWORD dst_unused:UNUSED_PAD src0_sel:WORD_1
	v_cvt_f32_f16_e32 v12, v7
	;; [unrolled: 2-line block ×4, first 2 shown]
.LBB207_5:
	s_or_b64 exec, exec, s[2:3]
	s_waitcnt vmcnt(1)
	v_mul_f32_e32 v6, v11, v11
	v_fmac_f32_e32 v6, v10, v10
	v_fmac_f32_e32 v6, v12, v12
	;; [unrolled: 1-line block ×7, first 2 shown]
	v_bfrev_b32_e32 v8, 0.5
	s_load_dwordx2 s[2:3], s[4:5], 0x18
	v_mov_b32_dpp v7, v6 quad_perm:[1,0,3,2] row_mask:0xf bank_mask:0xf
	v_add_f32_e32 v6, v6, v7
	s_nop 1
	v_mov_b32_dpp v7, v6 quad_perm:[2,3,0,1] row_mask:0xf bank_mask:0xf
	v_add_f32_e32 v6, v6, v7
	s_nop 1
	v_mov_b32_dpp v7, v6 row_half_mirror row_mask:0xf bank_mask:0xf
	v_add_f32_e32 v6, v6, v7
	s_nop 1
	v_mov_b32_dpp v7, v6 row_mirror row_mask:0xf bank_mask:0xf
	v_add_f32_e32 v6, v6, v7
	s_nop 1
	v_mov_b32_dpp v7, v6 row_bcast:15 row_mask:0xf bank_mask:0xf
	v_add_f32_e32 v6, v6, v7
	s_nop 1
	v_mov_b32_dpp v7, v6 row_bcast:31 row_mask:0xf bank_mask:0xf
	v_add_f32_e32 v6, v6, v7
	v_mbcnt_lo_u32_b32 v7, -1, 0
	v_mbcnt_hi_u32_b32 v7, -1, v7
	v_lshl_or_b32 v18, v7, 2, v8
	ds_bpermute_b32 v6, v18, v6
	s_and_saveexec_b64 s[14:15], s[0:1]
	s_cbranch_execz .LBB207_7
; %bb.6:
	v_cvt_f32_u32_e32 v7, s7
	v_mov_b32_e32 v8, s13
	v_mov_b32_e32 v9, s12
	v_cndmask_b32_e32 v8, v8, v9, vcc
	s_waitcnt lgkmcnt(0)
	v_div_scale_f32 v19, s[20:21], v7, v7, v6
	v_rcp_f32_e32 v20, v19
	v_div_scale_f32 v9, vcc, v6, v7, v6
	s_mov_b32 s7, 0x800000
	v_fma_f32 v21, -v19, v20, 1.0
	v_fmac_f32_e32 v20, v21, v20
	v_mul_f32_e32 v21, v9, v20
	v_fma_f32 v22, -v19, v21, v9
	v_fmac_f32_e32 v21, v22, v20
	v_fma_f32 v9, -v19, v21, v9
	v_div_fmas_f32 v9, v9, v20, v21
	v_div_fixup_f32 v6, v9, v7, v6
	v_add_f32_e32 v6, v8, v6
	v_mul_f32_e32 v7, 0x4b800000, v6
	v_cmp_gt_f32_e32 vcc, s7, v6
	v_cndmask_b32_e32 v6, v6, v7, vcc
	v_rsq_f32_e32 v6, v6
	s_waitcnt vmcnt(0)
	v_cvt_f32_f16_sdwa v21, v5 dst_sel:DWORD dst_unused:UNUSED_PAD src0_sel:WORD_1
	v_cvt_f32_f16_e32 v20, v5
	v_mul_f32_e32 v7, 0x45800000, v6
	v_cndmask_b32_e32 v6, v6, v7, vcc
	v_mov_b32_e32 v7, v6
	;;#ASMSTART
	v_pk_mul_f32 v[8:9], v[10:11], v[6:7]
	;;#ASMEND
	;;#ASMSTART
	v_pk_mul_f32 v[12:13], v[12:13], v[6:7]
	;;#ASMEND
	;; [unrolled: 3-line block ×4, first 2 shown]
	v_cvt_f32_f16_sdwa v11, v2 dst_sel:DWORD dst_unused:UNUSED_PAD src0_sel:WORD_1
	v_cvt_f32_f16_e32 v10, v2
	v_cvt_f32_f16_sdwa v17, v3 dst_sel:DWORD dst_unused:UNUSED_PAD src0_sel:WORD_1
	v_cvt_f32_f16_e32 v16, v3
	;; [unrolled: 2-line block ×3, first 2 shown]
	;;#ASMSTART
	v_pk_mul_f32 v[10:11], v[8:9], v[10:11]
	;;#ASMEND
	;;#ASMSTART
	v_pk_mul_f32 v[12:13], v[12:13], v[16:17]
	;;#ASMEND
	;; [unrolled: 3-line block ×4, first 2 shown]
.LBB207_7:
	s_or_b64 exec, exec, s[14:15]
	s_load_dwordx2 s[14:15], s[4:5], 0x7c
	s_mov_b64 s[20:21], -1
	s_and_b64 vcc, exec, s[10:11]
	s_cbranch_vccnz .LBB207_11
; %bb.8:
	s_andn2_b64 vcc, exec, s[20:21]
	s_cbranch_vccz .LBB207_14
.LBB207_9:
	s_cmp_lt_i32 s16, 1
	s_cbranch_scc0 .LBB207_17
.LBB207_10:
	s_endpgm
.LBB207_11:
	s_and_saveexec_b64 s[10:11], s[0:1]
	s_cbranch_execz .LBB207_13
; %bb.12:
	s_waitcnt lgkmcnt(0)
	s_mul_hi_i32 s21, s15, s6
	s_mul_i32 s20, s15, s6
	s_waitcnt vmcnt(0)
	v_cvt_f16_f32_e32 v2, v10
	v_cvt_f16_f32_e32 v3, v12
	;; [unrolled: 1-line block ×8, first 2 shown]
	s_lshl_b64 s[20:21], s[20:21], 1
	s_add_u32 s20, s2, s20
	s_addc_u32 s7, s3, s21
	s_and_b32 s21, s7, 0xffff
	s_mov_b32 s23, 0x20000
	v_pack_b32_f16 v5, v5, v6
	v_pack_b32_f16 v4, v4, v7
	;; [unrolled: 1-line block ×4, first 2 shown]
	v_lshlrev_b32_e32 v6, 4, v0
	buffer_store_dwordx4 v[2:5], v6, s[20:23], 0 offen
	;;#ASMSTART
	s_nop 0
	;;#ASMEND
.LBB207_13:
	s_or_b64 exec, exec, s[10:11]
	s_cbranch_execnz .LBB207_9
.LBB207_14:
	s_and_saveexec_b64 s[10:11], s[0:1]
	s_cbranch_execz .LBB207_16
; %bb.15:
	s_load_dwordx2 s[0:1], s[4:5], 0x10
	s_waitcnt lgkmcnt(0)
	s_mul_hi_i32 s21, s14, s6
	s_mul_i32 s20, s14, s6
	s_waitcnt vmcnt(0)
	v_cvt_f16_f32_e32 v2, v10
	v_cvt_f16_f32_e32 v3, v12
	v_cvt_f16_f32_e32 v4, v14
	v_cvt_f16_f32_e32 v5, v16
	v_cvt_f16_f32_e32 v6, v17
	v_cvt_f16_f32_e32 v7, v15
	v_cvt_f16_f32_e32 v8, v13
	v_cvt_f16_f32_e32 v9, v11
	s_lshl_b64 s[20:21], s[20:21], 1
	s_add_u32 s20, s0, s20
	s_addc_u32 s0, s1, s21
	s_mov_b32 s23, 0x20000
	s_and_b32 s21, s0, 0xffff
	v_pack_b32_f16 v5, v5, v6
	v_pack_b32_f16 v4, v4, v7
	;; [unrolled: 1-line block ×4, first 2 shown]
	v_lshlrev_b32_e32 v6, 4, v0
	buffer_store_dwordx4 v[2:5], v6, s[20:23], 0 offen
	;;#ASMSTART
	s_nop 0
	;;#ASMEND
.LBB207_16:
	s_or_b64 exec, exec, s[10:11]
	s_cmp_lt_i32 s16, 1
	s_cbranch_scc1 .LBB207_10
.LBB207_17:
	s_load_dword s0, s[4:5], 0x94
	s_waitcnt lgkmcnt(0)
	s_cmp_lg_u32 s0, 1
	s_cbranch_scc1 .LBB207_10
; %bb.18:
	s_lshl_b32 s0, s16, 1
	s_add_i32 s0, s0, 2
	v_cmp_gt_u32_e32 vcc, s16, v1
	s_and_b32 s10, s0, -4
	v_mov_b32_e32 v8, 0
	v_lshlrev_b32_e32 v16, 4, v0
	s_waitcnt vmcnt(0)
	v_mov_b32_e32 v4, 0
	v_mov_b32_e32 v5, 0
	;; [unrolled: 1-line block ×8, first 2 shown]
	s_barrier
	s_and_saveexec_b64 s[0:1], vcc
	s_cbranch_execz .LBB207_20
; %bb.19:
	s_mul_hi_i32 s5, s18, s6
	s_mul_i32 s4, s18, s6
	s_and_b32 s9, s9, 0xffff
	s_lshl_b64 s[4:5], s[4:5], 1
	s_add_u32 s20, s24, s4
	s_mov_b32 s11, 0x20000
	s_addc_u32 s4, s25, s5
	s_and_b32 s21, s4, 0xffff
	s_mov_b32 s22, s10
	s_mov_b32 s23, s11
	buffer_load_dwordx4 v[4:7], v16, s[20:23], 0 offen glc slc
	buffer_load_dwordx4 v[0:3], v16, s[8:11], 0 offen
.LBB207_20:
	s_or_b64 exec, exec, s[0:1]
	v_mov_b32_e32 v9, 0
	v_mov_b32_e32 v14, 0
	;; [unrolled: 1-line block ×7, first 2 shown]
	s_and_saveexec_b64 s[0:1], vcc
	s_cbranch_execz .LBB207_22
; %bb.21:
	s_waitcnt vmcnt(1)
	v_cvt_f32_f16_sdwa v9, v4 dst_sel:DWORD dst_unused:UNUSED_PAD src0_sel:WORD_1
	v_cvt_f32_f16_e32 v8, v4
	v_cvt_f32_f16_sdwa v15, v5 dst_sel:DWORD dst_unused:UNUSED_PAD src0_sel:WORD_1
	v_cvt_f32_f16_e32 v14, v5
	;; [unrolled: 2-line block ×4, first 2 shown]
.LBB207_22:
	s_or_b64 exec, exec, s[0:1]
	s_waitcnt vmcnt(1)
	v_mul_f32_e32 v4, v9, v9
	v_fmac_f32_e32 v4, v8, v8
	v_fmac_f32_e32 v4, v14, v14
	;; [unrolled: 1-line block ×7, first 2 shown]
	s_nop 1
	v_mov_b32_dpp v5, v4 quad_perm:[1,0,3,2] row_mask:0xf bank_mask:0xf
	v_add_f32_e32 v4, v4, v5
	s_nop 1
	v_mov_b32_dpp v5, v4 quad_perm:[2,3,0,1] row_mask:0xf bank_mask:0xf
	v_add_f32_e32 v4, v4, v5
	s_nop 1
	v_mov_b32_dpp v5, v4 row_half_mirror row_mask:0xf bank_mask:0xf
	v_add_f32_e32 v4, v4, v5
	s_nop 1
	v_mov_b32_dpp v5, v4 row_mirror row_mask:0xf bank_mask:0xf
	v_add_f32_e32 v4, v4, v5
	s_nop 1
	v_mov_b32_dpp v5, v4 row_bcast:15 row_mask:0xf bank_mask:0xf
	v_add_f32_e32 v4, v4, v5
	s_nop 1
	v_mov_b32_dpp v5, v4 row_bcast:31 row_mask:0xf bank_mask:0xf
	v_add_f32_e32 v4, v4, v5
	ds_bpermute_b32 v4, v18, v4
	s_and_saveexec_b64 s[0:1], vcc
	s_cbranch_execz .LBB207_10
; %bb.23:
	v_cvt_f32_u32_e32 v5, s16
	s_mov_b32 s11, 0x20000
	s_waitcnt lgkmcnt(0)
	v_div_scale_f32 v6, s[0:1], v5, v5, v4
	v_rcp_f32_e32 v7, v6
	v_div_scale_f32 v17, vcc, v4, v5, v4
	s_mov_b32 s0, 0x800000
	v_fma_f32 v18, -v6, v7, 1.0
	v_fmac_f32_e32 v7, v18, v7
	v_mul_f32_e32 v18, v17, v7
	v_fma_f32 v19, -v6, v18, v17
	v_fmac_f32_e32 v18, v19, v7
	v_fma_f32 v6, -v6, v18, v17
	v_div_fmas_f32 v6, v6, v7, v18
	v_div_fixup_f32 v4, v6, v5, v4
	v_add_f32_e32 v4, s13, v4
	v_mul_f32_e32 v5, 0x4b800000, v4
	v_cmp_gt_f32_e32 vcc, s0, v4
	v_cndmask_b32_e32 v4, v4, v5, vcc
	v_rsq_f32_e32 v4, v4
	s_waitcnt vmcnt(0)
	v_cvt_f32_f16_sdwa v19, v3 dst_sel:DWORD dst_unused:UNUSED_PAD src0_sel:WORD_1
	v_cvt_f32_f16_e32 v18, v3
	s_mul_hi_i32 s1, s15, s6
	v_mul_f32_e32 v5, 0x45800000, v4
	v_cndmask_b32_e32 v4, v4, v5, vcc
	v_mov_b32_e32 v5, v4
	;;#ASMSTART
	v_pk_mul_f32 v[6:7], v[8:9], v[4:5]
	;;#ASMEND
	;;#ASMSTART
	v_pk_mul_f32 v[8:9], v[14:15], v[4:5]
	;;#ASMEND
	;; [unrolled: 3-line block ×4, first 2 shown]
	v_cvt_f32_f16_sdwa v11, v0 dst_sel:DWORD dst_unused:UNUSED_PAD src0_sel:WORD_1
	v_cvt_f32_f16_e32 v10, v0
	v_cvt_f32_f16_sdwa v15, v1 dst_sel:DWORD dst_unused:UNUSED_PAD src0_sel:WORD_1
	v_cvt_f32_f16_e32 v14, v1
	;; [unrolled: 2-line block ×3, first 2 shown]
	;;#ASMSTART
	v_pk_mul_f32 v[2:3], v[6:7], v[10:11]
	;;#ASMEND
	;;#ASMSTART
	v_pk_mul_f32 v[6:7], v[8:9], v[14:15]
	;;#ASMEND
	;; [unrolled: 3-line block ×4, first 2 shown]
	s_mul_i32 s0, s15, s6
	v_cvt_f16_f32_e32 v2, v2
	v_cvt_f16_f32_e32 v3, v3
	;; [unrolled: 1-line block ×8, first 2 shown]
	s_lshl_b64 s[0:1], s[0:1], 1
	s_add_u32 s8, s2, s0
	s_addc_u32 s0, s3, s1
	s_and_b32 s9, s0, 0xffff
	v_pack_b32_f16 v0, v2, v3
	v_pack_b32_f16 v1, v6, v7
	;; [unrolled: 1-line block ×4, first 2 shown]
	buffer_store_dwordx4 v[0:3], v16, s[8:11], 0 offen
	;;#ASMSTART
	s_nop 0
	;;#ASMEND
	s_endpgm
	.section	.rodata,"a",@progbits
	.p2align	6, 0x0
	.amdhsa_kernel _ZN5aiter35fused_qk_rmsnorm_group_quant_kernelIDF16_N4opus5fp4_tELi64ELi8ELi4ELb0ELb1ELb0ELb1ELb0ELb0EEEvPT0_PvPT_S7_S7_PKS6_S9_S9_S9_S9_ffiiiiiiiiiiiii
		.amdhsa_group_segment_fixed_size 0
		.amdhsa_private_segment_fixed_size 0
		.amdhsa_kernarg_size 400
		.amdhsa_user_sgpr_count 6
		.amdhsa_user_sgpr_private_segment_buffer 1
		.amdhsa_user_sgpr_dispatch_ptr 0
		.amdhsa_user_sgpr_queue_ptr 0
		.amdhsa_user_sgpr_kernarg_segment_ptr 1
		.amdhsa_user_sgpr_dispatch_id 0
		.amdhsa_user_sgpr_flat_scratch_init 0
		.amdhsa_user_sgpr_kernarg_preload_length 0
		.amdhsa_user_sgpr_kernarg_preload_offset 0
		.amdhsa_user_sgpr_private_segment_size 0
		.amdhsa_uses_dynamic_stack 0
		.amdhsa_system_sgpr_private_segment_wavefront_offset 0
		.amdhsa_system_sgpr_workgroup_id_x 1
		.amdhsa_system_sgpr_workgroup_id_y 1
		.amdhsa_system_sgpr_workgroup_id_z 0
		.amdhsa_system_sgpr_workgroup_info 0
		.amdhsa_system_vgpr_workitem_id 0
		.amdhsa_next_free_vgpr 23
		.amdhsa_next_free_sgpr 32
		.amdhsa_accum_offset 24
		.amdhsa_reserve_vcc 1
		.amdhsa_reserve_flat_scratch 0
		.amdhsa_float_round_mode_32 0
		.amdhsa_float_round_mode_16_64 0
		.amdhsa_float_denorm_mode_32 3
		.amdhsa_float_denorm_mode_16_64 3
		.amdhsa_dx10_clamp 1
		.amdhsa_ieee_mode 1
		.amdhsa_fp16_overflow 0
		.amdhsa_tg_split 0
		.amdhsa_exception_fp_ieee_invalid_op 0
		.amdhsa_exception_fp_denorm_src 0
		.amdhsa_exception_fp_ieee_div_zero 0
		.amdhsa_exception_fp_ieee_overflow 0
		.amdhsa_exception_fp_ieee_underflow 0
		.amdhsa_exception_fp_ieee_inexact 0
		.amdhsa_exception_int_div_zero 0
	.end_amdhsa_kernel
	.section	.text._ZN5aiter35fused_qk_rmsnorm_group_quant_kernelIDF16_N4opus5fp4_tELi64ELi8ELi4ELb0ELb1ELb0ELb1ELb0ELb0EEEvPT0_PvPT_S7_S7_PKS6_S9_S9_S9_S9_ffiiiiiiiiiiiii,"axG",@progbits,_ZN5aiter35fused_qk_rmsnorm_group_quant_kernelIDF16_N4opus5fp4_tELi64ELi8ELi4ELb0ELb1ELb0ELb1ELb0ELb0EEEvPT0_PvPT_S7_S7_PKS6_S9_S9_S9_S9_ffiiiiiiiiiiiii,comdat
.Lfunc_end207:
	.size	_ZN5aiter35fused_qk_rmsnorm_group_quant_kernelIDF16_N4opus5fp4_tELi64ELi8ELi4ELb0ELb1ELb0ELb1ELb0ELb0EEEvPT0_PvPT_S7_S7_PKS6_S9_S9_S9_S9_ffiiiiiiiiiiiii, .Lfunc_end207-_ZN5aiter35fused_qk_rmsnorm_group_quant_kernelIDF16_N4opus5fp4_tELi64ELi8ELi4ELb0ELb1ELb0ELb1ELb0ELb0EEEvPT0_PvPT_S7_S7_PKS6_S9_S9_S9_S9_ffiiiiiiiiiiiii
                                        ; -- End function
	.section	.AMDGPU.csdata,"",@progbits
; Kernel info:
; codeLenInByte = 1912
; NumSgprs: 36
; NumVgprs: 23
; NumAgprs: 0
; TotalNumVgprs: 23
; ScratchSize: 0
; MemoryBound: 0
; FloatMode: 240
; IeeeMode: 1
; LDSByteSize: 0 bytes/workgroup (compile time only)
; SGPRBlocks: 4
; VGPRBlocks: 2
; NumSGPRsForWavesPerEU: 36
; NumVGPRsForWavesPerEU: 23
; AccumOffset: 24
; Occupancy: 8
; WaveLimiterHint : 0
; COMPUTE_PGM_RSRC2:SCRATCH_EN: 0
; COMPUTE_PGM_RSRC2:USER_SGPR: 6
; COMPUTE_PGM_RSRC2:TRAP_HANDLER: 0
; COMPUTE_PGM_RSRC2:TGID_X_EN: 1
; COMPUTE_PGM_RSRC2:TGID_Y_EN: 1
; COMPUTE_PGM_RSRC2:TGID_Z_EN: 0
; COMPUTE_PGM_RSRC2:TIDIG_COMP_CNT: 0
; COMPUTE_PGM_RSRC3_GFX90A:ACCUM_OFFSET: 5
; COMPUTE_PGM_RSRC3_GFX90A:TG_SPLIT: 0
	.section	.text._ZN5aiter35fused_qk_rmsnorm_group_quant_kernelItN4opus5fp4_tELi64ELi8ELi4ELb0ELb1ELb0ELb1ELb0ELb0EEEvPT0_PvPT_S7_S7_PKS6_S9_S9_S9_S9_ffiiiiiiiiiiiii,"axG",@progbits,_ZN5aiter35fused_qk_rmsnorm_group_quant_kernelItN4opus5fp4_tELi64ELi8ELi4ELb0ELb1ELb0ELb1ELb0ELb0EEEvPT0_PvPT_S7_S7_PKS6_S9_S9_S9_S9_ffiiiiiiiiiiiii,comdat
	.protected	_ZN5aiter35fused_qk_rmsnorm_group_quant_kernelItN4opus5fp4_tELi64ELi8ELi4ELb0ELb1ELb0ELb1ELb0ELb0EEEvPT0_PvPT_S7_S7_PKS6_S9_S9_S9_S9_ffiiiiiiiiiiiii ; -- Begin function _ZN5aiter35fused_qk_rmsnorm_group_quant_kernelItN4opus5fp4_tELi64ELi8ELi4ELb0ELb1ELb0ELb1ELb0ELb0EEEvPT0_PvPT_S7_S7_PKS6_S9_S9_S9_S9_ffiiiiiiiiiiiii
	.globl	_ZN5aiter35fused_qk_rmsnorm_group_quant_kernelItN4opus5fp4_tELi64ELi8ELi4ELb0ELb1ELb0ELb1ELb0ELb0EEEvPT0_PvPT_S7_S7_PKS6_S9_S9_S9_S9_ffiiiiiiiiiiiii
	.p2align	8
	.type	_ZN5aiter35fused_qk_rmsnorm_group_quant_kernelItN4opus5fp4_tELi64ELi8ELi4ELb0ELb1ELb0ELb1ELb0ELb0EEEvPT0_PvPT_S7_S7_PKS6_S9_S9_S9_S9_ffiiiiiiiiiiiii,@function
_ZN5aiter35fused_qk_rmsnorm_group_quant_kernelItN4opus5fp4_tELi64ELi8ELi4ELb0ELb1ELb0ELb1ELb0ELb0EEEvPT0_PvPT_S7_S7_PKS6_S9_S9_S9_S9_ffiiiiiiiiiiiii: ; @_ZN5aiter35fused_qk_rmsnorm_group_quant_kernelItN4opus5fp4_tELi64ELi8ELi4ELb0ELb1ELb0ELb1ELb0ELb0EEEvPT0_PvPT_S7_S7_PKS6_S9_S9_S9_S9_ffiiiiiiiiiiiii
; %bb.0:
	s_load_dwordx4 s[12:15], s[4:5], 0x50
	s_waitcnt lgkmcnt(0)
	s_cmp_ge_i32 s6, s14
	s_cbranch_scc1 .LBB208_8
; %bb.1:
	s_load_dwordx2 s[24:25], s[4:5], 0x30
	s_load_dwordx2 s[8:9], s[4:5], 0x48
	s_load_dwordx4 s[16:19], s[4:5], 0x60
	s_cmp_lg_u32 s7, 0
	s_cselect_b64 s[10:11], -1, 0
	s_cmp_eq_u32 s7, 0
	s_cselect_b64 vcc, -1, 0
	s_and_b64 s[0:1], vcc, exec
	s_waitcnt lgkmcnt(0)
	s_cselect_b32 s7, s15, s16
	s_add_i32 s0, s7, 1
	s_lshr_b32 s1, s0, 31
	s_add_i32 s0, s0, s1
	s_lshl_b32 s0, s0, 1
	v_lshlrev_b32_e32 v1, 3, v0
	s_and_b32 s22, s0, -4
	v_cmp_gt_i32_e64 s[0:1], s7, v1
	v_mov_b32_e32 v2, 0
	v_mov_b32_e32 v3, 0
	;; [unrolled: 1-line block ×8, first 2 shown]
	s_and_saveexec_b64 s[2:3], s[0:1]
	s_cbranch_execz .LBB208_3
; %bb.2:
	s_load_dwordx2 s[14:15], s[4:5], 0x28
	s_load_dwordx2 s[20:21], s[4:5], 0x40
	s_and_b64 s[26:27], vcc, exec
	s_cselect_b32 s17, s17, s18
	v_lshlrev_b32_e32 v10, 4, v0
	s_waitcnt lgkmcnt(0)
	s_cselect_b32 s19, s15, s25
	s_cselect_b32 s23, s14, s24
	s_mul_hi_i32 s15, s17, s6
	s_mul_i32 s14, s17, s6
	s_lshl_b64 s[14:15], s[14:15], 1
	s_add_u32 s28, s23, s14
	s_addc_u32 s17, s19, s15
	s_and_b64 s[14:15], vcc, exec
	s_mov_b32 s23, 0x20000
	s_cselect_b32 s20, s20, s8
	s_cselect_b32 s14, s21, s9
	s_and_b32 s29, s17, 0xffff
	s_mov_b32 s30, s22
	s_mov_b32 s31, s23
	s_and_b32 s21, s14, 0xffff
	buffer_load_dwordx4 v[6:9], v10, s[28:31], 0 offen glc slc
	buffer_load_dwordx4 v[2:5], v10, s[20:23], 0 offen
.LBB208_3:
	s_or_b64 exec, exec, s[2:3]
	s_waitcnt vmcnt(1)
	v_cvt_f32_u32_sdwa v13, v6 dst_sel:DWORD dst_unused:UNUSED_PAD src0_sel:WORD_1
	v_cvt_f32_u32_sdwa v12, v6 dst_sel:DWORD dst_unused:UNUSED_PAD src0_sel:WORD_0
	v_cvt_f32_u32_sdwa v6, v9 dst_sel:DWORD dst_unused:UNUSED_PAD src0_sel:WORD_1
	v_cvt_f32_u32_sdwa v9, v9 dst_sel:DWORD dst_unused:UNUSED_PAD src0_sel:WORD_0
	;; [unrolled: 2-line block ×4, first 2 shown]
	v_cndmask_b32_e64 v13, 0, v13, s[0:1]
	v_cndmask_b32_e64 v7, 0, v6, s[0:1]
	;; [unrolled: 1-line block ×5, first 2 shown]
	v_mul_f32_e32 v14, v13, v13
	v_cndmask_b32_e64 v10, 0, v10, s[0:1]
	v_fmac_f32_e32 v14, v12, v12
	v_cndmask_b32_e64 v11, 0, v11, s[0:1]
	v_fmac_f32_e32 v14, v10, v10
	;; [unrolled: 2-line block ×3, first 2 shown]
	v_fmac_f32_e32 v14, v8, v8
	v_fmac_f32_e32 v14, v9, v9
	;; [unrolled: 1-line block ×4, first 2 shown]
	v_bfrev_b32_e32 v16, 0.5
	s_load_dwordx2 s[2:3], s[4:5], 0x18
	v_mov_b32_dpp v15, v14 quad_perm:[1,0,3,2] row_mask:0xf bank_mask:0xf
	v_add_f32_e32 v14, v14, v15
	s_nop 1
	v_mov_b32_dpp v15, v14 quad_perm:[2,3,0,1] row_mask:0xf bank_mask:0xf
	v_add_f32_e32 v14, v14, v15
	s_nop 1
	v_mov_b32_dpp v15, v14 row_half_mirror row_mask:0xf bank_mask:0xf
	v_add_f32_e32 v14, v14, v15
	s_nop 1
	v_mov_b32_dpp v15, v14 row_mirror row_mask:0xf bank_mask:0xf
	v_add_f32_e32 v14, v14, v15
	s_nop 1
	v_mov_b32_dpp v15, v14 row_bcast:15 row_mask:0xf bank_mask:0xf
	v_add_f32_e32 v14, v14, v15
	s_nop 1
	v_mov_b32_dpp v15, v14 row_bcast:31 row_mask:0xf bank_mask:0xf
	v_add_f32_e32 v15, v14, v15
	v_mbcnt_lo_u32_b32 v14, -1, 0
	v_mbcnt_hi_u32_b32 v14, -1, v14
	v_lshl_or_b32 v14, v14, 2, v16
	ds_bpermute_b32 v15, v14, v15
	s_and_saveexec_b64 s[14:15], s[0:1]
	s_cbranch_execz .LBB208_5
; %bb.4:
	v_cvt_f32_u32_e32 v16, s7
	v_mov_b32_e32 v17, s13
	v_mov_b32_e32 v18, s12
	v_cndmask_b32_e32 v17, v17, v18, vcc
	s_waitcnt lgkmcnt(0)
	v_div_scale_f32 v19, s[20:21], v16, v16, v15
	v_rcp_f32_e32 v20, v19
	v_div_scale_f32 v18, vcc, v15, v16, v15
	s_mov_b32 s7, 0x800000
	v_fma_f32 v21, -v19, v20, 1.0
	v_fmac_f32_e32 v20, v21, v20
	v_mul_f32_e32 v21, v18, v20
	v_fma_f32 v22, -v19, v21, v18
	v_fmac_f32_e32 v21, v22, v20
	v_fma_f32 v18, -v19, v21, v18
	v_div_fmas_f32 v18, v18, v20, v21
	v_div_fixup_f32 v15, v18, v16, v15
	v_add_f32_e32 v15, v17, v15
	v_mul_f32_e32 v16, 0x4b800000, v15
	v_cmp_gt_f32_e32 vcc, s7, v15
	v_cndmask_b32_e32 v15, v15, v16, vcc
	v_rsq_f32_e32 v15, v15
	s_waitcnt vmcnt(0)
	v_cvt_f32_u32_sdwa v19, v3 dst_sel:DWORD dst_unused:UNUSED_PAD src0_sel:WORD_1
	v_cvt_f32_u32_sdwa v18, v3 dst_sel:DWORD dst_unused:UNUSED_PAD src0_sel:WORD_0
	v_cvt_f32_u32_sdwa v3, v4 dst_sel:DWORD dst_unused:UNUSED_PAD src0_sel:WORD_1
	v_mul_f32_e32 v16, 0x45800000, v15
	v_cndmask_b32_e32 v16, v15, v16, vcc
	v_mov_b32_e32 v17, v16
	;;#ASMSTART
	v_pk_mul_f32 v[12:13], v[12:13], v[16:17]
	;;#ASMEND
	;;#ASMSTART
	v_pk_mul_f32 v[10:11], v[10:11], v[16:17]
	;;#ASMEND
	;; [unrolled: 3-line block ×4, first 2 shown]
	v_cvt_f32_u32_sdwa v17, v2 dst_sel:DWORD dst_unused:UNUSED_PAD src0_sel:WORD_1
	v_cvt_f32_u32_sdwa v16, v2 dst_sel:DWORD dst_unused:UNUSED_PAD src0_sel:WORD_0
	v_cvt_f32_u32_sdwa v2, v4 dst_sel:DWORD dst_unused:UNUSED_PAD src0_sel:WORD_0
	v_cvt_f32_u32_sdwa v21, v5 dst_sel:DWORD dst_unused:UNUSED_PAD src0_sel:WORD_1
	v_cvt_f32_u32_sdwa v20, v5 dst_sel:DWORD dst_unused:UNUSED_PAD src0_sel:WORD_0
	;;#ASMSTART
	v_pk_mul_f32 v[12:13], v[12:13], v[16:17]
	;;#ASMEND
	;;#ASMSTART
	v_pk_mul_f32 v[10:11], v[10:11], v[18:19]
	;;#ASMEND
	;; [unrolled: 3-line block ×4, first 2 shown]
.LBB208_5:
	s_or_b64 exec, exec, s[14:15]
	s_load_dwordx2 s[14:15], s[4:5], 0x7c
	s_mov_b64 s[20:21], -1
	s_and_b64 vcc, exec, s[10:11]
	s_cbranch_vccnz .LBB208_9
; %bb.6:
	s_andn2_b64 vcc, exec, s[20:21]
	s_cbranch_vccz .LBB208_12
.LBB208_7:
	s_cmp_lt_i32 s16, 1
	s_cbranch_scc0 .LBB208_15
.LBB208_8:
	s_endpgm
.LBB208_9:
	s_and_saveexec_b64 s[10:11], s[0:1]
	s_cbranch_execz .LBB208_11
; %bb.10:
	s_waitcnt lgkmcnt(0)
	s_mul_hi_i32 s21, s15, s6
	s_mul_i32 s20, s15, s6
	s_lshl_b64 s[20:21], s[20:21], 1
	s_add_u32 s20, s2, s20
	s_addc_u32 s7, s3, s21
	s_and_b32 s21, s7, 0xffff
	s_mov_b32 s7, 0x7060302
	s_mov_b32 s23, 0x20000
	s_waitcnt vmcnt(0)
	v_perm_b32 v2, v13, v12, s7
	v_perm_b32 v3, v11, v10, s7
	v_perm_b32 v4, v9, v8, s7
	v_perm_b32 v5, v7, v6, s7
	v_lshlrev_b32_e32 v15, 4, v0
	buffer_store_dwordx4 v[2:5], v15, s[20:23], 0 offen
	;;#ASMSTART
	s_nop 0
	;;#ASMEND
.LBB208_11:
	s_or_b64 exec, exec, s[10:11]
	s_cbranch_execnz .LBB208_7
.LBB208_12:
	s_and_saveexec_b64 s[10:11], s[0:1]
	s_cbranch_execz .LBB208_14
; %bb.13:
	s_load_dwordx2 s[0:1], s[4:5], 0x10
	s_waitcnt lgkmcnt(0)
	s_mul_hi_i32 s21, s14, s6
	s_mul_i32 s20, s14, s6
	s_lshl_b64 s[20:21], s[20:21], 1
	s_mov_b32 s23, 0x20000
	s_add_u32 s20, s0, s20
	s_addc_u32 s0, s1, s21
	s_and_b32 s21, s0, 0xffff
	s_mov_b32 s0, 0x7060302
	s_waitcnt vmcnt(0)
	v_perm_b32 v2, v13, v12, s0
	v_perm_b32 v3, v11, v10, s0
	;; [unrolled: 1-line block ×4, first 2 shown]
	v_lshlrev_b32_e32 v6, 4, v0
	buffer_store_dwordx4 v[2:5], v6, s[20:23], 0 offen
	;;#ASMSTART
	s_nop 0
	;;#ASMEND
.LBB208_14:
	s_or_b64 exec, exec, s[10:11]
	s_cmp_lt_i32 s16, 1
	s_cbranch_scc1 .LBB208_8
.LBB208_15:
	s_load_dword s0, s[4:5], 0x94
	s_waitcnt lgkmcnt(0)
	s_cmp_lg_u32 s0, 1
	s_cbranch_scc1 .LBB208_8
; %bb.16:
	s_lshl_b32 s0, s16, 1
	s_add_i32 s0, s0, 2
	v_cmp_gt_u32_e32 vcc, s16, v1
	s_and_b32 s10, s0, -4
	s_waitcnt vmcnt(0)
	v_mov_b32_e32 v4, 0
	v_lshlrev_b32_e32 v12, 4, v0
	v_mov_b32_e32 v5, 0
	v_mov_b32_e32 v6, 0
	;; [unrolled: 1-line block ×7, first 2 shown]
	s_barrier
	s_and_saveexec_b64 s[0:1], vcc
	s_cbranch_execz .LBB208_18
; %bb.17:
	s_mul_hi_i32 s5, s18, s6
	s_mul_i32 s4, s18, s6
	s_and_b32 s9, s9, 0xffff
	s_lshl_b64 s[4:5], s[4:5], 1
	s_add_u32 s20, s24, s4
	s_mov_b32 s11, 0x20000
	s_addc_u32 s4, s25, s5
	s_and_b32 s21, s4, 0xffff
	s_mov_b32 s22, s10
	s_mov_b32 s23, s11
	buffer_load_dwordx4 v[4:7], v12, s[20:23], 0 offen glc slc
	buffer_load_dwordx4 v[0:3], v12, s[8:11], 0 offen
.LBB208_18:
	s_or_b64 exec, exec, s[0:1]
	s_waitcnt vmcnt(1)
	v_cvt_f32_u32_sdwa v11, v4 dst_sel:DWORD dst_unused:UNUSED_PAD src0_sel:WORD_1
	v_cvt_f32_u32_sdwa v10, v4 dst_sel:DWORD dst_unused:UNUSED_PAD src0_sel:WORD_0
	v_cvt_f32_u32_sdwa v4, v7 dst_sel:DWORD dst_unused:UNUSED_PAD src0_sel:WORD_1
	v_cvt_f32_u32_sdwa v7, v7 dst_sel:DWORD dst_unused:UNUSED_PAD src0_sel:WORD_0
	;; [unrolled: 2-line block ×4, first 2 shown]
	v_cndmask_b32_e32 v11, 0, v11, vcc
	v_cndmask_b32_e32 v5, 0, v4, vcc
	;; [unrolled: 1-line block ×5, first 2 shown]
	v_mul_f32_e32 v13, v11, v11
	v_cndmask_b32_e32 v8, 0, v8, vcc
	v_fmac_f32_e32 v13, v10, v10
	v_cndmask_b32_e32 v9, 0, v9, vcc
	v_fmac_f32_e32 v13, v8, v8
	;; [unrolled: 2-line block ×3, first 2 shown]
	v_fmac_f32_e32 v13, v6, v6
	v_fmac_f32_e32 v13, v7, v7
	;; [unrolled: 1-line block ×4, first 2 shown]
	s_nop 1
	v_mov_b32_dpp v15, v13 quad_perm:[1,0,3,2] row_mask:0xf bank_mask:0xf
	v_add_f32_e32 v13, v13, v15
	s_nop 1
	v_mov_b32_dpp v15, v13 quad_perm:[2,3,0,1] row_mask:0xf bank_mask:0xf
	v_add_f32_e32 v13, v13, v15
	s_nop 1
	v_mov_b32_dpp v15, v13 row_half_mirror row_mask:0xf bank_mask:0xf
	v_add_f32_e32 v13, v13, v15
	s_nop 1
	v_mov_b32_dpp v15, v13 row_mirror row_mask:0xf bank_mask:0xf
	v_add_f32_e32 v13, v13, v15
	s_nop 1
	v_mov_b32_dpp v15, v13 row_bcast:15 row_mask:0xf bank_mask:0xf
	v_add_f32_e32 v13, v13, v15
	s_nop 1
	v_mov_b32_dpp v15, v13 row_bcast:31 row_mask:0xf bank_mask:0xf
	v_add_f32_e32 v13, v13, v15
	ds_bpermute_b32 v13, v14, v13
	s_and_saveexec_b64 s[0:1], vcc
	s_cbranch_execz .LBB208_8
; %bb.19:
	v_cvt_f32_u32_e32 v14, s16
	s_mov_b32 s11, 0x20000
	s_waitcnt lgkmcnt(0)
	v_div_scale_f32 v15, s[0:1], v14, v14, v13
	v_rcp_f32_e32 v16, v15
	v_div_scale_f32 v17, vcc, v13, v14, v13
	s_mov_b32 s0, 0x800000
	v_fma_f32 v18, -v15, v16, 1.0
	v_fmac_f32_e32 v16, v18, v16
	v_mul_f32_e32 v18, v17, v16
	v_fma_f32 v19, -v15, v18, v17
	v_fmac_f32_e32 v18, v19, v16
	v_fma_f32 v15, -v15, v18, v17
	v_div_fmas_f32 v15, v15, v16, v18
	v_div_fixup_f32 v13, v15, v14, v13
	v_add_f32_e32 v13, s13, v13
	v_mul_f32_e32 v14, 0x4b800000, v13
	v_cmp_gt_f32_e32 vcc, s0, v13
	v_cndmask_b32_e32 v13, v13, v14, vcc
	v_rsq_f32_e32 v13, v13
	s_mul_hi_i32 s1, s15, s6
	s_mul_i32 s0, s15, s6
	s_lshl_b64 s[0:1], s[0:1], 1
	v_mul_f32_e32 v14, 0x45800000, v13
	v_cndmask_b32_e32 v14, v13, v14, vcc
	s_add_u32 s8, s2, s0
	v_mov_b32_e32 v15, v14
	s_addc_u32 s0, s3, s1
	;;#ASMSTART
	v_pk_mul_f32 v[10:11], v[10:11], v[14:15]
	;;#ASMEND
	;;#ASMSTART
	v_pk_mul_f32 v[8:9], v[8:9], v[14:15]
	;;#ASMEND
	;;#ASMSTART
	v_pk_mul_f32 v[6:7], v[6:7], v[14:15]
	;;#ASMEND
	;;#ASMSTART
	v_pk_mul_f32 v[4:5], v[4:5], v[14:15]
	;;#ASMEND
	s_waitcnt vmcnt(0)
	v_cvt_f32_u32_sdwa v15, v0 dst_sel:DWORD dst_unused:UNUSED_PAD src0_sel:WORD_1
	v_cvt_f32_u32_sdwa v14, v0 dst_sel:DWORD dst_unused:UNUSED_PAD src0_sel:WORD_0
	v_cvt_f32_u32_sdwa v17, v1 dst_sel:DWORD dst_unused:UNUSED_PAD src0_sel:WORD_1
	v_cvt_f32_u32_sdwa v16, v1 dst_sel:DWORD dst_unused:UNUSED_PAD src0_sel:WORD_0
	;; [unrolled: 2-line block ×4, first 2 shown]
	;;#ASMSTART
	v_pk_mul_f32 v[2:3], v[10:11], v[14:15]
	;;#ASMEND
	s_and_b32 s9, s0, 0xffff
	s_mov_b32 s0, 0x7060302
	;;#ASMSTART
	v_pk_mul_f32 v[8:9], v[8:9], v[16:17]
	;;#ASMEND
	;;#ASMSTART
	v_pk_mul_f32 v[6:7], v[6:7], v[0:1]
	;;#ASMEND
	;; [unrolled: 3-line block ×3, first 2 shown]
	v_perm_b32 v0, v3, v2, s0
	v_perm_b32 v1, v9, v8, s0
	;; [unrolled: 1-line block ×4, first 2 shown]
	buffer_store_dwordx4 v[0:3], v12, s[8:11], 0 offen
	;;#ASMSTART
	s_nop 0
	;;#ASMEND
	s_endpgm
	.section	.rodata,"a",@progbits
	.p2align	6, 0x0
	.amdhsa_kernel _ZN5aiter35fused_qk_rmsnorm_group_quant_kernelItN4opus5fp4_tELi64ELi8ELi4ELb0ELb1ELb0ELb1ELb0ELb0EEEvPT0_PvPT_S7_S7_PKS6_S9_S9_S9_S9_ffiiiiiiiiiiiii
		.amdhsa_group_segment_fixed_size 0
		.amdhsa_private_segment_fixed_size 0
		.amdhsa_kernarg_size 400
		.amdhsa_user_sgpr_count 6
		.amdhsa_user_sgpr_private_segment_buffer 1
		.amdhsa_user_sgpr_dispatch_ptr 0
		.amdhsa_user_sgpr_queue_ptr 0
		.amdhsa_user_sgpr_kernarg_segment_ptr 1
		.amdhsa_user_sgpr_dispatch_id 0
		.amdhsa_user_sgpr_flat_scratch_init 0
		.amdhsa_user_sgpr_kernarg_preload_length 0
		.amdhsa_user_sgpr_kernarg_preload_offset 0
		.amdhsa_user_sgpr_private_segment_size 0
		.amdhsa_uses_dynamic_stack 0
		.amdhsa_system_sgpr_private_segment_wavefront_offset 0
		.amdhsa_system_sgpr_workgroup_id_x 1
		.amdhsa_system_sgpr_workgroup_id_y 1
		.amdhsa_system_sgpr_workgroup_id_z 0
		.amdhsa_system_sgpr_workgroup_info 0
		.amdhsa_system_vgpr_workitem_id 0
		.amdhsa_next_free_vgpr 23
		.amdhsa_next_free_sgpr 32
		.amdhsa_accum_offset 24
		.amdhsa_reserve_vcc 1
		.amdhsa_reserve_flat_scratch 0
		.amdhsa_float_round_mode_32 0
		.amdhsa_float_round_mode_16_64 0
		.amdhsa_float_denorm_mode_32 3
		.amdhsa_float_denorm_mode_16_64 3
		.amdhsa_dx10_clamp 1
		.amdhsa_ieee_mode 1
		.amdhsa_fp16_overflow 0
		.amdhsa_tg_split 0
		.amdhsa_exception_fp_ieee_invalid_op 0
		.amdhsa_exception_fp_denorm_src 0
		.amdhsa_exception_fp_ieee_div_zero 0
		.amdhsa_exception_fp_ieee_overflow 0
		.amdhsa_exception_fp_ieee_underflow 0
		.amdhsa_exception_fp_ieee_inexact 0
		.amdhsa_exception_int_div_zero 0
	.end_amdhsa_kernel
	.section	.text._ZN5aiter35fused_qk_rmsnorm_group_quant_kernelItN4opus5fp4_tELi64ELi8ELi4ELb0ELb1ELb0ELb1ELb0ELb0EEEvPT0_PvPT_S7_S7_PKS6_S9_S9_S9_S9_ffiiiiiiiiiiiii,"axG",@progbits,_ZN5aiter35fused_qk_rmsnorm_group_quant_kernelItN4opus5fp4_tELi64ELi8ELi4ELb0ELb1ELb0ELb1ELb0ELb0EEEvPT0_PvPT_S7_S7_PKS6_S9_S9_S9_S9_ffiiiiiiiiiiiii,comdat
.Lfunc_end208:
	.size	_ZN5aiter35fused_qk_rmsnorm_group_quant_kernelItN4opus5fp4_tELi64ELi8ELi4ELb0ELb1ELb0ELb1ELb0ELb0EEEvPT0_PvPT_S7_S7_PKS6_S9_S9_S9_S9_ffiiiiiiiiiiiii, .Lfunc_end208-_ZN5aiter35fused_qk_rmsnorm_group_quant_kernelItN4opus5fp4_tELi64ELi8ELi4ELb0ELb1ELb0ELb1ELb0ELb0EEEvPT0_PvPT_S7_S7_PKS6_S9_S9_S9_S9_ffiiiiiiiiiiiii
                                        ; -- End function
	.section	.AMDGPU.csdata,"",@progbits
; Kernel info:
; codeLenInByte = 1904
; NumSgprs: 36
; NumVgprs: 23
; NumAgprs: 0
; TotalNumVgprs: 23
; ScratchSize: 0
; MemoryBound: 0
; FloatMode: 240
; IeeeMode: 1
; LDSByteSize: 0 bytes/workgroup (compile time only)
; SGPRBlocks: 4
; VGPRBlocks: 2
; NumSGPRsForWavesPerEU: 36
; NumVGPRsForWavesPerEU: 23
; AccumOffset: 24
; Occupancy: 8
; WaveLimiterHint : 0
; COMPUTE_PGM_RSRC2:SCRATCH_EN: 0
; COMPUTE_PGM_RSRC2:USER_SGPR: 6
; COMPUTE_PGM_RSRC2:TRAP_HANDLER: 0
; COMPUTE_PGM_RSRC2:TGID_X_EN: 1
; COMPUTE_PGM_RSRC2:TGID_Y_EN: 1
; COMPUTE_PGM_RSRC2:TGID_Z_EN: 0
; COMPUTE_PGM_RSRC2:TIDIG_COMP_CNT: 0
; COMPUTE_PGM_RSRC3_GFX90A:ACCUM_OFFSET: 5
; COMPUTE_PGM_RSRC3_GFX90A:TG_SPLIT: 0
	.section	.text._ZN5aiter35fused_qk_rmsnorm_group_quant_kernelIDF16_DB8_Li64ELi8ELi4ELb1ELb1ELb1ELb0ELb0ELb0EEEvPT0_PvPT_S6_S6_PKS5_S8_S8_S8_S8_ffiiiiiiiiiiiii,"axG",@progbits,_ZN5aiter35fused_qk_rmsnorm_group_quant_kernelIDF16_DB8_Li64ELi8ELi4ELb1ELb1ELb1ELb0ELb0ELb0EEEvPT0_PvPT_S6_S6_PKS5_S8_S8_S8_S8_ffiiiiiiiiiiiii,comdat
	.protected	_ZN5aiter35fused_qk_rmsnorm_group_quant_kernelIDF16_DB8_Li64ELi8ELi4ELb1ELb1ELb1ELb0ELb0ELb0EEEvPT0_PvPT_S6_S6_PKS5_S8_S8_S8_S8_ffiiiiiiiiiiiii ; -- Begin function _ZN5aiter35fused_qk_rmsnorm_group_quant_kernelIDF16_DB8_Li64ELi8ELi4ELb1ELb1ELb1ELb0ELb0ELb0EEEvPT0_PvPT_S6_S6_PKS5_S8_S8_S8_S8_ffiiiiiiiiiiiii
	.globl	_ZN5aiter35fused_qk_rmsnorm_group_quant_kernelIDF16_DB8_Li64ELi8ELi4ELb1ELb1ELb1ELb0ELb0ELb0EEEvPT0_PvPT_S6_S6_PKS5_S8_S8_S8_S8_ffiiiiiiiiiiiii
	.p2align	8
	.type	_ZN5aiter35fused_qk_rmsnorm_group_quant_kernelIDF16_DB8_Li64ELi8ELi4ELb1ELb1ELb1ELb0ELb0ELb0EEEvPT0_PvPT_S6_S6_PKS5_S8_S8_S8_S8_ffiiiiiiiiiiiii,@function
_ZN5aiter35fused_qk_rmsnorm_group_quant_kernelIDF16_DB8_Li64ELi8ELi4ELb1ELb1ELb1ELb0ELb0ELb0EEEvPT0_PvPT_S6_S6_PKS5_S8_S8_S8_S8_ffiiiiiiiiiiiii: ; @_ZN5aiter35fused_qk_rmsnorm_group_quant_kernelIDF16_DB8_Li64ELi8ELi4ELb1ELb1ELb1ELb0ELb0ELb0EEEvPT0_PvPT_S6_S6_PKS5_S8_S8_S8_S8_ffiiiiiiiiiiiii
; %bb.0:
	s_load_dwordx8 s[16:23], s[4:5], 0x50
	s_waitcnt lgkmcnt(0)
	s_cmp_ge_i32 s6, s18
	s_cbranch_scc1 .LBB209_15
; %bb.1:
	s_cmp_lg_u32 s7, 0
	s_cselect_b64 s[2:3], -1, 0
	s_cmp_eq_u32 s7, 0
	s_cselect_b64 s[26:27], -1, 0
	s_and_b64 s[0:1], s[26:27], exec
	s_load_dwordx2 s[24:25], s[4:5], 0x48
	s_load_dwordx2 s[34:35], s[4:5], 0x30
	s_load_dwordx8 s[8:15], s[4:5], 0x70
	s_cselect_b32 s7, s19, s20
	s_add_i32 s0, s7, 1
	s_lshr_b32 s1, s0, 31
	s_add_i32 s0, s0, s1
	s_lshl_b32 s0, s0, 1
	v_lshlrev_b32_e32 v1, 3, v0
	s_and_b32 s30, s0, -4
	v_cmp_gt_i32_e64 s[0:1], s7, v1
	v_mov_b32_e32 v20, 0
	v_mov_b32_e32 v21, 0
	;; [unrolled: 1-line block ×8, first 2 shown]
	s_waitcnt lgkmcnt(0)
	s_and_saveexec_b64 s[14:15], s[0:1]
	s_cbranch_execz .LBB209_3
; %bb.2:
	s_load_dwordx2 s[28:29], s[4:5], 0x28
	s_load_dwordx2 s[38:39], s[4:5], 0x40
	s_and_b64 s[36:37], s[26:27], exec
	s_cselect_b32 s18, s21, s22
	v_lshlrev_b32_e32 v2, 4, v0
	s_waitcnt lgkmcnt(0)
	s_cselect_b32 s21, s29, s35
	s_cselect_b32 s31, s28, s34
	s_mul_hi_i32 s29, s18, s6
	s_mul_i32 s28, s18, s6
	s_lshl_b64 s[28:29], s[28:29], 1
	s_add_u32 s36, s31, s28
	s_addc_u32 s18, s21, s29
	s_and_b64 s[26:27], s[26:27], exec
	s_mov_b32 s31, 0x20000
	s_cselect_b32 s28, s38, s24
	s_cselect_b32 s21, s39, s25
	s_and_b32 s37, s18, 0xffff
	s_mov_b32 s38, s30
	s_mov_b32 s39, s31
	s_and_b32 s29, s21, 0xffff
	buffer_load_dwordx4 v[24:27], v2, s[36:39], 0 offen glc slc
	buffer_load_dwordx4 v[20:23], v2, s[28:31], 0 offen
.LBB209_3:
	s_or_b64 exec, exec, s[14:15]
	s_and_b64 vcc, exec, s[2:3]
	s_cbranch_vccz .LBB209_7
; %bb.4:
	v_mov_b32_e32 v29, 0
	v_mov_b32_e32 v28, 0
	;; [unrolled: 1-line block ×8, first 2 shown]
	s_and_saveexec_b64 s[14:15], s[0:1]
	s_cbranch_execz .LBB209_6
; %bb.5:
	s_waitcnt vmcnt(1)
	v_cvt_f32_f16_sdwa v11, v24 dst_sel:DWORD dst_unused:UNUSED_PAD src0_sel:WORD_1
	v_cvt_f32_f16_e32 v10, v24
	v_cvt_f32_f16_sdwa v15, v25 dst_sel:DWORD dst_unused:UNUSED_PAD src0_sel:WORD_1
	v_cvt_f32_f16_e32 v14, v25
	;; [unrolled: 2-line block ×4, first 2 shown]
.LBB209_6:
	s_or_b64 exec, exec, s[14:15]
	s_mov_b32 s18, s17
	s_cbranch_execz .LBB209_8
	s_branch .LBB209_11
.LBB209_7:
                                        ; implicit-def: $vgpr10_vgpr11_vgpr12_vgpr13_vgpr14_vgpr15_vgpr16_vgpr17
                                        ; implicit-def: $vgpr29
                                        ; implicit-def: $vgpr12_vgpr13_vgpr14_vgpr15_vgpr16_vgpr17_vgpr18_vgpr19
                                        ; implicit-def: $vgpr2_vgpr3_vgpr4_vgpr5_vgpr6_vgpr7_vgpr8_vgpr9
	s_mov_b32 s18, s17
.LBB209_8:
	v_mov_b32_e32 v29, 0
	v_mov_b32_e32 v28, 0
	;; [unrolled: 1-line block ×8, first 2 shown]
	s_and_saveexec_b64 s[14:15], s[0:1]
	s_cbranch_execz .LBB209_10
; %bb.9:
	s_load_dwordx2 s[26:27], s[4:5], 0x38
	s_mul_hi_i32 s29, s23, s6
	s_mul_i32 s28, s23, s6
	s_lshl_b64 s[28:29], s[28:29], 1
	s_mov_b32 s31, 0x20000
	s_waitcnt lgkmcnt(0)
	s_add_u32 s28, s26, s28
	s_addc_u32 s18, s27, s29
	s_and_b32 s29, s18, 0xffff
	v_lshlrev_b32_e32 v30, 4, v0
	buffer_load_dwordx4 v[2:5], v30, s[28:31], 0 offen glc slc
	s_waitcnt vmcnt(2)
	v_cvt_f32_f16_sdwa v7, v24 dst_sel:DWORD dst_unused:UNUSED_PAD src0_sel:WORD_1
	v_cvt_f32_f16_e32 v6, v24
	v_cvt_f32_f16_sdwa v9, v25 dst_sel:DWORD dst_unused:UNUSED_PAD src0_sel:WORD_1
	v_cvt_f32_f16_e32 v8, v25
	;; [unrolled: 2-line block ×4, first 2 shown]
	s_load_dwordx2 s[26:27], s[4:5], 0x20
	s_mul_hi_i32 s29, s13, s6
	s_mul_i32 s28, s13, s6
	s_lshl_b64 s[28:29], s[28:29], 1
	s_waitcnt lgkmcnt(0)
	s_add_u32 s28, s26, s28
	s_addc_u32 s13, s27, s29
	s_and_b32 s29, s13, 0xffff
	s_waitcnt vmcnt(0)
	v_cvt_f32_f16_e32 v10, v2
	v_cvt_f32_f16_sdwa v11, v2 dst_sel:DWORD dst_unused:UNUSED_PAD src0_sel:WORD_1
	v_cvt_f32_f16_e32 v2, v3
	v_cvt_f32_f16_sdwa v3, v3 dst_sel:DWORD dst_unused:UNUSED_PAD src0_sel:WORD_1
	;; [unrolled: 2-line block ×4, first 2 shown]
	v_pk_add_f32 v[10:11], v[6:7], v[10:11]
	v_pk_add_f32 v[14:15], v[8:9], v[2:3]
	;; [unrolled: 1-line block ×4, first 2 shown]
	v_cvt_f16_f32_e32 v2, v11
	v_cvt_f16_f32_e32 v3, v15
	;; [unrolled: 1-line block ×8, first 2 shown]
	v_pack_b32_f16 v5, v8, v5
	v_pack_b32_f16 v4, v9, v4
	;; [unrolled: 1-line block ×4, first 2 shown]
	buffer_store_dwordx4 v[2:5], v30, s[28:31], 0 offen glc slc
	;;#ASMSTART
	s_nop 0
	;;#ASMEND
.LBB209_10:
	s_or_b64 exec, exec, s[14:15]
	s_mov_b32 s18, s16
.LBB209_11:
	v_mul_f32_e32 v2, v11, v11
	v_fmac_f32_e32 v2, v10, v10
	v_fmac_f32_e32 v2, v14, v14
	;; [unrolled: 1-line block ×7, first 2 shown]
	v_bfrev_b32_e32 v4, 0.5
	s_load_dwordx2 s[14:15], s[4:5], 0x18
	v_mov_b32_dpp v3, v2 quad_perm:[1,0,3,2] row_mask:0xf bank_mask:0xf
	v_add_f32_e32 v2, v2, v3
	s_nop 1
	v_mov_b32_dpp v3, v2 quad_perm:[2,3,0,1] row_mask:0xf bank_mask:0xf
	v_add_f32_e32 v2, v2, v3
	s_nop 1
	v_mov_b32_dpp v3, v2 row_half_mirror row_mask:0xf bank_mask:0xf
	v_add_f32_e32 v2, v2, v3
	s_nop 1
	v_mov_b32_dpp v3, v2 row_mirror row_mask:0xf bank_mask:0xf
	v_add_f32_e32 v2, v2, v3
	s_nop 1
	v_mov_b32_dpp v3, v2 row_bcast:15 row_mask:0xf bank_mask:0xf
	v_add_f32_e32 v2, v2, v3
	s_nop 1
	v_mov_b32_dpp v3, v2 row_bcast:31 row_mask:0xf bank_mask:0xf
	v_add_f32_e32 v2, v2, v3
	v_mbcnt_lo_u32_b32 v3, -1, 0
	v_mbcnt_hi_u32_b32 v3, -1, v3
	v_lshl_or_b32 v16, v3, 2, v4
	ds_bpermute_b32 v2, v16, v2
	s_and_saveexec_b64 s[26:27], s[0:1]
	s_cbranch_execnz .LBB209_16
; %bb.12:
	s_or_b64 exec, exec, s[26:27]
	s_mov_b64 s[26:27], -1
	s_and_b64 vcc, exec, s[2:3]
	s_cbranch_vccnz .LBB209_17
.LBB209_13:
	s_andn2_b64 vcc, exec, s[26:27]
	s_cbranch_vccz .LBB209_20
.LBB209_14:
	s_cmp_lt_i32 s20, 1
	s_cbranch_scc0 .LBB209_29
.LBB209_15:
	s_endpgm
.LBB209_16:
	v_cvt_f32_u32_e32 v3, s7
	s_mov_b32 s7, 0x800000
	s_waitcnt vmcnt(0)
	v_cvt_f32_f16_sdwa v19, v23 dst_sel:DWORD dst_unused:UNUSED_PAD src0_sel:WORD_1
	v_cvt_f32_f16_e32 v18, v23
	s_waitcnt lgkmcnt(0)
	v_div_scale_f32 v4, s[28:29], v3, v3, v2
	v_rcp_f32_e32 v5, v4
	v_div_scale_f32 v8, vcc, v2, v3, v2
	v_fma_f32 v9, -v4, v5, 1.0
	v_fmac_f32_e32 v5, v9, v5
	v_mul_f32_e32 v9, v8, v5
	v_fma_f32 v12, -v4, v9, v8
	v_fmac_f32_e32 v9, v12, v5
	v_fma_f32 v4, -v4, v9, v8
	v_div_fmas_f32 v4, v4, v5, v9
	v_div_fixup_f32 v2, v4, v3, v2
	v_add_f32_e32 v2, s18, v2
	v_mul_f32_e32 v3, 0x4b800000, v2
	v_cmp_gt_f32_e32 vcc, s7, v2
	v_cndmask_b32_e32 v2, v2, v3, vcc
	v_rsq_f32_e32 v2, v2
	v_cvt_f32_f16_sdwa v3, v20 dst_sel:DWORD dst_unused:UNUSED_PAD src0_sel:WORD_1
	v_mul_f32_e32 v4, 0x45800000, v2
	v_cndmask_b32_e32 v4, v2, v4, vcc
	v_cvt_f32_f16_e32 v2, v20
	v_mov_b32_e32 v5, v4
	;;#ASMSTART
	v_pk_mul_f32 v[8:9], v[10:11], v[4:5]
	;;#ASMEND
	;;#ASMSTART
	v_pk_mul_f32 v[12:13], v[14:15], v[4:5]
	;;#ASMEND
	v_cvt_f32_f16_sdwa v15, v21 dst_sel:DWORD dst_unused:UNUSED_PAD src0_sel:WORD_1
	v_cvt_f32_f16_e32 v14, v21
	;;#ASMSTART
	v_pk_mul_f32 v[6:7], v[6:7], v[4:5]
	;;#ASMEND
	;;#ASMSTART
	v_pk_mul_f32 v[4:5], v[28:29], v[4:5]
	;;#ASMEND
	v_pk_add_f32 v[2:3], v[2:3], 1.0 op_sel_hi:[1,0]
	;;#ASMSTART
	v_pk_mul_f32 v[10:11], v[8:9], v[2:3]
	;;#ASMEND
	v_cvt_f32_f16_sdwa v9, v22 dst_sel:DWORD dst_unused:UNUSED_PAD src0_sel:WORD_1
	v_cvt_f32_f16_e32 v8, v22
	v_pk_add_f32 v[2:3], v[14:15], 1.0 op_sel_hi:[1,0]
	;;#ASMSTART
	v_pk_mul_f32 v[14:15], v[12:13], v[2:3]
	;;#ASMEND
	v_pk_add_f32 v[2:3], v[8:9], 1.0 op_sel_hi:[1,0]
	;;#ASMSTART
	v_pk_mul_f32 v[6:7], v[6:7], v[2:3]
	;;#ASMEND
	;; [unrolled: 4-line block ×3, first 2 shown]
	s_or_b64 exec, exec, s[26:27]
	s_mov_b64 s[26:27], -1
	s_and_b64 vcc, exec, s[2:3]
	s_cbranch_vccz .LBB209_13
.LBB209_17:
	s_and_saveexec_b64 s[2:3], s[0:1]
	s_cbranch_execz .LBB209_19
; %bb.18:
	s_mul_hi_i32 s27, s12, s6
	s_mul_i32 s26, s12, s6
	s_waitcnt lgkmcnt(0)
	v_cvt_f16_f32_e32 v2, v10
	v_cvt_f16_f32_e32 v3, v14
	;; [unrolled: 1-line block ×8, first 2 shown]
	s_lshl_b64 s[26:27], s[26:27], 1
	s_add_u32 s28, s14, s26
	s_addc_u32 s7, s15, s27
	s_and_b32 s29, s7, 0xffff
	s_mov_b32 s31, 0x20000
	v_pack_b32_f16 v5, v5, v8
	v_pack_b32_f16 v4, v4, v9
	v_pack_b32_f16 v3, v3, v12
	v_pack_b32_f16 v2, v2, v13
	v_lshlrev_b32_e32 v8, 4, v0
	buffer_store_dwordx4 v[2:5], v8, s[28:31], 0 offen
	;;#ASMSTART
	s_nop 0
	;;#ASMEND
.LBB209_19:
	s_or_b64 exec, exec, s[2:3]
	s_cbranch_execnz .LBB209_14
.LBB209_20:
	s_waitcnt lgkmcnt(0)
	v_mov_b32_e32 v2, 0
	s_and_saveexec_b64 s[2:3], s[0:1]
	s_cbranch_execz .LBB209_22
; %bb.21:
	s_load_dwordx2 s[26:27], s[4:5], 0x10
	s_mul_hi_i32 s29, s11, s6
	s_mul_i32 s28, s11, s6
	v_cvt_f16_f32_e32 v2, v10
	v_cvt_f16_f32_e32 v3, v14
	;; [unrolled: 1-line block ×8, first 2 shown]
	s_lshl_b64 s[28:29], s[28:29], 1
	s_waitcnt lgkmcnt(0)
	s_add_u32 s28, s26, s28
	s_addc_u32 s7, s27, s29
	s_mov_b32 s31, 0x20000
	s_and_b32 s29, s7, 0xffff
	v_pack_b32_f16 v5, v5, v8
	v_pack_b32_f16 v4, v4, v9
	;; [unrolled: 1-line block ×4, first 2 shown]
	v_lshlrev_b32_e32 v8, 4, v0
	buffer_store_dwordx4 v[2:5], v8, s[28:31], 0 offen
	;;#ASMSTART
	s_nop 0
	;;#ASMEND
	s_nop 0
	v_mov_b32_e32 v2, 0x2edbe6ff
.LBB209_22:
	s_or_b64 exec, exec, s[2:3]
	s_and_saveexec_b64 s[2:3], s[0:1]
	s_cbranch_execz .LBB209_24
; %bb.23:
	v_and_b32_e32 v3, 0x7fffffff, v10
	v_and_b32_e32 v4, 0x7fffffff, v11
	;;#ASMSTART
	v_max3_f32 v2, v2, v3, v4

	;;#ASMEND
	v_and_b32_e32 v3, 0x7fffffff, v14
	v_and_b32_e32 v4, 0x7fffffff, v15
	;;#ASMSTART
	v_max3_f32 v2, v2, v3, v4

	;;#ASMEND
	;; [unrolled: 6-line block ×4, first 2 shown]
.LBB209_24:
	s_or_b64 exec, exec, s[2:3]
	;;#ASMSTART
	v_max_f32 v3, v2, v2 quad_perm:[1,0,3,2] row_mask:0xf bank_mask:0xf bound_ctrl:1
	;;#ASMEND
	;;#ASMSTART
	v_max_f32 v2, v3, v3 quad_perm:[2,3,0,1] row_mask:0xf bank_mask:0xf bound_ctrl:1
	;;#ASMEND
	v_and_b32_e32 v3, 3, v0
	v_cmp_eq_u32_e32 vcc, 0, v3
	v_cmp_gt_i32_e64 s[2:3], s19, v1
	v_mul_f32_e32 v2, 0x3b124925, v2
	s_and_b64 s[26:27], vcc, s[2:3]
	s_and_saveexec_b64 s[2:3], s[26:27]
	s_cbranch_execz .LBB209_26
; %bb.25:
	s_load_dwordx2 s[26:27], s[4:5], 0x8
	v_lshrrev_b32_e32 v3, 2, v0
	s_mul_hi_i32 s29, s9, s6
	s_mul_i32 s28, s9, s6
	v_mad_i64_i32 v[4:5], s[10:11], s10, v3, 0
	s_lshl_b64 s[10:11], s[28:29], 2
	s_waitcnt lgkmcnt(0)
	s_add_u32 s7, s26, s10
	s_addc_u32 s9, s27, s11
	v_lshlrev_b64 v[4:5], 2, v[4:5]
	v_mov_b32_e32 v3, s9
	v_add_co_u32_e32 v4, vcc, s7, v4
	v_addc_co_u32_e32 v5, vcc, v3, v5, vcc
	global_store_dword v[4:5], v2, off
.LBB209_26:
	s_or_b64 exec, exec, s[2:3]
	;;#ASMSTART
	v_rcp_f32 v2, v2
	;;#ASMEND
	s_and_saveexec_b64 s[10:11], s[0:1]
	s_cbranch_execz .LBB209_28
; %bb.27:
	v_mov_b32_e32 v3, v2
	;;#ASMSTART
	v_pk_mul_f32 v[4:5], v[10:11], v[2:3]
	;;#ASMEND
	s_load_dwordx2 s[0:1], s[4:5], 0x0
	v_mov_b32_e32 v8, 0xc3e00000
	v_mov_b32_e32 v9, 0x43e00000
	;;#ASMSTART
	v_med3_f32 v4, v4, v8, v9
v_med3_f32 v5, v5, v8, v9
v_cvt_pk_fp8_f32 v10, v4, v5
	;;#ASMEND
	;;#ASMSTART
	v_pk_mul_f32 v[4:5], v[14:15], v[2:3]
	;;#ASMEND
	s_mul_hi_i32 s2, s8, s6
	s_mul_i32 s3, s8, s6
	;;#ASMSTART
	v_med3_f32 v4, v4, v8, v9
v_med3_f32 v5, v5, v8, v9
v_cvt_pk_fp8_f32 v11, v4, v5
	;;#ASMEND
	s_mov_b32 s8, 0x5040100
	v_perm_b32 v5, v11, v10, s8
	s_movk_i32 s8, 0xff
	v_and_b32_e32 v4, 0xffffff00, v11
	v_and_b32_sdwa v10, v5, s8 dst_sel:DWORD dst_unused:UNUSED_PAD src0_sel:WORD_1 src1_sel:DWORD
	s_mov_b32 s7, 0xffff
	s_waitcnt lgkmcnt(0)
	s_add_u32 s0, s0, s3
	v_or_b32_sdwa v4, v10, v4 dst_sel:WORD_1 dst_unused:UNUSED_PAD src0_sel:DWORD src1_sel:DWORD
	s_addc_u32 s1, s1, s2
	s_add_i32 s2, s19, 3
	v_and_or_b32 v4, v5, s7, v4
	;;#ASMSTART
	v_pk_mul_f32 v[6:7], v[6:7], v[2:3]
	;;#ASMEND
	v_mov_b32_e32 v5, v7
	s_ashr_i32 s3, s2, 31
	;;#ASMSTART
	v_med3_f32 v6, v6, v8, v9
v_med3_f32 v5, v5, v8, v9
v_cvt_pk_fp8_f32 v7, v6, v5
	;;#ASMEND
	;;#ASMSTART
	v_pk_mul_f32 v[2:3], v[28:29], v[2:3]
	;;#ASMEND
	s_lshr_b32 s3, s3, 30
	;;#ASMSTART
	v_med3_f32 v2, v2, v8, v9
v_med3_f32 v3, v3, v8, v9
v_cvt_pk_fp8_f32 v5, v2, v3
	;;#ASMEND
	s_add_i32 s2, s2, s3
	v_lshlrev_b32_e32 v2, 16, v5
	s_and_b32 s2, s2, -4
	s_and_b32 s1, s1, 0xffff
	s_mov_b32 s3, 0x20000
	v_and_or_b32 v5, v7, s7, v2
	buffer_store_dwordx2 v[4:5], v1, s[0:3], 0 offen
	;;#ASMSTART
	s_nop 0
	;;#ASMEND
.LBB209_28:
	s_or_b64 exec, exec, s[10:11]
	s_cmp_lt_i32 s20, 1
	s_cbranch_scc1 .LBB209_15
.LBB209_29:
	s_load_dword s0, s[4:5], 0x94
	s_waitcnt lgkmcnt(0)
	s_cmp_lg_u32 s0, 1
	s_cbranch_scc1 .LBB209_15
; %bb.30:
	s_lshl_b32 s0, s20, 1
	s_add_i32 s0, s0, 2
	v_cmp_gt_u32_e32 vcc, s20, v1
	s_and_b32 s26, s0, -4
	v_mov_b32_e32 v8, 0
	v_lshlrev_b32_e32 v17, 4, v0
	v_mov_b32_e32 v4, 0
	v_mov_b32_e32 v5, 0
	;; [unrolled: 1-line block ×8, first 2 shown]
	s_barrier
	s_and_saveexec_b64 s[0:1], vcc
	s_cbranch_execz .LBB209_32
; %bb.31:
	s_mul_hi_i32 s3, s22, s6
	s_mul_i32 s2, s22, s6
	s_and_b32 s25, s25, 0xffff
	s_lshl_b64 s[2:3], s[2:3], 1
	s_add_u32 s8, s34, s2
	s_mov_b32 s27, 0x20000
	s_addc_u32 s2, s35, s3
	s_and_b32 s9, s2, 0xffff
	s_mov_b32 s10, s26
	s_mov_b32 s11, s27
	buffer_load_dwordx4 v[4:7], v17, s[8:11], 0 offen glc slc
	buffer_load_dwordx4 v[0:3], v17, s[24:27], 0 offen
.LBB209_32:
	s_or_b64 exec, exec, s[0:1]
	v_mov_b32_e32 v9, 0
	v_mov_b32_e32 v12, 0
	;; [unrolled: 1-line block ×7, first 2 shown]
	s_and_saveexec_b64 s[0:1], vcc
	s_cbranch_execz .LBB209_34
; %bb.33:
	s_waitcnt vmcnt(1)
	v_cvt_f32_f16_sdwa v9, v4 dst_sel:DWORD dst_unused:UNUSED_PAD src0_sel:WORD_1
	v_cvt_f32_f16_e32 v8, v4
	v_cvt_f32_f16_sdwa v13, v5 dst_sel:DWORD dst_unused:UNUSED_PAD src0_sel:WORD_1
	v_cvt_f32_f16_e32 v12, v5
	v_cvt_f32_f16_sdwa v15, v6 dst_sel:DWORD dst_unused:UNUSED_PAD src0_sel:WORD_1
	v_cvt_f32_f16_e32 v14, v6
	v_cvt_f32_f16_sdwa v11, v7 dst_sel:DWORD dst_unused:UNUSED_PAD src0_sel:WORD_1
	v_cvt_f32_f16_e32 v10, v7
.LBB209_34:
	s_or_b64 exec, exec, s[0:1]
	s_waitcnt vmcnt(1)
	v_mul_f32_e32 v4, v9, v9
	v_fmac_f32_e32 v4, v8, v8
	v_fmac_f32_e32 v4, v12, v12
	;; [unrolled: 1-line block ×7, first 2 shown]
	s_nop 1
	v_mov_b32_dpp v5, v4 quad_perm:[1,0,3,2] row_mask:0xf bank_mask:0xf
	v_add_f32_e32 v4, v4, v5
	s_nop 1
	v_mov_b32_dpp v5, v4 quad_perm:[2,3,0,1] row_mask:0xf bank_mask:0xf
	v_add_f32_e32 v4, v4, v5
	s_nop 1
	v_mov_b32_dpp v5, v4 row_half_mirror row_mask:0xf bank_mask:0xf
	v_add_f32_e32 v4, v4, v5
	s_nop 1
	v_mov_b32_dpp v5, v4 row_mirror row_mask:0xf bank_mask:0xf
	v_add_f32_e32 v4, v4, v5
	s_nop 1
	v_mov_b32_dpp v5, v4 row_bcast:15 row_mask:0xf bank_mask:0xf
	v_add_f32_e32 v4, v4, v5
	s_nop 1
	v_mov_b32_dpp v5, v4 row_bcast:31 row_mask:0xf bank_mask:0xf
	v_add_f32_e32 v4, v4, v5
	ds_bpermute_b32 v4, v16, v4
	s_and_saveexec_b64 s[0:1], vcc
	s_cbranch_execz .LBB209_15
; %bb.35:
	v_cvt_f32_u32_e32 v5, s20
	s_mov_b32 s27, 0x20000
	s_waitcnt lgkmcnt(0)
	v_div_scale_f32 v6, s[0:1], v5, v5, v4
	v_rcp_f32_e32 v7, v6
	v_div_scale_f32 v16, vcc, v4, v5, v4
	s_mov_b32 s0, 0x800000
	v_fma_f32 v18, -v6, v7, 1.0
	v_fmac_f32_e32 v7, v18, v7
	v_mul_f32_e32 v18, v16, v7
	v_fma_f32 v19, -v6, v18, v16
	v_fmac_f32_e32 v18, v19, v7
	v_fma_f32 v6, -v6, v18, v16
	v_div_fmas_f32 v6, v6, v7, v18
	v_div_fixup_f32 v4, v6, v5, v4
	v_add_f32_e32 v4, s17, v4
	v_mul_f32_e32 v5, 0x4b800000, v4
	v_cmp_gt_f32_e32 vcc, s0, v4
	v_cndmask_b32_e32 v4, v4, v5, vcc
	v_rsq_f32_e32 v4, v4
	s_waitcnt vmcnt(0)
	v_cvt_f32_f16_sdwa v5, v0 dst_sel:DWORD dst_unused:UNUSED_PAD src0_sel:WORD_1
	v_cvt_f32_f16_sdwa v19, v1 dst_sel:DWORD dst_unused:UNUSED_PAD src0_sel:WORD_1
	v_cvt_f32_f16_e32 v18, v1
	v_mul_f32_e32 v6, 0x45800000, v4
	v_cndmask_b32_e32 v6, v4, v6, vcc
	v_cvt_f32_f16_e32 v4, v0
	v_mov_b32_e32 v7, v6
	;;#ASMSTART
	v_pk_mul_f32 v[8:9], v[8:9], v[6:7]
	;;#ASMEND
	;;#ASMSTART
	v_pk_mul_f32 v[12:13], v[12:13], v[6:7]
	;;#ASMEND
	v_pk_add_f32 v[4:5], v[4:5], 1.0 op_sel_hi:[1,0]
	;;#ASMSTART
	v_pk_mul_f32 v[14:15], v[14:15], v[6:7]
	;;#ASMEND
	;;#ASMSTART
	v_pk_mul_f32 v[0:1], v[10:11], v[6:7]
	;;#ASMEND
	;; [unrolled: 3-line block ×3, first 2 shown]
	v_cvt_f32_f16_sdwa v9, v2 dst_sel:DWORD dst_unused:UNUSED_PAD src0_sel:WORD_1
	v_cvt_f32_f16_e32 v8, v2
	v_cvt_f32_f16_sdwa v11, v3 dst_sel:DWORD dst_unused:UNUSED_PAD src0_sel:WORD_1
	v_cvt_f32_f16_e32 v10, v3
	v_pk_add_f32 v[6:7], v[18:19], 1.0 op_sel_hi:[1,0]
	;;#ASMSTART
	v_pk_mul_f32 v[2:3], v[12:13], v[6:7]
	;;#ASMEND
	v_pk_add_f32 v[6:7], v[8:9], 1.0 op_sel_hi:[1,0]
	;;#ASMSTART
	v_pk_mul_f32 v[6:7], v[14:15], v[6:7]
	;;#ASMEND
	;; [unrolled: 4-line block ×3, first 2 shown]
	s_mul_hi_i32 s1, s12, s6
	s_mul_i32 s0, s12, s6
	v_cvt_f16_f32_e32 v4, v4
	v_cvt_f16_f32_e32 v5, v5
	v_cvt_f16_f32_e32 v2, v2
	v_cvt_f16_f32_e32 v3, v3
	v_cvt_f16_f32_e32 v6, v6
	v_cvt_f16_f32_e32 v7, v7
	v_cvt_f16_f32_e32 v8, v0
	v_cvt_f16_f32_e32 v9, v1
	s_lshl_b64 s[0:1], s[0:1], 1
	s_add_u32 s24, s14, s0
	s_addc_u32 s0, s15, s1
	s_and_b32 s25, s0, 0xffff
	v_pack_b32_f16 v0, v4, v5
	v_pack_b32_f16 v1, v2, v3
	;; [unrolled: 1-line block ×4, first 2 shown]
	buffer_store_dwordx4 v[0:3], v17, s[24:27], 0 offen
	;;#ASMSTART
	s_nop 0
	;;#ASMEND
	s_endpgm
	.section	.rodata,"a",@progbits
	.p2align	6, 0x0
	.amdhsa_kernel _ZN5aiter35fused_qk_rmsnorm_group_quant_kernelIDF16_DB8_Li64ELi8ELi4ELb1ELb1ELb1ELb0ELb0ELb0EEEvPT0_PvPT_S6_S6_PKS5_S8_S8_S8_S8_ffiiiiiiiiiiiii
		.amdhsa_group_segment_fixed_size 0
		.amdhsa_private_segment_fixed_size 0
		.amdhsa_kernarg_size 400
		.amdhsa_user_sgpr_count 6
		.amdhsa_user_sgpr_private_segment_buffer 1
		.amdhsa_user_sgpr_dispatch_ptr 0
		.amdhsa_user_sgpr_queue_ptr 0
		.amdhsa_user_sgpr_kernarg_segment_ptr 1
		.amdhsa_user_sgpr_dispatch_id 0
		.amdhsa_user_sgpr_flat_scratch_init 0
		.amdhsa_user_sgpr_kernarg_preload_length 0
		.amdhsa_user_sgpr_kernarg_preload_offset 0
		.amdhsa_user_sgpr_private_segment_size 0
		.amdhsa_uses_dynamic_stack 0
		.amdhsa_system_sgpr_private_segment_wavefront_offset 0
		.amdhsa_system_sgpr_workgroup_id_x 1
		.amdhsa_system_sgpr_workgroup_id_y 1
		.amdhsa_system_sgpr_workgroup_id_z 0
		.amdhsa_system_sgpr_workgroup_info 0
		.amdhsa_system_vgpr_workitem_id 0
		.amdhsa_next_free_vgpr 31
		.amdhsa_next_free_sgpr 40
		.amdhsa_accum_offset 32
		.amdhsa_reserve_vcc 1
		.amdhsa_reserve_flat_scratch 0
		.amdhsa_float_round_mode_32 0
		.amdhsa_float_round_mode_16_64 0
		.amdhsa_float_denorm_mode_32 3
		.amdhsa_float_denorm_mode_16_64 3
		.amdhsa_dx10_clamp 1
		.amdhsa_ieee_mode 1
		.amdhsa_fp16_overflow 0
		.amdhsa_tg_split 0
		.amdhsa_exception_fp_ieee_invalid_op 0
		.amdhsa_exception_fp_denorm_src 0
		.amdhsa_exception_fp_ieee_div_zero 0
		.amdhsa_exception_fp_ieee_overflow 0
		.amdhsa_exception_fp_ieee_underflow 0
		.amdhsa_exception_fp_ieee_inexact 0
		.amdhsa_exception_int_div_zero 0
	.end_amdhsa_kernel
	.section	.text._ZN5aiter35fused_qk_rmsnorm_group_quant_kernelIDF16_DB8_Li64ELi8ELi4ELb1ELb1ELb1ELb0ELb0ELb0EEEvPT0_PvPT_S6_S6_PKS5_S8_S8_S8_S8_ffiiiiiiiiiiiii,"axG",@progbits,_ZN5aiter35fused_qk_rmsnorm_group_quant_kernelIDF16_DB8_Li64ELi8ELi4ELb1ELb1ELb1ELb0ELb0ELb0EEEvPT0_PvPT_S6_S6_PKS5_S8_S8_S8_S8_ffiiiiiiiiiiiii,comdat
.Lfunc_end209:
	.size	_ZN5aiter35fused_qk_rmsnorm_group_quant_kernelIDF16_DB8_Li64ELi8ELi4ELb1ELb1ELb1ELb0ELb0ELb0EEEvPT0_PvPT_S6_S6_PKS5_S8_S8_S8_S8_ffiiiiiiiiiiiii, .Lfunc_end209-_ZN5aiter35fused_qk_rmsnorm_group_quant_kernelIDF16_DB8_Li64ELi8ELi4ELb1ELb1ELb1ELb0ELb0ELb0EEEvPT0_PvPT_S6_S6_PKS5_S8_S8_S8_S8_ffiiiiiiiiiiiii
                                        ; -- End function
	.section	.AMDGPU.csdata,"",@progbits
; Kernel info:
; codeLenInByte = 2924
; NumSgprs: 44
; NumVgprs: 31
; NumAgprs: 0
; TotalNumVgprs: 31
; ScratchSize: 0
; MemoryBound: 0
; FloatMode: 240
; IeeeMode: 1
; LDSByteSize: 0 bytes/workgroup (compile time only)
; SGPRBlocks: 5
; VGPRBlocks: 3
; NumSGPRsForWavesPerEU: 44
; NumVGPRsForWavesPerEU: 31
; AccumOffset: 32
; Occupancy: 8
; WaveLimiterHint : 0
; COMPUTE_PGM_RSRC2:SCRATCH_EN: 0
; COMPUTE_PGM_RSRC2:USER_SGPR: 6
; COMPUTE_PGM_RSRC2:TRAP_HANDLER: 0
; COMPUTE_PGM_RSRC2:TGID_X_EN: 1
; COMPUTE_PGM_RSRC2:TGID_Y_EN: 1
; COMPUTE_PGM_RSRC2:TGID_Z_EN: 0
; COMPUTE_PGM_RSRC2:TIDIG_COMP_CNT: 0
; COMPUTE_PGM_RSRC3_GFX90A:ACCUM_OFFSET: 7
; COMPUTE_PGM_RSRC3_GFX90A:TG_SPLIT: 0
	.section	.text._ZN5aiter35fused_qk_rmsnorm_group_quant_kernelItDB8_Li64ELi8ELi4ELb1ELb1ELb1ELb0ELb0ELb0EEEvPT0_PvPT_S6_S6_PKS5_S8_S8_S8_S8_ffiiiiiiiiiiiii,"axG",@progbits,_ZN5aiter35fused_qk_rmsnorm_group_quant_kernelItDB8_Li64ELi8ELi4ELb1ELb1ELb1ELb0ELb0ELb0EEEvPT0_PvPT_S6_S6_PKS5_S8_S8_S8_S8_ffiiiiiiiiiiiii,comdat
	.protected	_ZN5aiter35fused_qk_rmsnorm_group_quant_kernelItDB8_Li64ELi8ELi4ELb1ELb1ELb1ELb0ELb0ELb0EEEvPT0_PvPT_S6_S6_PKS5_S8_S8_S8_S8_ffiiiiiiiiiiiii ; -- Begin function _ZN5aiter35fused_qk_rmsnorm_group_quant_kernelItDB8_Li64ELi8ELi4ELb1ELb1ELb1ELb0ELb0ELb0EEEvPT0_PvPT_S6_S6_PKS5_S8_S8_S8_S8_ffiiiiiiiiiiiii
	.globl	_ZN5aiter35fused_qk_rmsnorm_group_quant_kernelItDB8_Li64ELi8ELi4ELb1ELb1ELb1ELb0ELb0ELb0EEEvPT0_PvPT_S6_S6_PKS5_S8_S8_S8_S8_ffiiiiiiiiiiiii
	.p2align	8
	.type	_ZN5aiter35fused_qk_rmsnorm_group_quant_kernelItDB8_Li64ELi8ELi4ELb1ELb1ELb1ELb0ELb0ELb0EEEvPT0_PvPT_S6_S6_PKS5_S8_S8_S8_S8_ffiiiiiiiiiiiii,@function
_ZN5aiter35fused_qk_rmsnorm_group_quant_kernelItDB8_Li64ELi8ELi4ELb1ELb1ELb1ELb0ELb0ELb0EEEvPT0_PvPT_S6_S6_PKS5_S8_S8_S8_S8_ffiiiiiiiiiiiii: ; @_ZN5aiter35fused_qk_rmsnorm_group_quant_kernelItDB8_Li64ELi8ELi4ELb1ELb1ELb1ELb0ELb0ELb0EEEvPT0_PvPT_S6_S6_PKS5_S8_S8_S8_S8_ffiiiiiiiiiiiii
; %bb.0:
	s_load_dwordx8 s[16:23], s[4:5], 0x50
	s_waitcnt lgkmcnt(0)
	s_cmp_ge_i32 s6, s18
	s_cbranch_scc1 .LBB210_15
; %bb.1:
	s_cmp_lg_u32 s7, 0
	s_cselect_b64 s[2:3], -1, 0
	s_cmp_eq_u32 s7, 0
	s_cselect_b64 s[26:27], -1, 0
	s_and_b64 s[0:1], s[26:27], exec
	s_load_dwordx2 s[24:25], s[4:5], 0x48
	s_load_dwordx2 s[34:35], s[4:5], 0x30
	s_load_dwordx8 s[8:15], s[4:5], 0x70
	s_cselect_b32 s7, s19, s20
	s_add_i32 s0, s7, 1
	s_lshr_b32 s1, s0, 31
	s_add_i32 s0, s0, s1
	s_lshl_b32 s0, s0, 1
	v_lshlrev_b32_e32 v1, 3, v0
	s_and_b32 s30, s0, -4
	v_cmp_gt_i32_e64 s[0:1], s7, v1
	v_mov_b32_e32 v10, 0
	v_mov_b32_e32 v11, 0
	;; [unrolled: 1-line block ×8, first 2 shown]
	s_waitcnt lgkmcnt(0)
	s_and_saveexec_b64 s[14:15], s[0:1]
	s_cbranch_execz .LBB210_3
; %bb.2:
	s_load_dwordx2 s[28:29], s[4:5], 0x28
	s_load_dwordx2 s[38:39], s[4:5], 0x40
	s_and_b64 s[36:37], s[26:27], exec
	s_cselect_b32 s18, s21, s22
	v_lshlrev_b32_e32 v2, 4, v0
	s_waitcnt lgkmcnt(0)
	s_cselect_b32 s21, s29, s35
	s_cselect_b32 s31, s28, s34
	s_mul_hi_i32 s29, s18, s6
	s_mul_i32 s28, s18, s6
	s_lshl_b64 s[28:29], s[28:29], 1
	s_add_u32 s36, s31, s28
	s_addc_u32 s18, s21, s29
	s_and_b64 s[26:27], s[26:27], exec
	s_mov_b32 s31, 0x20000
	s_cselect_b32 s28, s38, s24
	s_cselect_b32 s21, s39, s25
	s_and_b32 s37, s18, 0xffff
	s_mov_b32 s38, s30
	s_mov_b32 s39, s31
	s_and_b32 s29, s21, 0xffff
	buffer_load_dwordx4 v[14:17], v2, s[36:39], 0 offen glc slc
	buffer_load_dwordx4 v[10:13], v2, s[28:31], 0 offen
.LBB210_3:
	s_or_b64 exec, exec, s[14:15]
	s_and_b64 vcc, exec, s[2:3]
	s_cbranch_vccz .LBB210_7
; %bb.4:
	s_mov_b32 s36, 0
	s_mov_b32 s37, s36
	;; [unrolled: 1-line block ×8, first 2 shown]
	v_pk_mov_b32 v[2:3], s[36:37], s[36:37] op_sel:[0,1]
	v_pk_mov_b32 v[4:5], s[38:39], s[38:39] op_sel:[0,1]
	;; [unrolled: 1-line block ×4, first 2 shown]
	s_and_saveexec_b64 s[14:15], s[0:1]
	s_cbranch_execz .LBB210_6
; %bb.5:
	s_waitcnt vmcnt(1)
	v_cvt_f32_u32_sdwa v3, v14 dst_sel:DWORD dst_unused:UNUSED_PAD src0_sel:WORD_1
	v_cvt_f32_u32_sdwa v2, v14 dst_sel:DWORD dst_unused:UNUSED_PAD src0_sel:WORD_0
	v_cvt_f32_u32_sdwa v5, v15 dst_sel:DWORD dst_unused:UNUSED_PAD src0_sel:WORD_1
	v_cvt_f32_u32_sdwa v4, v15 dst_sel:DWORD dst_unused:UNUSED_PAD src0_sel:WORD_0
	;; [unrolled: 2-line block ×4, first 2 shown]
.LBB210_6:
	s_or_b64 exec, exec, s[14:15]
	s_mov_b32 s18, s17
	s_cbranch_execz .LBB210_8
	s_branch .LBB210_11
.LBB210_7:
                                        ; implicit-def: $vgpr2_vgpr3_vgpr4_vgpr5_vgpr6_vgpr7_vgpr8_vgpr9
	s_mov_b32 s18, s17
.LBB210_8:
	s_mov_b32 s36, 0
	s_mov_b32 s37, s36
	;; [unrolled: 1-line block ×8, first 2 shown]
	v_pk_mov_b32 v[2:3], s[36:37], s[36:37] op_sel:[0,1]
	v_pk_mov_b32 v[4:5], s[38:39], s[38:39] op_sel:[0,1]
	;; [unrolled: 1-line block ×4, first 2 shown]
	s_and_saveexec_b64 s[14:15], s[0:1]
	s_cbranch_execz .LBB210_10
; %bb.9:
	s_load_dwordx2 s[26:27], s[4:5], 0x38
	s_mul_hi_i32 s29, s23, s6
	s_mul_i32 s28, s23, s6
	s_lshl_b64 s[28:29], s[28:29], 1
	s_mov_b32 s31, 0x20000
	s_waitcnt lgkmcnt(0)
	s_add_u32 s28, s26, s28
	s_addc_u32 s18, s27, s29
	s_and_b32 s29, s18, 0xffff
	v_lshlrev_b32_e32 v26, 4, v0
	buffer_load_dwordx4 v[2:5], v26, s[28:31], 0 offen glc slc
	s_load_dwordx2 s[26:27], s[4:5], 0x20
	s_waitcnt vmcnt(2)
	v_cvt_f32_u32_sdwa v7, v14 dst_sel:DWORD dst_unused:UNUSED_PAD src0_sel:WORD_1
	v_cvt_f32_u32_sdwa v6, v14 dst_sel:DWORD dst_unused:UNUSED_PAD src0_sel:WORD_0
	v_cvt_f32_u32_sdwa v9, v15 dst_sel:DWORD dst_unused:UNUSED_PAD src0_sel:WORD_1
	v_cvt_f32_u32_sdwa v8, v15 dst_sel:DWORD dst_unused:UNUSED_PAD src0_sel:WORD_0
	;; [unrolled: 2-line block ×4, first 2 shown]
	s_mul_hi_i32 s29, s13, s6
	s_mul_i32 s28, s13, s6
	s_lshl_b64 s[28:29], s[28:29], 1
	s_waitcnt lgkmcnt(0)
	s_add_u32 s28, s26, s28
	s_mov_b32 s13, 0x7060302
	s_addc_u32 s18, s27, s29
	s_and_b32 s29, s18, 0xffff
	s_waitcnt vmcnt(0)
	v_cvt_f32_u32_sdwa v17, v2 dst_sel:DWORD dst_unused:UNUSED_PAD src0_sel:WORD_1
	v_cvt_f32_u32_sdwa v16, v2 dst_sel:DWORD dst_unused:UNUSED_PAD src0_sel:WORD_0
	v_cvt_f32_u32_sdwa v21, v3 dst_sel:DWORD dst_unused:UNUSED_PAD src0_sel:WORD_1
	v_cvt_f32_u32_sdwa v20, v3 dst_sel:DWORD dst_unused:UNUSED_PAD src0_sel:WORD_0
	;; [unrolled: 2-line block ×4, first 2 shown]
	v_pk_add_f32 v[2:3], v[6:7], v[16:17]
	v_pk_add_f32 v[4:5], v[8:9], v[20:21]
	;; [unrolled: 1-line block ×4, first 2 shown]
	v_perm_b32 v17, v9, v8, s13
	v_perm_b32 v16, v7, v6, s13
	;; [unrolled: 1-line block ×4, first 2 shown]
	buffer_store_dwordx4 v[14:17], v26, s[28:31], 0 offen glc slc
	;;#ASMSTART
	s_nop 0
	;;#ASMEND
.LBB210_10:
	s_or_b64 exec, exec, s[14:15]
	s_mov_b32 s18, s16
.LBB210_11:
	s_waitcnt vmcnt(1)
	v_mul_f32_e32 v14, v3, v3
	v_fmac_f32_e32 v14, v2, v2
	v_fmac_f32_e32 v14, v4, v4
	;; [unrolled: 1-line block ×7, first 2 shown]
	v_bfrev_b32_e32 v16, 0.5
	s_load_dwordx2 s[14:15], s[4:5], 0x18
	v_mov_b32_dpp v15, v14 quad_perm:[1,0,3,2] row_mask:0xf bank_mask:0xf
	v_add_f32_e32 v14, v14, v15
	s_nop 1
	v_mov_b32_dpp v15, v14 quad_perm:[2,3,0,1] row_mask:0xf bank_mask:0xf
	v_add_f32_e32 v14, v14, v15
	s_nop 1
	v_mov_b32_dpp v15, v14 row_half_mirror row_mask:0xf bank_mask:0xf
	v_add_f32_e32 v14, v14, v15
	s_nop 1
	v_mov_b32_dpp v15, v14 row_mirror row_mask:0xf bank_mask:0xf
	v_add_f32_e32 v14, v14, v15
	s_nop 1
	v_mov_b32_dpp v15, v14 row_bcast:15 row_mask:0xf bank_mask:0xf
	v_add_f32_e32 v14, v14, v15
	s_nop 1
	v_mov_b32_dpp v15, v14 row_bcast:31 row_mask:0xf bank_mask:0xf
	v_add_f32_e32 v15, v14, v15
	v_mbcnt_lo_u32_b32 v14, -1, 0
	v_mbcnt_hi_u32_b32 v14, -1, v14
	v_lshl_or_b32 v14, v14, 2, v16
	ds_bpermute_b32 v15, v14, v15
	s_and_saveexec_b64 s[26:27], s[0:1]
	s_cbranch_execnz .LBB210_16
; %bb.12:
	s_or_b64 exec, exec, s[26:27]
	s_mov_b64 s[26:27], -1
	s_and_b64 vcc, exec, s[2:3]
	s_cbranch_vccnz .LBB210_17
.LBB210_13:
	s_andn2_b64 vcc, exec, s[26:27]
	s_cbranch_vccz .LBB210_20
.LBB210_14:
	s_cmp_lt_i32 s20, 1
	s_cbranch_scc0 .LBB210_29
.LBB210_15:
	s_endpgm
.LBB210_16:
	v_cvt_f32_u32_e32 v16, s7
	s_mov_b32 s7, 0x800000
	s_waitcnt lgkmcnt(0)
	v_div_scale_f32 v17, s[28:29], v16, v16, v15
	v_rcp_f32_e32 v18, v17
	v_div_scale_f32 v19, vcc, v15, v16, v15
	v_fma_f32 v20, -v17, v18, 1.0
	v_fmac_f32_e32 v18, v20, v18
	v_mul_f32_e32 v20, v19, v18
	v_fma_f32 v21, -v17, v20, v19
	v_fmac_f32_e32 v20, v21, v18
	v_fma_f32 v17, -v17, v20, v19
	v_div_fmas_f32 v17, v17, v18, v20
	v_div_fixup_f32 v15, v17, v16, v15
	v_add_f32_e32 v15, s18, v15
	v_mul_f32_e32 v16, 0x4b800000, v15
	v_cmp_gt_f32_e32 vcc, s7, v15
	v_cndmask_b32_e32 v15, v15, v16, vcc
	v_rsq_f32_e32 v15, v15
	s_waitcnt vmcnt(0)
	v_cvt_f32_u32_sdwa v17, v10 dst_sel:DWORD dst_unused:UNUSED_PAD src0_sel:WORD_1
	v_cvt_f32_u32_sdwa v21, v11 dst_sel:DWORD dst_unused:UNUSED_PAD src0_sel:WORD_1
	v_cvt_f32_u32_sdwa v20, v11 dst_sel:DWORD dst_unused:UNUSED_PAD src0_sel:WORD_0
	v_mul_f32_e32 v16, 0x45800000, v15
	v_cndmask_b32_e32 v18, v15, v16, vcc
	v_cvt_f32_u32_sdwa v16, v10 dst_sel:DWORD dst_unused:UNUSED_PAD src0_sel:WORD_0
	v_mov_b32_e32 v19, v18
	;;#ASMSTART
	v_pk_mul_f32 v[2:3], v[2:3], v[18:19]
	;;#ASMEND
	;;#ASMSTART
	v_pk_mul_f32 v[4:5], v[4:5], v[18:19]
	;;#ASMEND
	v_pk_add_f32 v[10:11], v[16:17], 1.0 op_sel_hi:[1,0]
	v_cvt_f32_u32_sdwa v17, v12 dst_sel:DWORD dst_unused:UNUSED_PAD src0_sel:WORD_1
	v_cvt_f32_u32_sdwa v16, v12 dst_sel:DWORD dst_unused:UNUSED_PAD src0_sel:WORD_0
	;;#ASMSTART
	v_pk_mul_f32 v[6:7], v[6:7], v[18:19]
	;;#ASMEND
	;;#ASMSTART
	v_pk_mul_f32 v[8:9], v[8:9], v[18:19]
	;;#ASMEND
	v_cvt_f32_u32_sdwa v19, v13 dst_sel:DWORD dst_unused:UNUSED_PAD src0_sel:WORD_1
	v_cvt_f32_u32_sdwa v18, v13 dst_sel:DWORD dst_unused:UNUSED_PAD src0_sel:WORD_0
	;;#ASMSTART
	v_pk_mul_f32 v[2:3], v[2:3], v[10:11]
	;;#ASMEND
	v_pk_add_f32 v[10:11], v[20:21], 1.0 op_sel_hi:[1,0]
	;;#ASMSTART
	v_pk_mul_f32 v[4:5], v[4:5], v[10:11]
	;;#ASMEND
	v_pk_add_f32 v[10:11], v[16:17], 1.0 op_sel_hi:[1,0]
	;; [unrolled: 4-line block ×3, first 2 shown]
	;;#ASMSTART
	v_pk_mul_f32 v[8:9], v[8:9], v[10:11]
	;;#ASMEND
	s_or_b64 exec, exec, s[26:27]
	s_mov_b64 s[26:27], -1
	s_and_b64 vcc, exec, s[2:3]
	s_cbranch_vccz .LBB210_13
.LBB210_17:
	s_and_saveexec_b64 s[2:3], s[0:1]
	s_cbranch_execz .LBB210_19
; %bb.18:
	s_mul_hi_i32 s27, s12, s6
	s_mul_i32 s26, s12, s6
	s_lshl_b64 s[26:27], s[26:27], 1
	s_waitcnt lgkmcnt(0)
	s_add_u32 s28, s14, s26
	s_addc_u32 s7, s15, s27
	s_and_b32 s29, s7, 0xffff
	s_mov_b32 s7, 0x7060302
	s_mov_b32 s31, 0x20000
	s_waitcnt vmcnt(0)
	v_perm_b32 v10, v3, v2, s7
	v_perm_b32 v11, v5, v4, s7
	;; [unrolled: 1-line block ×4, first 2 shown]
	v_lshlrev_b32_e32 v15, 4, v0
	buffer_store_dwordx4 v[10:13], v15, s[28:31], 0 offen
	;;#ASMSTART
	s_nop 0
	;;#ASMEND
.LBB210_19:
	s_or_b64 exec, exec, s[2:3]
	s_cbranch_execnz .LBB210_14
.LBB210_20:
	s_waitcnt vmcnt(0)
	v_mov_b32_e32 v10, 0
	s_and_saveexec_b64 s[2:3], s[0:1]
	s_cbranch_execz .LBB210_22
; %bb.21:
	s_load_dwordx2 s[26:27], s[4:5], 0x10
	s_mul_hi_i32 s29, s11, s6
	s_mul_i32 s28, s11, s6
	s_lshl_b64 s[28:29], s[28:29], 1
	s_mov_b32 s31, 0x20000
	s_waitcnt lgkmcnt(0)
	s_add_u32 s28, s26, s28
	s_addc_u32 s7, s27, s29
	s_and_b32 s29, s7, 0xffff
	s_mov_b32 s7, 0x7060302
	v_perm_b32 v10, v3, v2, s7
	v_perm_b32 v11, v5, v4, s7
	;; [unrolled: 1-line block ×4, first 2 shown]
	v_lshlrev_b32_e32 v15, 4, v0
	buffer_store_dwordx4 v[10:13], v15, s[28:31], 0 offen
	;;#ASMSTART
	s_nop 0
	;;#ASMEND
	s_nop 0
	v_mov_b32_e32 v10, 0x2edbe6ff
.LBB210_22:
	s_or_b64 exec, exec, s[2:3]
	s_and_saveexec_b64 s[2:3], s[0:1]
	s_cbranch_execz .LBB210_24
; %bb.23:
	v_and_b32_e32 v11, 0x7fffffff, v2
	v_and_b32_e32 v12, 0x7fffffff, v3
	;;#ASMSTART
	v_max3_f32 v10, v10, v11, v12

	;;#ASMEND
	v_and_b32_e32 v11, 0x7fffffff, v4
	v_and_b32_e32 v12, 0x7fffffff, v5
	;;#ASMSTART
	v_max3_f32 v10, v10, v11, v12

	;;#ASMEND
	;; [unrolled: 6-line block ×4, first 2 shown]
.LBB210_24:
	s_or_b64 exec, exec, s[2:3]
	;;#ASMSTART
	v_max_f32 v11, v10, v10 quad_perm:[1,0,3,2] row_mask:0xf bank_mask:0xf bound_ctrl:1
	;;#ASMEND
	;;#ASMSTART
	v_max_f32 v10, v11, v11 quad_perm:[2,3,0,1] row_mask:0xf bank_mask:0xf bound_ctrl:1
	;;#ASMEND
	v_and_b32_e32 v11, 3, v0
	v_cmp_eq_u32_e32 vcc, 0, v11
	v_cmp_gt_i32_e64 s[2:3], s19, v1
	v_mul_f32_e32 v10, 0x3b124925, v10
	s_and_b64 s[26:27], vcc, s[2:3]
	s_and_saveexec_b64 s[2:3], s[26:27]
	s_cbranch_execz .LBB210_26
; %bb.25:
	s_load_dwordx2 s[26:27], s[4:5], 0x8
	v_lshrrev_b32_e32 v11, 2, v0
	s_mul_hi_i32 s29, s9, s6
	s_mul_i32 s28, s9, s6
	v_mad_i64_i32 v[12:13], s[10:11], s10, v11, 0
	s_lshl_b64 s[10:11], s[28:29], 2
	s_waitcnt lgkmcnt(0)
	s_add_u32 s7, s26, s10
	s_addc_u32 s9, s27, s11
	v_lshlrev_b64 v[12:13], 2, v[12:13]
	v_mov_b32_e32 v11, s9
	v_add_co_u32_e32 v12, vcc, s7, v12
	v_addc_co_u32_e32 v13, vcc, v11, v13, vcc
	global_store_dword v[12:13], v10, off
.LBB210_26:
	s_or_b64 exec, exec, s[2:3]
	;;#ASMSTART
	v_rcp_f32 v10, v10
	;;#ASMEND
	s_and_saveexec_b64 s[10:11], s[0:1]
	s_cbranch_execz .LBB210_28
; %bb.27:
	v_mov_b32_e32 v11, v10
	;;#ASMSTART
	v_pk_mul_f32 v[2:3], v[2:3], v[10:11]
	;;#ASMEND
	v_mov_b32_e32 v12, 0xc3e00000
	v_mov_b32_e32 v13, 0x43e00000
	s_waitcnt lgkmcnt(0)
	;;#ASMSTART
	v_med3_f32 v2, v2, v12, v13
v_med3_f32 v3, v3, v12, v13
v_cvt_pk_fp8_f32 v15, v2, v3
	;;#ASMEND
	s_load_dwordx2 s[0:1], s[4:5], 0x0
	;;#ASMSTART
	v_pk_mul_f32 v[2:3], v[4:5], v[10:11]
	;;#ASMEND
	s_mul_hi_i32 s2, s8, s6
	s_mul_i32 s3, s8, s6
	;;#ASMSTART
	v_med3_f32 v2, v2, v12, v13
v_med3_f32 v3, v3, v12, v13
v_cvt_pk_fp8_f32 v4, v2, v3
	;;#ASMEND
	s_mov_b32 s8, 0x5040100
	v_perm_b32 v3, v4, v15, s8
	s_movk_i32 s8, 0xff
	v_and_b32_e32 v2, 0xffffff00, v4
	v_and_b32_sdwa v4, v3, s8 dst_sel:DWORD dst_unused:UNUSED_PAD src0_sel:WORD_1 src1_sel:DWORD
	s_mov_b32 s7, 0xffff
	v_or_b32_sdwa v2, v4, v2 dst_sel:WORD_1 dst_unused:UNUSED_PAD src0_sel:DWORD src1_sel:DWORD
	s_waitcnt lgkmcnt(0)
	s_add_u32 s0, s0, s3
	v_and_or_b32 v2, v3, s7, v2
	;;#ASMSTART
	v_pk_mul_f32 v[4:5], v[6:7], v[10:11]
	;;#ASMEND
	v_mov_b32_e32 v3, v4
	s_addc_u32 s1, s1, s2
	s_add_i32 s2, s19, 3
	;;#ASMSTART
	v_med3_f32 v3, v3, v12, v13
v_med3_f32 v5, v5, v12, v13
v_cvt_pk_fp8_f32 v6, v3, v5
	;;#ASMEND
	s_ashr_i32 s3, s2, 31
	;;#ASMSTART
	v_pk_mul_f32 v[4:5], v[8:9], v[10:11]
	;;#ASMEND
	v_mov_b32_e32 v3, v5
	s_lshr_b32 s3, s3, 30
	;;#ASMSTART
	v_med3_f32 v4, v4, v12, v13
v_med3_f32 v3, v3, v12, v13
v_cvt_pk_fp8_f32 v5, v4, v3
	;;#ASMEND
	s_add_i32 s2, s2, s3
	v_lshlrev_b32_e32 v3, 16, v5
	s_and_b32 s2, s2, -4
	s_and_b32 s1, s1, 0xffff
	s_mov_b32 s3, 0x20000
	v_and_or_b32 v3, v6, s7, v3
	buffer_store_dwordx2 v[2:3], v1, s[0:3], 0 offen
	;;#ASMSTART
	s_nop 0
	;;#ASMEND
.LBB210_28:
	s_or_b64 exec, exec, s[10:11]
	s_cmp_lt_i32 s20, 1
	s_cbranch_scc1 .LBB210_15
.LBB210_29:
	s_load_dword s0, s[4:5], 0x94
	s_waitcnt lgkmcnt(0)
	s_cmp_lg_u32 s0, 1
	s_cbranch_scc1 .LBB210_15
; %bb.30:
	s_lshl_b32 s0, s20, 1
	s_add_i32 s0, s0, 2
	v_cmp_gt_u32_e32 vcc, s20, v1
	s_and_b32 s26, s0, -4
	v_mov_b32_e32 v4, 0
	s_waitcnt vmcnt(0)
	v_lshlrev_b32_e32 v12, 4, v0
	v_mov_b32_e32 v5, 0
	v_mov_b32_e32 v6, 0
	;; [unrolled: 1-line block ×7, first 2 shown]
	s_barrier
	s_and_saveexec_b64 s[0:1], vcc
	s_cbranch_execz .LBB210_32
; %bb.31:
	s_mul_hi_i32 s3, s22, s6
	s_mul_i32 s2, s22, s6
	s_and_b32 s25, s25, 0xffff
	s_lshl_b64 s[2:3], s[2:3], 1
	s_add_u32 s8, s34, s2
	s_mov_b32 s27, 0x20000
	s_addc_u32 s2, s35, s3
	s_and_b32 s9, s2, 0xffff
	s_mov_b32 s10, s26
	s_mov_b32 s11, s27
	buffer_load_dwordx4 v[4:7], v12, s[8:11], 0 offen glc slc
	buffer_load_dwordx4 v[0:3], v12, s[24:27], 0 offen
.LBB210_32:
	s_or_b64 exec, exec, s[0:1]
	s_waitcnt vmcnt(1)
	v_cvt_f32_u32_sdwa v11, v4 dst_sel:DWORD dst_unused:UNUSED_PAD src0_sel:WORD_1
	v_cvt_f32_u32_sdwa v10, v4 dst_sel:DWORD dst_unused:UNUSED_PAD src0_sel:WORD_0
	v_cvt_f32_u32_sdwa v4, v7 dst_sel:DWORD dst_unused:UNUSED_PAD src0_sel:WORD_1
	v_cvt_f32_u32_sdwa v7, v7 dst_sel:DWORD dst_unused:UNUSED_PAD src0_sel:WORD_0
	;; [unrolled: 2-line block ×4, first 2 shown]
	v_cndmask_b32_e32 v11, 0, v11, vcc
	v_cndmask_b32_e32 v5, 0, v4, vcc
	;; [unrolled: 1-line block ×5, first 2 shown]
	v_mul_f32_e32 v13, v11, v11
	v_cndmask_b32_e32 v8, 0, v8, vcc
	v_fmac_f32_e32 v13, v10, v10
	v_cndmask_b32_e32 v9, 0, v9, vcc
	v_fmac_f32_e32 v13, v8, v8
	;; [unrolled: 2-line block ×3, first 2 shown]
	v_fmac_f32_e32 v13, v6, v6
	v_fmac_f32_e32 v13, v7, v7
	;; [unrolled: 1-line block ×4, first 2 shown]
	s_nop 1
	v_mov_b32_dpp v15, v13 quad_perm:[1,0,3,2] row_mask:0xf bank_mask:0xf
	v_add_f32_e32 v13, v13, v15
	s_nop 1
	v_mov_b32_dpp v15, v13 quad_perm:[2,3,0,1] row_mask:0xf bank_mask:0xf
	v_add_f32_e32 v13, v13, v15
	s_nop 1
	v_mov_b32_dpp v15, v13 row_half_mirror row_mask:0xf bank_mask:0xf
	v_add_f32_e32 v13, v13, v15
	s_nop 1
	v_mov_b32_dpp v15, v13 row_mirror row_mask:0xf bank_mask:0xf
	v_add_f32_e32 v13, v13, v15
	s_nop 1
	v_mov_b32_dpp v15, v13 row_bcast:15 row_mask:0xf bank_mask:0xf
	v_add_f32_e32 v13, v13, v15
	s_nop 1
	v_mov_b32_dpp v15, v13 row_bcast:31 row_mask:0xf bank_mask:0xf
	v_add_f32_e32 v13, v13, v15
	ds_bpermute_b32 v13, v14, v13
	s_and_saveexec_b64 s[0:1], vcc
	s_cbranch_execz .LBB210_15
; %bb.33:
	v_cvt_f32_u32_e32 v14, s20
	s_mov_b32 s27, 0x20000
	s_waitcnt lgkmcnt(0)
	v_div_scale_f32 v15, s[0:1], v14, v14, v13
	v_rcp_f32_e32 v16, v15
	v_div_scale_f32 v17, vcc, v13, v14, v13
	s_mov_b32 s0, 0x800000
	v_fma_f32 v18, -v15, v16, 1.0
	v_fmac_f32_e32 v16, v18, v16
	v_mul_f32_e32 v18, v17, v16
	v_fma_f32 v19, -v15, v18, v17
	v_fmac_f32_e32 v18, v19, v16
	v_fma_f32 v15, -v15, v18, v17
	v_div_fmas_f32 v15, v15, v16, v18
	v_div_fixup_f32 v13, v15, v14, v13
	v_add_f32_e32 v13, s17, v13
	v_mul_f32_e32 v14, 0x4b800000, v13
	v_cmp_gt_f32_e32 vcc, s0, v13
	v_cndmask_b32_e32 v13, v13, v14, vcc
	v_rsq_f32_e32 v13, v13
	s_waitcnt vmcnt(0)
	v_cvt_f32_u32_sdwa v15, v0 dst_sel:DWORD dst_unused:UNUSED_PAD src0_sel:WORD_1
	v_cvt_f32_u32_sdwa v19, v1 dst_sel:DWORD dst_unused:UNUSED_PAD src0_sel:WORD_1
	v_cvt_f32_u32_sdwa v18, v1 dst_sel:DWORD dst_unused:UNUSED_PAD src0_sel:WORD_0
	v_mul_f32_e32 v14, 0x45800000, v13
	v_cndmask_b32_e32 v16, v13, v14, vcc
	v_cvt_f32_u32_sdwa v14, v0 dst_sel:DWORD dst_unused:UNUSED_PAD src0_sel:WORD_0
	v_mov_b32_e32 v17, v16
	;;#ASMSTART
	v_pk_mul_f32 v[10:11], v[10:11], v[16:17]
	;;#ASMEND
	;;#ASMSTART
	v_pk_mul_f32 v[8:9], v[8:9], v[16:17]
	;;#ASMEND
	;; [unrolled: 3-line block ×4, first 2 shown]
	v_pk_add_f32 v[4:5], v[14:15], 1.0 op_sel_hi:[1,0]
	v_cvt_f32_u32_sdwa v15, v2 dst_sel:DWORD dst_unused:UNUSED_PAD src0_sel:WORD_1
	v_cvt_f32_u32_sdwa v14, v2 dst_sel:DWORD dst_unused:UNUSED_PAD src0_sel:WORD_0
	v_cvt_f32_u32_sdwa v17, v3 dst_sel:DWORD dst_unused:UNUSED_PAD src0_sel:WORD_1
	v_cvt_f32_u32_sdwa v16, v3 dst_sel:DWORD dst_unused:UNUSED_PAD src0_sel:WORD_0
	s_mul_hi_i32 s1, s12, s6
	s_mul_i32 s0, s12, s6
	s_lshl_b64 s[0:1], s[0:1], 1
	s_add_u32 s24, s14, s0
	;;#ASMSTART
	v_pk_mul_f32 v[4:5], v[10:11], v[4:5]
	;;#ASMEND
	v_pk_add_f32 v[10:11], v[18:19], 1.0 op_sel_hi:[1,0]
	;;#ASMSTART
	v_pk_mul_f32 v[2:3], v[8:9], v[10:11]
	;;#ASMEND
	v_pk_add_f32 v[8:9], v[14:15], 1.0 op_sel_hi:[1,0]
	s_addc_u32 s0, s15, s1
	;;#ASMSTART
	v_pk_mul_f32 v[6:7], v[6:7], v[8:9]
	;;#ASMEND
	v_pk_add_f32 v[8:9], v[16:17], 1.0 op_sel_hi:[1,0]
	s_and_b32 s25, s0, 0xffff
	s_mov_b32 s0, 0x7060302
	;;#ASMSTART
	v_pk_mul_f32 v[8:9], v[0:1], v[8:9]
	;;#ASMEND
	v_perm_b32 v0, v5, v4, s0
	v_perm_b32 v1, v3, v2, s0
	;; [unrolled: 1-line block ×4, first 2 shown]
	buffer_store_dwordx4 v[0:3], v12, s[24:27], 0 offen
	;;#ASMSTART
	s_nop 0
	;;#ASMEND
	s_endpgm
	.section	.rodata,"a",@progbits
	.p2align	6, 0x0
	.amdhsa_kernel _ZN5aiter35fused_qk_rmsnorm_group_quant_kernelItDB8_Li64ELi8ELi4ELb1ELb1ELb1ELb0ELb0ELb0EEEvPT0_PvPT_S6_S6_PKS5_S8_S8_S8_S8_ffiiiiiiiiiiiii
		.amdhsa_group_segment_fixed_size 0
		.amdhsa_private_segment_fixed_size 0
		.amdhsa_kernarg_size 400
		.amdhsa_user_sgpr_count 6
		.amdhsa_user_sgpr_private_segment_buffer 1
		.amdhsa_user_sgpr_dispatch_ptr 0
		.amdhsa_user_sgpr_queue_ptr 0
		.amdhsa_user_sgpr_kernarg_segment_ptr 1
		.amdhsa_user_sgpr_dispatch_id 0
		.amdhsa_user_sgpr_flat_scratch_init 0
		.amdhsa_user_sgpr_kernarg_preload_length 0
		.amdhsa_user_sgpr_kernarg_preload_offset 0
		.amdhsa_user_sgpr_private_segment_size 0
		.amdhsa_uses_dynamic_stack 0
		.amdhsa_system_sgpr_private_segment_wavefront_offset 0
		.amdhsa_system_sgpr_workgroup_id_x 1
		.amdhsa_system_sgpr_workgroup_id_y 1
		.amdhsa_system_sgpr_workgroup_id_z 0
		.amdhsa_system_sgpr_workgroup_info 0
		.amdhsa_system_vgpr_workitem_id 0
		.amdhsa_next_free_vgpr 27
		.amdhsa_next_free_sgpr 44
		.amdhsa_accum_offset 28
		.amdhsa_reserve_vcc 1
		.amdhsa_reserve_flat_scratch 0
		.amdhsa_float_round_mode_32 0
		.amdhsa_float_round_mode_16_64 0
		.amdhsa_float_denorm_mode_32 3
		.amdhsa_float_denorm_mode_16_64 3
		.amdhsa_dx10_clamp 1
		.amdhsa_ieee_mode 1
		.amdhsa_fp16_overflow 0
		.amdhsa_tg_split 0
		.amdhsa_exception_fp_ieee_invalid_op 0
		.amdhsa_exception_fp_denorm_src 0
		.amdhsa_exception_fp_ieee_div_zero 0
		.amdhsa_exception_fp_ieee_overflow 0
		.amdhsa_exception_fp_ieee_underflow 0
		.amdhsa_exception_fp_ieee_inexact 0
		.amdhsa_exception_int_div_zero 0
	.end_amdhsa_kernel
	.section	.text._ZN5aiter35fused_qk_rmsnorm_group_quant_kernelItDB8_Li64ELi8ELi4ELb1ELb1ELb1ELb0ELb0ELb0EEEvPT0_PvPT_S6_S6_PKS5_S8_S8_S8_S8_ffiiiiiiiiiiiii,"axG",@progbits,_ZN5aiter35fused_qk_rmsnorm_group_quant_kernelItDB8_Li64ELi8ELi4ELb1ELb1ELb1ELb0ELb0ELb0EEEvPT0_PvPT_S6_S6_PKS5_S8_S8_S8_S8_ffiiiiiiiiiiiii,comdat
.Lfunc_end210:
	.size	_ZN5aiter35fused_qk_rmsnorm_group_quant_kernelItDB8_Li64ELi8ELi4ELb1ELb1ELb1ELb0ELb0ELb0EEEvPT0_PvPT_S6_S6_PKS5_S8_S8_S8_S8_ffiiiiiiiiiiiii, .Lfunc_end210-_ZN5aiter35fused_qk_rmsnorm_group_quant_kernelItDB8_Li64ELi8ELi4ELb1ELb1ELb1ELb0ELb0ELb0EEEvPT0_PvPT_S6_S6_PKS5_S8_S8_S8_S8_ffiiiiiiiiiiiii
                                        ; -- End function
	.section	.AMDGPU.csdata,"",@progbits
; Kernel info:
; codeLenInByte = 2992
; NumSgprs: 48
; NumVgprs: 27
; NumAgprs: 0
; TotalNumVgprs: 27
; ScratchSize: 0
; MemoryBound: 0
; FloatMode: 240
; IeeeMode: 1
; LDSByteSize: 0 bytes/workgroup (compile time only)
; SGPRBlocks: 5
; VGPRBlocks: 3
; NumSGPRsForWavesPerEU: 48
; NumVGPRsForWavesPerEU: 27
; AccumOffset: 28
; Occupancy: 8
; WaveLimiterHint : 0
; COMPUTE_PGM_RSRC2:SCRATCH_EN: 0
; COMPUTE_PGM_RSRC2:USER_SGPR: 6
; COMPUTE_PGM_RSRC2:TRAP_HANDLER: 0
; COMPUTE_PGM_RSRC2:TGID_X_EN: 1
; COMPUTE_PGM_RSRC2:TGID_Y_EN: 1
; COMPUTE_PGM_RSRC2:TGID_Z_EN: 0
; COMPUTE_PGM_RSRC2:TIDIG_COMP_CNT: 0
; COMPUTE_PGM_RSRC3_GFX90A:ACCUM_OFFSET: 6
; COMPUTE_PGM_RSRC3_GFX90A:TG_SPLIT: 0
	.section	.text._ZN5aiter35fused_qk_rmsnorm_group_quant_kernelIDF16_N4opus5fp4_tELi64ELi8ELi4ELb1ELb1ELb1ELb0ELb0ELb0EEEvPT0_PvPT_S7_S7_PKS6_S9_S9_S9_S9_ffiiiiiiiiiiiii,"axG",@progbits,_ZN5aiter35fused_qk_rmsnorm_group_quant_kernelIDF16_N4opus5fp4_tELi64ELi8ELi4ELb1ELb1ELb1ELb0ELb0ELb0EEEvPT0_PvPT_S7_S7_PKS6_S9_S9_S9_S9_ffiiiiiiiiiiiii,comdat
	.protected	_ZN5aiter35fused_qk_rmsnorm_group_quant_kernelIDF16_N4opus5fp4_tELi64ELi8ELi4ELb1ELb1ELb1ELb0ELb0ELb0EEEvPT0_PvPT_S7_S7_PKS6_S9_S9_S9_S9_ffiiiiiiiiiiiii ; -- Begin function _ZN5aiter35fused_qk_rmsnorm_group_quant_kernelIDF16_N4opus5fp4_tELi64ELi8ELi4ELb1ELb1ELb1ELb0ELb0ELb0EEEvPT0_PvPT_S7_S7_PKS6_S9_S9_S9_S9_ffiiiiiiiiiiiii
	.globl	_ZN5aiter35fused_qk_rmsnorm_group_quant_kernelIDF16_N4opus5fp4_tELi64ELi8ELi4ELb1ELb1ELb1ELb0ELb0ELb0EEEvPT0_PvPT_S7_S7_PKS6_S9_S9_S9_S9_ffiiiiiiiiiiiii
	.p2align	8
	.type	_ZN5aiter35fused_qk_rmsnorm_group_quant_kernelIDF16_N4opus5fp4_tELi64ELi8ELi4ELb1ELb1ELb1ELb0ELb0ELb0EEEvPT0_PvPT_S7_S7_PKS6_S9_S9_S9_S9_ffiiiiiiiiiiiii,@function
_ZN5aiter35fused_qk_rmsnorm_group_quant_kernelIDF16_N4opus5fp4_tELi64ELi8ELi4ELb1ELb1ELb1ELb0ELb0ELb0EEEvPT0_PvPT_S7_S7_PKS6_S9_S9_S9_S9_ffiiiiiiiiiiiii: ; @_ZN5aiter35fused_qk_rmsnorm_group_quant_kernelIDF16_N4opus5fp4_tELi64ELi8ELi4ELb1ELb1ELb1ELb0ELb0ELb0EEEvPT0_PvPT_S7_S7_PKS6_S9_S9_S9_S9_ffiiiiiiiiiiiii
; %bb.0:
	s_load_dwordx8 s[16:23], s[4:5], 0x50
	s_waitcnt lgkmcnt(0)
	s_cmp_ge_i32 s6, s18
	s_cbranch_scc1 .LBB211_15
; %bb.1:
	s_cmp_lg_u32 s7, 0
	s_cselect_b64 s[2:3], -1, 0
	s_cmp_eq_u32 s7, 0
	s_cselect_b64 s[26:27], -1, 0
	s_and_b64 s[0:1], s[26:27], exec
	s_load_dwordx2 s[24:25], s[4:5], 0x48
	s_load_dwordx2 s[34:35], s[4:5], 0x30
	s_load_dwordx8 s[8:15], s[4:5], 0x70
	s_cselect_b32 s7, s19, s20
	s_add_i32 s0, s7, 1
	s_lshr_b32 s1, s0, 31
	s_add_i32 s0, s0, s1
	s_lshl_b32 s0, s0, 1
	v_lshlrev_b32_e32 v1, 3, v0
	s_and_b32 s30, s0, -4
	v_cmp_gt_i32_e64 s[0:1], s7, v1
	v_mov_b32_e32 v2, 0
	v_mov_b32_e32 v3, 0
	;; [unrolled: 1-line block ×8, first 2 shown]
	s_waitcnt lgkmcnt(0)
	s_and_saveexec_b64 s[14:15], s[0:1]
	s_cbranch_execz .LBB211_3
; %bb.2:
	s_load_dwordx2 s[28:29], s[4:5], 0x28
	s_load_dwordx2 s[38:39], s[4:5], 0x40
	s_and_b64 s[36:37], s[26:27], exec
	s_cselect_b32 s18, s21, s22
	v_lshlrev_b32_e32 v10, 4, v0
	s_waitcnt lgkmcnt(0)
	s_cselect_b32 s21, s29, s35
	s_cselect_b32 s31, s28, s34
	s_mul_hi_i32 s29, s18, s6
	s_mul_i32 s28, s18, s6
	s_lshl_b64 s[28:29], s[28:29], 1
	s_add_u32 s36, s31, s28
	s_addc_u32 s18, s21, s29
	s_and_b64 s[26:27], s[26:27], exec
	s_mov_b32 s31, 0x20000
	s_cselect_b32 s28, s38, s24
	s_cselect_b32 s21, s39, s25
	s_and_b32 s37, s18, 0xffff
	s_mov_b32 s38, s30
	s_mov_b32 s39, s31
	s_and_b32 s29, s21, 0xffff
	buffer_load_dwordx4 v[6:9], v10, s[36:39], 0 offen glc slc
	buffer_load_dwordx4 v[2:5], v10, s[28:31], 0 offen
.LBB211_3:
	s_or_b64 exec, exec, s[14:15]
	s_and_b64 vcc, exec, s[2:3]
	s_cbranch_vccz .LBB211_7
; %bb.4:
	v_mov_b32_e32 v11, 0
	v_mov_b32_e32 v10, 0
	;; [unrolled: 1-line block ×8, first 2 shown]
	s_and_saveexec_b64 s[14:15], s[0:1]
	s_cbranch_execz .LBB211_6
; %bb.5:
	s_waitcnt vmcnt(1)
	v_cvt_f32_f16_sdwa v13, v6 dst_sel:DWORD dst_unused:UNUSED_PAD src0_sel:WORD_1
	v_cvt_f32_f16_e32 v12, v6
	v_cvt_f32_f16_sdwa v17, v7 dst_sel:DWORD dst_unused:UNUSED_PAD src0_sel:WORD_1
	v_cvt_f32_f16_e32 v16, v7
	;; [unrolled: 2-line block ×4, first 2 shown]
.LBB211_6:
	s_or_b64 exec, exec, s[14:15]
	s_mov_b32 s18, s17
	s_cbranch_execz .LBB211_8
	s_branch .LBB211_11
.LBB211_7:
                                        ; implicit-def: $vgpr11
                                        ; implicit-def: $vgpr15
                                        ; implicit-def: $vgpr17
                                        ; implicit-def: $vgpr13
	s_mov_b32 s18, s17
.LBB211_8:
	v_mov_b32_e32 v11, 0
	v_mov_b32_e32 v10, 0
	;; [unrolled: 1-line block ×8, first 2 shown]
	s_and_saveexec_b64 s[14:15], s[0:1]
	s_cbranch_execz .LBB211_10
; %bb.9:
	s_load_dwordx2 s[26:27], s[4:5], 0x38
	s_mul_hi_i32 s29, s23, s6
	s_mul_i32 s28, s23, s6
	s_lshl_b64 s[28:29], s[28:29], 1
	s_mov_b32 s31, 0x20000
	s_waitcnt lgkmcnt(0)
	s_add_u32 s28, s26, s28
	s_addc_u32 s18, s27, s29
	s_and_b32 s29, s18, 0xffff
	v_lshlrev_b32_e32 v24, 4, v0
	buffer_load_dwordx4 v[10:13], v24, s[28:31], 0 offen glc slc
	s_waitcnt vmcnt(2)
	v_cvt_f32_f16_sdwa v15, v6 dst_sel:DWORD dst_unused:UNUSED_PAD src0_sel:WORD_1
	v_cvt_f32_f16_e32 v14, v6
	v_cvt_f32_f16_sdwa v17, v7 dst_sel:DWORD dst_unused:UNUSED_PAD src0_sel:WORD_1
	v_cvt_f32_f16_e32 v16, v7
	;; [unrolled: 2-line block ×4, first 2 shown]
	s_load_dwordx2 s[26:27], s[4:5], 0x20
	s_mul_hi_i32 s29, s13, s6
	s_mul_i32 s28, s13, s6
	s_lshl_b64 s[28:29], s[28:29], 1
	s_waitcnt lgkmcnt(0)
	s_add_u32 s28, s26, s28
	s_addc_u32 s13, s27, s29
	s_and_b32 s29, s13, 0xffff
	s_waitcnt vmcnt(0)
	v_cvt_f32_f16_e32 v8, v10
	v_cvt_f32_f16_sdwa v9, v10 dst_sel:DWORD dst_unused:UNUSED_PAD src0_sel:WORD_1
	v_cvt_f32_f16_e32 v10, v11
	v_cvt_f32_f16_sdwa v11, v11 dst_sel:DWORD dst_unused:UNUSED_PAD src0_sel:WORD_1
	;; [unrolled: 2-line block ×4, first 2 shown]
	v_pk_add_f32 v[12:13], v[14:15], v[8:9]
	v_pk_add_f32 v[16:17], v[16:17], v[10:11]
	;; [unrolled: 1-line block ×4, first 2 shown]
	v_cvt_f16_f32_e32 v6, v13
	v_cvt_f16_f32_e32 v7, v17
	;; [unrolled: 1-line block ×8, first 2 shown]
	v_pack_b32_f16 v9, v18, v9
	v_pack_b32_f16 v8, v19, v8
	;; [unrolled: 1-line block ×4, first 2 shown]
	buffer_store_dwordx4 v[6:9], v24, s[28:31], 0 offen glc slc
	;;#ASMSTART
	s_nop 0
	;;#ASMEND
.LBB211_10:
	s_or_b64 exec, exec, s[14:15]
	s_mov_b32 s18, s16
.LBB211_11:
	s_waitcnt vmcnt(1)
	v_mul_f32_e32 v6, v13, v13
	v_fmac_f32_e32 v6, v12, v12
	v_fmac_f32_e32 v6, v16, v16
	;; [unrolled: 1-line block ×7, first 2 shown]
	v_bfrev_b32_e32 v8, 0.5
	s_load_dwordx2 s[14:15], s[4:5], 0x18
	v_mov_b32_dpp v7, v6 quad_perm:[1,0,3,2] row_mask:0xf bank_mask:0xf
	v_add_f32_e32 v6, v6, v7
	s_nop 1
	v_mov_b32_dpp v7, v6 quad_perm:[2,3,0,1] row_mask:0xf bank_mask:0xf
	v_add_f32_e32 v6, v6, v7
	s_nop 1
	v_mov_b32_dpp v7, v6 row_half_mirror row_mask:0xf bank_mask:0xf
	v_add_f32_e32 v6, v6, v7
	s_nop 1
	v_mov_b32_dpp v7, v6 row_mirror row_mask:0xf bank_mask:0xf
	v_add_f32_e32 v6, v6, v7
	s_nop 1
	v_mov_b32_dpp v7, v6 row_bcast:15 row_mask:0xf bank_mask:0xf
	v_add_f32_e32 v6, v6, v7
	s_nop 1
	v_mov_b32_dpp v7, v6 row_bcast:31 row_mask:0xf bank_mask:0xf
	v_add_f32_e32 v6, v6, v7
	v_mbcnt_lo_u32_b32 v7, -1, 0
	v_mbcnt_hi_u32_b32 v7, -1, v7
	v_lshl_or_b32 v18, v7, 2, v8
	ds_bpermute_b32 v6, v18, v6
	s_and_saveexec_b64 s[26:27], s[0:1]
	s_cbranch_execnz .LBB211_16
; %bb.12:
	s_or_b64 exec, exec, s[26:27]
	s_mov_b64 s[26:27], -1
	s_and_b64 vcc, exec, s[2:3]
	s_cbranch_vccnz .LBB211_17
.LBB211_13:
	s_andn2_b64 vcc, exec, s[26:27]
	s_cbranch_vccz .LBB211_20
.LBB211_14:
	s_cmp_lt_i32 s20, 1
	s_cbranch_scc0 .LBB211_29
.LBB211_15:
	s_endpgm
.LBB211_16:
	v_cvt_f32_u32_e32 v7, s7
	s_mov_b32 s7, 0x800000
	s_waitcnt lgkmcnt(0)
	v_div_scale_f32 v8, s[28:29], v7, v7, v6
	v_rcp_f32_e32 v9, v8
	v_div_scale_f32 v19, vcc, v6, v7, v6
	v_fma_f32 v20, -v8, v9, 1.0
	v_fmac_f32_e32 v9, v20, v9
	v_mul_f32_e32 v20, v19, v9
	v_fma_f32 v21, -v8, v20, v19
	v_fmac_f32_e32 v20, v21, v9
	v_fma_f32 v8, -v8, v20, v19
	v_div_fmas_f32 v8, v8, v9, v20
	v_div_fixup_f32 v6, v8, v7, v6
	v_add_f32_e32 v6, s18, v6
	v_mul_f32_e32 v7, 0x4b800000, v6
	v_cmp_gt_f32_e32 vcc, s7, v6
	v_cndmask_b32_e32 v6, v6, v7, vcc
	v_rsq_f32_e32 v6, v6
	s_waitcnt vmcnt(0)
	v_cvt_f32_f16_sdwa v7, v2 dst_sel:DWORD dst_unused:UNUSED_PAD src0_sel:WORD_1
	v_cvt_f32_f16_sdwa v21, v3 dst_sel:DWORD dst_unused:UNUSED_PAD src0_sel:WORD_1
	v_cvt_f32_f16_e32 v20, v3
	v_mul_f32_e32 v8, 0x45800000, v6
	v_cndmask_b32_e32 v8, v6, v8, vcc
	v_mov_b32_e32 v9, v8
	;;#ASMSTART
	v_pk_mul_f32 v[12:13], v[12:13], v[8:9]
	;;#ASMEND
	;;#ASMSTART
	v_pk_mul_f32 v[16:17], v[16:17], v[8:9]
	;;#ASMEND
	;; [unrolled: 3-line block ×3, first 2 shown]
	v_cvt_f32_f16_e32 v6, v2
	;;#ASMSTART
	v_pk_mul_f32 v[2:3], v[10:11], v[8:9]
	;;#ASMEND
	v_cvt_f32_f16_sdwa v9, v4 dst_sel:DWORD dst_unused:UNUSED_PAD src0_sel:WORD_1
	v_cvt_f32_f16_e32 v8, v4
	v_cvt_f32_f16_sdwa v11, v5 dst_sel:DWORD dst_unused:UNUSED_PAD src0_sel:WORD_1
	v_cvt_f32_f16_e32 v10, v5
	v_pk_add_f32 v[6:7], v[6:7], 1.0 op_sel_hi:[1,0]
	v_pk_add_f32 v[4:5], v[8:9], 1.0 op_sel_hi:[1,0]
	;;#ASMSTART
	v_pk_mul_f32 v[12:13], v[12:13], v[6:7]
	;;#ASMEND
	v_pk_add_f32 v[6:7], v[20:21], 1.0 op_sel_hi:[1,0]
	;;#ASMSTART
	v_pk_mul_f32 v[16:17], v[16:17], v[6:7]
	;;#ASMEND
	;;#ASMSTART
	v_pk_mul_f32 v[14:15], v[14:15], v[4:5]
	;;#ASMEND
	v_pk_add_f32 v[4:5], v[10:11], 1.0 op_sel_hi:[1,0]
	;;#ASMSTART
	v_pk_mul_f32 v[10:11], v[2:3], v[4:5]
	;;#ASMEND
	s_or_b64 exec, exec, s[26:27]
	s_mov_b64 s[26:27], -1
	s_and_b64 vcc, exec, s[2:3]
	s_cbranch_vccz .LBB211_13
.LBB211_17:
	s_and_saveexec_b64 s[2:3], s[0:1]
	s_cbranch_execz .LBB211_19
; %bb.18:
	s_mul_hi_i32 s27, s12, s6
	s_mul_i32 s26, s12, s6
	s_waitcnt vmcnt(0)
	v_cvt_f16_f32_e32 v2, v12
	v_cvt_f16_f32_e32 v3, v16
	;; [unrolled: 1-line block ×4, first 2 shown]
	s_waitcnt lgkmcnt(0)
	v_cvt_f16_f32_e32 v6, v11
	v_cvt_f16_f32_e32 v7, v15
	v_cvt_f16_f32_e32 v8, v17
	v_cvt_f16_f32_e32 v9, v13
	s_lshl_b64 s[26:27], s[26:27], 1
	s_add_u32 s28, s14, s26
	s_addc_u32 s7, s15, s27
	s_and_b32 s29, s7, 0xffff
	s_mov_b32 s31, 0x20000
	v_pack_b32_f16 v5, v5, v6
	v_pack_b32_f16 v4, v4, v7
	v_pack_b32_f16 v3, v3, v8
	v_pack_b32_f16 v2, v2, v9
	v_lshlrev_b32_e32 v6, 4, v0
	buffer_store_dwordx4 v[2:5], v6, s[28:31], 0 offen
	;;#ASMSTART
	s_nop 0
	;;#ASMEND
.LBB211_19:
	s_or_b64 exec, exec, s[2:3]
	s_cbranch_execnz .LBB211_14
.LBB211_20:
	s_waitcnt vmcnt(0)
	v_mov_b32_e32 v2, 0
	s_and_saveexec_b64 s[2:3], s[0:1]
	s_cbranch_execz .LBB211_22
; %bb.21:
	s_load_dwordx2 s[26:27], s[4:5], 0x10
	s_mul_hi_i32 s29, s11, s6
	s_mul_i32 s28, s11, s6
	v_cvt_f16_f32_e32 v2, v12
	v_cvt_f16_f32_e32 v3, v16
	;; [unrolled: 1-line block ×4, first 2 shown]
	s_waitcnt lgkmcnt(0)
	v_cvt_f16_f32_e32 v6, v11
	v_cvt_f16_f32_e32 v7, v15
	;; [unrolled: 1-line block ×4, first 2 shown]
	s_lshl_b64 s[28:29], s[28:29], 1
	s_add_u32 s28, s26, s28
	s_addc_u32 s7, s27, s29
	s_mov_b32 s31, 0x20000
	s_and_b32 s29, s7, 0xffff
	v_pack_b32_f16 v5, v5, v6
	v_pack_b32_f16 v4, v4, v7
	;; [unrolled: 1-line block ×4, first 2 shown]
	v_lshlrev_b32_e32 v6, 4, v0
	buffer_store_dwordx4 v[2:5], v6, s[28:31], 0 offen
	;;#ASMSTART
	s_nop 0
	;;#ASMEND
	s_nop 0
	v_mov_b32_e32 v2, 0x2edbe6ff
.LBB211_22:
	s_or_b64 exec, exec, s[2:3]
	s_and_saveexec_b64 s[2:3], s[0:1]
	s_cbranch_execz .LBB211_24
; %bb.23:
	v_and_b32_e32 v3, 0x7fffffff, v12
	v_and_b32_e32 v4, 0x7fffffff, v13
	;;#ASMSTART
	v_max3_f32 v2, v2, v3, v4

	;;#ASMEND
	v_and_b32_e32 v3, 0x7fffffff, v16
	v_and_b32_e32 v4, 0x7fffffff, v17
	;;#ASMSTART
	v_max3_f32 v2, v2, v3, v4

	;;#ASMEND
	;; [unrolled: 6-line block ×4, first 2 shown]
.LBB211_24:
	s_or_b64 exec, exec, s[2:3]
	;;#ASMSTART
	v_max_f32 v3, v2, v2 quad_perm:[1,0,3,2] row_mask:0xf bank_mask:0xf bound_ctrl:1
	;;#ASMEND
	;;#ASMSTART
	v_max_f32 v2, v3, v3 quad_perm:[2,3,0,1] row_mask:0xf bank_mask:0xf bound_ctrl:1
	;;#ASMEND
	v_and_b32_e32 v3, 3, v0
	v_cmp_eq_u32_e32 vcc, 0, v3
	v_cmp_gt_i32_e64 s[2:3], s19, v1
	s_and_b64 s[26:27], vcc, s[2:3]
	s_and_saveexec_b64 s[2:3], s[26:27]
	s_cbranch_execz .LBB211_26
; %bb.25:
	s_load_dwordx2 s[26:27], s[4:5], 0x8
	v_mul_f32_e32 v2, 0x3e2aaaab, v2
	v_lshrrev_b32_e32 v3, 23, v2
	v_and_b32_e32 v4, 0x7f800000, v2
	v_and_b32_e32 v2, 0x7fffff, v2
	v_cmp_ne_u32_e32 vcc, 0, v2
	s_mul_hi_i32 s11, s9, s6
	s_mul_i32 s9, s9, s6
	s_mov_b32 s7, 0x7f800000
	v_addc_co_u32_e32 v2, vcc, 0, v3, vcc
	s_waitcnt lgkmcnt(0)
	s_add_u32 s26, s26, s9
	v_cmp_ne_u32_e32 vcc, s7, v4
	s_addc_u32 s27, s27, s11
	v_lshrrev_b32_e32 v5, 2, v0
	v_cndmask_b32_e32 v4, -1, v2, vcc
	v_pk_mov_b32 v[2:3], s[26:27], s[26:27] op_sel:[0,1]
	v_mad_i64_i32 v[2:3], s[10:11], s10, v5, v[2:3]
	global_store_byte v[2:3], v4, off
.LBB211_26:
	s_or_b64 exec, exec, s[2:3]
	s_and_saveexec_b64 s[2:3], s[0:1]
	s_cbranch_execz .LBB211_28
; %bb.27:
	s_load_dwordx2 s[0:1], s[4:5], 0x0
	s_mul_hi_i32 s7, s8, s6
	s_mul_i32 s8, s8, s6
	v_lshlrev_b32_e32 v2, 2, v0
	s_mov_b32 s11, 0x20000
	s_waitcnt lgkmcnt(0)
	s_add_u32 s8, s0, s8
	s_addc_u32 s0, s1, s7
	s_lshr_b32 s1, s19, 31
	s_add_i32 s1, s19, s1
	s_ashr_i32 s1, s1, 1
	s_add_i32 s1, s1, 3
	s_ashr_i32 s7, s1, 31
	s_lshr_b32 s7, s7, 30
	s_add_i32 s1, s1, s7
	s_and_b32 s10, s1, -4
	s_and_b32 s9, s0, 0xffff
	v_mov_b32_e32 v3, 0
	buffer_store_dword v3, v2, s[8:11], 0 offen
	;;#ASMSTART
	s_nop 0
	;;#ASMEND
.LBB211_28:
	s_or_b64 exec, exec, s[2:3]
	s_cmp_lt_i32 s20, 1
	s_cbranch_scc1 .LBB211_15
.LBB211_29:
	s_load_dword s0, s[4:5], 0x94
	s_waitcnt lgkmcnt(0)
	s_cmp_lg_u32 s0, 1
	s_cbranch_scc1 .LBB211_15
; %bb.30:
	s_lshl_b32 s0, s20, 1
	s_add_i32 s0, s0, 2
	v_cmp_gt_u32_e32 vcc, s20, v1
	s_and_b32 s26, s0, -4
	v_mov_b32_e32 v8, 0
	v_lshlrev_b32_e32 v16, 4, v0
	s_waitcnt vmcnt(0)
	v_mov_b32_e32 v4, 0
	v_mov_b32_e32 v5, 0
	;; [unrolled: 1-line block ×8, first 2 shown]
	s_barrier
	s_and_saveexec_b64 s[0:1], vcc
	s_cbranch_execz .LBB211_32
; %bb.31:
	s_mul_hi_i32 s3, s22, s6
	s_mul_i32 s2, s22, s6
	s_and_b32 s25, s25, 0xffff
	s_lshl_b64 s[2:3], s[2:3], 1
	s_add_u32 s8, s34, s2
	s_mov_b32 s27, 0x20000
	s_addc_u32 s2, s35, s3
	s_and_b32 s9, s2, 0xffff
	s_mov_b32 s10, s26
	s_mov_b32 s11, s27
	buffer_load_dwordx4 v[4:7], v16, s[8:11], 0 offen glc slc
	buffer_load_dwordx4 v[0:3], v16, s[24:27], 0 offen
.LBB211_32:
	s_or_b64 exec, exec, s[0:1]
	v_mov_b32_e32 v9, 0
	v_mov_b32_e32 v12, 0
	;; [unrolled: 1-line block ×7, first 2 shown]
	s_and_saveexec_b64 s[0:1], vcc
	s_cbranch_execz .LBB211_34
; %bb.33:
	s_waitcnt vmcnt(1)
	v_cvt_f32_f16_sdwa v9, v4 dst_sel:DWORD dst_unused:UNUSED_PAD src0_sel:WORD_1
	v_cvt_f32_f16_e32 v8, v4
	v_cvt_f32_f16_sdwa v13, v5 dst_sel:DWORD dst_unused:UNUSED_PAD src0_sel:WORD_1
	v_cvt_f32_f16_e32 v12, v5
	;; [unrolled: 2-line block ×4, first 2 shown]
.LBB211_34:
	s_or_b64 exec, exec, s[0:1]
	s_waitcnt vmcnt(1)
	v_mul_f32_e32 v4, v9, v9
	v_fmac_f32_e32 v4, v8, v8
	v_fmac_f32_e32 v4, v12, v12
	;; [unrolled: 1-line block ×7, first 2 shown]
	s_nop 1
	v_mov_b32_dpp v5, v4 quad_perm:[1,0,3,2] row_mask:0xf bank_mask:0xf
	v_add_f32_e32 v4, v4, v5
	s_nop 1
	v_mov_b32_dpp v5, v4 quad_perm:[2,3,0,1] row_mask:0xf bank_mask:0xf
	v_add_f32_e32 v4, v4, v5
	s_nop 1
	v_mov_b32_dpp v5, v4 row_half_mirror row_mask:0xf bank_mask:0xf
	v_add_f32_e32 v4, v4, v5
	s_nop 1
	v_mov_b32_dpp v5, v4 row_mirror row_mask:0xf bank_mask:0xf
	v_add_f32_e32 v4, v4, v5
	s_nop 1
	v_mov_b32_dpp v5, v4 row_bcast:15 row_mask:0xf bank_mask:0xf
	v_add_f32_e32 v4, v4, v5
	s_nop 1
	v_mov_b32_dpp v5, v4 row_bcast:31 row_mask:0xf bank_mask:0xf
	v_add_f32_e32 v4, v4, v5
	ds_bpermute_b32 v4, v18, v4
	s_and_saveexec_b64 s[0:1], vcc
	s_cbranch_execz .LBB211_15
; %bb.35:
	v_cvt_f32_u32_e32 v5, s20
	s_mov_b32 s27, 0x20000
	s_waitcnt lgkmcnt(0)
	v_div_scale_f32 v6, s[0:1], v5, v5, v4
	v_rcp_f32_e32 v7, v6
	v_div_scale_f32 v17, vcc, v4, v5, v4
	s_mov_b32 s0, 0x800000
	v_fma_f32 v18, -v6, v7, 1.0
	v_fmac_f32_e32 v7, v18, v7
	v_mul_f32_e32 v18, v17, v7
	v_fma_f32 v19, -v6, v18, v17
	v_fmac_f32_e32 v18, v19, v7
	v_fma_f32 v6, -v6, v18, v17
	v_div_fmas_f32 v6, v6, v7, v18
	v_div_fixup_f32 v4, v6, v5, v4
	v_add_f32_e32 v4, s17, v4
	v_mul_f32_e32 v5, 0x4b800000, v4
	v_cmp_gt_f32_e32 vcc, s0, v4
	v_cndmask_b32_e32 v4, v4, v5, vcc
	v_rsq_f32_e32 v4, v4
	s_waitcnt vmcnt(0)
	v_cvt_f32_f16_sdwa v5, v0 dst_sel:DWORD dst_unused:UNUSED_PAD src0_sel:WORD_1
	v_cvt_f32_f16_sdwa v19, v1 dst_sel:DWORD dst_unused:UNUSED_PAD src0_sel:WORD_1
	v_cvt_f32_f16_e32 v18, v1
	v_mul_f32_e32 v6, 0x45800000, v4
	v_cndmask_b32_e32 v6, v4, v6, vcc
	v_cvt_f32_f16_e32 v4, v0
	v_mov_b32_e32 v7, v6
	;;#ASMSTART
	v_pk_mul_f32 v[8:9], v[8:9], v[6:7]
	;;#ASMEND
	;;#ASMSTART
	v_pk_mul_f32 v[12:13], v[12:13], v[6:7]
	;;#ASMEND
	v_pk_add_f32 v[4:5], v[4:5], 1.0 op_sel_hi:[1,0]
	;;#ASMSTART
	v_pk_mul_f32 v[14:15], v[14:15], v[6:7]
	;;#ASMEND
	;;#ASMSTART
	v_pk_mul_f32 v[0:1], v[10:11], v[6:7]
	;;#ASMEND
	;; [unrolled: 3-line block ×3, first 2 shown]
	v_cvt_f32_f16_sdwa v9, v2 dst_sel:DWORD dst_unused:UNUSED_PAD src0_sel:WORD_1
	v_cvt_f32_f16_e32 v8, v2
	v_cvt_f32_f16_sdwa v11, v3 dst_sel:DWORD dst_unused:UNUSED_PAD src0_sel:WORD_1
	v_cvt_f32_f16_e32 v10, v3
	v_pk_add_f32 v[6:7], v[18:19], 1.0 op_sel_hi:[1,0]
	;;#ASMSTART
	v_pk_mul_f32 v[2:3], v[12:13], v[6:7]
	;;#ASMEND
	v_pk_add_f32 v[6:7], v[8:9], 1.0 op_sel_hi:[1,0]
	;;#ASMSTART
	v_pk_mul_f32 v[6:7], v[14:15], v[6:7]
	;;#ASMEND
	;; [unrolled: 4-line block ×3, first 2 shown]
	s_mul_hi_i32 s1, s12, s6
	s_mul_i32 s0, s12, s6
	v_cvt_f16_f32_e32 v4, v4
	v_cvt_f16_f32_e32 v5, v5
	;; [unrolled: 1-line block ×8, first 2 shown]
	s_lshl_b64 s[0:1], s[0:1], 1
	s_add_u32 s24, s14, s0
	s_addc_u32 s0, s15, s1
	s_and_b32 s25, s0, 0xffff
	v_pack_b32_f16 v0, v4, v5
	v_pack_b32_f16 v1, v2, v3
	;; [unrolled: 1-line block ×4, first 2 shown]
	buffer_store_dwordx4 v[0:3], v16, s[24:27], 0 offen
	;;#ASMSTART
	s_nop 0
	;;#ASMEND
	s_endpgm
	.section	.rodata,"a",@progbits
	.p2align	6, 0x0
	.amdhsa_kernel _ZN5aiter35fused_qk_rmsnorm_group_quant_kernelIDF16_N4opus5fp4_tELi64ELi8ELi4ELb1ELb1ELb1ELb0ELb0ELb0EEEvPT0_PvPT_S7_S7_PKS6_S9_S9_S9_S9_ffiiiiiiiiiiiii
		.amdhsa_group_segment_fixed_size 0
		.amdhsa_private_segment_fixed_size 0
		.amdhsa_kernarg_size 400
		.amdhsa_user_sgpr_count 6
		.amdhsa_user_sgpr_private_segment_buffer 1
		.amdhsa_user_sgpr_dispatch_ptr 0
		.amdhsa_user_sgpr_queue_ptr 0
		.amdhsa_user_sgpr_kernarg_segment_ptr 1
		.amdhsa_user_sgpr_dispatch_id 0
		.amdhsa_user_sgpr_flat_scratch_init 0
		.amdhsa_user_sgpr_kernarg_preload_length 0
		.amdhsa_user_sgpr_kernarg_preload_offset 0
		.amdhsa_user_sgpr_private_segment_size 0
		.amdhsa_uses_dynamic_stack 0
		.amdhsa_system_sgpr_private_segment_wavefront_offset 0
		.amdhsa_system_sgpr_workgroup_id_x 1
		.amdhsa_system_sgpr_workgroup_id_y 1
		.amdhsa_system_sgpr_workgroup_id_z 0
		.amdhsa_system_sgpr_workgroup_info 0
		.amdhsa_system_vgpr_workitem_id 0
		.amdhsa_next_free_vgpr 25
		.amdhsa_next_free_sgpr 40
		.amdhsa_accum_offset 28
		.amdhsa_reserve_vcc 1
		.amdhsa_reserve_flat_scratch 0
		.amdhsa_float_round_mode_32 0
		.amdhsa_float_round_mode_16_64 0
		.amdhsa_float_denorm_mode_32 3
		.amdhsa_float_denorm_mode_16_64 3
		.amdhsa_dx10_clamp 1
		.amdhsa_ieee_mode 1
		.amdhsa_fp16_overflow 0
		.amdhsa_tg_split 0
		.amdhsa_exception_fp_ieee_invalid_op 0
		.amdhsa_exception_fp_denorm_src 0
		.amdhsa_exception_fp_ieee_div_zero 0
		.amdhsa_exception_fp_ieee_overflow 0
		.amdhsa_exception_fp_ieee_underflow 0
		.amdhsa_exception_fp_ieee_inexact 0
		.amdhsa_exception_int_div_zero 0
	.end_amdhsa_kernel
	.section	.text._ZN5aiter35fused_qk_rmsnorm_group_quant_kernelIDF16_N4opus5fp4_tELi64ELi8ELi4ELb1ELb1ELb1ELb0ELb0ELb0EEEvPT0_PvPT_S7_S7_PKS6_S9_S9_S9_S9_ffiiiiiiiiiiiii,"axG",@progbits,_ZN5aiter35fused_qk_rmsnorm_group_quant_kernelIDF16_N4opus5fp4_tELi64ELi8ELi4ELb1ELb1ELb1ELb0ELb0ELb0EEEvPT0_PvPT_S7_S7_PKS6_S9_S9_S9_S9_ffiiiiiiiiiiiii,comdat
.Lfunc_end211:
	.size	_ZN5aiter35fused_qk_rmsnorm_group_quant_kernelIDF16_N4opus5fp4_tELi64ELi8ELi4ELb1ELb1ELb1ELb0ELb0ELb0EEEvPT0_PvPT_S7_S7_PKS6_S9_S9_S9_S9_ffiiiiiiiiiiiii, .Lfunc_end211-_ZN5aiter35fused_qk_rmsnorm_group_quant_kernelIDF16_N4opus5fp4_tELi64ELi8ELi4ELb1ELb1ELb1ELb0ELb0ELb0EEEvPT0_PvPT_S7_S7_PKS6_S9_S9_S9_S9_ffiiiiiiiiiiiii
                                        ; -- End function
	.section	.AMDGPU.csdata,"",@progbits
; Kernel info:
; codeLenInByte = 2752
; NumSgprs: 44
; NumVgprs: 25
; NumAgprs: 0
; TotalNumVgprs: 25
; ScratchSize: 0
; MemoryBound: 0
; FloatMode: 240
; IeeeMode: 1
; LDSByteSize: 0 bytes/workgroup (compile time only)
; SGPRBlocks: 5
; VGPRBlocks: 3
; NumSGPRsForWavesPerEU: 44
; NumVGPRsForWavesPerEU: 25
; AccumOffset: 28
; Occupancy: 8
; WaveLimiterHint : 0
; COMPUTE_PGM_RSRC2:SCRATCH_EN: 0
; COMPUTE_PGM_RSRC2:USER_SGPR: 6
; COMPUTE_PGM_RSRC2:TRAP_HANDLER: 0
; COMPUTE_PGM_RSRC2:TGID_X_EN: 1
; COMPUTE_PGM_RSRC2:TGID_Y_EN: 1
; COMPUTE_PGM_RSRC2:TGID_Z_EN: 0
; COMPUTE_PGM_RSRC2:TIDIG_COMP_CNT: 0
; COMPUTE_PGM_RSRC3_GFX90A:ACCUM_OFFSET: 6
; COMPUTE_PGM_RSRC3_GFX90A:TG_SPLIT: 0
	.section	.text._ZN5aiter35fused_qk_rmsnorm_group_quant_kernelItN4opus5fp4_tELi64ELi8ELi4ELb1ELb1ELb1ELb0ELb0ELb0EEEvPT0_PvPT_S7_S7_PKS6_S9_S9_S9_S9_ffiiiiiiiiiiiii,"axG",@progbits,_ZN5aiter35fused_qk_rmsnorm_group_quant_kernelItN4opus5fp4_tELi64ELi8ELi4ELb1ELb1ELb1ELb0ELb0ELb0EEEvPT0_PvPT_S7_S7_PKS6_S9_S9_S9_S9_ffiiiiiiiiiiiii,comdat
	.protected	_ZN5aiter35fused_qk_rmsnorm_group_quant_kernelItN4opus5fp4_tELi64ELi8ELi4ELb1ELb1ELb1ELb0ELb0ELb0EEEvPT0_PvPT_S7_S7_PKS6_S9_S9_S9_S9_ffiiiiiiiiiiiii ; -- Begin function _ZN5aiter35fused_qk_rmsnorm_group_quant_kernelItN4opus5fp4_tELi64ELi8ELi4ELb1ELb1ELb1ELb0ELb0ELb0EEEvPT0_PvPT_S7_S7_PKS6_S9_S9_S9_S9_ffiiiiiiiiiiiii
	.globl	_ZN5aiter35fused_qk_rmsnorm_group_quant_kernelItN4opus5fp4_tELi64ELi8ELi4ELb1ELb1ELb1ELb0ELb0ELb0EEEvPT0_PvPT_S7_S7_PKS6_S9_S9_S9_S9_ffiiiiiiiiiiiii
	.p2align	8
	.type	_ZN5aiter35fused_qk_rmsnorm_group_quant_kernelItN4opus5fp4_tELi64ELi8ELi4ELb1ELb1ELb1ELb0ELb0ELb0EEEvPT0_PvPT_S7_S7_PKS6_S9_S9_S9_S9_ffiiiiiiiiiiiii,@function
_ZN5aiter35fused_qk_rmsnorm_group_quant_kernelItN4opus5fp4_tELi64ELi8ELi4ELb1ELb1ELb1ELb0ELb0ELb0EEEvPT0_PvPT_S7_S7_PKS6_S9_S9_S9_S9_ffiiiiiiiiiiiii: ; @_ZN5aiter35fused_qk_rmsnorm_group_quant_kernelItN4opus5fp4_tELi64ELi8ELi4ELb1ELb1ELb1ELb0ELb0ELb0EEEvPT0_PvPT_S7_S7_PKS6_S9_S9_S9_S9_ffiiiiiiiiiiiii
; %bb.0:
	s_load_dwordx8 s[16:23], s[4:5], 0x50
	s_waitcnt lgkmcnt(0)
	s_cmp_ge_i32 s6, s18
	s_cbranch_scc1 .LBB212_15
; %bb.1:
	s_cmp_lg_u32 s7, 0
	s_cselect_b64 s[2:3], -1, 0
	s_cmp_eq_u32 s7, 0
	s_cselect_b64 s[26:27], -1, 0
	s_and_b64 s[0:1], s[26:27], exec
	s_load_dwordx2 s[24:25], s[4:5], 0x48
	s_load_dwordx2 s[34:35], s[4:5], 0x30
	s_load_dwordx8 s[8:15], s[4:5], 0x70
	s_cselect_b32 s7, s19, s20
	s_add_i32 s0, s7, 1
	s_lshr_b32 s1, s0, 31
	s_add_i32 s0, s0, s1
	s_lshl_b32 s0, s0, 1
	v_lshlrev_b32_e32 v1, 3, v0
	s_and_b32 s30, s0, -4
	v_cmp_gt_i32_e64 s[0:1], s7, v1
	v_mov_b32_e32 v10, 0
	v_mov_b32_e32 v11, 0
	;; [unrolled: 1-line block ×8, first 2 shown]
	s_waitcnt lgkmcnt(0)
	s_and_saveexec_b64 s[14:15], s[0:1]
	s_cbranch_execz .LBB212_3
; %bb.2:
	s_load_dwordx2 s[28:29], s[4:5], 0x28
	s_load_dwordx2 s[38:39], s[4:5], 0x40
	s_and_b64 s[36:37], s[26:27], exec
	s_cselect_b32 s18, s21, s22
	v_lshlrev_b32_e32 v2, 4, v0
	s_waitcnt lgkmcnt(0)
	s_cselect_b32 s21, s29, s35
	s_cselect_b32 s31, s28, s34
	s_mul_hi_i32 s29, s18, s6
	s_mul_i32 s28, s18, s6
	s_lshl_b64 s[28:29], s[28:29], 1
	s_add_u32 s36, s31, s28
	s_addc_u32 s18, s21, s29
	s_and_b64 s[26:27], s[26:27], exec
	s_mov_b32 s31, 0x20000
	s_cselect_b32 s28, s38, s24
	s_cselect_b32 s21, s39, s25
	s_and_b32 s37, s18, 0xffff
	s_mov_b32 s38, s30
	s_mov_b32 s39, s31
	s_and_b32 s29, s21, 0xffff
	buffer_load_dwordx4 v[14:17], v2, s[36:39], 0 offen glc slc
	buffer_load_dwordx4 v[10:13], v2, s[28:31], 0 offen
.LBB212_3:
	s_or_b64 exec, exec, s[14:15]
	s_and_b64 vcc, exec, s[2:3]
	s_cbranch_vccz .LBB212_7
; %bb.4:
	s_mov_b32 s36, 0
	s_mov_b32 s37, s36
	;; [unrolled: 1-line block ×8, first 2 shown]
	v_pk_mov_b32 v[2:3], s[36:37], s[36:37] op_sel:[0,1]
	v_pk_mov_b32 v[4:5], s[38:39], s[38:39] op_sel:[0,1]
	;; [unrolled: 1-line block ×4, first 2 shown]
	s_and_saveexec_b64 s[14:15], s[0:1]
	s_cbranch_execz .LBB212_6
; %bb.5:
	s_waitcnt vmcnt(1)
	v_cvt_f32_u32_sdwa v3, v14 dst_sel:DWORD dst_unused:UNUSED_PAD src0_sel:WORD_1
	v_cvt_f32_u32_sdwa v2, v14 dst_sel:DWORD dst_unused:UNUSED_PAD src0_sel:WORD_0
	v_cvt_f32_u32_sdwa v5, v15 dst_sel:DWORD dst_unused:UNUSED_PAD src0_sel:WORD_1
	v_cvt_f32_u32_sdwa v4, v15 dst_sel:DWORD dst_unused:UNUSED_PAD src0_sel:WORD_0
	v_cvt_f32_u32_sdwa v7, v16 dst_sel:DWORD dst_unused:UNUSED_PAD src0_sel:WORD_1
	v_cvt_f32_u32_sdwa v6, v16 dst_sel:DWORD dst_unused:UNUSED_PAD src0_sel:WORD_0
	v_cvt_f32_u32_sdwa v9, v17 dst_sel:DWORD dst_unused:UNUSED_PAD src0_sel:WORD_1
	v_cvt_f32_u32_sdwa v8, v17 dst_sel:DWORD dst_unused:UNUSED_PAD src0_sel:WORD_0
.LBB212_6:
	s_or_b64 exec, exec, s[14:15]
	s_mov_b32 s18, s17
	s_cbranch_execz .LBB212_8
	s_branch .LBB212_11
.LBB212_7:
                                        ; implicit-def: $vgpr2_vgpr3_vgpr4_vgpr5_vgpr6_vgpr7_vgpr8_vgpr9
	s_mov_b32 s18, s17
.LBB212_8:
	s_mov_b32 s36, 0
	s_mov_b32 s37, s36
	;; [unrolled: 1-line block ×8, first 2 shown]
	v_pk_mov_b32 v[2:3], s[36:37], s[36:37] op_sel:[0,1]
	v_pk_mov_b32 v[4:5], s[38:39], s[38:39] op_sel:[0,1]
	;; [unrolled: 1-line block ×4, first 2 shown]
	s_and_saveexec_b64 s[14:15], s[0:1]
	s_cbranch_execz .LBB212_10
; %bb.9:
	s_load_dwordx2 s[26:27], s[4:5], 0x38
	s_mul_hi_i32 s29, s23, s6
	s_mul_i32 s28, s23, s6
	s_lshl_b64 s[28:29], s[28:29], 1
	s_mov_b32 s31, 0x20000
	s_waitcnt lgkmcnt(0)
	s_add_u32 s28, s26, s28
	s_addc_u32 s18, s27, s29
	s_and_b32 s29, s18, 0xffff
	v_lshlrev_b32_e32 v26, 4, v0
	buffer_load_dwordx4 v[2:5], v26, s[28:31], 0 offen glc slc
	s_load_dwordx2 s[26:27], s[4:5], 0x20
	s_waitcnt vmcnt(2)
	v_cvt_f32_u32_sdwa v7, v14 dst_sel:DWORD dst_unused:UNUSED_PAD src0_sel:WORD_1
	v_cvt_f32_u32_sdwa v6, v14 dst_sel:DWORD dst_unused:UNUSED_PAD src0_sel:WORD_0
	v_cvt_f32_u32_sdwa v9, v15 dst_sel:DWORD dst_unused:UNUSED_PAD src0_sel:WORD_1
	v_cvt_f32_u32_sdwa v8, v15 dst_sel:DWORD dst_unused:UNUSED_PAD src0_sel:WORD_0
	;; [unrolled: 2-line block ×4, first 2 shown]
	s_mul_hi_i32 s29, s13, s6
	s_mul_i32 s28, s13, s6
	s_lshl_b64 s[28:29], s[28:29], 1
	s_waitcnt lgkmcnt(0)
	s_add_u32 s28, s26, s28
	s_mov_b32 s13, 0x7060302
	s_addc_u32 s18, s27, s29
	s_and_b32 s29, s18, 0xffff
	s_waitcnt vmcnt(0)
	v_cvt_f32_u32_sdwa v17, v2 dst_sel:DWORD dst_unused:UNUSED_PAD src0_sel:WORD_1
	v_cvt_f32_u32_sdwa v16, v2 dst_sel:DWORD dst_unused:UNUSED_PAD src0_sel:WORD_0
	v_cvt_f32_u32_sdwa v21, v3 dst_sel:DWORD dst_unused:UNUSED_PAD src0_sel:WORD_1
	v_cvt_f32_u32_sdwa v20, v3 dst_sel:DWORD dst_unused:UNUSED_PAD src0_sel:WORD_0
	;; [unrolled: 2-line block ×4, first 2 shown]
	v_pk_add_f32 v[2:3], v[6:7], v[16:17]
	v_pk_add_f32 v[4:5], v[8:9], v[20:21]
	;; [unrolled: 1-line block ×4, first 2 shown]
	v_perm_b32 v17, v9, v8, s13
	v_perm_b32 v16, v7, v6, s13
	;; [unrolled: 1-line block ×4, first 2 shown]
	buffer_store_dwordx4 v[14:17], v26, s[28:31], 0 offen glc slc
	;;#ASMSTART
	s_nop 0
	;;#ASMEND
.LBB212_10:
	s_or_b64 exec, exec, s[14:15]
	s_mov_b32 s18, s16
.LBB212_11:
	s_waitcnt vmcnt(1)
	v_mul_f32_e32 v14, v3, v3
	v_fmac_f32_e32 v14, v2, v2
	v_fmac_f32_e32 v14, v4, v4
	;; [unrolled: 1-line block ×7, first 2 shown]
	v_bfrev_b32_e32 v16, 0.5
	s_load_dwordx2 s[14:15], s[4:5], 0x18
	v_mov_b32_dpp v15, v14 quad_perm:[1,0,3,2] row_mask:0xf bank_mask:0xf
	v_add_f32_e32 v14, v14, v15
	s_nop 1
	v_mov_b32_dpp v15, v14 quad_perm:[2,3,0,1] row_mask:0xf bank_mask:0xf
	v_add_f32_e32 v14, v14, v15
	s_nop 1
	v_mov_b32_dpp v15, v14 row_half_mirror row_mask:0xf bank_mask:0xf
	v_add_f32_e32 v14, v14, v15
	s_nop 1
	v_mov_b32_dpp v15, v14 row_mirror row_mask:0xf bank_mask:0xf
	v_add_f32_e32 v14, v14, v15
	s_nop 1
	v_mov_b32_dpp v15, v14 row_bcast:15 row_mask:0xf bank_mask:0xf
	v_add_f32_e32 v14, v14, v15
	s_nop 1
	v_mov_b32_dpp v15, v14 row_bcast:31 row_mask:0xf bank_mask:0xf
	v_add_f32_e32 v15, v14, v15
	v_mbcnt_lo_u32_b32 v14, -1, 0
	v_mbcnt_hi_u32_b32 v14, -1, v14
	v_lshl_or_b32 v14, v14, 2, v16
	ds_bpermute_b32 v15, v14, v15
	s_and_saveexec_b64 s[26:27], s[0:1]
	s_cbranch_execnz .LBB212_16
; %bb.12:
	s_or_b64 exec, exec, s[26:27]
	s_mov_b64 s[26:27], -1
	s_and_b64 vcc, exec, s[2:3]
	s_cbranch_vccnz .LBB212_17
.LBB212_13:
	s_andn2_b64 vcc, exec, s[26:27]
	s_cbranch_vccz .LBB212_20
.LBB212_14:
	s_cmp_lt_i32 s20, 1
	s_cbranch_scc0 .LBB212_29
.LBB212_15:
	s_endpgm
.LBB212_16:
	v_cvt_f32_u32_e32 v16, s7
	s_mov_b32 s7, 0x800000
	s_waitcnt lgkmcnt(0)
	v_div_scale_f32 v17, s[28:29], v16, v16, v15
	v_rcp_f32_e32 v18, v17
	v_div_scale_f32 v19, vcc, v15, v16, v15
	v_fma_f32 v20, -v17, v18, 1.0
	v_fmac_f32_e32 v18, v20, v18
	v_mul_f32_e32 v20, v19, v18
	v_fma_f32 v21, -v17, v20, v19
	v_fmac_f32_e32 v20, v21, v18
	v_fma_f32 v17, -v17, v20, v19
	v_div_fmas_f32 v17, v17, v18, v20
	v_div_fixup_f32 v15, v17, v16, v15
	v_add_f32_e32 v15, s18, v15
	v_mul_f32_e32 v16, 0x4b800000, v15
	v_cmp_gt_f32_e32 vcc, s7, v15
	v_cndmask_b32_e32 v15, v15, v16, vcc
	v_rsq_f32_e32 v15, v15
	s_waitcnt vmcnt(0)
	v_cvt_f32_u32_sdwa v17, v10 dst_sel:DWORD dst_unused:UNUSED_PAD src0_sel:WORD_1
	v_cvt_f32_u32_sdwa v21, v11 dst_sel:DWORD dst_unused:UNUSED_PAD src0_sel:WORD_1
	v_cvt_f32_u32_sdwa v20, v11 dst_sel:DWORD dst_unused:UNUSED_PAD src0_sel:WORD_0
	v_mul_f32_e32 v16, 0x45800000, v15
	v_cndmask_b32_e32 v18, v15, v16, vcc
	v_cvt_f32_u32_sdwa v16, v10 dst_sel:DWORD dst_unused:UNUSED_PAD src0_sel:WORD_0
	v_mov_b32_e32 v19, v18
	;;#ASMSTART
	v_pk_mul_f32 v[2:3], v[2:3], v[18:19]
	;;#ASMEND
	;;#ASMSTART
	v_pk_mul_f32 v[4:5], v[4:5], v[18:19]
	;;#ASMEND
	v_pk_add_f32 v[10:11], v[16:17], 1.0 op_sel_hi:[1,0]
	v_cvt_f32_u32_sdwa v17, v12 dst_sel:DWORD dst_unused:UNUSED_PAD src0_sel:WORD_1
	v_cvt_f32_u32_sdwa v16, v12 dst_sel:DWORD dst_unused:UNUSED_PAD src0_sel:WORD_0
	;;#ASMSTART
	v_pk_mul_f32 v[6:7], v[6:7], v[18:19]
	;;#ASMEND
	;;#ASMSTART
	v_pk_mul_f32 v[8:9], v[8:9], v[18:19]
	;;#ASMEND
	v_cvt_f32_u32_sdwa v19, v13 dst_sel:DWORD dst_unused:UNUSED_PAD src0_sel:WORD_1
	v_cvt_f32_u32_sdwa v18, v13 dst_sel:DWORD dst_unused:UNUSED_PAD src0_sel:WORD_0
	;;#ASMSTART
	v_pk_mul_f32 v[2:3], v[2:3], v[10:11]
	;;#ASMEND
	v_pk_add_f32 v[10:11], v[20:21], 1.0 op_sel_hi:[1,0]
	;;#ASMSTART
	v_pk_mul_f32 v[4:5], v[4:5], v[10:11]
	;;#ASMEND
	v_pk_add_f32 v[10:11], v[16:17], 1.0 op_sel_hi:[1,0]
	;; [unrolled: 4-line block ×3, first 2 shown]
	;;#ASMSTART
	v_pk_mul_f32 v[8:9], v[8:9], v[10:11]
	;;#ASMEND
	s_or_b64 exec, exec, s[26:27]
	s_mov_b64 s[26:27], -1
	s_and_b64 vcc, exec, s[2:3]
	s_cbranch_vccz .LBB212_13
.LBB212_17:
	s_and_saveexec_b64 s[2:3], s[0:1]
	s_cbranch_execz .LBB212_19
; %bb.18:
	s_mul_hi_i32 s27, s12, s6
	s_mul_i32 s26, s12, s6
	s_lshl_b64 s[26:27], s[26:27], 1
	s_waitcnt lgkmcnt(0)
	s_add_u32 s28, s14, s26
	s_addc_u32 s7, s15, s27
	s_and_b32 s29, s7, 0xffff
	s_mov_b32 s7, 0x7060302
	s_mov_b32 s31, 0x20000
	s_waitcnt vmcnt(0)
	v_perm_b32 v10, v3, v2, s7
	v_perm_b32 v11, v5, v4, s7
	;; [unrolled: 1-line block ×4, first 2 shown]
	v_lshlrev_b32_e32 v15, 4, v0
	buffer_store_dwordx4 v[10:13], v15, s[28:31], 0 offen
	;;#ASMSTART
	s_nop 0
	;;#ASMEND
.LBB212_19:
	s_or_b64 exec, exec, s[2:3]
	s_cbranch_execnz .LBB212_14
.LBB212_20:
	s_waitcnt vmcnt(0)
	v_mov_b32_e32 v10, 0
	s_and_saveexec_b64 s[2:3], s[0:1]
	s_cbranch_execz .LBB212_22
; %bb.21:
	s_load_dwordx2 s[26:27], s[4:5], 0x10
	s_mul_hi_i32 s29, s11, s6
	s_mul_i32 s28, s11, s6
	s_lshl_b64 s[28:29], s[28:29], 1
	s_mov_b32 s31, 0x20000
	s_waitcnt lgkmcnt(0)
	s_add_u32 s28, s26, s28
	s_addc_u32 s7, s27, s29
	s_and_b32 s29, s7, 0xffff
	s_mov_b32 s7, 0x7060302
	v_perm_b32 v10, v3, v2, s7
	v_perm_b32 v11, v5, v4, s7
	;; [unrolled: 1-line block ×4, first 2 shown]
	v_lshlrev_b32_e32 v15, 4, v0
	buffer_store_dwordx4 v[10:13], v15, s[28:31], 0 offen
	;;#ASMSTART
	s_nop 0
	;;#ASMEND
	s_nop 0
	v_mov_b32_e32 v10, 0x2edbe6ff
.LBB212_22:
	s_or_b64 exec, exec, s[2:3]
	s_and_saveexec_b64 s[2:3], s[0:1]
	s_cbranch_execz .LBB212_24
; %bb.23:
	v_and_b32_e32 v2, 0x7fffffff, v2
	v_and_b32_e32 v3, 0x7fffffff, v3
	;;#ASMSTART
	v_max3_f32 v2, v10, v2, v3

	;;#ASMEND
	v_and_b32_e32 v3, 0x7fffffff, v4
	v_and_b32_e32 v4, 0x7fffffff, v5
	;;#ASMSTART
	v_max3_f32 v2, v2, v3, v4

	;;#ASMEND
	;; [unrolled: 6-line block ×4, first 2 shown]
.LBB212_24:
	s_or_b64 exec, exec, s[2:3]
	;;#ASMSTART
	v_max_f32 v3, v10, v10 quad_perm:[1,0,3,2] row_mask:0xf bank_mask:0xf bound_ctrl:1
	;;#ASMEND
	;;#ASMSTART
	v_max_f32 v2, v3, v3 quad_perm:[2,3,0,1] row_mask:0xf bank_mask:0xf bound_ctrl:1
	;;#ASMEND
	v_and_b32_e32 v3, 3, v0
	v_cmp_eq_u32_e32 vcc, 0, v3
	v_cmp_gt_i32_e64 s[2:3], s19, v1
	s_and_b64 s[26:27], vcc, s[2:3]
	s_and_saveexec_b64 s[2:3], s[26:27]
	s_cbranch_execz .LBB212_26
; %bb.25:
	s_load_dwordx2 s[26:27], s[4:5], 0x8
	v_mul_f32_e32 v2, 0x3e2aaaab, v2
	v_lshrrev_b32_e32 v3, 23, v2
	v_and_b32_e32 v4, 0x7f800000, v2
	v_and_b32_e32 v2, 0x7fffff, v2
	v_cmp_ne_u32_e32 vcc, 0, v2
	s_mul_hi_i32 s11, s9, s6
	s_mul_i32 s9, s9, s6
	s_mov_b32 s7, 0x7f800000
	v_addc_co_u32_e32 v2, vcc, 0, v3, vcc
	s_waitcnt lgkmcnt(0)
	s_add_u32 s26, s26, s9
	v_cmp_ne_u32_e32 vcc, s7, v4
	s_addc_u32 s27, s27, s11
	v_lshrrev_b32_e32 v5, 2, v0
	v_cndmask_b32_e32 v4, -1, v2, vcc
	v_pk_mov_b32 v[2:3], s[26:27], s[26:27] op_sel:[0,1]
	v_mad_i64_i32 v[2:3], s[10:11], s10, v5, v[2:3]
	global_store_byte v[2:3], v4, off
.LBB212_26:
	s_or_b64 exec, exec, s[2:3]
	s_and_saveexec_b64 s[2:3], s[0:1]
	s_cbranch_execz .LBB212_28
; %bb.27:
	s_load_dwordx2 s[0:1], s[4:5], 0x0
	s_mul_hi_i32 s7, s8, s6
	s_mul_i32 s8, s8, s6
	v_lshlrev_b32_e32 v2, 2, v0
	s_mov_b32 s11, 0x20000
	s_waitcnt lgkmcnt(0)
	s_add_u32 s8, s0, s8
	s_addc_u32 s0, s1, s7
	s_lshr_b32 s1, s19, 31
	s_add_i32 s1, s19, s1
	s_ashr_i32 s1, s1, 1
	s_add_i32 s1, s1, 3
	s_ashr_i32 s7, s1, 31
	s_lshr_b32 s7, s7, 30
	s_add_i32 s1, s1, s7
	s_and_b32 s10, s1, -4
	s_and_b32 s9, s0, 0xffff
	v_mov_b32_e32 v3, 0
	buffer_store_dword v3, v2, s[8:11], 0 offen
	;;#ASMSTART
	s_nop 0
	;;#ASMEND
.LBB212_28:
	s_or_b64 exec, exec, s[2:3]
	s_cmp_lt_i32 s20, 1
	s_cbranch_scc1 .LBB212_15
.LBB212_29:
	s_load_dword s0, s[4:5], 0x94
	s_waitcnt lgkmcnt(0)
	s_cmp_lg_u32 s0, 1
	s_cbranch_scc1 .LBB212_15
; %bb.30:
	s_lshl_b32 s0, s20, 1
	s_add_i32 s0, s0, 2
	v_cmp_gt_u32_e32 vcc, s20, v1
	s_and_b32 s26, s0, -4
	v_mov_b32_e32 v4, 0
	s_waitcnt vmcnt(0)
	v_lshlrev_b32_e32 v12, 4, v0
	v_mov_b32_e32 v5, 0
	v_mov_b32_e32 v6, 0
	;; [unrolled: 1-line block ×7, first 2 shown]
	s_barrier
	s_and_saveexec_b64 s[0:1], vcc
	s_cbranch_execz .LBB212_32
; %bb.31:
	s_mul_hi_i32 s3, s22, s6
	s_mul_i32 s2, s22, s6
	s_and_b32 s25, s25, 0xffff
	s_lshl_b64 s[2:3], s[2:3], 1
	s_add_u32 s8, s34, s2
	s_mov_b32 s27, 0x20000
	s_addc_u32 s2, s35, s3
	s_and_b32 s9, s2, 0xffff
	s_mov_b32 s10, s26
	s_mov_b32 s11, s27
	buffer_load_dwordx4 v[4:7], v12, s[8:11], 0 offen glc slc
	buffer_load_dwordx4 v[0:3], v12, s[24:27], 0 offen
.LBB212_32:
	s_or_b64 exec, exec, s[0:1]
	s_waitcnt vmcnt(1)
	v_cvt_f32_u32_sdwa v11, v4 dst_sel:DWORD dst_unused:UNUSED_PAD src0_sel:WORD_1
	v_cvt_f32_u32_sdwa v10, v4 dst_sel:DWORD dst_unused:UNUSED_PAD src0_sel:WORD_0
	v_cvt_f32_u32_sdwa v4, v7 dst_sel:DWORD dst_unused:UNUSED_PAD src0_sel:WORD_1
	v_cvt_f32_u32_sdwa v7, v7 dst_sel:DWORD dst_unused:UNUSED_PAD src0_sel:WORD_0
	;; [unrolled: 2-line block ×4, first 2 shown]
	v_cndmask_b32_e32 v11, 0, v11, vcc
	v_cndmask_b32_e32 v5, 0, v4, vcc
	;; [unrolled: 1-line block ×5, first 2 shown]
	v_mul_f32_e32 v13, v11, v11
	v_cndmask_b32_e32 v8, 0, v8, vcc
	v_fmac_f32_e32 v13, v10, v10
	v_cndmask_b32_e32 v9, 0, v9, vcc
	v_fmac_f32_e32 v13, v8, v8
	;; [unrolled: 2-line block ×3, first 2 shown]
	v_fmac_f32_e32 v13, v6, v6
	v_fmac_f32_e32 v13, v7, v7
	;; [unrolled: 1-line block ×4, first 2 shown]
	s_nop 1
	v_mov_b32_dpp v15, v13 quad_perm:[1,0,3,2] row_mask:0xf bank_mask:0xf
	v_add_f32_e32 v13, v13, v15
	s_nop 1
	v_mov_b32_dpp v15, v13 quad_perm:[2,3,0,1] row_mask:0xf bank_mask:0xf
	v_add_f32_e32 v13, v13, v15
	s_nop 1
	v_mov_b32_dpp v15, v13 row_half_mirror row_mask:0xf bank_mask:0xf
	v_add_f32_e32 v13, v13, v15
	s_nop 1
	v_mov_b32_dpp v15, v13 row_mirror row_mask:0xf bank_mask:0xf
	v_add_f32_e32 v13, v13, v15
	s_nop 1
	v_mov_b32_dpp v15, v13 row_bcast:15 row_mask:0xf bank_mask:0xf
	v_add_f32_e32 v13, v13, v15
	s_nop 1
	v_mov_b32_dpp v15, v13 row_bcast:31 row_mask:0xf bank_mask:0xf
	v_add_f32_e32 v13, v13, v15
	ds_bpermute_b32 v13, v14, v13
	s_and_saveexec_b64 s[0:1], vcc
	s_cbranch_execz .LBB212_15
; %bb.33:
	v_cvt_f32_u32_e32 v14, s20
	s_mov_b32 s27, 0x20000
	s_waitcnt lgkmcnt(0)
	v_div_scale_f32 v15, s[0:1], v14, v14, v13
	v_rcp_f32_e32 v16, v15
	v_div_scale_f32 v17, vcc, v13, v14, v13
	s_mov_b32 s0, 0x800000
	v_fma_f32 v18, -v15, v16, 1.0
	v_fmac_f32_e32 v16, v18, v16
	v_mul_f32_e32 v18, v17, v16
	v_fma_f32 v19, -v15, v18, v17
	v_fmac_f32_e32 v18, v19, v16
	v_fma_f32 v15, -v15, v18, v17
	v_div_fmas_f32 v15, v15, v16, v18
	v_div_fixup_f32 v13, v15, v14, v13
	v_add_f32_e32 v13, s17, v13
	v_mul_f32_e32 v14, 0x4b800000, v13
	v_cmp_gt_f32_e32 vcc, s0, v13
	v_cndmask_b32_e32 v13, v13, v14, vcc
	v_rsq_f32_e32 v13, v13
	s_waitcnt vmcnt(0)
	v_cvt_f32_u32_sdwa v15, v0 dst_sel:DWORD dst_unused:UNUSED_PAD src0_sel:WORD_1
	v_cvt_f32_u32_sdwa v19, v1 dst_sel:DWORD dst_unused:UNUSED_PAD src0_sel:WORD_1
	v_cvt_f32_u32_sdwa v18, v1 dst_sel:DWORD dst_unused:UNUSED_PAD src0_sel:WORD_0
	v_mul_f32_e32 v14, 0x45800000, v13
	v_cndmask_b32_e32 v16, v13, v14, vcc
	v_cvt_f32_u32_sdwa v14, v0 dst_sel:DWORD dst_unused:UNUSED_PAD src0_sel:WORD_0
	v_mov_b32_e32 v17, v16
	;;#ASMSTART
	v_pk_mul_f32 v[10:11], v[10:11], v[16:17]
	;;#ASMEND
	;;#ASMSTART
	v_pk_mul_f32 v[8:9], v[8:9], v[16:17]
	;;#ASMEND
	;; [unrolled: 3-line block ×4, first 2 shown]
	v_pk_add_f32 v[4:5], v[14:15], 1.0 op_sel_hi:[1,0]
	v_cvt_f32_u32_sdwa v15, v2 dst_sel:DWORD dst_unused:UNUSED_PAD src0_sel:WORD_1
	v_cvt_f32_u32_sdwa v14, v2 dst_sel:DWORD dst_unused:UNUSED_PAD src0_sel:WORD_0
	v_cvt_f32_u32_sdwa v17, v3 dst_sel:DWORD dst_unused:UNUSED_PAD src0_sel:WORD_1
	v_cvt_f32_u32_sdwa v16, v3 dst_sel:DWORD dst_unused:UNUSED_PAD src0_sel:WORD_0
	s_mul_hi_i32 s1, s12, s6
	s_mul_i32 s0, s12, s6
	s_lshl_b64 s[0:1], s[0:1], 1
	s_add_u32 s24, s14, s0
	;;#ASMSTART
	v_pk_mul_f32 v[4:5], v[10:11], v[4:5]
	;;#ASMEND
	v_pk_add_f32 v[10:11], v[18:19], 1.0 op_sel_hi:[1,0]
	;;#ASMSTART
	v_pk_mul_f32 v[2:3], v[8:9], v[10:11]
	;;#ASMEND
	v_pk_add_f32 v[8:9], v[14:15], 1.0 op_sel_hi:[1,0]
	s_addc_u32 s0, s15, s1
	;;#ASMSTART
	v_pk_mul_f32 v[6:7], v[6:7], v[8:9]
	;;#ASMEND
	v_pk_add_f32 v[8:9], v[16:17], 1.0 op_sel_hi:[1,0]
	s_and_b32 s25, s0, 0xffff
	s_mov_b32 s0, 0x7060302
	;;#ASMSTART
	v_pk_mul_f32 v[8:9], v[0:1], v[8:9]
	;;#ASMEND
	v_perm_b32 v0, v5, v4, s0
	v_perm_b32 v1, v3, v2, s0
	;; [unrolled: 1-line block ×4, first 2 shown]
	buffer_store_dwordx4 v[0:3], v12, s[24:27], 0 offen
	;;#ASMSTART
	s_nop 0
	;;#ASMEND
	s_endpgm
	.section	.rodata,"a",@progbits
	.p2align	6, 0x0
	.amdhsa_kernel _ZN5aiter35fused_qk_rmsnorm_group_quant_kernelItN4opus5fp4_tELi64ELi8ELi4ELb1ELb1ELb1ELb0ELb0ELb0EEEvPT0_PvPT_S7_S7_PKS6_S9_S9_S9_S9_ffiiiiiiiiiiiii
		.amdhsa_group_segment_fixed_size 0
		.amdhsa_private_segment_fixed_size 0
		.amdhsa_kernarg_size 400
		.amdhsa_user_sgpr_count 6
		.amdhsa_user_sgpr_private_segment_buffer 1
		.amdhsa_user_sgpr_dispatch_ptr 0
		.amdhsa_user_sgpr_queue_ptr 0
		.amdhsa_user_sgpr_kernarg_segment_ptr 1
		.amdhsa_user_sgpr_dispatch_id 0
		.amdhsa_user_sgpr_flat_scratch_init 0
		.amdhsa_user_sgpr_kernarg_preload_length 0
		.amdhsa_user_sgpr_kernarg_preload_offset 0
		.amdhsa_user_sgpr_private_segment_size 0
		.amdhsa_uses_dynamic_stack 0
		.amdhsa_system_sgpr_private_segment_wavefront_offset 0
		.amdhsa_system_sgpr_workgroup_id_x 1
		.amdhsa_system_sgpr_workgroup_id_y 1
		.amdhsa_system_sgpr_workgroup_id_z 0
		.amdhsa_system_sgpr_workgroup_info 0
		.amdhsa_system_vgpr_workitem_id 0
		.amdhsa_next_free_vgpr 27
		.amdhsa_next_free_sgpr 44
		.amdhsa_accum_offset 28
		.amdhsa_reserve_vcc 1
		.amdhsa_reserve_flat_scratch 0
		.amdhsa_float_round_mode_32 0
		.amdhsa_float_round_mode_16_64 0
		.amdhsa_float_denorm_mode_32 3
		.amdhsa_float_denorm_mode_16_64 3
		.amdhsa_dx10_clamp 1
		.amdhsa_ieee_mode 1
		.amdhsa_fp16_overflow 0
		.amdhsa_tg_split 0
		.amdhsa_exception_fp_ieee_invalid_op 0
		.amdhsa_exception_fp_denorm_src 0
		.amdhsa_exception_fp_ieee_div_zero 0
		.amdhsa_exception_fp_ieee_overflow 0
		.amdhsa_exception_fp_ieee_underflow 0
		.amdhsa_exception_fp_ieee_inexact 0
		.amdhsa_exception_int_div_zero 0
	.end_amdhsa_kernel
	.section	.text._ZN5aiter35fused_qk_rmsnorm_group_quant_kernelItN4opus5fp4_tELi64ELi8ELi4ELb1ELb1ELb1ELb0ELb0ELb0EEEvPT0_PvPT_S7_S7_PKS6_S9_S9_S9_S9_ffiiiiiiiiiiiii,"axG",@progbits,_ZN5aiter35fused_qk_rmsnorm_group_quant_kernelItN4opus5fp4_tELi64ELi8ELi4ELb1ELb1ELb1ELb0ELb0ELb0EEEvPT0_PvPT_S7_S7_PKS6_S9_S9_S9_S9_ffiiiiiiiiiiiii,comdat
.Lfunc_end212:
	.size	_ZN5aiter35fused_qk_rmsnorm_group_quant_kernelItN4opus5fp4_tELi64ELi8ELi4ELb1ELb1ELb1ELb0ELb0ELb0EEEvPT0_PvPT_S7_S7_PKS6_S9_S9_S9_S9_ffiiiiiiiiiiiii, .Lfunc_end212-_ZN5aiter35fused_qk_rmsnorm_group_quant_kernelItN4opus5fp4_tELi64ELi8ELi4ELb1ELb1ELb1ELb0ELb0ELb0EEEvPT0_PvPT_S7_S7_PKS6_S9_S9_S9_S9_ffiiiiiiiiiiiii
                                        ; -- End function
	.section	.AMDGPU.csdata,"",@progbits
; Kernel info:
; codeLenInByte = 2800
; NumSgprs: 48
; NumVgprs: 27
; NumAgprs: 0
; TotalNumVgprs: 27
; ScratchSize: 0
; MemoryBound: 0
; FloatMode: 240
; IeeeMode: 1
; LDSByteSize: 0 bytes/workgroup (compile time only)
; SGPRBlocks: 5
; VGPRBlocks: 3
; NumSGPRsForWavesPerEU: 48
; NumVGPRsForWavesPerEU: 27
; AccumOffset: 28
; Occupancy: 8
; WaveLimiterHint : 0
; COMPUTE_PGM_RSRC2:SCRATCH_EN: 0
; COMPUTE_PGM_RSRC2:USER_SGPR: 6
; COMPUTE_PGM_RSRC2:TRAP_HANDLER: 0
; COMPUTE_PGM_RSRC2:TGID_X_EN: 1
; COMPUTE_PGM_RSRC2:TGID_Y_EN: 1
; COMPUTE_PGM_RSRC2:TGID_Z_EN: 0
; COMPUTE_PGM_RSRC2:TIDIG_COMP_CNT: 0
; COMPUTE_PGM_RSRC3_GFX90A:ACCUM_OFFSET: 6
; COMPUTE_PGM_RSRC3_GFX90A:TG_SPLIT: 0
	.section	.text._ZN5aiter35fused_qk_rmsnorm_group_quant_kernelIDF16_DB8_Li64ELi8ELi4ELb1ELb1ELb0ELb0ELb0ELb0EEEvPT0_PvPT_S6_S6_PKS5_S8_S8_S8_S8_ffiiiiiiiiiiiii,"axG",@progbits,_ZN5aiter35fused_qk_rmsnorm_group_quant_kernelIDF16_DB8_Li64ELi8ELi4ELb1ELb1ELb0ELb0ELb0ELb0EEEvPT0_PvPT_S6_S6_PKS5_S8_S8_S8_S8_ffiiiiiiiiiiiii,comdat
	.protected	_ZN5aiter35fused_qk_rmsnorm_group_quant_kernelIDF16_DB8_Li64ELi8ELi4ELb1ELb1ELb0ELb0ELb0ELb0EEEvPT0_PvPT_S6_S6_PKS5_S8_S8_S8_S8_ffiiiiiiiiiiiii ; -- Begin function _ZN5aiter35fused_qk_rmsnorm_group_quant_kernelIDF16_DB8_Li64ELi8ELi4ELb1ELb1ELb0ELb0ELb0ELb0EEEvPT0_PvPT_S6_S6_PKS5_S8_S8_S8_S8_ffiiiiiiiiiiiii
	.globl	_ZN5aiter35fused_qk_rmsnorm_group_quant_kernelIDF16_DB8_Li64ELi8ELi4ELb1ELb1ELb0ELb0ELb0ELb0EEEvPT0_PvPT_S6_S6_PKS5_S8_S8_S8_S8_ffiiiiiiiiiiiii
	.p2align	8
	.type	_ZN5aiter35fused_qk_rmsnorm_group_quant_kernelIDF16_DB8_Li64ELi8ELi4ELb1ELb1ELb0ELb0ELb0ELb0EEEvPT0_PvPT_S6_S6_PKS5_S8_S8_S8_S8_ffiiiiiiiiiiiii,@function
_ZN5aiter35fused_qk_rmsnorm_group_quant_kernelIDF16_DB8_Li64ELi8ELi4ELb1ELb1ELb0ELb0ELb0ELb0EEEvPT0_PvPT_S6_S6_PKS5_S8_S8_S8_S8_ffiiiiiiiiiiiii: ; @_ZN5aiter35fused_qk_rmsnorm_group_quant_kernelIDF16_DB8_Li64ELi8ELi4ELb1ELb1ELb0ELb0ELb0ELb0EEEvPT0_PvPT_S6_S6_PKS5_S8_S8_S8_S8_ffiiiiiiiiiiiii
; %bb.0:
	s_load_dwordx8 s[16:23], s[4:5], 0x50
	s_waitcnt lgkmcnt(0)
	s_cmp_ge_i32 s6, s18
	s_cbranch_scc1 .LBB213_15
; %bb.1:
	s_cmp_lg_u32 s7, 0
	s_cselect_b64 s[2:3], -1, 0
	s_cmp_eq_u32 s7, 0
	s_cselect_b64 s[26:27], -1, 0
	s_and_b64 s[0:1], s[26:27], exec
	s_load_dwordx2 s[24:25], s[4:5], 0x48
	s_load_dwordx2 s[34:35], s[4:5], 0x30
	s_load_dwordx8 s[8:15], s[4:5], 0x70
	s_cselect_b32 s7, s19, s20
	s_add_i32 s0, s7, 1
	s_lshr_b32 s1, s0, 31
	s_add_i32 s0, s0, s1
	s_lshl_b32 s0, s0, 1
	v_lshlrev_b32_e32 v1, 3, v0
	s_and_b32 s30, s0, -4
	v_cmp_gt_i32_e64 s[0:1], s7, v1
	v_mov_b32_e32 v24, 0
	v_mov_b32_e32 v25, 0
	;; [unrolled: 1-line block ×8, first 2 shown]
	s_waitcnt lgkmcnt(0)
	s_and_saveexec_b64 s[14:15], s[0:1]
	s_cbranch_execz .LBB213_3
; %bb.2:
	s_load_dwordx2 s[28:29], s[4:5], 0x28
	s_load_dwordx2 s[38:39], s[4:5], 0x40
	s_and_b64 s[36:37], s[26:27], exec
	s_cselect_b32 s18, s21, s22
	v_lshlrev_b32_e32 v2, 4, v0
	s_waitcnt lgkmcnt(0)
	s_cselect_b32 s21, s29, s35
	s_cselect_b32 s31, s28, s34
	s_mul_hi_i32 s29, s18, s6
	s_mul_i32 s28, s18, s6
	s_lshl_b64 s[28:29], s[28:29], 1
	s_add_u32 s36, s31, s28
	s_addc_u32 s18, s21, s29
	s_and_b64 s[26:27], s[26:27], exec
	s_mov_b32 s31, 0x20000
	s_cselect_b32 s28, s38, s24
	s_cselect_b32 s21, s39, s25
	s_and_b32 s37, s18, 0xffff
	s_mov_b32 s38, s30
	s_mov_b32 s39, s31
	s_and_b32 s29, s21, 0xffff
	buffer_load_dwordx4 v[28:31], v2, s[36:39], 0 offen glc slc
	buffer_load_dwordx4 v[24:27], v2, s[28:31], 0 offen
.LBB213_3:
	s_or_b64 exec, exec, s[14:15]
	s_and_b64 vcc, exec, s[2:3]
	s_cbranch_vccz .LBB213_7
; %bb.4:
	v_mov_b32_e32 v33, 0
	v_mov_b32_e32 v32, 0
	;; [unrolled: 1-line block ×8, first 2 shown]
	s_and_saveexec_b64 s[14:15], s[0:1]
	s_cbranch_execz .LBB213_6
; %bb.5:
	s_waitcnt vmcnt(1)
	v_cvt_f32_f16_sdwa v17, v28 dst_sel:DWORD dst_unused:UNUSED_PAD src0_sel:WORD_1
	v_cvt_f32_f16_e32 v16, v28
	v_cvt_f32_f16_sdwa v11, v29 dst_sel:DWORD dst_unused:UNUSED_PAD src0_sel:WORD_1
	v_cvt_f32_f16_e32 v10, v29
	;; [unrolled: 2-line block ×4, first 2 shown]
.LBB213_6:
	s_or_b64 exec, exec, s[14:15]
	s_mov_b32 s18, s17
	s_cbranch_execz .LBB213_8
	s_branch .LBB213_11
.LBB213_7:
                                        ; implicit-def: $vgpr8_vgpr9_vgpr10_vgpr11_vgpr12_vgpr13_vgpr14_vgpr15
                                        ; implicit-def: $vgpr33
                                        ; implicit-def: $vgpr16_vgpr17_vgpr18_vgpr19_vgpr20_vgpr21_vgpr22_vgpr23
                                        ; implicit-def: $vgpr2_vgpr3_vgpr4_vgpr5_vgpr6_vgpr7_vgpr8_vgpr9
	s_mov_b32 s18, s17
.LBB213_8:
	v_mov_b32_e32 v33, 0
	v_mov_b32_e32 v32, 0
	;; [unrolled: 1-line block ×8, first 2 shown]
	s_and_saveexec_b64 s[14:15], s[0:1]
	s_cbranch_execz .LBB213_10
; %bb.9:
	s_load_dwordx2 s[26:27], s[4:5], 0x38
	s_mul_hi_i32 s29, s23, s6
	s_mul_i32 s28, s23, s6
	s_lshl_b64 s[28:29], s[28:29], 1
	s_mov_b32 s31, 0x20000
	s_waitcnt lgkmcnt(0)
	s_add_u32 s28, s26, s28
	s_addc_u32 s18, s27, s29
	s_and_b32 s29, s18, 0xffff
	v_lshlrev_b32_e32 v20, 4, v0
	buffer_load_dwordx4 v[2:5], v20, s[28:31], 0 offen glc slc
	s_waitcnt vmcnt(2)
	v_cvt_f32_f16_sdwa v7, v28 dst_sel:DWORD dst_unused:UNUSED_PAD src0_sel:WORD_1
	v_cvt_f32_f16_e32 v6, v28
	v_cvt_f32_f16_sdwa v9, v29 dst_sel:DWORD dst_unused:UNUSED_PAD src0_sel:WORD_1
	v_cvt_f32_f16_e32 v8, v29
	v_cvt_f32_f16_sdwa v13, v30 dst_sel:DWORD dst_unused:UNUSED_PAD src0_sel:WORD_1
	v_cvt_f32_f16_e32 v12, v30
	v_cvt_f32_f16_sdwa v15, v31 dst_sel:DWORD dst_unused:UNUSED_PAD src0_sel:WORD_1
	v_cvt_f32_f16_e32 v14, v31
	s_load_dwordx2 s[26:27], s[4:5], 0x20
	s_mul_hi_i32 s29, s13, s6
	s_mul_i32 s28, s13, s6
	s_lshl_b64 s[28:29], s[28:29], 1
	s_waitcnt lgkmcnt(0)
	s_add_u32 s28, s26, s28
	s_addc_u32 s13, s27, s29
	s_and_b32 s29, s13, 0xffff
	s_waitcnt vmcnt(0)
	v_cvt_f32_f16_e32 v10, v2
	v_cvt_f32_f16_sdwa v11, v2 dst_sel:DWORD dst_unused:UNUSED_PAD src0_sel:WORD_1
	v_cvt_f32_f16_e32 v2, v3
	v_cvt_f32_f16_sdwa v3, v3 dst_sel:DWORD dst_unused:UNUSED_PAD src0_sel:WORD_1
	;; [unrolled: 2-line block ×4, first 2 shown]
	v_pk_add_f32 v[16:17], v[6:7], v[10:11]
	v_pk_add_f32 v[10:11], v[8:9], v[2:3]
	;; [unrolled: 1-line block ×4, first 2 shown]
	v_cvt_f16_f32_e32 v2, v17
	v_cvt_f16_f32_e32 v3, v11
	;; [unrolled: 1-line block ×8, first 2 shown]
	v_pack_b32_f16 v5, v8, v5
	v_pack_b32_f16 v4, v9, v4
	;; [unrolled: 1-line block ×4, first 2 shown]
	buffer_store_dwordx4 v[2:5], v20, s[28:31], 0 offen glc slc
	;;#ASMSTART
	s_nop 0
	;;#ASMEND
.LBB213_10:
	s_or_b64 exec, exec, s[14:15]
	s_mov_b32 s18, s16
.LBB213_11:
	v_mul_f32_e32 v2, v17, v17
	v_fmac_f32_e32 v2, v16, v16
	v_fmac_f32_e32 v2, v10, v10
	;; [unrolled: 1-line block ×7, first 2 shown]
	v_bfrev_b32_e32 v4, 0.5
	s_load_dwordx2 s[14:15], s[4:5], 0x18
	v_mov_b32_dpp v3, v2 quad_perm:[1,0,3,2] row_mask:0xf bank_mask:0xf
	v_add_f32_e32 v2, v2, v3
	s_nop 1
	v_mov_b32_dpp v3, v2 quad_perm:[2,3,0,1] row_mask:0xf bank_mask:0xf
	v_add_f32_e32 v2, v2, v3
	s_nop 1
	v_mov_b32_dpp v3, v2 row_half_mirror row_mask:0xf bank_mask:0xf
	v_add_f32_e32 v2, v2, v3
	s_nop 1
	v_mov_b32_dpp v3, v2 row_mirror row_mask:0xf bank_mask:0xf
	v_add_f32_e32 v2, v2, v3
	s_nop 1
	v_mov_b32_dpp v3, v2 row_bcast:15 row_mask:0xf bank_mask:0xf
	v_add_f32_e32 v2, v2, v3
	s_nop 1
	v_mov_b32_dpp v3, v2 row_bcast:31 row_mask:0xf bank_mask:0xf
	v_add_f32_e32 v2, v2, v3
	v_mbcnt_lo_u32_b32 v3, -1, 0
	v_mbcnt_hi_u32_b32 v3, -1, v3
	v_lshl_or_b32 v18, v3, 2, v4
	ds_bpermute_b32 v2, v18, v2
	s_and_saveexec_b64 s[26:27], s[0:1]
	s_cbranch_execnz .LBB213_16
; %bb.12:
	s_or_b64 exec, exec, s[26:27]
	s_mov_b64 s[26:27], -1
	s_and_b64 vcc, exec, s[2:3]
	s_cbranch_vccnz .LBB213_17
.LBB213_13:
	s_andn2_b64 vcc, exec, s[26:27]
	s_cbranch_vccz .LBB213_20
.LBB213_14:
	s_cmp_lt_i32 s20, 1
	s_cbranch_scc0 .LBB213_29
.LBB213_15:
	s_endpgm
.LBB213_16:
	v_cvt_f32_u32_e32 v3, s7
	s_mov_b32 s7, 0x800000
	s_waitcnt vmcnt(0)
	v_cvt_f32_f16_sdwa v13, v25 dst_sel:DWORD dst_unused:UNUSED_PAD src0_sel:WORD_1
	v_cvt_f32_f16_sdwa v15, v26 dst_sel:DWORD dst_unused:UNUSED_PAD src0_sel:WORD_1
	s_waitcnt lgkmcnt(0)
	v_div_scale_f32 v4, s[28:29], v3, v3, v2
	v_rcp_f32_e32 v5, v4
	v_div_scale_f32 v8, vcc, v2, v3, v2
	v_cvt_f32_f16_e32 v14, v26
	v_fma_f32 v9, -v4, v5, 1.0
	v_fmac_f32_e32 v5, v9, v5
	v_mul_f32_e32 v9, v8, v5
	v_fma_f32 v12, -v4, v9, v8
	v_fmac_f32_e32 v9, v12, v5
	v_fma_f32 v4, -v4, v9, v8
	v_div_fmas_f32 v4, v4, v5, v9
	v_div_fixup_f32 v2, v4, v3, v2
	v_add_f32_e32 v2, s18, v2
	v_mul_f32_e32 v3, 0x4b800000, v2
	v_cmp_gt_f32_e32 vcc, s7, v2
	v_cndmask_b32_e32 v2, v2, v3, vcc
	v_rsq_f32_e32 v2, v2
	v_cvt_f32_f16_e32 v12, v25
	v_cvt_f32_f16_sdwa v21, v27 dst_sel:DWORD dst_unused:UNUSED_PAD src0_sel:WORD_1
	v_cvt_f32_f16_e32 v20, v27
	v_mul_f32_e32 v3, 0x45800000, v2
	v_cndmask_b32_e32 v2, v2, v3, vcc
	v_mov_b32_e32 v3, v2
	;;#ASMSTART
	v_pk_mul_f32 v[4:5], v[16:17], v[2:3]
	;;#ASMEND
	;;#ASMSTART
	v_pk_mul_f32 v[8:9], v[10:11], v[2:3]
	;;#ASMEND
	;; [unrolled: 3-line block ×3, first 2 shown]
	v_cvt_f32_f16_sdwa v11, v24 dst_sel:DWORD dst_unused:UNUSED_PAD src0_sel:WORD_1
	v_cvt_f32_f16_e32 v10, v24
	;;#ASMSTART
	v_pk_mul_f32 v[2:3], v[32:33], v[2:3]
	;;#ASMEND
	;;#ASMSTART
	v_pk_mul_f32 v[16:17], v[4:5], v[10:11]
	;;#ASMEND
	;; [unrolled: 3-line block ×5, first 2 shown]
	s_or_b64 exec, exec, s[26:27]
	s_mov_b64 s[26:27], -1
	s_and_b64 vcc, exec, s[2:3]
	s_cbranch_vccz .LBB213_13
.LBB213_17:
	s_and_saveexec_b64 s[2:3], s[0:1]
	s_cbranch_execz .LBB213_19
; %bb.18:
	s_mul_hi_i32 s27, s12, s6
	s_mul_i32 s26, s12, s6
	s_waitcnt lgkmcnt(0)
	v_cvt_f16_f32_e32 v2, v16
	v_cvt_f16_f32_e32 v3, v10
	;; [unrolled: 1-line block ×8, first 2 shown]
	s_lshl_b64 s[26:27], s[26:27], 1
	s_add_u32 s28, s14, s26
	s_addc_u32 s7, s15, s27
	s_and_b32 s29, s7, 0xffff
	s_mov_b32 s31, 0x20000
	v_pack_b32_f16 v5, v5, v8
	v_pack_b32_f16 v4, v4, v9
	;; [unrolled: 1-line block ×4, first 2 shown]
	v_lshlrev_b32_e32 v8, 4, v0
	buffer_store_dwordx4 v[2:5], v8, s[28:31], 0 offen
	;;#ASMSTART
	s_nop 0
	;;#ASMEND
.LBB213_19:
	s_or_b64 exec, exec, s[2:3]
	s_cbranch_execnz .LBB213_14
.LBB213_20:
	s_waitcnt lgkmcnt(0)
	v_mov_b32_e32 v2, 0
	s_and_saveexec_b64 s[2:3], s[0:1]
	s_cbranch_execz .LBB213_22
; %bb.21:
	s_load_dwordx2 s[26:27], s[4:5], 0x10
	s_mul_hi_i32 s29, s11, s6
	s_mul_i32 s28, s11, s6
	v_cvt_f16_f32_e32 v2, v16
	v_cvt_f16_f32_e32 v3, v10
	;; [unrolled: 1-line block ×8, first 2 shown]
	s_lshl_b64 s[28:29], s[28:29], 1
	s_waitcnt lgkmcnt(0)
	s_add_u32 s28, s26, s28
	s_addc_u32 s7, s27, s29
	s_mov_b32 s31, 0x20000
	s_and_b32 s29, s7, 0xffff
	v_pack_b32_f16 v5, v5, v8
	v_pack_b32_f16 v4, v4, v9
	;; [unrolled: 1-line block ×4, first 2 shown]
	v_lshlrev_b32_e32 v8, 4, v0
	buffer_store_dwordx4 v[2:5], v8, s[28:31], 0 offen
	;;#ASMSTART
	s_nop 0
	;;#ASMEND
	s_nop 0
	v_mov_b32_e32 v2, 0x2edbe6ff
.LBB213_22:
	s_or_b64 exec, exec, s[2:3]
	s_and_saveexec_b64 s[2:3], s[0:1]
	s_cbranch_execz .LBB213_24
; %bb.23:
	v_and_b32_e32 v3, 0x7fffffff, v16
	v_and_b32_e32 v4, 0x7fffffff, v17
	;;#ASMSTART
	v_max3_f32 v2, v2, v3, v4

	;;#ASMEND
	v_and_b32_e32 v3, 0x7fffffff, v10
	v_and_b32_e32 v4, 0x7fffffff, v11
	;;#ASMSTART
	v_max3_f32 v2, v2, v3, v4

	;;#ASMEND
	;; [unrolled: 6-line block ×4, first 2 shown]
.LBB213_24:
	s_or_b64 exec, exec, s[2:3]
	;;#ASMSTART
	v_max_f32 v3, v2, v2 quad_perm:[1,0,3,2] row_mask:0xf bank_mask:0xf bound_ctrl:1
	;;#ASMEND
	;;#ASMSTART
	v_max_f32 v2, v3, v3 quad_perm:[2,3,0,1] row_mask:0xf bank_mask:0xf bound_ctrl:1
	;;#ASMEND
	v_and_b32_e32 v3, 3, v0
	v_cmp_eq_u32_e32 vcc, 0, v3
	v_cmp_gt_i32_e64 s[2:3], s19, v1
	v_mul_f32_e32 v2, 0x3b124925, v2
	s_and_b64 s[26:27], vcc, s[2:3]
	s_and_saveexec_b64 s[2:3], s[26:27]
	s_cbranch_execz .LBB213_26
; %bb.25:
	s_load_dwordx2 s[26:27], s[4:5], 0x8
	v_lshrrev_b32_e32 v3, 2, v0
	s_mul_hi_i32 s29, s9, s6
	s_mul_i32 s28, s9, s6
	v_mad_i64_i32 v[4:5], s[10:11], s10, v3, 0
	s_lshl_b64 s[10:11], s[28:29], 2
	s_waitcnt lgkmcnt(0)
	s_add_u32 s7, s26, s10
	s_addc_u32 s9, s27, s11
	v_lshlrev_b64 v[4:5], 2, v[4:5]
	v_mov_b32_e32 v3, s9
	v_add_co_u32_e32 v4, vcc, s7, v4
	v_addc_co_u32_e32 v5, vcc, v3, v5, vcc
	global_store_dword v[4:5], v2, off
.LBB213_26:
	s_or_b64 exec, exec, s[2:3]
	;;#ASMSTART
	v_rcp_f32 v2, v2
	;;#ASMEND
	s_and_saveexec_b64 s[10:11], s[0:1]
	s_cbranch_execz .LBB213_28
; %bb.27:
	v_mov_b32_e32 v3, v2
	;;#ASMSTART
	v_pk_mul_f32 v[4:5], v[16:17], v[2:3]
	;;#ASMEND
	s_load_dwordx2 s[0:1], s[4:5], 0x0
	v_mov_b32_e32 v8, 0xc3e00000
	v_mov_b32_e32 v9, 0x43e00000
	;;#ASMSTART
	v_med3_f32 v4, v4, v8, v9
v_med3_f32 v5, v5, v8, v9
v_cvt_pk_fp8_f32 v12, v4, v5
	;;#ASMEND
	;;#ASMSTART
	v_pk_mul_f32 v[4:5], v[10:11], v[2:3]
	;;#ASMEND
	s_mul_hi_i32 s2, s8, s6
	s_mul_i32 s3, s8, s6
	;;#ASMSTART
	v_med3_f32 v4, v4, v8, v9
v_med3_f32 v5, v5, v8, v9
v_cvt_pk_fp8_f32 v10, v4, v5
	;;#ASMEND
	s_mov_b32 s8, 0x5040100
	v_perm_b32 v5, v10, v12, s8
	s_movk_i32 s8, 0xff
	v_and_b32_e32 v4, 0xffffff00, v10
	v_and_b32_sdwa v10, v5, s8 dst_sel:DWORD dst_unused:UNUSED_PAD src0_sel:WORD_1 src1_sel:DWORD
	s_mov_b32 s7, 0xffff
	s_waitcnt lgkmcnt(0)
	s_add_u32 s0, s0, s3
	v_or_b32_sdwa v4, v10, v4 dst_sel:WORD_1 dst_unused:UNUSED_PAD src0_sel:DWORD src1_sel:DWORD
	s_addc_u32 s1, s1, s2
	s_add_i32 s2, s19, 3
	v_and_or_b32 v4, v5, s7, v4
	;;#ASMSTART
	v_pk_mul_f32 v[6:7], v[6:7], v[2:3]
	;;#ASMEND
	v_mov_b32_e32 v5, v7
	s_ashr_i32 s3, s2, 31
	;;#ASMSTART
	v_med3_f32 v6, v6, v8, v9
v_med3_f32 v5, v5, v8, v9
v_cvt_pk_fp8_f32 v7, v6, v5
	;;#ASMEND
	;;#ASMSTART
	v_pk_mul_f32 v[2:3], v[32:33], v[2:3]
	;;#ASMEND
	s_lshr_b32 s3, s3, 30
	;;#ASMSTART
	v_med3_f32 v2, v2, v8, v9
v_med3_f32 v3, v3, v8, v9
v_cvt_pk_fp8_f32 v5, v2, v3
	;;#ASMEND
	s_add_i32 s2, s2, s3
	v_lshlrev_b32_e32 v2, 16, v5
	s_and_b32 s2, s2, -4
	s_and_b32 s1, s1, 0xffff
	s_mov_b32 s3, 0x20000
	v_and_or_b32 v5, v7, s7, v2
	buffer_store_dwordx2 v[4:5], v1, s[0:3], 0 offen
	;;#ASMSTART
	s_nop 0
	;;#ASMEND
.LBB213_28:
	s_or_b64 exec, exec, s[10:11]
	s_cmp_lt_i32 s20, 1
	s_cbranch_scc1 .LBB213_15
.LBB213_29:
	s_load_dword s0, s[4:5], 0x94
	s_waitcnt lgkmcnt(0)
	s_cmp_lg_u32 s0, 1
	s_cbranch_scc1 .LBB213_15
; %bb.30:
	s_lshl_b32 s0, s20, 1
	s_add_i32 s0, s0, 2
	v_cmp_gt_u32_e32 vcc, s20, v1
	s_and_b32 s26, s0, -4
	v_mov_b32_e32 v8, 0
	v_lshlrev_b32_e32 v16, 4, v0
	v_mov_b32_e32 v4, 0
	v_mov_b32_e32 v5, 0
	;; [unrolled: 1-line block ×8, first 2 shown]
	s_barrier
	s_and_saveexec_b64 s[0:1], vcc
	s_cbranch_execz .LBB213_32
; %bb.31:
	s_mul_hi_i32 s3, s22, s6
	s_mul_i32 s2, s22, s6
	s_and_b32 s25, s25, 0xffff
	s_lshl_b64 s[2:3], s[2:3], 1
	s_add_u32 s8, s34, s2
	s_mov_b32 s27, 0x20000
	s_addc_u32 s2, s35, s3
	s_and_b32 s9, s2, 0xffff
	s_mov_b32 s10, s26
	s_mov_b32 s11, s27
	buffer_load_dwordx4 v[4:7], v16, s[8:11], 0 offen glc slc
	buffer_load_dwordx4 v[0:3], v16, s[24:27], 0 offen
.LBB213_32:
	s_or_b64 exec, exec, s[0:1]
	v_mov_b32_e32 v9, 0
	v_mov_b32_e32 v14, 0
	;; [unrolled: 1-line block ×7, first 2 shown]
	s_and_saveexec_b64 s[0:1], vcc
	s_cbranch_execz .LBB213_34
; %bb.33:
	s_waitcnt vmcnt(1)
	v_cvt_f32_f16_sdwa v9, v4 dst_sel:DWORD dst_unused:UNUSED_PAD src0_sel:WORD_1
	v_cvt_f32_f16_e32 v8, v4
	v_cvt_f32_f16_sdwa v15, v5 dst_sel:DWORD dst_unused:UNUSED_PAD src0_sel:WORD_1
	v_cvt_f32_f16_e32 v14, v5
	;; [unrolled: 2-line block ×4, first 2 shown]
.LBB213_34:
	s_or_b64 exec, exec, s[0:1]
	s_waitcnt vmcnt(1)
	v_mul_f32_e32 v4, v9, v9
	v_fmac_f32_e32 v4, v8, v8
	v_fmac_f32_e32 v4, v14, v14
	;; [unrolled: 1-line block ×7, first 2 shown]
	s_nop 1
	v_mov_b32_dpp v5, v4 quad_perm:[1,0,3,2] row_mask:0xf bank_mask:0xf
	v_add_f32_e32 v4, v4, v5
	s_nop 1
	v_mov_b32_dpp v5, v4 quad_perm:[2,3,0,1] row_mask:0xf bank_mask:0xf
	v_add_f32_e32 v4, v4, v5
	s_nop 1
	v_mov_b32_dpp v5, v4 row_half_mirror row_mask:0xf bank_mask:0xf
	v_add_f32_e32 v4, v4, v5
	s_nop 1
	v_mov_b32_dpp v5, v4 row_mirror row_mask:0xf bank_mask:0xf
	v_add_f32_e32 v4, v4, v5
	s_nop 1
	v_mov_b32_dpp v5, v4 row_bcast:15 row_mask:0xf bank_mask:0xf
	v_add_f32_e32 v4, v4, v5
	s_nop 1
	v_mov_b32_dpp v5, v4 row_bcast:31 row_mask:0xf bank_mask:0xf
	v_add_f32_e32 v4, v4, v5
	ds_bpermute_b32 v4, v18, v4
	s_and_saveexec_b64 s[0:1], vcc
	s_cbranch_execz .LBB213_15
; %bb.35:
	v_cvt_f32_u32_e32 v5, s20
	s_mov_b32 s27, 0x20000
	s_waitcnt lgkmcnt(0)
	v_div_scale_f32 v6, s[0:1], v5, v5, v4
	v_rcp_f32_e32 v7, v6
	v_div_scale_f32 v17, vcc, v4, v5, v4
	s_mov_b32 s0, 0x800000
	v_fma_f32 v18, -v6, v7, 1.0
	v_fmac_f32_e32 v7, v18, v7
	v_mul_f32_e32 v18, v17, v7
	v_fma_f32 v19, -v6, v18, v17
	v_fmac_f32_e32 v18, v19, v7
	v_fma_f32 v6, -v6, v18, v17
	v_div_fmas_f32 v6, v6, v7, v18
	v_div_fixup_f32 v4, v6, v5, v4
	v_add_f32_e32 v4, s17, v4
	v_mul_f32_e32 v5, 0x4b800000, v4
	v_cmp_gt_f32_e32 vcc, s0, v4
	v_cndmask_b32_e32 v4, v4, v5, vcc
	v_rsq_f32_e32 v4, v4
	s_waitcnt vmcnt(0)
	v_cvt_f32_f16_sdwa v19, v3 dst_sel:DWORD dst_unused:UNUSED_PAD src0_sel:WORD_1
	v_cvt_f32_f16_e32 v18, v3
	s_mul_hi_i32 s1, s12, s6
	v_mul_f32_e32 v5, 0x45800000, v4
	v_cndmask_b32_e32 v4, v4, v5, vcc
	v_mov_b32_e32 v5, v4
	;;#ASMSTART
	v_pk_mul_f32 v[6:7], v[8:9], v[4:5]
	;;#ASMEND
	;;#ASMSTART
	v_pk_mul_f32 v[8:9], v[14:15], v[4:5]
	;;#ASMEND
	;;#ASMSTART
	v_pk_mul_f32 v[12:13], v[12:13], v[4:5]
	;;#ASMEND
	;;#ASMSTART
	v_pk_mul_f32 v[4:5], v[10:11], v[4:5]
	;;#ASMEND
	v_cvt_f32_f16_sdwa v11, v0 dst_sel:DWORD dst_unused:UNUSED_PAD src0_sel:WORD_1
	v_cvt_f32_f16_e32 v10, v0
	v_cvt_f32_f16_sdwa v15, v1 dst_sel:DWORD dst_unused:UNUSED_PAD src0_sel:WORD_1
	v_cvt_f32_f16_e32 v14, v1
	;; [unrolled: 2-line block ×3, first 2 shown]
	;;#ASMSTART
	v_pk_mul_f32 v[2:3], v[6:7], v[10:11]
	;;#ASMEND
	;;#ASMSTART
	v_pk_mul_f32 v[6:7], v[8:9], v[14:15]
	;;#ASMEND
	;; [unrolled: 3-line block ×4, first 2 shown]
	s_mul_i32 s0, s12, s6
	v_cvt_f16_f32_e32 v2, v2
	v_cvt_f16_f32_e32 v3, v3
	;; [unrolled: 1-line block ×8, first 2 shown]
	s_lshl_b64 s[0:1], s[0:1], 1
	s_add_u32 s24, s14, s0
	s_addc_u32 s0, s15, s1
	s_and_b32 s25, s0, 0xffff
	v_pack_b32_f16 v0, v2, v3
	v_pack_b32_f16 v1, v6, v7
	;; [unrolled: 1-line block ×4, first 2 shown]
	buffer_store_dwordx4 v[0:3], v16, s[24:27], 0 offen
	;;#ASMSTART
	s_nop 0
	;;#ASMEND
	s_endpgm
	.section	.rodata,"a",@progbits
	.p2align	6, 0x0
	.amdhsa_kernel _ZN5aiter35fused_qk_rmsnorm_group_quant_kernelIDF16_DB8_Li64ELi8ELi4ELb1ELb1ELb0ELb0ELb0ELb0EEEvPT0_PvPT_S6_S6_PKS5_S8_S8_S8_S8_ffiiiiiiiiiiiii
		.amdhsa_group_segment_fixed_size 0
		.amdhsa_private_segment_fixed_size 0
		.amdhsa_kernarg_size 400
		.amdhsa_user_sgpr_count 6
		.amdhsa_user_sgpr_private_segment_buffer 1
		.amdhsa_user_sgpr_dispatch_ptr 0
		.amdhsa_user_sgpr_queue_ptr 0
		.amdhsa_user_sgpr_kernarg_segment_ptr 1
		.amdhsa_user_sgpr_dispatch_id 0
		.amdhsa_user_sgpr_flat_scratch_init 0
		.amdhsa_user_sgpr_kernarg_preload_length 0
		.amdhsa_user_sgpr_kernarg_preload_offset 0
		.amdhsa_user_sgpr_private_segment_size 0
		.amdhsa_uses_dynamic_stack 0
		.amdhsa_system_sgpr_private_segment_wavefront_offset 0
		.amdhsa_system_sgpr_workgroup_id_x 1
		.amdhsa_system_sgpr_workgroup_id_y 1
		.amdhsa_system_sgpr_workgroup_id_z 0
		.amdhsa_system_sgpr_workgroup_info 0
		.amdhsa_system_vgpr_workitem_id 0
		.amdhsa_next_free_vgpr 34
		.amdhsa_next_free_sgpr 40
		.amdhsa_accum_offset 36
		.amdhsa_reserve_vcc 1
		.amdhsa_reserve_flat_scratch 0
		.amdhsa_float_round_mode_32 0
		.amdhsa_float_round_mode_16_64 0
		.amdhsa_float_denorm_mode_32 3
		.amdhsa_float_denorm_mode_16_64 3
		.amdhsa_dx10_clamp 1
		.amdhsa_ieee_mode 1
		.amdhsa_fp16_overflow 0
		.amdhsa_tg_split 0
		.amdhsa_exception_fp_ieee_invalid_op 0
		.amdhsa_exception_fp_denorm_src 0
		.amdhsa_exception_fp_ieee_div_zero 0
		.amdhsa_exception_fp_ieee_overflow 0
		.amdhsa_exception_fp_ieee_underflow 0
		.amdhsa_exception_fp_ieee_inexact 0
		.amdhsa_exception_int_div_zero 0
	.end_amdhsa_kernel
	.section	.text._ZN5aiter35fused_qk_rmsnorm_group_quant_kernelIDF16_DB8_Li64ELi8ELi4ELb1ELb1ELb0ELb0ELb0ELb0EEEvPT0_PvPT_S6_S6_PKS5_S8_S8_S8_S8_ffiiiiiiiiiiiii,"axG",@progbits,_ZN5aiter35fused_qk_rmsnorm_group_quant_kernelIDF16_DB8_Li64ELi8ELi4ELb1ELb1ELb0ELb0ELb0ELb0EEEvPT0_PvPT_S6_S6_PKS5_S8_S8_S8_S8_ffiiiiiiiiiiiii,comdat
.Lfunc_end213:
	.size	_ZN5aiter35fused_qk_rmsnorm_group_quant_kernelIDF16_DB8_Li64ELi8ELi4ELb1ELb1ELb0ELb0ELb0ELb0EEEvPT0_PvPT_S6_S6_PKS5_S8_S8_S8_S8_ffiiiiiiiiiiiii, .Lfunc_end213-_ZN5aiter35fused_qk_rmsnorm_group_quant_kernelIDF16_DB8_Li64ELi8ELi4ELb1ELb1ELb0ELb0ELb0ELb0EEEvPT0_PvPT_S6_S6_PKS5_S8_S8_S8_S8_ffiiiiiiiiiiiii
                                        ; -- End function
	.section	.AMDGPU.csdata,"",@progbits
; Kernel info:
; codeLenInByte = 2860
; NumSgprs: 44
; NumVgprs: 34
; NumAgprs: 0
; TotalNumVgprs: 34
; ScratchSize: 0
; MemoryBound: 0
; FloatMode: 240
; IeeeMode: 1
; LDSByteSize: 0 bytes/workgroup (compile time only)
; SGPRBlocks: 5
; VGPRBlocks: 4
; NumSGPRsForWavesPerEU: 44
; NumVGPRsForWavesPerEU: 34
; AccumOffset: 36
; Occupancy: 8
; WaveLimiterHint : 0
; COMPUTE_PGM_RSRC2:SCRATCH_EN: 0
; COMPUTE_PGM_RSRC2:USER_SGPR: 6
; COMPUTE_PGM_RSRC2:TRAP_HANDLER: 0
; COMPUTE_PGM_RSRC2:TGID_X_EN: 1
; COMPUTE_PGM_RSRC2:TGID_Y_EN: 1
; COMPUTE_PGM_RSRC2:TGID_Z_EN: 0
; COMPUTE_PGM_RSRC2:TIDIG_COMP_CNT: 0
; COMPUTE_PGM_RSRC3_GFX90A:ACCUM_OFFSET: 8
; COMPUTE_PGM_RSRC3_GFX90A:TG_SPLIT: 0
	.section	.text._ZN5aiter35fused_qk_rmsnorm_group_quant_kernelItDB8_Li64ELi8ELi4ELb1ELb1ELb0ELb0ELb0ELb0EEEvPT0_PvPT_S6_S6_PKS5_S8_S8_S8_S8_ffiiiiiiiiiiiii,"axG",@progbits,_ZN5aiter35fused_qk_rmsnorm_group_quant_kernelItDB8_Li64ELi8ELi4ELb1ELb1ELb0ELb0ELb0ELb0EEEvPT0_PvPT_S6_S6_PKS5_S8_S8_S8_S8_ffiiiiiiiiiiiii,comdat
	.protected	_ZN5aiter35fused_qk_rmsnorm_group_quant_kernelItDB8_Li64ELi8ELi4ELb1ELb1ELb0ELb0ELb0ELb0EEEvPT0_PvPT_S6_S6_PKS5_S8_S8_S8_S8_ffiiiiiiiiiiiii ; -- Begin function _ZN5aiter35fused_qk_rmsnorm_group_quant_kernelItDB8_Li64ELi8ELi4ELb1ELb1ELb0ELb0ELb0ELb0EEEvPT0_PvPT_S6_S6_PKS5_S8_S8_S8_S8_ffiiiiiiiiiiiii
	.globl	_ZN5aiter35fused_qk_rmsnorm_group_quant_kernelItDB8_Li64ELi8ELi4ELb1ELb1ELb0ELb0ELb0ELb0EEEvPT0_PvPT_S6_S6_PKS5_S8_S8_S8_S8_ffiiiiiiiiiiiii
	.p2align	8
	.type	_ZN5aiter35fused_qk_rmsnorm_group_quant_kernelItDB8_Li64ELi8ELi4ELb1ELb1ELb0ELb0ELb0ELb0EEEvPT0_PvPT_S6_S6_PKS5_S8_S8_S8_S8_ffiiiiiiiiiiiii,@function
_ZN5aiter35fused_qk_rmsnorm_group_quant_kernelItDB8_Li64ELi8ELi4ELb1ELb1ELb0ELb0ELb0ELb0EEEvPT0_PvPT_S6_S6_PKS5_S8_S8_S8_S8_ffiiiiiiiiiiiii: ; @_ZN5aiter35fused_qk_rmsnorm_group_quant_kernelItDB8_Li64ELi8ELi4ELb1ELb1ELb0ELb0ELb0ELb0EEEvPT0_PvPT_S6_S6_PKS5_S8_S8_S8_S8_ffiiiiiiiiiiiii
; %bb.0:
	s_load_dwordx8 s[16:23], s[4:5], 0x50
	s_waitcnt lgkmcnt(0)
	s_cmp_ge_i32 s6, s18
	s_cbranch_scc1 .LBB214_15
; %bb.1:
	s_cmp_lg_u32 s7, 0
	s_cselect_b64 s[2:3], -1, 0
	s_cmp_eq_u32 s7, 0
	s_cselect_b64 s[26:27], -1, 0
	s_and_b64 s[0:1], s[26:27], exec
	s_load_dwordx2 s[24:25], s[4:5], 0x48
	s_load_dwordx2 s[34:35], s[4:5], 0x30
	s_load_dwordx8 s[8:15], s[4:5], 0x70
	s_cselect_b32 s7, s19, s20
	s_add_i32 s0, s7, 1
	s_lshr_b32 s1, s0, 31
	s_add_i32 s0, s0, s1
	s_lshl_b32 s0, s0, 1
	v_lshlrev_b32_e32 v1, 3, v0
	s_and_b32 s30, s0, -4
	v_cmp_gt_i32_e64 s[0:1], s7, v1
	v_mov_b32_e32 v10, 0
	v_mov_b32_e32 v11, 0
	;; [unrolled: 1-line block ×8, first 2 shown]
	s_waitcnt lgkmcnt(0)
	s_and_saveexec_b64 s[14:15], s[0:1]
	s_cbranch_execz .LBB214_3
; %bb.2:
	s_load_dwordx2 s[28:29], s[4:5], 0x28
	s_load_dwordx2 s[38:39], s[4:5], 0x40
	s_and_b64 s[36:37], s[26:27], exec
	s_cselect_b32 s18, s21, s22
	v_lshlrev_b32_e32 v2, 4, v0
	s_waitcnt lgkmcnt(0)
	s_cselect_b32 s21, s29, s35
	s_cselect_b32 s31, s28, s34
	s_mul_hi_i32 s29, s18, s6
	s_mul_i32 s28, s18, s6
	s_lshl_b64 s[28:29], s[28:29], 1
	s_add_u32 s36, s31, s28
	s_addc_u32 s18, s21, s29
	s_and_b64 s[26:27], s[26:27], exec
	s_mov_b32 s31, 0x20000
	s_cselect_b32 s28, s38, s24
	s_cselect_b32 s21, s39, s25
	s_and_b32 s37, s18, 0xffff
	s_mov_b32 s38, s30
	s_mov_b32 s39, s31
	s_and_b32 s29, s21, 0xffff
	buffer_load_dwordx4 v[14:17], v2, s[36:39], 0 offen glc slc
	buffer_load_dwordx4 v[10:13], v2, s[28:31], 0 offen
.LBB214_3:
	s_or_b64 exec, exec, s[14:15]
	s_and_b64 vcc, exec, s[2:3]
	s_cbranch_vccz .LBB214_7
; %bb.4:
	s_mov_b32 s36, 0
	s_mov_b32 s37, s36
	;; [unrolled: 1-line block ×8, first 2 shown]
	v_pk_mov_b32 v[2:3], s[36:37], s[36:37] op_sel:[0,1]
	v_pk_mov_b32 v[4:5], s[38:39], s[38:39] op_sel:[0,1]
	;; [unrolled: 1-line block ×4, first 2 shown]
	s_and_saveexec_b64 s[14:15], s[0:1]
	s_cbranch_execz .LBB214_6
; %bb.5:
	s_waitcnt vmcnt(1)
	v_cvt_f32_u32_sdwa v3, v14 dst_sel:DWORD dst_unused:UNUSED_PAD src0_sel:WORD_1
	v_cvt_f32_u32_sdwa v2, v14 dst_sel:DWORD dst_unused:UNUSED_PAD src0_sel:WORD_0
	v_cvt_f32_u32_sdwa v5, v15 dst_sel:DWORD dst_unused:UNUSED_PAD src0_sel:WORD_1
	v_cvt_f32_u32_sdwa v4, v15 dst_sel:DWORD dst_unused:UNUSED_PAD src0_sel:WORD_0
	;; [unrolled: 2-line block ×4, first 2 shown]
.LBB214_6:
	s_or_b64 exec, exec, s[14:15]
	s_mov_b32 s18, s17
	s_cbranch_execz .LBB214_8
	s_branch .LBB214_11
.LBB214_7:
                                        ; implicit-def: $vgpr2_vgpr3_vgpr4_vgpr5_vgpr6_vgpr7_vgpr8_vgpr9
	s_mov_b32 s18, s17
.LBB214_8:
	s_mov_b32 s36, 0
	s_mov_b32 s37, s36
	;; [unrolled: 1-line block ×8, first 2 shown]
	v_pk_mov_b32 v[2:3], s[36:37], s[36:37] op_sel:[0,1]
	v_pk_mov_b32 v[4:5], s[38:39], s[38:39] op_sel:[0,1]
	;; [unrolled: 1-line block ×4, first 2 shown]
	s_and_saveexec_b64 s[14:15], s[0:1]
	s_cbranch_execz .LBB214_10
; %bb.9:
	s_load_dwordx2 s[26:27], s[4:5], 0x38
	s_mul_hi_i32 s29, s23, s6
	s_mul_i32 s28, s23, s6
	s_lshl_b64 s[28:29], s[28:29], 1
	s_mov_b32 s31, 0x20000
	s_waitcnt lgkmcnt(0)
	s_add_u32 s28, s26, s28
	s_addc_u32 s18, s27, s29
	s_and_b32 s29, s18, 0xffff
	v_lshlrev_b32_e32 v26, 4, v0
	buffer_load_dwordx4 v[2:5], v26, s[28:31], 0 offen glc slc
	s_load_dwordx2 s[26:27], s[4:5], 0x20
	s_waitcnt vmcnt(2)
	v_cvt_f32_u32_sdwa v7, v14 dst_sel:DWORD dst_unused:UNUSED_PAD src0_sel:WORD_1
	v_cvt_f32_u32_sdwa v6, v14 dst_sel:DWORD dst_unused:UNUSED_PAD src0_sel:WORD_0
	v_cvt_f32_u32_sdwa v9, v15 dst_sel:DWORD dst_unused:UNUSED_PAD src0_sel:WORD_1
	v_cvt_f32_u32_sdwa v8, v15 dst_sel:DWORD dst_unused:UNUSED_PAD src0_sel:WORD_0
	;; [unrolled: 2-line block ×4, first 2 shown]
	s_mul_hi_i32 s29, s13, s6
	s_mul_i32 s28, s13, s6
	s_lshl_b64 s[28:29], s[28:29], 1
	s_waitcnt lgkmcnt(0)
	s_add_u32 s28, s26, s28
	s_mov_b32 s13, 0x7060302
	s_addc_u32 s18, s27, s29
	s_and_b32 s29, s18, 0xffff
	s_waitcnt vmcnt(0)
	v_cvt_f32_u32_sdwa v17, v2 dst_sel:DWORD dst_unused:UNUSED_PAD src0_sel:WORD_1
	v_cvt_f32_u32_sdwa v16, v2 dst_sel:DWORD dst_unused:UNUSED_PAD src0_sel:WORD_0
	v_cvt_f32_u32_sdwa v21, v3 dst_sel:DWORD dst_unused:UNUSED_PAD src0_sel:WORD_1
	v_cvt_f32_u32_sdwa v20, v3 dst_sel:DWORD dst_unused:UNUSED_PAD src0_sel:WORD_0
	;; [unrolled: 2-line block ×4, first 2 shown]
	v_pk_add_f32 v[2:3], v[6:7], v[16:17]
	v_pk_add_f32 v[4:5], v[8:9], v[20:21]
	;; [unrolled: 1-line block ×4, first 2 shown]
	v_perm_b32 v17, v9, v8, s13
	v_perm_b32 v16, v7, v6, s13
	;; [unrolled: 1-line block ×4, first 2 shown]
	buffer_store_dwordx4 v[14:17], v26, s[28:31], 0 offen glc slc
	;;#ASMSTART
	s_nop 0
	;;#ASMEND
.LBB214_10:
	s_or_b64 exec, exec, s[14:15]
	s_mov_b32 s18, s16
.LBB214_11:
	s_waitcnt vmcnt(1)
	v_mul_f32_e32 v14, v3, v3
	v_fmac_f32_e32 v14, v2, v2
	v_fmac_f32_e32 v14, v4, v4
	v_fmac_f32_e32 v14, v5, v5
	v_fmac_f32_e32 v14, v6, v6
	v_fmac_f32_e32 v14, v7, v7
	v_fmac_f32_e32 v14, v8, v8
	v_fmac_f32_e32 v14, v9, v9
	v_bfrev_b32_e32 v16, 0.5
	s_load_dwordx2 s[14:15], s[4:5], 0x18
	v_mov_b32_dpp v15, v14 quad_perm:[1,0,3,2] row_mask:0xf bank_mask:0xf
	v_add_f32_e32 v14, v14, v15
	s_nop 1
	v_mov_b32_dpp v15, v14 quad_perm:[2,3,0,1] row_mask:0xf bank_mask:0xf
	v_add_f32_e32 v14, v14, v15
	s_nop 1
	v_mov_b32_dpp v15, v14 row_half_mirror row_mask:0xf bank_mask:0xf
	v_add_f32_e32 v14, v14, v15
	s_nop 1
	v_mov_b32_dpp v15, v14 row_mirror row_mask:0xf bank_mask:0xf
	v_add_f32_e32 v14, v14, v15
	s_nop 1
	v_mov_b32_dpp v15, v14 row_bcast:15 row_mask:0xf bank_mask:0xf
	v_add_f32_e32 v14, v14, v15
	s_nop 1
	v_mov_b32_dpp v15, v14 row_bcast:31 row_mask:0xf bank_mask:0xf
	v_add_f32_e32 v15, v14, v15
	v_mbcnt_lo_u32_b32 v14, -1, 0
	v_mbcnt_hi_u32_b32 v14, -1, v14
	v_lshl_or_b32 v14, v14, 2, v16
	ds_bpermute_b32 v15, v14, v15
	s_and_saveexec_b64 s[26:27], s[0:1]
	s_cbranch_execnz .LBB214_16
; %bb.12:
	s_or_b64 exec, exec, s[26:27]
	s_mov_b64 s[26:27], -1
	s_and_b64 vcc, exec, s[2:3]
	s_cbranch_vccnz .LBB214_17
.LBB214_13:
	s_andn2_b64 vcc, exec, s[26:27]
	s_cbranch_vccz .LBB214_20
.LBB214_14:
	s_cmp_lt_i32 s20, 1
	s_cbranch_scc0 .LBB214_29
.LBB214_15:
	s_endpgm
.LBB214_16:
	v_cvt_f32_u32_e32 v16, s7
	s_mov_b32 s7, 0x800000
	s_waitcnt lgkmcnt(0)
	v_div_scale_f32 v17, s[28:29], v16, v16, v15
	v_rcp_f32_e32 v18, v17
	v_div_scale_f32 v19, vcc, v15, v16, v15
	v_fma_f32 v20, -v17, v18, 1.0
	v_fmac_f32_e32 v18, v20, v18
	v_mul_f32_e32 v20, v19, v18
	v_fma_f32 v21, -v17, v20, v19
	v_fmac_f32_e32 v20, v21, v18
	v_fma_f32 v17, -v17, v20, v19
	v_div_fmas_f32 v17, v17, v18, v20
	v_div_fixup_f32 v15, v17, v16, v15
	v_add_f32_e32 v15, s18, v15
	v_mul_f32_e32 v16, 0x4b800000, v15
	v_cmp_gt_f32_e32 vcc, s7, v15
	v_cndmask_b32_e32 v15, v15, v16, vcc
	v_rsq_f32_e32 v15, v15
	s_waitcnt vmcnt(0)
	v_cvt_f32_u32_sdwa v19, v11 dst_sel:DWORD dst_unused:UNUSED_PAD src0_sel:WORD_1
	v_cvt_f32_u32_sdwa v18, v11 dst_sel:DWORD dst_unused:UNUSED_PAD src0_sel:WORD_0
	v_cvt_f32_u32_sdwa v11, v12 dst_sel:DWORD dst_unused:UNUSED_PAD src0_sel:WORD_1
	v_mul_f32_e32 v16, 0x45800000, v15
	v_cndmask_b32_e32 v16, v15, v16, vcc
	v_mov_b32_e32 v17, v16
	;;#ASMSTART
	v_pk_mul_f32 v[2:3], v[2:3], v[16:17]
	;;#ASMEND
	;;#ASMSTART
	v_pk_mul_f32 v[4:5], v[4:5], v[16:17]
	;;#ASMEND
	;; [unrolled: 3-line block ×4, first 2 shown]
	v_cvt_f32_u32_sdwa v17, v10 dst_sel:DWORD dst_unused:UNUSED_PAD src0_sel:WORD_1
	v_cvt_f32_u32_sdwa v16, v10 dst_sel:DWORD dst_unused:UNUSED_PAD src0_sel:WORD_0
	v_cvt_f32_u32_sdwa v10, v12 dst_sel:DWORD dst_unused:UNUSED_PAD src0_sel:WORD_0
	v_cvt_f32_u32_sdwa v21, v13 dst_sel:DWORD dst_unused:UNUSED_PAD src0_sel:WORD_1
	v_cvt_f32_u32_sdwa v20, v13 dst_sel:DWORD dst_unused:UNUSED_PAD src0_sel:WORD_0
	;;#ASMSTART
	v_pk_mul_f32 v[2:3], v[2:3], v[16:17]
	;;#ASMEND
	;;#ASMSTART
	v_pk_mul_f32 v[4:5], v[4:5], v[18:19]
	;;#ASMEND
	;; [unrolled: 3-line block ×4, first 2 shown]
	s_or_b64 exec, exec, s[26:27]
	s_mov_b64 s[26:27], -1
	s_and_b64 vcc, exec, s[2:3]
	s_cbranch_vccz .LBB214_13
.LBB214_17:
	s_and_saveexec_b64 s[2:3], s[0:1]
	s_cbranch_execz .LBB214_19
; %bb.18:
	s_mul_hi_i32 s27, s12, s6
	s_mul_i32 s26, s12, s6
	s_lshl_b64 s[26:27], s[26:27], 1
	s_waitcnt lgkmcnt(0)
	s_add_u32 s28, s14, s26
	s_addc_u32 s7, s15, s27
	s_and_b32 s29, s7, 0xffff
	s_mov_b32 s7, 0x7060302
	s_mov_b32 s31, 0x20000
	s_waitcnt vmcnt(0)
	v_perm_b32 v10, v3, v2, s7
	v_perm_b32 v11, v5, v4, s7
	;; [unrolled: 1-line block ×4, first 2 shown]
	v_lshlrev_b32_e32 v15, 4, v0
	buffer_store_dwordx4 v[10:13], v15, s[28:31], 0 offen
	;;#ASMSTART
	s_nop 0
	;;#ASMEND
.LBB214_19:
	s_or_b64 exec, exec, s[2:3]
	s_cbranch_execnz .LBB214_14
.LBB214_20:
	s_waitcnt vmcnt(0)
	v_mov_b32_e32 v10, 0
	s_and_saveexec_b64 s[2:3], s[0:1]
	s_cbranch_execz .LBB214_22
; %bb.21:
	s_load_dwordx2 s[26:27], s[4:5], 0x10
	s_mul_hi_i32 s29, s11, s6
	s_mul_i32 s28, s11, s6
	s_lshl_b64 s[28:29], s[28:29], 1
	s_mov_b32 s31, 0x20000
	s_waitcnt lgkmcnt(0)
	s_add_u32 s28, s26, s28
	s_addc_u32 s7, s27, s29
	s_and_b32 s29, s7, 0xffff
	s_mov_b32 s7, 0x7060302
	v_perm_b32 v10, v3, v2, s7
	v_perm_b32 v11, v5, v4, s7
	;; [unrolled: 1-line block ×4, first 2 shown]
	v_lshlrev_b32_e32 v15, 4, v0
	buffer_store_dwordx4 v[10:13], v15, s[28:31], 0 offen
	;;#ASMSTART
	s_nop 0
	;;#ASMEND
	s_nop 0
	v_mov_b32_e32 v10, 0x2edbe6ff
.LBB214_22:
	s_or_b64 exec, exec, s[2:3]
	s_and_saveexec_b64 s[2:3], s[0:1]
	s_cbranch_execz .LBB214_24
; %bb.23:
	v_and_b32_e32 v11, 0x7fffffff, v2
	v_and_b32_e32 v12, 0x7fffffff, v3
	;;#ASMSTART
	v_max3_f32 v10, v10, v11, v12

	;;#ASMEND
	v_and_b32_e32 v11, 0x7fffffff, v4
	v_and_b32_e32 v12, 0x7fffffff, v5
	;;#ASMSTART
	v_max3_f32 v10, v10, v11, v12

	;;#ASMEND
	;; [unrolled: 6-line block ×4, first 2 shown]
.LBB214_24:
	s_or_b64 exec, exec, s[2:3]
	;;#ASMSTART
	v_max_f32 v11, v10, v10 quad_perm:[1,0,3,2] row_mask:0xf bank_mask:0xf bound_ctrl:1
	;;#ASMEND
	;;#ASMSTART
	v_max_f32 v10, v11, v11 quad_perm:[2,3,0,1] row_mask:0xf bank_mask:0xf bound_ctrl:1
	;;#ASMEND
	v_and_b32_e32 v11, 3, v0
	v_cmp_eq_u32_e32 vcc, 0, v11
	v_cmp_gt_i32_e64 s[2:3], s19, v1
	v_mul_f32_e32 v10, 0x3b124925, v10
	s_and_b64 s[26:27], vcc, s[2:3]
	s_and_saveexec_b64 s[2:3], s[26:27]
	s_cbranch_execz .LBB214_26
; %bb.25:
	s_load_dwordx2 s[26:27], s[4:5], 0x8
	v_lshrrev_b32_e32 v11, 2, v0
	s_mul_hi_i32 s29, s9, s6
	s_mul_i32 s28, s9, s6
	v_mad_i64_i32 v[12:13], s[10:11], s10, v11, 0
	s_lshl_b64 s[10:11], s[28:29], 2
	s_waitcnt lgkmcnt(0)
	s_add_u32 s7, s26, s10
	s_addc_u32 s9, s27, s11
	v_lshlrev_b64 v[12:13], 2, v[12:13]
	v_mov_b32_e32 v11, s9
	v_add_co_u32_e32 v12, vcc, s7, v12
	v_addc_co_u32_e32 v13, vcc, v11, v13, vcc
	global_store_dword v[12:13], v10, off
.LBB214_26:
	s_or_b64 exec, exec, s[2:3]
	;;#ASMSTART
	v_rcp_f32 v10, v10
	;;#ASMEND
	s_and_saveexec_b64 s[10:11], s[0:1]
	s_cbranch_execz .LBB214_28
; %bb.27:
	v_mov_b32_e32 v11, v10
	;;#ASMSTART
	v_pk_mul_f32 v[2:3], v[2:3], v[10:11]
	;;#ASMEND
	v_mov_b32_e32 v12, 0xc3e00000
	v_mov_b32_e32 v13, 0x43e00000
	s_waitcnt lgkmcnt(0)
	;;#ASMSTART
	v_med3_f32 v2, v2, v12, v13
v_med3_f32 v3, v3, v12, v13
v_cvt_pk_fp8_f32 v15, v2, v3
	;;#ASMEND
	s_load_dwordx2 s[0:1], s[4:5], 0x0
	;;#ASMSTART
	v_pk_mul_f32 v[2:3], v[4:5], v[10:11]
	;;#ASMEND
	s_mul_hi_i32 s2, s8, s6
	s_mul_i32 s3, s8, s6
	;;#ASMSTART
	v_med3_f32 v2, v2, v12, v13
v_med3_f32 v3, v3, v12, v13
v_cvt_pk_fp8_f32 v4, v2, v3
	;;#ASMEND
	s_mov_b32 s8, 0x5040100
	v_perm_b32 v3, v4, v15, s8
	s_movk_i32 s8, 0xff
	v_and_b32_e32 v2, 0xffffff00, v4
	v_and_b32_sdwa v4, v3, s8 dst_sel:DWORD dst_unused:UNUSED_PAD src0_sel:WORD_1 src1_sel:DWORD
	s_mov_b32 s7, 0xffff
	v_or_b32_sdwa v2, v4, v2 dst_sel:WORD_1 dst_unused:UNUSED_PAD src0_sel:DWORD src1_sel:DWORD
	s_waitcnt lgkmcnt(0)
	s_add_u32 s0, s0, s3
	v_and_or_b32 v2, v3, s7, v2
	;;#ASMSTART
	v_pk_mul_f32 v[4:5], v[6:7], v[10:11]
	;;#ASMEND
	v_mov_b32_e32 v3, v4
	s_addc_u32 s1, s1, s2
	s_add_i32 s2, s19, 3
	;;#ASMSTART
	v_med3_f32 v3, v3, v12, v13
v_med3_f32 v5, v5, v12, v13
v_cvt_pk_fp8_f32 v6, v3, v5
	;;#ASMEND
	s_ashr_i32 s3, s2, 31
	;;#ASMSTART
	v_pk_mul_f32 v[4:5], v[8:9], v[10:11]
	;;#ASMEND
	v_mov_b32_e32 v3, v5
	s_lshr_b32 s3, s3, 30
	;;#ASMSTART
	v_med3_f32 v4, v4, v12, v13
v_med3_f32 v3, v3, v12, v13
v_cvt_pk_fp8_f32 v5, v4, v3
	;;#ASMEND
	s_add_i32 s2, s2, s3
	v_lshlrev_b32_e32 v3, 16, v5
	s_and_b32 s2, s2, -4
	s_and_b32 s1, s1, 0xffff
	s_mov_b32 s3, 0x20000
	v_and_or_b32 v3, v6, s7, v3
	buffer_store_dwordx2 v[2:3], v1, s[0:3], 0 offen
	;;#ASMSTART
	s_nop 0
	;;#ASMEND
.LBB214_28:
	s_or_b64 exec, exec, s[10:11]
	s_cmp_lt_i32 s20, 1
	s_cbranch_scc1 .LBB214_15
.LBB214_29:
	s_load_dword s0, s[4:5], 0x94
	s_waitcnt lgkmcnt(0)
	s_cmp_lg_u32 s0, 1
	s_cbranch_scc1 .LBB214_15
; %bb.30:
	s_lshl_b32 s0, s20, 1
	s_add_i32 s0, s0, 2
	v_cmp_gt_u32_e32 vcc, s20, v1
	s_and_b32 s26, s0, -4
	v_mov_b32_e32 v4, 0
	s_waitcnt vmcnt(0)
	v_lshlrev_b32_e32 v12, 4, v0
	v_mov_b32_e32 v5, 0
	v_mov_b32_e32 v6, 0
	;; [unrolled: 1-line block ×7, first 2 shown]
	s_barrier
	s_and_saveexec_b64 s[0:1], vcc
	s_cbranch_execz .LBB214_32
; %bb.31:
	s_mul_hi_i32 s3, s22, s6
	s_mul_i32 s2, s22, s6
	s_and_b32 s25, s25, 0xffff
	s_lshl_b64 s[2:3], s[2:3], 1
	s_add_u32 s8, s34, s2
	s_mov_b32 s27, 0x20000
	s_addc_u32 s2, s35, s3
	s_and_b32 s9, s2, 0xffff
	s_mov_b32 s10, s26
	s_mov_b32 s11, s27
	buffer_load_dwordx4 v[4:7], v12, s[8:11], 0 offen glc slc
	buffer_load_dwordx4 v[0:3], v12, s[24:27], 0 offen
.LBB214_32:
	s_or_b64 exec, exec, s[0:1]
	s_waitcnt vmcnt(1)
	v_cvt_f32_u32_sdwa v11, v4 dst_sel:DWORD dst_unused:UNUSED_PAD src0_sel:WORD_1
	v_cvt_f32_u32_sdwa v10, v4 dst_sel:DWORD dst_unused:UNUSED_PAD src0_sel:WORD_0
	v_cvt_f32_u32_sdwa v4, v7 dst_sel:DWORD dst_unused:UNUSED_PAD src0_sel:WORD_1
	v_cvt_f32_u32_sdwa v7, v7 dst_sel:DWORD dst_unused:UNUSED_PAD src0_sel:WORD_0
	;; [unrolled: 2-line block ×4, first 2 shown]
	v_cndmask_b32_e32 v11, 0, v11, vcc
	v_cndmask_b32_e32 v5, 0, v4, vcc
	;; [unrolled: 1-line block ×5, first 2 shown]
	v_mul_f32_e32 v13, v11, v11
	v_cndmask_b32_e32 v8, 0, v8, vcc
	v_fmac_f32_e32 v13, v10, v10
	v_cndmask_b32_e32 v9, 0, v9, vcc
	v_fmac_f32_e32 v13, v8, v8
	;; [unrolled: 2-line block ×3, first 2 shown]
	v_fmac_f32_e32 v13, v6, v6
	v_fmac_f32_e32 v13, v7, v7
	;; [unrolled: 1-line block ×4, first 2 shown]
	s_nop 1
	v_mov_b32_dpp v15, v13 quad_perm:[1,0,3,2] row_mask:0xf bank_mask:0xf
	v_add_f32_e32 v13, v13, v15
	s_nop 1
	v_mov_b32_dpp v15, v13 quad_perm:[2,3,0,1] row_mask:0xf bank_mask:0xf
	v_add_f32_e32 v13, v13, v15
	s_nop 1
	v_mov_b32_dpp v15, v13 row_half_mirror row_mask:0xf bank_mask:0xf
	v_add_f32_e32 v13, v13, v15
	s_nop 1
	v_mov_b32_dpp v15, v13 row_mirror row_mask:0xf bank_mask:0xf
	v_add_f32_e32 v13, v13, v15
	s_nop 1
	v_mov_b32_dpp v15, v13 row_bcast:15 row_mask:0xf bank_mask:0xf
	v_add_f32_e32 v13, v13, v15
	s_nop 1
	v_mov_b32_dpp v15, v13 row_bcast:31 row_mask:0xf bank_mask:0xf
	v_add_f32_e32 v13, v13, v15
	ds_bpermute_b32 v13, v14, v13
	s_and_saveexec_b64 s[0:1], vcc
	s_cbranch_execz .LBB214_15
; %bb.33:
	v_cvt_f32_u32_e32 v14, s20
	s_mov_b32 s27, 0x20000
	s_waitcnt lgkmcnt(0)
	v_div_scale_f32 v15, s[0:1], v14, v14, v13
	v_rcp_f32_e32 v16, v15
	v_div_scale_f32 v17, vcc, v13, v14, v13
	s_mov_b32 s0, 0x800000
	v_fma_f32 v18, -v15, v16, 1.0
	v_fmac_f32_e32 v16, v18, v16
	v_mul_f32_e32 v18, v17, v16
	v_fma_f32 v19, -v15, v18, v17
	v_fmac_f32_e32 v18, v19, v16
	v_fma_f32 v15, -v15, v18, v17
	v_div_fmas_f32 v15, v15, v16, v18
	v_div_fixup_f32 v13, v15, v14, v13
	v_add_f32_e32 v13, s17, v13
	v_mul_f32_e32 v14, 0x4b800000, v13
	v_cmp_gt_f32_e32 vcc, s0, v13
	v_cndmask_b32_e32 v13, v13, v14, vcc
	v_rsq_f32_e32 v13, v13
	s_mul_hi_i32 s1, s12, s6
	s_mul_i32 s0, s12, s6
	s_lshl_b64 s[0:1], s[0:1], 1
	v_mul_f32_e32 v14, 0x45800000, v13
	v_cndmask_b32_e32 v14, v13, v14, vcc
	s_add_u32 s24, s14, s0
	v_mov_b32_e32 v15, v14
	s_addc_u32 s0, s15, s1
	;;#ASMSTART
	v_pk_mul_f32 v[10:11], v[10:11], v[14:15]
	;;#ASMEND
	;;#ASMSTART
	v_pk_mul_f32 v[8:9], v[8:9], v[14:15]
	;;#ASMEND
	;; [unrolled: 3-line block ×4, first 2 shown]
	s_waitcnt vmcnt(0)
	v_cvt_f32_u32_sdwa v15, v0 dst_sel:DWORD dst_unused:UNUSED_PAD src0_sel:WORD_1
	v_cvt_f32_u32_sdwa v14, v0 dst_sel:DWORD dst_unused:UNUSED_PAD src0_sel:WORD_0
	v_cvt_f32_u32_sdwa v17, v1 dst_sel:DWORD dst_unused:UNUSED_PAD src0_sel:WORD_1
	v_cvt_f32_u32_sdwa v16, v1 dst_sel:DWORD dst_unused:UNUSED_PAD src0_sel:WORD_0
	;; [unrolled: 2-line block ×4, first 2 shown]
	;;#ASMSTART
	v_pk_mul_f32 v[2:3], v[10:11], v[14:15]
	;;#ASMEND
	s_and_b32 s25, s0, 0xffff
	s_mov_b32 s0, 0x7060302
	;;#ASMSTART
	v_pk_mul_f32 v[8:9], v[8:9], v[16:17]
	;;#ASMEND
	;;#ASMSTART
	v_pk_mul_f32 v[6:7], v[6:7], v[0:1]
	;;#ASMEND
	;; [unrolled: 3-line block ×3, first 2 shown]
	v_perm_b32 v0, v3, v2, s0
	v_perm_b32 v1, v9, v8, s0
	;; [unrolled: 1-line block ×4, first 2 shown]
	buffer_store_dwordx4 v[0:3], v12, s[24:27], 0 offen
	;;#ASMSTART
	s_nop 0
	;;#ASMEND
	s_endpgm
	.section	.rodata,"a",@progbits
	.p2align	6, 0x0
	.amdhsa_kernel _ZN5aiter35fused_qk_rmsnorm_group_quant_kernelItDB8_Li64ELi8ELi4ELb1ELb1ELb0ELb0ELb0ELb0EEEvPT0_PvPT_S6_S6_PKS5_S8_S8_S8_S8_ffiiiiiiiiiiiii
		.amdhsa_group_segment_fixed_size 0
		.amdhsa_private_segment_fixed_size 0
		.amdhsa_kernarg_size 400
		.amdhsa_user_sgpr_count 6
		.amdhsa_user_sgpr_private_segment_buffer 1
		.amdhsa_user_sgpr_dispatch_ptr 0
		.amdhsa_user_sgpr_queue_ptr 0
		.amdhsa_user_sgpr_kernarg_segment_ptr 1
		.amdhsa_user_sgpr_dispatch_id 0
		.amdhsa_user_sgpr_flat_scratch_init 0
		.amdhsa_user_sgpr_kernarg_preload_length 0
		.amdhsa_user_sgpr_kernarg_preload_offset 0
		.amdhsa_user_sgpr_private_segment_size 0
		.amdhsa_uses_dynamic_stack 0
		.amdhsa_system_sgpr_private_segment_wavefront_offset 0
		.amdhsa_system_sgpr_workgroup_id_x 1
		.amdhsa_system_sgpr_workgroup_id_y 1
		.amdhsa_system_sgpr_workgroup_id_z 0
		.amdhsa_system_sgpr_workgroup_info 0
		.amdhsa_system_vgpr_workitem_id 0
		.amdhsa_next_free_vgpr 27
		.amdhsa_next_free_sgpr 44
		.amdhsa_accum_offset 28
		.amdhsa_reserve_vcc 1
		.amdhsa_reserve_flat_scratch 0
		.amdhsa_float_round_mode_32 0
		.amdhsa_float_round_mode_16_64 0
		.amdhsa_float_denorm_mode_32 3
		.amdhsa_float_denorm_mode_16_64 3
		.amdhsa_dx10_clamp 1
		.amdhsa_ieee_mode 1
		.amdhsa_fp16_overflow 0
		.amdhsa_tg_split 0
		.amdhsa_exception_fp_ieee_invalid_op 0
		.amdhsa_exception_fp_denorm_src 0
		.amdhsa_exception_fp_ieee_div_zero 0
		.amdhsa_exception_fp_ieee_overflow 0
		.amdhsa_exception_fp_ieee_underflow 0
		.amdhsa_exception_fp_ieee_inexact 0
		.amdhsa_exception_int_div_zero 0
	.end_amdhsa_kernel
	.section	.text._ZN5aiter35fused_qk_rmsnorm_group_quant_kernelItDB8_Li64ELi8ELi4ELb1ELb1ELb0ELb0ELb0ELb0EEEvPT0_PvPT_S6_S6_PKS5_S8_S8_S8_S8_ffiiiiiiiiiiiii,"axG",@progbits,_ZN5aiter35fused_qk_rmsnorm_group_quant_kernelItDB8_Li64ELi8ELi4ELb1ELb1ELb0ELb0ELb0ELb0EEEvPT0_PvPT_S6_S6_PKS5_S8_S8_S8_S8_ffiiiiiiiiiiiii,comdat
.Lfunc_end214:
	.size	_ZN5aiter35fused_qk_rmsnorm_group_quant_kernelItDB8_Li64ELi8ELi4ELb1ELb1ELb0ELb0ELb0ELb0EEEvPT0_PvPT_S6_S6_PKS5_S8_S8_S8_S8_ffiiiiiiiiiiiii, .Lfunc_end214-_ZN5aiter35fused_qk_rmsnorm_group_quant_kernelItDB8_Li64ELi8ELi4ELb1ELb1ELb0ELb0ELb0ELb0EEEvPT0_PvPT_S6_S6_PKS5_S8_S8_S8_S8_ffiiiiiiiiiiiii
                                        ; -- End function
	.section	.AMDGPU.csdata,"",@progbits
; Kernel info:
; codeLenInByte = 2928
; NumSgprs: 48
; NumVgprs: 27
; NumAgprs: 0
; TotalNumVgprs: 27
; ScratchSize: 0
; MemoryBound: 0
; FloatMode: 240
; IeeeMode: 1
; LDSByteSize: 0 bytes/workgroup (compile time only)
; SGPRBlocks: 5
; VGPRBlocks: 3
; NumSGPRsForWavesPerEU: 48
; NumVGPRsForWavesPerEU: 27
; AccumOffset: 28
; Occupancy: 8
; WaveLimiterHint : 0
; COMPUTE_PGM_RSRC2:SCRATCH_EN: 0
; COMPUTE_PGM_RSRC2:USER_SGPR: 6
; COMPUTE_PGM_RSRC2:TRAP_HANDLER: 0
; COMPUTE_PGM_RSRC2:TGID_X_EN: 1
; COMPUTE_PGM_RSRC2:TGID_Y_EN: 1
; COMPUTE_PGM_RSRC2:TGID_Z_EN: 0
; COMPUTE_PGM_RSRC2:TIDIG_COMP_CNT: 0
; COMPUTE_PGM_RSRC3_GFX90A:ACCUM_OFFSET: 6
; COMPUTE_PGM_RSRC3_GFX90A:TG_SPLIT: 0
	.section	.text._ZN5aiter35fused_qk_rmsnorm_group_quant_kernelIDF16_N4opus5fp4_tELi64ELi8ELi4ELb1ELb1ELb0ELb0ELb0ELb0EEEvPT0_PvPT_S7_S7_PKS6_S9_S9_S9_S9_ffiiiiiiiiiiiii,"axG",@progbits,_ZN5aiter35fused_qk_rmsnorm_group_quant_kernelIDF16_N4opus5fp4_tELi64ELi8ELi4ELb1ELb1ELb0ELb0ELb0ELb0EEEvPT0_PvPT_S7_S7_PKS6_S9_S9_S9_S9_ffiiiiiiiiiiiii,comdat
	.protected	_ZN5aiter35fused_qk_rmsnorm_group_quant_kernelIDF16_N4opus5fp4_tELi64ELi8ELi4ELb1ELb1ELb0ELb0ELb0ELb0EEEvPT0_PvPT_S7_S7_PKS6_S9_S9_S9_S9_ffiiiiiiiiiiiii ; -- Begin function _ZN5aiter35fused_qk_rmsnorm_group_quant_kernelIDF16_N4opus5fp4_tELi64ELi8ELi4ELb1ELb1ELb0ELb0ELb0ELb0EEEvPT0_PvPT_S7_S7_PKS6_S9_S9_S9_S9_ffiiiiiiiiiiiii
	.globl	_ZN5aiter35fused_qk_rmsnorm_group_quant_kernelIDF16_N4opus5fp4_tELi64ELi8ELi4ELb1ELb1ELb0ELb0ELb0ELb0EEEvPT0_PvPT_S7_S7_PKS6_S9_S9_S9_S9_ffiiiiiiiiiiiii
	.p2align	8
	.type	_ZN5aiter35fused_qk_rmsnorm_group_quant_kernelIDF16_N4opus5fp4_tELi64ELi8ELi4ELb1ELb1ELb0ELb0ELb0ELb0EEEvPT0_PvPT_S7_S7_PKS6_S9_S9_S9_S9_ffiiiiiiiiiiiii,@function
_ZN5aiter35fused_qk_rmsnorm_group_quant_kernelIDF16_N4opus5fp4_tELi64ELi8ELi4ELb1ELb1ELb0ELb0ELb0ELb0EEEvPT0_PvPT_S7_S7_PKS6_S9_S9_S9_S9_ffiiiiiiiiiiiii: ; @_ZN5aiter35fused_qk_rmsnorm_group_quant_kernelIDF16_N4opus5fp4_tELi64ELi8ELi4ELb1ELb1ELb0ELb0ELb0ELb0EEEvPT0_PvPT_S7_S7_PKS6_S9_S9_S9_S9_ffiiiiiiiiiiiii
; %bb.0:
	s_load_dwordx8 s[16:23], s[4:5], 0x50
	s_waitcnt lgkmcnt(0)
	s_cmp_ge_i32 s6, s18
	s_cbranch_scc1 .LBB215_15
; %bb.1:
	s_cmp_lg_u32 s7, 0
	s_cselect_b64 s[2:3], -1, 0
	s_cmp_eq_u32 s7, 0
	s_cselect_b64 s[26:27], -1, 0
	s_and_b64 s[0:1], s[26:27], exec
	s_load_dwordx2 s[24:25], s[4:5], 0x48
	s_load_dwordx2 s[34:35], s[4:5], 0x30
	s_load_dwordx8 s[8:15], s[4:5], 0x70
	s_cselect_b32 s7, s19, s20
	s_add_i32 s0, s7, 1
	s_lshr_b32 s1, s0, 31
	s_add_i32 s0, s0, s1
	s_lshl_b32 s0, s0, 1
	v_lshlrev_b32_e32 v1, 3, v0
	s_and_b32 s30, s0, -4
	v_cmp_gt_i32_e64 s[0:1], s7, v1
	v_mov_b32_e32 v2, 0
	v_mov_b32_e32 v3, 0
	;; [unrolled: 1-line block ×8, first 2 shown]
	s_waitcnt lgkmcnt(0)
	s_and_saveexec_b64 s[14:15], s[0:1]
	s_cbranch_execz .LBB215_3
; %bb.2:
	s_load_dwordx2 s[28:29], s[4:5], 0x28
	s_load_dwordx2 s[38:39], s[4:5], 0x40
	s_and_b64 s[36:37], s[26:27], exec
	s_cselect_b32 s18, s21, s22
	v_lshlrev_b32_e32 v10, 4, v0
	s_waitcnt lgkmcnt(0)
	s_cselect_b32 s21, s29, s35
	s_cselect_b32 s31, s28, s34
	s_mul_hi_i32 s29, s18, s6
	s_mul_i32 s28, s18, s6
	s_lshl_b64 s[28:29], s[28:29], 1
	s_add_u32 s36, s31, s28
	s_addc_u32 s18, s21, s29
	s_and_b64 s[26:27], s[26:27], exec
	s_mov_b32 s31, 0x20000
	s_cselect_b32 s28, s38, s24
	s_cselect_b32 s21, s39, s25
	s_and_b32 s37, s18, 0xffff
	s_mov_b32 s38, s30
	s_mov_b32 s39, s31
	s_and_b32 s29, s21, 0xffff
	buffer_load_dwordx4 v[6:9], v10, s[36:39], 0 offen glc slc
	buffer_load_dwordx4 v[2:5], v10, s[28:31], 0 offen
.LBB215_3:
	s_or_b64 exec, exec, s[14:15]
	s_and_b64 vcc, exec, s[2:3]
	s_cbranch_vccz .LBB215_7
; %bb.4:
	v_mov_b32_e32 v11, 0
	v_mov_b32_e32 v10, 0
	;; [unrolled: 1-line block ×8, first 2 shown]
	s_and_saveexec_b64 s[14:15], s[0:1]
	s_cbranch_execz .LBB215_6
; %bb.5:
	s_waitcnt vmcnt(1)
	v_cvt_f32_f16_sdwa v17, v6 dst_sel:DWORD dst_unused:UNUSED_PAD src0_sel:WORD_1
	v_cvt_f32_f16_e32 v16, v6
	v_cvt_f32_f16_sdwa v15, v7 dst_sel:DWORD dst_unused:UNUSED_PAD src0_sel:WORD_1
	v_cvt_f32_f16_e32 v14, v7
	;; [unrolled: 2-line block ×4, first 2 shown]
.LBB215_6:
	s_or_b64 exec, exec, s[14:15]
	s_mov_b32 s18, s17
	s_cbranch_execz .LBB215_8
	s_branch .LBB215_11
.LBB215_7:
                                        ; implicit-def: $vgpr11
                                        ; implicit-def: $vgpr13
                                        ; implicit-def: $vgpr15
                                        ; implicit-def: $vgpr17
	s_mov_b32 s18, s17
.LBB215_8:
	v_mov_b32_e32 v11, 0
	v_mov_b32_e32 v10, 0
	;; [unrolled: 1-line block ×8, first 2 shown]
	s_and_saveexec_b64 s[14:15], s[0:1]
	s_cbranch_execz .LBB215_10
; %bb.9:
	s_load_dwordx2 s[26:27], s[4:5], 0x38
	s_mul_hi_i32 s29, s23, s6
	s_mul_i32 s28, s23, s6
	s_lshl_b64 s[28:29], s[28:29], 1
	s_mov_b32 s31, 0x20000
	s_waitcnt lgkmcnt(0)
	s_add_u32 s28, s26, s28
	s_addc_u32 s18, s27, s29
	s_and_b32 s29, s18, 0xffff
	v_lshlrev_b32_e32 v26, 4, v0
	buffer_load_dwordx4 v[10:13], v26, s[28:31], 0 offen glc slc
	s_waitcnt vmcnt(2)
	v_cvt_f32_f16_sdwa v15, v6 dst_sel:DWORD dst_unused:UNUSED_PAD src0_sel:WORD_1
	v_cvt_f32_f16_e32 v14, v6
	v_cvt_f32_f16_sdwa v19, v7 dst_sel:DWORD dst_unused:UNUSED_PAD src0_sel:WORD_1
	v_cvt_f32_f16_e32 v18, v7
	;; [unrolled: 2-line block ×4, first 2 shown]
	s_load_dwordx2 s[26:27], s[4:5], 0x20
	s_mul_hi_i32 s29, s13, s6
	s_mul_i32 s28, s13, s6
	s_lshl_b64 s[28:29], s[28:29], 1
	s_waitcnt lgkmcnt(0)
	s_add_u32 s28, s26, s28
	s_addc_u32 s13, s27, s29
	s_and_b32 s29, s13, 0xffff
	s_waitcnt vmcnt(0)
	v_cvt_f32_f16_e32 v8, v10
	v_cvt_f32_f16_sdwa v9, v10 dst_sel:DWORD dst_unused:UNUSED_PAD src0_sel:WORD_1
	v_cvt_f32_f16_e32 v10, v11
	v_cvt_f32_f16_sdwa v11, v11 dst_sel:DWORD dst_unused:UNUSED_PAD src0_sel:WORD_1
	;; [unrolled: 2-line block ×4, first 2 shown]
	v_pk_add_f32 v[16:17], v[14:15], v[8:9]
	v_pk_add_f32 v[14:15], v[18:19], v[10:11]
	;; [unrolled: 1-line block ×4, first 2 shown]
	v_cvt_f16_f32_e32 v6, v17
	v_cvt_f16_f32_e32 v7, v15
	v_cvt_f16_f32_e32 v8, v13
	v_cvt_f16_f32_e32 v9, v11
	v_cvt_f16_f32_e32 v18, v10
	v_cvt_f16_f32_e32 v19, v12
	v_cvt_f16_f32_e32 v20, v14
	v_cvt_f16_f32_e32 v21, v16
	v_pack_b32_f16 v9, v18, v9
	v_pack_b32_f16 v8, v19, v8
	;; [unrolled: 1-line block ×4, first 2 shown]
	buffer_store_dwordx4 v[6:9], v26, s[28:31], 0 offen glc slc
	;;#ASMSTART
	s_nop 0
	;;#ASMEND
.LBB215_10:
	s_or_b64 exec, exec, s[14:15]
	s_mov_b32 s18, s16
.LBB215_11:
	s_waitcnt vmcnt(1)
	v_mul_f32_e32 v6, v17, v17
	v_fmac_f32_e32 v6, v16, v16
	v_fmac_f32_e32 v6, v14, v14
	;; [unrolled: 1-line block ×7, first 2 shown]
	v_bfrev_b32_e32 v8, 0.5
	s_load_dwordx2 s[14:15], s[4:5], 0x18
	v_mov_b32_dpp v7, v6 quad_perm:[1,0,3,2] row_mask:0xf bank_mask:0xf
	v_add_f32_e32 v6, v6, v7
	s_nop 1
	v_mov_b32_dpp v7, v6 quad_perm:[2,3,0,1] row_mask:0xf bank_mask:0xf
	v_add_f32_e32 v6, v6, v7
	s_nop 1
	v_mov_b32_dpp v7, v6 row_half_mirror row_mask:0xf bank_mask:0xf
	v_add_f32_e32 v6, v6, v7
	s_nop 1
	v_mov_b32_dpp v7, v6 row_mirror row_mask:0xf bank_mask:0xf
	v_add_f32_e32 v6, v6, v7
	s_nop 1
	v_mov_b32_dpp v7, v6 row_bcast:15 row_mask:0xf bank_mask:0xf
	v_add_f32_e32 v6, v6, v7
	s_nop 1
	v_mov_b32_dpp v7, v6 row_bcast:31 row_mask:0xf bank_mask:0xf
	v_add_f32_e32 v6, v6, v7
	v_mbcnt_lo_u32_b32 v7, -1, 0
	v_mbcnt_hi_u32_b32 v7, -1, v7
	v_lshl_or_b32 v18, v7, 2, v8
	ds_bpermute_b32 v6, v18, v6
	s_and_saveexec_b64 s[26:27], s[0:1]
	s_cbranch_execnz .LBB215_16
; %bb.12:
	s_or_b64 exec, exec, s[26:27]
	s_mov_b64 s[26:27], -1
	s_and_b64 vcc, exec, s[2:3]
	s_cbranch_vccnz .LBB215_17
.LBB215_13:
	s_andn2_b64 vcc, exec, s[26:27]
	s_cbranch_vccz .LBB215_20
.LBB215_14:
	s_cmp_lt_i32 s20, 1
	s_cbranch_scc0 .LBB215_29
.LBB215_15:
	s_endpgm
.LBB215_16:
	v_cvt_f32_u32_e32 v7, s7
	s_mov_b32 s7, 0x800000
	s_waitcnt vmcnt(0)
	v_cvt_f32_f16_sdwa v23, v5 dst_sel:DWORD dst_unused:UNUSED_PAD src0_sel:WORD_1
	v_cvt_f32_f16_e32 v22, v5
	s_waitcnt lgkmcnt(0)
	v_div_scale_f32 v8, s[28:29], v7, v7, v6
	v_rcp_f32_e32 v9, v8
	v_div_scale_f32 v19, vcc, v6, v7, v6
	v_fma_f32 v20, -v8, v9, 1.0
	v_fmac_f32_e32 v9, v20, v9
	v_mul_f32_e32 v20, v19, v9
	v_fma_f32 v21, -v8, v20, v19
	v_fmac_f32_e32 v20, v21, v9
	v_fma_f32 v8, -v8, v20, v19
	v_div_fmas_f32 v8, v8, v9, v20
	v_div_fixup_f32 v6, v8, v7, v6
	v_add_f32_e32 v6, s18, v6
	v_mul_f32_e32 v7, 0x4b800000, v6
	v_cmp_gt_f32_e32 vcc, s7, v6
	v_cndmask_b32_e32 v6, v6, v7, vcc
	v_rsq_f32_e32 v6, v6
	v_cvt_f32_f16_sdwa v21, v3 dst_sel:DWORD dst_unused:UNUSED_PAD src0_sel:WORD_1
	v_cvt_f32_f16_e32 v20, v3
	v_cvt_f32_f16_sdwa v3, v4 dst_sel:DWORD dst_unused:UNUSED_PAD src0_sel:WORD_1
	v_mul_f32_e32 v7, 0x45800000, v6
	v_cndmask_b32_e32 v6, v6, v7, vcc
	v_mov_b32_e32 v7, v6
	;;#ASMSTART
	v_pk_mul_f32 v[8:9], v[16:17], v[6:7]
	;;#ASMEND
	;;#ASMSTART
	v_pk_mul_f32 v[14:15], v[14:15], v[6:7]
	;;#ASMEND
	;; [unrolled: 3-line block ×4, first 2 shown]
	v_cvt_f32_f16_sdwa v11, v2 dst_sel:DWORD dst_unused:UNUSED_PAD src0_sel:WORD_1
	v_cvt_f32_f16_e32 v10, v2
	v_cvt_f32_f16_e32 v2, v4
	;;#ASMSTART
	v_pk_mul_f32 v[16:17], v[8:9], v[10:11]
	;;#ASMEND
	;;#ASMSTART
	v_pk_mul_f32 v[14:15], v[14:15], v[20:21]
	;;#ASMEND
	;; [unrolled: 3-line block ×4, first 2 shown]
	s_or_b64 exec, exec, s[26:27]
	s_mov_b64 s[26:27], -1
	s_and_b64 vcc, exec, s[2:3]
	s_cbranch_vccz .LBB215_13
.LBB215_17:
	s_and_saveexec_b64 s[2:3], s[0:1]
	s_cbranch_execz .LBB215_19
; %bb.18:
	s_mul_hi_i32 s27, s12, s6
	s_mul_i32 s26, s12, s6
	s_waitcnt vmcnt(0)
	v_cvt_f16_f32_e32 v2, v16
	v_cvt_f16_f32_e32 v3, v14
	;; [unrolled: 1-line block ×4, first 2 shown]
	s_waitcnt lgkmcnt(0)
	v_cvt_f16_f32_e32 v6, v11
	v_cvt_f16_f32_e32 v7, v13
	;; [unrolled: 1-line block ×4, first 2 shown]
	s_lshl_b64 s[26:27], s[26:27], 1
	s_add_u32 s28, s14, s26
	s_addc_u32 s7, s15, s27
	s_and_b32 s29, s7, 0xffff
	s_mov_b32 s31, 0x20000
	v_pack_b32_f16 v5, v5, v6
	v_pack_b32_f16 v4, v4, v7
	;; [unrolled: 1-line block ×4, first 2 shown]
	v_lshlrev_b32_e32 v6, 4, v0
	buffer_store_dwordx4 v[2:5], v6, s[28:31], 0 offen
	;;#ASMSTART
	s_nop 0
	;;#ASMEND
.LBB215_19:
	s_or_b64 exec, exec, s[2:3]
	s_cbranch_execnz .LBB215_14
.LBB215_20:
	s_waitcnt vmcnt(0)
	v_mov_b32_e32 v2, 0
	s_and_saveexec_b64 s[2:3], s[0:1]
	s_cbranch_execz .LBB215_22
; %bb.21:
	s_load_dwordx2 s[26:27], s[4:5], 0x10
	s_mul_hi_i32 s29, s11, s6
	s_mul_i32 s28, s11, s6
	v_cvt_f16_f32_e32 v2, v16
	v_cvt_f16_f32_e32 v3, v14
	;; [unrolled: 1-line block ×4, first 2 shown]
	s_waitcnt lgkmcnt(0)
	v_cvt_f16_f32_e32 v6, v11
	v_cvt_f16_f32_e32 v7, v13
	;; [unrolled: 1-line block ×4, first 2 shown]
	s_lshl_b64 s[28:29], s[28:29], 1
	s_add_u32 s28, s26, s28
	s_addc_u32 s7, s27, s29
	s_mov_b32 s31, 0x20000
	s_and_b32 s29, s7, 0xffff
	v_pack_b32_f16 v5, v5, v6
	v_pack_b32_f16 v4, v4, v7
	;; [unrolled: 1-line block ×4, first 2 shown]
	v_lshlrev_b32_e32 v6, 4, v0
	buffer_store_dwordx4 v[2:5], v6, s[28:31], 0 offen
	;;#ASMSTART
	s_nop 0
	;;#ASMEND
	s_nop 0
	v_mov_b32_e32 v2, 0x2edbe6ff
.LBB215_22:
	s_or_b64 exec, exec, s[2:3]
	s_and_saveexec_b64 s[2:3], s[0:1]
	s_cbranch_execz .LBB215_24
; %bb.23:
	v_and_b32_e32 v3, 0x7fffffff, v16
	v_and_b32_e32 v4, 0x7fffffff, v17
	;;#ASMSTART
	v_max3_f32 v2, v2, v3, v4

	;;#ASMEND
	v_and_b32_e32 v3, 0x7fffffff, v14
	v_and_b32_e32 v4, 0x7fffffff, v15
	;;#ASMSTART
	v_max3_f32 v2, v2, v3, v4

	;;#ASMEND
	;; [unrolled: 6-line block ×4, first 2 shown]
.LBB215_24:
	s_or_b64 exec, exec, s[2:3]
	;;#ASMSTART
	v_max_f32 v3, v2, v2 quad_perm:[1,0,3,2] row_mask:0xf bank_mask:0xf bound_ctrl:1
	;;#ASMEND
	;;#ASMSTART
	v_max_f32 v2, v3, v3 quad_perm:[2,3,0,1] row_mask:0xf bank_mask:0xf bound_ctrl:1
	;;#ASMEND
	v_and_b32_e32 v3, 3, v0
	v_cmp_eq_u32_e32 vcc, 0, v3
	v_cmp_gt_i32_e64 s[2:3], s19, v1
	s_and_b64 s[26:27], vcc, s[2:3]
	s_and_saveexec_b64 s[2:3], s[26:27]
	s_cbranch_execz .LBB215_26
; %bb.25:
	s_load_dwordx2 s[26:27], s[4:5], 0x8
	v_mul_f32_e32 v2, 0x3e2aaaab, v2
	v_lshrrev_b32_e32 v3, 23, v2
	v_and_b32_e32 v4, 0x7f800000, v2
	v_and_b32_e32 v2, 0x7fffff, v2
	v_cmp_ne_u32_e32 vcc, 0, v2
	s_mul_hi_i32 s11, s9, s6
	s_mul_i32 s9, s9, s6
	s_mov_b32 s7, 0x7f800000
	v_addc_co_u32_e32 v2, vcc, 0, v3, vcc
	s_waitcnt lgkmcnt(0)
	s_add_u32 s26, s26, s9
	v_cmp_ne_u32_e32 vcc, s7, v4
	s_addc_u32 s27, s27, s11
	v_lshrrev_b32_e32 v5, 2, v0
	v_cndmask_b32_e32 v4, -1, v2, vcc
	v_pk_mov_b32 v[2:3], s[26:27], s[26:27] op_sel:[0,1]
	v_mad_i64_i32 v[2:3], s[10:11], s10, v5, v[2:3]
	global_store_byte v[2:3], v4, off
.LBB215_26:
	s_or_b64 exec, exec, s[2:3]
	s_and_saveexec_b64 s[2:3], s[0:1]
	s_cbranch_execz .LBB215_28
; %bb.27:
	s_load_dwordx2 s[0:1], s[4:5], 0x0
	s_mul_hi_i32 s7, s8, s6
	s_mul_i32 s8, s8, s6
	v_lshlrev_b32_e32 v2, 2, v0
	s_mov_b32 s11, 0x20000
	s_waitcnt lgkmcnt(0)
	s_add_u32 s8, s0, s8
	s_addc_u32 s0, s1, s7
	s_lshr_b32 s1, s19, 31
	s_add_i32 s1, s19, s1
	s_ashr_i32 s1, s1, 1
	s_add_i32 s1, s1, 3
	s_ashr_i32 s7, s1, 31
	s_lshr_b32 s7, s7, 30
	s_add_i32 s1, s1, s7
	s_and_b32 s10, s1, -4
	s_and_b32 s9, s0, 0xffff
	v_mov_b32_e32 v3, 0
	buffer_store_dword v3, v2, s[8:11], 0 offen
	;;#ASMSTART
	s_nop 0
	;;#ASMEND
.LBB215_28:
	s_or_b64 exec, exec, s[2:3]
	s_cmp_lt_i32 s20, 1
	s_cbranch_scc1 .LBB215_15
.LBB215_29:
	s_load_dword s0, s[4:5], 0x94
	s_waitcnt lgkmcnt(0)
	s_cmp_lg_u32 s0, 1
	s_cbranch_scc1 .LBB215_15
; %bb.30:
	s_lshl_b32 s0, s20, 1
	s_add_i32 s0, s0, 2
	v_cmp_gt_u32_e32 vcc, s20, v1
	s_and_b32 s26, s0, -4
	v_mov_b32_e32 v8, 0
	v_lshlrev_b32_e32 v16, 4, v0
	s_waitcnt vmcnt(0)
	v_mov_b32_e32 v4, 0
	v_mov_b32_e32 v5, 0
	;; [unrolled: 1-line block ×8, first 2 shown]
	s_barrier
	s_and_saveexec_b64 s[0:1], vcc
	s_cbranch_execz .LBB215_32
; %bb.31:
	s_mul_hi_i32 s3, s22, s6
	s_mul_i32 s2, s22, s6
	s_and_b32 s25, s25, 0xffff
	s_lshl_b64 s[2:3], s[2:3], 1
	s_add_u32 s8, s34, s2
	s_mov_b32 s27, 0x20000
	s_addc_u32 s2, s35, s3
	s_and_b32 s9, s2, 0xffff
	s_mov_b32 s10, s26
	s_mov_b32 s11, s27
	buffer_load_dwordx4 v[4:7], v16, s[8:11], 0 offen glc slc
	buffer_load_dwordx4 v[0:3], v16, s[24:27], 0 offen
.LBB215_32:
	s_or_b64 exec, exec, s[0:1]
	v_mov_b32_e32 v9, 0
	v_mov_b32_e32 v14, 0
	v_mov_b32_e32 v15, 0
	v_mov_b32_e32 v12, 0
	v_mov_b32_e32 v13, 0
	v_mov_b32_e32 v10, 0
	v_mov_b32_e32 v11, 0
	s_and_saveexec_b64 s[0:1], vcc
	s_cbranch_execz .LBB215_34
; %bb.33:
	s_waitcnt vmcnt(1)
	v_cvt_f32_f16_sdwa v9, v4 dst_sel:DWORD dst_unused:UNUSED_PAD src0_sel:WORD_1
	v_cvt_f32_f16_e32 v8, v4
	v_cvt_f32_f16_sdwa v15, v5 dst_sel:DWORD dst_unused:UNUSED_PAD src0_sel:WORD_1
	v_cvt_f32_f16_e32 v14, v5
	;; [unrolled: 2-line block ×4, first 2 shown]
.LBB215_34:
	s_or_b64 exec, exec, s[0:1]
	s_waitcnt vmcnt(1)
	v_mul_f32_e32 v4, v9, v9
	v_fmac_f32_e32 v4, v8, v8
	v_fmac_f32_e32 v4, v14, v14
	;; [unrolled: 1-line block ×7, first 2 shown]
	s_nop 1
	v_mov_b32_dpp v5, v4 quad_perm:[1,0,3,2] row_mask:0xf bank_mask:0xf
	v_add_f32_e32 v4, v4, v5
	s_nop 1
	v_mov_b32_dpp v5, v4 quad_perm:[2,3,0,1] row_mask:0xf bank_mask:0xf
	v_add_f32_e32 v4, v4, v5
	s_nop 1
	v_mov_b32_dpp v5, v4 row_half_mirror row_mask:0xf bank_mask:0xf
	v_add_f32_e32 v4, v4, v5
	s_nop 1
	v_mov_b32_dpp v5, v4 row_mirror row_mask:0xf bank_mask:0xf
	v_add_f32_e32 v4, v4, v5
	s_nop 1
	v_mov_b32_dpp v5, v4 row_bcast:15 row_mask:0xf bank_mask:0xf
	v_add_f32_e32 v4, v4, v5
	s_nop 1
	v_mov_b32_dpp v5, v4 row_bcast:31 row_mask:0xf bank_mask:0xf
	v_add_f32_e32 v4, v4, v5
	ds_bpermute_b32 v4, v18, v4
	s_and_saveexec_b64 s[0:1], vcc
	s_cbranch_execz .LBB215_15
; %bb.35:
	v_cvt_f32_u32_e32 v5, s20
	s_mov_b32 s27, 0x20000
	s_waitcnt lgkmcnt(0)
	v_div_scale_f32 v6, s[0:1], v5, v5, v4
	v_rcp_f32_e32 v7, v6
	v_div_scale_f32 v17, vcc, v4, v5, v4
	s_mov_b32 s0, 0x800000
	v_fma_f32 v18, -v6, v7, 1.0
	v_fmac_f32_e32 v7, v18, v7
	v_mul_f32_e32 v18, v17, v7
	v_fma_f32 v19, -v6, v18, v17
	v_fmac_f32_e32 v18, v19, v7
	v_fma_f32 v6, -v6, v18, v17
	v_div_fmas_f32 v6, v6, v7, v18
	v_div_fixup_f32 v4, v6, v5, v4
	v_add_f32_e32 v4, s17, v4
	v_mul_f32_e32 v5, 0x4b800000, v4
	v_cmp_gt_f32_e32 vcc, s0, v4
	v_cndmask_b32_e32 v4, v4, v5, vcc
	v_rsq_f32_e32 v4, v4
	s_waitcnt vmcnt(0)
	v_cvt_f32_f16_sdwa v19, v3 dst_sel:DWORD dst_unused:UNUSED_PAD src0_sel:WORD_1
	v_cvt_f32_f16_e32 v18, v3
	s_mul_hi_i32 s1, s12, s6
	v_mul_f32_e32 v5, 0x45800000, v4
	v_cndmask_b32_e32 v4, v4, v5, vcc
	v_mov_b32_e32 v5, v4
	;;#ASMSTART
	v_pk_mul_f32 v[6:7], v[8:9], v[4:5]
	;;#ASMEND
	;;#ASMSTART
	v_pk_mul_f32 v[8:9], v[14:15], v[4:5]
	;;#ASMEND
	;; [unrolled: 3-line block ×4, first 2 shown]
	v_cvt_f32_f16_sdwa v11, v0 dst_sel:DWORD dst_unused:UNUSED_PAD src0_sel:WORD_1
	v_cvt_f32_f16_e32 v10, v0
	v_cvt_f32_f16_sdwa v15, v1 dst_sel:DWORD dst_unused:UNUSED_PAD src0_sel:WORD_1
	v_cvt_f32_f16_e32 v14, v1
	;; [unrolled: 2-line block ×3, first 2 shown]
	;;#ASMSTART
	v_pk_mul_f32 v[2:3], v[6:7], v[10:11]
	;;#ASMEND
	;;#ASMSTART
	v_pk_mul_f32 v[6:7], v[8:9], v[14:15]
	;;#ASMEND
	;; [unrolled: 3-line block ×4, first 2 shown]
	s_mul_i32 s0, s12, s6
	v_cvt_f16_f32_e32 v2, v2
	v_cvt_f16_f32_e32 v3, v3
	;; [unrolled: 1-line block ×8, first 2 shown]
	s_lshl_b64 s[0:1], s[0:1], 1
	s_add_u32 s24, s14, s0
	s_addc_u32 s0, s15, s1
	s_and_b32 s25, s0, 0xffff
	v_pack_b32_f16 v0, v2, v3
	v_pack_b32_f16 v1, v6, v7
	;; [unrolled: 1-line block ×4, first 2 shown]
	buffer_store_dwordx4 v[0:3], v16, s[24:27], 0 offen
	;;#ASMSTART
	s_nop 0
	;;#ASMEND
	s_endpgm
	.section	.rodata,"a",@progbits
	.p2align	6, 0x0
	.amdhsa_kernel _ZN5aiter35fused_qk_rmsnorm_group_quant_kernelIDF16_N4opus5fp4_tELi64ELi8ELi4ELb1ELb1ELb0ELb0ELb0ELb0EEEvPT0_PvPT_S7_S7_PKS6_S9_S9_S9_S9_ffiiiiiiiiiiiii
		.amdhsa_group_segment_fixed_size 0
		.amdhsa_private_segment_fixed_size 0
		.amdhsa_kernarg_size 400
		.amdhsa_user_sgpr_count 6
		.amdhsa_user_sgpr_private_segment_buffer 1
		.amdhsa_user_sgpr_dispatch_ptr 0
		.amdhsa_user_sgpr_queue_ptr 0
		.amdhsa_user_sgpr_kernarg_segment_ptr 1
		.amdhsa_user_sgpr_dispatch_id 0
		.amdhsa_user_sgpr_flat_scratch_init 0
		.amdhsa_user_sgpr_kernarg_preload_length 0
		.amdhsa_user_sgpr_kernarg_preload_offset 0
		.amdhsa_user_sgpr_private_segment_size 0
		.amdhsa_uses_dynamic_stack 0
		.amdhsa_system_sgpr_private_segment_wavefront_offset 0
		.amdhsa_system_sgpr_workgroup_id_x 1
		.amdhsa_system_sgpr_workgroup_id_y 1
		.amdhsa_system_sgpr_workgroup_id_z 0
		.amdhsa_system_sgpr_workgroup_info 0
		.amdhsa_system_vgpr_workitem_id 0
		.amdhsa_next_free_vgpr 27
		.amdhsa_next_free_sgpr 40
		.amdhsa_accum_offset 28
		.amdhsa_reserve_vcc 1
		.amdhsa_reserve_flat_scratch 0
		.amdhsa_float_round_mode_32 0
		.amdhsa_float_round_mode_16_64 0
		.amdhsa_float_denorm_mode_32 3
		.amdhsa_float_denorm_mode_16_64 3
		.amdhsa_dx10_clamp 1
		.amdhsa_ieee_mode 1
		.amdhsa_fp16_overflow 0
		.amdhsa_tg_split 0
		.amdhsa_exception_fp_ieee_invalid_op 0
		.amdhsa_exception_fp_denorm_src 0
		.amdhsa_exception_fp_ieee_div_zero 0
		.amdhsa_exception_fp_ieee_overflow 0
		.amdhsa_exception_fp_ieee_underflow 0
		.amdhsa_exception_fp_ieee_inexact 0
		.amdhsa_exception_int_div_zero 0
	.end_amdhsa_kernel
	.section	.text._ZN5aiter35fused_qk_rmsnorm_group_quant_kernelIDF16_N4opus5fp4_tELi64ELi8ELi4ELb1ELb1ELb0ELb0ELb0ELb0EEEvPT0_PvPT_S7_S7_PKS6_S9_S9_S9_S9_ffiiiiiiiiiiiii,"axG",@progbits,_ZN5aiter35fused_qk_rmsnorm_group_quant_kernelIDF16_N4opus5fp4_tELi64ELi8ELi4ELb1ELb1ELb0ELb0ELb0ELb0EEEvPT0_PvPT_S7_S7_PKS6_S9_S9_S9_S9_ffiiiiiiiiiiiii,comdat
.Lfunc_end215:
	.size	_ZN5aiter35fused_qk_rmsnorm_group_quant_kernelIDF16_N4opus5fp4_tELi64ELi8ELi4ELb1ELb1ELb0ELb0ELb0ELb0EEEvPT0_PvPT_S7_S7_PKS6_S9_S9_S9_S9_ffiiiiiiiiiiiii, .Lfunc_end215-_ZN5aiter35fused_qk_rmsnorm_group_quant_kernelIDF16_N4opus5fp4_tELi64ELi8ELi4ELb1ELb1ELb0ELb0ELb0ELb0EEEvPT0_PvPT_S7_S7_PKS6_S9_S9_S9_S9_ffiiiiiiiiiiiii
                                        ; -- End function
	.section	.AMDGPU.csdata,"",@progbits
; Kernel info:
; codeLenInByte = 2688
; NumSgprs: 44
; NumVgprs: 27
; NumAgprs: 0
; TotalNumVgprs: 27
; ScratchSize: 0
; MemoryBound: 0
; FloatMode: 240
; IeeeMode: 1
; LDSByteSize: 0 bytes/workgroup (compile time only)
; SGPRBlocks: 5
; VGPRBlocks: 3
; NumSGPRsForWavesPerEU: 44
; NumVGPRsForWavesPerEU: 27
; AccumOffset: 28
; Occupancy: 8
; WaveLimiterHint : 0
; COMPUTE_PGM_RSRC2:SCRATCH_EN: 0
; COMPUTE_PGM_RSRC2:USER_SGPR: 6
; COMPUTE_PGM_RSRC2:TRAP_HANDLER: 0
; COMPUTE_PGM_RSRC2:TGID_X_EN: 1
; COMPUTE_PGM_RSRC2:TGID_Y_EN: 1
; COMPUTE_PGM_RSRC2:TGID_Z_EN: 0
; COMPUTE_PGM_RSRC2:TIDIG_COMP_CNT: 0
; COMPUTE_PGM_RSRC3_GFX90A:ACCUM_OFFSET: 6
; COMPUTE_PGM_RSRC3_GFX90A:TG_SPLIT: 0
	.section	.text._ZN5aiter35fused_qk_rmsnorm_group_quant_kernelItN4opus5fp4_tELi64ELi8ELi4ELb1ELb1ELb0ELb0ELb0ELb0EEEvPT0_PvPT_S7_S7_PKS6_S9_S9_S9_S9_ffiiiiiiiiiiiii,"axG",@progbits,_ZN5aiter35fused_qk_rmsnorm_group_quant_kernelItN4opus5fp4_tELi64ELi8ELi4ELb1ELb1ELb0ELb0ELb0ELb0EEEvPT0_PvPT_S7_S7_PKS6_S9_S9_S9_S9_ffiiiiiiiiiiiii,comdat
	.protected	_ZN5aiter35fused_qk_rmsnorm_group_quant_kernelItN4opus5fp4_tELi64ELi8ELi4ELb1ELb1ELb0ELb0ELb0ELb0EEEvPT0_PvPT_S7_S7_PKS6_S9_S9_S9_S9_ffiiiiiiiiiiiii ; -- Begin function _ZN5aiter35fused_qk_rmsnorm_group_quant_kernelItN4opus5fp4_tELi64ELi8ELi4ELb1ELb1ELb0ELb0ELb0ELb0EEEvPT0_PvPT_S7_S7_PKS6_S9_S9_S9_S9_ffiiiiiiiiiiiii
	.globl	_ZN5aiter35fused_qk_rmsnorm_group_quant_kernelItN4opus5fp4_tELi64ELi8ELi4ELb1ELb1ELb0ELb0ELb0ELb0EEEvPT0_PvPT_S7_S7_PKS6_S9_S9_S9_S9_ffiiiiiiiiiiiii
	.p2align	8
	.type	_ZN5aiter35fused_qk_rmsnorm_group_quant_kernelItN4opus5fp4_tELi64ELi8ELi4ELb1ELb1ELb0ELb0ELb0ELb0EEEvPT0_PvPT_S7_S7_PKS6_S9_S9_S9_S9_ffiiiiiiiiiiiii,@function
_ZN5aiter35fused_qk_rmsnorm_group_quant_kernelItN4opus5fp4_tELi64ELi8ELi4ELb1ELb1ELb0ELb0ELb0ELb0EEEvPT0_PvPT_S7_S7_PKS6_S9_S9_S9_S9_ffiiiiiiiiiiiii: ; @_ZN5aiter35fused_qk_rmsnorm_group_quant_kernelItN4opus5fp4_tELi64ELi8ELi4ELb1ELb1ELb0ELb0ELb0ELb0EEEvPT0_PvPT_S7_S7_PKS6_S9_S9_S9_S9_ffiiiiiiiiiiiii
; %bb.0:
	s_load_dwordx8 s[16:23], s[4:5], 0x50
	s_waitcnt lgkmcnt(0)
	s_cmp_ge_i32 s6, s18
	s_cbranch_scc1 .LBB216_15
; %bb.1:
	s_cmp_lg_u32 s7, 0
	s_cselect_b64 s[2:3], -1, 0
	s_cmp_eq_u32 s7, 0
	s_cselect_b64 s[26:27], -1, 0
	s_and_b64 s[0:1], s[26:27], exec
	s_load_dwordx2 s[24:25], s[4:5], 0x48
	s_load_dwordx2 s[34:35], s[4:5], 0x30
	s_load_dwordx8 s[8:15], s[4:5], 0x70
	s_cselect_b32 s7, s19, s20
	s_add_i32 s0, s7, 1
	s_lshr_b32 s1, s0, 31
	s_add_i32 s0, s0, s1
	s_lshl_b32 s0, s0, 1
	v_lshlrev_b32_e32 v1, 3, v0
	s_and_b32 s30, s0, -4
	v_cmp_gt_i32_e64 s[0:1], s7, v1
	v_mov_b32_e32 v10, 0
	v_mov_b32_e32 v11, 0
	;; [unrolled: 1-line block ×8, first 2 shown]
	s_waitcnt lgkmcnt(0)
	s_and_saveexec_b64 s[14:15], s[0:1]
	s_cbranch_execz .LBB216_3
; %bb.2:
	s_load_dwordx2 s[28:29], s[4:5], 0x28
	s_load_dwordx2 s[38:39], s[4:5], 0x40
	s_and_b64 s[36:37], s[26:27], exec
	s_cselect_b32 s18, s21, s22
	v_lshlrev_b32_e32 v2, 4, v0
	s_waitcnt lgkmcnt(0)
	s_cselect_b32 s21, s29, s35
	s_cselect_b32 s31, s28, s34
	s_mul_hi_i32 s29, s18, s6
	s_mul_i32 s28, s18, s6
	s_lshl_b64 s[28:29], s[28:29], 1
	s_add_u32 s36, s31, s28
	s_addc_u32 s18, s21, s29
	s_and_b64 s[26:27], s[26:27], exec
	s_mov_b32 s31, 0x20000
	s_cselect_b32 s28, s38, s24
	s_cselect_b32 s21, s39, s25
	s_and_b32 s37, s18, 0xffff
	s_mov_b32 s38, s30
	s_mov_b32 s39, s31
	s_and_b32 s29, s21, 0xffff
	buffer_load_dwordx4 v[14:17], v2, s[36:39], 0 offen glc slc
	buffer_load_dwordx4 v[10:13], v2, s[28:31], 0 offen
.LBB216_3:
	s_or_b64 exec, exec, s[14:15]
	s_and_b64 vcc, exec, s[2:3]
	s_cbranch_vccz .LBB216_7
; %bb.4:
	s_mov_b32 s36, 0
	s_mov_b32 s37, s36
	;; [unrolled: 1-line block ×8, first 2 shown]
	v_pk_mov_b32 v[2:3], s[36:37], s[36:37] op_sel:[0,1]
	v_pk_mov_b32 v[4:5], s[38:39], s[38:39] op_sel:[0,1]
	;; [unrolled: 1-line block ×4, first 2 shown]
	s_and_saveexec_b64 s[14:15], s[0:1]
	s_cbranch_execz .LBB216_6
; %bb.5:
	s_waitcnt vmcnt(1)
	v_cvt_f32_u32_sdwa v3, v14 dst_sel:DWORD dst_unused:UNUSED_PAD src0_sel:WORD_1
	v_cvt_f32_u32_sdwa v2, v14 dst_sel:DWORD dst_unused:UNUSED_PAD src0_sel:WORD_0
	v_cvt_f32_u32_sdwa v5, v15 dst_sel:DWORD dst_unused:UNUSED_PAD src0_sel:WORD_1
	v_cvt_f32_u32_sdwa v4, v15 dst_sel:DWORD dst_unused:UNUSED_PAD src0_sel:WORD_0
	;; [unrolled: 2-line block ×4, first 2 shown]
.LBB216_6:
	s_or_b64 exec, exec, s[14:15]
	s_mov_b32 s18, s17
	s_cbranch_execz .LBB216_8
	s_branch .LBB216_11
.LBB216_7:
                                        ; implicit-def: $vgpr2_vgpr3_vgpr4_vgpr5_vgpr6_vgpr7_vgpr8_vgpr9
	s_mov_b32 s18, s17
.LBB216_8:
	s_mov_b32 s36, 0
	s_mov_b32 s37, s36
	;; [unrolled: 1-line block ×8, first 2 shown]
	v_pk_mov_b32 v[2:3], s[36:37], s[36:37] op_sel:[0,1]
	v_pk_mov_b32 v[4:5], s[38:39], s[38:39] op_sel:[0,1]
	;; [unrolled: 1-line block ×4, first 2 shown]
	s_and_saveexec_b64 s[14:15], s[0:1]
	s_cbranch_execz .LBB216_10
; %bb.9:
	s_load_dwordx2 s[26:27], s[4:5], 0x38
	s_mul_hi_i32 s29, s23, s6
	s_mul_i32 s28, s23, s6
	s_lshl_b64 s[28:29], s[28:29], 1
	s_mov_b32 s31, 0x20000
	s_waitcnt lgkmcnt(0)
	s_add_u32 s28, s26, s28
	s_addc_u32 s18, s27, s29
	s_and_b32 s29, s18, 0xffff
	v_lshlrev_b32_e32 v26, 4, v0
	buffer_load_dwordx4 v[2:5], v26, s[28:31], 0 offen glc slc
	s_load_dwordx2 s[26:27], s[4:5], 0x20
	s_waitcnt vmcnt(2)
	v_cvt_f32_u32_sdwa v7, v14 dst_sel:DWORD dst_unused:UNUSED_PAD src0_sel:WORD_1
	v_cvt_f32_u32_sdwa v6, v14 dst_sel:DWORD dst_unused:UNUSED_PAD src0_sel:WORD_0
	v_cvt_f32_u32_sdwa v9, v15 dst_sel:DWORD dst_unused:UNUSED_PAD src0_sel:WORD_1
	v_cvt_f32_u32_sdwa v8, v15 dst_sel:DWORD dst_unused:UNUSED_PAD src0_sel:WORD_0
	;; [unrolled: 2-line block ×4, first 2 shown]
	s_mul_hi_i32 s29, s13, s6
	s_mul_i32 s28, s13, s6
	s_lshl_b64 s[28:29], s[28:29], 1
	s_waitcnt lgkmcnt(0)
	s_add_u32 s28, s26, s28
	s_mov_b32 s13, 0x7060302
	s_addc_u32 s18, s27, s29
	s_and_b32 s29, s18, 0xffff
	s_waitcnt vmcnt(0)
	v_cvt_f32_u32_sdwa v17, v2 dst_sel:DWORD dst_unused:UNUSED_PAD src0_sel:WORD_1
	v_cvt_f32_u32_sdwa v16, v2 dst_sel:DWORD dst_unused:UNUSED_PAD src0_sel:WORD_0
	v_cvt_f32_u32_sdwa v21, v3 dst_sel:DWORD dst_unused:UNUSED_PAD src0_sel:WORD_1
	v_cvt_f32_u32_sdwa v20, v3 dst_sel:DWORD dst_unused:UNUSED_PAD src0_sel:WORD_0
	;; [unrolled: 2-line block ×4, first 2 shown]
	v_pk_add_f32 v[2:3], v[6:7], v[16:17]
	v_pk_add_f32 v[4:5], v[8:9], v[20:21]
	;; [unrolled: 1-line block ×4, first 2 shown]
	v_perm_b32 v17, v9, v8, s13
	v_perm_b32 v16, v7, v6, s13
	;; [unrolled: 1-line block ×4, first 2 shown]
	buffer_store_dwordx4 v[14:17], v26, s[28:31], 0 offen glc slc
	;;#ASMSTART
	s_nop 0
	;;#ASMEND
.LBB216_10:
	s_or_b64 exec, exec, s[14:15]
	s_mov_b32 s18, s16
.LBB216_11:
	s_waitcnt vmcnt(1)
	v_mul_f32_e32 v14, v3, v3
	v_fmac_f32_e32 v14, v2, v2
	v_fmac_f32_e32 v14, v4, v4
	;; [unrolled: 1-line block ×7, first 2 shown]
	v_bfrev_b32_e32 v16, 0.5
	s_load_dwordx2 s[14:15], s[4:5], 0x18
	v_mov_b32_dpp v15, v14 quad_perm:[1,0,3,2] row_mask:0xf bank_mask:0xf
	v_add_f32_e32 v14, v14, v15
	s_nop 1
	v_mov_b32_dpp v15, v14 quad_perm:[2,3,0,1] row_mask:0xf bank_mask:0xf
	v_add_f32_e32 v14, v14, v15
	s_nop 1
	v_mov_b32_dpp v15, v14 row_half_mirror row_mask:0xf bank_mask:0xf
	v_add_f32_e32 v14, v14, v15
	s_nop 1
	v_mov_b32_dpp v15, v14 row_mirror row_mask:0xf bank_mask:0xf
	v_add_f32_e32 v14, v14, v15
	s_nop 1
	v_mov_b32_dpp v15, v14 row_bcast:15 row_mask:0xf bank_mask:0xf
	v_add_f32_e32 v14, v14, v15
	s_nop 1
	v_mov_b32_dpp v15, v14 row_bcast:31 row_mask:0xf bank_mask:0xf
	v_add_f32_e32 v15, v14, v15
	v_mbcnt_lo_u32_b32 v14, -1, 0
	v_mbcnt_hi_u32_b32 v14, -1, v14
	v_lshl_or_b32 v14, v14, 2, v16
	ds_bpermute_b32 v15, v14, v15
	s_and_saveexec_b64 s[26:27], s[0:1]
	s_cbranch_execnz .LBB216_16
; %bb.12:
	s_or_b64 exec, exec, s[26:27]
	s_mov_b64 s[26:27], -1
	s_and_b64 vcc, exec, s[2:3]
	s_cbranch_vccnz .LBB216_17
.LBB216_13:
	s_andn2_b64 vcc, exec, s[26:27]
	s_cbranch_vccz .LBB216_20
.LBB216_14:
	s_cmp_lt_i32 s20, 1
	s_cbranch_scc0 .LBB216_29
.LBB216_15:
	s_endpgm
.LBB216_16:
	v_cvt_f32_u32_e32 v16, s7
	s_mov_b32 s7, 0x800000
	s_waitcnt lgkmcnt(0)
	v_div_scale_f32 v17, s[28:29], v16, v16, v15
	v_rcp_f32_e32 v18, v17
	v_div_scale_f32 v19, vcc, v15, v16, v15
	v_fma_f32 v20, -v17, v18, 1.0
	v_fmac_f32_e32 v18, v20, v18
	v_mul_f32_e32 v20, v19, v18
	v_fma_f32 v21, -v17, v20, v19
	v_fmac_f32_e32 v20, v21, v18
	v_fma_f32 v17, -v17, v20, v19
	v_div_fmas_f32 v17, v17, v18, v20
	v_div_fixup_f32 v15, v17, v16, v15
	v_add_f32_e32 v15, s18, v15
	v_mul_f32_e32 v16, 0x4b800000, v15
	v_cmp_gt_f32_e32 vcc, s7, v15
	v_cndmask_b32_e32 v15, v15, v16, vcc
	v_rsq_f32_e32 v15, v15
	s_waitcnt vmcnt(0)
	v_cvt_f32_u32_sdwa v19, v11 dst_sel:DWORD dst_unused:UNUSED_PAD src0_sel:WORD_1
	v_cvt_f32_u32_sdwa v18, v11 dst_sel:DWORD dst_unused:UNUSED_PAD src0_sel:WORD_0
	v_cvt_f32_u32_sdwa v11, v12 dst_sel:DWORD dst_unused:UNUSED_PAD src0_sel:WORD_1
	v_mul_f32_e32 v16, 0x45800000, v15
	v_cndmask_b32_e32 v16, v15, v16, vcc
	v_mov_b32_e32 v17, v16
	;;#ASMSTART
	v_pk_mul_f32 v[2:3], v[2:3], v[16:17]
	;;#ASMEND
	;;#ASMSTART
	v_pk_mul_f32 v[4:5], v[4:5], v[16:17]
	;;#ASMEND
	;; [unrolled: 3-line block ×4, first 2 shown]
	v_cvt_f32_u32_sdwa v17, v10 dst_sel:DWORD dst_unused:UNUSED_PAD src0_sel:WORD_1
	v_cvt_f32_u32_sdwa v16, v10 dst_sel:DWORD dst_unused:UNUSED_PAD src0_sel:WORD_0
	v_cvt_f32_u32_sdwa v10, v12 dst_sel:DWORD dst_unused:UNUSED_PAD src0_sel:WORD_0
	v_cvt_f32_u32_sdwa v21, v13 dst_sel:DWORD dst_unused:UNUSED_PAD src0_sel:WORD_1
	v_cvt_f32_u32_sdwa v20, v13 dst_sel:DWORD dst_unused:UNUSED_PAD src0_sel:WORD_0
	;;#ASMSTART
	v_pk_mul_f32 v[2:3], v[2:3], v[16:17]
	;;#ASMEND
	;;#ASMSTART
	v_pk_mul_f32 v[4:5], v[4:5], v[18:19]
	;;#ASMEND
	;; [unrolled: 3-line block ×4, first 2 shown]
	s_or_b64 exec, exec, s[26:27]
	s_mov_b64 s[26:27], -1
	s_and_b64 vcc, exec, s[2:3]
	s_cbranch_vccz .LBB216_13
.LBB216_17:
	s_and_saveexec_b64 s[2:3], s[0:1]
	s_cbranch_execz .LBB216_19
; %bb.18:
	s_mul_hi_i32 s27, s12, s6
	s_mul_i32 s26, s12, s6
	s_lshl_b64 s[26:27], s[26:27], 1
	s_waitcnt lgkmcnt(0)
	s_add_u32 s28, s14, s26
	s_addc_u32 s7, s15, s27
	s_and_b32 s29, s7, 0xffff
	s_mov_b32 s7, 0x7060302
	s_mov_b32 s31, 0x20000
	s_waitcnt vmcnt(0)
	v_perm_b32 v10, v3, v2, s7
	v_perm_b32 v11, v5, v4, s7
	;; [unrolled: 1-line block ×4, first 2 shown]
	v_lshlrev_b32_e32 v15, 4, v0
	buffer_store_dwordx4 v[10:13], v15, s[28:31], 0 offen
	;;#ASMSTART
	s_nop 0
	;;#ASMEND
.LBB216_19:
	s_or_b64 exec, exec, s[2:3]
	s_cbranch_execnz .LBB216_14
.LBB216_20:
	s_waitcnt vmcnt(0)
	v_mov_b32_e32 v10, 0
	s_and_saveexec_b64 s[2:3], s[0:1]
	s_cbranch_execz .LBB216_22
; %bb.21:
	s_load_dwordx2 s[26:27], s[4:5], 0x10
	s_mul_hi_i32 s29, s11, s6
	s_mul_i32 s28, s11, s6
	s_lshl_b64 s[28:29], s[28:29], 1
	s_mov_b32 s31, 0x20000
	s_waitcnt lgkmcnt(0)
	s_add_u32 s28, s26, s28
	s_addc_u32 s7, s27, s29
	s_and_b32 s29, s7, 0xffff
	s_mov_b32 s7, 0x7060302
	v_perm_b32 v10, v3, v2, s7
	v_perm_b32 v11, v5, v4, s7
	;; [unrolled: 1-line block ×4, first 2 shown]
	v_lshlrev_b32_e32 v15, 4, v0
	buffer_store_dwordx4 v[10:13], v15, s[28:31], 0 offen
	;;#ASMSTART
	s_nop 0
	;;#ASMEND
	s_nop 0
	v_mov_b32_e32 v10, 0x2edbe6ff
.LBB216_22:
	s_or_b64 exec, exec, s[2:3]
	s_and_saveexec_b64 s[2:3], s[0:1]
	s_cbranch_execz .LBB216_24
; %bb.23:
	v_and_b32_e32 v2, 0x7fffffff, v2
	v_and_b32_e32 v3, 0x7fffffff, v3
	;;#ASMSTART
	v_max3_f32 v2, v10, v2, v3

	;;#ASMEND
	v_and_b32_e32 v3, 0x7fffffff, v4
	v_and_b32_e32 v4, 0x7fffffff, v5
	;;#ASMSTART
	v_max3_f32 v2, v2, v3, v4

	;;#ASMEND
	;; [unrolled: 6-line block ×4, first 2 shown]
.LBB216_24:
	s_or_b64 exec, exec, s[2:3]
	;;#ASMSTART
	v_max_f32 v3, v10, v10 quad_perm:[1,0,3,2] row_mask:0xf bank_mask:0xf bound_ctrl:1
	;;#ASMEND
	;;#ASMSTART
	v_max_f32 v2, v3, v3 quad_perm:[2,3,0,1] row_mask:0xf bank_mask:0xf bound_ctrl:1
	;;#ASMEND
	v_and_b32_e32 v3, 3, v0
	v_cmp_eq_u32_e32 vcc, 0, v3
	v_cmp_gt_i32_e64 s[2:3], s19, v1
	s_and_b64 s[26:27], vcc, s[2:3]
	s_and_saveexec_b64 s[2:3], s[26:27]
	s_cbranch_execz .LBB216_26
; %bb.25:
	s_load_dwordx2 s[26:27], s[4:5], 0x8
	v_mul_f32_e32 v2, 0x3e2aaaab, v2
	v_lshrrev_b32_e32 v3, 23, v2
	v_and_b32_e32 v4, 0x7f800000, v2
	v_and_b32_e32 v2, 0x7fffff, v2
	v_cmp_ne_u32_e32 vcc, 0, v2
	s_mul_hi_i32 s11, s9, s6
	s_mul_i32 s9, s9, s6
	s_mov_b32 s7, 0x7f800000
	v_addc_co_u32_e32 v2, vcc, 0, v3, vcc
	s_waitcnt lgkmcnt(0)
	s_add_u32 s26, s26, s9
	v_cmp_ne_u32_e32 vcc, s7, v4
	s_addc_u32 s27, s27, s11
	v_lshrrev_b32_e32 v5, 2, v0
	v_cndmask_b32_e32 v4, -1, v2, vcc
	v_pk_mov_b32 v[2:3], s[26:27], s[26:27] op_sel:[0,1]
	v_mad_i64_i32 v[2:3], s[10:11], s10, v5, v[2:3]
	global_store_byte v[2:3], v4, off
.LBB216_26:
	s_or_b64 exec, exec, s[2:3]
	s_and_saveexec_b64 s[2:3], s[0:1]
	s_cbranch_execz .LBB216_28
; %bb.27:
	s_load_dwordx2 s[0:1], s[4:5], 0x0
	s_mul_hi_i32 s7, s8, s6
	s_mul_i32 s8, s8, s6
	v_lshlrev_b32_e32 v2, 2, v0
	s_mov_b32 s11, 0x20000
	s_waitcnt lgkmcnt(0)
	s_add_u32 s8, s0, s8
	s_addc_u32 s0, s1, s7
	s_lshr_b32 s1, s19, 31
	s_add_i32 s1, s19, s1
	s_ashr_i32 s1, s1, 1
	s_add_i32 s1, s1, 3
	s_ashr_i32 s7, s1, 31
	s_lshr_b32 s7, s7, 30
	s_add_i32 s1, s1, s7
	s_and_b32 s10, s1, -4
	s_and_b32 s9, s0, 0xffff
	v_mov_b32_e32 v3, 0
	buffer_store_dword v3, v2, s[8:11], 0 offen
	;;#ASMSTART
	s_nop 0
	;;#ASMEND
.LBB216_28:
	s_or_b64 exec, exec, s[2:3]
	s_cmp_lt_i32 s20, 1
	s_cbranch_scc1 .LBB216_15
.LBB216_29:
	s_load_dword s0, s[4:5], 0x94
	s_waitcnt lgkmcnt(0)
	s_cmp_lg_u32 s0, 1
	s_cbranch_scc1 .LBB216_15
; %bb.30:
	s_lshl_b32 s0, s20, 1
	s_add_i32 s0, s0, 2
	v_cmp_gt_u32_e32 vcc, s20, v1
	s_and_b32 s26, s0, -4
	v_mov_b32_e32 v4, 0
	s_waitcnt vmcnt(0)
	v_lshlrev_b32_e32 v12, 4, v0
	v_mov_b32_e32 v5, 0
	v_mov_b32_e32 v6, 0
	;; [unrolled: 1-line block ×7, first 2 shown]
	s_barrier
	s_and_saveexec_b64 s[0:1], vcc
	s_cbranch_execz .LBB216_32
; %bb.31:
	s_mul_hi_i32 s3, s22, s6
	s_mul_i32 s2, s22, s6
	s_and_b32 s25, s25, 0xffff
	s_lshl_b64 s[2:3], s[2:3], 1
	s_add_u32 s8, s34, s2
	s_mov_b32 s27, 0x20000
	s_addc_u32 s2, s35, s3
	s_and_b32 s9, s2, 0xffff
	s_mov_b32 s10, s26
	s_mov_b32 s11, s27
	buffer_load_dwordx4 v[4:7], v12, s[8:11], 0 offen glc slc
	buffer_load_dwordx4 v[0:3], v12, s[24:27], 0 offen
.LBB216_32:
	s_or_b64 exec, exec, s[0:1]
	s_waitcnt vmcnt(1)
	v_cvt_f32_u32_sdwa v11, v4 dst_sel:DWORD dst_unused:UNUSED_PAD src0_sel:WORD_1
	v_cvt_f32_u32_sdwa v10, v4 dst_sel:DWORD dst_unused:UNUSED_PAD src0_sel:WORD_0
	v_cvt_f32_u32_sdwa v4, v7 dst_sel:DWORD dst_unused:UNUSED_PAD src0_sel:WORD_1
	v_cvt_f32_u32_sdwa v7, v7 dst_sel:DWORD dst_unused:UNUSED_PAD src0_sel:WORD_0
	;; [unrolled: 2-line block ×4, first 2 shown]
	v_cndmask_b32_e32 v11, 0, v11, vcc
	v_cndmask_b32_e32 v5, 0, v4, vcc
	;; [unrolled: 1-line block ×5, first 2 shown]
	v_mul_f32_e32 v13, v11, v11
	v_cndmask_b32_e32 v8, 0, v8, vcc
	v_fmac_f32_e32 v13, v10, v10
	v_cndmask_b32_e32 v9, 0, v9, vcc
	v_fmac_f32_e32 v13, v8, v8
	;; [unrolled: 2-line block ×3, first 2 shown]
	v_fmac_f32_e32 v13, v6, v6
	v_fmac_f32_e32 v13, v7, v7
	;; [unrolled: 1-line block ×4, first 2 shown]
	s_nop 1
	v_mov_b32_dpp v15, v13 quad_perm:[1,0,3,2] row_mask:0xf bank_mask:0xf
	v_add_f32_e32 v13, v13, v15
	s_nop 1
	v_mov_b32_dpp v15, v13 quad_perm:[2,3,0,1] row_mask:0xf bank_mask:0xf
	v_add_f32_e32 v13, v13, v15
	s_nop 1
	v_mov_b32_dpp v15, v13 row_half_mirror row_mask:0xf bank_mask:0xf
	v_add_f32_e32 v13, v13, v15
	s_nop 1
	v_mov_b32_dpp v15, v13 row_mirror row_mask:0xf bank_mask:0xf
	v_add_f32_e32 v13, v13, v15
	s_nop 1
	v_mov_b32_dpp v15, v13 row_bcast:15 row_mask:0xf bank_mask:0xf
	v_add_f32_e32 v13, v13, v15
	s_nop 1
	v_mov_b32_dpp v15, v13 row_bcast:31 row_mask:0xf bank_mask:0xf
	v_add_f32_e32 v13, v13, v15
	ds_bpermute_b32 v13, v14, v13
	s_and_saveexec_b64 s[0:1], vcc
	s_cbranch_execz .LBB216_15
; %bb.33:
	v_cvt_f32_u32_e32 v14, s20
	s_mov_b32 s27, 0x20000
	s_waitcnt lgkmcnt(0)
	v_div_scale_f32 v15, s[0:1], v14, v14, v13
	v_rcp_f32_e32 v16, v15
	v_div_scale_f32 v17, vcc, v13, v14, v13
	s_mov_b32 s0, 0x800000
	v_fma_f32 v18, -v15, v16, 1.0
	v_fmac_f32_e32 v16, v18, v16
	v_mul_f32_e32 v18, v17, v16
	v_fma_f32 v19, -v15, v18, v17
	v_fmac_f32_e32 v18, v19, v16
	v_fma_f32 v15, -v15, v18, v17
	v_div_fmas_f32 v15, v15, v16, v18
	v_div_fixup_f32 v13, v15, v14, v13
	v_add_f32_e32 v13, s17, v13
	v_mul_f32_e32 v14, 0x4b800000, v13
	v_cmp_gt_f32_e32 vcc, s0, v13
	v_cndmask_b32_e32 v13, v13, v14, vcc
	v_rsq_f32_e32 v13, v13
	s_mul_hi_i32 s1, s12, s6
	s_mul_i32 s0, s12, s6
	s_lshl_b64 s[0:1], s[0:1], 1
	v_mul_f32_e32 v14, 0x45800000, v13
	v_cndmask_b32_e32 v14, v13, v14, vcc
	s_add_u32 s24, s14, s0
	v_mov_b32_e32 v15, v14
	s_addc_u32 s0, s15, s1
	;;#ASMSTART
	v_pk_mul_f32 v[10:11], v[10:11], v[14:15]
	;;#ASMEND
	;;#ASMSTART
	v_pk_mul_f32 v[8:9], v[8:9], v[14:15]
	;;#ASMEND
	;;#ASMSTART
	v_pk_mul_f32 v[6:7], v[6:7], v[14:15]
	;;#ASMEND
	;;#ASMSTART
	v_pk_mul_f32 v[4:5], v[4:5], v[14:15]
	;;#ASMEND
	s_waitcnt vmcnt(0)
	v_cvt_f32_u32_sdwa v15, v0 dst_sel:DWORD dst_unused:UNUSED_PAD src0_sel:WORD_1
	v_cvt_f32_u32_sdwa v14, v0 dst_sel:DWORD dst_unused:UNUSED_PAD src0_sel:WORD_0
	v_cvt_f32_u32_sdwa v17, v1 dst_sel:DWORD dst_unused:UNUSED_PAD src0_sel:WORD_1
	v_cvt_f32_u32_sdwa v16, v1 dst_sel:DWORD dst_unused:UNUSED_PAD src0_sel:WORD_0
	;; [unrolled: 2-line block ×4, first 2 shown]
	;;#ASMSTART
	v_pk_mul_f32 v[2:3], v[10:11], v[14:15]
	;;#ASMEND
	s_and_b32 s25, s0, 0xffff
	s_mov_b32 s0, 0x7060302
	;;#ASMSTART
	v_pk_mul_f32 v[8:9], v[8:9], v[16:17]
	;;#ASMEND
	;;#ASMSTART
	v_pk_mul_f32 v[6:7], v[6:7], v[0:1]
	;;#ASMEND
	;; [unrolled: 3-line block ×3, first 2 shown]
	v_perm_b32 v0, v3, v2, s0
	v_perm_b32 v1, v9, v8, s0
	;; [unrolled: 1-line block ×4, first 2 shown]
	buffer_store_dwordx4 v[0:3], v12, s[24:27], 0 offen
	;;#ASMSTART
	s_nop 0
	;;#ASMEND
	s_endpgm
	.section	.rodata,"a",@progbits
	.p2align	6, 0x0
	.amdhsa_kernel _ZN5aiter35fused_qk_rmsnorm_group_quant_kernelItN4opus5fp4_tELi64ELi8ELi4ELb1ELb1ELb0ELb0ELb0ELb0EEEvPT0_PvPT_S7_S7_PKS6_S9_S9_S9_S9_ffiiiiiiiiiiiii
		.amdhsa_group_segment_fixed_size 0
		.amdhsa_private_segment_fixed_size 0
		.amdhsa_kernarg_size 400
		.amdhsa_user_sgpr_count 6
		.amdhsa_user_sgpr_private_segment_buffer 1
		.amdhsa_user_sgpr_dispatch_ptr 0
		.amdhsa_user_sgpr_queue_ptr 0
		.amdhsa_user_sgpr_kernarg_segment_ptr 1
		.amdhsa_user_sgpr_dispatch_id 0
		.amdhsa_user_sgpr_flat_scratch_init 0
		.amdhsa_user_sgpr_kernarg_preload_length 0
		.amdhsa_user_sgpr_kernarg_preload_offset 0
		.amdhsa_user_sgpr_private_segment_size 0
		.amdhsa_uses_dynamic_stack 0
		.amdhsa_system_sgpr_private_segment_wavefront_offset 0
		.amdhsa_system_sgpr_workgroup_id_x 1
		.amdhsa_system_sgpr_workgroup_id_y 1
		.amdhsa_system_sgpr_workgroup_id_z 0
		.amdhsa_system_sgpr_workgroup_info 0
		.amdhsa_system_vgpr_workitem_id 0
		.amdhsa_next_free_vgpr 27
		.amdhsa_next_free_sgpr 44
		.amdhsa_accum_offset 28
		.amdhsa_reserve_vcc 1
		.amdhsa_reserve_flat_scratch 0
		.amdhsa_float_round_mode_32 0
		.amdhsa_float_round_mode_16_64 0
		.amdhsa_float_denorm_mode_32 3
		.amdhsa_float_denorm_mode_16_64 3
		.amdhsa_dx10_clamp 1
		.amdhsa_ieee_mode 1
		.amdhsa_fp16_overflow 0
		.amdhsa_tg_split 0
		.amdhsa_exception_fp_ieee_invalid_op 0
		.amdhsa_exception_fp_denorm_src 0
		.amdhsa_exception_fp_ieee_div_zero 0
		.amdhsa_exception_fp_ieee_overflow 0
		.amdhsa_exception_fp_ieee_underflow 0
		.amdhsa_exception_fp_ieee_inexact 0
		.amdhsa_exception_int_div_zero 0
	.end_amdhsa_kernel
	.section	.text._ZN5aiter35fused_qk_rmsnorm_group_quant_kernelItN4opus5fp4_tELi64ELi8ELi4ELb1ELb1ELb0ELb0ELb0ELb0EEEvPT0_PvPT_S7_S7_PKS6_S9_S9_S9_S9_ffiiiiiiiiiiiii,"axG",@progbits,_ZN5aiter35fused_qk_rmsnorm_group_quant_kernelItN4opus5fp4_tELi64ELi8ELi4ELb1ELb1ELb0ELb0ELb0ELb0EEEvPT0_PvPT_S7_S7_PKS6_S9_S9_S9_S9_ffiiiiiiiiiiiii,comdat
.Lfunc_end216:
	.size	_ZN5aiter35fused_qk_rmsnorm_group_quant_kernelItN4opus5fp4_tELi64ELi8ELi4ELb1ELb1ELb0ELb0ELb0ELb0EEEvPT0_PvPT_S7_S7_PKS6_S9_S9_S9_S9_ffiiiiiiiiiiiii, .Lfunc_end216-_ZN5aiter35fused_qk_rmsnorm_group_quant_kernelItN4opus5fp4_tELi64ELi8ELi4ELb1ELb1ELb0ELb0ELb0ELb0EEEvPT0_PvPT_S7_S7_PKS6_S9_S9_S9_S9_ffiiiiiiiiiiiii
                                        ; -- End function
	.section	.AMDGPU.csdata,"",@progbits
; Kernel info:
; codeLenInByte = 2736
; NumSgprs: 48
; NumVgprs: 27
; NumAgprs: 0
; TotalNumVgprs: 27
; ScratchSize: 0
; MemoryBound: 0
; FloatMode: 240
; IeeeMode: 1
; LDSByteSize: 0 bytes/workgroup (compile time only)
; SGPRBlocks: 5
; VGPRBlocks: 3
; NumSGPRsForWavesPerEU: 48
; NumVGPRsForWavesPerEU: 27
; AccumOffset: 28
; Occupancy: 8
; WaveLimiterHint : 0
; COMPUTE_PGM_RSRC2:SCRATCH_EN: 0
; COMPUTE_PGM_RSRC2:USER_SGPR: 6
; COMPUTE_PGM_RSRC2:TRAP_HANDLER: 0
; COMPUTE_PGM_RSRC2:TGID_X_EN: 1
; COMPUTE_PGM_RSRC2:TGID_Y_EN: 1
; COMPUTE_PGM_RSRC2:TGID_Z_EN: 0
; COMPUTE_PGM_RSRC2:TIDIG_COMP_CNT: 0
; COMPUTE_PGM_RSRC3_GFX90A:ACCUM_OFFSET: 6
; COMPUTE_PGM_RSRC3_GFX90A:TG_SPLIT: 0
	.section	.text._ZN5aiter35fused_qk_rmsnorm_group_quant_kernelIDF16_DB8_Li64ELi8ELi4ELb1ELb0ELb1ELb0ELb0ELb0EEEvPT0_PvPT_S6_S6_PKS5_S8_S8_S8_S8_ffiiiiiiiiiiiii,"axG",@progbits,_ZN5aiter35fused_qk_rmsnorm_group_quant_kernelIDF16_DB8_Li64ELi8ELi4ELb1ELb0ELb1ELb0ELb0ELb0EEEvPT0_PvPT_S6_S6_PKS5_S8_S8_S8_S8_ffiiiiiiiiiiiii,comdat
	.protected	_ZN5aiter35fused_qk_rmsnorm_group_quant_kernelIDF16_DB8_Li64ELi8ELi4ELb1ELb0ELb1ELb0ELb0ELb0EEEvPT0_PvPT_S6_S6_PKS5_S8_S8_S8_S8_ffiiiiiiiiiiiii ; -- Begin function _ZN5aiter35fused_qk_rmsnorm_group_quant_kernelIDF16_DB8_Li64ELi8ELi4ELb1ELb0ELb1ELb0ELb0ELb0EEEvPT0_PvPT_S6_S6_PKS5_S8_S8_S8_S8_ffiiiiiiiiiiiii
	.globl	_ZN5aiter35fused_qk_rmsnorm_group_quant_kernelIDF16_DB8_Li64ELi8ELi4ELb1ELb0ELb1ELb0ELb0ELb0EEEvPT0_PvPT_S6_S6_PKS5_S8_S8_S8_S8_ffiiiiiiiiiiiii
	.p2align	8
	.type	_ZN5aiter35fused_qk_rmsnorm_group_quant_kernelIDF16_DB8_Li64ELi8ELi4ELb1ELb0ELb1ELb0ELb0ELb0EEEvPT0_PvPT_S6_S6_PKS5_S8_S8_S8_S8_ffiiiiiiiiiiiii,@function
_ZN5aiter35fused_qk_rmsnorm_group_quant_kernelIDF16_DB8_Li64ELi8ELi4ELb1ELb0ELb1ELb0ELb0ELb0EEEvPT0_PvPT_S6_S6_PKS5_S8_S8_S8_S8_ffiiiiiiiiiiiii: ; @_ZN5aiter35fused_qk_rmsnorm_group_quant_kernelIDF16_DB8_Li64ELi8ELi4ELb1ELb0ELb1ELb0ELb0ELb0EEEvPT0_PvPT_S6_S6_PKS5_S8_S8_S8_S8_ffiiiiiiiiiiiii
; %bb.0:
	s_load_dwordx8 s[8:15], s[4:5], 0x50
	s_waitcnt lgkmcnt(0)
	s_cmp_ge_i32 s6, s10
	s_cbranch_scc1 .LBB217_15
; %bb.1:
	s_cmp_lg_u32 s7, 0
	s_cselect_b64 s[2:3], -1, 0
	s_cmp_eq_u32 s7, 0
	s_cselect_b64 s[24:25], -1, 0
	s_and_b64 s[0:1], s[24:25], exec
	s_load_dwordx2 s[16:17], s[4:5], 0x48
	s_load_dwordx2 s[30:31], s[4:5], 0x30
	s_load_dwordx4 s[20:23], s[4:5], 0x70
	s_cselect_b32 s7, s11, s12
	s_add_i32 s0, s7, 1
	s_lshr_b32 s1, s0, 31
	s_add_i32 s0, s0, s1
	s_lshl_b32 s0, s0, 1
	v_lshlrev_b32_e32 v1, 3, v0
	s_and_b32 s26, s0, -4
	v_cmp_gt_i32_e64 s[0:1], s7, v1
	v_mov_b32_e32 v20, 0
	v_mov_b32_e32 v21, 0
	v_mov_b32_e32 v22, 0
	v_mov_b32_e32 v23, 0
	v_mov_b32_e32 v24, 0
	v_mov_b32_e32 v25, 0
	v_mov_b32_e32 v26, 0
	v_mov_b32_e32 v27, 0
	s_and_saveexec_b64 s[18:19], s[0:1]
	s_cbranch_execz .LBB217_3
; %bb.2:
	s_load_dwordx2 s[28:29], s[4:5], 0x28
	s_load_dwordx2 s[34:35], s[4:5], 0x40
	s_and_b64 s[36:37], s[24:25], exec
	s_cselect_b32 s10, s13, s14
	s_mov_b32 s27, 0x20000
	s_waitcnt lgkmcnt(0)
	s_cselect_b32 s13, s29, s31
	s_cselect_b32 s23, s28, s30
	s_mul_hi_i32 s29, s10, s6
	s_mul_i32 s28, s10, s6
	s_lshl_b64 s[28:29], s[28:29], 1
	s_add_u32 s36, s23, s28
	s_addc_u32 s10, s13, s29
	s_and_b64 s[24:25], s[24:25], exec
	s_cselect_b32 s24, s34, s16
	s_cselect_b32 s13, s35, s17
	v_lshlrev_b32_e32 v2, 4, v0
	s_and_b32 s37, s10, 0xffff
	s_mov_b32 s38, s26
	s_mov_b32 s39, s27
	s_and_b32 s25, s13, 0xffff
	buffer_load_dwordx4 v[24:27], v2, s[36:39], 0 offen glc slc
	buffer_load_dwordx4 v[20:23], v2, s[24:27], 0 offen
.LBB217_3:
	s_or_b64 exec, exec, s[18:19]
	s_load_dwordx2 s[28:29], s[4:5], 0x80
	s_and_b64 vcc, exec, s[2:3]
	s_cbranch_vccz .LBB217_7
; %bb.4:
	v_mov_b32_e32 v29, 0
	v_mov_b32_e32 v28, 0
	;; [unrolled: 1-line block ×8, first 2 shown]
	s_and_saveexec_b64 s[18:19], s[0:1]
	s_cbranch_execz .LBB217_6
; %bb.5:
	s_waitcnt vmcnt(1)
	v_cvt_f32_f16_sdwa v11, v24 dst_sel:DWORD dst_unused:UNUSED_PAD src0_sel:WORD_1
	v_cvt_f32_f16_e32 v10, v24
	v_cvt_f32_f16_sdwa v15, v25 dst_sel:DWORD dst_unused:UNUSED_PAD src0_sel:WORD_1
	v_cvt_f32_f16_e32 v14, v25
	;; [unrolled: 2-line block ×4, first 2 shown]
.LBB217_6:
	s_or_b64 exec, exec, s[18:19]
	s_mov_b32 s10, s9
	s_cbranch_execz .LBB217_8
	s_branch .LBB217_11
.LBB217_7:
                                        ; implicit-def: $vgpr10_vgpr11_vgpr12_vgpr13_vgpr14_vgpr15_vgpr16_vgpr17
                                        ; implicit-def: $vgpr29
                                        ; implicit-def: $vgpr12_vgpr13_vgpr14_vgpr15_vgpr16_vgpr17_vgpr18_vgpr19
                                        ; implicit-def: $vgpr2_vgpr3_vgpr4_vgpr5_vgpr6_vgpr7_vgpr8_vgpr9
	s_mov_b32 s10, s9
.LBB217_8:
	v_mov_b32_e32 v29, 0
	v_mov_b32_e32 v28, 0
	;; [unrolled: 1-line block ×8, first 2 shown]
	s_and_saveexec_b64 s[18:19], s[0:1]
	s_cbranch_execz .LBB217_10
; %bb.9:
	s_load_dwordx2 s[24:25], s[4:5], 0x38
	s_mul_hi_i32 s35, s15, s6
	s_mul_i32 s34, s15, s6
	s_lshl_b64 s[34:35], s[34:35], 1
	s_mov_b32 s27, 0x20000
	s_waitcnt lgkmcnt(0)
	s_add_u32 s24, s24, s34
	s_addc_u32 s10, s25, s35
	s_and_b32 s25, s10, 0xffff
	v_lshlrev_b32_e32 v30, 4, v0
	buffer_load_dwordx4 v[2:5], v30, s[24:27], 0 offen glc slc
	s_waitcnt vmcnt(2)
	v_cvt_f32_f16_sdwa v7, v24 dst_sel:DWORD dst_unused:UNUSED_PAD src0_sel:WORD_1
	v_cvt_f32_f16_e32 v6, v24
	v_cvt_f32_f16_sdwa v9, v25 dst_sel:DWORD dst_unused:UNUSED_PAD src0_sel:WORD_1
	v_cvt_f32_f16_e32 v8, v25
	;; [unrolled: 2-line block ×4, first 2 shown]
	s_load_dwordx2 s[24:25], s[4:5], 0x20
	s_mul_hi_i32 s35, s29, s6
	s_mul_i32 s34, s29, s6
	s_lshl_b64 s[34:35], s[34:35], 1
	s_waitcnt lgkmcnt(0)
	s_add_u32 s24, s24, s34
	s_addc_u32 s10, s25, s35
	s_and_b32 s25, s10, 0xffff
	s_waitcnt vmcnt(0)
	v_cvt_f32_f16_e32 v10, v2
	v_cvt_f32_f16_sdwa v11, v2 dst_sel:DWORD dst_unused:UNUSED_PAD src0_sel:WORD_1
	v_cvt_f32_f16_e32 v2, v3
	v_cvt_f32_f16_sdwa v3, v3 dst_sel:DWORD dst_unused:UNUSED_PAD src0_sel:WORD_1
	;; [unrolled: 2-line block ×4, first 2 shown]
	v_pk_add_f32 v[10:11], v[6:7], v[10:11]
	v_pk_add_f32 v[14:15], v[8:9], v[2:3]
	;; [unrolled: 1-line block ×4, first 2 shown]
	v_cvt_f16_f32_e32 v2, v11
	v_cvt_f16_f32_e32 v3, v15
	;; [unrolled: 1-line block ×8, first 2 shown]
	v_pack_b32_f16 v5, v8, v5
	v_pack_b32_f16 v4, v9, v4
	;; [unrolled: 1-line block ×4, first 2 shown]
	buffer_store_dwordx4 v[2:5], v30, s[24:27], 0 offen glc slc
	;;#ASMSTART
	s_nop 0
	;;#ASMEND
.LBB217_10:
	s_or_b64 exec, exec, s[18:19]
	s_mov_b32 s10, s8
.LBB217_11:
	v_mul_f32_e32 v2, v11, v11
	v_fmac_f32_e32 v2, v10, v10
	v_fmac_f32_e32 v2, v14, v14
	;; [unrolled: 1-line block ×7, first 2 shown]
	v_bfrev_b32_e32 v4, 0.5
	s_load_dwordx2 s[34:35], s[4:5], 0x18
	v_mov_b32_dpp v3, v2 quad_perm:[1,0,3,2] row_mask:0xf bank_mask:0xf
	v_add_f32_e32 v2, v2, v3
	s_nop 1
	v_mov_b32_dpp v3, v2 quad_perm:[2,3,0,1] row_mask:0xf bank_mask:0xf
	v_add_f32_e32 v2, v2, v3
	s_nop 1
	v_mov_b32_dpp v3, v2 row_half_mirror row_mask:0xf bank_mask:0xf
	v_add_f32_e32 v2, v2, v3
	s_nop 1
	v_mov_b32_dpp v3, v2 row_mirror row_mask:0xf bank_mask:0xf
	v_add_f32_e32 v2, v2, v3
	s_nop 1
	v_mov_b32_dpp v3, v2 row_bcast:15 row_mask:0xf bank_mask:0xf
	v_add_f32_e32 v2, v2, v3
	s_nop 1
	v_mov_b32_dpp v3, v2 row_bcast:31 row_mask:0xf bank_mask:0xf
	v_add_f32_e32 v2, v2, v3
	v_mbcnt_lo_u32_b32 v3, -1, 0
	v_mbcnt_hi_u32_b32 v3, -1, v3
	v_lshl_or_b32 v16, v3, 2, v4
	ds_bpermute_b32 v2, v16, v2
	s_and_saveexec_b64 s[18:19], s[0:1]
	s_cbranch_execnz .LBB217_16
; %bb.12:
	s_or_b64 exec, exec, s[18:19]
	s_mov_b64 s[18:19], -1
	s_and_b64 vcc, exec, s[2:3]
	s_cbranch_vccnz .LBB217_17
.LBB217_13:
	s_andn2_b64 vcc, exec, s[18:19]
	s_cbranch_vccz .LBB217_20
.LBB217_14:
	s_cmp_lt_i32 s12, 1
	s_cbranch_scc0 .LBB217_27
.LBB217_15:
	s_endpgm
.LBB217_16:
	v_cvt_f32_u32_e32 v3, s7
	s_mov_b32 s7, 0x800000
	s_waitcnt vmcnt(0)
	v_cvt_f32_f16_sdwa v19, v23 dst_sel:DWORD dst_unused:UNUSED_PAD src0_sel:WORD_1
	v_cvt_f32_f16_e32 v18, v23
	s_waitcnt lgkmcnt(0)
	v_div_scale_f32 v4, s[24:25], v3, v3, v2
	v_rcp_f32_e32 v5, v4
	v_div_scale_f32 v8, vcc, v2, v3, v2
	v_fma_f32 v9, -v4, v5, 1.0
	v_fmac_f32_e32 v5, v9, v5
	v_mul_f32_e32 v9, v8, v5
	v_fma_f32 v12, -v4, v9, v8
	v_fmac_f32_e32 v9, v12, v5
	v_fma_f32 v4, -v4, v9, v8
	v_div_fmas_f32 v4, v4, v5, v9
	v_div_fixup_f32 v2, v4, v3, v2
	v_add_f32_e32 v2, s10, v2
	v_mul_f32_e32 v3, 0x4b800000, v2
	v_cmp_gt_f32_e32 vcc, s7, v2
	v_cndmask_b32_e32 v2, v2, v3, vcc
	v_rsq_f32_e32 v2, v2
	v_cvt_f32_f16_sdwa v3, v20 dst_sel:DWORD dst_unused:UNUSED_PAD src0_sel:WORD_1
	v_mul_f32_e32 v4, 0x45800000, v2
	v_cndmask_b32_e32 v4, v2, v4, vcc
	v_cvt_f32_f16_e32 v2, v20
	v_mov_b32_e32 v5, v4
	;;#ASMSTART
	v_pk_mul_f32 v[8:9], v[10:11], v[4:5]
	;;#ASMEND
	;;#ASMSTART
	v_pk_mul_f32 v[12:13], v[14:15], v[4:5]
	;;#ASMEND
	v_cvt_f32_f16_sdwa v15, v21 dst_sel:DWORD dst_unused:UNUSED_PAD src0_sel:WORD_1
	v_cvt_f32_f16_e32 v14, v21
	;;#ASMSTART
	v_pk_mul_f32 v[6:7], v[6:7], v[4:5]
	;;#ASMEND
	;;#ASMSTART
	v_pk_mul_f32 v[4:5], v[28:29], v[4:5]
	;;#ASMEND
	v_pk_add_f32 v[2:3], v[2:3], 1.0 op_sel_hi:[1,0]
	;;#ASMSTART
	v_pk_mul_f32 v[10:11], v[8:9], v[2:3]
	;;#ASMEND
	v_cvt_f32_f16_sdwa v9, v22 dst_sel:DWORD dst_unused:UNUSED_PAD src0_sel:WORD_1
	v_cvt_f32_f16_e32 v8, v22
	v_pk_add_f32 v[2:3], v[14:15], 1.0 op_sel_hi:[1,0]
	;;#ASMSTART
	v_pk_mul_f32 v[14:15], v[12:13], v[2:3]
	;;#ASMEND
	v_pk_add_f32 v[2:3], v[8:9], 1.0 op_sel_hi:[1,0]
	;;#ASMSTART
	v_pk_mul_f32 v[6:7], v[6:7], v[2:3]
	;;#ASMEND
	;; [unrolled: 4-line block ×3, first 2 shown]
	s_or_b64 exec, exec, s[18:19]
	s_mov_b64 s[18:19], -1
	s_and_b64 vcc, exec, s[2:3]
	s_cbranch_vccz .LBB217_13
.LBB217_17:
	s_and_saveexec_b64 s[2:3], s[0:1]
	s_cbranch_execz .LBB217_19
; %bb.18:
	s_waitcnt lgkmcnt(0)
	s_mul_hi_i32 s19, s28, s6
	s_mul_i32 s18, s28, s6
	v_cvt_f16_f32_e32 v2, v10
	v_cvt_f16_f32_e32 v3, v14
	;; [unrolled: 1-line block ×8, first 2 shown]
	s_lshl_b64 s[18:19], s[18:19], 1
	s_add_u32 s24, s34, s18
	s_addc_u32 s7, s35, s19
	s_and_b32 s25, s7, 0xffff
	s_mov_b32 s27, 0x20000
	v_pack_b32_f16 v5, v5, v8
	v_pack_b32_f16 v4, v4, v9
	;; [unrolled: 1-line block ×4, first 2 shown]
	v_lshlrev_b32_e32 v8, 4, v0
	buffer_store_dwordx4 v[2:5], v8, s[24:27], 0 offen
	;;#ASMSTART
	s_nop 0
	;;#ASMEND
.LBB217_19:
	s_or_b64 exec, exec, s[2:3]
	s_cbranch_execnz .LBB217_14
.LBB217_20:
	s_waitcnt lgkmcnt(0)
	v_mov_b32_e32 v2, 0
	s_and_saveexec_b64 s[2:3], s[0:1]
	s_cbranch_execz .LBB217_22
; %bb.21:
	v_and_b32_e32 v2, 0x7fffffff, v10
	v_and_b32_e32 v3, 0x7fffffff, v11
	v_mov_b32_e32 v4, 0x2edbe6ff
	;;#ASMSTART
	v_max3_f32 v2, v4, v2, v3

	;;#ASMEND
	v_and_b32_e32 v3, 0x7fffffff, v14
	v_and_b32_e32 v4, 0x7fffffff, v15
	;;#ASMSTART
	v_max3_f32 v2, v2, v3, v4

	;;#ASMEND
	v_and_b32_e32 v3, 0x7fffffff, v6
	v_and_b32_e32 v4, 0x7fffffff, v7
	;; [unrolled: 6-line block ×3, first 2 shown]
	;;#ASMSTART
	v_max3_f32 v2, v2, v3, v4

	;;#ASMEND
.LBB217_22:
	s_or_b64 exec, exec, s[2:3]
	;;#ASMSTART
	v_max_f32 v3, v2, v2 quad_perm:[1,0,3,2] row_mask:0xf bank_mask:0xf bound_ctrl:1
	;;#ASMEND
	;;#ASMSTART
	v_max_f32 v2, v3, v3 quad_perm:[2,3,0,1] row_mask:0xf bank_mask:0xf bound_ctrl:1
	;;#ASMEND
	v_and_b32_e32 v3, 3, v0
	v_cmp_eq_u32_e32 vcc, 0, v3
	v_cmp_gt_i32_e64 s[2:3], s11, v1
	v_mul_f32_e32 v2, 0x3b124925, v2
	s_and_b64 s[18:19], vcc, s[2:3]
	s_and_saveexec_b64 s[2:3], s[18:19]
	s_cbranch_execz .LBB217_24
; %bb.23:
	s_load_dwordx2 s[18:19], s[4:5], 0x8
	v_lshrrev_b32_e32 v3, 2, v0
	s_mul_hi_i32 s25, s21, s6
	s_mul_i32 s24, s21, s6
	v_mad_i64_i32 v[4:5], s[22:23], s22, v3, 0
	s_lshl_b64 s[22:23], s[24:25], 2
	s_waitcnt lgkmcnt(0)
	s_add_u32 s7, s18, s22
	s_addc_u32 s8, s19, s23
	v_lshlrev_b64 v[4:5], 2, v[4:5]
	v_mov_b32_e32 v3, s8
	v_add_co_u32_e32 v4, vcc, s7, v4
	v_addc_co_u32_e32 v5, vcc, v3, v5, vcc
	global_store_dword v[4:5], v2, off
.LBB217_24:
	s_or_b64 exec, exec, s[2:3]
	;;#ASMSTART
	v_rcp_f32 v2, v2
	;;#ASMEND
	s_and_saveexec_b64 s[18:19], s[0:1]
	s_cbranch_execz .LBB217_26
; %bb.25:
	v_mov_b32_e32 v3, v2
	;;#ASMSTART
	v_pk_mul_f32 v[4:5], v[10:11], v[2:3]
	;;#ASMEND
	s_load_dwordx2 s[0:1], s[4:5], 0x0
	v_mov_b32_e32 v8, 0xc3e00000
	v_mov_b32_e32 v9, 0x43e00000
	;;#ASMSTART
	v_med3_f32 v4, v4, v8, v9
v_med3_f32 v5, v5, v8, v9
v_cvt_pk_fp8_f32 v10, v4, v5
	;;#ASMEND
	;;#ASMSTART
	v_pk_mul_f32 v[4:5], v[14:15], v[2:3]
	;;#ASMEND
	;;#ASMSTART
	v_med3_f32 v4, v4, v8, v9
v_med3_f32 v5, v5, v8, v9
v_cvt_pk_fp8_f32 v11, v4, v5
	;;#ASMEND
	s_mov_b32 s8, 0x5040100
	v_perm_b32 v5, v11, v10, s8
	s_movk_i32 s8, 0xff
	s_mul_i32 s3, s20, s6
	v_and_b32_e32 v4, 0xffffff00, v11
	v_and_b32_sdwa v10, v5, s8 dst_sel:DWORD dst_unused:UNUSED_PAD src0_sel:WORD_1 src1_sel:DWORD
	s_mul_hi_i32 s2, s20, s6
	s_mov_b32 s7, 0xffff
	s_waitcnt lgkmcnt(0)
	s_add_u32 s0, s0, s3
	v_or_b32_sdwa v4, v10, v4 dst_sel:WORD_1 dst_unused:UNUSED_PAD src0_sel:DWORD src1_sel:DWORD
	s_addc_u32 s1, s1, s2
	s_add_i32 s2, s11, 3
	v_and_or_b32 v4, v5, s7, v4
	;;#ASMSTART
	v_pk_mul_f32 v[6:7], v[6:7], v[2:3]
	;;#ASMEND
	v_mov_b32_e32 v5, v7
	s_ashr_i32 s3, s2, 31
	;;#ASMSTART
	v_med3_f32 v6, v6, v8, v9
v_med3_f32 v5, v5, v8, v9
v_cvt_pk_fp8_f32 v7, v6, v5
	;;#ASMEND
	;;#ASMSTART
	v_pk_mul_f32 v[2:3], v[28:29], v[2:3]
	;;#ASMEND
	s_lshr_b32 s3, s3, 30
	;;#ASMSTART
	v_med3_f32 v2, v2, v8, v9
v_med3_f32 v3, v3, v8, v9
v_cvt_pk_fp8_f32 v5, v2, v3
	;;#ASMEND
	s_add_i32 s2, s2, s3
	v_lshlrev_b32_e32 v2, 16, v5
	s_and_b32 s2, s2, -4
	s_and_b32 s1, s1, 0xffff
	s_mov_b32 s3, 0x20000
	v_and_or_b32 v5, v7, s7, v2
	buffer_store_dwordx2 v[4:5], v1, s[0:3], 0 offen
	;;#ASMSTART
	s_nop 0
	;;#ASMEND
.LBB217_26:
	s_or_b64 exec, exec, s[18:19]
	s_cmp_lt_i32 s12, 1
	s_cbranch_scc1 .LBB217_15
.LBB217_27:
	s_load_dword s0, s[4:5], 0x94
	s_waitcnt lgkmcnt(0)
	s_cmp_lg_u32 s0, 1
	s_cbranch_scc1 .LBB217_15
; %bb.28:
	s_lshl_b32 s0, s12, 1
	s_add_i32 s0, s0, 2
	v_cmp_gt_u32_e32 vcc, s12, v1
	s_and_b32 s18, s0, -4
	v_mov_b32_e32 v8, 0
	v_lshlrev_b32_e32 v17, 4, v0
	v_mov_b32_e32 v4, 0
	v_mov_b32_e32 v5, 0
	;; [unrolled: 1-line block ×8, first 2 shown]
	s_barrier
	s_and_saveexec_b64 s[0:1], vcc
	s_cbranch_execz .LBB217_30
; %bb.29:
	s_mul_hi_i32 s3, s14, s6
	s_mul_i32 s2, s14, s6
	s_and_b32 s17, s17, 0xffff
	s_lshl_b64 s[2:3], s[2:3], 1
	s_add_u32 s20, s30, s2
	s_mov_b32 s19, 0x20000
	s_addc_u32 s2, s31, s3
	s_and_b32 s21, s2, 0xffff
	s_mov_b32 s22, s18
	s_mov_b32 s23, s19
	buffer_load_dwordx4 v[4:7], v17, s[20:23], 0 offen glc slc
	buffer_load_dwordx4 v[0:3], v17, s[16:19], 0 offen
.LBB217_30:
	s_or_b64 exec, exec, s[0:1]
	v_mov_b32_e32 v9, 0
	v_mov_b32_e32 v12, 0
	;; [unrolled: 1-line block ×7, first 2 shown]
	s_and_saveexec_b64 s[0:1], vcc
	s_cbranch_execz .LBB217_32
; %bb.31:
	s_waitcnt vmcnt(1)
	v_cvt_f32_f16_sdwa v9, v4 dst_sel:DWORD dst_unused:UNUSED_PAD src0_sel:WORD_1
	v_cvt_f32_f16_e32 v8, v4
	v_cvt_f32_f16_sdwa v13, v5 dst_sel:DWORD dst_unused:UNUSED_PAD src0_sel:WORD_1
	v_cvt_f32_f16_e32 v12, v5
	;; [unrolled: 2-line block ×4, first 2 shown]
.LBB217_32:
	s_or_b64 exec, exec, s[0:1]
	s_waitcnt vmcnt(1)
	v_mul_f32_e32 v4, v9, v9
	v_fmac_f32_e32 v4, v8, v8
	v_fmac_f32_e32 v4, v12, v12
	;; [unrolled: 1-line block ×7, first 2 shown]
	s_nop 1
	v_mov_b32_dpp v5, v4 quad_perm:[1,0,3,2] row_mask:0xf bank_mask:0xf
	v_add_f32_e32 v4, v4, v5
	s_nop 1
	v_mov_b32_dpp v5, v4 quad_perm:[2,3,0,1] row_mask:0xf bank_mask:0xf
	v_add_f32_e32 v4, v4, v5
	s_nop 1
	v_mov_b32_dpp v5, v4 row_half_mirror row_mask:0xf bank_mask:0xf
	v_add_f32_e32 v4, v4, v5
	s_nop 1
	v_mov_b32_dpp v5, v4 row_mirror row_mask:0xf bank_mask:0xf
	v_add_f32_e32 v4, v4, v5
	s_nop 1
	v_mov_b32_dpp v5, v4 row_bcast:15 row_mask:0xf bank_mask:0xf
	v_add_f32_e32 v4, v4, v5
	s_nop 1
	v_mov_b32_dpp v5, v4 row_bcast:31 row_mask:0xf bank_mask:0xf
	v_add_f32_e32 v4, v4, v5
	ds_bpermute_b32 v4, v16, v4
	s_and_saveexec_b64 s[0:1], vcc
	s_cbranch_execz .LBB217_15
; %bb.33:
	v_cvt_f32_u32_e32 v5, s12
	s_mov_b32 s19, 0x20000
	s_waitcnt lgkmcnt(0)
	v_div_scale_f32 v6, s[0:1], v5, v5, v4
	v_rcp_f32_e32 v7, v6
	v_div_scale_f32 v16, vcc, v4, v5, v4
	s_mov_b32 s0, 0x800000
	v_fma_f32 v18, -v6, v7, 1.0
	v_fmac_f32_e32 v7, v18, v7
	v_mul_f32_e32 v18, v16, v7
	v_fma_f32 v19, -v6, v18, v16
	v_fmac_f32_e32 v18, v19, v7
	v_fma_f32 v6, -v6, v18, v16
	v_div_fmas_f32 v6, v6, v7, v18
	v_div_fixup_f32 v4, v6, v5, v4
	v_add_f32_e32 v4, s9, v4
	v_mul_f32_e32 v5, 0x4b800000, v4
	v_cmp_gt_f32_e32 vcc, s0, v4
	v_cndmask_b32_e32 v4, v4, v5, vcc
	v_rsq_f32_e32 v4, v4
	s_waitcnt vmcnt(0)
	v_cvt_f32_f16_sdwa v5, v0 dst_sel:DWORD dst_unused:UNUSED_PAD src0_sel:WORD_1
	v_cvt_f32_f16_sdwa v19, v1 dst_sel:DWORD dst_unused:UNUSED_PAD src0_sel:WORD_1
	v_cvt_f32_f16_e32 v18, v1
	v_mul_f32_e32 v6, 0x45800000, v4
	v_cndmask_b32_e32 v6, v4, v6, vcc
	v_cvt_f32_f16_e32 v4, v0
	v_mov_b32_e32 v7, v6
	;;#ASMSTART
	v_pk_mul_f32 v[8:9], v[8:9], v[6:7]
	;;#ASMEND
	;;#ASMSTART
	v_pk_mul_f32 v[12:13], v[12:13], v[6:7]
	;;#ASMEND
	v_pk_add_f32 v[4:5], v[4:5], 1.0 op_sel_hi:[1,0]
	;;#ASMSTART
	v_pk_mul_f32 v[14:15], v[14:15], v[6:7]
	;;#ASMEND
	;;#ASMSTART
	v_pk_mul_f32 v[0:1], v[10:11], v[6:7]
	;;#ASMEND
	;; [unrolled: 3-line block ×3, first 2 shown]
	v_cvt_f32_f16_sdwa v9, v2 dst_sel:DWORD dst_unused:UNUSED_PAD src0_sel:WORD_1
	v_cvt_f32_f16_e32 v8, v2
	v_cvt_f32_f16_sdwa v11, v3 dst_sel:DWORD dst_unused:UNUSED_PAD src0_sel:WORD_1
	v_cvt_f32_f16_e32 v10, v3
	v_pk_add_f32 v[6:7], v[18:19], 1.0 op_sel_hi:[1,0]
	;;#ASMSTART
	v_pk_mul_f32 v[2:3], v[12:13], v[6:7]
	;;#ASMEND
	v_pk_add_f32 v[6:7], v[8:9], 1.0 op_sel_hi:[1,0]
	;;#ASMSTART
	v_pk_mul_f32 v[6:7], v[14:15], v[6:7]
	;;#ASMEND
	;; [unrolled: 4-line block ×3, first 2 shown]
	s_mul_hi_i32 s1, s28, s6
	s_mul_i32 s0, s28, s6
	v_cvt_f16_f32_e32 v4, v4
	v_cvt_f16_f32_e32 v5, v5
	v_cvt_f16_f32_e32 v2, v2
	v_cvt_f16_f32_e32 v3, v3
	v_cvt_f16_f32_e32 v6, v6
	v_cvt_f16_f32_e32 v7, v7
	v_cvt_f16_f32_e32 v8, v0
	v_cvt_f16_f32_e32 v9, v1
	s_lshl_b64 s[0:1], s[0:1], 1
	s_add_u32 s16, s34, s0
	s_addc_u32 s0, s35, s1
	s_and_b32 s17, s0, 0xffff
	v_pack_b32_f16 v0, v4, v5
	v_pack_b32_f16 v1, v2, v3
	;; [unrolled: 1-line block ×4, first 2 shown]
	buffer_store_dwordx4 v[0:3], v17, s[16:19], 0 offen
	;;#ASMSTART
	s_nop 0
	;;#ASMEND
	s_endpgm
	.section	.rodata,"a",@progbits
	.p2align	6, 0x0
	.amdhsa_kernel _ZN5aiter35fused_qk_rmsnorm_group_quant_kernelIDF16_DB8_Li64ELi8ELi4ELb1ELb0ELb1ELb0ELb0ELb0EEEvPT0_PvPT_S6_S6_PKS5_S8_S8_S8_S8_ffiiiiiiiiiiiii
		.amdhsa_group_segment_fixed_size 0
		.amdhsa_private_segment_fixed_size 0
		.amdhsa_kernarg_size 400
		.amdhsa_user_sgpr_count 6
		.amdhsa_user_sgpr_private_segment_buffer 1
		.amdhsa_user_sgpr_dispatch_ptr 0
		.amdhsa_user_sgpr_queue_ptr 0
		.amdhsa_user_sgpr_kernarg_segment_ptr 1
		.amdhsa_user_sgpr_dispatch_id 0
		.amdhsa_user_sgpr_flat_scratch_init 0
		.amdhsa_user_sgpr_kernarg_preload_length 0
		.amdhsa_user_sgpr_kernarg_preload_offset 0
		.amdhsa_user_sgpr_private_segment_size 0
		.amdhsa_uses_dynamic_stack 0
		.amdhsa_system_sgpr_private_segment_wavefront_offset 0
		.amdhsa_system_sgpr_workgroup_id_x 1
		.amdhsa_system_sgpr_workgroup_id_y 1
		.amdhsa_system_sgpr_workgroup_id_z 0
		.amdhsa_system_sgpr_workgroup_info 0
		.amdhsa_system_vgpr_workitem_id 0
		.amdhsa_next_free_vgpr 31
		.amdhsa_next_free_sgpr 40
		.amdhsa_accum_offset 32
		.amdhsa_reserve_vcc 1
		.amdhsa_reserve_flat_scratch 0
		.amdhsa_float_round_mode_32 0
		.amdhsa_float_round_mode_16_64 0
		.amdhsa_float_denorm_mode_32 3
		.amdhsa_float_denorm_mode_16_64 3
		.amdhsa_dx10_clamp 1
		.amdhsa_ieee_mode 1
		.amdhsa_fp16_overflow 0
		.amdhsa_tg_split 0
		.amdhsa_exception_fp_ieee_invalid_op 0
		.amdhsa_exception_fp_denorm_src 0
		.amdhsa_exception_fp_ieee_div_zero 0
		.amdhsa_exception_fp_ieee_overflow 0
		.amdhsa_exception_fp_ieee_underflow 0
		.amdhsa_exception_fp_ieee_inexact 0
		.amdhsa_exception_int_div_zero 0
	.end_amdhsa_kernel
	.section	.text._ZN5aiter35fused_qk_rmsnorm_group_quant_kernelIDF16_DB8_Li64ELi8ELi4ELb1ELb0ELb1ELb0ELb0ELb0EEEvPT0_PvPT_S6_S6_PKS5_S8_S8_S8_S8_ffiiiiiiiiiiiii,"axG",@progbits,_ZN5aiter35fused_qk_rmsnorm_group_quant_kernelIDF16_DB8_Li64ELi8ELi4ELb1ELb0ELb1ELb0ELb0ELb0EEEvPT0_PvPT_S6_S6_PKS5_S8_S8_S8_S8_ffiiiiiiiiiiiii,comdat
.Lfunc_end217:
	.size	_ZN5aiter35fused_qk_rmsnorm_group_quant_kernelIDF16_DB8_Li64ELi8ELi4ELb1ELb0ELb1ELb0ELb0ELb0EEEvPT0_PvPT_S6_S6_PKS5_S8_S8_S8_S8_ffiiiiiiiiiiiii, .Lfunc_end217-_ZN5aiter35fused_qk_rmsnorm_group_quant_kernelIDF16_DB8_Li64ELi8ELi4ELb1ELb0ELb1ELb0ELb0ELb0EEEvPT0_PvPT_S6_S6_PKS5_S8_S8_S8_S8_ffiiiiiiiiiiiii
                                        ; -- End function
	.section	.AMDGPU.csdata,"",@progbits
; Kernel info:
; codeLenInByte = 2780
; NumSgprs: 44
; NumVgprs: 31
; NumAgprs: 0
; TotalNumVgprs: 31
; ScratchSize: 0
; MemoryBound: 0
; FloatMode: 240
; IeeeMode: 1
; LDSByteSize: 0 bytes/workgroup (compile time only)
; SGPRBlocks: 5
; VGPRBlocks: 3
; NumSGPRsForWavesPerEU: 44
; NumVGPRsForWavesPerEU: 31
; AccumOffset: 32
; Occupancy: 8
; WaveLimiterHint : 0
; COMPUTE_PGM_RSRC2:SCRATCH_EN: 0
; COMPUTE_PGM_RSRC2:USER_SGPR: 6
; COMPUTE_PGM_RSRC2:TRAP_HANDLER: 0
; COMPUTE_PGM_RSRC2:TGID_X_EN: 1
; COMPUTE_PGM_RSRC2:TGID_Y_EN: 1
; COMPUTE_PGM_RSRC2:TGID_Z_EN: 0
; COMPUTE_PGM_RSRC2:TIDIG_COMP_CNT: 0
; COMPUTE_PGM_RSRC3_GFX90A:ACCUM_OFFSET: 7
; COMPUTE_PGM_RSRC3_GFX90A:TG_SPLIT: 0
	.section	.text._ZN5aiter35fused_qk_rmsnorm_group_quant_kernelItDB8_Li64ELi8ELi4ELb1ELb0ELb1ELb0ELb0ELb0EEEvPT0_PvPT_S6_S6_PKS5_S8_S8_S8_S8_ffiiiiiiiiiiiii,"axG",@progbits,_ZN5aiter35fused_qk_rmsnorm_group_quant_kernelItDB8_Li64ELi8ELi4ELb1ELb0ELb1ELb0ELb0ELb0EEEvPT0_PvPT_S6_S6_PKS5_S8_S8_S8_S8_ffiiiiiiiiiiiii,comdat
	.protected	_ZN5aiter35fused_qk_rmsnorm_group_quant_kernelItDB8_Li64ELi8ELi4ELb1ELb0ELb1ELb0ELb0ELb0EEEvPT0_PvPT_S6_S6_PKS5_S8_S8_S8_S8_ffiiiiiiiiiiiii ; -- Begin function _ZN5aiter35fused_qk_rmsnorm_group_quant_kernelItDB8_Li64ELi8ELi4ELb1ELb0ELb1ELb0ELb0ELb0EEEvPT0_PvPT_S6_S6_PKS5_S8_S8_S8_S8_ffiiiiiiiiiiiii
	.globl	_ZN5aiter35fused_qk_rmsnorm_group_quant_kernelItDB8_Li64ELi8ELi4ELb1ELb0ELb1ELb0ELb0ELb0EEEvPT0_PvPT_S6_S6_PKS5_S8_S8_S8_S8_ffiiiiiiiiiiiii
	.p2align	8
	.type	_ZN5aiter35fused_qk_rmsnorm_group_quant_kernelItDB8_Li64ELi8ELi4ELb1ELb0ELb1ELb0ELb0ELb0EEEvPT0_PvPT_S6_S6_PKS5_S8_S8_S8_S8_ffiiiiiiiiiiiii,@function
_ZN5aiter35fused_qk_rmsnorm_group_quant_kernelItDB8_Li64ELi8ELi4ELb1ELb0ELb1ELb0ELb0ELb0EEEvPT0_PvPT_S6_S6_PKS5_S8_S8_S8_S8_ffiiiiiiiiiiiii: ; @_ZN5aiter35fused_qk_rmsnorm_group_quant_kernelItDB8_Li64ELi8ELi4ELb1ELb0ELb1ELb0ELb0ELb0EEEvPT0_PvPT_S6_S6_PKS5_S8_S8_S8_S8_ffiiiiiiiiiiiii
; %bb.0:
	s_load_dwordx8 s[8:15], s[4:5], 0x50
	s_waitcnt lgkmcnt(0)
	s_cmp_ge_i32 s6, s10
	s_cbranch_scc1 .LBB218_15
; %bb.1:
	s_cmp_lg_u32 s7, 0
	s_cselect_b64 s[2:3], -1, 0
	s_cmp_eq_u32 s7, 0
	s_cselect_b64 s[24:25], -1, 0
	s_and_b64 s[0:1], s[24:25], exec
	s_load_dwordx2 s[16:17], s[4:5], 0x48
	s_load_dwordx2 s[30:31], s[4:5], 0x30
	s_load_dwordx4 s[20:23], s[4:5], 0x70
	s_cselect_b32 s7, s11, s12
	s_add_i32 s0, s7, 1
	s_lshr_b32 s1, s0, 31
	s_add_i32 s0, s0, s1
	s_lshl_b32 s0, s0, 1
	v_lshlrev_b32_e32 v1, 3, v0
	s_and_b32 s26, s0, -4
	v_cmp_gt_i32_e64 s[0:1], s7, v1
	v_mov_b32_e32 v10, 0
	v_mov_b32_e32 v11, 0
	;; [unrolled: 1-line block ×8, first 2 shown]
	s_and_saveexec_b64 s[18:19], s[0:1]
	s_cbranch_execz .LBB218_3
; %bb.2:
	s_load_dwordx2 s[28:29], s[4:5], 0x28
	s_load_dwordx2 s[34:35], s[4:5], 0x40
	s_and_b64 s[36:37], s[24:25], exec
	s_cselect_b32 s10, s13, s14
	s_mov_b32 s27, 0x20000
	s_waitcnt lgkmcnt(0)
	s_cselect_b32 s13, s29, s31
	s_cselect_b32 s23, s28, s30
	s_mul_hi_i32 s29, s10, s6
	s_mul_i32 s28, s10, s6
	s_lshl_b64 s[28:29], s[28:29], 1
	s_add_u32 s36, s23, s28
	s_addc_u32 s10, s13, s29
	s_and_b64 s[24:25], s[24:25], exec
	s_cselect_b32 s24, s34, s16
	s_cselect_b32 s13, s35, s17
	v_lshlrev_b32_e32 v2, 4, v0
	s_and_b32 s37, s10, 0xffff
	s_mov_b32 s38, s26
	s_mov_b32 s39, s27
	s_and_b32 s25, s13, 0xffff
	buffer_load_dwordx4 v[14:17], v2, s[36:39], 0 offen glc slc
	buffer_load_dwordx4 v[10:13], v2, s[24:27], 0 offen
.LBB218_3:
	s_or_b64 exec, exec, s[18:19]
	s_load_dwordx2 s[28:29], s[4:5], 0x80
	s_and_b64 vcc, exec, s[2:3]
	s_cbranch_vccz .LBB218_7
; %bb.4:
	s_mov_b32 s36, 0
	s_mov_b32 s37, s36
	;; [unrolled: 1-line block ×8, first 2 shown]
	v_pk_mov_b32 v[2:3], s[36:37], s[36:37] op_sel:[0,1]
	v_pk_mov_b32 v[4:5], s[38:39], s[38:39] op_sel:[0,1]
	;; [unrolled: 1-line block ×4, first 2 shown]
	s_and_saveexec_b64 s[18:19], s[0:1]
	s_cbranch_execz .LBB218_6
; %bb.5:
	s_waitcnt vmcnt(1)
	v_cvt_f32_u32_sdwa v3, v14 dst_sel:DWORD dst_unused:UNUSED_PAD src0_sel:WORD_1
	v_cvt_f32_u32_sdwa v2, v14 dst_sel:DWORD dst_unused:UNUSED_PAD src0_sel:WORD_0
	v_cvt_f32_u32_sdwa v5, v15 dst_sel:DWORD dst_unused:UNUSED_PAD src0_sel:WORD_1
	v_cvt_f32_u32_sdwa v4, v15 dst_sel:DWORD dst_unused:UNUSED_PAD src0_sel:WORD_0
	;; [unrolled: 2-line block ×4, first 2 shown]
.LBB218_6:
	s_or_b64 exec, exec, s[18:19]
	s_mov_b32 s10, s9
	s_cbranch_execz .LBB218_8
	s_branch .LBB218_11
.LBB218_7:
                                        ; implicit-def: $vgpr2_vgpr3_vgpr4_vgpr5_vgpr6_vgpr7_vgpr8_vgpr9
	s_mov_b32 s10, s9
.LBB218_8:
	s_mov_b32 s36, 0
	s_mov_b32 s37, s36
	;; [unrolled: 1-line block ×8, first 2 shown]
	v_pk_mov_b32 v[2:3], s[36:37], s[36:37] op_sel:[0,1]
	v_pk_mov_b32 v[4:5], s[38:39], s[38:39] op_sel:[0,1]
	;; [unrolled: 1-line block ×4, first 2 shown]
	s_and_saveexec_b64 s[18:19], s[0:1]
	s_cbranch_execz .LBB218_10
; %bb.9:
	s_load_dwordx2 s[24:25], s[4:5], 0x38
	s_mul_hi_i32 s35, s15, s6
	s_mul_i32 s34, s15, s6
	s_lshl_b64 s[34:35], s[34:35], 1
	s_mov_b32 s27, 0x20000
	s_waitcnt lgkmcnt(0)
	s_add_u32 s24, s24, s34
	s_addc_u32 s10, s25, s35
	s_and_b32 s25, s10, 0xffff
	v_lshlrev_b32_e32 v26, 4, v0
	buffer_load_dwordx4 v[2:5], v26, s[24:27], 0 offen glc slc
	s_load_dwordx2 s[24:25], s[4:5], 0x20
	s_waitcnt vmcnt(2)
	v_cvt_f32_u32_sdwa v7, v14 dst_sel:DWORD dst_unused:UNUSED_PAD src0_sel:WORD_1
	v_cvt_f32_u32_sdwa v6, v14 dst_sel:DWORD dst_unused:UNUSED_PAD src0_sel:WORD_0
	v_cvt_f32_u32_sdwa v9, v15 dst_sel:DWORD dst_unused:UNUSED_PAD src0_sel:WORD_1
	v_cvt_f32_u32_sdwa v8, v15 dst_sel:DWORD dst_unused:UNUSED_PAD src0_sel:WORD_0
	;; [unrolled: 2-line block ×4, first 2 shown]
	s_mul_hi_i32 s35, s29, s6
	s_mul_i32 s34, s29, s6
	s_lshl_b64 s[34:35], s[34:35], 1
	s_waitcnt lgkmcnt(0)
	s_add_u32 s24, s24, s34
	s_mov_b32 s10, 0x7060302
	s_addc_u32 s13, s25, s35
	s_and_b32 s25, s13, 0xffff
	s_waitcnt vmcnt(0)
	v_cvt_f32_u32_sdwa v17, v2 dst_sel:DWORD dst_unused:UNUSED_PAD src0_sel:WORD_1
	v_cvt_f32_u32_sdwa v16, v2 dst_sel:DWORD dst_unused:UNUSED_PAD src0_sel:WORD_0
	v_cvt_f32_u32_sdwa v21, v3 dst_sel:DWORD dst_unused:UNUSED_PAD src0_sel:WORD_1
	v_cvt_f32_u32_sdwa v20, v3 dst_sel:DWORD dst_unused:UNUSED_PAD src0_sel:WORD_0
	;; [unrolled: 2-line block ×4, first 2 shown]
	v_pk_add_f32 v[2:3], v[6:7], v[16:17]
	v_pk_add_f32 v[4:5], v[8:9], v[20:21]
	;; [unrolled: 1-line block ×4, first 2 shown]
	v_perm_b32 v17, v9, v8, s10
	v_perm_b32 v16, v7, v6, s10
	;; [unrolled: 1-line block ×4, first 2 shown]
	buffer_store_dwordx4 v[14:17], v26, s[24:27], 0 offen glc slc
	;;#ASMSTART
	s_nop 0
	;;#ASMEND
.LBB218_10:
	s_or_b64 exec, exec, s[18:19]
	s_mov_b32 s10, s8
.LBB218_11:
	s_waitcnt vmcnt(1)
	v_mul_f32_e32 v14, v3, v3
	v_fmac_f32_e32 v14, v2, v2
	v_fmac_f32_e32 v14, v4, v4
	;; [unrolled: 1-line block ×7, first 2 shown]
	v_bfrev_b32_e32 v16, 0.5
	s_load_dwordx2 s[34:35], s[4:5], 0x18
	v_mov_b32_dpp v15, v14 quad_perm:[1,0,3,2] row_mask:0xf bank_mask:0xf
	v_add_f32_e32 v14, v14, v15
	s_nop 1
	v_mov_b32_dpp v15, v14 quad_perm:[2,3,0,1] row_mask:0xf bank_mask:0xf
	v_add_f32_e32 v14, v14, v15
	s_nop 1
	v_mov_b32_dpp v15, v14 row_half_mirror row_mask:0xf bank_mask:0xf
	v_add_f32_e32 v14, v14, v15
	s_nop 1
	v_mov_b32_dpp v15, v14 row_mirror row_mask:0xf bank_mask:0xf
	v_add_f32_e32 v14, v14, v15
	s_nop 1
	v_mov_b32_dpp v15, v14 row_bcast:15 row_mask:0xf bank_mask:0xf
	v_add_f32_e32 v14, v14, v15
	s_nop 1
	v_mov_b32_dpp v15, v14 row_bcast:31 row_mask:0xf bank_mask:0xf
	v_add_f32_e32 v15, v14, v15
	v_mbcnt_lo_u32_b32 v14, -1, 0
	v_mbcnt_hi_u32_b32 v14, -1, v14
	v_lshl_or_b32 v14, v14, 2, v16
	ds_bpermute_b32 v15, v14, v15
	s_and_saveexec_b64 s[18:19], s[0:1]
	s_cbranch_execnz .LBB218_16
; %bb.12:
	s_or_b64 exec, exec, s[18:19]
	s_mov_b64 s[18:19], -1
	s_and_b64 vcc, exec, s[2:3]
	s_cbranch_vccnz .LBB218_17
.LBB218_13:
	s_andn2_b64 vcc, exec, s[18:19]
	s_cbranch_vccz .LBB218_20
.LBB218_14:
	s_cmp_lt_i32 s12, 1
	s_cbranch_scc0 .LBB218_27
.LBB218_15:
	s_endpgm
.LBB218_16:
	v_cvt_f32_u32_e32 v16, s7
	s_mov_b32 s7, 0x800000
	s_waitcnt lgkmcnt(0)
	v_div_scale_f32 v17, s[24:25], v16, v16, v15
	v_rcp_f32_e32 v18, v17
	v_div_scale_f32 v19, vcc, v15, v16, v15
	v_fma_f32 v20, -v17, v18, 1.0
	v_fmac_f32_e32 v18, v20, v18
	v_mul_f32_e32 v20, v19, v18
	v_fma_f32 v21, -v17, v20, v19
	v_fmac_f32_e32 v20, v21, v18
	v_fma_f32 v17, -v17, v20, v19
	v_div_fmas_f32 v17, v17, v18, v20
	v_div_fixup_f32 v15, v17, v16, v15
	v_add_f32_e32 v15, s10, v15
	v_mul_f32_e32 v16, 0x4b800000, v15
	v_cmp_gt_f32_e32 vcc, s7, v15
	v_cndmask_b32_e32 v15, v15, v16, vcc
	v_rsq_f32_e32 v15, v15
	s_waitcnt vmcnt(0)
	v_cvt_f32_u32_sdwa v17, v10 dst_sel:DWORD dst_unused:UNUSED_PAD src0_sel:WORD_1
	v_cvt_f32_u32_sdwa v21, v11 dst_sel:DWORD dst_unused:UNUSED_PAD src0_sel:WORD_1
	v_cvt_f32_u32_sdwa v20, v11 dst_sel:DWORD dst_unused:UNUSED_PAD src0_sel:WORD_0
	v_mul_f32_e32 v16, 0x45800000, v15
	v_cndmask_b32_e32 v18, v15, v16, vcc
	v_cvt_f32_u32_sdwa v16, v10 dst_sel:DWORD dst_unused:UNUSED_PAD src0_sel:WORD_0
	v_mov_b32_e32 v19, v18
	;;#ASMSTART
	v_pk_mul_f32 v[2:3], v[2:3], v[18:19]
	;;#ASMEND
	;;#ASMSTART
	v_pk_mul_f32 v[4:5], v[4:5], v[18:19]
	;;#ASMEND
	v_pk_add_f32 v[10:11], v[16:17], 1.0 op_sel_hi:[1,0]
	v_cvt_f32_u32_sdwa v17, v12 dst_sel:DWORD dst_unused:UNUSED_PAD src0_sel:WORD_1
	v_cvt_f32_u32_sdwa v16, v12 dst_sel:DWORD dst_unused:UNUSED_PAD src0_sel:WORD_0
	;;#ASMSTART
	v_pk_mul_f32 v[6:7], v[6:7], v[18:19]
	;;#ASMEND
	;;#ASMSTART
	v_pk_mul_f32 v[8:9], v[8:9], v[18:19]
	;;#ASMEND
	v_cvt_f32_u32_sdwa v19, v13 dst_sel:DWORD dst_unused:UNUSED_PAD src0_sel:WORD_1
	v_cvt_f32_u32_sdwa v18, v13 dst_sel:DWORD dst_unused:UNUSED_PAD src0_sel:WORD_0
	;;#ASMSTART
	v_pk_mul_f32 v[2:3], v[2:3], v[10:11]
	;;#ASMEND
	v_pk_add_f32 v[10:11], v[20:21], 1.0 op_sel_hi:[1,0]
	;;#ASMSTART
	v_pk_mul_f32 v[4:5], v[4:5], v[10:11]
	;;#ASMEND
	v_pk_add_f32 v[10:11], v[16:17], 1.0 op_sel_hi:[1,0]
	;;#ASMSTART
	v_pk_mul_f32 v[6:7], v[6:7], v[10:11]
	;;#ASMEND
	v_pk_add_f32 v[10:11], v[18:19], 1.0 op_sel_hi:[1,0]
	;;#ASMSTART
	v_pk_mul_f32 v[8:9], v[8:9], v[10:11]
	;;#ASMEND
	s_or_b64 exec, exec, s[18:19]
	s_mov_b64 s[18:19], -1
	s_and_b64 vcc, exec, s[2:3]
	s_cbranch_vccz .LBB218_13
.LBB218_17:
	s_and_saveexec_b64 s[2:3], s[0:1]
	s_cbranch_execz .LBB218_19
; %bb.18:
	s_waitcnt lgkmcnt(0)
	s_mul_hi_i32 s19, s28, s6
	s_mul_i32 s18, s28, s6
	s_lshl_b64 s[18:19], s[18:19], 1
	s_add_u32 s24, s34, s18
	s_addc_u32 s7, s35, s19
	s_and_b32 s25, s7, 0xffff
	s_mov_b32 s7, 0x7060302
	s_mov_b32 s27, 0x20000
	s_waitcnt vmcnt(0)
	v_perm_b32 v10, v3, v2, s7
	v_perm_b32 v11, v5, v4, s7
	;; [unrolled: 1-line block ×4, first 2 shown]
	v_lshlrev_b32_e32 v15, 4, v0
	buffer_store_dwordx4 v[10:13], v15, s[24:27], 0 offen
	;;#ASMSTART
	s_nop 0
	;;#ASMEND
.LBB218_19:
	s_or_b64 exec, exec, s[2:3]
	s_cbranch_execnz .LBB218_14
.LBB218_20:
	s_waitcnt vmcnt(0)
	v_mov_b32_e32 v10, 0
	s_and_saveexec_b64 s[2:3], s[0:1]
	s_cbranch_execz .LBB218_22
; %bb.21:
	v_and_b32_e32 v10, 0x7fffffff, v2
	v_and_b32_e32 v11, 0x7fffffff, v3
	v_mov_b32_e32 v12, 0x2edbe6ff
	;;#ASMSTART
	v_max3_f32 v10, v12, v10, v11

	;;#ASMEND
	v_and_b32_e32 v11, 0x7fffffff, v4
	v_and_b32_e32 v12, 0x7fffffff, v5
	;;#ASMSTART
	v_max3_f32 v10, v10, v11, v12

	;;#ASMEND
	v_and_b32_e32 v11, 0x7fffffff, v6
	v_and_b32_e32 v12, 0x7fffffff, v7
	;; [unrolled: 6-line block ×3, first 2 shown]
	;;#ASMSTART
	v_max3_f32 v10, v10, v11, v12

	;;#ASMEND
.LBB218_22:
	s_or_b64 exec, exec, s[2:3]
	;;#ASMSTART
	v_max_f32 v11, v10, v10 quad_perm:[1,0,3,2] row_mask:0xf bank_mask:0xf bound_ctrl:1
	;;#ASMEND
	;;#ASMSTART
	v_max_f32 v10, v11, v11 quad_perm:[2,3,0,1] row_mask:0xf bank_mask:0xf bound_ctrl:1
	;;#ASMEND
	v_and_b32_e32 v11, 3, v0
	v_cmp_eq_u32_e32 vcc, 0, v11
	v_cmp_gt_i32_e64 s[2:3], s11, v1
	v_mul_f32_e32 v10, 0x3b124925, v10
	s_and_b64 s[18:19], vcc, s[2:3]
	s_and_saveexec_b64 s[2:3], s[18:19]
	s_cbranch_execz .LBB218_24
; %bb.23:
	s_load_dwordx2 s[18:19], s[4:5], 0x8
	v_lshrrev_b32_e32 v11, 2, v0
	s_waitcnt lgkmcnt(0)
	s_mul_hi_i32 s25, s21, s6
	s_mul_i32 s24, s21, s6
	v_mad_i64_i32 v[12:13], s[22:23], s22, v11, 0
	s_lshl_b64 s[22:23], s[24:25], 2
	s_add_u32 s7, s18, s22
	s_addc_u32 s8, s19, s23
	v_lshlrev_b64 v[12:13], 2, v[12:13]
	v_mov_b32_e32 v11, s8
	v_add_co_u32_e32 v12, vcc, s7, v12
	v_addc_co_u32_e32 v13, vcc, v11, v13, vcc
	global_store_dword v[12:13], v10, off
.LBB218_24:
	s_or_b64 exec, exec, s[2:3]
	;;#ASMSTART
	v_rcp_f32 v10, v10
	;;#ASMEND
	s_and_saveexec_b64 s[18:19], s[0:1]
	s_cbranch_execz .LBB218_26
; %bb.25:
	v_mov_b32_e32 v11, v10
	;;#ASMSTART
	v_pk_mul_f32 v[2:3], v[2:3], v[10:11]
	;;#ASMEND
	v_mov_b32_e32 v12, 0xc3e00000
	v_mov_b32_e32 v13, 0x43e00000
	s_waitcnt lgkmcnt(0)
	;;#ASMSTART
	v_med3_f32 v2, v2, v12, v13
v_med3_f32 v3, v3, v12, v13
v_cvt_pk_fp8_f32 v15, v2, v3
	;;#ASMEND
	s_load_dwordx2 s[0:1], s[4:5], 0x0
	;;#ASMSTART
	v_pk_mul_f32 v[2:3], v[4:5], v[10:11]
	;;#ASMEND
	;;#ASMSTART
	v_med3_f32 v2, v2, v12, v13
v_med3_f32 v3, v3, v12, v13
v_cvt_pk_fp8_f32 v4, v2, v3
	;;#ASMEND
	s_mov_b32 s8, 0x5040100
	v_perm_b32 v3, v4, v15, s8
	s_movk_i32 s8, 0xff
	v_and_b32_e32 v2, 0xffffff00, v4
	v_and_b32_sdwa v4, v3, s8 dst_sel:DWORD dst_unused:UNUSED_PAD src0_sel:WORD_1 src1_sel:DWORD
	s_mul_i32 s3, s20, s6
	s_mov_b32 s7, 0xffff
	v_or_b32_sdwa v2, v4, v2 dst_sel:WORD_1 dst_unused:UNUSED_PAD src0_sel:DWORD src1_sel:DWORD
	s_mul_hi_i32 s2, s20, s6
	s_waitcnt lgkmcnt(0)
	s_add_u32 s0, s0, s3
	v_and_or_b32 v2, v3, s7, v2
	;;#ASMSTART
	v_pk_mul_f32 v[4:5], v[6:7], v[10:11]
	;;#ASMEND
	v_mov_b32_e32 v3, v5
	s_addc_u32 s1, s1, s2
	s_add_i32 s2, s11, 3
	;;#ASMSTART
	v_med3_f32 v4, v4, v12, v13
v_med3_f32 v3, v3, v12, v13
v_cvt_pk_fp8_f32 v6, v4, v3
	;;#ASMEND
	s_ashr_i32 s3, s2, 31
	;;#ASMSTART
	v_pk_mul_f32 v[4:5], v[8:9], v[10:11]
	;;#ASMEND
	v_mov_b32_e32 v3, v4
	s_lshr_b32 s3, s3, 30
	;;#ASMSTART
	v_med3_f32 v3, v3, v12, v13
v_med3_f32 v5, v5, v12, v13
v_cvt_pk_fp8_f32 v4, v3, v5
	;;#ASMEND
	s_add_i32 s2, s2, s3
	v_lshlrev_b32_e32 v3, 16, v4
	s_and_b32 s2, s2, -4
	s_and_b32 s1, s1, 0xffff
	s_mov_b32 s3, 0x20000
	v_and_or_b32 v3, v6, s7, v3
	buffer_store_dwordx2 v[2:3], v1, s[0:3], 0 offen
	;;#ASMSTART
	s_nop 0
	;;#ASMEND
.LBB218_26:
	s_or_b64 exec, exec, s[18:19]
	s_cmp_lt_i32 s12, 1
	s_cbranch_scc1 .LBB218_15
.LBB218_27:
	s_load_dword s0, s[4:5], 0x94
	s_waitcnt lgkmcnt(0)
	s_cmp_lg_u32 s0, 1
	s_cbranch_scc1 .LBB218_15
; %bb.28:
	s_lshl_b32 s0, s12, 1
	s_add_i32 s0, s0, 2
	v_cmp_gt_u32_e32 vcc, s12, v1
	s_and_b32 s18, s0, -4
	v_mov_b32_e32 v4, 0
	s_waitcnt vmcnt(0)
	v_lshlrev_b32_e32 v12, 4, v0
	v_mov_b32_e32 v5, 0
	v_mov_b32_e32 v6, 0
	;; [unrolled: 1-line block ×7, first 2 shown]
	s_barrier
	s_and_saveexec_b64 s[0:1], vcc
	s_cbranch_execz .LBB218_30
; %bb.29:
	s_mul_hi_i32 s3, s14, s6
	s_mul_i32 s2, s14, s6
	s_and_b32 s17, s17, 0xffff
	s_lshl_b64 s[2:3], s[2:3], 1
	s_add_u32 s20, s30, s2
	s_mov_b32 s19, 0x20000
	s_addc_u32 s2, s31, s3
	s_and_b32 s21, s2, 0xffff
	s_mov_b32 s22, s18
	s_mov_b32 s23, s19
	buffer_load_dwordx4 v[4:7], v12, s[20:23], 0 offen glc slc
	buffer_load_dwordx4 v[0:3], v12, s[16:19], 0 offen
.LBB218_30:
	s_or_b64 exec, exec, s[0:1]
	s_waitcnt vmcnt(1)
	v_cvt_f32_u32_sdwa v11, v4 dst_sel:DWORD dst_unused:UNUSED_PAD src0_sel:WORD_1
	v_cvt_f32_u32_sdwa v10, v4 dst_sel:DWORD dst_unused:UNUSED_PAD src0_sel:WORD_0
	v_cvt_f32_u32_sdwa v4, v7 dst_sel:DWORD dst_unused:UNUSED_PAD src0_sel:WORD_1
	v_cvt_f32_u32_sdwa v7, v7 dst_sel:DWORD dst_unused:UNUSED_PAD src0_sel:WORD_0
	;; [unrolled: 2-line block ×4, first 2 shown]
	v_cndmask_b32_e32 v11, 0, v11, vcc
	v_cndmask_b32_e32 v5, 0, v4, vcc
	;; [unrolled: 1-line block ×5, first 2 shown]
	v_mul_f32_e32 v13, v11, v11
	v_cndmask_b32_e32 v8, 0, v8, vcc
	v_fmac_f32_e32 v13, v10, v10
	v_cndmask_b32_e32 v9, 0, v9, vcc
	v_fmac_f32_e32 v13, v8, v8
	;; [unrolled: 2-line block ×3, first 2 shown]
	v_fmac_f32_e32 v13, v6, v6
	v_fmac_f32_e32 v13, v7, v7
	;; [unrolled: 1-line block ×4, first 2 shown]
	s_nop 1
	v_mov_b32_dpp v15, v13 quad_perm:[1,0,3,2] row_mask:0xf bank_mask:0xf
	v_add_f32_e32 v13, v13, v15
	s_nop 1
	v_mov_b32_dpp v15, v13 quad_perm:[2,3,0,1] row_mask:0xf bank_mask:0xf
	v_add_f32_e32 v13, v13, v15
	s_nop 1
	v_mov_b32_dpp v15, v13 row_half_mirror row_mask:0xf bank_mask:0xf
	v_add_f32_e32 v13, v13, v15
	s_nop 1
	v_mov_b32_dpp v15, v13 row_mirror row_mask:0xf bank_mask:0xf
	v_add_f32_e32 v13, v13, v15
	s_nop 1
	v_mov_b32_dpp v15, v13 row_bcast:15 row_mask:0xf bank_mask:0xf
	v_add_f32_e32 v13, v13, v15
	s_nop 1
	v_mov_b32_dpp v15, v13 row_bcast:31 row_mask:0xf bank_mask:0xf
	v_add_f32_e32 v13, v13, v15
	ds_bpermute_b32 v13, v14, v13
	s_and_saveexec_b64 s[0:1], vcc
	s_cbranch_execz .LBB218_15
; %bb.31:
	v_cvt_f32_u32_e32 v14, s12
	s_mov_b32 s19, 0x20000
	s_waitcnt lgkmcnt(0)
	v_div_scale_f32 v15, s[0:1], v14, v14, v13
	v_rcp_f32_e32 v16, v15
	v_div_scale_f32 v17, vcc, v13, v14, v13
	s_mov_b32 s0, 0x800000
	v_fma_f32 v18, -v15, v16, 1.0
	v_fmac_f32_e32 v16, v18, v16
	v_mul_f32_e32 v18, v17, v16
	v_fma_f32 v19, -v15, v18, v17
	v_fmac_f32_e32 v18, v19, v16
	v_fma_f32 v15, -v15, v18, v17
	v_div_fmas_f32 v15, v15, v16, v18
	v_div_fixup_f32 v13, v15, v14, v13
	v_add_f32_e32 v13, s9, v13
	v_mul_f32_e32 v14, 0x4b800000, v13
	v_cmp_gt_f32_e32 vcc, s0, v13
	v_cndmask_b32_e32 v13, v13, v14, vcc
	v_rsq_f32_e32 v13, v13
	s_waitcnt vmcnt(0)
	v_cvt_f32_u32_sdwa v15, v0 dst_sel:DWORD dst_unused:UNUSED_PAD src0_sel:WORD_1
	v_cvt_f32_u32_sdwa v19, v1 dst_sel:DWORD dst_unused:UNUSED_PAD src0_sel:WORD_1
	v_cvt_f32_u32_sdwa v18, v1 dst_sel:DWORD dst_unused:UNUSED_PAD src0_sel:WORD_0
	v_mul_f32_e32 v14, 0x45800000, v13
	v_cndmask_b32_e32 v16, v13, v14, vcc
	v_cvt_f32_u32_sdwa v14, v0 dst_sel:DWORD dst_unused:UNUSED_PAD src0_sel:WORD_0
	v_mov_b32_e32 v17, v16
	;;#ASMSTART
	v_pk_mul_f32 v[10:11], v[10:11], v[16:17]
	;;#ASMEND
	;;#ASMSTART
	v_pk_mul_f32 v[8:9], v[8:9], v[16:17]
	;;#ASMEND
	;; [unrolled: 3-line block ×4, first 2 shown]
	v_pk_add_f32 v[4:5], v[14:15], 1.0 op_sel_hi:[1,0]
	v_cvt_f32_u32_sdwa v15, v2 dst_sel:DWORD dst_unused:UNUSED_PAD src0_sel:WORD_1
	v_cvt_f32_u32_sdwa v14, v2 dst_sel:DWORD dst_unused:UNUSED_PAD src0_sel:WORD_0
	v_cvt_f32_u32_sdwa v17, v3 dst_sel:DWORD dst_unused:UNUSED_PAD src0_sel:WORD_1
	v_cvt_f32_u32_sdwa v16, v3 dst_sel:DWORD dst_unused:UNUSED_PAD src0_sel:WORD_0
	s_mul_hi_i32 s1, s28, s6
	s_mul_i32 s0, s28, s6
	s_lshl_b64 s[0:1], s[0:1], 1
	s_add_u32 s16, s34, s0
	;;#ASMSTART
	v_pk_mul_f32 v[4:5], v[10:11], v[4:5]
	;;#ASMEND
	v_pk_add_f32 v[10:11], v[18:19], 1.0 op_sel_hi:[1,0]
	;;#ASMSTART
	v_pk_mul_f32 v[2:3], v[8:9], v[10:11]
	;;#ASMEND
	v_pk_add_f32 v[8:9], v[14:15], 1.0 op_sel_hi:[1,0]
	s_addc_u32 s0, s35, s1
	;;#ASMSTART
	v_pk_mul_f32 v[6:7], v[6:7], v[8:9]
	;;#ASMEND
	v_pk_add_f32 v[8:9], v[16:17], 1.0 op_sel_hi:[1,0]
	s_and_b32 s17, s0, 0xffff
	s_mov_b32 s0, 0x7060302
	;;#ASMSTART
	v_pk_mul_f32 v[8:9], v[0:1], v[8:9]
	;;#ASMEND
	v_perm_b32 v0, v5, v4, s0
	v_perm_b32 v1, v3, v2, s0
	;; [unrolled: 1-line block ×4, first 2 shown]
	buffer_store_dwordx4 v[0:3], v12, s[16:19], 0 offen
	;;#ASMSTART
	s_nop 0
	;;#ASMEND
	s_endpgm
	.section	.rodata,"a",@progbits
	.p2align	6, 0x0
	.amdhsa_kernel _ZN5aiter35fused_qk_rmsnorm_group_quant_kernelItDB8_Li64ELi8ELi4ELb1ELb0ELb1ELb0ELb0ELb0EEEvPT0_PvPT_S6_S6_PKS5_S8_S8_S8_S8_ffiiiiiiiiiiiii
		.amdhsa_group_segment_fixed_size 0
		.amdhsa_private_segment_fixed_size 0
		.amdhsa_kernarg_size 400
		.amdhsa_user_sgpr_count 6
		.amdhsa_user_sgpr_private_segment_buffer 1
		.amdhsa_user_sgpr_dispatch_ptr 0
		.amdhsa_user_sgpr_queue_ptr 0
		.amdhsa_user_sgpr_kernarg_segment_ptr 1
		.amdhsa_user_sgpr_dispatch_id 0
		.amdhsa_user_sgpr_flat_scratch_init 0
		.amdhsa_user_sgpr_kernarg_preload_length 0
		.amdhsa_user_sgpr_kernarg_preload_offset 0
		.amdhsa_user_sgpr_private_segment_size 0
		.amdhsa_uses_dynamic_stack 0
		.amdhsa_system_sgpr_private_segment_wavefront_offset 0
		.amdhsa_system_sgpr_workgroup_id_x 1
		.amdhsa_system_sgpr_workgroup_id_y 1
		.amdhsa_system_sgpr_workgroup_id_z 0
		.amdhsa_system_sgpr_workgroup_info 0
		.amdhsa_system_vgpr_workitem_id 0
		.amdhsa_next_free_vgpr 27
		.amdhsa_next_free_sgpr 44
		.amdhsa_accum_offset 28
		.amdhsa_reserve_vcc 1
		.amdhsa_reserve_flat_scratch 0
		.amdhsa_float_round_mode_32 0
		.amdhsa_float_round_mode_16_64 0
		.amdhsa_float_denorm_mode_32 3
		.amdhsa_float_denorm_mode_16_64 3
		.amdhsa_dx10_clamp 1
		.amdhsa_ieee_mode 1
		.amdhsa_fp16_overflow 0
		.amdhsa_tg_split 0
		.amdhsa_exception_fp_ieee_invalid_op 0
		.amdhsa_exception_fp_denorm_src 0
		.amdhsa_exception_fp_ieee_div_zero 0
		.amdhsa_exception_fp_ieee_overflow 0
		.amdhsa_exception_fp_ieee_underflow 0
		.amdhsa_exception_fp_ieee_inexact 0
		.amdhsa_exception_int_div_zero 0
	.end_amdhsa_kernel
	.section	.text._ZN5aiter35fused_qk_rmsnorm_group_quant_kernelItDB8_Li64ELi8ELi4ELb1ELb0ELb1ELb0ELb0ELb0EEEvPT0_PvPT_S6_S6_PKS5_S8_S8_S8_S8_ffiiiiiiiiiiiii,"axG",@progbits,_ZN5aiter35fused_qk_rmsnorm_group_quant_kernelItDB8_Li64ELi8ELi4ELb1ELb0ELb1ELb0ELb0ELb0EEEvPT0_PvPT_S6_S6_PKS5_S8_S8_S8_S8_ffiiiiiiiiiiiii,comdat
.Lfunc_end218:
	.size	_ZN5aiter35fused_qk_rmsnorm_group_quant_kernelItDB8_Li64ELi8ELi4ELb1ELb0ELb1ELb0ELb0ELb0EEEvPT0_PvPT_S6_S6_PKS5_S8_S8_S8_S8_ffiiiiiiiiiiiii, .Lfunc_end218-_ZN5aiter35fused_qk_rmsnorm_group_quant_kernelItDB8_Li64ELi8ELi4ELb1ELb0ELb1ELb0ELb0ELb0EEEvPT0_PvPT_S6_S6_PKS5_S8_S8_S8_S8_ffiiiiiiiiiiiii
                                        ; -- End function
	.section	.AMDGPU.csdata,"",@progbits
; Kernel info:
; codeLenInByte = 2872
; NumSgprs: 48
; NumVgprs: 27
; NumAgprs: 0
; TotalNumVgprs: 27
; ScratchSize: 0
; MemoryBound: 0
; FloatMode: 240
; IeeeMode: 1
; LDSByteSize: 0 bytes/workgroup (compile time only)
; SGPRBlocks: 5
; VGPRBlocks: 3
; NumSGPRsForWavesPerEU: 48
; NumVGPRsForWavesPerEU: 27
; AccumOffset: 28
; Occupancy: 8
; WaveLimiterHint : 0
; COMPUTE_PGM_RSRC2:SCRATCH_EN: 0
; COMPUTE_PGM_RSRC2:USER_SGPR: 6
; COMPUTE_PGM_RSRC2:TRAP_HANDLER: 0
; COMPUTE_PGM_RSRC2:TGID_X_EN: 1
; COMPUTE_PGM_RSRC2:TGID_Y_EN: 1
; COMPUTE_PGM_RSRC2:TGID_Z_EN: 0
; COMPUTE_PGM_RSRC2:TIDIG_COMP_CNT: 0
; COMPUTE_PGM_RSRC3_GFX90A:ACCUM_OFFSET: 6
; COMPUTE_PGM_RSRC3_GFX90A:TG_SPLIT: 0
	.section	.text._ZN5aiter35fused_qk_rmsnorm_group_quant_kernelIDF16_N4opus5fp4_tELi64ELi8ELi4ELb1ELb0ELb1ELb0ELb0ELb0EEEvPT0_PvPT_S7_S7_PKS6_S9_S9_S9_S9_ffiiiiiiiiiiiii,"axG",@progbits,_ZN5aiter35fused_qk_rmsnorm_group_quant_kernelIDF16_N4opus5fp4_tELi64ELi8ELi4ELb1ELb0ELb1ELb0ELb0ELb0EEEvPT0_PvPT_S7_S7_PKS6_S9_S9_S9_S9_ffiiiiiiiiiiiii,comdat
	.protected	_ZN5aiter35fused_qk_rmsnorm_group_quant_kernelIDF16_N4opus5fp4_tELi64ELi8ELi4ELb1ELb0ELb1ELb0ELb0ELb0EEEvPT0_PvPT_S7_S7_PKS6_S9_S9_S9_S9_ffiiiiiiiiiiiii ; -- Begin function _ZN5aiter35fused_qk_rmsnorm_group_quant_kernelIDF16_N4opus5fp4_tELi64ELi8ELi4ELb1ELb0ELb1ELb0ELb0ELb0EEEvPT0_PvPT_S7_S7_PKS6_S9_S9_S9_S9_ffiiiiiiiiiiiii
	.globl	_ZN5aiter35fused_qk_rmsnorm_group_quant_kernelIDF16_N4opus5fp4_tELi64ELi8ELi4ELb1ELb0ELb1ELb0ELb0ELb0EEEvPT0_PvPT_S7_S7_PKS6_S9_S9_S9_S9_ffiiiiiiiiiiiii
	.p2align	8
	.type	_ZN5aiter35fused_qk_rmsnorm_group_quant_kernelIDF16_N4opus5fp4_tELi64ELi8ELi4ELb1ELb0ELb1ELb0ELb0ELb0EEEvPT0_PvPT_S7_S7_PKS6_S9_S9_S9_S9_ffiiiiiiiiiiiii,@function
_ZN5aiter35fused_qk_rmsnorm_group_quant_kernelIDF16_N4opus5fp4_tELi64ELi8ELi4ELb1ELb0ELb1ELb0ELb0ELb0EEEvPT0_PvPT_S7_S7_PKS6_S9_S9_S9_S9_ffiiiiiiiiiiiii: ; @_ZN5aiter35fused_qk_rmsnorm_group_quant_kernelIDF16_N4opus5fp4_tELi64ELi8ELi4ELb1ELb0ELb1ELb0ELb0ELb0EEEvPT0_PvPT_S7_S7_PKS6_S9_S9_S9_S9_ffiiiiiiiiiiiii
; %bb.0:
	s_load_dwordx8 s[8:15], s[4:5], 0x50
	s_waitcnt lgkmcnt(0)
	s_cmp_ge_i32 s6, s10
	s_cbranch_scc1 .LBB219_15
; %bb.1:
	s_cmp_lg_u32 s7, 0
	s_cselect_b64 s[2:3], -1, 0
	s_cmp_eq_u32 s7, 0
	s_cselect_b64 s[24:25], -1, 0
	s_and_b64 s[0:1], s[24:25], exec
	s_load_dwordx2 s[16:17], s[4:5], 0x48
	s_load_dwordx2 s[30:31], s[4:5], 0x30
	s_load_dwordx4 s[20:23], s[4:5], 0x70
	s_cselect_b32 s7, s11, s12
	s_add_i32 s0, s7, 1
	s_lshr_b32 s1, s0, 31
	s_add_i32 s0, s0, s1
	s_lshl_b32 s0, s0, 1
	v_lshlrev_b32_e32 v1, 3, v0
	s_and_b32 s26, s0, -4
	v_cmp_gt_i32_e64 s[0:1], s7, v1
	v_mov_b32_e32 v2, 0
	v_mov_b32_e32 v3, 0
	;; [unrolled: 1-line block ×8, first 2 shown]
	s_and_saveexec_b64 s[18:19], s[0:1]
	s_cbranch_execz .LBB219_3
; %bb.2:
	s_load_dwordx2 s[28:29], s[4:5], 0x28
	s_load_dwordx2 s[34:35], s[4:5], 0x40
	s_and_b64 s[36:37], s[24:25], exec
	s_cselect_b32 s10, s13, s14
	s_mov_b32 s27, 0x20000
	s_waitcnt lgkmcnt(0)
	s_cselect_b32 s13, s29, s31
	s_cselect_b32 s23, s28, s30
	s_mul_hi_i32 s29, s10, s6
	s_mul_i32 s28, s10, s6
	s_lshl_b64 s[28:29], s[28:29], 1
	s_add_u32 s36, s23, s28
	s_addc_u32 s10, s13, s29
	s_and_b64 s[24:25], s[24:25], exec
	s_cselect_b32 s24, s34, s16
	s_cselect_b32 s13, s35, s17
	v_lshlrev_b32_e32 v10, 4, v0
	s_and_b32 s37, s10, 0xffff
	s_mov_b32 s38, s26
	s_mov_b32 s39, s27
	s_and_b32 s25, s13, 0xffff
	buffer_load_dwordx4 v[6:9], v10, s[36:39], 0 offen glc slc
	buffer_load_dwordx4 v[2:5], v10, s[24:27], 0 offen
.LBB219_3:
	s_or_b64 exec, exec, s[18:19]
	s_load_dwordx2 s[28:29], s[4:5], 0x80
	s_and_b64 vcc, exec, s[2:3]
	s_cbranch_vccz .LBB219_7
; %bb.4:
	v_mov_b32_e32 v11, 0
	v_mov_b32_e32 v10, 0
	;; [unrolled: 1-line block ×8, first 2 shown]
	s_and_saveexec_b64 s[18:19], s[0:1]
	s_cbranch_execz .LBB219_6
; %bb.5:
	s_waitcnt vmcnt(1)
	v_cvt_f32_f16_sdwa v13, v6 dst_sel:DWORD dst_unused:UNUSED_PAD src0_sel:WORD_1
	v_cvt_f32_f16_e32 v12, v6
	v_cvt_f32_f16_sdwa v17, v7 dst_sel:DWORD dst_unused:UNUSED_PAD src0_sel:WORD_1
	v_cvt_f32_f16_e32 v16, v7
	;; [unrolled: 2-line block ×4, first 2 shown]
.LBB219_6:
	s_or_b64 exec, exec, s[18:19]
	s_mov_b32 s10, s9
	s_cbranch_execz .LBB219_8
	s_branch .LBB219_11
.LBB219_7:
                                        ; implicit-def: $vgpr11
                                        ; implicit-def: $vgpr15
                                        ; implicit-def: $vgpr17
                                        ; implicit-def: $vgpr13
	s_mov_b32 s10, s9
.LBB219_8:
	v_mov_b32_e32 v11, 0
	v_mov_b32_e32 v10, 0
	;; [unrolled: 1-line block ×8, first 2 shown]
	s_and_saveexec_b64 s[18:19], s[0:1]
	s_cbranch_execz .LBB219_10
; %bb.9:
	s_load_dwordx2 s[24:25], s[4:5], 0x38
	s_mul_hi_i32 s35, s15, s6
	s_mul_i32 s34, s15, s6
	s_lshl_b64 s[34:35], s[34:35], 1
	s_mov_b32 s27, 0x20000
	s_waitcnt lgkmcnt(0)
	s_add_u32 s24, s24, s34
	s_addc_u32 s10, s25, s35
	s_and_b32 s25, s10, 0xffff
	v_lshlrev_b32_e32 v24, 4, v0
	buffer_load_dwordx4 v[10:13], v24, s[24:27], 0 offen glc slc
	s_waitcnt vmcnt(2)
	v_cvt_f32_f16_sdwa v15, v6 dst_sel:DWORD dst_unused:UNUSED_PAD src0_sel:WORD_1
	v_cvt_f32_f16_e32 v14, v6
	v_cvt_f32_f16_sdwa v17, v7 dst_sel:DWORD dst_unused:UNUSED_PAD src0_sel:WORD_1
	v_cvt_f32_f16_e32 v16, v7
	;; [unrolled: 2-line block ×4, first 2 shown]
	s_load_dwordx2 s[24:25], s[4:5], 0x20
	s_mul_hi_i32 s35, s29, s6
	s_mul_i32 s34, s29, s6
	s_lshl_b64 s[34:35], s[34:35], 1
	s_waitcnt lgkmcnt(0)
	s_add_u32 s24, s24, s34
	s_addc_u32 s10, s25, s35
	s_and_b32 s25, s10, 0xffff
	s_waitcnt vmcnt(0)
	v_cvt_f32_f16_e32 v8, v10
	v_cvt_f32_f16_sdwa v9, v10 dst_sel:DWORD dst_unused:UNUSED_PAD src0_sel:WORD_1
	v_cvt_f32_f16_e32 v10, v11
	v_cvt_f32_f16_sdwa v11, v11 dst_sel:DWORD dst_unused:UNUSED_PAD src0_sel:WORD_1
	;; [unrolled: 2-line block ×4, first 2 shown]
	v_pk_add_f32 v[12:13], v[14:15], v[8:9]
	v_pk_add_f32 v[16:17], v[16:17], v[10:11]
	v_pk_add_f32 v[14:15], v[6:7], v[20:21]
	v_pk_add_f32 v[10:11], v[18:19], v[22:23]
	v_cvt_f16_f32_e32 v6, v13
	v_cvt_f16_f32_e32 v7, v17
	;; [unrolled: 1-line block ×8, first 2 shown]
	v_pack_b32_f16 v9, v18, v9
	v_pack_b32_f16 v8, v19, v8
	;; [unrolled: 1-line block ×4, first 2 shown]
	buffer_store_dwordx4 v[6:9], v24, s[24:27], 0 offen glc slc
	;;#ASMSTART
	s_nop 0
	;;#ASMEND
.LBB219_10:
	s_or_b64 exec, exec, s[18:19]
	s_mov_b32 s10, s8
.LBB219_11:
	s_waitcnt vmcnt(1)
	v_mul_f32_e32 v6, v13, v13
	v_fmac_f32_e32 v6, v12, v12
	v_fmac_f32_e32 v6, v16, v16
	;; [unrolled: 1-line block ×7, first 2 shown]
	v_bfrev_b32_e32 v8, 0.5
	s_load_dwordx2 s[34:35], s[4:5], 0x18
	v_mov_b32_dpp v7, v6 quad_perm:[1,0,3,2] row_mask:0xf bank_mask:0xf
	v_add_f32_e32 v6, v6, v7
	s_nop 1
	v_mov_b32_dpp v7, v6 quad_perm:[2,3,0,1] row_mask:0xf bank_mask:0xf
	v_add_f32_e32 v6, v6, v7
	s_nop 1
	v_mov_b32_dpp v7, v6 row_half_mirror row_mask:0xf bank_mask:0xf
	v_add_f32_e32 v6, v6, v7
	s_nop 1
	v_mov_b32_dpp v7, v6 row_mirror row_mask:0xf bank_mask:0xf
	v_add_f32_e32 v6, v6, v7
	s_nop 1
	v_mov_b32_dpp v7, v6 row_bcast:15 row_mask:0xf bank_mask:0xf
	v_add_f32_e32 v6, v6, v7
	s_nop 1
	v_mov_b32_dpp v7, v6 row_bcast:31 row_mask:0xf bank_mask:0xf
	v_add_f32_e32 v6, v6, v7
	v_mbcnt_lo_u32_b32 v7, -1, 0
	v_mbcnt_hi_u32_b32 v7, -1, v7
	v_lshl_or_b32 v18, v7, 2, v8
	ds_bpermute_b32 v6, v18, v6
	s_and_saveexec_b64 s[18:19], s[0:1]
	s_cbranch_execnz .LBB219_16
; %bb.12:
	s_or_b64 exec, exec, s[18:19]
	s_mov_b64 s[18:19], -1
	s_and_b64 vcc, exec, s[2:3]
	s_cbranch_vccnz .LBB219_17
.LBB219_13:
	s_andn2_b64 vcc, exec, s[18:19]
	s_cbranch_vccz .LBB219_20
.LBB219_14:
	s_cmp_lt_i32 s12, 1
	s_cbranch_scc0 .LBB219_27
.LBB219_15:
	s_endpgm
.LBB219_16:
	v_cvt_f32_u32_e32 v7, s7
	s_mov_b32 s7, 0x800000
	s_waitcnt lgkmcnt(0)
	v_div_scale_f32 v8, s[24:25], v7, v7, v6
	v_rcp_f32_e32 v9, v8
	v_div_scale_f32 v19, vcc, v6, v7, v6
	v_fma_f32 v20, -v8, v9, 1.0
	v_fmac_f32_e32 v9, v20, v9
	v_mul_f32_e32 v20, v19, v9
	v_fma_f32 v21, -v8, v20, v19
	v_fmac_f32_e32 v20, v21, v9
	v_fma_f32 v8, -v8, v20, v19
	v_div_fmas_f32 v8, v8, v9, v20
	v_div_fixup_f32 v6, v8, v7, v6
	v_add_f32_e32 v6, s10, v6
	v_mul_f32_e32 v7, 0x4b800000, v6
	v_cmp_gt_f32_e32 vcc, s7, v6
	v_cndmask_b32_e32 v6, v6, v7, vcc
	v_rsq_f32_e32 v6, v6
	s_waitcnt vmcnt(0)
	v_cvt_f32_f16_sdwa v7, v2 dst_sel:DWORD dst_unused:UNUSED_PAD src0_sel:WORD_1
	v_cvt_f32_f16_sdwa v21, v3 dst_sel:DWORD dst_unused:UNUSED_PAD src0_sel:WORD_1
	v_cvt_f32_f16_e32 v20, v3
	v_mul_f32_e32 v8, 0x45800000, v6
	v_cndmask_b32_e32 v8, v6, v8, vcc
	v_mov_b32_e32 v9, v8
	;;#ASMSTART
	v_pk_mul_f32 v[12:13], v[12:13], v[8:9]
	;;#ASMEND
	;;#ASMSTART
	v_pk_mul_f32 v[16:17], v[16:17], v[8:9]
	;;#ASMEND
	;; [unrolled: 3-line block ×3, first 2 shown]
	v_cvt_f32_f16_e32 v6, v2
	;;#ASMSTART
	v_pk_mul_f32 v[2:3], v[10:11], v[8:9]
	;;#ASMEND
	v_cvt_f32_f16_sdwa v9, v4 dst_sel:DWORD dst_unused:UNUSED_PAD src0_sel:WORD_1
	v_cvt_f32_f16_e32 v8, v4
	v_cvt_f32_f16_sdwa v11, v5 dst_sel:DWORD dst_unused:UNUSED_PAD src0_sel:WORD_1
	v_cvt_f32_f16_e32 v10, v5
	v_pk_add_f32 v[6:7], v[6:7], 1.0 op_sel_hi:[1,0]
	v_pk_add_f32 v[4:5], v[8:9], 1.0 op_sel_hi:[1,0]
	;;#ASMSTART
	v_pk_mul_f32 v[12:13], v[12:13], v[6:7]
	;;#ASMEND
	v_pk_add_f32 v[6:7], v[20:21], 1.0 op_sel_hi:[1,0]
	;;#ASMSTART
	v_pk_mul_f32 v[16:17], v[16:17], v[6:7]
	;;#ASMEND
	;;#ASMSTART
	v_pk_mul_f32 v[14:15], v[14:15], v[4:5]
	;;#ASMEND
	v_pk_add_f32 v[4:5], v[10:11], 1.0 op_sel_hi:[1,0]
	;;#ASMSTART
	v_pk_mul_f32 v[10:11], v[2:3], v[4:5]
	;;#ASMEND
	s_or_b64 exec, exec, s[18:19]
	s_mov_b64 s[18:19], -1
	s_and_b64 vcc, exec, s[2:3]
	s_cbranch_vccz .LBB219_13
.LBB219_17:
	s_and_saveexec_b64 s[2:3], s[0:1]
	s_cbranch_execz .LBB219_19
; %bb.18:
	s_waitcnt lgkmcnt(0)
	s_mul_hi_i32 s19, s28, s6
	s_mul_i32 s18, s28, s6
	s_waitcnt vmcnt(0)
	v_cvt_f16_f32_e32 v2, v12
	v_cvt_f16_f32_e32 v3, v16
	;; [unrolled: 1-line block ×8, first 2 shown]
	s_lshl_b64 s[18:19], s[18:19], 1
	s_add_u32 s24, s34, s18
	s_addc_u32 s7, s35, s19
	s_and_b32 s25, s7, 0xffff
	s_mov_b32 s27, 0x20000
	v_pack_b32_f16 v5, v5, v6
	v_pack_b32_f16 v4, v4, v7
	;; [unrolled: 1-line block ×4, first 2 shown]
	v_lshlrev_b32_e32 v6, 4, v0
	buffer_store_dwordx4 v[2:5], v6, s[24:27], 0 offen
	;;#ASMSTART
	s_nop 0
	;;#ASMEND
.LBB219_19:
	s_or_b64 exec, exec, s[2:3]
	s_cbranch_execnz .LBB219_14
.LBB219_20:
	s_waitcnt vmcnt(0)
	v_mov_b32_e32 v2, 0
	s_and_saveexec_b64 s[2:3], s[0:1]
	s_cbranch_execz .LBB219_22
; %bb.21:
	v_and_b32_e32 v2, 0x7fffffff, v12
	v_and_b32_e32 v3, 0x7fffffff, v13
	v_mov_b32_e32 v4, 0x2edbe6ff
	;;#ASMSTART
	v_max3_f32 v2, v4, v2, v3

	;;#ASMEND
	v_and_b32_e32 v3, 0x7fffffff, v16
	v_and_b32_e32 v4, 0x7fffffff, v17
	;;#ASMSTART
	v_max3_f32 v2, v2, v3, v4

	;;#ASMEND
	v_and_b32_e32 v3, 0x7fffffff, v14
	v_and_b32_e32 v4, 0x7fffffff, v15
	;; [unrolled: 6-line block ×3, first 2 shown]
	;;#ASMSTART
	v_max3_f32 v2, v2, v3, v4

	;;#ASMEND
.LBB219_22:
	s_or_b64 exec, exec, s[2:3]
	;;#ASMSTART
	v_max_f32 v3, v2, v2 quad_perm:[1,0,3,2] row_mask:0xf bank_mask:0xf bound_ctrl:1
	;;#ASMEND
	;;#ASMSTART
	v_max_f32 v2, v3, v3 quad_perm:[2,3,0,1] row_mask:0xf bank_mask:0xf bound_ctrl:1
	;;#ASMEND
	v_and_b32_e32 v3, 3, v0
	v_cmp_eq_u32_e32 vcc, 0, v3
	v_cmp_gt_i32_e64 s[2:3], s11, v1
	s_and_b64 s[18:19], vcc, s[2:3]
	s_and_saveexec_b64 s[2:3], s[18:19]
	s_cbranch_execz .LBB219_24
; %bb.23:
	s_load_dwordx2 s[18:19], s[4:5], 0x8
	v_mul_f32_e32 v2, 0x3e2aaaab, v2
	v_lshrrev_b32_e32 v3, 23, v2
	v_and_b32_e32 v4, 0x7f800000, v2
	v_and_b32_e32 v2, 0x7fffff, v2
	v_cmp_ne_u32_e32 vcc, 0, v2
	s_waitcnt lgkmcnt(0)
	s_mul_i32 s10, s21, s6
	s_mov_b32 s7, 0x7f800000
	v_addc_co_u32_e32 v2, vcc, 0, v3, vcc
	s_mul_hi_i32 s8, s21, s6
	s_add_u32 s18, s18, s10
	v_cmp_ne_u32_e32 vcc, s7, v4
	s_addc_u32 s19, s19, s8
	v_lshrrev_b32_e32 v5, 2, v0
	v_cndmask_b32_e32 v4, -1, v2, vcc
	v_pk_mov_b32 v[2:3], s[18:19], s[18:19] op_sel:[0,1]
	v_mad_i64_i32 v[2:3], s[18:19], s22, v5, v[2:3]
	global_store_byte v[2:3], v4, off
.LBB219_24:
	s_or_b64 exec, exec, s[2:3]
	s_and_saveexec_b64 s[2:3], s[0:1]
	s_cbranch_execz .LBB219_26
; %bb.25:
	s_load_dwordx2 s[0:1], s[4:5], 0x0
	s_waitcnt lgkmcnt(0)
	s_mul_i32 s8, s20, s6
	s_mul_hi_i32 s7, s20, s6
	v_lshlrev_b32_e32 v2, 2, v0
	s_mov_b32 s23, 0x20000
	s_add_u32 s20, s0, s8
	s_addc_u32 s0, s1, s7
	s_lshr_b32 s1, s11, 31
	s_add_i32 s1, s11, s1
	s_ashr_i32 s1, s1, 1
	s_add_i32 s1, s1, 3
	s_ashr_i32 s7, s1, 31
	s_lshr_b32 s7, s7, 30
	s_add_i32 s1, s1, s7
	s_and_b32 s22, s1, -4
	s_and_b32 s21, s0, 0xffff
	v_mov_b32_e32 v3, 0
	buffer_store_dword v3, v2, s[20:23], 0 offen
	;;#ASMSTART
	s_nop 0
	;;#ASMEND
.LBB219_26:
	s_or_b64 exec, exec, s[2:3]
	s_cmp_lt_i32 s12, 1
	s_cbranch_scc1 .LBB219_15
.LBB219_27:
	s_load_dword s0, s[4:5], 0x94
	s_waitcnt lgkmcnt(0)
	s_cmp_lg_u32 s0, 1
	s_cbranch_scc1 .LBB219_15
; %bb.28:
	s_lshl_b32 s0, s12, 1
	s_add_i32 s0, s0, 2
	v_cmp_gt_u32_e32 vcc, s12, v1
	s_and_b32 s18, s0, -4
	v_mov_b32_e32 v8, 0
	v_lshlrev_b32_e32 v16, 4, v0
	s_waitcnt vmcnt(0)
	v_mov_b32_e32 v4, 0
	v_mov_b32_e32 v5, 0
	;; [unrolled: 1-line block ×8, first 2 shown]
	s_barrier
	s_and_saveexec_b64 s[0:1], vcc
	s_cbranch_execz .LBB219_30
; %bb.29:
	s_mul_hi_i32 s3, s14, s6
	s_mul_i32 s2, s14, s6
	s_and_b32 s17, s17, 0xffff
	s_lshl_b64 s[2:3], s[2:3], 1
	s_add_u32 s20, s30, s2
	s_mov_b32 s19, 0x20000
	s_addc_u32 s2, s31, s3
	s_and_b32 s21, s2, 0xffff
	s_mov_b32 s22, s18
	s_mov_b32 s23, s19
	buffer_load_dwordx4 v[4:7], v16, s[20:23], 0 offen glc slc
	buffer_load_dwordx4 v[0:3], v16, s[16:19], 0 offen
.LBB219_30:
	s_or_b64 exec, exec, s[0:1]
	v_mov_b32_e32 v9, 0
	v_mov_b32_e32 v12, 0
	;; [unrolled: 1-line block ×7, first 2 shown]
	s_and_saveexec_b64 s[0:1], vcc
	s_cbranch_execz .LBB219_32
; %bb.31:
	s_waitcnt vmcnt(1)
	v_cvt_f32_f16_sdwa v9, v4 dst_sel:DWORD dst_unused:UNUSED_PAD src0_sel:WORD_1
	v_cvt_f32_f16_e32 v8, v4
	v_cvt_f32_f16_sdwa v13, v5 dst_sel:DWORD dst_unused:UNUSED_PAD src0_sel:WORD_1
	v_cvt_f32_f16_e32 v12, v5
	;; [unrolled: 2-line block ×4, first 2 shown]
.LBB219_32:
	s_or_b64 exec, exec, s[0:1]
	s_waitcnt vmcnt(1)
	v_mul_f32_e32 v4, v9, v9
	v_fmac_f32_e32 v4, v8, v8
	v_fmac_f32_e32 v4, v12, v12
	;; [unrolled: 1-line block ×7, first 2 shown]
	s_nop 1
	v_mov_b32_dpp v5, v4 quad_perm:[1,0,3,2] row_mask:0xf bank_mask:0xf
	v_add_f32_e32 v4, v4, v5
	s_nop 1
	v_mov_b32_dpp v5, v4 quad_perm:[2,3,0,1] row_mask:0xf bank_mask:0xf
	v_add_f32_e32 v4, v4, v5
	s_nop 1
	v_mov_b32_dpp v5, v4 row_half_mirror row_mask:0xf bank_mask:0xf
	v_add_f32_e32 v4, v4, v5
	s_nop 1
	v_mov_b32_dpp v5, v4 row_mirror row_mask:0xf bank_mask:0xf
	v_add_f32_e32 v4, v4, v5
	s_nop 1
	v_mov_b32_dpp v5, v4 row_bcast:15 row_mask:0xf bank_mask:0xf
	v_add_f32_e32 v4, v4, v5
	s_nop 1
	v_mov_b32_dpp v5, v4 row_bcast:31 row_mask:0xf bank_mask:0xf
	v_add_f32_e32 v4, v4, v5
	ds_bpermute_b32 v4, v18, v4
	s_and_saveexec_b64 s[0:1], vcc
	s_cbranch_execz .LBB219_15
; %bb.33:
	v_cvt_f32_u32_e32 v5, s12
	s_mov_b32 s19, 0x20000
	s_waitcnt lgkmcnt(0)
	v_div_scale_f32 v6, s[0:1], v5, v5, v4
	v_rcp_f32_e32 v7, v6
	v_div_scale_f32 v17, vcc, v4, v5, v4
	s_mov_b32 s0, 0x800000
	v_fma_f32 v18, -v6, v7, 1.0
	v_fmac_f32_e32 v7, v18, v7
	v_mul_f32_e32 v18, v17, v7
	v_fma_f32 v19, -v6, v18, v17
	v_fmac_f32_e32 v18, v19, v7
	v_fma_f32 v6, -v6, v18, v17
	v_div_fmas_f32 v6, v6, v7, v18
	v_div_fixup_f32 v4, v6, v5, v4
	v_add_f32_e32 v4, s9, v4
	v_mul_f32_e32 v5, 0x4b800000, v4
	v_cmp_gt_f32_e32 vcc, s0, v4
	v_cndmask_b32_e32 v4, v4, v5, vcc
	v_rsq_f32_e32 v4, v4
	s_waitcnt vmcnt(0)
	v_cvt_f32_f16_sdwa v5, v0 dst_sel:DWORD dst_unused:UNUSED_PAD src0_sel:WORD_1
	v_cvt_f32_f16_sdwa v19, v1 dst_sel:DWORD dst_unused:UNUSED_PAD src0_sel:WORD_1
	v_cvt_f32_f16_e32 v18, v1
	v_mul_f32_e32 v6, 0x45800000, v4
	v_cndmask_b32_e32 v6, v4, v6, vcc
	v_cvt_f32_f16_e32 v4, v0
	v_mov_b32_e32 v7, v6
	;;#ASMSTART
	v_pk_mul_f32 v[8:9], v[8:9], v[6:7]
	;;#ASMEND
	;;#ASMSTART
	v_pk_mul_f32 v[12:13], v[12:13], v[6:7]
	;;#ASMEND
	v_pk_add_f32 v[4:5], v[4:5], 1.0 op_sel_hi:[1,0]
	;;#ASMSTART
	v_pk_mul_f32 v[14:15], v[14:15], v[6:7]
	;;#ASMEND
	;;#ASMSTART
	v_pk_mul_f32 v[0:1], v[10:11], v[6:7]
	;;#ASMEND
	;; [unrolled: 3-line block ×3, first 2 shown]
	v_cvt_f32_f16_sdwa v9, v2 dst_sel:DWORD dst_unused:UNUSED_PAD src0_sel:WORD_1
	v_cvt_f32_f16_e32 v8, v2
	v_cvt_f32_f16_sdwa v11, v3 dst_sel:DWORD dst_unused:UNUSED_PAD src0_sel:WORD_1
	v_cvt_f32_f16_e32 v10, v3
	v_pk_add_f32 v[6:7], v[18:19], 1.0 op_sel_hi:[1,0]
	;;#ASMSTART
	v_pk_mul_f32 v[2:3], v[12:13], v[6:7]
	;;#ASMEND
	v_pk_add_f32 v[6:7], v[8:9], 1.0 op_sel_hi:[1,0]
	;;#ASMSTART
	v_pk_mul_f32 v[6:7], v[14:15], v[6:7]
	;;#ASMEND
	;; [unrolled: 4-line block ×3, first 2 shown]
	s_mul_hi_i32 s1, s28, s6
	s_mul_i32 s0, s28, s6
	v_cvt_f16_f32_e32 v4, v4
	v_cvt_f16_f32_e32 v5, v5
	;; [unrolled: 1-line block ×8, first 2 shown]
	s_lshl_b64 s[0:1], s[0:1], 1
	s_add_u32 s16, s34, s0
	s_addc_u32 s0, s35, s1
	s_and_b32 s17, s0, 0xffff
	v_pack_b32_f16 v0, v4, v5
	v_pack_b32_f16 v1, v2, v3
	;; [unrolled: 1-line block ×4, first 2 shown]
	buffer_store_dwordx4 v[0:3], v16, s[16:19], 0 offen
	;;#ASMSTART
	s_nop 0
	;;#ASMEND
	s_endpgm
	.section	.rodata,"a",@progbits
	.p2align	6, 0x0
	.amdhsa_kernel _ZN5aiter35fused_qk_rmsnorm_group_quant_kernelIDF16_N4opus5fp4_tELi64ELi8ELi4ELb1ELb0ELb1ELb0ELb0ELb0EEEvPT0_PvPT_S7_S7_PKS6_S9_S9_S9_S9_ffiiiiiiiiiiiii
		.amdhsa_group_segment_fixed_size 0
		.amdhsa_private_segment_fixed_size 0
		.amdhsa_kernarg_size 400
		.amdhsa_user_sgpr_count 6
		.amdhsa_user_sgpr_private_segment_buffer 1
		.amdhsa_user_sgpr_dispatch_ptr 0
		.amdhsa_user_sgpr_queue_ptr 0
		.amdhsa_user_sgpr_kernarg_segment_ptr 1
		.amdhsa_user_sgpr_dispatch_id 0
		.amdhsa_user_sgpr_flat_scratch_init 0
		.amdhsa_user_sgpr_kernarg_preload_length 0
		.amdhsa_user_sgpr_kernarg_preload_offset 0
		.amdhsa_user_sgpr_private_segment_size 0
		.amdhsa_uses_dynamic_stack 0
		.amdhsa_system_sgpr_private_segment_wavefront_offset 0
		.amdhsa_system_sgpr_workgroup_id_x 1
		.amdhsa_system_sgpr_workgroup_id_y 1
		.amdhsa_system_sgpr_workgroup_id_z 0
		.amdhsa_system_sgpr_workgroup_info 0
		.amdhsa_system_vgpr_workitem_id 0
		.amdhsa_next_free_vgpr 25
		.amdhsa_next_free_sgpr 40
		.amdhsa_accum_offset 28
		.amdhsa_reserve_vcc 1
		.amdhsa_reserve_flat_scratch 0
		.amdhsa_float_round_mode_32 0
		.amdhsa_float_round_mode_16_64 0
		.amdhsa_float_denorm_mode_32 3
		.amdhsa_float_denorm_mode_16_64 3
		.amdhsa_dx10_clamp 1
		.amdhsa_ieee_mode 1
		.amdhsa_fp16_overflow 0
		.amdhsa_tg_split 0
		.amdhsa_exception_fp_ieee_invalid_op 0
		.amdhsa_exception_fp_denorm_src 0
		.amdhsa_exception_fp_ieee_div_zero 0
		.amdhsa_exception_fp_ieee_overflow 0
		.amdhsa_exception_fp_ieee_underflow 0
		.amdhsa_exception_fp_ieee_inexact 0
		.amdhsa_exception_int_div_zero 0
	.end_amdhsa_kernel
	.section	.text._ZN5aiter35fused_qk_rmsnorm_group_quant_kernelIDF16_N4opus5fp4_tELi64ELi8ELi4ELb1ELb0ELb1ELb0ELb0ELb0EEEvPT0_PvPT_S7_S7_PKS6_S9_S9_S9_S9_ffiiiiiiiiiiiii,"axG",@progbits,_ZN5aiter35fused_qk_rmsnorm_group_quant_kernelIDF16_N4opus5fp4_tELi64ELi8ELi4ELb1ELb0ELb1ELb0ELb0ELb0EEEvPT0_PvPT_S7_S7_PKS6_S9_S9_S9_S9_ffiiiiiiiiiiiii,comdat
.Lfunc_end219:
	.size	_ZN5aiter35fused_qk_rmsnorm_group_quant_kernelIDF16_N4opus5fp4_tELi64ELi8ELi4ELb1ELb0ELb1ELb0ELb0ELb0EEEvPT0_PvPT_S7_S7_PKS6_S9_S9_S9_S9_ffiiiiiiiiiiiii, .Lfunc_end219-_ZN5aiter35fused_qk_rmsnorm_group_quant_kernelIDF16_N4opus5fp4_tELi64ELi8ELi4ELb1ELb0ELb1ELb0ELb0ELb0EEEvPT0_PvPT_S7_S7_PKS6_S9_S9_S9_S9_ffiiiiiiiiiiiii
                                        ; -- End function
	.section	.AMDGPU.csdata,"",@progbits
; Kernel info:
; codeLenInByte = 2608
; NumSgprs: 44
; NumVgprs: 25
; NumAgprs: 0
; TotalNumVgprs: 25
; ScratchSize: 0
; MemoryBound: 0
; FloatMode: 240
; IeeeMode: 1
; LDSByteSize: 0 bytes/workgroup (compile time only)
; SGPRBlocks: 5
; VGPRBlocks: 3
; NumSGPRsForWavesPerEU: 44
; NumVGPRsForWavesPerEU: 25
; AccumOffset: 28
; Occupancy: 8
; WaveLimiterHint : 0
; COMPUTE_PGM_RSRC2:SCRATCH_EN: 0
; COMPUTE_PGM_RSRC2:USER_SGPR: 6
; COMPUTE_PGM_RSRC2:TRAP_HANDLER: 0
; COMPUTE_PGM_RSRC2:TGID_X_EN: 1
; COMPUTE_PGM_RSRC2:TGID_Y_EN: 1
; COMPUTE_PGM_RSRC2:TGID_Z_EN: 0
; COMPUTE_PGM_RSRC2:TIDIG_COMP_CNT: 0
; COMPUTE_PGM_RSRC3_GFX90A:ACCUM_OFFSET: 6
; COMPUTE_PGM_RSRC3_GFX90A:TG_SPLIT: 0
	.section	.text._ZN5aiter35fused_qk_rmsnorm_group_quant_kernelItN4opus5fp4_tELi64ELi8ELi4ELb1ELb0ELb1ELb0ELb0ELb0EEEvPT0_PvPT_S7_S7_PKS6_S9_S9_S9_S9_ffiiiiiiiiiiiii,"axG",@progbits,_ZN5aiter35fused_qk_rmsnorm_group_quant_kernelItN4opus5fp4_tELi64ELi8ELi4ELb1ELb0ELb1ELb0ELb0ELb0EEEvPT0_PvPT_S7_S7_PKS6_S9_S9_S9_S9_ffiiiiiiiiiiiii,comdat
	.protected	_ZN5aiter35fused_qk_rmsnorm_group_quant_kernelItN4opus5fp4_tELi64ELi8ELi4ELb1ELb0ELb1ELb0ELb0ELb0EEEvPT0_PvPT_S7_S7_PKS6_S9_S9_S9_S9_ffiiiiiiiiiiiii ; -- Begin function _ZN5aiter35fused_qk_rmsnorm_group_quant_kernelItN4opus5fp4_tELi64ELi8ELi4ELb1ELb0ELb1ELb0ELb0ELb0EEEvPT0_PvPT_S7_S7_PKS6_S9_S9_S9_S9_ffiiiiiiiiiiiii
	.globl	_ZN5aiter35fused_qk_rmsnorm_group_quant_kernelItN4opus5fp4_tELi64ELi8ELi4ELb1ELb0ELb1ELb0ELb0ELb0EEEvPT0_PvPT_S7_S7_PKS6_S9_S9_S9_S9_ffiiiiiiiiiiiii
	.p2align	8
	.type	_ZN5aiter35fused_qk_rmsnorm_group_quant_kernelItN4opus5fp4_tELi64ELi8ELi4ELb1ELb0ELb1ELb0ELb0ELb0EEEvPT0_PvPT_S7_S7_PKS6_S9_S9_S9_S9_ffiiiiiiiiiiiii,@function
_ZN5aiter35fused_qk_rmsnorm_group_quant_kernelItN4opus5fp4_tELi64ELi8ELi4ELb1ELb0ELb1ELb0ELb0ELb0EEEvPT0_PvPT_S7_S7_PKS6_S9_S9_S9_S9_ffiiiiiiiiiiiii: ; @_ZN5aiter35fused_qk_rmsnorm_group_quant_kernelItN4opus5fp4_tELi64ELi8ELi4ELb1ELb0ELb1ELb0ELb0ELb0EEEvPT0_PvPT_S7_S7_PKS6_S9_S9_S9_S9_ffiiiiiiiiiiiii
; %bb.0:
	s_load_dwordx8 s[8:15], s[4:5], 0x50
	s_waitcnt lgkmcnt(0)
	s_cmp_ge_i32 s6, s10
	s_cbranch_scc1 .LBB220_15
; %bb.1:
	s_cmp_lg_u32 s7, 0
	s_cselect_b64 s[2:3], -1, 0
	s_cmp_eq_u32 s7, 0
	s_cselect_b64 s[24:25], -1, 0
	s_and_b64 s[0:1], s[24:25], exec
	s_load_dwordx2 s[16:17], s[4:5], 0x48
	s_load_dwordx2 s[30:31], s[4:5], 0x30
	s_load_dwordx4 s[20:23], s[4:5], 0x70
	s_cselect_b32 s7, s11, s12
	s_add_i32 s0, s7, 1
	s_lshr_b32 s1, s0, 31
	s_add_i32 s0, s0, s1
	s_lshl_b32 s0, s0, 1
	v_lshlrev_b32_e32 v1, 3, v0
	s_and_b32 s26, s0, -4
	v_cmp_gt_i32_e64 s[0:1], s7, v1
	v_mov_b32_e32 v10, 0
	v_mov_b32_e32 v11, 0
	;; [unrolled: 1-line block ×8, first 2 shown]
	s_and_saveexec_b64 s[18:19], s[0:1]
	s_cbranch_execz .LBB220_3
; %bb.2:
	s_load_dwordx2 s[28:29], s[4:5], 0x28
	s_load_dwordx2 s[34:35], s[4:5], 0x40
	s_and_b64 s[36:37], s[24:25], exec
	s_cselect_b32 s10, s13, s14
	s_mov_b32 s27, 0x20000
	s_waitcnt lgkmcnt(0)
	s_cselect_b32 s13, s29, s31
	s_cselect_b32 s23, s28, s30
	s_mul_hi_i32 s29, s10, s6
	s_mul_i32 s28, s10, s6
	s_lshl_b64 s[28:29], s[28:29], 1
	s_add_u32 s36, s23, s28
	s_addc_u32 s10, s13, s29
	s_and_b64 s[24:25], s[24:25], exec
	s_cselect_b32 s24, s34, s16
	s_cselect_b32 s13, s35, s17
	v_lshlrev_b32_e32 v2, 4, v0
	s_and_b32 s37, s10, 0xffff
	s_mov_b32 s38, s26
	s_mov_b32 s39, s27
	s_and_b32 s25, s13, 0xffff
	buffer_load_dwordx4 v[14:17], v2, s[36:39], 0 offen glc slc
	buffer_load_dwordx4 v[10:13], v2, s[24:27], 0 offen
.LBB220_3:
	s_or_b64 exec, exec, s[18:19]
	s_load_dwordx2 s[28:29], s[4:5], 0x80
	s_and_b64 vcc, exec, s[2:3]
	s_cbranch_vccz .LBB220_7
; %bb.4:
	s_mov_b32 s36, 0
	s_mov_b32 s37, s36
	;; [unrolled: 1-line block ×8, first 2 shown]
	v_pk_mov_b32 v[2:3], s[36:37], s[36:37] op_sel:[0,1]
	v_pk_mov_b32 v[4:5], s[38:39], s[38:39] op_sel:[0,1]
	;; [unrolled: 1-line block ×4, first 2 shown]
	s_and_saveexec_b64 s[18:19], s[0:1]
	s_cbranch_execz .LBB220_6
; %bb.5:
	s_waitcnt vmcnt(1)
	v_cvt_f32_u32_sdwa v3, v14 dst_sel:DWORD dst_unused:UNUSED_PAD src0_sel:WORD_1
	v_cvt_f32_u32_sdwa v2, v14 dst_sel:DWORD dst_unused:UNUSED_PAD src0_sel:WORD_0
	v_cvt_f32_u32_sdwa v5, v15 dst_sel:DWORD dst_unused:UNUSED_PAD src0_sel:WORD_1
	v_cvt_f32_u32_sdwa v4, v15 dst_sel:DWORD dst_unused:UNUSED_PAD src0_sel:WORD_0
	;; [unrolled: 2-line block ×4, first 2 shown]
.LBB220_6:
	s_or_b64 exec, exec, s[18:19]
	s_mov_b32 s10, s9
	s_cbranch_execz .LBB220_8
	s_branch .LBB220_11
.LBB220_7:
                                        ; implicit-def: $vgpr2_vgpr3_vgpr4_vgpr5_vgpr6_vgpr7_vgpr8_vgpr9
	s_mov_b32 s10, s9
.LBB220_8:
	s_mov_b32 s36, 0
	s_mov_b32 s37, s36
	;; [unrolled: 1-line block ×8, first 2 shown]
	v_pk_mov_b32 v[2:3], s[36:37], s[36:37] op_sel:[0,1]
	v_pk_mov_b32 v[4:5], s[38:39], s[38:39] op_sel:[0,1]
	;; [unrolled: 1-line block ×4, first 2 shown]
	s_and_saveexec_b64 s[18:19], s[0:1]
	s_cbranch_execz .LBB220_10
; %bb.9:
	s_load_dwordx2 s[24:25], s[4:5], 0x38
	s_mul_hi_i32 s35, s15, s6
	s_mul_i32 s34, s15, s6
	s_lshl_b64 s[34:35], s[34:35], 1
	s_mov_b32 s27, 0x20000
	s_waitcnt lgkmcnt(0)
	s_add_u32 s24, s24, s34
	s_addc_u32 s10, s25, s35
	s_and_b32 s25, s10, 0xffff
	v_lshlrev_b32_e32 v26, 4, v0
	buffer_load_dwordx4 v[2:5], v26, s[24:27], 0 offen glc slc
	s_load_dwordx2 s[24:25], s[4:5], 0x20
	s_waitcnt vmcnt(2)
	v_cvt_f32_u32_sdwa v7, v14 dst_sel:DWORD dst_unused:UNUSED_PAD src0_sel:WORD_1
	v_cvt_f32_u32_sdwa v6, v14 dst_sel:DWORD dst_unused:UNUSED_PAD src0_sel:WORD_0
	v_cvt_f32_u32_sdwa v9, v15 dst_sel:DWORD dst_unused:UNUSED_PAD src0_sel:WORD_1
	v_cvt_f32_u32_sdwa v8, v15 dst_sel:DWORD dst_unused:UNUSED_PAD src0_sel:WORD_0
	;; [unrolled: 2-line block ×4, first 2 shown]
	s_mul_hi_i32 s35, s29, s6
	s_mul_i32 s34, s29, s6
	s_lshl_b64 s[34:35], s[34:35], 1
	s_waitcnt lgkmcnt(0)
	s_add_u32 s24, s24, s34
	s_mov_b32 s10, 0x7060302
	s_addc_u32 s13, s25, s35
	s_and_b32 s25, s13, 0xffff
	s_waitcnt vmcnt(0)
	v_cvt_f32_u32_sdwa v17, v2 dst_sel:DWORD dst_unused:UNUSED_PAD src0_sel:WORD_1
	v_cvt_f32_u32_sdwa v16, v2 dst_sel:DWORD dst_unused:UNUSED_PAD src0_sel:WORD_0
	v_cvt_f32_u32_sdwa v21, v3 dst_sel:DWORD dst_unused:UNUSED_PAD src0_sel:WORD_1
	v_cvt_f32_u32_sdwa v20, v3 dst_sel:DWORD dst_unused:UNUSED_PAD src0_sel:WORD_0
	;; [unrolled: 2-line block ×4, first 2 shown]
	v_pk_add_f32 v[2:3], v[6:7], v[16:17]
	v_pk_add_f32 v[4:5], v[8:9], v[20:21]
	;; [unrolled: 1-line block ×4, first 2 shown]
	v_perm_b32 v17, v9, v8, s10
	v_perm_b32 v16, v7, v6, s10
	v_perm_b32 v15, v5, v4, s10
	v_perm_b32 v14, v3, v2, s10
	buffer_store_dwordx4 v[14:17], v26, s[24:27], 0 offen glc slc
	;;#ASMSTART
	s_nop 0
	;;#ASMEND
.LBB220_10:
	s_or_b64 exec, exec, s[18:19]
	s_mov_b32 s10, s8
.LBB220_11:
	s_waitcnt vmcnt(1)
	v_mul_f32_e32 v14, v3, v3
	v_fmac_f32_e32 v14, v2, v2
	v_fmac_f32_e32 v14, v4, v4
	;; [unrolled: 1-line block ×7, first 2 shown]
	v_bfrev_b32_e32 v16, 0.5
	s_load_dwordx2 s[34:35], s[4:5], 0x18
	v_mov_b32_dpp v15, v14 quad_perm:[1,0,3,2] row_mask:0xf bank_mask:0xf
	v_add_f32_e32 v14, v14, v15
	s_nop 1
	v_mov_b32_dpp v15, v14 quad_perm:[2,3,0,1] row_mask:0xf bank_mask:0xf
	v_add_f32_e32 v14, v14, v15
	s_nop 1
	v_mov_b32_dpp v15, v14 row_half_mirror row_mask:0xf bank_mask:0xf
	v_add_f32_e32 v14, v14, v15
	s_nop 1
	v_mov_b32_dpp v15, v14 row_mirror row_mask:0xf bank_mask:0xf
	v_add_f32_e32 v14, v14, v15
	s_nop 1
	v_mov_b32_dpp v15, v14 row_bcast:15 row_mask:0xf bank_mask:0xf
	v_add_f32_e32 v14, v14, v15
	s_nop 1
	v_mov_b32_dpp v15, v14 row_bcast:31 row_mask:0xf bank_mask:0xf
	v_add_f32_e32 v15, v14, v15
	v_mbcnt_lo_u32_b32 v14, -1, 0
	v_mbcnt_hi_u32_b32 v14, -1, v14
	v_lshl_or_b32 v14, v14, 2, v16
	ds_bpermute_b32 v15, v14, v15
	s_and_saveexec_b64 s[18:19], s[0:1]
	s_cbranch_execnz .LBB220_16
; %bb.12:
	s_or_b64 exec, exec, s[18:19]
	s_mov_b64 s[18:19], -1
	s_and_b64 vcc, exec, s[2:3]
	s_cbranch_vccnz .LBB220_17
.LBB220_13:
	s_andn2_b64 vcc, exec, s[18:19]
	s_cbranch_vccz .LBB220_20
.LBB220_14:
	s_cmp_lt_i32 s12, 1
	s_cbranch_scc0 .LBB220_27
.LBB220_15:
	s_endpgm
.LBB220_16:
	v_cvt_f32_u32_e32 v16, s7
	s_mov_b32 s7, 0x800000
	s_waitcnt lgkmcnt(0)
	v_div_scale_f32 v17, s[24:25], v16, v16, v15
	v_rcp_f32_e32 v18, v17
	v_div_scale_f32 v19, vcc, v15, v16, v15
	v_fma_f32 v20, -v17, v18, 1.0
	v_fmac_f32_e32 v18, v20, v18
	v_mul_f32_e32 v20, v19, v18
	v_fma_f32 v21, -v17, v20, v19
	v_fmac_f32_e32 v20, v21, v18
	v_fma_f32 v17, -v17, v20, v19
	v_div_fmas_f32 v17, v17, v18, v20
	v_div_fixup_f32 v15, v17, v16, v15
	v_add_f32_e32 v15, s10, v15
	v_mul_f32_e32 v16, 0x4b800000, v15
	v_cmp_gt_f32_e32 vcc, s7, v15
	v_cndmask_b32_e32 v15, v15, v16, vcc
	v_rsq_f32_e32 v15, v15
	s_waitcnt vmcnt(0)
	v_cvt_f32_u32_sdwa v17, v10 dst_sel:DWORD dst_unused:UNUSED_PAD src0_sel:WORD_1
	v_cvt_f32_u32_sdwa v21, v11 dst_sel:DWORD dst_unused:UNUSED_PAD src0_sel:WORD_1
	v_cvt_f32_u32_sdwa v20, v11 dst_sel:DWORD dst_unused:UNUSED_PAD src0_sel:WORD_0
	v_mul_f32_e32 v16, 0x45800000, v15
	v_cndmask_b32_e32 v18, v15, v16, vcc
	v_cvt_f32_u32_sdwa v16, v10 dst_sel:DWORD dst_unused:UNUSED_PAD src0_sel:WORD_0
	v_mov_b32_e32 v19, v18
	;;#ASMSTART
	v_pk_mul_f32 v[2:3], v[2:3], v[18:19]
	;;#ASMEND
	;;#ASMSTART
	v_pk_mul_f32 v[4:5], v[4:5], v[18:19]
	;;#ASMEND
	v_pk_add_f32 v[10:11], v[16:17], 1.0 op_sel_hi:[1,0]
	v_cvt_f32_u32_sdwa v17, v12 dst_sel:DWORD dst_unused:UNUSED_PAD src0_sel:WORD_1
	v_cvt_f32_u32_sdwa v16, v12 dst_sel:DWORD dst_unused:UNUSED_PAD src0_sel:WORD_0
	;;#ASMSTART
	v_pk_mul_f32 v[6:7], v[6:7], v[18:19]
	;;#ASMEND
	;;#ASMSTART
	v_pk_mul_f32 v[8:9], v[8:9], v[18:19]
	;;#ASMEND
	v_cvt_f32_u32_sdwa v19, v13 dst_sel:DWORD dst_unused:UNUSED_PAD src0_sel:WORD_1
	v_cvt_f32_u32_sdwa v18, v13 dst_sel:DWORD dst_unused:UNUSED_PAD src0_sel:WORD_0
	;;#ASMSTART
	v_pk_mul_f32 v[2:3], v[2:3], v[10:11]
	;;#ASMEND
	v_pk_add_f32 v[10:11], v[20:21], 1.0 op_sel_hi:[1,0]
	;;#ASMSTART
	v_pk_mul_f32 v[4:5], v[4:5], v[10:11]
	;;#ASMEND
	v_pk_add_f32 v[10:11], v[16:17], 1.0 op_sel_hi:[1,0]
	;;#ASMSTART
	v_pk_mul_f32 v[6:7], v[6:7], v[10:11]
	;;#ASMEND
	v_pk_add_f32 v[10:11], v[18:19], 1.0 op_sel_hi:[1,0]
	;;#ASMSTART
	v_pk_mul_f32 v[8:9], v[8:9], v[10:11]
	;;#ASMEND
	s_or_b64 exec, exec, s[18:19]
	s_mov_b64 s[18:19], -1
	s_and_b64 vcc, exec, s[2:3]
	s_cbranch_vccz .LBB220_13
.LBB220_17:
	s_and_saveexec_b64 s[2:3], s[0:1]
	s_cbranch_execz .LBB220_19
; %bb.18:
	s_waitcnt lgkmcnt(0)
	s_mul_hi_i32 s19, s28, s6
	s_mul_i32 s18, s28, s6
	s_lshl_b64 s[18:19], s[18:19], 1
	s_add_u32 s24, s34, s18
	s_addc_u32 s7, s35, s19
	s_and_b32 s25, s7, 0xffff
	s_mov_b32 s7, 0x7060302
	s_mov_b32 s27, 0x20000
	s_waitcnt vmcnt(0)
	v_perm_b32 v10, v3, v2, s7
	v_perm_b32 v11, v5, v4, s7
	v_perm_b32 v12, v7, v6, s7
	v_perm_b32 v13, v9, v8, s7
	v_lshlrev_b32_e32 v15, 4, v0
	buffer_store_dwordx4 v[10:13], v15, s[24:27], 0 offen
	;;#ASMSTART
	s_nop 0
	;;#ASMEND
.LBB220_19:
	s_or_b64 exec, exec, s[2:3]
	s_cbranch_execnz .LBB220_14
.LBB220_20:
	s_waitcnt vmcnt(0)
	v_mov_b32_e32 v10, 0
	s_and_saveexec_b64 s[2:3], s[0:1]
	s_cbranch_execz .LBB220_22
; %bb.21:
	v_and_b32_e32 v2, 0x7fffffff, v2
	v_and_b32_e32 v3, 0x7fffffff, v3
	v_mov_b32_e32 v10, 0x2edbe6ff
	;;#ASMSTART
	v_max3_f32 v2, v10, v2, v3

	;;#ASMEND
	v_and_b32_e32 v3, 0x7fffffff, v4
	v_and_b32_e32 v4, 0x7fffffff, v5
	;;#ASMSTART
	v_max3_f32 v2, v2, v3, v4

	;;#ASMEND
	v_and_b32_e32 v3, 0x7fffffff, v6
	v_and_b32_e32 v4, 0x7fffffff, v7
	;; [unrolled: 6-line block ×3, first 2 shown]
	;;#ASMSTART
	v_max3_f32 v10, v2, v3, v4

	;;#ASMEND
.LBB220_22:
	s_or_b64 exec, exec, s[2:3]
	;;#ASMSTART
	v_max_f32 v3, v10, v10 quad_perm:[1,0,3,2] row_mask:0xf bank_mask:0xf bound_ctrl:1
	;;#ASMEND
	;;#ASMSTART
	v_max_f32 v2, v3, v3 quad_perm:[2,3,0,1] row_mask:0xf bank_mask:0xf bound_ctrl:1
	;;#ASMEND
	v_and_b32_e32 v3, 3, v0
	v_cmp_eq_u32_e32 vcc, 0, v3
	v_cmp_gt_i32_e64 s[2:3], s11, v1
	s_and_b64 s[18:19], vcc, s[2:3]
	s_and_saveexec_b64 s[2:3], s[18:19]
	s_cbranch_execz .LBB220_24
; %bb.23:
	s_load_dwordx2 s[18:19], s[4:5], 0x8
	v_mul_f32_e32 v2, 0x3e2aaaab, v2
	v_lshrrev_b32_e32 v3, 23, v2
	v_and_b32_e32 v4, 0x7f800000, v2
	v_and_b32_e32 v2, 0x7fffff, v2
	v_cmp_ne_u32_e32 vcc, 0, v2
	s_waitcnt lgkmcnt(0)
	s_mul_i32 s10, s21, s6
	s_mov_b32 s7, 0x7f800000
	v_addc_co_u32_e32 v2, vcc, 0, v3, vcc
	s_mul_hi_i32 s8, s21, s6
	s_add_u32 s18, s18, s10
	v_cmp_ne_u32_e32 vcc, s7, v4
	s_addc_u32 s19, s19, s8
	v_lshrrev_b32_e32 v5, 2, v0
	v_cndmask_b32_e32 v4, -1, v2, vcc
	v_pk_mov_b32 v[2:3], s[18:19], s[18:19] op_sel:[0,1]
	v_mad_i64_i32 v[2:3], s[18:19], s22, v5, v[2:3]
	global_store_byte v[2:3], v4, off
.LBB220_24:
	s_or_b64 exec, exec, s[2:3]
	s_and_saveexec_b64 s[2:3], s[0:1]
	s_cbranch_execz .LBB220_26
; %bb.25:
	s_load_dwordx2 s[0:1], s[4:5], 0x0
	s_waitcnt lgkmcnt(0)
	s_mul_i32 s8, s20, s6
	s_mul_hi_i32 s7, s20, s6
	v_lshlrev_b32_e32 v2, 2, v0
	s_mov_b32 s23, 0x20000
	s_add_u32 s20, s0, s8
	s_addc_u32 s0, s1, s7
	s_lshr_b32 s1, s11, 31
	s_add_i32 s1, s11, s1
	s_ashr_i32 s1, s1, 1
	s_add_i32 s1, s1, 3
	s_ashr_i32 s7, s1, 31
	s_lshr_b32 s7, s7, 30
	s_add_i32 s1, s1, s7
	s_and_b32 s22, s1, -4
	s_and_b32 s21, s0, 0xffff
	v_mov_b32_e32 v3, 0
	buffer_store_dword v3, v2, s[20:23], 0 offen
	;;#ASMSTART
	s_nop 0
	;;#ASMEND
.LBB220_26:
	s_or_b64 exec, exec, s[2:3]
	s_cmp_lt_i32 s12, 1
	s_cbranch_scc1 .LBB220_15
.LBB220_27:
	s_load_dword s0, s[4:5], 0x94
	s_waitcnt lgkmcnt(0)
	s_cmp_lg_u32 s0, 1
	s_cbranch_scc1 .LBB220_15
; %bb.28:
	s_lshl_b32 s0, s12, 1
	s_add_i32 s0, s0, 2
	v_cmp_gt_u32_e32 vcc, s12, v1
	s_and_b32 s18, s0, -4
	v_mov_b32_e32 v4, 0
	s_waitcnt vmcnt(0)
	v_lshlrev_b32_e32 v12, 4, v0
	v_mov_b32_e32 v5, 0
	v_mov_b32_e32 v6, 0
	;; [unrolled: 1-line block ×7, first 2 shown]
	s_barrier
	s_and_saveexec_b64 s[0:1], vcc
	s_cbranch_execz .LBB220_30
; %bb.29:
	s_mul_hi_i32 s3, s14, s6
	s_mul_i32 s2, s14, s6
	s_and_b32 s17, s17, 0xffff
	s_lshl_b64 s[2:3], s[2:3], 1
	s_add_u32 s20, s30, s2
	s_mov_b32 s19, 0x20000
	s_addc_u32 s2, s31, s3
	s_and_b32 s21, s2, 0xffff
	s_mov_b32 s22, s18
	s_mov_b32 s23, s19
	buffer_load_dwordx4 v[4:7], v12, s[20:23], 0 offen glc slc
	buffer_load_dwordx4 v[0:3], v12, s[16:19], 0 offen
.LBB220_30:
	s_or_b64 exec, exec, s[0:1]
	s_waitcnt vmcnt(1)
	v_cvt_f32_u32_sdwa v11, v4 dst_sel:DWORD dst_unused:UNUSED_PAD src0_sel:WORD_1
	v_cvt_f32_u32_sdwa v10, v4 dst_sel:DWORD dst_unused:UNUSED_PAD src0_sel:WORD_0
	v_cvt_f32_u32_sdwa v4, v7 dst_sel:DWORD dst_unused:UNUSED_PAD src0_sel:WORD_1
	v_cvt_f32_u32_sdwa v7, v7 dst_sel:DWORD dst_unused:UNUSED_PAD src0_sel:WORD_0
	;; [unrolled: 2-line block ×4, first 2 shown]
	v_cndmask_b32_e32 v11, 0, v11, vcc
	v_cndmask_b32_e32 v5, 0, v4, vcc
	;; [unrolled: 1-line block ×5, first 2 shown]
	v_mul_f32_e32 v13, v11, v11
	v_cndmask_b32_e32 v8, 0, v8, vcc
	v_fmac_f32_e32 v13, v10, v10
	v_cndmask_b32_e32 v9, 0, v9, vcc
	v_fmac_f32_e32 v13, v8, v8
	;; [unrolled: 2-line block ×3, first 2 shown]
	v_fmac_f32_e32 v13, v6, v6
	v_fmac_f32_e32 v13, v7, v7
	v_fmac_f32_e32 v13, v4, v4
	v_fmac_f32_e32 v13, v5, v5
	s_nop 1
	v_mov_b32_dpp v15, v13 quad_perm:[1,0,3,2] row_mask:0xf bank_mask:0xf
	v_add_f32_e32 v13, v13, v15
	s_nop 1
	v_mov_b32_dpp v15, v13 quad_perm:[2,3,0,1] row_mask:0xf bank_mask:0xf
	v_add_f32_e32 v13, v13, v15
	s_nop 1
	v_mov_b32_dpp v15, v13 row_half_mirror row_mask:0xf bank_mask:0xf
	v_add_f32_e32 v13, v13, v15
	s_nop 1
	v_mov_b32_dpp v15, v13 row_mirror row_mask:0xf bank_mask:0xf
	v_add_f32_e32 v13, v13, v15
	s_nop 1
	v_mov_b32_dpp v15, v13 row_bcast:15 row_mask:0xf bank_mask:0xf
	v_add_f32_e32 v13, v13, v15
	s_nop 1
	v_mov_b32_dpp v15, v13 row_bcast:31 row_mask:0xf bank_mask:0xf
	v_add_f32_e32 v13, v13, v15
	ds_bpermute_b32 v13, v14, v13
	s_and_saveexec_b64 s[0:1], vcc
	s_cbranch_execz .LBB220_15
; %bb.31:
	v_cvt_f32_u32_e32 v14, s12
	s_mov_b32 s19, 0x20000
	s_waitcnt lgkmcnt(0)
	v_div_scale_f32 v15, s[0:1], v14, v14, v13
	v_rcp_f32_e32 v16, v15
	v_div_scale_f32 v17, vcc, v13, v14, v13
	s_mov_b32 s0, 0x800000
	v_fma_f32 v18, -v15, v16, 1.0
	v_fmac_f32_e32 v16, v18, v16
	v_mul_f32_e32 v18, v17, v16
	v_fma_f32 v19, -v15, v18, v17
	v_fmac_f32_e32 v18, v19, v16
	v_fma_f32 v15, -v15, v18, v17
	v_div_fmas_f32 v15, v15, v16, v18
	v_div_fixup_f32 v13, v15, v14, v13
	v_add_f32_e32 v13, s9, v13
	v_mul_f32_e32 v14, 0x4b800000, v13
	v_cmp_gt_f32_e32 vcc, s0, v13
	v_cndmask_b32_e32 v13, v13, v14, vcc
	v_rsq_f32_e32 v13, v13
	s_waitcnt vmcnt(0)
	v_cvt_f32_u32_sdwa v15, v0 dst_sel:DWORD dst_unused:UNUSED_PAD src0_sel:WORD_1
	v_cvt_f32_u32_sdwa v19, v1 dst_sel:DWORD dst_unused:UNUSED_PAD src0_sel:WORD_1
	v_cvt_f32_u32_sdwa v18, v1 dst_sel:DWORD dst_unused:UNUSED_PAD src0_sel:WORD_0
	v_mul_f32_e32 v14, 0x45800000, v13
	v_cndmask_b32_e32 v16, v13, v14, vcc
	v_cvt_f32_u32_sdwa v14, v0 dst_sel:DWORD dst_unused:UNUSED_PAD src0_sel:WORD_0
	v_mov_b32_e32 v17, v16
	;;#ASMSTART
	v_pk_mul_f32 v[10:11], v[10:11], v[16:17]
	;;#ASMEND
	;;#ASMSTART
	v_pk_mul_f32 v[8:9], v[8:9], v[16:17]
	;;#ASMEND
	;; [unrolled: 3-line block ×4, first 2 shown]
	v_pk_add_f32 v[4:5], v[14:15], 1.0 op_sel_hi:[1,0]
	v_cvt_f32_u32_sdwa v15, v2 dst_sel:DWORD dst_unused:UNUSED_PAD src0_sel:WORD_1
	v_cvt_f32_u32_sdwa v14, v2 dst_sel:DWORD dst_unused:UNUSED_PAD src0_sel:WORD_0
	v_cvt_f32_u32_sdwa v17, v3 dst_sel:DWORD dst_unused:UNUSED_PAD src0_sel:WORD_1
	v_cvt_f32_u32_sdwa v16, v3 dst_sel:DWORD dst_unused:UNUSED_PAD src0_sel:WORD_0
	s_mul_hi_i32 s1, s28, s6
	s_mul_i32 s0, s28, s6
	s_lshl_b64 s[0:1], s[0:1], 1
	s_add_u32 s16, s34, s0
	;;#ASMSTART
	v_pk_mul_f32 v[4:5], v[10:11], v[4:5]
	;;#ASMEND
	v_pk_add_f32 v[10:11], v[18:19], 1.0 op_sel_hi:[1,0]
	;;#ASMSTART
	v_pk_mul_f32 v[2:3], v[8:9], v[10:11]
	;;#ASMEND
	v_pk_add_f32 v[8:9], v[14:15], 1.0 op_sel_hi:[1,0]
	s_addc_u32 s0, s35, s1
	;;#ASMSTART
	v_pk_mul_f32 v[6:7], v[6:7], v[8:9]
	;;#ASMEND
	v_pk_add_f32 v[8:9], v[16:17], 1.0 op_sel_hi:[1,0]
	s_and_b32 s17, s0, 0xffff
	s_mov_b32 s0, 0x7060302
	;;#ASMSTART
	v_pk_mul_f32 v[8:9], v[0:1], v[8:9]
	;;#ASMEND
	v_perm_b32 v0, v5, v4, s0
	v_perm_b32 v1, v3, v2, s0
	;; [unrolled: 1-line block ×4, first 2 shown]
	buffer_store_dwordx4 v[0:3], v12, s[16:19], 0 offen
	;;#ASMSTART
	s_nop 0
	;;#ASMEND
	s_endpgm
	.section	.rodata,"a",@progbits
	.p2align	6, 0x0
	.amdhsa_kernel _ZN5aiter35fused_qk_rmsnorm_group_quant_kernelItN4opus5fp4_tELi64ELi8ELi4ELb1ELb0ELb1ELb0ELb0ELb0EEEvPT0_PvPT_S7_S7_PKS6_S9_S9_S9_S9_ffiiiiiiiiiiiii
		.amdhsa_group_segment_fixed_size 0
		.amdhsa_private_segment_fixed_size 0
		.amdhsa_kernarg_size 400
		.amdhsa_user_sgpr_count 6
		.amdhsa_user_sgpr_private_segment_buffer 1
		.amdhsa_user_sgpr_dispatch_ptr 0
		.amdhsa_user_sgpr_queue_ptr 0
		.amdhsa_user_sgpr_kernarg_segment_ptr 1
		.amdhsa_user_sgpr_dispatch_id 0
		.amdhsa_user_sgpr_flat_scratch_init 0
		.amdhsa_user_sgpr_kernarg_preload_length 0
		.amdhsa_user_sgpr_kernarg_preload_offset 0
		.amdhsa_user_sgpr_private_segment_size 0
		.amdhsa_uses_dynamic_stack 0
		.amdhsa_system_sgpr_private_segment_wavefront_offset 0
		.amdhsa_system_sgpr_workgroup_id_x 1
		.amdhsa_system_sgpr_workgroup_id_y 1
		.amdhsa_system_sgpr_workgroup_id_z 0
		.amdhsa_system_sgpr_workgroup_info 0
		.amdhsa_system_vgpr_workitem_id 0
		.amdhsa_next_free_vgpr 27
		.amdhsa_next_free_sgpr 44
		.amdhsa_accum_offset 28
		.amdhsa_reserve_vcc 1
		.amdhsa_reserve_flat_scratch 0
		.amdhsa_float_round_mode_32 0
		.amdhsa_float_round_mode_16_64 0
		.amdhsa_float_denorm_mode_32 3
		.amdhsa_float_denorm_mode_16_64 3
		.amdhsa_dx10_clamp 1
		.amdhsa_ieee_mode 1
		.amdhsa_fp16_overflow 0
		.amdhsa_tg_split 0
		.amdhsa_exception_fp_ieee_invalid_op 0
		.amdhsa_exception_fp_denorm_src 0
		.amdhsa_exception_fp_ieee_div_zero 0
		.amdhsa_exception_fp_ieee_overflow 0
		.amdhsa_exception_fp_ieee_underflow 0
		.amdhsa_exception_fp_ieee_inexact 0
		.amdhsa_exception_int_div_zero 0
	.end_amdhsa_kernel
	.section	.text._ZN5aiter35fused_qk_rmsnorm_group_quant_kernelItN4opus5fp4_tELi64ELi8ELi4ELb1ELb0ELb1ELb0ELb0ELb0EEEvPT0_PvPT_S7_S7_PKS6_S9_S9_S9_S9_ffiiiiiiiiiiiii,"axG",@progbits,_ZN5aiter35fused_qk_rmsnorm_group_quant_kernelItN4opus5fp4_tELi64ELi8ELi4ELb1ELb0ELb1ELb0ELb0ELb0EEEvPT0_PvPT_S7_S7_PKS6_S9_S9_S9_S9_ffiiiiiiiiiiiii,comdat
.Lfunc_end220:
	.size	_ZN5aiter35fused_qk_rmsnorm_group_quant_kernelItN4opus5fp4_tELi64ELi8ELi4ELb1ELb0ELb1ELb0ELb0ELb0EEEvPT0_PvPT_S7_S7_PKS6_S9_S9_S9_S9_ffiiiiiiiiiiiii, .Lfunc_end220-_ZN5aiter35fused_qk_rmsnorm_group_quant_kernelItN4opus5fp4_tELi64ELi8ELi4ELb1ELb0ELb1ELb0ELb0ELb0EEEvPT0_PvPT_S7_S7_PKS6_S9_S9_S9_S9_ffiiiiiiiiiiiii
                                        ; -- End function
	.section	.AMDGPU.csdata,"",@progbits
; Kernel info:
; codeLenInByte = 2680
; NumSgprs: 48
; NumVgprs: 27
; NumAgprs: 0
; TotalNumVgprs: 27
; ScratchSize: 0
; MemoryBound: 0
; FloatMode: 240
; IeeeMode: 1
; LDSByteSize: 0 bytes/workgroup (compile time only)
; SGPRBlocks: 5
; VGPRBlocks: 3
; NumSGPRsForWavesPerEU: 48
; NumVGPRsForWavesPerEU: 27
; AccumOffset: 28
; Occupancy: 8
; WaveLimiterHint : 0
; COMPUTE_PGM_RSRC2:SCRATCH_EN: 0
; COMPUTE_PGM_RSRC2:USER_SGPR: 6
; COMPUTE_PGM_RSRC2:TRAP_HANDLER: 0
; COMPUTE_PGM_RSRC2:TGID_X_EN: 1
; COMPUTE_PGM_RSRC2:TGID_Y_EN: 1
; COMPUTE_PGM_RSRC2:TGID_Z_EN: 0
; COMPUTE_PGM_RSRC2:TIDIG_COMP_CNT: 0
; COMPUTE_PGM_RSRC3_GFX90A:ACCUM_OFFSET: 6
; COMPUTE_PGM_RSRC3_GFX90A:TG_SPLIT: 0
	.section	.text._ZN5aiter35fused_qk_rmsnorm_group_quant_kernelIDF16_DB8_Li64ELi8ELi4ELb1ELb0ELb0ELb0ELb0ELb0EEEvPT0_PvPT_S6_S6_PKS5_S8_S8_S8_S8_ffiiiiiiiiiiiii,"axG",@progbits,_ZN5aiter35fused_qk_rmsnorm_group_quant_kernelIDF16_DB8_Li64ELi8ELi4ELb1ELb0ELb0ELb0ELb0ELb0EEEvPT0_PvPT_S6_S6_PKS5_S8_S8_S8_S8_ffiiiiiiiiiiiii,comdat
	.protected	_ZN5aiter35fused_qk_rmsnorm_group_quant_kernelIDF16_DB8_Li64ELi8ELi4ELb1ELb0ELb0ELb0ELb0ELb0EEEvPT0_PvPT_S6_S6_PKS5_S8_S8_S8_S8_ffiiiiiiiiiiiii ; -- Begin function _ZN5aiter35fused_qk_rmsnorm_group_quant_kernelIDF16_DB8_Li64ELi8ELi4ELb1ELb0ELb0ELb0ELb0ELb0EEEvPT0_PvPT_S6_S6_PKS5_S8_S8_S8_S8_ffiiiiiiiiiiiii
	.globl	_ZN5aiter35fused_qk_rmsnorm_group_quant_kernelIDF16_DB8_Li64ELi8ELi4ELb1ELb0ELb0ELb0ELb0ELb0EEEvPT0_PvPT_S6_S6_PKS5_S8_S8_S8_S8_ffiiiiiiiiiiiii
	.p2align	8
	.type	_ZN5aiter35fused_qk_rmsnorm_group_quant_kernelIDF16_DB8_Li64ELi8ELi4ELb1ELb0ELb0ELb0ELb0ELb0EEEvPT0_PvPT_S6_S6_PKS5_S8_S8_S8_S8_ffiiiiiiiiiiiii,@function
_ZN5aiter35fused_qk_rmsnorm_group_quant_kernelIDF16_DB8_Li64ELi8ELi4ELb1ELb0ELb0ELb0ELb0ELb0EEEvPT0_PvPT_S6_S6_PKS5_S8_S8_S8_S8_ffiiiiiiiiiiiii: ; @_ZN5aiter35fused_qk_rmsnorm_group_quant_kernelIDF16_DB8_Li64ELi8ELi4ELb1ELb0ELb0ELb0ELb0ELb0EEEvPT0_PvPT_S6_S6_PKS5_S8_S8_S8_S8_ffiiiiiiiiiiiii
; %bb.0:
	s_load_dwordx8 s[8:15], s[4:5], 0x50
	s_waitcnt lgkmcnt(0)
	s_cmp_ge_i32 s6, s10
	s_cbranch_scc1 .LBB221_15
; %bb.1:
	s_cmp_lg_u32 s7, 0
	s_cselect_b64 s[2:3], -1, 0
	s_cmp_eq_u32 s7, 0
	s_cselect_b64 s[24:25], -1, 0
	s_and_b64 s[0:1], s[24:25], exec
	s_load_dwordx2 s[16:17], s[4:5], 0x48
	s_load_dwordx2 s[30:31], s[4:5], 0x30
	s_load_dwordx4 s[20:23], s[4:5], 0x70
	s_cselect_b32 s7, s11, s12
	s_add_i32 s0, s7, 1
	s_lshr_b32 s1, s0, 31
	s_add_i32 s0, s0, s1
	s_lshl_b32 s0, s0, 1
	v_lshlrev_b32_e32 v1, 3, v0
	s_and_b32 s26, s0, -4
	v_cmp_gt_i32_e64 s[0:1], s7, v1
	v_mov_b32_e32 v24, 0
	v_mov_b32_e32 v25, 0
	;; [unrolled: 1-line block ×8, first 2 shown]
	s_and_saveexec_b64 s[18:19], s[0:1]
	s_cbranch_execz .LBB221_3
; %bb.2:
	s_load_dwordx2 s[28:29], s[4:5], 0x28
	s_load_dwordx2 s[34:35], s[4:5], 0x40
	s_and_b64 s[36:37], s[24:25], exec
	s_cselect_b32 s10, s13, s14
	s_mov_b32 s27, 0x20000
	s_waitcnt lgkmcnt(0)
	s_cselect_b32 s13, s29, s31
	s_cselect_b32 s23, s28, s30
	s_mul_hi_i32 s29, s10, s6
	s_mul_i32 s28, s10, s6
	s_lshl_b64 s[28:29], s[28:29], 1
	s_add_u32 s36, s23, s28
	s_addc_u32 s10, s13, s29
	s_and_b64 s[24:25], s[24:25], exec
	s_cselect_b32 s24, s34, s16
	s_cselect_b32 s13, s35, s17
	v_lshlrev_b32_e32 v2, 4, v0
	s_and_b32 s37, s10, 0xffff
	s_mov_b32 s38, s26
	s_mov_b32 s39, s27
	s_and_b32 s25, s13, 0xffff
	buffer_load_dwordx4 v[28:31], v2, s[36:39], 0 offen glc slc
	buffer_load_dwordx4 v[24:27], v2, s[24:27], 0 offen
.LBB221_3:
	s_or_b64 exec, exec, s[18:19]
	s_load_dwordx2 s[28:29], s[4:5], 0x80
	s_and_b64 vcc, exec, s[2:3]
	s_cbranch_vccz .LBB221_7
; %bb.4:
	v_mov_b32_e32 v33, 0
	v_mov_b32_e32 v32, 0
	v_mov_b32_e32 v7, 0
	v_mov_b32_e32 v6, 0
	v_mov_b32_e32 v11, 0
	v_mov_b32_e32 v10, 0
	v_mov_b32_e32 v17, 0
	v_mov_b32_e32 v16, 0
	s_and_saveexec_b64 s[18:19], s[0:1]
	s_cbranch_execz .LBB221_6
; %bb.5:
	s_waitcnt vmcnt(1)
	v_cvt_f32_f16_sdwa v17, v28 dst_sel:DWORD dst_unused:UNUSED_PAD src0_sel:WORD_1
	v_cvt_f32_f16_e32 v16, v28
	v_cvt_f32_f16_sdwa v11, v29 dst_sel:DWORD dst_unused:UNUSED_PAD src0_sel:WORD_1
	v_cvt_f32_f16_e32 v10, v29
	v_cvt_f32_f16_sdwa v7, v30 dst_sel:DWORD dst_unused:UNUSED_PAD src0_sel:WORD_1
	v_cvt_f32_f16_e32 v6, v30
	v_cvt_f32_f16_sdwa v33, v31 dst_sel:DWORD dst_unused:UNUSED_PAD src0_sel:WORD_1
	v_cvt_f32_f16_e32 v32, v31
.LBB221_6:
	s_or_b64 exec, exec, s[18:19]
	s_mov_b32 s10, s9
	s_cbranch_execz .LBB221_8
	s_branch .LBB221_11
.LBB221_7:
                                        ; implicit-def: $vgpr8_vgpr9_vgpr10_vgpr11_vgpr12_vgpr13_vgpr14_vgpr15
                                        ; implicit-def: $vgpr33
                                        ; implicit-def: $vgpr16_vgpr17_vgpr18_vgpr19_vgpr20_vgpr21_vgpr22_vgpr23
                                        ; implicit-def: $vgpr2_vgpr3_vgpr4_vgpr5_vgpr6_vgpr7_vgpr8_vgpr9
	s_mov_b32 s10, s9
.LBB221_8:
	v_mov_b32_e32 v33, 0
	v_mov_b32_e32 v32, 0
	;; [unrolled: 1-line block ×8, first 2 shown]
	s_and_saveexec_b64 s[18:19], s[0:1]
	s_cbranch_execz .LBB221_10
; %bb.9:
	s_load_dwordx2 s[24:25], s[4:5], 0x38
	s_mul_hi_i32 s35, s15, s6
	s_mul_i32 s34, s15, s6
	s_lshl_b64 s[34:35], s[34:35], 1
	s_mov_b32 s27, 0x20000
	s_waitcnt lgkmcnt(0)
	s_add_u32 s24, s24, s34
	s_addc_u32 s10, s25, s35
	s_and_b32 s25, s10, 0xffff
	v_lshlrev_b32_e32 v20, 4, v0
	buffer_load_dwordx4 v[2:5], v20, s[24:27], 0 offen glc slc
	s_waitcnt vmcnt(2)
	v_cvt_f32_f16_sdwa v7, v28 dst_sel:DWORD dst_unused:UNUSED_PAD src0_sel:WORD_1
	v_cvt_f32_f16_e32 v6, v28
	v_cvt_f32_f16_sdwa v9, v29 dst_sel:DWORD dst_unused:UNUSED_PAD src0_sel:WORD_1
	v_cvt_f32_f16_e32 v8, v29
	;; [unrolled: 2-line block ×4, first 2 shown]
	s_load_dwordx2 s[24:25], s[4:5], 0x20
	s_mul_hi_i32 s35, s29, s6
	s_mul_i32 s34, s29, s6
	s_lshl_b64 s[34:35], s[34:35], 1
	s_waitcnt lgkmcnt(0)
	s_add_u32 s24, s24, s34
	s_addc_u32 s10, s25, s35
	s_and_b32 s25, s10, 0xffff
	s_waitcnt vmcnt(0)
	v_cvt_f32_f16_e32 v10, v2
	v_cvt_f32_f16_sdwa v11, v2 dst_sel:DWORD dst_unused:UNUSED_PAD src0_sel:WORD_1
	v_cvt_f32_f16_e32 v2, v3
	v_cvt_f32_f16_sdwa v3, v3 dst_sel:DWORD dst_unused:UNUSED_PAD src0_sel:WORD_1
	;; [unrolled: 2-line block ×4, first 2 shown]
	v_pk_add_f32 v[16:17], v[6:7], v[10:11]
	v_pk_add_f32 v[10:11], v[8:9], v[2:3]
	v_pk_add_f32 v[6:7], v[12:13], v[18:19]
	v_pk_add_f32 v[32:33], v[14:15], v[4:5]
	v_cvt_f16_f32_e32 v2, v17
	v_cvt_f16_f32_e32 v3, v11
	;; [unrolled: 1-line block ×8, first 2 shown]
	v_pack_b32_f16 v5, v8, v5
	v_pack_b32_f16 v4, v9, v4
	;; [unrolled: 1-line block ×4, first 2 shown]
	buffer_store_dwordx4 v[2:5], v20, s[24:27], 0 offen glc slc
	;;#ASMSTART
	s_nop 0
	;;#ASMEND
.LBB221_10:
	s_or_b64 exec, exec, s[18:19]
	s_mov_b32 s10, s8
.LBB221_11:
	v_mul_f32_e32 v2, v17, v17
	v_fmac_f32_e32 v2, v16, v16
	v_fmac_f32_e32 v2, v10, v10
	;; [unrolled: 1-line block ×7, first 2 shown]
	v_bfrev_b32_e32 v4, 0.5
	s_load_dwordx2 s[34:35], s[4:5], 0x18
	v_mov_b32_dpp v3, v2 quad_perm:[1,0,3,2] row_mask:0xf bank_mask:0xf
	v_add_f32_e32 v2, v2, v3
	s_nop 1
	v_mov_b32_dpp v3, v2 quad_perm:[2,3,0,1] row_mask:0xf bank_mask:0xf
	v_add_f32_e32 v2, v2, v3
	s_nop 1
	v_mov_b32_dpp v3, v2 row_half_mirror row_mask:0xf bank_mask:0xf
	v_add_f32_e32 v2, v2, v3
	s_nop 1
	v_mov_b32_dpp v3, v2 row_mirror row_mask:0xf bank_mask:0xf
	v_add_f32_e32 v2, v2, v3
	s_nop 1
	v_mov_b32_dpp v3, v2 row_bcast:15 row_mask:0xf bank_mask:0xf
	v_add_f32_e32 v2, v2, v3
	s_nop 1
	v_mov_b32_dpp v3, v2 row_bcast:31 row_mask:0xf bank_mask:0xf
	v_add_f32_e32 v2, v2, v3
	v_mbcnt_lo_u32_b32 v3, -1, 0
	v_mbcnt_hi_u32_b32 v3, -1, v3
	v_lshl_or_b32 v18, v3, 2, v4
	ds_bpermute_b32 v2, v18, v2
	s_and_saveexec_b64 s[18:19], s[0:1]
	s_cbranch_execnz .LBB221_16
; %bb.12:
	s_or_b64 exec, exec, s[18:19]
	s_mov_b64 s[18:19], -1
	s_and_b64 vcc, exec, s[2:3]
	s_cbranch_vccnz .LBB221_17
.LBB221_13:
	s_andn2_b64 vcc, exec, s[18:19]
	s_cbranch_vccz .LBB221_20
.LBB221_14:
	s_cmp_lt_i32 s12, 1
	s_cbranch_scc0 .LBB221_27
.LBB221_15:
	s_endpgm
.LBB221_16:
	v_cvt_f32_u32_e32 v3, s7
	s_mov_b32 s7, 0x800000
	s_waitcnt vmcnt(0)
	v_cvt_f32_f16_sdwa v13, v25 dst_sel:DWORD dst_unused:UNUSED_PAD src0_sel:WORD_1
	v_cvt_f32_f16_sdwa v15, v26 dst_sel:DWORD dst_unused:UNUSED_PAD src0_sel:WORD_1
	s_waitcnt lgkmcnt(0)
	v_div_scale_f32 v4, s[24:25], v3, v3, v2
	v_rcp_f32_e32 v5, v4
	v_div_scale_f32 v8, vcc, v2, v3, v2
	v_cvt_f32_f16_e32 v14, v26
	v_fma_f32 v9, -v4, v5, 1.0
	v_fmac_f32_e32 v5, v9, v5
	v_mul_f32_e32 v9, v8, v5
	v_fma_f32 v12, -v4, v9, v8
	v_fmac_f32_e32 v9, v12, v5
	v_fma_f32 v4, -v4, v9, v8
	v_div_fmas_f32 v4, v4, v5, v9
	v_div_fixup_f32 v2, v4, v3, v2
	v_add_f32_e32 v2, s10, v2
	v_mul_f32_e32 v3, 0x4b800000, v2
	v_cmp_gt_f32_e32 vcc, s7, v2
	v_cndmask_b32_e32 v2, v2, v3, vcc
	v_rsq_f32_e32 v2, v2
	v_cvt_f32_f16_e32 v12, v25
	v_cvt_f32_f16_sdwa v21, v27 dst_sel:DWORD dst_unused:UNUSED_PAD src0_sel:WORD_1
	v_cvt_f32_f16_e32 v20, v27
	v_mul_f32_e32 v3, 0x45800000, v2
	v_cndmask_b32_e32 v2, v2, v3, vcc
	v_mov_b32_e32 v3, v2
	;;#ASMSTART
	v_pk_mul_f32 v[4:5], v[16:17], v[2:3]
	;;#ASMEND
	;;#ASMSTART
	v_pk_mul_f32 v[8:9], v[10:11], v[2:3]
	;;#ASMEND
	;; [unrolled: 3-line block ×3, first 2 shown]
	v_cvt_f32_f16_sdwa v11, v24 dst_sel:DWORD dst_unused:UNUSED_PAD src0_sel:WORD_1
	v_cvt_f32_f16_e32 v10, v24
	;;#ASMSTART
	v_pk_mul_f32 v[2:3], v[32:33], v[2:3]
	;;#ASMEND
	;;#ASMSTART
	v_pk_mul_f32 v[16:17], v[4:5], v[10:11]
	;;#ASMEND
	;; [unrolled: 3-line block ×5, first 2 shown]
	s_or_b64 exec, exec, s[18:19]
	s_mov_b64 s[18:19], -1
	s_and_b64 vcc, exec, s[2:3]
	s_cbranch_vccz .LBB221_13
.LBB221_17:
	s_and_saveexec_b64 s[2:3], s[0:1]
	s_cbranch_execz .LBB221_19
; %bb.18:
	s_waitcnt lgkmcnt(0)
	s_mul_hi_i32 s19, s28, s6
	s_mul_i32 s18, s28, s6
	v_cvt_f16_f32_e32 v2, v16
	v_cvt_f16_f32_e32 v3, v10
	;; [unrolled: 1-line block ×8, first 2 shown]
	s_lshl_b64 s[18:19], s[18:19], 1
	s_add_u32 s24, s34, s18
	s_addc_u32 s7, s35, s19
	s_and_b32 s25, s7, 0xffff
	s_mov_b32 s27, 0x20000
	v_pack_b32_f16 v5, v5, v8
	v_pack_b32_f16 v4, v4, v9
	;; [unrolled: 1-line block ×4, first 2 shown]
	v_lshlrev_b32_e32 v8, 4, v0
	buffer_store_dwordx4 v[2:5], v8, s[24:27], 0 offen
	;;#ASMSTART
	s_nop 0
	;;#ASMEND
.LBB221_19:
	s_or_b64 exec, exec, s[2:3]
	s_cbranch_execnz .LBB221_14
.LBB221_20:
	s_waitcnt lgkmcnt(0)
	v_mov_b32_e32 v2, 0
	s_and_saveexec_b64 s[2:3], s[0:1]
	s_cbranch_execz .LBB221_22
; %bb.21:
	v_and_b32_e32 v2, 0x7fffffff, v16
	v_and_b32_e32 v3, 0x7fffffff, v17
	v_mov_b32_e32 v4, 0x2edbe6ff
	;;#ASMSTART
	v_max3_f32 v2, v4, v2, v3

	;;#ASMEND
	v_and_b32_e32 v3, 0x7fffffff, v10
	v_and_b32_e32 v4, 0x7fffffff, v11
	;;#ASMSTART
	v_max3_f32 v2, v2, v3, v4

	;;#ASMEND
	v_and_b32_e32 v3, 0x7fffffff, v6
	v_and_b32_e32 v4, 0x7fffffff, v7
	;; [unrolled: 6-line block ×3, first 2 shown]
	;;#ASMSTART
	v_max3_f32 v2, v2, v3, v4

	;;#ASMEND
.LBB221_22:
	s_or_b64 exec, exec, s[2:3]
	;;#ASMSTART
	v_max_f32 v3, v2, v2 quad_perm:[1,0,3,2] row_mask:0xf bank_mask:0xf bound_ctrl:1
	;;#ASMEND
	;;#ASMSTART
	v_max_f32 v2, v3, v3 quad_perm:[2,3,0,1] row_mask:0xf bank_mask:0xf bound_ctrl:1
	;;#ASMEND
	v_and_b32_e32 v3, 3, v0
	v_cmp_eq_u32_e32 vcc, 0, v3
	v_cmp_gt_i32_e64 s[2:3], s11, v1
	v_mul_f32_e32 v2, 0x3b124925, v2
	s_and_b64 s[18:19], vcc, s[2:3]
	s_and_saveexec_b64 s[2:3], s[18:19]
	s_cbranch_execz .LBB221_24
; %bb.23:
	s_load_dwordx2 s[18:19], s[4:5], 0x8
	v_lshrrev_b32_e32 v3, 2, v0
	s_mul_hi_i32 s25, s21, s6
	s_mul_i32 s24, s21, s6
	v_mad_i64_i32 v[4:5], s[22:23], s22, v3, 0
	s_lshl_b64 s[22:23], s[24:25], 2
	s_waitcnt lgkmcnt(0)
	s_add_u32 s7, s18, s22
	s_addc_u32 s8, s19, s23
	v_lshlrev_b64 v[4:5], 2, v[4:5]
	v_mov_b32_e32 v3, s8
	v_add_co_u32_e32 v4, vcc, s7, v4
	v_addc_co_u32_e32 v5, vcc, v3, v5, vcc
	global_store_dword v[4:5], v2, off
.LBB221_24:
	s_or_b64 exec, exec, s[2:3]
	;;#ASMSTART
	v_rcp_f32 v2, v2
	;;#ASMEND
	s_and_saveexec_b64 s[18:19], s[0:1]
	s_cbranch_execz .LBB221_26
; %bb.25:
	v_mov_b32_e32 v3, v2
	;;#ASMSTART
	v_pk_mul_f32 v[4:5], v[16:17], v[2:3]
	;;#ASMEND
	s_load_dwordx2 s[0:1], s[4:5], 0x0
	v_mov_b32_e32 v8, 0xc3e00000
	v_mov_b32_e32 v9, 0x43e00000
	;;#ASMSTART
	v_med3_f32 v4, v4, v8, v9
v_med3_f32 v5, v5, v8, v9
v_cvt_pk_fp8_f32 v12, v4, v5
	;;#ASMEND
	;;#ASMSTART
	v_pk_mul_f32 v[4:5], v[10:11], v[2:3]
	;;#ASMEND
	;;#ASMSTART
	v_med3_f32 v4, v4, v8, v9
v_med3_f32 v5, v5, v8, v9
v_cvt_pk_fp8_f32 v10, v4, v5
	;;#ASMEND
	s_mov_b32 s8, 0x5040100
	v_perm_b32 v5, v10, v12, s8
	s_movk_i32 s8, 0xff
	s_mul_i32 s3, s20, s6
	v_and_b32_e32 v4, 0xffffff00, v10
	v_and_b32_sdwa v10, v5, s8 dst_sel:DWORD dst_unused:UNUSED_PAD src0_sel:WORD_1 src1_sel:DWORD
	s_mul_hi_i32 s2, s20, s6
	s_mov_b32 s7, 0xffff
	s_waitcnt lgkmcnt(0)
	s_add_u32 s0, s0, s3
	v_or_b32_sdwa v4, v10, v4 dst_sel:WORD_1 dst_unused:UNUSED_PAD src0_sel:DWORD src1_sel:DWORD
	s_addc_u32 s1, s1, s2
	s_add_i32 s2, s11, 3
	v_and_or_b32 v4, v5, s7, v4
	;;#ASMSTART
	v_pk_mul_f32 v[6:7], v[6:7], v[2:3]
	;;#ASMEND
	v_mov_b32_e32 v5, v7
	s_ashr_i32 s3, s2, 31
	;;#ASMSTART
	v_med3_f32 v6, v6, v8, v9
v_med3_f32 v5, v5, v8, v9
v_cvt_pk_fp8_f32 v7, v6, v5
	;;#ASMEND
	;;#ASMSTART
	v_pk_mul_f32 v[2:3], v[32:33], v[2:3]
	;;#ASMEND
	s_lshr_b32 s3, s3, 30
	;;#ASMSTART
	v_med3_f32 v2, v2, v8, v9
v_med3_f32 v3, v3, v8, v9
v_cvt_pk_fp8_f32 v5, v2, v3
	;;#ASMEND
	s_add_i32 s2, s2, s3
	v_lshlrev_b32_e32 v2, 16, v5
	s_and_b32 s2, s2, -4
	s_and_b32 s1, s1, 0xffff
	s_mov_b32 s3, 0x20000
	v_and_or_b32 v5, v7, s7, v2
	buffer_store_dwordx2 v[4:5], v1, s[0:3], 0 offen
	;;#ASMSTART
	s_nop 0
	;;#ASMEND
.LBB221_26:
	s_or_b64 exec, exec, s[18:19]
	s_cmp_lt_i32 s12, 1
	s_cbranch_scc1 .LBB221_15
.LBB221_27:
	s_load_dword s0, s[4:5], 0x94
	s_waitcnt lgkmcnt(0)
	s_cmp_lg_u32 s0, 1
	s_cbranch_scc1 .LBB221_15
; %bb.28:
	s_lshl_b32 s0, s12, 1
	s_add_i32 s0, s0, 2
	v_cmp_gt_u32_e32 vcc, s12, v1
	s_and_b32 s18, s0, -4
	v_mov_b32_e32 v8, 0
	v_lshlrev_b32_e32 v16, 4, v0
	v_mov_b32_e32 v4, 0
	v_mov_b32_e32 v5, 0
	;; [unrolled: 1-line block ×8, first 2 shown]
	s_barrier
	s_and_saveexec_b64 s[0:1], vcc
	s_cbranch_execz .LBB221_30
; %bb.29:
	s_mul_hi_i32 s3, s14, s6
	s_mul_i32 s2, s14, s6
	s_and_b32 s17, s17, 0xffff
	s_lshl_b64 s[2:3], s[2:3], 1
	s_add_u32 s20, s30, s2
	s_mov_b32 s19, 0x20000
	s_addc_u32 s2, s31, s3
	s_and_b32 s21, s2, 0xffff
	s_mov_b32 s22, s18
	s_mov_b32 s23, s19
	buffer_load_dwordx4 v[4:7], v16, s[20:23], 0 offen glc slc
	buffer_load_dwordx4 v[0:3], v16, s[16:19], 0 offen
.LBB221_30:
	s_or_b64 exec, exec, s[0:1]
	v_mov_b32_e32 v9, 0
	v_mov_b32_e32 v14, 0
	;; [unrolled: 1-line block ×7, first 2 shown]
	s_and_saveexec_b64 s[0:1], vcc
	s_cbranch_execz .LBB221_32
; %bb.31:
	s_waitcnt vmcnt(1)
	v_cvt_f32_f16_sdwa v9, v4 dst_sel:DWORD dst_unused:UNUSED_PAD src0_sel:WORD_1
	v_cvt_f32_f16_e32 v8, v4
	v_cvt_f32_f16_sdwa v15, v5 dst_sel:DWORD dst_unused:UNUSED_PAD src0_sel:WORD_1
	v_cvt_f32_f16_e32 v14, v5
	;; [unrolled: 2-line block ×4, first 2 shown]
.LBB221_32:
	s_or_b64 exec, exec, s[0:1]
	s_waitcnt vmcnt(1)
	v_mul_f32_e32 v4, v9, v9
	v_fmac_f32_e32 v4, v8, v8
	v_fmac_f32_e32 v4, v14, v14
	;; [unrolled: 1-line block ×7, first 2 shown]
	s_nop 1
	v_mov_b32_dpp v5, v4 quad_perm:[1,0,3,2] row_mask:0xf bank_mask:0xf
	v_add_f32_e32 v4, v4, v5
	s_nop 1
	v_mov_b32_dpp v5, v4 quad_perm:[2,3,0,1] row_mask:0xf bank_mask:0xf
	v_add_f32_e32 v4, v4, v5
	s_nop 1
	v_mov_b32_dpp v5, v4 row_half_mirror row_mask:0xf bank_mask:0xf
	v_add_f32_e32 v4, v4, v5
	s_nop 1
	v_mov_b32_dpp v5, v4 row_mirror row_mask:0xf bank_mask:0xf
	v_add_f32_e32 v4, v4, v5
	s_nop 1
	v_mov_b32_dpp v5, v4 row_bcast:15 row_mask:0xf bank_mask:0xf
	v_add_f32_e32 v4, v4, v5
	s_nop 1
	v_mov_b32_dpp v5, v4 row_bcast:31 row_mask:0xf bank_mask:0xf
	v_add_f32_e32 v4, v4, v5
	ds_bpermute_b32 v4, v18, v4
	s_and_saveexec_b64 s[0:1], vcc
	s_cbranch_execz .LBB221_15
; %bb.33:
	v_cvt_f32_u32_e32 v5, s12
	s_mov_b32 s19, 0x20000
	s_waitcnt lgkmcnt(0)
	v_div_scale_f32 v6, s[0:1], v5, v5, v4
	v_rcp_f32_e32 v7, v6
	v_div_scale_f32 v17, vcc, v4, v5, v4
	s_mov_b32 s0, 0x800000
	v_fma_f32 v18, -v6, v7, 1.0
	v_fmac_f32_e32 v7, v18, v7
	v_mul_f32_e32 v18, v17, v7
	v_fma_f32 v19, -v6, v18, v17
	v_fmac_f32_e32 v18, v19, v7
	v_fma_f32 v6, -v6, v18, v17
	v_div_fmas_f32 v6, v6, v7, v18
	v_div_fixup_f32 v4, v6, v5, v4
	v_add_f32_e32 v4, s9, v4
	v_mul_f32_e32 v5, 0x4b800000, v4
	v_cmp_gt_f32_e32 vcc, s0, v4
	v_cndmask_b32_e32 v4, v4, v5, vcc
	v_rsq_f32_e32 v4, v4
	s_waitcnt vmcnt(0)
	v_cvt_f32_f16_sdwa v19, v3 dst_sel:DWORD dst_unused:UNUSED_PAD src0_sel:WORD_1
	v_cvt_f32_f16_e32 v18, v3
	s_mul_hi_i32 s1, s28, s6
	v_mul_f32_e32 v5, 0x45800000, v4
	v_cndmask_b32_e32 v4, v4, v5, vcc
	v_mov_b32_e32 v5, v4
	;;#ASMSTART
	v_pk_mul_f32 v[6:7], v[8:9], v[4:5]
	;;#ASMEND
	;;#ASMSTART
	v_pk_mul_f32 v[8:9], v[14:15], v[4:5]
	;;#ASMEND
	;;#ASMSTART
	v_pk_mul_f32 v[12:13], v[12:13], v[4:5]
	;;#ASMEND
	;;#ASMSTART
	v_pk_mul_f32 v[4:5], v[10:11], v[4:5]
	;;#ASMEND
	v_cvt_f32_f16_sdwa v11, v0 dst_sel:DWORD dst_unused:UNUSED_PAD src0_sel:WORD_1
	v_cvt_f32_f16_e32 v10, v0
	v_cvt_f32_f16_sdwa v15, v1 dst_sel:DWORD dst_unused:UNUSED_PAD src0_sel:WORD_1
	v_cvt_f32_f16_e32 v14, v1
	;; [unrolled: 2-line block ×3, first 2 shown]
	;;#ASMSTART
	v_pk_mul_f32 v[2:3], v[6:7], v[10:11]
	;;#ASMEND
	;;#ASMSTART
	v_pk_mul_f32 v[6:7], v[8:9], v[14:15]
	;;#ASMEND
	;;#ASMSTART
	v_pk_mul_f32 v[0:1], v[12:13], v[0:1]
	;;#ASMEND
	;;#ASMSTART
	v_pk_mul_f32 v[4:5], v[4:5], v[18:19]
	;;#ASMEND
	s_mul_i32 s0, s28, s6
	v_cvt_f16_f32_e32 v2, v2
	v_cvt_f16_f32_e32 v3, v3
	;; [unrolled: 1-line block ×8, first 2 shown]
	s_lshl_b64 s[0:1], s[0:1], 1
	s_add_u32 s16, s34, s0
	s_addc_u32 s0, s35, s1
	s_and_b32 s17, s0, 0xffff
	v_pack_b32_f16 v0, v2, v3
	v_pack_b32_f16 v1, v6, v7
	;; [unrolled: 1-line block ×4, first 2 shown]
	buffer_store_dwordx4 v[0:3], v16, s[16:19], 0 offen
	;;#ASMSTART
	s_nop 0
	;;#ASMEND
	s_endpgm
	.section	.rodata,"a",@progbits
	.p2align	6, 0x0
	.amdhsa_kernel _ZN5aiter35fused_qk_rmsnorm_group_quant_kernelIDF16_DB8_Li64ELi8ELi4ELb1ELb0ELb0ELb0ELb0ELb0EEEvPT0_PvPT_S6_S6_PKS5_S8_S8_S8_S8_ffiiiiiiiiiiiii
		.amdhsa_group_segment_fixed_size 0
		.amdhsa_private_segment_fixed_size 0
		.amdhsa_kernarg_size 400
		.amdhsa_user_sgpr_count 6
		.amdhsa_user_sgpr_private_segment_buffer 1
		.amdhsa_user_sgpr_dispatch_ptr 0
		.amdhsa_user_sgpr_queue_ptr 0
		.amdhsa_user_sgpr_kernarg_segment_ptr 1
		.amdhsa_user_sgpr_dispatch_id 0
		.amdhsa_user_sgpr_flat_scratch_init 0
		.amdhsa_user_sgpr_kernarg_preload_length 0
		.amdhsa_user_sgpr_kernarg_preload_offset 0
		.amdhsa_user_sgpr_private_segment_size 0
		.amdhsa_uses_dynamic_stack 0
		.amdhsa_system_sgpr_private_segment_wavefront_offset 0
		.amdhsa_system_sgpr_workgroup_id_x 1
		.amdhsa_system_sgpr_workgroup_id_y 1
		.amdhsa_system_sgpr_workgroup_id_z 0
		.amdhsa_system_sgpr_workgroup_info 0
		.amdhsa_system_vgpr_workitem_id 0
		.amdhsa_next_free_vgpr 34
		.amdhsa_next_free_sgpr 40
		.amdhsa_accum_offset 36
		.amdhsa_reserve_vcc 1
		.amdhsa_reserve_flat_scratch 0
		.amdhsa_float_round_mode_32 0
		.amdhsa_float_round_mode_16_64 0
		.amdhsa_float_denorm_mode_32 3
		.amdhsa_float_denorm_mode_16_64 3
		.amdhsa_dx10_clamp 1
		.amdhsa_ieee_mode 1
		.amdhsa_fp16_overflow 0
		.amdhsa_tg_split 0
		.amdhsa_exception_fp_ieee_invalid_op 0
		.amdhsa_exception_fp_denorm_src 0
		.amdhsa_exception_fp_ieee_div_zero 0
		.amdhsa_exception_fp_ieee_overflow 0
		.amdhsa_exception_fp_ieee_underflow 0
		.amdhsa_exception_fp_ieee_inexact 0
		.amdhsa_exception_int_div_zero 0
	.end_amdhsa_kernel
	.section	.text._ZN5aiter35fused_qk_rmsnorm_group_quant_kernelIDF16_DB8_Li64ELi8ELi4ELb1ELb0ELb0ELb0ELb0ELb0EEEvPT0_PvPT_S6_S6_PKS5_S8_S8_S8_S8_ffiiiiiiiiiiiii,"axG",@progbits,_ZN5aiter35fused_qk_rmsnorm_group_quant_kernelIDF16_DB8_Li64ELi8ELi4ELb1ELb0ELb0ELb0ELb0ELb0EEEvPT0_PvPT_S6_S6_PKS5_S8_S8_S8_S8_ffiiiiiiiiiiiii,comdat
.Lfunc_end221:
	.size	_ZN5aiter35fused_qk_rmsnorm_group_quant_kernelIDF16_DB8_Li64ELi8ELi4ELb1ELb0ELb0ELb0ELb0ELb0EEEvPT0_PvPT_S6_S6_PKS5_S8_S8_S8_S8_ffiiiiiiiiiiiii, .Lfunc_end221-_ZN5aiter35fused_qk_rmsnorm_group_quant_kernelIDF16_DB8_Li64ELi8ELi4ELb1ELb0ELb0ELb0ELb0ELb0EEEvPT0_PvPT_S6_S6_PKS5_S8_S8_S8_S8_ffiiiiiiiiiiiii
                                        ; -- End function
	.section	.AMDGPU.csdata,"",@progbits
; Kernel info:
; codeLenInByte = 2716
; NumSgprs: 44
; NumVgprs: 34
; NumAgprs: 0
; TotalNumVgprs: 34
; ScratchSize: 0
; MemoryBound: 0
; FloatMode: 240
; IeeeMode: 1
; LDSByteSize: 0 bytes/workgroup (compile time only)
; SGPRBlocks: 5
; VGPRBlocks: 4
; NumSGPRsForWavesPerEU: 44
; NumVGPRsForWavesPerEU: 34
; AccumOffset: 36
; Occupancy: 8
; WaveLimiterHint : 0
; COMPUTE_PGM_RSRC2:SCRATCH_EN: 0
; COMPUTE_PGM_RSRC2:USER_SGPR: 6
; COMPUTE_PGM_RSRC2:TRAP_HANDLER: 0
; COMPUTE_PGM_RSRC2:TGID_X_EN: 1
; COMPUTE_PGM_RSRC2:TGID_Y_EN: 1
; COMPUTE_PGM_RSRC2:TGID_Z_EN: 0
; COMPUTE_PGM_RSRC2:TIDIG_COMP_CNT: 0
; COMPUTE_PGM_RSRC3_GFX90A:ACCUM_OFFSET: 8
; COMPUTE_PGM_RSRC3_GFX90A:TG_SPLIT: 0
	.section	.text._ZN5aiter35fused_qk_rmsnorm_group_quant_kernelItDB8_Li64ELi8ELi4ELb1ELb0ELb0ELb0ELb0ELb0EEEvPT0_PvPT_S6_S6_PKS5_S8_S8_S8_S8_ffiiiiiiiiiiiii,"axG",@progbits,_ZN5aiter35fused_qk_rmsnorm_group_quant_kernelItDB8_Li64ELi8ELi4ELb1ELb0ELb0ELb0ELb0ELb0EEEvPT0_PvPT_S6_S6_PKS5_S8_S8_S8_S8_ffiiiiiiiiiiiii,comdat
	.protected	_ZN5aiter35fused_qk_rmsnorm_group_quant_kernelItDB8_Li64ELi8ELi4ELb1ELb0ELb0ELb0ELb0ELb0EEEvPT0_PvPT_S6_S6_PKS5_S8_S8_S8_S8_ffiiiiiiiiiiiii ; -- Begin function _ZN5aiter35fused_qk_rmsnorm_group_quant_kernelItDB8_Li64ELi8ELi4ELb1ELb0ELb0ELb0ELb0ELb0EEEvPT0_PvPT_S6_S6_PKS5_S8_S8_S8_S8_ffiiiiiiiiiiiii
	.globl	_ZN5aiter35fused_qk_rmsnorm_group_quant_kernelItDB8_Li64ELi8ELi4ELb1ELb0ELb0ELb0ELb0ELb0EEEvPT0_PvPT_S6_S6_PKS5_S8_S8_S8_S8_ffiiiiiiiiiiiii
	.p2align	8
	.type	_ZN5aiter35fused_qk_rmsnorm_group_quant_kernelItDB8_Li64ELi8ELi4ELb1ELb0ELb0ELb0ELb0ELb0EEEvPT0_PvPT_S6_S6_PKS5_S8_S8_S8_S8_ffiiiiiiiiiiiii,@function
_ZN5aiter35fused_qk_rmsnorm_group_quant_kernelItDB8_Li64ELi8ELi4ELb1ELb0ELb0ELb0ELb0ELb0EEEvPT0_PvPT_S6_S6_PKS5_S8_S8_S8_S8_ffiiiiiiiiiiiii: ; @_ZN5aiter35fused_qk_rmsnorm_group_quant_kernelItDB8_Li64ELi8ELi4ELb1ELb0ELb0ELb0ELb0ELb0EEEvPT0_PvPT_S6_S6_PKS5_S8_S8_S8_S8_ffiiiiiiiiiiiii
; %bb.0:
	s_load_dwordx8 s[8:15], s[4:5], 0x50
	s_waitcnt lgkmcnt(0)
	s_cmp_ge_i32 s6, s10
	s_cbranch_scc1 .LBB222_15
; %bb.1:
	s_cmp_lg_u32 s7, 0
	s_cselect_b64 s[2:3], -1, 0
	s_cmp_eq_u32 s7, 0
	s_cselect_b64 s[24:25], -1, 0
	s_and_b64 s[0:1], s[24:25], exec
	s_load_dwordx2 s[16:17], s[4:5], 0x48
	s_load_dwordx2 s[30:31], s[4:5], 0x30
	s_load_dwordx4 s[20:23], s[4:5], 0x70
	s_cselect_b32 s7, s11, s12
	s_add_i32 s0, s7, 1
	s_lshr_b32 s1, s0, 31
	s_add_i32 s0, s0, s1
	s_lshl_b32 s0, s0, 1
	v_lshlrev_b32_e32 v1, 3, v0
	s_and_b32 s26, s0, -4
	v_cmp_gt_i32_e64 s[0:1], s7, v1
	v_mov_b32_e32 v10, 0
	v_mov_b32_e32 v11, 0
	;; [unrolled: 1-line block ×8, first 2 shown]
	s_and_saveexec_b64 s[18:19], s[0:1]
	s_cbranch_execz .LBB222_3
; %bb.2:
	s_load_dwordx2 s[28:29], s[4:5], 0x28
	s_load_dwordx2 s[34:35], s[4:5], 0x40
	s_and_b64 s[36:37], s[24:25], exec
	s_cselect_b32 s10, s13, s14
	s_mov_b32 s27, 0x20000
	s_waitcnt lgkmcnt(0)
	s_cselect_b32 s13, s29, s31
	s_cselect_b32 s23, s28, s30
	s_mul_hi_i32 s29, s10, s6
	s_mul_i32 s28, s10, s6
	s_lshl_b64 s[28:29], s[28:29], 1
	s_add_u32 s36, s23, s28
	s_addc_u32 s10, s13, s29
	s_and_b64 s[24:25], s[24:25], exec
	s_cselect_b32 s24, s34, s16
	s_cselect_b32 s13, s35, s17
	v_lshlrev_b32_e32 v2, 4, v0
	s_and_b32 s37, s10, 0xffff
	s_mov_b32 s38, s26
	s_mov_b32 s39, s27
	s_and_b32 s25, s13, 0xffff
	buffer_load_dwordx4 v[14:17], v2, s[36:39], 0 offen glc slc
	buffer_load_dwordx4 v[10:13], v2, s[24:27], 0 offen
.LBB222_3:
	s_or_b64 exec, exec, s[18:19]
	s_load_dwordx2 s[28:29], s[4:5], 0x80
	s_and_b64 vcc, exec, s[2:3]
	s_cbranch_vccz .LBB222_7
; %bb.4:
	s_mov_b32 s36, 0
	s_mov_b32 s37, s36
	;; [unrolled: 1-line block ×8, first 2 shown]
	v_pk_mov_b32 v[2:3], s[36:37], s[36:37] op_sel:[0,1]
	v_pk_mov_b32 v[4:5], s[38:39], s[38:39] op_sel:[0,1]
	v_pk_mov_b32 v[6:7], s[40:41], s[40:41] op_sel:[0,1]
	v_pk_mov_b32 v[8:9], s[42:43], s[42:43] op_sel:[0,1]
	s_and_saveexec_b64 s[18:19], s[0:1]
	s_cbranch_execz .LBB222_6
; %bb.5:
	s_waitcnt vmcnt(1)
	v_cvt_f32_u32_sdwa v3, v14 dst_sel:DWORD dst_unused:UNUSED_PAD src0_sel:WORD_1
	v_cvt_f32_u32_sdwa v2, v14 dst_sel:DWORD dst_unused:UNUSED_PAD src0_sel:WORD_0
	v_cvt_f32_u32_sdwa v5, v15 dst_sel:DWORD dst_unused:UNUSED_PAD src0_sel:WORD_1
	v_cvt_f32_u32_sdwa v4, v15 dst_sel:DWORD dst_unused:UNUSED_PAD src0_sel:WORD_0
	;; [unrolled: 2-line block ×4, first 2 shown]
.LBB222_6:
	s_or_b64 exec, exec, s[18:19]
	s_mov_b32 s10, s9
	s_cbranch_execz .LBB222_8
	s_branch .LBB222_11
.LBB222_7:
                                        ; implicit-def: $vgpr2_vgpr3_vgpr4_vgpr5_vgpr6_vgpr7_vgpr8_vgpr9
	s_mov_b32 s10, s9
.LBB222_8:
	s_mov_b32 s36, 0
	s_mov_b32 s37, s36
	;; [unrolled: 1-line block ×8, first 2 shown]
	v_pk_mov_b32 v[2:3], s[36:37], s[36:37] op_sel:[0,1]
	v_pk_mov_b32 v[4:5], s[38:39], s[38:39] op_sel:[0,1]
	;; [unrolled: 1-line block ×4, first 2 shown]
	s_and_saveexec_b64 s[18:19], s[0:1]
	s_cbranch_execz .LBB222_10
; %bb.9:
	s_load_dwordx2 s[24:25], s[4:5], 0x38
	s_mul_hi_i32 s35, s15, s6
	s_mul_i32 s34, s15, s6
	s_lshl_b64 s[34:35], s[34:35], 1
	s_mov_b32 s27, 0x20000
	s_waitcnt lgkmcnt(0)
	s_add_u32 s24, s24, s34
	s_addc_u32 s10, s25, s35
	s_and_b32 s25, s10, 0xffff
	v_lshlrev_b32_e32 v26, 4, v0
	buffer_load_dwordx4 v[2:5], v26, s[24:27], 0 offen glc slc
	s_load_dwordx2 s[24:25], s[4:5], 0x20
	s_waitcnt vmcnt(2)
	v_cvt_f32_u32_sdwa v7, v14 dst_sel:DWORD dst_unused:UNUSED_PAD src0_sel:WORD_1
	v_cvt_f32_u32_sdwa v6, v14 dst_sel:DWORD dst_unused:UNUSED_PAD src0_sel:WORD_0
	v_cvt_f32_u32_sdwa v9, v15 dst_sel:DWORD dst_unused:UNUSED_PAD src0_sel:WORD_1
	v_cvt_f32_u32_sdwa v8, v15 dst_sel:DWORD dst_unused:UNUSED_PAD src0_sel:WORD_0
	;; [unrolled: 2-line block ×4, first 2 shown]
	s_mul_hi_i32 s35, s29, s6
	s_mul_i32 s34, s29, s6
	s_lshl_b64 s[34:35], s[34:35], 1
	s_waitcnt lgkmcnt(0)
	s_add_u32 s24, s24, s34
	s_mov_b32 s10, 0x7060302
	s_addc_u32 s13, s25, s35
	s_and_b32 s25, s13, 0xffff
	s_waitcnt vmcnt(0)
	v_cvt_f32_u32_sdwa v17, v2 dst_sel:DWORD dst_unused:UNUSED_PAD src0_sel:WORD_1
	v_cvt_f32_u32_sdwa v16, v2 dst_sel:DWORD dst_unused:UNUSED_PAD src0_sel:WORD_0
	v_cvt_f32_u32_sdwa v21, v3 dst_sel:DWORD dst_unused:UNUSED_PAD src0_sel:WORD_1
	v_cvt_f32_u32_sdwa v20, v3 dst_sel:DWORD dst_unused:UNUSED_PAD src0_sel:WORD_0
	;; [unrolled: 2-line block ×4, first 2 shown]
	v_pk_add_f32 v[2:3], v[6:7], v[16:17]
	v_pk_add_f32 v[4:5], v[8:9], v[20:21]
	;; [unrolled: 1-line block ×4, first 2 shown]
	v_perm_b32 v17, v9, v8, s10
	v_perm_b32 v16, v7, v6, s10
	v_perm_b32 v15, v5, v4, s10
	v_perm_b32 v14, v3, v2, s10
	buffer_store_dwordx4 v[14:17], v26, s[24:27], 0 offen glc slc
	;;#ASMSTART
	s_nop 0
	;;#ASMEND
.LBB222_10:
	s_or_b64 exec, exec, s[18:19]
	s_mov_b32 s10, s8
.LBB222_11:
	s_waitcnt vmcnt(1)
	v_mul_f32_e32 v14, v3, v3
	v_fmac_f32_e32 v14, v2, v2
	v_fmac_f32_e32 v14, v4, v4
	;; [unrolled: 1-line block ×7, first 2 shown]
	v_bfrev_b32_e32 v16, 0.5
	s_load_dwordx2 s[34:35], s[4:5], 0x18
	v_mov_b32_dpp v15, v14 quad_perm:[1,0,3,2] row_mask:0xf bank_mask:0xf
	v_add_f32_e32 v14, v14, v15
	s_nop 1
	v_mov_b32_dpp v15, v14 quad_perm:[2,3,0,1] row_mask:0xf bank_mask:0xf
	v_add_f32_e32 v14, v14, v15
	s_nop 1
	v_mov_b32_dpp v15, v14 row_half_mirror row_mask:0xf bank_mask:0xf
	v_add_f32_e32 v14, v14, v15
	s_nop 1
	v_mov_b32_dpp v15, v14 row_mirror row_mask:0xf bank_mask:0xf
	v_add_f32_e32 v14, v14, v15
	s_nop 1
	v_mov_b32_dpp v15, v14 row_bcast:15 row_mask:0xf bank_mask:0xf
	v_add_f32_e32 v14, v14, v15
	s_nop 1
	v_mov_b32_dpp v15, v14 row_bcast:31 row_mask:0xf bank_mask:0xf
	v_add_f32_e32 v15, v14, v15
	v_mbcnt_lo_u32_b32 v14, -1, 0
	v_mbcnt_hi_u32_b32 v14, -1, v14
	v_lshl_or_b32 v14, v14, 2, v16
	ds_bpermute_b32 v15, v14, v15
	s_and_saveexec_b64 s[18:19], s[0:1]
	s_cbranch_execnz .LBB222_16
; %bb.12:
	s_or_b64 exec, exec, s[18:19]
	s_mov_b64 s[18:19], -1
	s_and_b64 vcc, exec, s[2:3]
	s_cbranch_vccnz .LBB222_17
.LBB222_13:
	s_andn2_b64 vcc, exec, s[18:19]
	s_cbranch_vccz .LBB222_20
.LBB222_14:
	s_cmp_lt_i32 s12, 1
	s_cbranch_scc0 .LBB222_27
.LBB222_15:
	s_endpgm
.LBB222_16:
	v_cvt_f32_u32_e32 v16, s7
	s_mov_b32 s7, 0x800000
	s_waitcnt lgkmcnt(0)
	v_div_scale_f32 v17, s[24:25], v16, v16, v15
	v_rcp_f32_e32 v18, v17
	v_div_scale_f32 v19, vcc, v15, v16, v15
	v_fma_f32 v20, -v17, v18, 1.0
	v_fmac_f32_e32 v18, v20, v18
	v_mul_f32_e32 v20, v19, v18
	v_fma_f32 v21, -v17, v20, v19
	v_fmac_f32_e32 v20, v21, v18
	v_fma_f32 v17, -v17, v20, v19
	v_div_fmas_f32 v17, v17, v18, v20
	v_div_fixup_f32 v15, v17, v16, v15
	v_add_f32_e32 v15, s10, v15
	v_mul_f32_e32 v16, 0x4b800000, v15
	v_cmp_gt_f32_e32 vcc, s7, v15
	v_cndmask_b32_e32 v15, v15, v16, vcc
	v_rsq_f32_e32 v15, v15
	s_waitcnt vmcnt(0)
	v_cvt_f32_u32_sdwa v19, v11 dst_sel:DWORD dst_unused:UNUSED_PAD src0_sel:WORD_1
	v_cvt_f32_u32_sdwa v18, v11 dst_sel:DWORD dst_unused:UNUSED_PAD src0_sel:WORD_0
	v_cvt_f32_u32_sdwa v11, v12 dst_sel:DWORD dst_unused:UNUSED_PAD src0_sel:WORD_1
	v_mul_f32_e32 v16, 0x45800000, v15
	v_cndmask_b32_e32 v16, v15, v16, vcc
	v_mov_b32_e32 v17, v16
	;;#ASMSTART
	v_pk_mul_f32 v[2:3], v[2:3], v[16:17]
	;;#ASMEND
	;;#ASMSTART
	v_pk_mul_f32 v[4:5], v[4:5], v[16:17]
	;;#ASMEND
	;; [unrolled: 3-line block ×4, first 2 shown]
	v_cvt_f32_u32_sdwa v17, v10 dst_sel:DWORD dst_unused:UNUSED_PAD src0_sel:WORD_1
	v_cvt_f32_u32_sdwa v16, v10 dst_sel:DWORD dst_unused:UNUSED_PAD src0_sel:WORD_0
	v_cvt_f32_u32_sdwa v10, v12 dst_sel:DWORD dst_unused:UNUSED_PAD src0_sel:WORD_0
	v_cvt_f32_u32_sdwa v21, v13 dst_sel:DWORD dst_unused:UNUSED_PAD src0_sel:WORD_1
	v_cvt_f32_u32_sdwa v20, v13 dst_sel:DWORD dst_unused:UNUSED_PAD src0_sel:WORD_0
	;;#ASMSTART
	v_pk_mul_f32 v[2:3], v[2:3], v[16:17]
	;;#ASMEND
	;;#ASMSTART
	v_pk_mul_f32 v[4:5], v[4:5], v[18:19]
	;;#ASMEND
	;; [unrolled: 3-line block ×4, first 2 shown]
	s_or_b64 exec, exec, s[18:19]
	s_mov_b64 s[18:19], -1
	s_and_b64 vcc, exec, s[2:3]
	s_cbranch_vccz .LBB222_13
.LBB222_17:
	s_and_saveexec_b64 s[2:3], s[0:1]
	s_cbranch_execz .LBB222_19
; %bb.18:
	s_waitcnt lgkmcnt(0)
	s_mul_hi_i32 s19, s28, s6
	s_mul_i32 s18, s28, s6
	s_lshl_b64 s[18:19], s[18:19], 1
	s_add_u32 s24, s34, s18
	s_addc_u32 s7, s35, s19
	s_and_b32 s25, s7, 0xffff
	s_mov_b32 s7, 0x7060302
	s_mov_b32 s27, 0x20000
	s_waitcnt vmcnt(0)
	v_perm_b32 v10, v3, v2, s7
	v_perm_b32 v11, v5, v4, s7
	;; [unrolled: 1-line block ×4, first 2 shown]
	v_lshlrev_b32_e32 v15, 4, v0
	buffer_store_dwordx4 v[10:13], v15, s[24:27], 0 offen
	;;#ASMSTART
	s_nop 0
	;;#ASMEND
.LBB222_19:
	s_or_b64 exec, exec, s[2:3]
	s_cbranch_execnz .LBB222_14
.LBB222_20:
	s_waitcnt vmcnt(0)
	v_mov_b32_e32 v10, 0
	s_and_saveexec_b64 s[2:3], s[0:1]
	s_cbranch_execz .LBB222_22
; %bb.21:
	v_and_b32_e32 v10, 0x7fffffff, v2
	v_and_b32_e32 v11, 0x7fffffff, v3
	v_mov_b32_e32 v12, 0x2edbe6ff
	;;#ASMSTART
	v_max3_f32 v10, v12, v10, v11

	;;#ASMEND
	v_and_b32_e32 v11, 0x7fffffff, v4
	v_and_b32_e32 v12, 0x7fffffff, v5
	;;#ASMSTART
	v_max3_f32 v10, v10, v11, v12

	;;#ASMEND
	v_and_b32_e32 v11, 0x7fffffff, v6
	v_and_b32_e32 v12, 0x7fffffff, v7
	;; [unrolled: 6-line block ×3, first 2 shown]
	;;#ASMSTART
	v_max3_f32 v10, v10, v11, v12

	;;#ASMEND
.LBB222_22:
	s_or_b64 exec, exec, s[2:3]
	;;#ASMSTART
	v_max_f32 v11, v10, v10 quad_perm:[1,0,3,2] row_mask:0xf bank_mask:0xf bound_ctrl:1
	;;#ASMEND
	;;#ASMSTART
	v_max_f32 v10, v11, v11 quad_perm:[2,3,0,1] row_mask:0xf bank_mask:0xf bound_ctrl:1
	;;#ASMEND
	v_and_b32_e32 v11, 3, v0
	v_cmp_eq_u32_e32 vcc, 0, v11
	v_cmp_gt_i32_e64 s[2:3], s11, v1
	v_mul_f32_e32 v10, 0x3b124925, v10
	s_and_b64 s[18:19], vcc, s[2:3]
	s_and_saveexec_b64 s[2:3], s[18:19]
	s_cbranch_execz .LBB222_24
; %bb.23:
	s_load_dwordx2 s[18:19], s[4:5], 0x8
	v_lshrrev_b32_e32 v11, 2, v0
	s_waitcnt lgkmcnt(0)
	s_mul_hi_i32 s25, s21, s6
	s_mul_i32 s24, s21, s6
	v_mad_i64_i32 v[12:13], s[22:23], s22, v11, 0
	s_lshl_b64 s[22:23], s[24:25], 2
	s_add_u32 s7, s18, s22
	s_addc_u32 s8, s19, s23
	v_lshlrev_b64 v[12:13], 2, v[12:13]
	v_mov_b32_e32 v11, s8
	v_add_co_u32_e32 v12, vcc, s7, v12
	v_addc_co_u32_e32 v13, vcc, v11, v13, vcc
	global_store_dword v[12:13], v10, off
.LBB222_24:
	s_or_b64 exec, exec, s[2:3]
	;;#ASMSTART
	v_rcp_f32 v10, v10
	;;#ASMEND
	s_and_saveexec_b64 s[18:19], s[0:1]
	s_cbranch_execz .LBB222_26
; %bb.25:
	v_mov_b32_e32 v11, v10
	;;#ASMSTART
	v_pk_mul_f32 v[2:3], v[2:3], v[10:11]
	;;#ASMEND
	v_mov_b32_e32 v12, 0xc3e00000
	v_mov_b32_e32 v13, 0x43e00000
	s_waitcnt lgkmcnt(0)
	;;#ASMSTART
	v_med3_f32 v2, v2, v12, v13
v_med3_f32 v3, v3, v12, v13
v_cvt_pk_fp8_f32 v15, v2, v3
	;;#ASMEND
	s_load_dwordx2 s[0:1], s[4:5], 0x0
	;;#ASMSTART
	v_pk_mul_f32 v[2:3], v[4:5], v[10:11]
	;;#ASMEND
	;;#ASMSTART
	v_med3_f32 v2, v2, v12, v13
v_med3_f32 v3, v3, v12, v13
v_cvt_pk_fp8_f32 v4, v2, v3
	;;#ASMEND
	s_mov_b32 s8, 0x5040100
	v_perm_b32 v3, v4, v15, s8
	s_movk_i32 s8, 0xff
	v_and_b32_e32 v2, 0xffffff00, v4
	v_and_b32_sdwa v4, v3, s8 dst_sel:DWORD dst_unused:UNUSED_PAD src0_sel:WORD_1 src1_sel:DWORD
	s_mul_i32 s3, s20, s6
	s_mov_b32 s7, 0xffff
	v_or_b32_sdwa v2, v4, v2 dst_sel:WORD_1 dst_unused:UNUSED_PAD src0_sel:DWORD src1_sel:DWORD
	s_mul_hi_i32 s2, s20, s6
	s_waitcnt lgkmcnt(0)
	s_add_u32 s0, s0, s3
	v_and_or_b32 v2, v3, s7, v2
	;;#ASMSTART
	v_pk_mul_f32 v[4:5], v[6:7], v[10:11]
	;;#ASMEND
	v_mov_b32_e32 v3, v5
	s_addc_u32 s1, s1, s2
	s_add_i32 s2, s11, 3
	;;#ASMSTART
	v_med3_f32 v4, v4, v12, v13
v_med3_f32 v3, v3, v12, v13
v_cvt_pk_fp8_f32 v6, v4, v3
	;;#ASMEND
	s_ashr_i32 s3, s2, 31
	;;#ASMSTART
	v_pk_mul_f32 v[4:5], v[8:9], v[10:11]
	;;#ASMEND
	v_mov_b32_e32 v3, v4
	s_lshr_b32 s3, s3, 30
	;;#ASMSTART
	v_med3_f32 v3, v3, v12, v13
v_med3_f32 v5, v5, v12, v13
v_cvt_pk_fp8_f32 v4, v3, v5
	;;#ASMEND
	s_add_i32 s2, s2, s3
	v_lshlrev_b32_e32 v3, 16, v4
	s_and_b32 s2, s2, -4
	s_and_b32 s1, s1, 0xffff
	s_mov_b32 s3, 0x20000
	v_and_or_b32 v3, v6, s7, v3
	buffer_store_dwordx2 v[2:3], v1, s[0:3], 0 offen
	;;#ASMSTART
	s_nop 0
	;;#ASMEND
.LBB222_26:
	s_or_b64 exec, exec, s[18:19]
	s_cmp_lt_i32 s12, 1
	s_cbranch_scc1 .LBB222_15
.LBB222_27:
	s_load_dword s0, s[4:5], 0x94
	s_waitcnt lgkmcnt(0)
	s_cmp_lg_u32 s0, 1
	s_cbranch_scc1 .LBB222_15
; %bb.28:
	s_lshl_b32 s0, s12, 1
	s_add_i32 s0, s0, 2
	v_cmp_gt_u32_e32 vcc, s12, v1
	s_and_b32 s18, s0, -4
	v_mov_b32_e32 v4, 0
	s_waitcnt vmcnt(0)
	v_lshlrev_b32_e32 v12, 4, v0
	v_mov_b32_e32 v5, 0
	v_mov_b32_e32 v6, 0
	;; [unrolled: 1-line block ×7, first 2 shown]
	s_barrier
	s_and_saveexec_b64 s[0:1], vcc
	s_cbranch_execz .LBB222_30
; %bb.29:
	s_mul_hi_i32 s3, s14, s6
	s_mul_i32 s2, s14, s6
	s_and_b32 s17, s17, 0xffff
	s_lshl_b64 s[2:3], s[2:3], 1
	s_add_u32 s20, s30, s2
	s_mov_b32 s19, 0x20000
	s_addc_u32 s2, s31, s3
	s_and_b32 s21, s2, 0xffff
	s_mov_b32 s22, s18
	s_mov_b32 s23, s19
	buffer_load_dwordx4 v[4:7], v12, s[20:23], 0 offen glc slc
	buffer_load_dwordx4 v[0:3], v12, s[16:19], 0 offen
.LBB222_30:
	s_or_b64 exec, exec, s[0:1]
	s_waitcnt vmcnt(1)
	v_cvt_f32_u32_sdwa v11, v4 dst_sel:DWORD dst_unused:UNUSED_PAD src0_sel:WORD_1
	v_cvt_f32_u32_sdwa v10, v4 dst_sel:DWORD dst_unused:UNUSED_PAD src0_sel:WORD_0
	v_cvt_f32_u32_sdwa v4, v7 dst_sel:DWORD dst_unused:UNUSED_PAD src0_sel:WORD_1
	v_cvt_f32_u32_sdwa v7, v7 dst_sel:DWORD dst_unused:UNUSED_PAD src0_sel:WORD_0
	;; [unrolled: 2-line block ×4, first 2 shown]
	v_cndmask_b32_e32 v11, 0, v11, vcc
	v_cndmask_b32_e32 v5, 0, v4, vcc
	;; [unrolled: 1-line block ×5, first 2 shown]
	v_mul_f32_e32 v13, v11, v11
	v_cndmask_b32_e32 v8, 0, v8, vcc
	v_fmac_f32_e32 v13, v10, v10
	v_cndmask_b32_e32 v9, 0, v9, vcc
	v_fmac_f32_e32 v13, v8, v8
	v_cndmask_b32_e32 v6, 0, v6, vcc
	v_fmac_f32_e32 v13, v9, v9
	v_fmac_f32_e32 v13, v6, v6
	v_fmac_f32_e32 v13, v7, v7
	;; [unrolled: 1-line block ×4, first 2 shown]
	s_nop 1
	v_mov_b32_dpp v15, v13 quad_perm:[1,0,3,2] row_mask:0xf bank_mask:0xf
	v_add_f32_e32 v13, v13, v15
	s_nop 1
	v_mov_b32_dpp v15, v13 quad_perm:[2,3,0,1] row_mask:0xf bank_mask:0xf
	v_add_f32_e32 v13, v13, v15
	s_nop 1
	v_mov_b32_dpp v15, v13 row_half_mirror row_mask:0xf bank_mask:0xf
	v_add_f32_e32 v13, v13, v15
	s_nop 1
	v_mov_b32_dpp v15, v13 row_mirror row_mask:0xf bank_mask:0xf
	v_add_f32_e32 v13, v13, v15
	s_nop 1
	v_mov_b32_dpp v15, v13 row_bcast:15 row_mask:0xf bank_mask:0xf
	v_add_f32_e32 v13, v13, v15
	s_nop 1
	v_mov_b32_dpp v15, v13 row_bcast:31 row_mask:0xf bank_mask:0xf
	v_add_f32_e32 v13, v13, v15
	ds_bpermute_b32 v13, v14, v13
	s_and_saveexec_b64 s[0:1], vcc
	s_cbranch_execz .LBB222_15
; %bb.31:
	v_cvt_f32_u32_e32 v14, s12
	s_mov_b32 s19, 0x20000
	s_waitcnt lgkmcnt(0)
	v_div_scale_f32 v15, s[0:1], v14, v14, v13
	v_rcp_f32_e32 v16, v15
	v_div_scale_f32 v17, vcc, v13, v14, v13
	s_mov_b32 s0, 0x800000
	v_fma_f32 v18, -v15, v16, 1.0
	v_fmac_f32_e32 v16, v18, v16
	v_mul_f32_e32 v18, v17, v16
	v_fma_f32 v19, -v15, v18, v17
	v_fmac_f32_e32 v18, v19, v16
	v_fma_f32 v15, -v15, v18, v17
	v_div_fmas_f32 v15, v15, v16, v18
	v_div_fixup_f32 v13, v15, v14, v13
	v_add_f32_e32 v13, s9, v13
	v_mul_f32_e32 v14, 0x4b800000, v13
	v_cmp_gt_f32_e32 vcc, s0, v13
	v_cndmask_b32_e32 v13, v13, v14, vcc
	v_rsq_f32_e32 v13, v13
	s_mul_hi_i32 s1, s28, s6
	s_mul_i32 s0, s28, s6
	s_lshl_b64 s[0:1], s[0:1], 1
	v_mul_f32_e32 v14, 0x45800000, v13
	v_cndmask_b32_e32 v14, v13, v14, vcc
	s_add_u32 s16, s34, s0
	v_mov_b32_e32 v15, v14
	s_addc_u32 s0, s35, s1
	;;#ASMSTART
	v_pk_mul_f32 v[10:11], v[10:11], v[14:15]
	;;#ASMEND
	;;#ASMSTART
	v_pk_mul_f32 v[8:9], v[8:9], v[14:15]
	;;#ASMEND
	;; [unrolled: 3-line block ×4, first 2 shown]
	s_waitcnt vmcnt(0)
	v_cvt_f32_u32_sdwa v15, v0 dst_sel:DWORD dst_unused:UNUSED_PAD src0_sel:WORD_1
	v_cvt_f32_u32_sdwa v14, v0 dst_sel:DWORD dst_unused:UNUSED_PAD src0_sel:WORD_0
	v_cvt_f32_u32_sdwa v17, v1 dst_sel:DWORD dst_unused:UNUSED_PAD src0_sel:WORD_1
	v_cvt_f32_u32_sdwa v16, v1 dst_sel:DWORD dst_unused:UNUSED_PAD src0_sel:WORD_0
	v_cvt_f32_u32_sdwa v1, v2 dst_sel:DWORD dst_unused:UNUSED_PAD src0_sel:WORD_1
	v_cvt_f32_u32_sdwa v0, v2 dst_sel:DWORD dst_unused:UNUSED_PAD src0_sel:WORD_0
	v_cvt_f32_u32_sdwa v19, v3 dst_sel:DWORD dst_unused:UNUSED_PAD src0_sel:WORD_1
	v_cvt_f32_u32_sdwa v18, v3 dst_sel:DWORD dst_unused:UNUSED_PAD src0_sel:WORD_0
	;;#ASMSTART
	v_pk_mul_f32 v[2:3], v[10:11], v[14:15]
	;;#ASMEND
	s_and_b32 s17, s0, 0xffff
	s_mov_b32 s0, 0x7060302
	;;#ASMSTART
	v_pk_mul_f32 v[8:9], v[8:9], v[16:17]
	;;#ASMEND
	;;#ASMSTART
	v_pk_mul_f32 v[6:7], v[6:7], v[0:1]
	;;#ASMEND
	;; [unrolled: 3-line block ×3, first 2 shown]
	v_perm_b32 v0, v3, v2, s0
	v_perm_b32 v1, v9, v8, s0
	;; [unrolled: 1-line block ×4, first 2 shown]
	buffer_store_dwordx4 v[0:3], v12, s[16:19], 0 offen
	;;#ASMSTART
	s_nop 0
	;;#ASMEND
	s_endpgm
	.section	.rodata,"a",@progbits
	.p2align	6, 0x0
	.amdhsa_kernel _ZN5aiter35fused_qk_rmsnorm_group_quant_kernelItDB8_Li64ELi8ELi4ELb1ELb0ELb0ELb0ELb0ELb0EEEvPT0_PvPT_S6_S6_PKS5_S8_S8_S8_S8_ffiiiiiiiiiiiii
		.amdhsa_group_segment_fixed_size 0
		.amdhsa_private_segment_fixed_size 0
		.amdhsa_kernarg_size 400
		.amdhsa_user_sgpr_count 6
		.amdhsa_user_sgpr_private_segment_buffer 1
		.amdhsa_user_sgpr_dispatch_ptr 0
		.amdhsa_user_sgpr_queue_ptr 0
		.amdhsa_user_sgpr_kernarg_segment_ptr 1
		.amdhsa_user_sgpr_dispatch_id 0
		.amdhsa_user_sgpr_flat_scratch_init 0
		.amdhsa_user_sgpr_kernarg_preload_length 0
		.amdhsa_user_sgpr_kernarg_preload_offset 0
		.amdhsa_user_sgpr_private_segment_size 0
		.amdhsa_uses_dynamic_stack 0
		.amdhsa_system_sgpr_private_segment_wavefront_offset 0
		.amdhsa_system_sgpr_workgroup_id_x 1
		.amdhsa_system_sgpr_workgroup_id_y 1
		.amdhsa_system_sgpr_workgroup_id_z 0
		.amdhsa_system_sgpr_workgroup_info 0
		.amdhsa_system_vgpr_workitem_id 0
		.amdhsa_next_free_vgpr 27
		.amdhsa_next_free_sgpr 44
		.amdhsa_accum_offset 28
		.amdhsa_reserve_vcc 1
		.amdhsa_reserve_flat_scratch 0
		.amdhsa_float_round_mode_32 0
		.amdhsa_float_round_mode_16_64 0
		.amdhsa_float_denorm_mode_32 3
		.amdhsa_float_denorm_mode_16_64 3
		.amdhsa_dx10_clamp 1
		.amdhsa_ieee_mode 1
		.amdhsa_fp16_overflow 0
		.amdhsa_tg_split 0
		.amdhsa_exception_fp_ieee_invalid_op 0
		.amdhsa_exception_fp_denorm_src 0
		.amdhsa_exception_fp_ieee_div_zero 0
		.amdhsa_exception_fp_ieee_overflow 0
		.amdhsa_exception_fp_ieee_underflow 0
		.amdhsa_exception_fp_ieee_inexact 0
		.amdhsa_exception_int_div_zero 0
	.end_amdhsa_kernel
	.section	.text._ZN5aiter35fused_qk_rmsnorm_group_quant_kernelItDB8_Li64ELi8ELi4ELb1ELb0ELb0ELb0ELb0ELb0EEEvPT0_PvPT_S6_S6_PKS5_S8_S8_S8_S8_ffiiiiiiiiiiiii,"axG",@progbits,_ZN5aiter35fused_qk_rmsnorm_group_quant_kernelItDB8_Li64ELi8ELi4ELb1ELb0ELb0ELb0ELb0ELb0EEEvPT0_PvPT_S6_S6_PKS5_S8_S8_S8_S8_ffiiiiiiiiiiiii,comdat
.Lfunc_end222:
	.size	_ZN5aiter35fused_qk_rmsnorm_group_quant_kernelItDB8_Li64ELi8ELi4ELb1ELb0ELb0ELb0ELb0ELb0EEEvPT0_PvPT_S6_S6_PKS5_S8_S8_S8_S8_ffiiiiiiiiiiiii, .Lfunc_end222-_ZN5aiter35fused_qk_rmsnorm_group_quant_kernelItDB8_Li64ELi8ELi4ELb1ELb0ELb0ELb0ELb0ELb0EEEvPT0_PvPT_S6_S6_PKS5_S8_S8_S8_S8_ffiiiiiiiiiiiii
                                        ; -- End function
	.section	.AMDGPU.csdata,"",@progbits
; Kernel info:
; codeLenInByte = 2808
; NumSgprs: 48
; NumVgprs: 27
; NumAgprs: 0
; TotalNumVgprs: 27
; ScratchSize: 0
; MemoryBound: 0
; FloatMode: 240
; IeeeMode: 1
; LDSByteSize: 0 bytes/workgroup (compile time only)
; SGPRBlocks: 5
; VGPRBlocks: 3
; NumSGPRsForWavesPerEU: 48
; NumVGPRsForWavesPerEU: 27
; AccumOffset: 28
; Occupancy: 8
; WaveLimiterHint : 0
; COMPUTE_PGM_RSRC2:SCRATCH_EN: 0
; COMPUTE_PGM_RSRC2:USER_SGPR: 6
; COMPUTE_PGM_RSRC2:TRAP_HANDLER: 0
; COMPUTE_PGM_RSRC2:TGID_X_EN: 1
; COMPUTE_PGM_RSRC2:TGID_Y_EN: 1
; COMPUTE_PGM_RSRC2:TGID_Z_EN: 0
; COMPUTE_PGM_RSRC2:TIDIG_COMP_CNT: 0
; COMPUTE_PGM_RSRC3_GFX90A:ACCUM_OFFSET: 6
; COMPUTE_PGM_RSRC3_GFX90A:TG_SPLIT: 0
	.section	.text._ZN5aiter35fused_qk_rmsnorm_group_quant_kernelIDF16_N4opus5fp4_tELi64ELi8ELi4ELb1ELb0ELb0ELb0ELb0ELb0EEEvPT0_PvPT_S7_S7_PKS6_S9_S9_S9_S9_ffiiiiiiiiiiiii,"axG",@progbits,_ZN5aiter35fused_qk_rmsnorm_group_quant_kernelIDF16_N4opus5fp4_tELi64ELi8ELi4ELb1ELb0ELb0ELb0ELb0ELb0EEEvPT0_PvPT_S7_S7_PKS6_S9_S9_S9_S9_ffiiiiiiiiiiiii,comdat
	.protected	_ZN5aiter35fused_qk_rmsnorm_group_quant_kernelIDF16_N4opus5fp4_tELi64ELi8ELi4ELb1ELb0ELb0ELb0ELb0ELb0EEEvPT0_PvPT_S7_S7_PKS6_S9_S9_S9_S9_ffiiiiiiiiiiiii ; -- Begin function _ZN5aiter35fused_qk_rmsnorm_group_quant_kernelIDF16_N4opus5fp4_tELi64ELi8ELi4ELb1ELb0ELb0ELb0ELb0ELb0EEEvPT0_PvPT_S7_S7_PKS6_S9_S9_S9_S9_ffiiiiiiiiiiiii
	.globl	_ZN5aiter35fused_qk_rmsnorm_group_quant_kernelIDF16_N4opus5fp4_tELi64ELi8ELi4ELb1ELb0ELb0ELb0ELb0ELb0EEEvPT0_PvPT_S7_S7_PKS6_S9_S9_S9_S9_ffiiiiiiiiiiiii
	.p2align	8
	.type	_ZN5aiter35fused_qk_rmsnorm_group_quant_kernelIDF16_N4opus5fp4_tELi64ELi8ELi4ELb1ELb0ELb0ELb0ELb0ELb0EEEvPT0_PvPT_S7_S7_PKS6_S9_S9_S9_S9_ffiiiiiiiiiiiii,@function
_ZN5aiter35fused_qk_rmsnorm_group_quant_kernelIDF16_N4opus5fp4_tELi64ELi8ELi4ELb1ELb0ELb0ELb0ELb0ELb0EEEvPT0_PvPT_S7_S7_PKS6_S9_S9_S9_S9_ffiiiiiiiiiiiii: ; @_ZN5aiter35fused_qk_rmsnorm_group_quant_kernelIDF16_N4opus5fp4_tELi64ELi8ELi4ELb1ELb0ELb0ELb0ELb0ELb0EEEvPT0_PvPT_S7_S7_PKS6_S9_S9_S9_S9_ffiiiiiiiiiiiii
; %bb.0:
	s_load_dwordx8 s[8:15], s[4:5], 0x50
	s_waitcnt lgkmcnt(0)
	s_cmp_ge_i32 s6, s10
	s_cbranch_scc1 .LBB223_15
; %bb.1:
	s_cmp_lg_u32 s7, 0
	s_cselect_b64 s[2:3], -1, 0
	s_cmp_eq_u32 s7, 0
	s_cselect_b64 s[24:25], -1, 0
	s_and_b64 s[0:1], s[24:25], exec
	s_load_dwordx2 s[16:17], s[4:5], 0x48
	s_load_dwordx2 s[30:31], s[4:5], 0x30
	s_load_dwordx4 s[20:23], s[4:5], 0x70
	s_cselect_b32 s7, s11, s12
	s_add_i32 s0, s7, 1
	s_lshr_b32 s1, s0, 31
	s_add_i32 s0, s0, s1
	s_lshl_b32 s0, s0, 1
	v_lshlrev_b32_e32 v1, 3, v0
	s_and_b32 s26, s0, -4
	v_cmp_gt_i32_e64 s[0:1], s7, v1
	v_mov_b32_e32 v2, 0
	v_mov_b32_e32 v3, 0
	;; [unrolled: 1-line block ×8, first 2 shown]
	s_and_saveexec_b64 s[18:19], s[0:1]
	s_cbranch_execz .LBB223_3
; %bb.2:
	s_load_dwordx2 s[28:29], s[4:5], 0x28
	s_load_dwordx2 s[34:35], s[4:5], 0x40
	s_and_b64 s[36:37], s[24:25], exec
	s_cselect_b32 s10, s13, s14
	s_mov_b32 s27, 0x20000
	s_waitcnt lgkmcnt(0)
	s_cselect_b32 s13, s29, s31
	s_cselect_b32 s23, s28, s30
	s_mul_hi_i32 s29, s10, s6
	s_mul_i32 s28, s10, s6
	s_lshl_b64 s[28:29], s[28:29], 1
	s_add_u32 s36, s23, s28
	s_addc_u32 s10, s13, s29
	s_and_b64 s[24:25], s[24:25], exec
	s_cselect_b32 s24, s34, s16
	s_cselect_b32 s13, s35, s17
	v_lshlrev_b32_e32 v10, 4, v0
	s_and_b32 s37, s10, 0xffff
	s_mov_b32 s38, s26
	s_mov_b32 s39, s27
	s_and_b32 s25, s13, 0xffff
	buffer_load_dwordx4 v[6:9], v10, s[36:39], 0 offen glc slc
	buffer_load_dwordx4 v[2:5], v10, s[24:27], 0 offen
.LBB223_3:
	s_or_b64 exec, exec, s[18:19]
	s_load_dwordx2 s[28:29], s[4:5], 0x80
	s_and_b64 vcc, exec, s[2:3]
	s_cbranch_vccz .LBB223_7
; %bb.4:
	v_mov_b32_e32 v11, 0
	v_mov_b32_e32 v10, 0
	;; [unrolled: 1-line block ×8, first 2 shown]
	s_and_saveexec_b64 s[18:19], s[0:1]
	s_cbranch_execz .LBB223_6
; %bb.5:
	s_waitcnt vmcnt(1)
	v_cvt_f32_f16_sdwa v17, v6 dst_sel:DWORD dst_unused:UNUSED_PAD src0_sel:WORD_1
	v_cvt_f32_f16_e32 v16, v6
	v_cvt_f32_f16_sdwa v15, v7 dst_sel:DWORD dst_unused:UNUSED_PAD src0_sel:WORD_1
	v_cvt_f32_f16_e32 v14, v7
	;; [unrolled: 2-line block ×4, first 2 shown]
.LBB223_6:
	s_or_b64 exec, exec, s[18:19]
	s_mov_b32 s10, s9
	s_cbranch_execz .LBB223_8
	s_branch .LBB223_11
.LBB223_7:
                                        ; implicit-def: $vgpr11
                                        ; implicit-def: $vgpr13
                                        ; implicit-def: $vgpr15
                                        ; implicit-def: $vgpr17
	s_mov_b32 s10, s9
.LBB223_8:
	v_mov_b32_e32 v11, 0
	v_mov_b32_e32 v10, 0
	;; [unrolled: 1-line block ×8, first 2 shown]
	s_and_saveexec_b64 s[18:19], s[0:1]
	s_cbranch_execz .LBB223_10
; %bb.9:
	s_load_dwordx2 s[24:25], s[4:5], 0x38
	s_mul_hi_i32 s35, s15, s6
	s_mul_i32 s34, s15, s6
	s_lshl_b64 s[34:35], s[34:35], 1
	s_mov_b32 s27, 0x20000
	s_waitcnt lgkmcnt(0)
	s_add_u32 s24, s24, s34
	s_addc_u32 s10, s25, s35
	s_and_b32 s25, s10, 0xffff
	v_lshlrev_b32_e32 v26, 4, v0
	buffer_load_dwordx4 v[10:13], v26, s[24:27], 0 offen glc slc
	s_waitcnt vmcnt(2)
	v_cvt_f32_f16_sdwa v15, v6 dst_sel:DWORD dst_unused:UNUSED_PAD src0_sel:WORD_1
	v_cvt_f32_f16_e32 v14, v6
	v_cvt_f32_f16_sdwa v19, v7 dst_sel:DWORD dst_unused:UNUSED_PAD src0_sel:WORD_1
	v_cvt_f32_f16_e32 v18, v7
	;; [unrolled: 2-line block ×4, first 2 shown]
	s_load_dwordx2 s[24:25], s[4:5], 0x20
	s_mul_hi_i32 s35, s29, s6
	s_mul_i32 s34, s29, s6
	s_lshl_b64 s[34:35], s[34:35], 1
	s_waitcnt lgkmcnt(0)
	s_add_u32 s24, s24, s34
	s_addc_u32 s10, s25, s35
	s_and_b32 s25, s10, 0xffff
	s_waitcnt vmcnt(0)
	v_cvt_f32_f16_e32 v8, v10
	v_cvt_f32_f16_sdwa v9, v10 dst_sel:DWORD dst_unused:UNUSED_PAD src0_sel:WORD_1
	v_cvt_f32_f16_e32 v10, v11
	v_cvt_f32_f16_sdwa v11, v11 dst_sel:DWORD dst_unused:UNUSED_PAD src0_sel:WORD_1
	;; [unrolled: 2-line block ×4, first 2 shown]
	v_pk_add_f32 v[16:17], v[14:15], v[8:9]
	v_pk_add_f32 v[14:15], v[18:19], v[10:11]
	;; [unrolled: 1-line block ×4, first 2 shown]
	v_cvt_f16_f32_e32 v6, v17
	v_cvt_f16_f32_e32 v7, v15
	;; [unrolled: 1-line block ×8, first 2 shown]
	v_pack_b32_f16 v9, v18, v9
	v_pack_b32_f16 v8, v19, v8
	;; [unrolled: 1-line block ×4, first 2 shown]
	buffer_store_dwordx4 v[6:9], v26, s[24:27], 0 offen glc slc
	;;#ASMSTART
	s_nop 0
	;;#ASMEND
.LBB223_10:
	s_or_b64 exec, exec, s[18:19]
	s_mov_b32 s10, s8
.LBB223_11:
	s_waitcnt vmcnt(1)
	v_mul_f32_e32 v6, v17, v17
	v_fmac_f32_e32 v6, v16, v16
	v_fmac_f32_e32 v6, v14, v14
	;; [unrolled: 1-line block ×7, first 2 shown]
	v_bfrev_b32_e32 v8, 0.5
	s_load_dwordx2 s[34:35], s[4:5], 0x18
	v_mov_b32_dpp v7, v6 quad_perm:[1,0,3,2] row_mask:0xf bank_mask:0xf
	v_add_f32_e32 v6, v6, v7
	s_nop 1
	v_mov_b32_dpp v7, v6 quad_perm:[2,3,0,1] row_mask:0xf bank_mask:0xf
	v_add_f32_e32 v6, v6, v7
	s_nop 1
	v_mov_b32_dpp v7, v6 row_half_mirror row_mask:0xf bank_mask:0xf
	v_add_f32_e32 v6, v6, v7
	s_nop 1
	v_mov_b32_dpp v7, v6 row_mirror row_mask:0xf bank_mask:0xf
	v_add_f32_e32 v6, v6, v7
	s_nop 1
	v_mov_b32_dpp v7, v6 row_bcast:15 row_mask:0xf bank_mask:0xf
	v_add_f32_e32 v6, v6, v7
	s_nop 1
	v_mov_b32_dpp v7, v6 row_bcast:31 row_mask:0xf bank_mask:0xf
	v_add_f32_e32 v6, v6, v7
	v_mbcnt_lo_u32_b32 v7, -1, 0
	v_mbcnt_hi_u32_b32 v7, -1, v7
	v_lshl_or_b32 v18, v7, 2, v8
	ds_bpermute_b32 v6, v18, v6
	s_and_saveexec_b64 s[18:19], s[0:1]
	s_cbranch_execnz .LBB223_16
; %bb.12:
	s_or_b64 exec, exec, s[18:19]
	s_mov_b64 s[18:19], -1
	s_and_b64 vcc, exec, s[2:3]
	s_cbranch_vccnz .LBB223_17
.LBB223_13:
	s_andn2_b64 vcc, exec, s[18:19]
	s_cbranch_vccz .LBB223_20
.LBB223_14:
	s_cmp_lt_i32 s12, 1
	s_cbranch_scc0 .LBB223_27
.LBB223_15:
	s_endpgm
.LBB223_16:
	v_cvt_f32_u32_e32 v7, s7
	s_mov_b32 s7, 0x800000
	s_waitcnt vmcnt(0)
	v_cvt_f32_f16_sdwa v23, v5 dst_sel:DWORD dst_unused:UNUSED_PAD src0_sel:WORD_1
	v_cvt_f32_f16_e32 v22, v5
	s_waitcnt lgkmcnt(0)
	v_div_scale_f32 v8, s[24:25], v7, v7, v6
	v_rcp_f32_e32 v9, v8
	v_div_scale_f32 v19, vcc, v6, v7, v6
	v_fma_f32 v20, -v8, v9, 1.0
	v_fmac_f32_e32 v9, v20, v9
	v_mul_f32_e32 v20, v19, v9
	v_fma_f32 v21, -v8, v20, v19
	v_fmac_f32_e32 v20, v21, v9
	v_fma_f32 v8, -v8, v20, v19
	v_div_fmas_f32 v8, v8, v9, v20
	v_div_fixup_f32 v6, v8, v7, v6
	v_add_f32_e32 v6, s10, v6
	v_mul_f32_e32 v7, 0x4b800000, v6
	v_cmp_gt_f32_e32 vcc, s7, v6
	v_cndmask_b32_e32 v6, v6, v7, vcc
	v_rsq_f32_e32 v6, v6
	v_cvt_f32_f16_sdwa v21, v3 dst_sel:DWORD dst_unused:UNUSED_PAD src0_sel:WORD_1
	v_cvt_f32_f16_e32 v20, v3
	v_cvt_f32_f16_sdwa v3, v4 dst_sel:DWORD dst_unused:UNUSED_PAD src0_sel:WORD_1
	v_mul_f32_e32 v7, 0x45800000, v6
	v_cndmask_b32_e32 v6, v6, v7, vcc
	v_mov_b32_e32 v7, v6
	;;#ASMSTART
	v_pk_mul_f32 v[8:9], v[16:17], v[6:7]
	;;#ASMEND
	;;#ASMSTART
	v_pk_mul_f32 v[14:15], v[14:15], v[6:7]
	;;#ASMEND
	;; [unrolled: 3-line block ×4, first 2 shown]
	v_cvt_f32_f16_sdwa v11, v2 dst_sel:DWORD dst_unused:UNUSED_PAD src0_sel:WORD_1
	v_cvt_f32_f16_e32 v10, v2
	v_cvt_f32_f16_e32 v2, v4
	;;#ASMSTART
	v_pk_mul_f32 v[16:17], v[8:9], v[10:11]
	;;#ASMEND
	;;#ASMSTART
	v_pk_mul_f32 v[14:15], v[14:15], v[20:21]
	;;#ASMEND
	;;#ASMSTART
	v_pk_mul_f32 v[12:13], v[12:13], v[2:3]
	;;#ASMEND
	;;#ASMSTART
	v_pk_mul_f32 v[10:11], v[6:7], v[22:23]
	;;#ASMEND
	s_or_b64 exec, exec, s[18:19]
	s_mov_b64 s[18:19], -1
	s_and_b64 vcc, exec, s[2:3]
	s_cbranch_vccz .LBB223_13
.LBB223_17:
	s_and_saveexec_b64 s[2:3], s[0:1]
	s_cbranch_execz .LBB223_19
; %bb.18:
	s_waitcnt lgkmcnt(0)
	s_mul_hi_i32 s19, s28, s6
	s_mul_i32 s18, s28, s6
	s_waitcnt vmcnt(0)
	v_cvt_f16_f32_e32 v2, v16
	v_cvt_f16_f32_e32 v3, v14
	;; [unrolled: 1-line block ×8, first 2 shown]
	s_lshl_b64 s[18:19], s[18:19], 1
	s_add_u32 s24, s34, s18
	s_addc_u32 s7, s35, s19
	s_and_b32 s25, s7, 0xffff
	s_mov_b32 s27, 0x20000
	v_pack_b32_f16 v5, v5, v6
	v_pack_b32_f16 v4, v4, v7
	;; [unrolled: 1-line block ×4, first 2 shown]
	v_lshlrev_b32_e32 v6, 4, v0
	buffer_store_dwordx4 v[2:5], v6, s[24:27], 0 offen
	;;#ASMSTART
	s_nop 0
	;;#ASMEND
.LBB223_19:
	s_or_b64 exec, exec, s[2:3]
	s_cbranch_execnz .LBB223_14
.LBB223_20:
	s_waitcnt vmcnt(0)
	v_mov_b32_e32 v2, 0
	s_and_saveexec_b64 s[2:3], s[0:1]
	s_cbranch_execz .LBB223_22
; %bb.21:
	v_and_b32_e32 v2, 0x7fffffff, v16
	v_and_b32_e32 v3, 0x7fffffff, v17
	v_mov_b32_e32 v4, 0x2edbe6ff
	;;#ASMSTART
	v_max3_f32 v2, v4, v2, v3

	;;#ASMEND
	v_and_b32_e32 v3, 0x7fffffff, v14
	v_and_b32_e32 v4, 0x7fffffff, v15
	;;#ASMSTART
	v_max3_f32 v2, v2, v3, v4

	;;#ASMEND
	v_and_b32_e32 v3, 0x7fffffff, v12
	v_and_b32_e32 v4, 0x7fffffff, v13
	;; [unrolled: 6-line block ×3, first 2 shown]
	;;#ASMSTART
	v_max3_f32 v2, v2, v3, v4

	;;#ASMEND
.LBB223_22:
	s_or_b64 exec, exec, s[2:3]
	;;#ASMSTART
	v_max_f32 v3, v2, v2 quad_perm:[1,0,3,2] row_mask:0xf bank_mask:0xf bound_ctrl:1
	;;#ASMEND
	;;#ASMSTART
	v_max_f32 v2, v3, v3 quad_perm:[2,3,0,1] row_mask:0xf bank_mask:0xf bound_ctrl:1
	;;#ASMEND
	v_and_b32_e32 v3, 3, v0
	v_cmp_eq_u32_e32 vcc, 0, v3
	v_cmp_gt_i32_e64 s[2:3], s11, v1
	s_and_b64 s[18:19], vcc, s[2:3]
	s_and_saveexec_b64 s[2:3], s[18:19]
	s_cbranch_execz .LBB223_24
; %bb.23:
	s_load_dwordx2 s[18:19], s[4:5], 0x8
	v_mul_f32_e32 v2, 0x3e2aaaab, v2
	v_lshrrev_b32_e32 v3, 23, v2
	v_and_b32_e32 v4, 0x7f800000, v2
	v_and_b32_e32 v2, 0x7fffff, v2
	v_cmp_ne_u32_e32 vcc, 0, v2
	s_waitcnt lgkmcnt(0)
	s_mul_i32 s10, s21, s6
	s_mov_b32 s7, 0x7f800000
	v_addc_co_u32_e32 v2, vcc, 0, v3, vcc
	s_mul_hi_i32 s8, s21, s6
	s_add_u32 s18, s18, s10
	v_cmp_ne_u32_e32 vcc, s7, v4
	s_addc_u32 s19, s19, s8
	v_lshrrev_b32_e32 v5, 2, v0
	v_cndmask_b32_e32 v4, -1, v2, vcc
	v_pk_mov_b32 v[2:3], s[18:19], s[18:19] op_sel:[0,1]
	v_mad_i64_i32 v[2:3], s[18:19], s22, v5, v[2:3]
	global_store_byte v[2:3], v4, off
.LBB223_24:
	s_or_b64 exec, exec, s[2:3]
	s_and_saveexec_b64 s[2:3], s[0:1]
	s_cbranch_execz .LBB223_26
; %bb.25:
	s_load_dwordx2 s[0:1], s[4:5], 0x0
	s_waitcnt lgkmcnt(0)
	s_mul_i32 s8, s20, s6
	s_mul_hi_i32 s7, s20, s6
	v_lshlrev_b32_e32 v2, 2, v0
	s_mov_b32 s23, 0x20000
	s_add_u32 s20, s0, s8
	s_addc_u32 s0, s1, s7
	s_lshr_b32 s1, s11, 31
	s_add_i32 s1, s11, s1
	s_ashr_i32 s1, s1, 1
	s_add_i32 s1, s1, 3
	s_ashr_i32 s7, s1, 31
	s_lshr_b32 s7, s7, 30
	s_add_i32 s1, s1, s7
	s_and_b32 s22, s1, -4
	s_and_b32 s21, s0, 0xffff
	v_mov_b32_e32 v3, 0
	buffer_store_dword v3, v2, s[20:23], 0 offen
	;;#ASMSTART
	s_nop 0
	;;#ASMEND
.LBB223_26:
	s_or_b64 exec, exec, s[2:3]
	s_cmp_lt_i32 s12, 1
	s_cbranch_scc1 .LBB223_15
.LBB223_27:
	s_load_dword s0, s[4:5], 0x94
	s_waitcnt lgkmcnt(0)
	s_cmp_lg_u32 s0, 1
	s_cbranch_scc1 .LBB223_15
; %bb.28:
	s_lshl_b32 s0, s12, 1
	s_add_i32 s0, s0, 2
	v_cmp_gt_u32_e32 vcc, s12, v1
	s_and_b32 s18, s0, -4
	v_mov_b32_e32 v8, 0
	v_lshlrev_b32_e32 v16, 4, v0
	s_waitcnt vmcnt(0)
	v_mov_b32_e32 v4, 0
	v_mov_b32_e32 v5, 0
	;; [unrolled: 1-line block ×8, first 2 shown]
	s_barrier
	s_and_saveexec_b64 s[0:1], vcc
	s_cbranch_execz .LBB223_30
; %bb.29:
	s_mul_hi_i32 s3, s14, s6
	s_mul_i32 s2, s14, s6
	s_and_b32 s17, s17, 0xffff
	s_lshl_b64 s[2:3], s[2:3], 1
	s_add_u32 s20, s30, s2
	s_mov_b32 s19, 0x20000
	s_addc_u32 s2, s31, s3
	s_and_b32 s21, s2, 0xffff
	s_mov_b32 s22, s18
	s_mov_b32 s23, s19
	buffer_load_dwordx4 v[4:7], v16, s[20:23], 0 offen glc slc
	buffer_load_dwordx4 v[0:3], v16, s[16:19], 0 offen
.LBB223_30:
	s_or_b64 exec, exec, s[0:1]
	v_mov_b32_e32 v9, 0
	v_mov_b32_e32 v14, 0
	;; [unrolled: 1-line block ×7, first 2 shown]
	s_and_saveexec_b64 s[0:1], vcc
	s_cbranch_execz .LBB223_32
; %bb.31:
	s_waitcnt vmcnt(1)
	v_cvt_f32_f16_sdwa v9, v4 dst_sel:DWORD dst_unused:UNUSED_PAD src0_sel:WORD_1
	v_cvt_f32_f16_e32 v8, v4
	v_cvt_f32_f16_sdwa v15, v5 dst_sel:DWORD dst_unused:UNUSED_PAD src0_sel:WORD_1
	v_cvt_f32_f16_e32 v14, v5
	v_cvt_f32_f16_sdwa v13, v6 dst_sel:DWORD dst_unused:UNUSED_PAD src0_sel:WORD_1
	v_cvt_f32_f16_e32 v12, v6
	v_cvt_f32_f16_sdwa v11, v7 dst_sel:DWORD dst_unused:UNUSED_PAD src0_sel:WORD_1
	v_cvt_f32_f16_e32 v10, v7
.LBB223_32:
	s_or_b64 exec, exec, s[0:1]
	s_waitcnt vmcnt(1)
	v_mul_f32_e32 v4, v9, v9
	v_fmac_f32_e32 v4, v8, v8
	v_fmac_f32_e32 v4, v14, v14
	;; [unrolled: 1-line block ×7, first 2 shown]
	s_nop 1
	v_mov_b32_dpp v5, v4 quad_perm:[1,0,3,2] row_mask:0xf bank_mask:0xf
	v_add_f32_e32 v4, v4, v5
	s_nop 1
	v_mov_b32_dpp v5, v4 quad_perm:[2,3,0,1] row_mask:0xf bank_mask:0xf
	v_add_f32_e32 v4, v4, v5
	s_nop 1
	v_mov_b32_dpp v5, v4 row_half_mirror row_mask:0xf bank_mask:0xf
	v_add_f32_e32 v4, v4, v5
	s_nop 1
	v_mov_b32_dpp v5, v4 row_mirror row_mask:0xf bank_mask:0xf
	v_add_f32_e32 v4, v4, v5
	s_nop 1
	v_mov_b32_dpp v5, v4 row_bcast:15 row_mask:0xf bank_mask:0xf
	v_add_f32_e32 v4, v4, v5
	s_nop 1
	v_mov_b32_dpp v5, v4 row_bcast:31 row_mask:0xf bank_mask:0xf
	v_add_f32_e32 v4, v4, v5
	ds_bpermute_b32 v4, v18, v4
	s_and_saveexec_b64 s[0:1], vcc
	s_cbranch_execz .LBB223_15
; %bb.33:
	v_cvt_f32_u32_e32 v5, s12
	s_mov_b32 s19, 0x20000
	s_waitcnt lgkmcnt(0)
	v_div_scale_f32 v6, s[0:1], v5, v5, v4
	v_rcp_f32_e32 v7, v6
	v_div_scale_f32 v17, vcc, v4, v5, v4
	s_mov_b32 s0, 0x800000
	v_fma_f32 v18, -v6, v7, 1.0
	v_fmac_f32_e32 v7, v18, v7
	v_mul_f32_e32 v18, v17, v7
	v_fma_f32 v19, -v6, v18, v17
	v_fmac_f32_e32 v18, v19, v7
	v_fma_f32 v6, -v6, v18, v17
	v_div_fmas_f32 v6, v6, v7, v18
	v_div_fixup_f32 v4, v6, v5, v4
	v_add_f32_e32 v4, s9, v4
	v_mul_f32_e32 v5, 0x4b800000, v4
	v_cmp_gt_f32_e32 vcc, s0, v4
	v_cndmask_b32_e32 v4, v4, v5, vcc
	v_rsq_f32_e32 v4, v4
	s_waitcnt vmcnt(0)
	v_cvt_f32_f16_sdwa v19, v3 dst_sel:DWORD dst_unused:UNUSED_PAD src0_sel:WORD_1
	v_cvt_f32_f16_e32 v18, v3
	s_mul_hi_i32 s1, s28, s6
	v_mul_f32_e32 v5, 0x45800000, v4
	v_cndmask_b32_e32 v4, v4, v5, vcc
	v_mov_b32_e32 v5, v4
	;;#ASMSTART
	v_pk_mul_f32 v[6:7], v[8:9], v[4:5]
	;;#ASMEND
	;;#ASMSTART
	v_pk_mul_f32 v[8:9], v[14:15], v[4:5]
	;;#ASMEND
	;; [unrolled: 3-line block ×4, first 2 shown]
	v_cvt_f32_f16_sdwa v11, v0 dst_sel:DWORD dst_unused:UNUSED_PAD src0_sel:WORD_1
	v_cvt_f32_f16_e32 v10, v0
	v_cvt_f32_f16_sdwa v15, v1 dst_sel:DWORD dst_unused:UNUSED_PAD src0_sel:WORD_1
	v_cvt_f32_f16_e32 v14, v1
	;; [unrolled: 2-line block ×3, first 2 shown]
	;;#ASMSTART
	v_pk_mul_f32 v[2:3], v[6:7], v[10:11]
	;;#ASMEND
	;;#ASMSTART
	v_pk_mul_f32 v[6:7], v[8:9], v[14:15]
	;;#ASMEND
	;; [unrolled: 3-line block ×4, first 2 shown]
	s_mul_i32 s0, s28, s6
	v_cvt_f16_f32_e32 v2, v2
	v_cvt_f16_f32_e32 v3, v3
	;; [unrolled: 1-line block ×8, first 2 shown]
	s_lshl_b64 s[0:1], s[0:1], 1
	s_add_u32 s16, s34, s0
	s_addc_u32 s0, s35, s1
	s_and_b32 s17, s0, 0xffff
	v_pack_b32_f16 v0, v2, v3
	v_pack_b32_f16 v1, v6, v7
	;; [unrolled: 1-line block ×4, first 2 shown]
	buffer_store_dwordx4 v[0:3], v16, s[16:19], 0 offen
	;;#ASMSTART
	s_nop 0
	;;#ASMEND
	s_endpgm
	.section	.rodata,"a",@progbits
	.p2align	6, 0x0
	.amdhsa_kernel _ZN5aiter35fused_qk_rmsnorm_group_quant_kernelIDF16_N4opus5fp4_tELi64ELi8ELi4ELb1ELb0ELb0ELb0ELb0ELb0EEEvPT0_PvPT_S7_S7_PKS6_S9_S9_S9_S9_ffiiiiiiiiiiiii
		.amdhsa_group_segment_fixed_size 0
		.amdhsa_private_segment_fixed_size 0
		.amdhsa_kernarg_size 400
		.amdhsa_user_sgpr_count 6
		.amdhsa_user_sgpr_private_segment_buffer 1
		.amdhsa_user_sgpr_dispatch_ptr 0
		.amdhsa_user_sgpr_queue_ptr 0
		.amdhsa_user_sgpr_kernarg_segment_ptr 1
		.amdhsa_user_sgpr_dispatch_id 0
		.amdhsa_user_sgpr_flat_scratch_init 0
		.amdhsa_user_sgpr_kernarg_preload_length 0
		.amdhsa_user_sgpr_kernarg_preload_offset 0
		.amdhsa_user_sgpr_private_segment_size 0
		.amdhsa_uses_dynamic_stack 0
		.amdhsa_system_sgpr_private_segment_wavefront_offset 0
		.amdhsa_system_sgpr_workgroup_id_x 1
		.amdhsa_system_sgpr_workgroup_id_y 1
		.amdhsa_system_sgpr_workgroup_id_z 0
		.amdhsa_system_sgpr_workgroup_info 0
		.amdhsa_system_vgpr_workitem_id 0
		.amdhsa_next_free_vgpr 27
		.amdhsa_next_free_sgpr 40
		.amdhsa_accum_offset 28
		.amdhsa_reserve_vcc 1
		.amdhsa_reserve_flat_scratch 0
		.amdhsa_float_round_mode_32 0
		.amdhsa_float_round_mode_16_64 0
		.amdhsa_float_denorm_mode_32 3
		.amdhsa_float_denorm_mode_16_64 3
		.amdhsa_dx10_clamp 1
		.amdhsa_ieee_mode 1
		.amdhsa_fp16_overflow 0
		.amdhsa_tg_split 0
		.amdhsa_exception_fp_ieee_invalid_op 0
		.amdhsa_exception_fp_denorm_src 0
		.amdhsa_exception_fp_ieee_div_zero 0
		.amdhsa_exception_fp_ieee_overflow 0
		.amdhsa_exception_fp_ieee_underflow 0
		.amdhsa_exception_fp_ieee_inexact 0
		.amdhsa_exception_int_div_zero 0
	.end_amdhsa_kernel
	.section	.text._ZN5aiter35fused_qk_rmsnorm_group_quant_kernelIDF16_N4opus5fp4_tELi64ELi8ELi4ELb1ELb0ELb0ELb0ELb0ELb0EEEvPT0_PvPT_S7_S7_PKS6_S9_S9_S9_S9_ffiiiiiiiiiiiii,"axG",@progbits,_ZN5aiter35fused_qk_rmsnorm_group_quant_kernelIDF16_N4opus5fp4_tELi64ELi8ELi4ELb1ELb0ELb0ELb0ELb0ELb0EEEvPT0_PvPT_S7_S7_PKS6_S9_S9_S9_S9_ffiiiiiiiiiiiii,comdat
.Lfunc_end223:
	.size	_ZN5aiter35fused_qk_rmsnorm_group_quant_kernelIDF16_N4opus5fp4_tELi64ELi8ELi4ELb1ELb0ELb0ELb0ELb0ELb0EEEvPT0_PvPT_S7_S7_PKS6_S9_S9_S9_S9_ffiiiiiiiiiiiii, .Lfunc_end223-_ZN5aiter35fused_qk_rmsnorm_group_quant_kernelIDF16_N4opus5fp4_tELi64ELi8ELi4ELb1ELb0ELb0ELb0ELb0ELb0EEEvPT0_PvPT_S7_S7_PKS6_S9_S9_S9_S9_ffiiiiiiiiiiiii
                                        ; -- End function
	.section	.AMDGPU.csdata,"",@progbits
; Kernel info:
; codeLenInByte = 2544
; NumSgprs: 44
; NumVgprs: 27
; NumAgprs: 0
; TotalNumVgprs: 27
; ScratchSize: 0
; MemoryBound: 0
; FloatMode: 240
; IeeeMode: 1
; LDSByteSize: 0 bytes/workgroup (compile time only)
; SGPRBlocks: 5
; VGPRBlocks: 3
; NumSGPRsForWavesPerEU: 44
; NumVGPRsForWavesPerEU: 27
; AccumOffset: 28
; Occupancy: 8
; WaveLimiterHint : 0
; COMPUTE_PGM_RSRC2:SCRATCH_EN: 0
; COMPUTE_PGM_RSRC2:USER_SGPR: 6
; COMPUTE_PGM_RSRC2:TRAP_HANDLER: 0
; COMPUTE_PGM_RSRC2:TGID_X_EN: 1
; COMPUTE_PGM_RSRC2:TGID_Y_EN: 1
; COMPUTE_PGM_RSRC2:TGID_Z_EN: 0
; COMPUTE_PGM_RSRC2:TIDIG_COMP_CNT: 0
; COMPUTE_PGM_RSRC3_GFX90A:ACCUM_OFFSET: 6
; COMPUTE_PGM_RSRC3_GFX90A:TG_SPLIT: 0
	.section	.text._ZN5aiter35fused_qk_rmsnorm_group_quant_kernelItN4opus5fp4_tELi64ELi8ELi4ELb1ELb0ELb0ELb0ELb0ELb0EEEvPT0_PvPT_S7_S7_PKS6_S9_S9_S9_S9_ffiiiiiiiiiiiii,"axG",@progbits,_ZN5aiter35fused_qk_rmsnorm_group_quant_kernelItN4opus5fp4_tELi64ELi8ELi4ELb1ELb0ELb0ELb0ELb0ELb0EEEvPT0_PvPT_S7_S7_PKS6_S9_S9_S9_S9_ffiiiiiiiiiiiii,comdat
	.protected	_ZN5aiter35fused_qk_rmsnorm_group_quant_kernelItN4opus5fp4_tELi64ELi8ELi4ELb1ELb0ELb0ELb0ELb0ELb0EEEvPT0_PvPT_S7_S7_PKS6_S9_S9_S9_S9_ffiiiiiiiiiiiii ; -- Begin function _ZN5aiter35fused_qk_rmsnorm_group_quant_kernelItN4opus5fp4_tELi64ELi8ELi4ELb1ELb0ELb0ELb0ELb0ELb0EEEvPT0_PvPT_S7_S7_PKS6_S9_S9_S9_S9_ffiiiiiiiiiiiii
	.globl	_ZN5aiter35fused_qk_rmsnorm_group_quant_kernelItN4opus5fp4_tELi64ELi8ELi4ELb1ELb0ELb0ELb0ELb0ELb0EEEvPT0_PvPT_S7_S7_PKS6_S9_S9_S9_S9_ffiiiiiiiiiiiii
	.p2align	8
	.type	_ZN5aiter35fused_qk_rmsnorm_group_quant_kernelItN4opus5fp4_tELi64ELi8ELi4ELb1ELb0ELb0ELb0ELb0ELb0EEEvPT0_PvPT_S7_S7_PKS6_S9_S9_S9_S9_ffiiiiiiiiiiiii,@function
_ZN5aiter35fused_qk_rmsnorm_group_quant_kernelItN4opus5fp4_tELi64ELi8ELi4ELb1ELb0ELb0ELb0ELb0ELb0EEEvPT0_PvPT_S7_S7_PKS6_S9_S9_S9_S9_ffiiiiiiiiiiiii: ; @_ZN5aiter35fused_qk_rmsnorm_group_quant_kernelItN4opus5fp4_tELi64ELi8ELi4ELb1ELb0ELb0ELb0ELb0ELb0EEEvPT0_PvPT_S7_S7_PKS6_S9_S9_S9_S9_ffiiiiiiiiiiiii
; %bb.0:
	s_load_dwordx8 s[8:15], s[4:5], 0x50
	s_waitcnt lgkmcnt(0)
	s_cmp_ge_i32 s6, s10
	s_cbranch_scc1 .LBB224_15
; %bb.1:
	s_cmp_lg_u32 s7, 0
	s_cselect_b64 s[2:3], -1, 0
	s_cmp_eq_u32 s7, 0
	s_cselect_b64 s[24:25], -1, 0
	s_and_b64 s[0:1], s[24:25], exec
	s_load_dwordx2 s[16:17], s[4:5], 0x48
	s_load_dwordx2 s[30:31], s[4:5], 0x30
	s_load_dwordx4 s[20:23], s[4:5], 0x70
	s_cselect_b32 s7, s11, s12
	s_add_i32 s0, s7, 1
	s_lshr_b32 s1, s0, 31
	s_add_i32 s0, s0, s1
	s_lshl_b32 s0, s0, 1
	v_lshlrev_b32_e32 v1, 3, v0
	s_and_b32 s26, s0, -4
	v_cmp_gt_i32_e64 s[0:1], s7, v1
	v_mov_b32_e32 v10, 0
	v_mov_b32_e32 v11, 0
	;; [unrolled: 1-line block ×8, first 2 shown]
	s_and_saveexec_b64 s[18:19], s[0:1]
	s_cbranch_execz .LBB224_3
; %bb.2:
	s_load_dwordx2 s[28:29], s[4:5], 0x28
	s_load_dwordx2 s[34:35], s[4:5], 0x40
	s_and_b64 s[36:37], s[24:25], exec
	s_cselect_b32 s10, s13, s14
	s_mov_b32 s27, 0x20000
	s_waitcnt lgkmcnt(0)
	s_cselect_b32 s13, s29, s31
	s_cselect_b32 s23, s28, s30
	s_mul_hi_i32 s29, s10, s6
	s_mul_i32 s28, s10, s6
	s_lshl_b64 s[28:29], s[28:29], 1
	s_add_u32 s36, s23, s28
	s_addc_u32 s10, s13, s29
	s_and_b64 s[24:25], s[24:25], exec
	s_cselect_b32 s24, s34, s16
	s_cselect_b32 s13, s35, s17
	v_lshlrev_b32_e32 v2, 4, v0
	s_and_b32 s37, s10, 0xffff
	s_mov_b32 s38, s26
	s_mov_b32 s39, s27
	s_and_b32 s25, s13, 0xffff
	buffer_load_dwordx4 v[14:17], v2, s[36:39], 0 offen glc slc
	buffer_load_dwordx4 v[10:13], v2, s[24:27], 0 offen
.LBB224_3:
	s_or_b64 exec, exec, s[18:19]
	s_load_dwordx2 s[28:29], s[4:5], 0x80
	s_and_b64 vcc, exec, s[2:3]
	s_cbranch_vccz .LBB224_7
; %bb.4:
	s_mov_b32 s36, 0
	s_mov_b32 s37, s36
	;; [unrolled: 1-line block ×8, first 2 shown]
	v_pk_mov_b32 v[2:3], s[36:37], s[36:37] op_sel:[0,1]
	v_pk_mov_b32 v[4:5], s[38:39], s[38:39] op_sel:[0,1]
	;; [unrolled: 1-line block ×4, first 2 shown]
	s_and_saveexec_b64 s[18:19], s[0:1]
	s_cbranch_execz .LBB224_6
; %bb.5:
	s_waitcnt vmcnt(1)
	v_cvt_f32_u32_sdwa v3, v14 dst_sel:DWORD dst_unused:UNUSED_PAD src0_sel:WORD_1
	v_cvt_f32_u32_sdwa v2, v14 dst_sel:DWORD dst_unused:UNUSED_PAD src0_sel:WORD_0
	v_cvt_f32_u32_sdwa v5, v15 dst_sel:DWORD dst_unused:UNUSED_PAD src0_sel:WORD_1
	v_cvt_f32_u32_sdwa v4, v15 dst_sel:DWORD dst_unused:UNUSED_PAD src0_sel:WORD_0
	;; [unrolled: 2-line block ×4, first 2 shown]
.LBB224_6:
	s_or_b64 exec, exec, s[18:19]
	s_mov_b32 s10, s9
	s_cbranch_execz .LBB224_8
	s_branch .LBB224_11
.LBB224_7:
                                        ; implicit-def: $vgpr2_vgpr3_vgpr4_vgpr5_vgpr6_vgpr7_vgpr8_vgpr9
	s_mov_b32 s10, s9
.LBB224_8:
	s_mov_b32 s36, 0
	s_mov_b32 s37, s36
	;; [unrolled: 1-line block ×8, first 2 shown]
	v_pk_mov_b32 v[2:3], s[36:37], s[36:37] op_sel:[0,1]
	v_pk_mov_b32 v[4:5], s[38:39], s[38:39] op_sel:[0,1]
	;; [unrolled: 1-line block ×4, first 2 shown]
	s_and_saveexec_b64 s[18:19], s[0:1]
	s_cbranch_execz .LBB224_10
; %bb.9:
	s_load_dwordx2 s[24:25], s[4:5], 0x38
	s_mul_hi_i32 s35, s15, s6
	s_mul_i32 s34, s15, s6
	s_lshl_b64 s[34:35], s[34:35], 1
	s_mov_b32 s27, 0x20000
	s_waitcnt lgkmcnt(0)
	s_add_u32 s24, s24, s34
	s_addc_u32 s10, s25, s35
	s_and_b32 s25, s10, 0xffff
	v_lshlrev_b32_e32 v26, 4, v0
	buffer_load_dwordx4 v[2:5], v26, s[24:27], 0 offen glc slc
	s_load_dwordx2 s[24:25], s[4:5], 0x20
	s_waitcnt vmcnt(2)
	v_cvt_f32_u32_sdwa v7, v14 dst_sel:DWORD dst_unused:UNUSED_PAD src0_sel:WORD_1
	v_cvt_f32_u32_sdwa v6, v14 dst_sel:DWORD dst_unused:UNUSED_PAD src0_sel:WORD_0
	v_cvt_f32_u32_sdwa v9, v15 dst_sel:DWORD dst_unused:UNUSED_PAD src0_sel:WORD_1
	v_cvt_f32_u32_sdwa v8, v15 dst_sel:DWORD dst_unused:UNUSED_PAD src0_sel:WORD_0
	;; [unrolled: 2-line block ×4, first 2 shown]
	s_mul_hi_i32 s35, s29, s6
	s_mul_i32 s34, s29, s6
	s_lshl_b64 s[34:35], s[34:35], 1
	s_waitcnt lgkmcnt(0)
	s_add_u32 s24, s24, s34
	s_mov_b32 s10, 0x7060302
	s_addc_u32 s13, s25, s35
	s_and_b32 s25, s13, 0xffff
	s_waitcnt vmcnt(0)
	v_cvt_f32_u32_sdwa v17, v2 dst_sel:DWORD dst_unused:UNUSED_PAD src0_sel:WORD_1
	v_cvt_f32_u32_sdwa v16, v2 dst_sel:DWORD dst_unused:UNUSED_PAD src0_sel:WORD_0
	v_cvt_f32_u32_sdwa v21, v3 dst_sel:DWORD dst_unused:UNUSED_PAD src0_sel:WORD_1
	v_cvt_f32_u32_sdwa v20, v3 dst_sel:DWORD dst_unused:UNUSED_PAD src0_sel:WORD_0
	;; [unrolled: 2-line block ×4, first 2 shown]
	v_pk_add_f32 v[2:3], v[6:7], v[16:17]
	v_pk_add_f32 v[4:5], v[8:9], v[20:21]
	;; [unrolled: 1-line block ×4, first 2 shown]
	v_perm_b32 v17, v9, v8, s10
	v_perm_b32 v16, v7, v6, s10
	;; [unrolled: 1-line block ×4, first 2 shown]
	buffer_store_dwordx4 v[14:17], v26, s[24:27], 0 offen glc slc
	;;#ASMSTART
	s_nop 0
	;;#ASMEND
.LBB224_10:
	s_or_b64 exec, exec, s[18:19]
	s_mov_b32 s10, s8
.LBB224_11:
	s_waitcnt vmcnt(1)
	v_mul_f32_e32 v14, v3, v3
	v_fmac_f32_e32 v14, v2, v2
	v_fmac_f32_e32 v14, v4, v4
	;; [unrolled: 1-line block ×7, first 2 shown]
	v_bfrev_b32_e32 v16, 0.5
	s_load_dwordx2 s[34:35], s[4:5], 0x18
	v_mov_b32_dpp v15, v14 quad_perm:[1,0,3,2] row_mask:0xf bank_mask:0xf
	v_add_f32_e32 v14, v14, v15
	s_nop 1
	v_mov_b32_dpp v15, v14 quad_perm:[2,3,0,1] row_mask:0xf bank_mask:0xf
	v_add_f32_e32 v14, v14, v15
	s_nop 1
	v_mov_b32_dpp v15, v14 row_half_mirror row_mask:0xf bank_mask:0xf
	v_add_f32_e32 v14, v14, v15
	s_nop 1
	v_mov_b32_dpp v15, v14 row_mirror row_mask:0xf bank_mask:0xf
	v_add_f32_e32 v14, v14, v15
	s_nop 1
	v_mov_b32_dpp v15, v14 row_bcast:15 row_mask:0xf bank_mask:0xf
	v_add_f32_e32 v14, v14, v15
	s_nop 1
	v_mov_b32_dpp v15, v14 row_bcast:31 row_mask:0xf bank_mask:0xf
	v_add_f32_e32 v15, v14, v15
	v_mbcnt_lo_u32_b32 v14, -1, 0
	v_mbcnt_hi_u32_b32 v14, -1, v14
	v_lshl_or_b32 v14, v14, 2, v16
	ds_bpermute_b32 v15, v14, v15
	s_and_saveexec_b64 s[18:19], s[0:1]
	s_cbranch_execnz .LBB224_16
; %bb.12:
	s_or_b64 exec, exec, s[18:19]
	s_mov_b64 s[18:19], -1
	s_and_b64 vcc, exec, s[2:3]
	s_cbranch_vccnz .LBB224_17
.LBB224_13:
	s_andn2_b64 vcc, exec, s[18:19]
	s_cbranch_vccz .LBB224_20
.LBB224_14:
	s_cmp_lt_i32 s12, 1
	s_cbranch_scc0 .LBB224_27
.LBB224_15:
	s_endpgm
.LBB224_16:
	v_cvt_f32_u32_e32 v16, s7
	s_mov_b32 s7, 0x800000
	s_waitcnt lgkmcnt(0)
	v_div_scale_f32 v17, s[24:25], v16, v16, v15
	v_rcp_f32_e32 v18, v17
	v_div_scale_f32 v19, vcc, v15, v16, v15
	v_fma_f32 v20, -v17, v18, 1.0
	v_fmac_f32_e32 v18, v20, v18
	v_mul_f32_e32 v20, v19, v18
	v_fma_f32 v21, -v17, v20, v19
	v_fmac_f32_e32 v20, v21, v18
	v_fma_f32 v17, -v17, v20, v19
	v_div_fmas_f32 v17, v17, v18, v20
	v_div_fixup_f32 v15, v17, v16, v15
	v_add_f32_e32 v15, s10, v15
	v_mul_f32_e32 v16, 0x4b800000, v15
	v_cmp_gt_f32_e32 vcc, s7, v15
	v_cndmask_b32_e32 v15, v15, v16, vcc
	v_rsq_f32_e32 v15, v15
	s_waitcnt vmcnt(0)
	v_cvt_f32_u32_sdwa v19, v11 dst_sel:DWORD dst_unused:UNUSED_PAD src0_sel:WORD_1
	v_cvt_f32_u32_sdwa v18, v11 dst_sel:DWORD dst_unused:UNUSED_PAD src0_sel:WORD_0
	v_cvt_f32_u32_sdwa v11, v12 dst_sel:DWORD dst_unused:UNUSED_PAD src0_sel:WORD_1
	v_mul_f32_e32 v16, 0x45800000, v15
	v_cndmask_b32_e32 v16, v15, v16, vcc
	v_mov_b32_e32 v17, v16
	;;#ASMSTART
	v_pk_mul_f32 v[2:3], v[2:3], v[16:17]
	;;#ASMEND
	;;#ASMSTART
	v_pk_mul_f32 v[4:5], v[4:5], v[16:17]
	;;#ASMEND
	;; [unrolled: 3-line block ×4, first 2 shown]
	v_cvt_f32_u32_sdwa v17, v10 dst_sel:DWORD dst_unused:UNUSED_PAD src0_sel:WORD_1
	v_cvt_f32_u32_sdwa v16, v10 dst_sel:DWORD dst_unused:UNUSED_PAD src0_sel:WORD_0
	v_cvt_f32_u32_sdwa v10, v12 dst_sel:DWORD dst_unused:UNUSED_PAD src0_sel:WORD_0
	v_cvt_f32_u32_sdwa v21, v13 dst_sel:DWORD dst_unused:UNUSED_PAD src0_sel:WORD_1
	v_cvt_f32_u32_sdwa v20, v13 dst_sel:DWORD dst_unused:UNUSED_PAD src0_sel:WORD_0
	;;#ASMSTART
	v_pk_mul_f32 v[2:3], v[2:3], v[16:17]
	;;#ASMEND
	;;#ASMSTART
	v_pk_mul_f32 v[4:5], v[4:5], v[18:19]
	;;#ASMEND
	;; [unrolled: 3-line block ×4, first 2 shown]
	s_or_b64 exec, exec, s[18:19]
	s_mov_b64 s[18:19], -1
	s_and_b64 vcc, exec, s[2:3]
	s_cbranch_vccz .LBB224_13
.LBB224_17:
	s_and_saveexec_b64 s[2:3], s[0:1]
	s_cbranch_execz .LBB224_19
; %bb.18:
	s_waitcnt lgkmcnt(0)
	s_mul_hi_i32 s19, s28, s6
	s_mul_i32 s18, s28, s6
	s_lshl_b64 s[18:19], s[18:19], 1
	s_add_u32 s24, s34, s18
	s_addc_u32 s7, s35, s19
	s_and_b32 s25, s7, 0xffff
	s_mov_b32 s7, 0x7060302
	s_mov_b32 s27, 0x20000
	s_waitcnt vmcnt(0)
	v_perm_b32 v10, v3, v2, s7
	v_perm_b32 v11, v5, v4, s7
	;; [unrolled: 1-line block ×4, first 2 shown]
	v_lshlrev_b32_e32 v15, 4, v0
	buffer_store_dwordx4 v[10:13], v15, s[24:27], 0 offen
	;;#ASMSTART
	s_nop 0
	;;#ASMEND
.LBB224_19:
	s_or_b64 exec, exec, s[2:3]
	s_cbranch_execnz .LBB224_14
.LBB224_20:
	s_waitcnt vmcnt(0)
	v_mov_b32_e32 v10, 0
	s_and_saveexec_b64 s[2:3], s[0:1]
	s_cbranch_execz .LBB224_22
; %bb.21:
	v_and_b32_e32 v2, 0x7fffffff, v2
	v_and_b32_e32 v3, 0x7fffffff, v3
	v_mov_b32_e32 v10, 0x2edbe6ff
	;;#ASMSTART
	v_max3_f32 v2, v10, v2, v3

	;;#ASMEND
	v_and_b32_e32 v3, 0x7fffffff, v4
	v_and_b32_e32 v4, 0x7fffffff, v5
	;;#ASMSTART
	v_max3_f32 v2, v2, v3, v4

	;;#ASMEND
	v_and_b32_e32 v3, 0x7fffffff, v6
	v_and_b32_e32 v4, 0x7fffffff, v7
	;; [unrolled: 6-line block ×3, first 2 shown]
	;;#ASMSTART
	v_max3_f32 v10, v2, v3, v4

	;;#ASMEND
.LBB224_22:
	s_or_b64 exec, exec, s[2:3]
	;;#ASMSTART
	v_max_f32 v3, v10, v10 quad_perm:[1,0,3,2] row_mask:0xf bank_mask:0xf bound_ctrl:1
	;;#ASMEND
	;;#ASMSTART
	v_max_f32 v2, v3, v3 quad_perm:[2,3,0,1] row_mask:0xf bank_mask:0xf bound_ctrl:1
	;;#ASMEND
	v_and_b32_e32 v3, 3, v0
	v_cmp_eq_u32_e32 vcc, 0, v3
	v_cmp_gt_i32_e64 s[2:3], s11, v1
	s_and_b64 s[18:19], vcc, s[2:3]
	s_and_saveexec_b64 s[2:3], s[18:19]
	s_cbranch_execz .LBB224_24
; %bb.23:
	s_load_dwordx2 s[18:19], s[4:5], 0x8
	v_mul_f32_e32 v2, 0x3e2aaaab, v2
	v_lshrrev_b32_e32 v3, 23, v2
	v_and_b32_e32 v4, 0x7f800000, v2
	v_and_b32_e32 v2, 0x7fffff, v2
	v_cmp_ne_u32_e32 vcc, 0, v2
	s_waitcnt lgkmcnt(0)
	s_mul_i32 s10, s21, s6
	s_mov_b32 s7, 0x7f800000
	v_addc_co_u32_e32 v2, vcc, 0, v3, vcc
	s_mul_hi_i32 s8, s21, s6
	s_add_u32 s18, s18, s10
	v_cmp_ne_u32_e32 vcc, s7, v4
	s_addc_u32 s19, s19, s8
	v_lshrrev_b32_e32 v5, 2, v0
	v_cndmask_b32_e32 v4, -1, v2, vcc
	v_pk_mov_b32 v[2:3], s[18:19], s[18:19] op_sel:[0,1]
	v_mad_i64_i32 v[2:3], s[18:19], s22, v5, v[2:3]
	global_store_byte v[2:3], v4, off
.LBB224_24:
	s_or_b64 exec, exec, s[2:3]
	s_and_saveexec_b64 s[2:3], s[0:1]
	s_cbranch_execz .LBB224_26
; %bb.25:
	s_load_dwordx2 s[0:1], s[4:5], 0x0
	s_waitcnt lgkmcnt(0)
	s_mul_i32 s8, s20, s6
	s_mul_hi_i32 s7, s20, s6
	v_lshlrev_b32_e32 v2, 2, v0
	s_mov_b32 s23, 0x20000
	s_add_u32 s20, s0, s8
	s_addc_u32 s0, s1, s7
	s_lshr_b32 s1, s11, 31
	s_add_i32 s1, s11, s1
	s_ashr_i32 s1, s1, 1
	s_add_i32 s1, s1, 3
	s_ashr_i32 s7, s1, 31
	s_lshr_b32 s7, s7, 30
	s_add_i32 s1, s1, s7
	s_and_b32 s22, s1, -4
	s_and_b32 s21, s0, 0xffff
	v_mov_b32_e32 v3, 0
	buffer_store_dword v3, v2, s[20:23], 0 offen
	;;#ASMSTART
	s_nop 0
	;;#ASMEND
.LBB224_26:
	s_or_b64 exec, exec, s[2:3]
	s_cmp_lt_i32 s12, 1
	s_cbranch_scc1 .LBB224_15
.LBB224_27:
	s_load_dword s0, s[4:5], 0x94
	s_waitcnt lgkmcnt(0)
	s_cmp_lg_u32 s0, 1
	s_cbranch_scc1 .LBB224_15
; %bb.28:
	s_lshl_b32 s0, s12, 1
	s_add_i32 s0, s0, 2
	v_cmp_gt_u32_e32 vcc, s12, v1
	s_and_b32 s18, s0, -4
	v_mov_b32_e32 v4, 0
	s_waitcnt vmcnt(0)
	v_lshlrev_b32_e32 v12, 4, v0
	v_mov_b32_e32 v5, 0
	v_mov_b32_e32 v6, 0
	;; [unrolled: 1-line block ×7, first 2 shown]
	s_barrier
	s_and_saveexec_b64 s[0:1], vcc
	s_cbranch_execz .LBB224_30
; %bb.29:
	s_mul_hi_i32 s3, s14, s6
	s_mul_i32 s2, s14, s6
	s_and_b32 s17, s17, 0xffff
	s_lshl_b64 s[2:3], s[2:3], 1
	s_add_u32 s20, s30, s2
	s_mov_b32 s19, 0x20000
	s_addc_u32 s2, s31, s3
	s_and_b32 s21, s2, 0xffff
	s_mov_b32 s22, s18
	s_mov_b32 s23, s19
	buffer_load_dwordx4 v[4:7], v12, s[20:23], 0 offen glc slc
	buffer_load_dwordx4 v[0:3], v12, s[16:19], 0 offen
.LBB224_30:
	s_or_b64 exec, exec, s[0:1]
	s_waitcnt vmcnt(1)
	v_cvt_f32_u32_sdwa v11, v4 dst_sel:DWORD dst_unused:UNUSED_PAD src0_sel:WORD_1
	v_cvt_f32_u32_sdwa v10, v4 dst_sel:DWORD dst_unused:UNUSED_PAD src0_sel:WORD_0
	v_cvt_f32_u32_sdwa v4, v7 dst_sel:DWORD dst_unused:UNUSED_PAD src0_sel:WORD_1
	v_cvt_f32_u32_sdwa v7, v7 dst_sel:DWORD dst_unused:UNUSED_PAD src0_sel:WORD_0
	;; [unrolled: 2-line block ×4, first 2 shown]
	v_cndmask_b32_e32 v11, 0, v11, vcc
	v_cndmask_b32_e32 v5, 0, v4, vcc
	;; [unrolled: 1-line block ×5, first 2 shown]
	v_mul_f32_e32 v13, v11, v11
	v_cndmask_b32_e32 v8, 0, v8, vcc
	v_fmac_f32_e32 v13, v10, v10
	v_cndmask_b32_e32 v9, 0, v9, vcc
	v_fmac_f32_e32 v13, v8, v8
	;; [unrolled: 2-line block ×3, first 2 shown]
	v_fmac_f32_e32 v13, v6, v6
	v_fmac_f32_e32 v13, v7, v7
	;; [unrolled: 1-line block ×4, first 2 shown]
	s_nop 1
	v_mov_b32_dpp v15, v13 quad_perm:[1,0,3,2] row_mask:0xf bank_mask:0xf
	v_add_f32_e32 v13, v13, v15
	s_nop 1
	v_mov_b32_dpp v15, v13 quad_perm:[2,3,0,1] row_mask:0xf bank_mask:0xf
	v_add_f32_e32 v13, v13, v15
	s_nop 1
	v_mov_b32_dpp v15, v13 row_half_mirror row_mask:0xf bank_mask:0xf
	v_add_f32_e32 v13, v13, v15
	s_nop 1
	v_mov_b32_dpp v15, v13 row_mirror row_mask:0xf bank_mask:0xf
	v_add_f32_e32 v13, v13, v15
	s_nop 1
	v_mov_b32_dpp v15, v13 row_bcast:15 row_mask:0xf bank_mask:0xf
	v_add_f32_e32 v13, v13, v15
	s_nop 1
	v_mov_b32_dpp v15, v13 row_bcast:31 row_mask:0xf bank_mask:0xf
	v_add_f32_e32 v13, v13, v15
	ds_bpermute_b32 v13, v14, v13
	s_and_saveexec_b64 s[0:1], vcc
	s_cbranch_execz .LBB224_15
; %bb.31:
	v_cvt_f32_u32_e32 v14, s12
	s_mov_b32 s19, 0x20000
	s_waitcnt lgkmcnt(0)
	v_div_scale_f32 v15, s[0:1], v14, v14, v13
	v_rcp_f32_e32 v16, v15
	v_div_scale_f32 v17, vcc, v13, v14, v13
	s_mov_b32 s0, 0x800000
	v_fma_f32 v18, -v15, v16, 1.0
	v_fmac_f32_e32 v16, v18, v16
	v_mul_f32_e32 v18, v17, v16
	v_fma_f32 v19, -v15, v18, v17
	v_fmac_f32_e32 v18, v19, v16
	v_fma_f32 v15, -v15, v18, v17
	v_div_fmas_f32 v15, v15, v16, v18
	v_div_fixup_f32 v13, v15, v14, v13
	v_add_f32_e32 v13, s9, v13
	v_mul_f32_e32 v14, 0x4b800000, v13
	v_cmp_gt_f32_e32 vcc, s0, v13
	v_cndmask_b32_e32 v13, v13, v14, vcc
	v_rsq_f32_e32 v13, v13
	s_mul_hi_i32 s1, s28, s6
	s_mul_i32 s0, s28, s6
	s_lshl_b64 s[0:1], s[0:1], 1
	v_mul_f32_e32 v14, 0x45800000, v13
	v_cndmask_b32_e32 v14, v13, v14, vcc
	s_add_u32 s16, s34, s0
	v_mov_b32_e32 v15, v14
	s_addc_u32 s0, s35, s1
	;;#ASMSTART
	v_pk_mul_f32 v[10:11], v[10:11], v[14:15]
	;;#ASMEND
	;;#ASMSTART
	v_pk_mul_f32 v[8:9], v[8:9], v[14:15]
	;;#ASMEND
	;; [unrolled: 3-line block ×4, first 2 shown]
	s_waitcnt vmcnt(0)
	v_cvt_f32_u32_sdwa v15, v0 dst_sel:DWORD dst_unused:UNUSED_PAD src0_sel:WORD_1
	v_cvt_f32_u32_sdwa v14, v0 dst_sel:DWORD dst_unused:UNUSED_PAD src0_sel:WORD_0
	v_cvt_f32_u32_sdwa v17, v1 dst_sel:DWORD dst_unused:UNUSED_PAD src0_sel:WORD_1
	v_cvt_f32_u32_sdwa v16, v1 dst_sel:DWORD dst_unused:UNUSED_PAD src0_sel:WORD_0
	;; [unrolled: 2-line block ×4, first 2 shown]
	;;#ASMSTART
	v_pk_mul_f32 v[2:3], v[10:11], v[14:15]
	;;#ASMEND
	s_and_b32 s17, s0, 0xffff
	s_mov_b32 s0, 0x7060302
	;;#ASMSTART
	v_pk_mul_f32 v[8:9], v[8:9], v[16:17]
	;;#ASMEND
	;;#ASMSTART
	v_pk_mul_f32 v[6:7], v[6:7], v[0:1]
	;;#ASMEND
	;; [unrolled: 3-line block ×3, first 2 shown]
	v_perm_b32 v0, v3, v2, s0
	v_perm_b32 v1, v9, v8, s0
	;; [unrolled: 1-line block ×4, first 2 shown]
	buffer_store_dwordx4 v[0:3], v12, s[16:19], 0 offen
	;;#ASMSTART
	s_nop 0
	;;#ASMEND
	s_endpgm
	.section	.rodata,"a",@progbits
	.p2align	6, 0x0
	.amdhsa_kernel _ZN5aiter35fused_qk_rmsnorm_group_quant_kernelItN4opus5fp4_tELi64ELi8ELi4ELb1ELb0ELb0ELb0ELb0ELb0EEEvPT0_PvPT_S7_S7_PKS6_S9_S9_S9_S9_ffiiiiiiiiiiiii
		.amdhsa_group_segment_fixed_size 0
		.amdhsa_private_segment_fixed_size 0
		.amdhsa_kernarg_size 400
		.amdhsa_user_sgpr_count 6
		.amdhsa_user_sgpr_private_segment_buffer 1
		.amdhsa_user_sgpr_dispatch_ptr 0
		.amdhsa_user_sgpr_queue_ptr 0
		.amdhsa_user_sgpr_kernarg_segment_ptr 1
		.amdhsa_user_sgpr_dispatch_id 0
		.amdhsa_user_sgpr_flat_scratch_init 0
		.amdhsa_user_sgpr_kernarg_preload_length 0
		.amdhsa_user_sgpr_kernarg_preload_offset 0
		.amdhsa_user_sgpr_private_segment_size 0
		.amdhsa_uses_dynamic_stack 0
		.amdhsa_system_sgpr_private_segment_wavefront_offset 0
		.amdhsa_system_sgpr_workgroup_id_x 1
		.amdhsa_system_sgpr_workgroup_id_y 1
		.amdhsa_system_sgpr_workgroup_id_z 0
		.amdhsa_system_sgpr_workgroup_info 0
		.amdhsa_system_vgpr_workitem_id 0
		.amdhsa_next_free_vgpr 27
		.amdhsa_next_free_sgpr 44
		.amdhsa_accum_offset 28
		.amdhsa_reserve_vcc 1
		.amdhsa_reserve_flat_scratch 0
		.amdhsa_float_round_mode_32 0
		.amdhsa_float_round_mode_16_64 0
		.amdhsa_float_denorm_mode_32 3
		.amdhsa_float_denorm_mode_16_64 3
		.amdhsa_dx10_clamp 1
		.amdhsa_ieee_mode 1
		.amdhsa_fp16_overflow 0
		.amdhsa_tg_split 0
		.amdhsa_exception_fp_ieee_invalid_op 0
		.amdhsa_exception_fp_denorm_src 0
		.amdhsa_exception_fp_ieee_div_zero 0
		.amdhsa_exception_fp_ieee_overflow 0
		.amdhsa_exception_fp_ieee_underflow 0
		.amdhsa_exception_fp_ieee_inexact 0
		.amdhsa_exception_int_div_zero 0
	.end_amdhsa_kernel
	.section	.text._ZN5aiter35fused_qk_rmsnorm_group_quant_kernelItN4opus5fp4_tELi64ELi8ELi4ELb1ELb0ELb0ELb0ELb0ELb0EEEvPT0_PvPT_S7_S7_PKS6_S9_S9_S9_S9_ffiiiiiiiiiiiii,"axG",@progbits,_ZN5aiter35fused_qk_rmsnorm_group_quant_kernelItN4opus5fp4_tELi64ELi8ELi4ELb1ELb0ELb0ELb0ELb0ELb0EEEvPT0_PvPT_S7_S7_PKS6_S9_S9_S9_S9_ffiiiiiiiiiiiii,comdat
.Lfunc_end224:
	.size	_ZN5aiter35fused_qk_rmsnorm_group_quant_kernelItN4opus5fp4_tELi64ELi8ELi4ELb1ELb0ELb0ELb0ELb0ELb0EEEvPT0_PvPT_S7_S7_PKS6_S9_S9_S9_S9_ffiiiiiiiiiiiii, .Lfunc_end224-_ZN5aiter35fused_qk_rmsnorm_group_quant_kernelItN4opus5fp4_tELi64ELi8ELi4ELb1ELb0ELb0ELb0ELb0ELb0EEEvPT0_PvPT_S7_S7_PKS6_S9_S9_S9_S9_ffiiiiiiiiiiiii
                                        ; -- End function
	.section	.AMDGPU.csdata,"",@progbits
; Kernel info:
; codeLenInByte = 2616
; NumSgprs: 48
; NumVgprs: 27
; NumAgprs: 0
; TotalNumVgprs: 27
; ScratchSize: 0
; MemoryBound: 0
; FloatMode: 240
; IeeeMode: 1
; LDSByteSize: 0 bytes/workgroup (compile time only)
; SGPRBlocks: 5
; VGPRBlocks: 3
; NumSGPRsForWavesPerEU: 48
; NumVGPRsForWavesPerEU: 27
; AccumOffset: 28
; Occupancy: 8
; WaveLimiterHint : 0
; COMPUTE_PGM_RSRC2:SCRATCH_EN: 0
; COMPUTE_PGM_RSRC2:USER_SGPR: 6
; COMPUTE_PGM_RSRC2:TRAP_HANDLER: 0
; COMPUTE_PGM_RSRC2:TGID_X_EN: 1
; COMPUTE_PGM_RSRC2:TGID_Y_EN: 1
; COMPUTE_PGM_RSRC2:TGID_Z_EN: 0
; COMPUTE_PGM_RSRC2:TIDIG_COMP_CNT: 0
; COMPUTE_PGM_RSRC3_GFX90A:ACCUM_OFFSET: 6
; COMPUTE_PGM_RSRC3_GFX90A:TG_SPLIT: 0
	.section	.text._ZN5aiter35fused_qk_rmsnorm_group_quant_kernelIDF16_DB8_Li64ELi8ELi4ELb0ELb1ELb1ELb0ELb0ELb0EEEvPT0_PvPT_S6_S6_PKS5_S8_S8_S8_S8_ffiiiiiiiiiiiii,"axG",@progbits,_ZN5aiter35fused_qk_rmsnorm_group_quant_kernelIDF16_DB8_Li64ELi8ELi4ELb0ELb1ELb1ELb0ELb0ELb0EEEvPT0_PvPT_S6_S6_PKS5_S8_S8_S8_S8_ffiiiiiiiiiiiii,comdat
	.protected	_ZN5aiter35fused_qk_rmsnorm_group_quant_kernelIDF16_DB8_Li64ELi8ELi4ELb0ELb1ELb1ELb0ELb0ELb0EEEvPT0_PvPT_S6_S6_PKS5_S8_S8_S8_S8_ffiiiiiiiiiiiii ; -- Begin function _ZN5aiter35fused_qk_rmsnorm_group_quant_kernelIDF16_DB8_Li64ELi8ELi4ELb0ELb1ELb1ELb0ELb0ELb0EEEvPT0_PvPT_S6_S6_PKS5_S8_S8_S8_S8_ffiiiiiiiiiiiii
	.globl	_ZN5aiter35fused_qk_rmsnorm_group_quant_kernelIDF16_DB8_Li64ELi8ELi4ELb0ELb1ELb1ELb0ELb0ELb0EEEvPT0_PvPT_S6_S6_PKS5_S8_S8_S8_S8_ffiiiiiiiiiiiii
	.p2align	8
	.type	_ZN5aiter35fused_qk_rmsnorm_group_quant_kernelIDF16_DB8_Li64ELi8ELi4ELb0ELb1ELb1ELb0ELb0ELb0EEEvPT0_PvPT_S6_S6_PKS5_S8_S8_S8_S8_ffiiiiiiiiiiiii,@function
_ZN5aiter35fused_qk_rmsnorm_group_quant_kernelIDF16_DB8_Li64ELi8ELi4ELb0ELb1ELb1ELb0ELb0ELb0EEEvPT0_PvPT_S6_S6_PKS5_S8_S8_S8_S8_ffiiiiiiiiiiiii: ; @_ZN5aiter35fused_qk_rmsnorm_group_quant_kernelIDF16_DB8_Li64ELi8ELi4ELb0ELb1ELb1ELb0ELb0ELb0EEEvPT0_PvPT_S6_S6_PKS5_S8_S8_S8_S8_ffiiiiiiiiiiiii
; %bb.0:
	s_load_dwordx4 s[12:15], s[4:5], 0x50
	s_waitcnt lgkmcnt(0)
	s_cmp_ge_i32 s6, s14
	s_cbranch_scc1 .LBB225_10
; %bb.1:
	s_load_dwordx2 s[8:9], s[4:5], 0x48
	s_load_dwordx2 s[30:31], s[4:5], 0x30
	s_load_dwordx4 s[16:19], s[4:5], 0x60
	s_cmp_lg_u32 s7, 0
	s_cselect_b64 s[2:3], -1, 0
	s_cmp_eq_u32 s7, 0
	s_cselect_b64 vcc, -1, 0
	s_and_b64 s[0:1], vcc, exec
	s_waitcnt lgkmcnt(0)
	s_cselect_b32 s7, s15, s16
	s_add_i32 s0, s7, 1
	s_lshr_b32 s1, s0, 31
	s_add_i32 s0, s0, s1
	s_lshl_b32 s0, s0, 1
	v_lshlrev_b32_e32 v1, 3, v0
	s_and_b32 s22, s0, -4
	v_cmp_gt_i32_e64 s[0:1], s7, v1
	v_mov_b32_e32 v10, 0
	v_mov_b32_e32 v2, 0
	v_mov_b32_e32 v3, 0
	v_mov_b32_e32 v4, 0
	v_mov_b32_e32 v5, 0
	v_mov_b32_e32 v6, 0
	v_mov_b32_e32 v7, 0
	v_mov_b32_e32 v8, 0
	v_mov_b32_e32 v9, 0
	s_and_saveexec_b64 s[10:11], s[0:1]
	s_cbranch_execz .LBB225_3
; %bb.2:
	s_load_dwordx2 s[20:21], s[4:5], 0x28
	s_load_dwordx2 s[26:27], s[4:5], 0x40
	s_and_b64 s[24:25], vcc, exec
	s_cselect_b32 s14, s17, s18
	s_mov_b32 s23, 0x20000
	s_waitcnt lgkmcnt(0)
	s_cselect_b32 s17, s21, s31
	s_cselect_b32 s19, s20, s30
	s_mul_hi_i32 s21, s14, s6
	s_mul_i32 s20, s14, s6
	s_lshl_b64 s[20:21], s[20:21], 1
	s_add_u32 s24, s19, s20
	s_addc_u32 s14, s17, s21
	s_and_b64 s[20:21], vcc, exec
	s_cselect_b32 s20, s26, s8
	s_cselect_b32 s17, s27, s9
	v_lshlrev_b32_e32 v11, 4, v0
	s_and_b32 s25, s14, 0xffff
	s_mov_b32 s26, s22
	s_mov_b32 s27, s23
	s_and_b32 s21, s17, 0xffff
	buffer_load_dwordx4 v[6:9], v11, s[24:27], 0 offen glc slc
	buffer_load_dwordx4 v[2:5], v11, s[20:23], 0 offen
.LBB225_3:
	s_or_b64 exec, exec, s[10:11]
	v_mov_b32_e32 v11, 0
	v_mov_b32_e32 v16, 0
	;; [unrolled: 1-line block ×7, first 2 shown]
	s_and_saveexec_b64 s[10:11], s[0:1]
	s_cbranch_execz .LBB225_5
; %bb.4:
	s_waitcnt vmcnt(1)
	v_cvt_f32_f16_sdwa v11, v6 dst_sel:DWORD dst_unused:UNUSED_PAD src0_sel:WORD_1
	v_cvt_f32_f16_e32 v10, v6
	v_cvt_f32_f16_sdwa v17, v7 dst_sel:DWORD dst_unused:UNUSED_PAD src0_sel:WORD_1
	v_cvt_f32_f16_e32 v16, v7
	;; [unrolled: 2-line block ×4, first 2 shown]
.LBB225_5:
	s_or_b64 exec, exec, s[10:11]
	s_waitcnt vmcnt(1)
	v_mul_f32_e32 v6, v11, v11
	v_fmac_f32_e32 v6, v10, v10
	v_fmac_f32_e32 v6, v16, v16
	;; [unrolled: 1-line block ×7, first 2 shown]
	v_bfrev_b32_e32 v8, 0.5
	s_load_dwordx2 s[28:29], s[4:5], 0x18
	v_mov_b32_dpp v7, v6 quad_perm:[1,0,3,2] row_mask:0xf bank_mask:0xf
	v_add_f32_e32 v6, v6, v7
	s_nop 1
	v_mov_b32_dpp v7, v6 quad_perm:[2,3,0,1] row_mask:0xf bank_mask:0xf
	v_add_f32_e32 v6, v6, v7
	s_nop 1
	v_mov_b32_dpp v7, v6 row_half_mirror row_mask:0xf bank_mask:0xf
	v_add_f32_e32 v6, v6, v7
	s_nop 1
	v_mov_b32_dpp v7, v6 row_mirror row_mask:0xf bank_mask:0xf
	v_add_f32_e32 v6, v6, v7
	s_nop 1
	v_mov_b32_dpp v7, v6 row_bcast:15 row_mask:0xf bank_mask:0xf
	v_add_f32_e32 v6, v6, v7
	s_nop 1
	v_mov_b32_dpp v7, v6 row_bcast:31 row_mask:0xf bank_mask:0xf
	v_add_f32_e32 v6, v6, v7
	v_mbcnt_lo_u32_b32 v7, -1, 0
	v_mbcnt_hi_u32_b32 v7, -1, v7
	v_lshl_or_b32 v18, v7, 2, v8
	ds_bpermute_b32 v6, v18, v6
	s_and_saveexec_b64 s[10:11], s[0:1]
	s_cbranch_execz .LBB225_7
; %bb.6:
	v_cvt_f32_u32_e32 v7, s7
	v_mov_b32_e32 v8, s13
	v_mov_b32_e32 v9, s12
	v_cndmask_b32_e32 v8, v8, v9, vcc
	s_waitcnt lgkmcnt(0)
	v_div_scale_f32 v19, s[20:21], v7, v7, v6
	v_rcp_f32_e32 v20, v19
	v_div_scale_f32 v9, vcc, v6, v7, v6
	s_mov_b32 s7, 0x800000
	v_fma_f32 v21, -v19, v20, 1.0
	v_fmac_f32_e32 v20, v21, v20
	v_mul_f32_e32 v21, v9, v20
	v_fma_f32 v22, -v19, v21, v9
	v_fmac_f32_e32 v21, v22, v20
	v_fma_f32 v9, -v19, v21, v9
	v_div_fmas_f32 v9, v9, v20, v21
	v_div_fixup_f32 v6, v9, v7, v6
	v_add_f32_e32 v6, v8, v6
	v_mul_f32_e32 v7, 0x4b800000, v6
	v_cmp_gt_f32_e32 vcc, s7, v6
	v_cndmask_b32_e32 v6, v6, v7, vcc
	v_rsq_f32_e32 v6, v6
	s_waitcnt vmcnt(0)
	v_cvt_f32_f16_sdwa v21, v3 dst_sel:DWORD dst_unused:UNUSED_PAD src0_sel:WORD_1
	v_cvt_f32_f16_e32 v20, v3
	v_mul_f32_e32 v7, 0x45800000, v6
	v_cndmask_b32_e32 v6, v6, v7, vcc
	v_mov_b32_e32 v7, v6
	;;#ASMSTART
	v_pk_mul_f32 v[8:9], v[10:11], v[6:7]
	;;#ASMEND
	v_cvt_f32_f16_sdwa v11, v2 dst_sel:DWORD dst_unused:UNUSED_PAD src0_sel:WORD_1
	v_cvt_f32_f16_e32 v10, v2
	;;#ASMSTART
	v_pk_mul_f32 v[16:17], v[16:17], v[6:7]
	;;#ASMEND
	;;#ASMSTART
	v_pk_mul_f32 v[14:15], v[14:15], v[6:7]
	;;#ASMEND
	;; [unrolled: 3-line block ×3, first 2 shown]
	v_pk_add_f32 v[6:7], v[10:11], 1.0 op_sel_hi:[1,0]
	;;#ASMSTART
	v_pk_mul_f32 v[10:11], v[8:9], v[6:7]
	;;#ASMEND
	v_cvt_f32_f16_sdwa v9, v4 dst_sel:DWORD dst_unused:UNUSED_PAD src0_sel:WORD_1
	v_cvt_f32_f16_e32 v8, v4
	v_cvt_f32_f16_sdwa v13, v5 dst_sel:DWORD dst_unused:UNUSED_PAD src0_sel:WORD_1
	v_cvt_f32_f16_e32 v12, v5
	v_pk_add_f32 v[6:7], v[20:21], 1.0 op_sel_hi:[1,0]
	v_pk_add_f32 v[4:5], v[8:9], 1.0 op_sel_hi:[1,0]
	;;#ASMSTART
	v_pk_mul_f32 v[16:17], v[16:17], v[6:7]
	;;#ASMEND
	;;#ASMSTART
	v_pk_mul_f32 v[14:15], v[14:15], v[4:5]
	;;#ASMEND
	v_pk_add_f32 v[4:5], v[12:13], 1.0 op_sel_hi:[1,0]
	;;#ASMSTART
	v_pk_mul_f32 v[12:13], v[2:3], v[4:5]
	;;#ASMEND
.LBB225_7:
	s_or_b64 exec, exec, s[10:11]
	s_load_dword s7, s[4:5], 0x80
	s_mov_b64 s[10:11], -1
	s_and_b64 vcc, exec, s[2:3]
	s_cbranch_vccnz .LBB225_11
; %bb.8:
	s_andn2_b64 vcc, exec, s[10:11]
	s_cbranch_vccz .LBB225_14
.LBB225_9:
	s_cmp_lt_i32 s16, 1
	s_cbranch_scc0 .LBB225_23
.LBB225_10:
	s_endpgm
.LBB225_11:
	s_and_saveexec_b64 s[2:3], s[0:1]
	s_cbranch_execz .LBB225_13
; %bb.12:
	s_waitcnt lgkmcnt(0)
	s_mul_hi_i32 s11, s7, s6
	s_mul_i32 s10, s7, s6
	s_waitcnt vmcnt(0)
	v_cvt_f16_f32_e32 v2, v10
	v_cvt_f16_f32_e32 v3, v16
	;; [unrolled: 1-line block ×8, first 2 shown]
	s_lshl_b64 s[10:11], s[10:11], 1
	s_add_u32 s20, s28, s10
	s_addc_u32 s10, s29, s11
	s_and_b32 s21, s10, 0xffff
	s_mov_b32 s23, 0x20000
	v_pack_b32_f16 v5, v5, v6
	v_pack_b32_f16 v4, v4, v7
	;; [unrolled: 1-line block ×4, first 2 shown]
	v_lshlrev_b32_e32 v6, 4, v0
	buffer_store_dwordx4 v[2:5], v6, s[20:23], 0 offen
	;;#ASMSTART
	s_nop 0
	;;#ASMEND
.LBB225_13:
	s_or_b64 exec, exec, s[2:3]
	s_cbranch_execnz .LBB225_9
.LBB225_14:
	s_load_dwordx4 s[24:27], s[4:5], 0x70
	s_waitcnt vmcnt(0)
	v_mov_b32_e32 v2, 0
	s_and_saveexec_b64 s[2:3], s[0:1]
	s_cbranch_execz .LBB225_16
; %bb.15:
	s_load_dwordx2 s[10:11], s[4:5], 0x10
	s_waitcnt lgkmcnt(0)
	s_mul_hi_i32 s21, s27, s6
	s_mul_i32 s20, s27, s6
	v_cvt_f16_f32_e32 v2, v10
	v_cvt_f16_f32_e32 v3, v16
	;; [unrolled: 1-line block ×8, first 2 shown]
	s_lshl_b64 s[20:21], s[20:21], 1
	s_add_u32 s20, s10, s20
	s_addc_u32 s10, s11, s21
	s_mov_b32 s23, 0x20000
	s_and_b32 s21, s10, 0xffff
	v_pack_b32_f16 v5, v5, v6
	v_pack_b32_f16 v4, v4, v7
	;; [unrolled: 1-line block ×4, first 2 shown]
	v_lshlrev_b32_e32 v6, 4, v0
	buffer_store_dwordx4 v[2:5], v6, s[20:23], 0 offen
	;;#ASMSTART
	s_nop 0
	;;#ASMEND
	s_nop 0
	v_mov_b32_e32 v2, 0x2edbe6ff
.LBB225_16:
	s_or_b64 exec, exec, s[2:3]
	s_and_saveexec_b64 s[2:3], s[0:1]
	s_cbranch_execz .LBB225_18
; %bb.17:
	v_and_b32_e32 v3, 0x7fffffff, v10
	v_and_b32_e32 v4, 0x7fffffff, v11
	;;#ASMSTART
	v_max3_f32 v2, v2, v3, v4

	;;#ASMEND
	v_and_b32_e32 v3, 0x7fffffff, v16
	v_and_b32_e32 v4, 0x7fffffff, v17
	;;#ASMSTART
	v_max3_f32 v2, v2, v3, v4

	;;#ASMEND
	;; [unrolled: 6-line block ×4, first 2 shown]
.LBB225_18:
	s_or_b64 exec, exec, s[2:3]
	;;#ASMSTART
	v_max_f32 v3, v2, v2 quad_perm:[1,0,3,2] row_mask:0xf bank_mask:0xf bound_ctrl:1
	;;#ASMEND
	;;#ASMSTART
	v_max_f32 v2, v3, v3 quad_perm:[2,3,0,1] row_mask:0xf bank_mask:0xf bound_ctrl:1
	;;#ASMEND
	v_and_b32_e32 v3, 3, v0
	v_cmp_eq_u32_e32 vcc, 0, v3
	v_cmp_gt_i32_e64 s[2:3], s15, v1
	v_mul_f32_e32 v2, 0x3b124925, v2
	s_and_b64 s[10:11], vcc, s[2:3]
	s_and_saveexec_b64 s[2:3], s[10:11]
	s_cbranch_execz .LBB225_20
; %bb.19:
	s_load_dwordx2 s[10:11], s[4:5], 0x8
	s_waitcnt lgkmcnt(0)
	s_mul_hi_i32 s21, s25, s6
	s_mul_i32 s20, s25, s6
	v_lshrrev_b32_e32 v3, 2, v0
	s_lshl_b64 s[20:21], s[20:21], 2
	v_mad_i64_i32 v[4:5], s[22:23], s26, v3, 0
	s_add_u32 s10, s10, s20
	s_addc_u32 s11, s11, s21
	v_lshlrev_b64 v[4:5], 2, v[4:5]
	v_mov_b32_e32 v3, s11
	v_add_co_u32_e32 v4, vcc, s10, v4
	v_addc_co_u32_e32 v5, vcc, v3, v5, vcc
	global_store_dword v[4:5], v2, off
.LBB225_20:
	s_or_b64 exec, exec, s[2:3]
	;;#ASMSTART
	v_rcp_f32 v2, v2
	;;#ASMEND
	s_and_saveexec_b64 s[10:11], s[0:1]
	s_cbranch_execz .LBB225_22
; %bb.21:
	v_mov_b32_e32 v3, v2
	;;#ASMSTART
	v_pk_mul_f32 v[4:5], v[10:11], v[2:3]
	;;#ASMEND
	s_load_dwordx2 s[0:1], s[4:5], 0x0
	v_mov_b32_e32 v8, 0xc3e00000
	v_mov_b32_e32 v9, 0x43e00000
	s_waitcnt lgkmcnt(0)
	;;#ASMSTART
	v_med3_f32 v4, v4, v8, v9
v_med3_f32 v5, v5, v8, v9
v_cvt_pk_fp8_f32 v6, v4, v5
	;;#ASMEND
	;;#ASMSTART
	v_pk_mul_f32 v[4:5], v[16:17], v[2:3]
	;;#ASMEND
	;;#ASMSTART
	v_med3_f32 v4, v4, v8, v9
v_med3_f32 v5, v5, v8, v9
v_cvt_pk_fp8_f32 v7, v4, v5
	;;#ASMEND
	s_mov_b32 s14, 0x5040100
	v_perm_b32 v5, v7, v6, s14
	s_movk_i32 s14, 0xff
	s_mul_i32 s3, s24, s6
	v_and_b32_e32 v4, 0xffffff00, v7
	v_and_b32_sdwa v6, v5, s14 dst_sel:DWORD dst_unused:UNUSED_PAD src0_sel:WORD_1 src1_sel:DWORD
	s_mul_hi_i32 s2, s24, s6
	s_mov_b32 s12, 0xffff
	s_add_u32 s0, s0, s3
	v_or_b32_sdwa v4, v6, v4 dst_sel:WORD_1 dst_unused:UNUSED_PAD src0_sel:DWORD src1_sel:DWORD
	s_addc_u32 s1, s1, s2
	s_add_i32 s2, s15, 3
	v_and_or_b32 v4, v5, s12, v4
	;;#ASMSTART
	v_pk_mul_f32 v[6:7], v[14:15], v[2:3]
	;;#ASMEND
	v_mov_b32_e32 v5, v7
	s_ashr_i32 s3, s2, 31
	;;#ASMSTART
	v_med3_f32 v6, v6, v8, v9
v_med3_f32 v5, v5, v8, v9
v_cvt_pk_fp8_f32 v7, v6, v5
	;;#ASMEND
	;;#ASMSTART
	v_pk_mul_f32 v[2:3], v[12:13], v[2:3]
	;;#ASMEND
	s_lshr_b32 s3, s3, 30
	;;#ASMSTART
	v_med3_f32 v2, v2, v8, v9
v_med3_f32 v3, v3, v8, v9
v_cvt_pk_fp8_f32 v5, v2, v3
	;;#ASMEND
	s_add_i32 s2, s2, s3
	v_lshlrev_b32_e32 v2, 16, v5
	s_and_b32 s2, s2, -4
	s_and_b32 s1, s1, 0xffff
	s_mov_b32 s3, 0x20000
	v_and_or_b32 v5, v7, s12, v2
	buffer_store_dwordx2 v[4:5], v1, s[0:3], 0 offen
	;;#ASMSTART
	s_nop 0
	;;#ASMEND
.LBB225_22:
	s_or_b64 exec, exec, s[10:11]
	s_cmp_lt_i32 s16, 1
	s_cbranch_scc1 .LBB225_10
.LBB225_23:
	s_load_dword s0, s[4:5], 0x94
	s_waitcnt lgkmcnt(0)
	s_cmp_lg_u32 s0, 1
	s_cbranch_scc1 .LBB225_10
; %bb.24:
	s_lshl_b32 s0, s16, 1
	s_add_i32 s0, s0, 2
	v_cmp_gt_u32_e32 vcc, s16, v1
	s_and_b32 s10, s0, -4
	v_mov_b32_e32 v8, 0
	v_lshlrev_b32_e32 v16, 4, v0
	s_waitcnt vmcnt(0)
	v_mov_b32_e32 v4, 0
	v_mov_b32_e32 v5, 0
	;; [unrolled: 1-line block ×8, first 2 shown]
	s_barrier
	s_and_saveexec_b64 s[0:1], vcc
	s_cbranch_execz .LBB225_26
; %bb.25:
	s_mul_hi_i32 s3, s18, s6
	s_mul_i32 s2, s18, s6
	s_and_b32 s9, s9, 0xffff
	s_lshl_b64 s[2:3], s[2:3], 1
	s_add_u32 s20, s30, s2
	s_mov_b32 s11, 0x20000
	s_addc_u32 s2, s31, s3
	s_and_b32 s21, s2, 0xffff
	s_mov_b32 s22, s10
	s_mov_b32 s23, s11
	buffer_load_dwordx4 v[4:7], v16, s[20:23], 0 offen glc slc
	buffer_load_dwordx4 v[0:3], v16, s[8:11], 0 offen
.LBB225_26:
	s_or_b64 exec, exec, s[0:1]
	v_mov_b32_e32 v9, 0
	v_mov_b32_e32 v12, 0
	;; [unrolled: 1-line block ×7, first 2 shown]
	s_and_saveexec_b64 s[0:1], vcc
	s_cbranch_execz .LBB225_28
; %bb.27:
	s_waitcnt vmcnt(1)
	v_cvt_f32_f16_sdwa v9, v4 dst_sel:DWORD dst_unused:UNUSED_PAD src0_sel:WORD_1
	v_cvt_f32_f16_e32 v8, v4
	v_cvt_f32_f16_sdwa v13, v5 dst_sel:DWORD dst_unused:UNUSED_PAD src0_sel:WORD_1
	v_cvt_f32_f16_e32 v12, v5
	;; [unrolled: 2-line block ×4, first 2 shown]
.LBB225_28:
	s_or_b64 exec, exec, s[0:1]
	s_waitcnt vmcnt(1)
	v_mul_f32_e32 v4, v9, v9
	v_fmac_f32_e32 v4, v8, v8
	v_fmac_f32_e32 v4, v12, v12
	;; [unrolled: 1-line block ×7, first 2 shown]
	s_nop 1
	v_mov_b32_dpp v5, v4 quad_perm:[1,0,3,2] row_mask:0xf bank_mask:0xf
	v_add_f32_e32 v4, v4, v5
	s_nop 1
	v_mov_b32_dpp v5, v4 quad_perm:[2,3,0,1] row_mask:0xf bank_mask:0xf
	v_add_f32_e32 v4, v4, v5
	s_nop 1
	v_mov_b32_dpp v5, v4 row_half_mirror row_mask:0xf bank_mask:0xf
	v_add_f32_e32 v4, v4, v5
	s_nop 1
	v_mov_b32_dpp v5, v4 row_mirror row_mask:0xf bank_mask:0xf
	v_add_f32_e32 v4, v4, v5
	s_nop 1
	v_mov_b32_dpp v5, v4 row_bcast:15 row_mask:0xf bank_mask:0xf
	v_add_f32_e32 v4, v4, v5
	s_nop 1
	v_mov_b32_dpp v5, v4 row_bcast:31 row_mask:0xf bank_mask:0xf
	v_add_f32_e32 v4, v4, v5
	ds_bpermute_b32 v4, v18, v4
	s_and_saveexec_b64 s[0:1], vcc
	s_cbranch_execz .LBB225_10
; %bb.29:
	v_cvt_f32_u32_e32 v5, s16
	s_mov_b32 s11, 0x20000
	s_waitcnt lgkmcnt(0)
	v_div_scale_f32 v6, s[0:1], v5, v5, v4
	v_rcp_f32_e32 v7, v6
	v_div_scale_f32 v17, vcc, v4, v5, v4
	s_mov_b32 s0, 0x800000
	v_fma_f32 v18, -v6, v7, 1.0
	v_fmac_f32_e32 v7, v18, v7
	v_mul_f32_e32 v18, v17, v7
	v_fma_f32 v19, -v6, v18, v17
	v_fmac_f32_e32 v18, v19, v7
	v_fma_f32 v6, -v6, v18, v17
	v_div_fmas_f32 v6, v6, v7, v18
	v_div_fixup_f32 v4, v6, v5, v4
	v_add_f32_e32 v4, s13, v4
	v_mul_f32_e32 v5, 0x4b800000, v4
	v_cmp_gt_f32_e32 vcc, s0, v4
	v_cndmask_b32_e32 v4, v4, v5, vcc
	v_rsq_f32_e32 v4, v4
	s_waitcnt vmcnt(0)
	v_cvt_f32_f16_sdwa v5, v0 dst_sel:DWORD dst_unused:UNUSED_PAD src0_sel:WORD_1
	v_cvt_f32_f16_sdwa v19, v1 dst_sel:DWORD dst_unused:UNUSED_PAD src0_sel:WORD_1
	v_cvt_f32_f16_e32 v18, v1
	v_mul_f32_e32 v6, 0x45800000, v4
	v_cndmask_b32_e32 v6, v4, v6, vcc
	v_cvt_f32_f16_e32 v4, v0
	v_mov_b32_e32 v7, v6
	;;#ASMSTART
	v_pk_mul_f32 v[8:9], v[8:9], v[6:7]
	;;#ASMEND
	;;#ASMSTART
	v_pk_mul_f32 v[12:13], v[12:13], v[6:7]
	;;#ASMEND
	v_pk_add_f32 v[4:5], v[4:5], 1.0 op_sel_hi:[1,0]
	;;#ASMSTART
	v_pk_mul_f32 v[14:15], v[14:15], v[6:7]
	;;#ASMEND
	;;#ASMSTART
	v_pk_mul_f32 v[0:1], v[10:11], v[6:7]
	;;#ASMEND
	;; [unrolled: 3-line block ×3, first 2 shown]
	v_cvt_f32_f16_sdwa v9, v2 dst_sel:DWORD dst_unused:UNUSED_PAD src0_sel:WORD_1
	v_cvt_f32_f16_e32 v8, v2
	v_cvt_f32_f16_sdwa v11, v3 dst_sel:DWORD dst_unused:UNUSED_PAD src0_sel:WORD_1
	v_cvt_f32_f16_e32 v10, v3
	v_pk_add_f32 v[6:7], v[18:19], 1.0 op_sel_hi:[1,0]
	;;#ASMSTART
	v_pk_mul_f32 v[2:3], v[12:13], v[6:7]
	;;#ASMEND
	v_pk_add_f32 v[6:7], v[8:9], 1.0 op_sel_hi:[1,0]
	;;#ASMSTART
	v_pk_mul_f32 v[6:7], v[14:15], v[6:7]
	;;#ASMEND
	;; [unrolled: 4-line block ×3, first 2 shown]
	s_mul_hi_i32 s1, s7, s6
	s_mul_i32 s0, s7, s6
	v_cvt_f16_f32_e32 v4, v4
	v_cvt_f16_f32_e32 v5, v5
	;; [unrolled: 1-line block ×8, first 2 shown]
	s_lshl_b64 s[0:1], s[0:1], 1
	s_add_u32 s8, s28, s0
	s_addc_u32 s0, s29, s1
	s_and_b32 s9, s0, 0xffff
	v_pack_b32_f16 v0, v4, v5
	v_pack_b32_f16 v1, v2, v3
	;; [unrolled: 1-line block ×4, first 2 shown]
	buffer_store_dwordx4 v[0:3], v16, s[8:11], 0 offen
	;;#ASMSTART
	s_nop 0
	;;#ASMEND
	s_endpgm
	.section	.rodata,"a",@progbits
	.p2align	6, 0x0
	.amdhsa_kernel _ZN5aiter35fused_qk_rmsnorm_group_quant_kernelIDF16_DB8_Li64ELi8ELi4ELb0ELb1ELb1ELb0ELb0ELb0EEEvPT0_PvPT_S6_S6_PKS5_S8_S8_S8_S8_ffiiiiiiiiiiiii
		.amdhsa_group_segment_fixed_size 0
		.amdhsa_private_segment_fixed_size 0
		.amdhsa_kernarg_size 400
		.amdhsa_user_sgpr_count 6
		.amdhsa_user_sgpr_private_segment_buffer 1
		.amdhsa_user_sgpr_dispatch_ptr 0
		.amdhsa_user_sgpr_queue_ptr 0
		.amdhsa_user_sgpr_kernarg_segment_ptr 1
		.amdhsa_user_sgpr_dispatch_id 0
		.amdhsa_user_sgpr_flat_scratch_init 0
		.amdhsa_user_sgpr_kernarg_preload_length 0
		.amdhsa_user_sgpr_kernarg_preload_offset 0
		.amdhsa_user_sgpr_private_segment_size 0
		.amdhsa_uses_dynamic_stack 0
		.amdhsa_system_sgpr_private_segment_wavefront_offset 0
		.amdhsa_system_sgpr_workgroup_id_x 1
		.amdhsa_system_sgpr_workgroup_id_y 1
		.amdhsa_system_sgpr_workgroup_id_z 0
		.amdhsa_system_sgpr_workgroup_info 0
		.amdhsa_system_vgpr_workitem_id 0
		.amdhsa_next_free_vgpr 23
		.amdhsa_next_free_sgpr 32
		.amdhsa_accum_offset 24
		.amdhsa_reserve_vcc 1
		.amdhsa_reserve_flat_scratch 0
		.amdhsa_float_round_mode_32 0
		.amdhsa_float_round_mode_16_64 0
		.amdhsa_float_denorm_mode_32 3
		.amdhsa_float_denorm_mode_16_64 3
		.amdhsa_dx10_clamp 1
		.amdhsa_ieee_mode 1
		.amdhsa_fp16_overflow 0
		.amdhsa_tg_split 0
		.amdhsa_exception_fp_ieee_invalid_op 0
		.amdhsa_exception_fp_denorm_src 0
		.amdhsa_exception_fp_ieee_div_zero 0
		.amdhsa_exception_fp_ieee_overflow 0
		.amdhsa_exception_fp_ieee_underflow 0
		.amdhsa_exception_fp_ieee_inexact 0
		.amdhsa_exception_int_div_zero 0
	.end_amdhsa_kernel
	.section	.text._ZN5aiter35fused_qk_rmsnorm_group_quant_kernelIDF16_DB8_Li64ELi8ELi4ELb0ELb1ELb1ELb0ELb0ELb0EEEvPT0_PvPT_S6_S6_PKS5_S8_S8_S8_S8_ffiiiiiiiiiiiii,"axG",@progbits,_ZN5aiter35fused_qk_rmsnorm_group_quant_kernelIDF16_DB8_Li64ELi8ELi4ELb0ELb1ELb1ELb0ELb0ELb0EEEvPT0_PvPT_S6_S6_PKS5_S8_S8_S8_S8_ffiiiiiiiiiiiii,comdat
.Lfunc_end225:
	.size	_ZN5aiter35fused_qk_rmsnorm_group_quant_kernelIDF16_DB8_Li64ELi8ELi4ELb0ELb1ELb1ELb0ELb0ELb0EEEvPT0_PvPT_S6_S6_PKS5_S8_S8_S8_S8_ffiiiiiiiiiiiii, .Lfunc_end225-_ZN5aiter35fused_qk_rmsnorm_group_quant_kernelIDF16_DB8_Li64ELi8ELi4ELb0ELb1ELb1ELb0ELb0ELb0EEEvPT0_PvPT_S6_S6_PKS5_S8_S8_S8_S8_ffiiiiiiiiiiiii
                                        ; -- End function
	.section	.AMDGPU.csdata,"",@progbits
; Kernel info:
; codeLenInByte = 2560
; NumSgprs: 36
; NumVgprs: 23
; NumAgprs: 0
; TotalNumVgprs: 23
; ScratchSize: 0
; MemoryBound: 0
; FloatMode: 240
; IeeeMode: 1
; LDSByteSize: 0 bytes/workgroup (compile time only)
; SGPRBlocks: 4
; VGPRBlocks: 2
; NumSGPRsForWavesPerEU: 36
; NumVGPRsForWavesPerEU: 23
; AccumOffset: 24
; Occupancy: 8
; WaveLimiterHint : 0
; COMPUTE_PGM_RSRC2:SCRATCH_EN: 0
; COMPUTE_PGM_RSRC2:USER_SGPR: 6
; COMPUTE_PGM_RSRC2:TRAP_HANDLER: 0
; COMPUTE_PGM_RSRC2:TGID_X_EN: 1
; COMPUTE_PGM_RSRC2:TGID_Y_EN: 1
; COMPUTE_PGM_RSRC2:TGID_Z_EN: 0
; COMPUTE_PGM_RSRC2:TIDIG_COMP_CNT: 0
; COMPUTE_PGM_RSRC3_GFX90A:ACCUM_OFFSET: 5
; COMPUTE_PGM_RSRC3_GFX90A:TG_SPLIT: 0
	.section	.text._ZN5aiter35fused_qk_rmsnorm_group_quant_kernelItDB8_Li64ELi8ELi4ELb0ELb1ELb1ELb0ELb0ELb0EEEvPT0_PvPT_S6_S6_PKS5_S8_S8_S8_S8_ffiiiiiiiiiiiii,"axG",@progbits,_ZN5aiter35fused_qk_rmsnorm_group_quant_kernelItDB8_Li64ELi8ELi4ELb0ELb1ELb1ELb0ELb0ELb0EEEvPT0_PvPT_S6_S6_PKS5_S8_S8_S8_S8_ffiiiiiiiiiiiii,comdat
	.protected	_ZN5aiter35fused_qk_rmsnorm_group_quant_kernelItDB8_Li64ELi8ELi4ELb0ELb1ELb1ELb0ELb0ELb0EEEvPT0_PvPT_S6_S6_PKS5_S8_S8_S8_S8_ffiiiiiiiiiiiii ; -- Begin function _ZN5aiter35fused_qk_rmsnorm_group_quant_kernelItDB8_Li64ELi8ELi4ELb0ELb1ELb1ELb0ELb0ELb0EEEvPT0_PvPT_S6_S6_PKS5_S8_S8_S8_S8_ffiiiiiiiiiiiii
	.globl	_ZN5aiter35fused_qk_rmsnorm_group_quant_kernelItDB8_Li64ELi8ELi4ELb0ELb1ELb1ELb0ELb0ELb0EEEvPT0_PvPT_S6_S6_PKS5_S8_S8_S8_S8_ffiiiiiiiiiiiii
	.p2align	8
	.type	_ZN5aiter35fused_qk_rmsnorm_group_quant_kernelItDB8_Li64ELi8ELi4ELb0ELb1ELb1ELb0ELb0ELb0EEEvPT0_PvPT_S6_S6_PKS5_S8_S8_S8_S8_ffiiiiiiiiiiiii,@function
_ZN5aiter35fused_qk_rmsnorm_group_quant_kernelItDB8_Li64ELi8ELi4ELb0ELb1ELb1ELb0ELb0ELb0EEEvPT0_PvPT_S6_S6_PKS5_S8_S8_S8_S8_ffiiiiiiiiiiiii: ; @_ZN5aiter35fused_qk_rmsnorm_group_quant_kernelItDB8_Li64ELi8ELi4ELb0ELb1ELb1ELb0ELb0ELb0EEEvPT0_PvPT_S6_S6_PKS5_S8_S8_S8_S8_ffiiiiiiiiiiiii
; %bb.0:
	s_load_dwordx4 s[12:15], s[4:5], 0x50
	s_waitcnt lgkmcnt(0)
	s_cmp_ge_i32 s6, s14
	s_cbranch_scc1 .LBB226_8
; %bb.1:
	s_load_dwordx2 s[8:9], s[4:5], 0x48
	s_load_dwordx2 s[30:31], s[4:5], 0x30
	s_load_dwordx4 s[16:19], s[4:5], 0x60
	s_cmp_lg_u32 s7, 0
	s_cselect_b64 s[2:3], -1, 0
	s_cmp_eq_u32 s7, 0
	s_cselect_b64 vcc, -1, 0
	s_and_b64 s[0:1], vcc, exec
	s_waitcnt lgkmcnt(0)
	s_cselect_b32 s7, s15, s16
	s_add_i32 s0, s7, 1
	s_lshr_b32 s1, s0, 31
	s_add_i32 s0, s0, s1
	s_lshl_b32 s0, s0, 1
	v_lshlrev_b32_e32 v1, 3, v0
	s_and_b32 s22, s0, -4
	v_cmp_gt_i32_e64 s[0:1], s7, v1
	v_mov_b32_e32 v2, 0
	v_mov_b32_e32 v3, 0
	;; [unrolled: 1-line block ×8, first 2 shown]
	s_and_saveexec_b64 s[10:11], s[0:1]
	s_cbranch_execz .LBB226_3
; %bb.2:
	s_load_dwordx2 s[20:21], s[4:5], 0x28
	s_load_dwordx2 s[26:27], s[4:5], 0x40
	s_and_b64 s[24:25], vcc, exec
	s_cselect_b32 s14, s17, s18
	s_mov_b32 s23, 0x20000
	s_waitcnt lgkmcnt(0)
	s_cselect_b32 s17, s21, s31
	s_cselect_b32 s19, s20, s30
	s_mul_hi_i32 s21, s14, s6
	s_mul_i32 s20, s14, s6
	s_lshl_b64 s[20:21], s[20:21], 1
	s_add_u32 s24, s19, s20
	s_addc_u32 s14, s17, s21
	s_and_b64 s[20:21], vcc, exec
	s_cselect_b32 s20, s26, s8
	s_cselect_b32 s17, s27, s9
	v_lshlrev_b32_e32 v10, 4, v0
	s_and_b32 s25, s14, 0xffff
	s_mov_b32 s26, s22
	s_mov_b32 s27, s23
	s_and_b32 s21, s17, 0xffff
	buffer_load_dwordx4 v[6:9], v10, s[24:27], 0 offen glc slc
	buffer_load_dwordx4 v[2:5], v10, s[20:23], 0 offen
.LBB226_3:
	s_or_b64 exec, exec, s[10:11]
	s_waitcnt vmcnt(1)
	v_cvt_f32_u32_sdwa v13, v6 dst_sel:DWORD dst_unused:UNUSED_PAD src0_sel:WORD_1
	v_cvt_f32_u32_sdwa v12, v6 dst_sel:DWORD dst_unused:UNUSED_PAD src0_sel:WORD_0
	v_cvt_f32_u32_sdwa v6, v9 dst_sel:DWORD dst_unused:UNUSED_PAD src0_sel:WORD_1
	v_cvt_f32_u32_sdwa v9, v9 dst_sel:DWORD dst_unused:UNUSED_PAD src0_sel:WORD_0
	;; [unrolled: 2-line block ×4, first 2 shown]
	v_cndmask_b32_e64 v13, 0, v13, s[0:1]
	v_cndmask_b32_e64 v7, 0, v6, s[0:1]
	;; [unrolled: 1-line block ×5, first 2 shown]
	v_mul_f32_e32 v14, v13, v13
	v_cndmask_b32_e64 v10, 0, v10, s[0:1]
	v_fmac_f32_e32 v14, v12, v12
	v_cndmask_b32_e64 v11, 0, v11, s[0:1]
	v_fmac_f32_e32 v14, v10, v10
	;; [unrolled: 2-line block ×3, first 2 shown]
	v_fmac_f32_e32 v14, v8, v8
	v_fmac_f32_e32 v14, v9, v9
	;; [unrolled: 1-line block ×4, first 2 shown]
	v_bfrev_b32_e32 v16, 0.5
	s_load_dwordx2 s[28:29], s[4:5], 0x18
	v_mov_b32_dpp v15, v14 quad_perm:[1,0,3,2] row_mask:0xf bank_mask:0xf
	v_add_f32_e32 v14, v14, v15
	s_nop 1
	v_mov_b32_dpp v15, v14 quad_perm:[2,3,0,1] row_mask:0xf bank_mask:0xf
	v_add_f32_e32 v14, v14, v15
	s_nop 1
	v_mov_b32_dpp v15, v14 row_half_mirror row_mask:0xf bank_mask:0xf
	v_add_f32_e32 v14, v14, v15
	s_nop 1
	v_mov_b32_dpp v15, v14 row_mirror row_mask:0xf bank_mask:0xf
	v_add_f32_e32 v14, v14, v15
	s_nop 1
	v_mov_b32_dpp v15, v14 row_bcast:15 row_mask:0xf bank_mask:0xf
	v_add_f32_e32 v14, v14, v15
	s_nop 1
	v_mov_b32_dpp v15, v14 row_bcast:31 row_mask:0xf bank_mask:0xf
	v_add_f32_e32 v15, v14, v15
	v_mbcnt_lo_u32_b32 v14, -1, 0
	v_mbcnt_hi_u32_b32 v14, -1, v14
	v_lshl_or_b32 v14, v14, 2, v16
	ds_bpermute_b32 v15, v14, v15
	s_and_saveexec_b64 s[10:11], s[0:1]
	s_cbranch_execz .LBB226_5
; %bb.4:
	v_cvt_f32_u32_e32 v16, s7
	v_mov_b32_e32 v17, s13
	v_mov_b32_e32 v18, s12
	v_cndmask_b32_e32 v17, v17, v18, vcc
	s_waitcnt lgkmcnt(0)
	v_div_scale_f32 v19, s[20:21], v16, v16, v15
	v_rcp_f32_e32 v20, v19
	v_div_scale_f32 v18, vcc, v15, v16, v15
	s_mov_b32 s7, 0x800000
	v_fma_f32 v21, -v19, v20, 1.0
	v_fmac_f32_e32 v20, v21, v20
	v_mul_f32_e32 v21, v18, v20
	v_fma_f32 v22, -v19, v21, v18
	v_fmac_f32_e32 v21, v22, v20
	v_fma_f32 v18, -v19, v21, v18
	v_div_fmas_f32 v18, v18, v20, v21
	v_div_fixup_f32 v15, v18, v16, v15
	v_add_f32_e32 v15, v17, v15
	v_mul_f32_e32 v16, 0x4b800000, v15
	v_cmp_gt_f32_e32 vcc, s7, v15
	v_cndmask_b32_e32 v15, v15, v16, vcc
	v_rsq_f32_e32 v15, v15
	s_waitcnt vmcnt(0)
	v_cvt_f32_u32_sdwa v19, v2 dst_sel:DWORD dst_unused:UNUSED_PAD src0_sel:WORD_1
	v_cvt_f32_u32_sdwa v18, v2 dst_sel:DWORD dst_unused:UNUSED_PAD src0_sel:WORD_0
	v_cvt_f32_u32_sdwa v21, v3 dst_sel:DWORD dst_unused:UNUSED_PAD src0_sel:WORD_1
	v_mul_f32_e32 v16, 0x45800000, v15
	v_cndmask_b32_e32 v16, v15, v16, vcc
	v_mov_b32_e32 v17, v16
	;;#ASMSTART
	v_pk_mul_f32 v[12:13], v[12:13], v[16:17]
	;;#ASMEND
	;;#ASMSTART
	v_pk_mul_f32 v[10:11], v[10:11], v[16:17]
	;;#ASMEND
	;; [unrolled: 3-line block ×3, first 2 shown]
	v_cvt_f32_u32_sdwa v20, v3 dst_sel:DWORD dst_unused:UNUSED_PAD src0_sel:WORD_0
	;;#ASMSTART
	v_pk_mul_f32 v[2:3], v[6:7], v[16:17]
	;;#ASMEND
	v_cvt_f32_u32_sdwa v17, v4 dst_sel:DWORD dst_unused:UNUSED_PAD src0_sel:WORD_1
	v_cvt_f32_u32_sdwa v16, v4 dst_sel:DWORD dst_unused:UNUSED_PAD src0_sel:WORD_0
	v_pk_add_f32 v[6:7], v[18:19], 1.0 op_sel_hi:[1,0]
	v_cvt_f32_u32_sdwa v19, v5 dst_sel:DWORD dst_unused:UNUSED_PAD src0_sel:WORD_1
	v_cvt_f32_u32_sdwa v18, v5 dst_sel:DWORD dst_unused:UNUSED_PAD src0_sel:WORD_0
	;;#ASMSTART
	v_pk_mul_f32 v[12:13], v[12:13], v[6:7]
	;;#ASMEND
	v_pk_add_f32 v[6:7], v[20:21], 1.0 op_sel_hi:[1,0]
	v_pk_add_f32 v[4:5], v[16:17], 1.0 op_sel_hi:[1,0]
	;;#ASMSTART
	v_pk_mul_f32 v[10:11], v[10:11], v[6:7]
	;;#ASMEND
	;;#ASMSTART
	v_pk_mul_f32 v[8:9], v[8:9], v[4:5]
	;;#ASMEND
	v_pk_add_f32 v[4:5], v[18:19], 1.0 op_sel_hi:[1,0]
	;;#ASMSTART
	v_pk_mul_f32 v[6:7], v[2:3], v[4:5]
	;;#ASMEND
.LBB226_5:
	s_or_b64 exec, exec, s[10:11]
	s_load_dword s7, s[4:5], 0x80
	s_mov_b64 s[10:11], -1
	s_and_b64 vcc, exec, s[2:3]
	s_cbranch_vccnz .LBB226_9
; %bb.6:
	s_andn2_b64 vcc, exec, s[10:11]
	s_cbranch_vccz .LBB226_12
.LBB226_7:
	s_cmp_lt_i32 s16, 1
	s_cbranch_scc0 .LBB226_21
.LBB226_8:
	s_endpgm
.LBB226_9:
	s_and_saveexec_b64 s[2:3], s[0:1]
	s_cbranch_execz .LBB226_11
; %bb.10:
	s_waitcnt lgkmcnt(0)
	s_mul_hi_i32 s11, s7, s6
	s_mul_i32 s10, s7, s6
	s_lshl_b64 s[10:11], s[10:11], 1
	s_add_u32 s20, s28, s10
	s_addc_u32 s10, s29, s11
	s_and_b32 s21, s10, 0xffff
	s_mov_b32 s10, 0x7060302
	s_mov_b32 s23, 0x20000
	s_waitcnt vmcnt(0)
	v_perm_b32 v2, v13, v12, s10
	v_perm_b32 v3, v11, v10, s10
	;; [unrolled: 1-line block ×4, first 2 shown]
	v_lshlrev_b32_e32 v15, 4, v0
	buffer_store_dwordx4 v[2:5], v15, s[20:23], 0 offen
	;;#ASMSTART
	s_nop 0
	;;#ASMEND
.LBB226_11:
	s_or_b64 exec, exec, s[2:3]
	s_cbranch_execnz .LBB226_7
.LBB226_12:
	s_load_dwordx4 s[24:27], s[4:5], 0x70
	s_waitcnt vmcnt(0)
	v_mov_b32_e32 v2, 0
	s_and_saveexec_b64 s[2:3], s[0:1]
	s_cbranch_execz .LBB226_14
; %bb.13:
	s_load_dwordx2 s[10:11], s[4:5], 0x10
	s_waitcnt lgkmcnt(0)
	s_mul_hi_i32 s21, s27, s6
	s_mul_i32 s20, s27, s6
	s_lshl_b64 s[20:21], s[20:21], 1
	s_mov_b32 s23, 0x20000
	s_add_u32 s20, s10, s20
	s_addc_u32 s10, s11, s21
	s_and_b32 s21, s10, 0xffff
	s_mov_b32 s10, 0x7060302
	v_perm_b32 v2, v13, v12, s10
	v_perm_b32 v3, v11, v10, s10
	;; [unrolled: 1-line block ×4, first 2 shown]
	v_lshlrev_b32_e32 v15, 4, v0
	buffer_store_dwordx4 v[2:5], v15, s[20:23], 0 offen
	;;#ASMSTART
	s_nop 0
	;;#ASMEND
	s_nop 0
	v_mov_b32_e32 v2, 0x2edbe6ff
.LBB226_14:
	s_or_b64 exec, exec, s[2:3]
	s_and_saveexec_b64 s[2:3], s[0:1]
	s_cbranch_execz .LBB226_16
; %bb.15:
	v_and_b32_e32 v3, 0x7fffffff, v12
	v_and_b32_e32 v4, 0x7fffffff, v13
	;;#ASMSTART
	v_max3_f32 v2, v2, v3, v4

	;;#ASMEND
	v_and_b32_e32 v3, 0x7fffffff, v10
	v_and_b32_e32 v4, 0x7fffffff, v11
	;;#ASMSTART
	v_max3_f32 v2, v2, v3, v4

	;;#ASMEND
	;; [unrolled: 6-line block ×4, first 2 shown]
.LBB226_16:
	s_or_b64 exec, exec, s[2:3]
	;;#ASMSTART
	v_max_f32 v3, v2, v2 quad_perm:[1,0,3,2] row_mask:0xf bank_mask:0xf bound_ctrl:1
	;;#ASMEND
	;;#ASMSTART
	v_max_f32 v2, v3, v3 quad_perm:[2,3,0,1] row_mask:0xf bank_mask:0xf bound_ctrl:1
	;;#ASMEND
	v_and_b32_e32 v3, 3, v0
	v_cmp_eq_u32_e32 vcc, 0, v3
	v_cmp_gt_i32_e64 s[2:3], s15, v1
	v_mul_f32_e32 v2, 0x3b124925, v2
	s_and_b64 s[10:11], vcc, s[2:3]
	s_and_saveexec_b64 s[2:3], s[10:11]
	s_cbranch_execz .LBB226_18
; %bb.17:
	s_load_dwordx2 s[10:11], s[4:5], 0x8
	s_waitcnt lgkmcnt(0)
	s_mul_hi_i32 s21, s25, s6
	s_mul_i32 s20, s25, s6
	v_lshrrev_b32_e32 v3, 2, v0
	s_lshl_b64 s[20:21], s[20:21], 2
	v_mad_i64_i32 v[4:5], s[22:23], s26, v3, 0
	s_add_u32 s10, s10, s20
	s_addc_u32 s11, s11, s21
	v_lshlrev_b64 v[4:5], 2, v[4:5]
	v_mov_b32_e32 v3, s11
	v_add_co_u32_e32 v4, vcc, s10, v4
	v_addc_co_u32_e32 v5, vcc, v3, v5, vcc
	global_store_dword v[4:5], v2, off
.LBB226_18:
	s_or_b64 exec, exec, s[2:3]
	;;#ASMSTART
	v_rcp_f32 v2, v2
	;;#ASMEND
	s_and_saveexec_b64 s[10:11], s[0:1]
	s_cbranch_execz .LBB226_20
; %bb.19:
	v_mov_b32_e32 v3, v2
	;;#ASMSTART
	v_pk_mul_f32 v[4:5], v[12:13], v[2:3]
	;;#ASMEND
	s_load_dwordx2 s[0:1], s[4:5], 0x0
	v_mov_b32_e32 v12, 0xc3e00000
	v_mov_b32_e32 v13, 0x43e00000
	s_waitcnt lgkmcnt(0)
	;;#ASMSTART
	v_med3_f32 v4, v4, v12, v13
v_med3_f32 v5, v5, v12, v13
v_cvt_pk_fp8_f32 v15, v4, v5
	;;#ASMEND
	;;#ASMSTART
	v_pk_mul_f32 v[4:5], v[10:11], v[2:3]
	;;#ASMEND
	;;#ASMSTART
	v_med3_f32 v4, v4, v12, v13
v_med3_f32 v5, v5, v12, v13
v_cvt_pk_fp8_f32 v10, v4, v5
	;;#ASMEND
	s_mov_b32 s14, 0x5040100
	v_perm_b32 v5, v10, v15, s14
	s_movk_i32 s14, 0xff
	s_mul_i32 s3, s24, s6
	v_and_b32_e32 v4, 0xffffff00, v10
	v_and_b32_sdwa v10, v5, s14 dst_sel:DWORD dst_unused:UNUSED_PAD src0_sel:WORD_1 src1_sel:DWORD
	s_mul_hi_i32 s2, s24, s6
	s_mov_b32 s12, 0xffff
	s_add_u32 s0, s0, s3
	v_or_b32_sdwa v4, v10, v4 dst_sel:WORD_1 dst_unused:UNUSED_PAD src0_sel:DWORD src1_sel:DWORD
	s_addc_u32 s1, s1, s2
	s_add_i32 s2, s15, 3
	v_and_or_b32 v4, v5, s12, v4
	;;#ASMSTART
	v_pk_mul_f32 v[8:9], v[8:9], v[2:3]
	;;#ASMEND
	v_mov_b32_e32 v5, v9
	s_ashr_i32 s3, s2, 31
	;;#ASMSTART
	v_med3_f32 v8, v8, v12, v13
v_med3_f32 v5, v5, v12, v13
v_cvt_pk_fp8_f32 v9, v8, v5
	;;#ASMEND
	;;#ASMSTART
	v_pk_mul_f32 v[2:3], v[6:7], v[2:3]
	;;#ASMEND
	s_lshr_b32 s3, s3, 30
	;;#ASMSTART
	v_med3_f32 v2, v2, v12, v13
v_med3_f32 v3, v3, v12, v13
v_cvt_pk_fp8_f32 v5, v2, v3
	;;#ASMEND
	s_add_i32 s2, s2, s3
	v_lshlrev_b32_e32 v2, 16, v5
	s_and_b32 s2, s2, -4
	s_and_b32 s1, s1, 0xffff
	s_mov_b32 s3, 0x20000
	v_and_or_b32 v5, v9, s12, v2
	buffer_store_dwordx2 v[4:5], v1, s[0:3], 0 offen
	;;#ASMSTART
	s_nop 0
	;;#ASMEND
.LBB226_20:
	s_or_b64 exec, exec, s[10:11]
	s_cmp_lt_i32 s16, 1
	s_cbranch_scc1 .LBB226_8
.LBB226_21:
	s_load_dword s0, s[4:5], 0x94
	s_waitcnt lgkmcnt(0)
	s_cmp_lg_u32 s0, 1
	s_cbranch_scc1 .LBB226_8
; %bb.22:
	s_lshl_b32 s0, s16, 1
	s_add_i32 s0, s0, 2
	v_cmp_gt_u32_e32 vcc, s16, v1
	s_and_b32 s10, s0, -4
	s_waitcnt vmcnt(0)
	v_mov_b32_e32 v4, 0
	v_lshlrev_b32_e32 v12, 4, v0
	v_mov_b32_e32 v5, 0
	v_mov_b32_e32 v6, 0
	;; [unrolled: 1-line block ×7, first 2 shown]
	s_barrier
	s_and_saveexec_b64 s[0:1], vcc
	s_cbranch_execz .LBB226_24
; %bb.23:
	s_mul_hi_i32 s3, s18, s6
	s_mul_i32 s2, s18, s6
	s_and_b32 s9, s9, 0xffff
	s_lshl_b64 s[2:3], s[2:3], 1
	s_add_u32 s20, s30, s2
	s_mov_b32 s11, 0x20000
	s_addc_u32 s2, s31, s3
	s_and_b32 s21, s2, 0xffff
	s_mov_b32 s22, s10
	s_mov_b32 s23, s11
	buffer_load_dwordx4 v[4:7], v12, s[20:23], 0 offen glc slc
	buffer_load_dwordx4 v[0:3], v12, s[8:11], 0 offen
.LBB226_24:
	s_or_b64 exec, exec, s[0:1]
	s_waitcnt vmcnt(1)
	v_cvt_f32_u32_sdwa v11, v4 dst_sel:DWORD dst_unused:UNUSED_PAD src0_sel:WORD_1
	v_cvt_f32_u32_sdwa v10, v4 dst_sel:DWORD dst_unused:UNUSED_PAD src0_sel:WORD_0
	v_cvt_f32_u32_sdwa v4, v7 dst_sel:DWORD dst_unused:UNUSED_PAD src0_sel:WORD_1
	v_cvt_f32_u32_sdwa v7, v7 dst_sel:DWORD dst_unused:UNUSED_PAD src0_sel:WORD_0
	;; [unrolled: 2-line block ×4, first 2 shown]
	v_cndmask_b32_e32 v11, 0, v11, vcc
	v_cndmask_b32_e32 v5, 0, v4, vcc
	;; [unrolled: 1-line block ×5, first 2 shown]
	v_mul_f32_e32 v13, v11, v11
	v_cndmask_b32_e32 v8, 0, v8, vcc
	v_fmac_f32_e32 v13, v10, v10
	v_cndmask_b32_e32 v9, 0, v9, vcc
	v_fmac_f32_e32 v13, v8, v8
	;; [unrolled: 2-line block ×3, first 2 shown]
	v_fmac_f32_e32 v13, v6, v6
	v_fmac_f32_e32 v13, v7, v7
	;; [unrolled: 1-line block ×4, first 2 shown]
	s_nop 1
	v_mov_b32_dpp v15, v13 quad_perm:[1,0,3,2] row_mask:0xf bank_mask:0xf
	v_add_f32_e32 v13, v13, v15
	s_nop 1
	v_mov_b32_dpp v15, v13 quad_perm:[2,3,0,1] row_mask:0xf bank_mask:0xf
	v_add_f32_e32 v13, v13, v15
	s_nop 1
	v_mov_b32_dpp v15, v13 row_half_mirror row_mask:0xf bank_mask:0xf
	v_add_f32_e32 v13, v13, v15
	s_nop 1
	v_mov_b32_dpp v15, v13 row_mirror row_mask:0xf bank_mask:0xf
	v_add_f32_e32 v13, v13, v15
	s_nop 1
	v_mov_b32_dpp v15, v13 row_bcast:15 row_mask:0xf bank_mask:0xf
	v_add_f32_e32 v13, v13, v15
	s_nop 1
	v_mov_b32_dpp v15, v13 row_bcast:31 row_mask:0xf bank_mask:0xf
	v_add_f32_e32 v13, v13, v15
	ds_bpermute_b32 v13, v14, v13
	s_and_saveexec_b64 s[0:1], vcc
	s_cbranch_execz .LBB226_8
; %bb.25:
	v_cvt_f32_u32_e32 v14, s16
	s_mov_b32 s11, 0x20000
	s_waitcnt lgkmcnt(0)
	v_div_scale_f32 v15, s[0:1], v14, v14, v13
	v_rcp_f32_e32 v16, v15
	v_div_scale_f32 v17, vcc, v13, v14, v13
	s_mov_b32 s0, 0x800000
	v_fma_f32 v18, -v15, v16, 1.0
	v_fmac_f32_e32 v16, v18, v16
	v_mul_f32_e32 v18, v17, v16
	v_fma_f32 v19, -v15, v18, v17
	v_fmac_f32_e32 v18, v19, v16
	v_fma_f32 v15, -v15, v18, v17
	v_div_fmas_f32 v15, v15, v16, v18
	v_div_fixup_f32 v13, v15, v14, v13
	v_add_f32_e32 v13, s13, v13
	v_mul_f32_e32 v14, 0x4b800000, v13
	v_cmp_gt_f32_e32 vcc, s0, v13
	v_cndmask_b32_e32 v13, v13, v14, vcc
	v_rsq_f32_e32 v13, v13
	s_waitcnt vmcnt(0)
	v_cvt_f32_u32_sdwa v15, v0 dst_sel:DWORD dst_unused:UNUSED_PAD src0_sel:WORD_1
	v_cvt_f32_u32_sdwa v19, v1 dst_sel:DWORD dst_unused:UNUSED_PAD src0_sel:WORD_1
	v_cvt_f32_u32_sdwa v18, v1 dst_sel:DWORD dst_unused:UNUSED_PAD src0_sel:WORD_0
	v_mul_f32_e32 v14, 0x45800000, v13
	v_cndmask_b32_e32 v16, v13, v14, vcc
	v_cvt_f32_u32_sdwa v14, v0 dst_sel:DWORD dst_unused:UNUSED_PAD src0_sel:WORD_0
	v_mov_b32_e32 v17, v16
	;;#ASMSTART
	v_pk_mul_f32 v[10:11], v[10:11], v[16:17]
	;;#ASMEND
	;;#ASMSTART
	v_pk_mul_f32 v[8:9], v[8:9], v[16:17]
	;;#ASMEND
	;; [unrolled: 3-line block ×4, first 2 shown]
	v_pk_add_f32 v[4:5], v[14:15], 1.0 op_sel_hi:[1,0]
	v_cvt_f32_u32_sdwa v15, v2 dst_sel:DWORD dst_unused:UNUSED_PAD src0_sel:WORD_1
	v_cvt_f32_u32_sdwa v14, v2 dst_sel:DWORD dst_unused:UNUSED_PAD src0_sel:WORD_0
	v_cvt_f32_u32_sdwa v17, v3 dst_sel:DWORD dst_unused:UNUSED_PAD src0_sel:WORD_1
	v_cvt_f32_u32_sdwa v16, v3 dst_sel:DWORD dst_unused:UNUSED_PAD src0_sel:WORD_0
	s_mul_hi_i32 s1, s7, s6
	s_mul_i32 s0, s7, s6
	s_lshl_b64 s[0:1], s[0:1], 1
	s_add_u32 s8, s28, s0
	;;#ASMSTART
	v_pk_mul_f32 v[4:5], v[10:11], v[4:5]
	;;#ASMEND
	v_pk_add_f32 v[10:11], v[18:19], 1.0 op_sel_hi:[1,0]
	;;#ASMSTART
	v_pk_mul_f32 v[2:3], v[8:9], v[10:11]
	;;#ASMEND
	v_pk_add_f32 v[8:9], v[14:15], 1.0 op_sel_hi:[1,0]
	s_addc_u32 s0, s29, s1
	;;#ASMSTART
	v_pk_mul_f32 v[6:7], v[6:7], v[8:9]
	;;#ASMEND
	v_pk_add_f32 v[8:9], v[16:17], 1.0 op_sel_hi:[1,0]
	s_and_b32 s9, s0, 0xffff
	s_mov_b32 s0, 0x7060302
	;;#ASMSTART
	v_pk_mul_f32 v[8:9], v[0:1], v[8:9]
	;;#ASMEND
	v_perm_b32 v0, v5, v4, s0
	v_perm_b32 v1, v3, v2, s0
	;; [unrolled: 1-line block ×4, first 2 shown]
	buffer_store_dwordx4 v[0:3], v12, s[8:11], 0 offen
	;;#ASMSTART
	s_nop 0
	;;#ASMEND
	s_endpgm
	.section	.rodata,"a",@progbits
	.p2align	6, 0x0
	.amdhsa_kernel _ZN5aiter35fused_qk_rmsnorm_group_quant_kernelItDB8_Li64ELi8ELi4ELb0ELb1ELb1ELb0ELb0ELb0EEEvPT0_PvPT_S6_S6_PKS5_S8_S8_S8_S8_ffiiiiiiiiiiiii
		.amdhsa_group_segment_fixed_size 0
		.amdhsa_private_segment_fixed_size 0
		.amdhsa_kernarg_size 400
		.amdhsa_user_sgpr_count 6
		.amdhsa_user_sgpr_private_segment_buffer 1
		.amdhsa_user_sgpr_dispatch_ptr 0
		.amdhsa_user_sgpr_queue_ptr 0
		.amdhsa_user_sgpr_kernarg_segment_ptr 1
		.amdhsa_user_sgpr_dispatch_id 0
		.amdhsa_user_sgpr_flat_scratch_init 0
		.amdhsa_user_sgpr_kernarg_preload_length 0
		.amdhsa_user_sgpr_kernarg_preload_offset 0
		.amdhsa_user_sgpr_private_segment_size 0
		.amdhsa_uses_dynamic_stack 0
		.amdhsa_system_sgpr_private_segment_wavefront_offset 0
		.amdhsa_system_sgpr_workgroup_id_x 1
		.amdhsa_system_sgpr_workgroup_id_y 1
		.amdhsa_system_sgpr_workgroup_id_z 0
		.amdhsa_system_sgpr_workgroup_info 0
		.amdhsa_system_vgpr_workitem_id 0
		.amdhsa_next_free_vgpr 23
		.amdhsa_next_free_sgpr 32
		.amdhsa_accum_offset 24
		.amdhsa_reserve_vcc 1
		.amdhsa_reserve_flat_scratch 0
		.amdhsa_float_round_mode_32 0
		.amdhsa_float_round_mode_16_64 0
		.amdhsa_float_denorm_mode_32 3
		.amdhsa_float_denorm_mode_16_64 3
		.amdhsa_dx10_clamp 1
		.amdhsa_ieee_mode 1
		.amdhsa_fp16_overflow 0
		.amdhsa_tg_split 0
		.amdhsa_exception_fp_ieee_invalid_op 0
		.amdhsa_exception_fp_denorm_src 0
		.amdhsa_exception_fp_ieee_div_zero 0
		.amdhsa_exception_fp_ieee_overflow 0
		.amdhsa_exception_fp_ieee_underflow 0
		.amdhsa_exception_fp_ieee_inexact 0
		.amdhsa_exception_int_div_zero 0
	.end_amdhsa_kernel
	.section	.text._ZN5aiter35fused_qk_rmsnorm_group_quant_kernelItDB8_Li64ELi8ELi4ELb0ELb1ELb1ELb0ELb0ELb0EEEvPT0_PvPT_S6_S6_PKS5_S8_S8_S8_S8_ffiiiiiiiiiiiii,"axG",@progbits,_ZN5aiter35fused_qk_rmsnorm_group_quant_kernelItDB8_Li64ELi8ELi4ELb0ELb1ELb1ELb0ELb0ELb0EEEvPT0_PvPT_S6_S6_PKS5_S8_S8_S8_S8_ffiiiiiiiiiiiii,comdat
.Lfunc_end226:
	.size	_ZN5aiter35fused_qk_rmsnorm_group_quant_kernelItDB8_Li64ELi8ELi4ELb0ELb1ELb1ELb0ELb0ELb0EEEvPT0_PvPT_S6_S6_PKS5_S8_S8_S8_S8_ffiiiiiiiiiiiii, .Lfunc_end226-_ZN5aiter35fused_qk_rmsnorm_group_quant_kernelItDB8_Li64ELi8ELi4ELb0ELb1ELb1ELb0ELb0ELb0EEEvPT0_PvPT_S6_S6_PKS5_S8_S8_S8_S8_ffiiiiiiiiiiiii
                                        ; -- End function
	.section	.AMDGPU.csdata,"",@progbits
; Kernel info:
; codeLenInByte = 2552
; NumSgprs: 36
; NumVgprs: 23
; NumAgprs: 0
; TotalNumVgprs: 23
; ScratchSize: 0
; MemoryBound: 0
; FloatMode: 240
; IeeeMode: 1
; LDSByteSize: 0 bytes/workgroup (compile time only)
; SGPRBlocks: 4
; VGPRBlocks: 2
; NumSGPRsForWavesPerEU: 36
; NumVGPRsForWavesPerEU: 23
; AccumOffset: 24
; Occupancy: 8
; WaveLimiterHint : 0
; COMPUTE_PGM_RSRC2:SCRATCH_EN: 0
; COMPUTE_PGM_RSRC2:USER_SGPR: 6
; COMPUTE_PGM_RSRC2:TRAP_HANDLER: 0
; COMPUTE_PGM_RSRC2:TGID_X_EN: 1
; COMPUTE_PGM_RSRC2:TGID_Y_EN: 1
; COMPUTE_PGM_RSRC2:TGID_Z_EN: 0
; COMPUTE_PGM_RSRC2:TIDIG_COMP_CNT: 0
; COMPUTE_PGM_RSRC3_GFX90A:ACCUM_OFFSET: 5
; COMPUTE_PGM_RSRC3_GFX90A:TG_SPLIT: 0
	.section	.text._ZN5aiter35fused_qk_rmsnorm_group_quant_kernelIDF16_N4opus5fp4_tELi64ELi8ELi4ELb0ELb1ELb1ELb0ELb0ELb0EEEvPT0_PvPT_S7_S7_PKS6_S9_S9_S9_S9_ffiiiiiiiiiiiii,"axG",@progbits,_ZN5aiter35fused_qk_rmsnorm_group_quant_kernelIDF16_N4opus5fp4_tELi64ELi8ELi4ELb0ELb1ELb1ELb0ELb0ELb0EEEvPT0_PvPT_S7_S7_PKS6_S9_S9_S9_S9_ffiiiiiiiiiiiii,comdat
	.protected	_ZN5aiter35fused_qk_rmsnorm_group_quant_kernelIDF16_N4opus5fp4_tELi64ELi8ELi4ELb0ELb1ELb1ELb0ELb0ELb0EEEvPT0_PvPT_S7_S7_PKS6_S9_S9_S9_S9_ffiiiiiiiiiiiii ; -- Begin function _ZN5aiter35fused_qk_rmsnorm_group_quant_kernelIDF16_N4opus5fp4_tELi64ELi8ELi4ELb0ELb1ELb1ELb0ELb0ELb0EEEvPT0_PvPT_S7_S7_PKS6_S9_S9_S9_S9_ffiiiiiiiiiiiii
	.globl	_ZN5aiter35fused_qk_rmsnorm_group_quant_kernelIDF16_N4opus5fp4_tELi64ELi8ELi4ELb0ELb1ELb1ELb0ELb0ELb0EEEvPT0_PvPT_S7_S7_PKS6_S9_S9_S9_S9_ffiiiiiiiiiiiii
	.p2align	8
	.type	_ZN5aiter35fused_qk_rmsnorm_group_quant_kernelIDF16_N4opus5fp4_tELi64ELi8ELi4ELb0ELb1ELb1ELb0ELb0ELb0EEEvPT0_PvPT_S7_S7_PKS6_S9_S9_S9_S9_ffiiiiiiiiiiiii,@function
_ZN5aiter35fused_qk_rmsnorm_group_quant_kernelIDF16_N4opus5fp4_tELi64ELi8ELi4ELb0ELb1ELb1ELb0ELb0ELb0EEEvPT0_PvPT_S7_S7_PKS6_S9_S9_S9_S9_ffiiiiiiiiiiiii: ; @_ZN5aiter35fused_qk_rmsnorm_group_quant_kernelIDF16_N4opus5fp4_tELi64ELi8ELi4ELb0ELb1ELb1ELb0ELb0ELb0EEEvPT0_PvPT_S7_S7_PKS6_S9_S9_S9_S9_ffiiiiiiiiiiiii
; %bb.0:
	s_load_dwordx4 s[12:15], s[4:5], 0x50
	s_waitcnt lgkmcnt(0)
	s_cmp_ge_i32 s6, s14
	s_cbranch_scc1 .LBB227_10
; %bb.1:
	s_load_dwordx2 s[8:9], s[4:5], 0x48
	s_load_dwordx2 s[30:31], s[4:5], 0x30
	s_load_dwordx4 s[16:19], s[4:5], 0x60
	s_cmp_lg_u32 s7, 0
	s_cselect_b64 s[2:3], -1, 0
	s_cmp_eq_u32 s7, 0
	s_cselect_b64 vcc, -1, 0
	s_and_b64 s[0:1], vcc, exec
	s_waitcnt lgkmcnt(0)
	s_cselect_b32 s7, s15, s16
	s_add_i32 s0, s7, 1
	s_lshr_b32 s1, s0, 31
	s_add_i32 s0, s0, s1
	s_lshl_b32 s0, s0, 1
	v_lshlrev_b32_e32 v1, 3, v0
	s_and_b32 s22, s0, -4
	v_cmp_gt_i32_e64 s[0:1], s7, v1
	v_mov_b32_e32 v10, 0
	v_mov_b32_e32 v2, 0
	;; [unrolled: 1-line block ×9, first 2 shown]
	s_and_saveexec_b64 s[10:11], s[0:1]
	s_cbranch_execz .LBB227_3
; %bb.2:
	s_load_dwordx2 s[20:21], s[4:5], 0x28
	s_load_dwordx2 s[26:27], s[4:5], 0x40
	s_and_b64 s[24:25], vcc, exec
	s_cselect_b32 s14, s17, s18
	s_mov_b32 s23, 0x20000
	s_waitcnt lgkmcnt(0)
	s_cselect_b32 s17, s21, s31
	s_cselect_b32 s19, s20, s30
	s_mul_hi_i32 s21, s14, s6
	s_mul_i32 s20, s14, s6
	s_lshl_b64 s[20:21], s[20:21], 1
	s_add_u32 s24, s19, s20
	s_addc_u32 s14, s17, s21
	s_and_b64 s[20:21], vcc, exec
	s_cselect_b32 s20, s26, s8
	s_cselect_b32 s17, s27, s9
	v_lshlrev_b32_e32 v11, 4, v0
	s_and_b32 s25, s14, 0xffff
	s_mov_b32 s26, s22
	s_mov_b32 s27, s23
	s_and_b32 s21, s17, 0xffff
	buffer_load_dwordx4 v[6:9], v11, s[24:27], 0 offen glc slc
	buffer_load_dwordx4 v[2:5], v11, s[20:23], 0 offen
.LBB227_3:
	s_or_b64 exec, exec, s[10:11]
	v_mov_b32_e32 v11, 0
	v_mov_b32_e32 v16, 0
	v_mov_b32_e32 v17, 0
	v_mov_b32_e32 v14, 0
	v_mov_b32_e32 v15, 0
	v_mov_b32_e32 v12, 0
	v_mov_b32_e32 v13, 0
	s_and_saveexec_b64 s[10:11], s[0:1]
	s_cbranch_execz .LBB227_5
; %bb.4:
	s_waitcnt vmcnt(1)
	v_cvt_f32_f16_sdwa v11, v6 dst_sel:DWORD dst_unused:UNUSED_PAD src0_sel:WORD_1
	v_cvt_f32_f16_e32 v10, v6
	v_cvt_f32_f16_sdwa v17, v7 dst_sel:DWORD dst_unused:UNUSED_PAD src0_sel:WORD_1
	v_cvt_f32_f16_e32 v16, v7
	;; [unrolled: 2-line block ×4, first 2 shown]
.LBB227_5:
	s_or_b64 exec, exec, s[10:11]
	s_waitcnt vmcnt(1)
	v_mul_f32_e32 v6, v11, v11
	v_fmac_f32_e32 v6, v10, v10
	v_fmac_f32_e32 v6, v16, v16
	;; [unrolled: 1-line block ×7, first 2 shown]
	v_bfrev_b32_e32 v8, 0.5
	s_load_dwordx2 s[28:29], s[4:5], 0x18
	v_mov_b32_dpp v7, v6 quad_perm:[1,0,3,2] row_mask:0xf bank_mask:0xf
	v_add_f32_e32 v6, v6, v7
	s_nop 1
	v_mov_b32_dpp v7, v6 quad_perm:[2,3,0,1] row_mask:0xf bank_mask:0xf
	v_add_f32_e32 v6, v6, v7
	s_nop 1
	v_mov_b32_dpp v7, v6 row_half_mirror row_mask:0xf bank_mask:0xf
	v_add_f32_e32 v6, v6, v7
	s_nop 1
	v_mov_b32_dpp v7, v6 row_mirror row_mask:0xf bank_mask:0xf
	v_add_f32_e32 v6, v6, v7
	s_nop 1
	v_mov_b32_dpp v7, v6 row_bcast:15 row_mask:0xf bank_mask:0xf
	v_add_f32_e32 v6, v6, v7
	s_nop 1
	v_mov_b32_dpp v7, v6 row_bcast:31 row_mask:0xf bank_mask:0xf
	v_add_f32_e32 v6, v6, v7
	v_mbcnt_lo_u32_b32 v7, -1, 0
	v_mbcnt_hi_u32_b32 v7, -1, v7
	v_lshl_or_b32 v18, v7, 2, v8
	ds_bpermute_b32 v6, v18, v6
	s_and_saveexec_b64 s[10:11], s[0:1]
	s_cbranch_execz .LBB227_7
; %bb.6:
	v_cvt_f32_u32_e32 v7, s7
	v_mov_b32_e32 v8, s13
	v_mov_b32_e32 v9, s12
	v_cndmask_b32_e32 v8, v8, v9, vcc
	s_waitcnt lgkmcnt(0)
	v_div_scale_f32 v19, s[20:21], v7, v7, v6
	v_rcp_f32_e32 v20, v19
	v_div_scale_f32 v9, vcc, v6, v7, v6
	s_mov_b32 s7, 0x800000
	v_fma_f32 v21, -v19, v20, 1.0
	v_fmac_f32_e32 v20, v21, v20
	v_mul_f32_e32 v21, v9, v20
	v_fma_f32 v22, -v19, v21, v9
	v_fmac_f32_e32 v21, v22, v20
	v_fma_f32 v9, -v19, v21, v9
	v_div_fmas_f32 v9, v9, v20, v21
	v_div_fixup_f32 v6, v9, v7, v6
	v_add_f32_e32 v6, v8, v6
	v_mul_f32_e32 v7, 0x4b800000, v6
	v_cmp_gt_f32_e32 vcc, s7, v6
	v_cndmask_b32_e32 v6, v6, v7, vcc
	v_rsq_f32_e32 v6, v6
	s_waitcnt vmcnt(0)
	v_cvt_f32_f16_sdwa v21, v3 dst_sel:DWORD dst_unused:UNUSED_PAD src0_sel:WORD_1
	v_cvt_f32_f16_e32 v20, v3
	v_mul_f32_e32 v7, 0x45800000, v6
	v_cndmask_b32_e32 v6, v6, v7, vcc
	v_mov_b32_e32 v7, v6
	;;#ASMSTART
	v_pk_mul_f32 v[8:9], v[10:11], v[6:7]
	;;#ASMEND
	v_cvt_f32_f16_sdwa v11, v2 dst_sel:DWORD dst_unused:UNUSED_PAD src0_sel:WORD_1
	v_cvt_f32_f16_e32 v10, v2
	;;#ASMSTART
	v_pk_mul_f32 v[16:17], v[16:17], v[6:7]
	;;#ASMEND
	;;#ASMSTART
	v_pk_mul_f32 v[14:15], v[14:15], v[6:7]
	;;#ASMEND
	;; [unrolled: 3-line block ×3, first 2 shown]
	v_pk_add_f32 v[6:7], v[10:11], 1.0 op_sel_hi:[1,0]
	;;#ASMSTART
	v_pk_mul_f32 v[10:11], v[8:9], v[6:7]
	;;#ASMEND
	v_cvt_f32_f16_sdwa v9, v4 dst_sel:DWORD dst_unused:UNUSED_PAD src0_sel:WORD_1
	v_cvt_f32_f16_e32 v8, v4
	v_cvt_f32_f16_sdwa v13, v5 dst_sel:DWORD dst_unused:UNUSED_PAD src0_sel:WORD_1
	v_cvt_f32_f16_e32 v12, v5
	v_pk_add_f32 v[6:7], v[20:21], 1.0 op_sel_hi:[1,0]
	v_pk_add_f32 v[4:5], v[8:9], 1.0 op_sel_hi:[1,0]
	;;#ASMSTART
	v_pk_mul_f32 v[16:17], v[16:17], v[6:7]
	;;#ASMEND
	;;#ASMSTART
	v_pk_mul_f32 v[14:15], v[14:15], v[4:5]
	;;#ASMEND
	v_pk_add_f32 v[4:5], v[12:13], 1.0 op_sel_hi:[1,0]
	;;#ASMSTART
	v_pk_mul_f32 v[12:13], v[2:3], v[4:5]
	;;#ASMEND
.LBB227_7:
	s_or_b64 exec, exec, s[10:11]
	s_load_dword s7, s[4:5], 0x80
	s_mov_b64 s[10:11], -1
	s_and_b64 vcc, exec, s[2:3]
	s_cbranch_vccnz .LBB227_11
; %bb.8:
	s_andn2_b64 vcc, exec, s[10:11]
	s_cbranch_vccz .LBB227_14
.LBB227_9:
	s_cmp_lt_i32 s16, 1
	s_cbranch_scc0 .LBB227_23
.LBB227_10:
	s_endpgm
.LBB227_11:
	s_and_saveexec_b64 s[2:3], s[0:1]
	s_cbranch_execz .LBB227_13
; %bb.12:
	s_waitcnt lgkmcnt(0)
	s_mul_hi_i32 s11, s7, s6
	s_mul_i32 s10, s7, s6
	s_waitcnt vmcnt(0)
	v_cvt_f16_f32_e32 v2, v10
	v_cvt_f16_f32_e32 v3, v16
	;; [unrolled: 1-line block ×8, first 2 shown]
	s_lshl_b64 s[10:11], s[10:11], 1
	s_add_u32 s20, s28, s10
	s_addc_u32 s10, s29, s11
	s_and_b32 s21, s10, 0xffff
	s_mov_b32 s23, 0x20000
	v_pack_b32_f16 v5, v5, v6
	v_pack_b32_f16 v4, v4, v7
	;; [unrolled: 1-line block ×4, first 2 shown]
	v_lshlrev_b32_e32 v6, 4, v0
	buffer_store_dwordx4 v[2:5], v6, s[20:23], 0 offen
	;;#ASMSTART
	s_nop 0
	;;#ASMEND
.LBB227_13:
	s_or_b64 exec, exec, s[2:3]
	s_cbranch_execnz .LBB227_9
.LBB227_14:
	s_load_dwordx4 s[24:27], s[4:5], 0x70
	s_waitcnt vmcnt(0)
	v_mov_b32_e32 v2, 0
	s_and_saveexec_b64 s[2:3], s[0:1]
	s_cbranch_execz .LBB227_16
; %bb.15:
	s_load_dwordx2 s[10:11], s[4:5], 0x10
	s_waitcnt lgkmcnt(0)
	s_mul_hi_i32 s21, s27, s6
	s_mul_i32 s20, s27, s6
	v_cvt_f16_f32_e32 v2, v10
	v_cvt_f16_f32_e32 v3, v16
	;; [unrolled: 1-line block ×8, first 2 shown]
	s_lshl_b64 s[20:21], s[20:21], 1
	s_add_u32 s20, s10, s20
	s_addc_u32 s10, s11, s21
	s_mov_b32 s23, 0x20000
	s_and_b32 s21, s10, 0xffff
	v_pack_b32_f16 v5, v5, v6
	v_pack_b32_f16 v4, v4, v7
	;; [unrolled: 1-line block ×4, first 2 shown]
	v_lshlrev_b32_e32 v6, 4, v0
	buffer_store_dwordx4 v[2:5], v6, s[20:23], 0 offen
	;;#ASMSTART
	s_nop 0
	;;#ASMEND
	s_nop 0
	v_mov_b32_e32 v2, 0x2edbe6ff
.LBB227_16:
	s_or_b64 exec, exec, s[2:3]
	s_and_saveexec_b64 s[2:3], s[0:1]
	s_cbranch_execz .LBB227_18
; %bb.17:
	v_and_b32_e32 v3, 0x7fffffff, v10
	v_and_b32_e32 v4, 0x7fffffff, v11
	;;#ASMSTART
	v_max3_f32 v2, v2, v3, v4

	;;#ASMEND
	v_and_b32_e32 v3, 0x7fffffff, v16
	v_and_b32_e32 v4, 0x7fffffff, v17
	;;#ASMSTART
	v_max3_f32 v2, v2, v3, v4

	;;#ASMEND
	;; [unrolled: 6-line block ×4, first 2 shown]
.LBB227_18:
	s_or_b64 exec, exec, s[2:3]
	;;#ASMSTART
	v_max_f32 v3, v2, v2 quad_perm:[1,0,3,2] row_mask:0xf bank_mask:0xf bound_ctrl:1
	;;#ASMEND
	;;#ASMSTART
	v_max_f32 v2, v3, v3 quad_perm:[2,3,0,1] row_mask:0xf bank_mask:0xf bound_ctrl:1
	;;#ASMEND
	v_and_b32_e32 v3, 3, v0
	v_cmp_eq_u32_e32 vcc, 0, v3
	v_cmp_gt_i32_e64 s[2:3], s15, v1
	s_and_b64 s[10:11], vcc, s[2:3]
	s_and_saveexec_b64 s[2:3], s[10:11]
	s_cbranch_execz .LBB227_20
; %bb.19:
	s_load_dwordx2 s[10:11], s[4:5], 0x8
	v_mul_f32_e32 v2, 0x3e2aaaab, v2
	v_lshrrev_b32_e32 v3, 23, v2
	v_and_b32_e32 v4, 0x7f800000, v2
	v_and_b32_e32 v2, 0x7fffff, v2
	v_cmp_ne_u32_e32 vcc, 0, v2
	s_waitcnt lgkmcnt(0)
	s_mul_i32 s17, s25, s6
	s_mov_b32 s12, 0x7f800000
	v_addc_co_u32_e32 v2, vcc, 0, v3, vcc
	s_mul_hi_i32 s14, s25, s6
	s_add_u32 s10, s10, s17
	v_cmp_ne_u32_e32 vcc, s12, v4
	s_addc_u32 s11, s11, s14
	v_lshrrev_b32_e32 v5, 2, v0
	v_cndmask_b32_e32 v4, -1, v2, vcc
	v_pk_mov_b32 v[2:3], s[10:11], s[10:11] op_sel:[0,1]
	v_mad_i64_i32 v[2:3], s[10:11], s26, v5, v[2:3]
	global_store_byte v[2:3], v4, off
.LBB227_20:
	s_or_b64 exec, exec, s[2:3]
	s_and_saveexec_b64 s[2:3], s[0:1]
	s_cbranch_execz .LBB227_22
; %bb.21:
	s_load_dwordx2 s[0:1], s[4:5], 0x0
	s_waitcnt lgkmcnt(0)
	s_mul_i32 s11, s24, s6
	s_mul_hi_i32 s10, s24, s6
	v_lshlrev_b32_e32 v2, 2, v0
	s_mov_b32 s23, 0x20000
	s_add_u32 s20, s0, s11
	s_addc_u32 s0, s1, s10
	s_lshr_b32 s1, s15, 31
	s_add_i32 s1, s15, s1
	s_ashr_i32 s1, s1, 1
	s_add_i32 s1, s1, 3
	s_ashr_i32 s10, s1, 31
	s_lshr_b32 s10, s10, 30
	s_add_i32 s1, s1, s10
	s_and_b32 s22, s1, -4
	s_and_b32 s21, s0, 0xffff
	v_mov_b32_e32 v3, 0
	buffer_store_dword v3, v2, s[20:23], 0 offen
	;;#ASMSTART
	s_nop 0
	;;#ASMEND
.LBB227_22:
	s_or_b64 exec, exec, s[2:3]
	s_cmp_lt_i32 s16, 1
	s_cbranch_scc1 .LBB227_10
.LBB227_23:
	s_load_dword s0, s[4:5], 0x94
	s_waitcnt lgkmcnt(0)
	s_cmp_lg_u32 s0, 1
	s_cbranch_scc1 .LBB227_10
; %bb.24:
	s_lshl_b32 s0, s16, 1
	s_add_i32 s0, s0, 2
	v_cmp_gt_u32_e32 vcc, s16, v1
	s_and_b32 s10, s0, -4
	v_mov_b32_e32 v8, 0
	v_lshlrev_b32_e32 v16, 4, v0
	s_waitcnt vmcnt(0)
	v_mov_b32_e32 v4, 0
	v_mov_b32_e32 v5, 0
	v_mov_b32_e32 v6, 0
	v_mov_b32_e32 v7, 0
	v_mov_b32_e32 v0, 0
	v_mov_b32_e32 v1, 0
	v_mov_b32_e32 v2, 0
	v_mov_b32_e32 v3, 0
	s_barrier
	s_and_saveexec_b64 s[0:1], vcc
	s_cbranch_execz .LBB227_26
; %bb.25:
	s_mul_hi_i32 s3, s18, s6
	s_mul_i32 s2, s18, s6
	s_and_b32 s9, s9, 0xffff
	s_lshl_b64 s[2:3], s[2:3], 1
	s_add_u32 s20, s30, s2
	s_mov_b32 s11, 0x20000
	s_addc_u32 s2, s31, s3
	s_and_b32 s21, s2, 0xffff
	s_mov_b32 s22, s10
	s_mov_b32 s23, s11
	buffer_load_dwordx4 v[4:7], v16, s[20:23], 0 offen glc slc
	buffer_load_dwordx4 v[0:3], v16, s[8:11], 0 offen
.LBB227_26:
	s_or_b64 exec, exec, s[0:1]
	v_mov_b32_e32 v9, 0
	v_mov_b32_e32 v12, 0
	v_mov_b32_e32 v13, 0
	v_mov_b32_e32 v14, 0
	v_mov_b32_e32 v15, 0
	v_mov_b32_e32 v10, 0
	v_mov_b32_e32 v11, 0
	s_and_saveexec_b64 s[0:1], vcc
	s_cbranch_execz .LBB227_28
; %bb.27:
	s_waitcnt vmcnt(1)
	v_cvt_f32_f16_sdwa v9, v4 dst_sel:DWORD dst_unused:UNUSED_PAD src0_sel:WORD_1
	v_cvt_f32_f16_e32 v8, v4
	v_cvt_f32_f16_sdwa v13, v5 dst_sel:DWORD dst_unused:UNUSED_PAD src0_sel:WORD_1
	v_cvt_f32_f16_e32 v12, v5
	;; [unrolled: 2-line block ×4, first 2 shown]
.LBB227_28:
	s_or_b64 exec, exec, s[0:1]
	s_waitcnt vmcnt(1)
	v_mul_f32_e32 v4, v9, v9
	v_fmac_f32_e32 v4, v8, v8
	v_fmac_f32_e32 v4, v12, v12
	;; [unrolled: 1-line block ×7, first 2 shown]
	s_nop 1
	v_mov_b32_dpp v5, v4 quad_perm:[1,0,3,2] row_mask:0xf bank_mask:0xf
	v_add_f32_e32 v4, v4, v5
	s_nop 1
	v_mov_b32_dpp v5, v4 quad_perm:[2,3,0,1] row_mask:0xf bank_mask:0xf
	v_add_f32_e32 v4, v4, v5
	s_nop 1
	v_mov_b32_dpp v5, v4 row_half_mirror row_mask:0xf bank_mask:0xf
	v_add_f32_e32 v4, v4, v5
	s_nop 1
	v_mov_b32_dpp v5, v4 row_mirror row_mask:0xf bank_mask:0xf
	v_add_f32_e32 v4, v4, v5
	s_nop 1
	v_mov_b32_dpp v5, v4 row_bcast:15 row_mask:0xf bank_mask:0xf
	v_add_f32_e32 v4, v4, v5
	s_nop 1
	v_mov_b32_dpp v5, v4 row_bcast:31 row_mask:0xf bank_mask:0xf
	v_add_f32_e32 v4, v4, v5
	ds_bpermute_b32 v4, v18, v4
	s_and_saveexec_b64 s[0:1], vcc
	s_cbranch_execz .LBB227_10
; %bb.29:
	v_cvt_f32_u32_e32 v5, s16
	s_mov_b32 s11, 0x20000
	s_waitcnt lgkmcnt(0)
	v_div_scale_f32 v6, s[0:1], v5, v5, v4
	v_rcp_f32_e32 v7, v6
	v_div_scale_f32 v17, vcc, v4, v5, v4
	s_mov_b32 s0, 0x800000
	v_fma_f32 v18, -v6, v7, 1.0
	v_fmac_f32_e32 v7, v18, v7
	v_mul_f32_e32 v18, v17, v7
	v_fma_f32 v19, -v6, v18, v17
	v_fmac_f32_e32 v18, v19, v7
	v_fma_f32 v6, -v6, v18, v17
	v_div_fmas_f32 v6, v6, v7, v18
	v_div_fixup_f32 v4, v6, v5, v4
	v_add_f32_e32 v4, s13, v4
	v_mul_f32_e32 v5, 0x4b800000, v4
	v_cmp_gt_f32_e32 vcc, s0, v4
	v_cndmask_b32_e32 v4, v4, v5, vcc
	v_rsq_f32_e32 v4, v4
	s_waitcnt vmcnt(0)
	v_cvt_f32_f16_sdwa v5, v0 dst_sel:DWORD dst_unused:UNUSED_PAD src0_sel:WORD_1
	v_cvt_f32_f16_sdwa v19, v1 dst_sel:DWORD dst_unused:UNUSED_PAD src0_sel:WORD_1
	v_cvt_f32_f16_e32 v18, v1
	v_mul_f32_e32 v6, 0x45800000, v4
	v_cndmask_b32_e32 v6, v4, v6, vcc
	v_cvt_f32_f16_e32 v4, v0
	v_mov_b32_e32 v7, v6
	;;#ASMSTART
	v_pk_mul_f32 v[8:9], v[8:9], v[6:7]
	;;#ASMEND
	;;#ASMSTART
	v_pk_mul_f32 v[12:13], v[12:13], v[6:7]
	;;#ASMEND
	v_pk_add_f32 v[4:5], v[4:5], 1.0 op_sel_hi:[1,0]
	;;#ASMSTART
	v_pk_mul_f32 v[14:15], v[14:15], v[6:7]
	;;#ASMEND
	;;#ASMSTART
	v_pk_mul_f32 v[0:1], v[10:11], v[6:7]
	;;#ASMEND
	;; [unrolled: 3-line block ×3, first 2 shown]
	v_cvt_f32_f16_sdwa v9, v2 dst_sel:DWORD dst_unused:UNUSED_PAD src0_sel:WORD_1
	v_cvt_f32_f16_e32 v8, v2
	v_cvt_f32_f16_sdwa v11, v3 dst_sel:DWORD dst_unused:UNUSED_PAD src0_sel:WORD_1
	v_cvt_f32_f16_e32 v10, v3
	v_pk_add_f32 v[6:7], v[18:19], 1.0 op_sel_hi:[1,0]
	;;#ASMSTART
	v_pk_mul_f32 v[2:3], v[12:13], v[6:7]
	;;#ASMEND
	v_pk_add_f32 v[6:7], v[8:9], 1.0 op_sel_hi:[1,0]
	;;#ASMSTART
	v_pk_mul_f32 v[6:7], v[14:15], v[6:7]
	;;#ASMEND
	v_pk_add_f32 v[8:9], v[10:11], 1.0 op_sel_hi:[1,0]
	;;#ASMSTART
	v_pk_mul_f32 v[0:1], v[0:1], v[8:9]
	;;#ASMEND
	s_mul_hi_i32 s1, s7, s6
	s_mul_i32 s0, s7, s6
	v_cvt_f16_f32_e32 v4, v4
	v_cvt_f16_f32_e32 v5, v5
	;; [unrolled: 1-line block ×8, first 2 shown]
	s_lshl_b64 s[0:1], s[0:1], 1
	s_add_u32 s8, s28, s0
	s_addc_u32 s0, s29, s1
	s_and_b32 s9, s0, 0xffff
	v_pack_b32_f16 v0, v4, v5
	v_pack_b32_f16 v1, v2, v3
	;; [unrolled: 1-line block ×4, first 2 shown]
	buffer_store_dwordx4 v[0:3], v16, s[8:11], 0 offen
	;;#ASMSTART
	s_nop 0
	;;#ASMEND
	s_endpgm
	.section	.rodata,"a",@progbits
	.p2align	6, 0x0
	.amdhsa_kernel _ZN5aiter35fused_qk_rmsnorm_group_quant_kernelIDF16_N4opus5fp4_tELi64ELi8ELi4ELb0ELb1ELb1ELb0ELb0ELb0EEEvPT0_PvPT_S7_S7_PKS6_S9_S9_S9_S9_ffiiiiiiiiiiiii
		.amdhsa_group_segment_fixed_size 0
		.amdhsa_private_segment_fixed_size 0
		.amdhsa_kernarg_size 400
		.amdhsa_user_sgpr_count 6
		.amdhsa_user_sgpr_private_segment_buffer 1
		.amdhsa_user_sgpr_dispatch_ptr 0
		.amdhsa_user_sgpr_queue_ptr 0
		.amdhsa_user_sgpr_kernarg_segment_ptr 1
		.amdhsa_user_sgpr_dispatch_id 0
		.amdhsa_user_sgpr_flat_scratch_init 0
		.amdhsa_user_sgpr_kernarg_preload_length 0
		.amdhsa_user_sgpr_kernarg_preload_offset 0
		.amdhsa_user_sgpr_private_segment_size 0
		.amdhsa_uses_dynamic_stack 0
		.amdhsa_system_sgpr_private_segment_wavefront_offset 0
		.amdhsa_system_sgpr_workgroup_id_x 1
		.amdhsa_system_sgpr_workgroup_id_y 1
		.amdhsa_system_sgpr_workgroup_id_z 0
		.amdhsa_system_sgpr_workgroup_info 0
		.amdhsa_system_vgpr_workitem_id 0
		.amdhsa_next_free_vgpr 23
		.amdhsa_next_free_sgpr 32
		.amdhsa_accum_offset 24
		.amdhsa_reserve_vcc 1
		.amdhsa_reserve_flat_scratch 0
		.amdhsa_float_round_mode_32 0
		.amdhsa_float_round_mode_16_64 0
		.amdhsa_float_denorm_mode_32 3
		.amdhsa_float_denorm_mode_16_64 3
		.amdhsa_dx10_clamp 1
		.amdhsa_ieee_mode 1
		.amdhsa_fp16_overflow 0
		.amdhsa_tg_split 0
		.amdhsa_exception_fp_ieee_invalid_op 0
		.amdhsa_exception_fp_denorm_src 0
		.amdhsa_exception_fp_ieee_div_zero 0
		.amdhsa_exception_fp_ieee_overflow 0
		.amdhsa_exception_fp_ieee_underflow 0
		.amdhsa_exception_fp_ieee_inexact 0
		.amdhsa_exception_int_div_zero 0
	.end_amdhsa_kernel
	.section	.text._ZN5aiter35fused_qk_rmsnorm_group_quant_kernelIDF16_N4opus5fp4_tELi64ELi8ELi4ELb0ELb1ELb1ELb0ELb0ELb0EEEvPT0_PvPT_S7_S7_PKS6_S9_S9_S9_S9_ffiiiiiiiiiiiii,"axG",@progbits,_ZN5aiter35fused_qk_rmsnorm_group_quant_kernelIDF16_N4opus5fp4_tELi64ELi8ELi4ELb0ELb1ELb1ELb0ELb0ELb0EEEvPT0_PvPT_S7_S7_PKS6_S9_S9_S9_S9_ffiiiiiiiiiiiii,comdat
.Lfunc_end227:
	.size	_ZN5aiter35fused_qk_rmsnorm_group_quant_kernelIDF16_N4opus5fp4_tELi64ELi8ELi4ELb0ELb1ELb1ELb0ELb0ELb0EEEvPT0_PvPT_S7_S7_PKS6_S9_S9_S9_S9_ffiiiiiiiiiiiii, .Lfunc_end227-_ZN5aiter35fused_qk_rmsnorm_group_quant_kernelIDF16_N4opus5fp4_tELi64ELi8ELi4ELb0ELb1ELb1ELb0ELb0ELb0EEEvPT0_PvPT_S7_S7_PKS6_S9_S9_S9_S9_ffiiiiiiiiiiiii
                                        ; -- End function
	.section	.AMDGPU.csdata,"",@progbits
; Kernel info:
; codeLenInByte = 2376
; NumSgprs: 36
; NumVgprs: 23
; NumAgprs: 0
; TotalNumVgprs: 23
; ScratchSize: 0
; MemoryBound: 0
; FloatMode: 240
; IeeeMode: 1
; LDSByteSize: 0 bytes/workgroup (compile time only)
; SGPRBlocks: 4
; VGPRBlocks: 2
; NumSGPRsForWavesPerEU: 36
; NumVGPRsForWavesPerEU: 23
; AccumOffset: 24
; Occupancy: 8
; WaveLimiterHint : 0
; COMPUTE_PGM_RSRC2:SCRATCH_EN: 0
; COMPUTE_PGM_RSRC2:USER_SGPR: 6
; COMPUTE_PGM_RSRC2:TRAP_HANDLER: 0
; COMPUTE_PGM_RSRC2:TGID_X_EN: 1
; COMPUTE_PGM_RSRC2:TGID_Y_EN: 1
; COMPUTE_PGM_RSRC2:TGID_Z_EN: 0
; COMPUTE_PGM_RSRC2:TIDIG_COMP_CNT: 0
; COMPUTE_PGM_RSRC3_GFX90A:ACCUM_OFFSET: 5
; COMPUTE_PGM_RSRC3_GFX90A:TG_SPLIT: 0
	.section	.text._ZN5aiter35fused_qk_rmsnorm_group_quant_kernelItN4opus5fp4_tELi64ELi8ELi4ELb0ELb1ELb1ELb0ELb0ELb0EEEvPT0_PvPT_S7_S7_PKS6_S9_S9_S9_S9_ffiiiiiiiiiiiii,"axG",@progbits,_ZN5aiter35fused_qk_rmsnorm_group_quant_kernelItN4opus5fp4_tELi64ELi8ELi4ELb0ELb1ELb1ELb0ELb0ELb0EEEvPT0_PvPT_S7_S7_PKS6_S9_S9_S9_S9_ffiiiiiiiiiiiii,comdat
	.protected	_ZN5aiter35fused_qk_rmsnorm_group_quant_kernelItN4opus5fp4_tELi64ELi8ELi4ELb0ELb1ELb1ELb0ELb0ELb0EEEvPT0_PvPT_S7_S7_PKS6_S9_S9_S9_S9_ffiiiiiiiiiiiii ; -- Begin function _ZN5aiter35fused_qk_rmsnorm_group_quant_kernelItN4opus5fp4_tELi64ELi8ELi4ELb0ELb1ELb1ELb0ELb0ELb0EEEvPT0_PvPT_S7_S7_PKS6_S9_S9_S9_S9_ffiiiiiiiiiiiii
	.globl	_ZN5aiter35fused_qk_rmsnorm_group_quant_kernelItN4opus5fp4_tELi64ELi8ELi4ELb0ELb1ELb1ELb0ELb0ELb0EEEvPT0_PvPT_S7_S7_PKS6_S9_S9_S9_S9_ffiiiiiiiiiiiii
	.p2align	8
	.type	_ZN5aiter35fused_qk_rmsnorm_group_quant_kernelItN4opus5fp4_tELi64ELi8ELi4ELb0ELb1ELb1ELb0ELb0ELb0EEEvPT0_PvPT_S7_S7_PKS6_S9_S9_S9_S9_ffiiiiiiiiiiiii,@function
_ZN5aiter35fused_qk_rmsnorm_group_quant_kernelItN4opus5fp4_tELi64ELi8ELi4ELb0ELb1ELb1ELb0ELb0ELb0EEEvPT0_PvPT_S7_S7_PKS6_S9_S9_S9_S9_ffiiiiiiiiiiiii: ; @_ZN5aiter35fused_qk_rmsnorm_group_quant_kernelItN4opus5fp4_tELi64ELi8ELi4ELb0ELb1ELb1ELb0ELb0ELb0EEEvPT0_PvPT_S7_S7_PKS6_S9_S9_S9_S9_ffiiiiiiiiiiiii
; %bb.0:
	s_load_dwordx4 s[12:15], s[4:5], 0x50
	s_waitcnt lgkmcnt(0)
	s_cmp_ge_i32 s6, s14
	s_cbranch_scc1 .LBB228_8
; %bb.1:
	s_load_dwordx2 s[8:9], s[4:5], 0x48
	s_load_dwordx2 s[30:31], s[4:5], 0x30
	s_load_dwordx4 s[16:19], s[4:5], 0x60
	s_cmp_lg_u32 s7, 0
	s_cselect_b64 s[2:3], -1, 0
	s_cmp_eq_u32 s7, 0
	s_cselect_b64 vcc, -1, 0
	s_and_b64 s[0:1], vcc, exec
	s_waitcnt lgkmcnt(0)
	s_cselect_b32 s7, s15, s16
	s_add_i32 s0, s7, 1
	s_lshr_b32 s1, s0, 31
	s_add_i32 s0, s0, s1
	s_lshl_b32 s0, s0, 1
	v_lshlrev_b32_e32 v1, 3, v0
	s_and_b32 s22, s0, -4
	v_cmp_gt_i32_e64 s[0:1], s7, v1
	v_mov_b32_e32 v2, 0
	v_mov_b32_e32 v3, 0
	v_mov_b32_e32 v4, 0
	v_mov_b32_e32 v5, 0
	v_mov_b32_e32 v6, 0
	v_mov_b32_e32 v7, 0
	v_mov_b32_e32 v8, 0
	v_mov_b32_e32 v9, 0
	s_and_saveexec_b64 s[10:11], s[0:1]
	s_cbranch_execz .LBB228_3
; %bb.2:
	s_load_dwordx2 s[20:21], s[4:5], 0x28
	s_load_dwordx2 s[26:27], s[4:5], 0x40
	s_and_b64 s[24:25], vcc, exec
	s_cselect_b32 s14, s17, s18
	s_mov_b32 s23, 0x20000
	s_waitcnt lgkmcnt(0)
	s_cselect_b32 s17, s21, s31
	s_cselect_b32 s19, s20, s30
	s_mul_hi_i32 s21, s14, s6
	s_mul_i32 s20, s14, s6
	s_lshl_b64 s[20:21], s[20:21], 1
	s_add_u32 s24, s19, s20
	s_addc_u32 s14, s17, s21
	s_and_b64 s[20:21], vcc, exec
	s_cselect_b32 s20, s26, s8
	s_cselect_b32 s17, s27, s9
	v_lshlrev_b32_e32 v10, 4, v0
	s_and_b32 s25, s14, 0xffff
	s_mov_b32 s26, s22
	s_mov_b32 s27, s23
	s_and_b32 s21, s17, 0xffff
	buffer_load_dwordx4 v[6:9], v10, s[24:27], 0 offen glc slc
	buffer_load_dwordx4 v[2:5], v10, s[20:23], 0 offen
.LBB228_3:
	s_or_b64 exec, exec, s[10:11]
	s_waitcnt vmcnt(1)
	v_cvt_f32_u32_sdwa v11, v6 dst_sel:DWORD dst_unused:UNUSED_PAD src0_sel:WORD_1
	v_cvt_f32_u32_sdwa v10, v6 dst_sel:DWORD dst_unused:UNUSED_PAD src0_sel:WORD_0
	v_cvt_f32_u32_sdwa v6, v9 dst_sel:DWORD dst_unused:UNUSED_PAD src0_sel:WORD_1
	v_cvt_f32_u32_sdwa v9, v9 dst_sel:DWORD dst_unused:UNUSED_PAD src0_sel:WORD_0
	;; [unrolled: 2-line block ×4, first 2 shown]
	v_cndmask_b32_e64 v11, 0, v11, s[0:1]
	v_cndmask_b32_e64 v7, 0, v6, s[0:1]
	;; [unrolled: 1-line block ×5, first 2 shown]
	v_mul_f32_e32 v14, v11, v11
	v_cndmask_b32_e64 v12, 0, v12, s[0:1]
	v_fmac_f32_e32 v14, v10, v10
	v_cndmask_b32_e64 v13, 0, v13, s[0:1]
	v_fmac_f32_e32 v14, v12, v12
	;; [unrolled: 2-line block ×3, first 2 shown]
	v_fmac_f32_e32 v14, v8, v8
	v_fmac_f32_e32 v14, v9, v9
	;; [unrolled: 1-line block ×4, first 2 shown]
	v_bfrev_b32_e32 v16, 0.5
	s_load_dwordx2 s[28:29], s[4:5], 0x18
	v_mov_b32_dpp v15, v14 quad_perm:[1,0,3,2] row_mask:0xf bank_mask:0xf
	v_add_f32_e32 v14, v14, v15
	s_nop 1
	v_mov_b32_dpp v15, v14 quad_perm:[2,3,0,1] row_mask:0xf bank_mask:0xf
	v_add_f32_e32 v14, v14, v15
	s_nop 1
	v_mov_b32_dpp v15, v14 row_half_mirror row_mask:0xf bank_mask:0xf
	v_add_f32_e32 v14, v14, v15
	s_nop 1
	v_mov_b32_dpp v15, v14 row_mirror row_mask:0xf bank_mask:0xf
	v_add_f32_e32 v14, v14, v15
	s_nop 1
	v_mov_b32_dpp v15, v14 row_bcast:15 row_mask:0xf bank_mask:0xf
	v_add_f32_e32 v14, v14, v15
	s_nop 1
	v_mov_b32_dpp v15, v14 row_bcast:31 row_mask:0xf bank_mask:0xf
	v_add_f32_e32 v15, v14, v15
	v_mbcnt_lo_u32_b32 v14, -1, 0
	v_mbcnt_hi_u32_b32 v14, -1, v14
	v_lshl_or_b32 v14, v14, 2, v16
	ds_bpermute_b32 v15, v14, v15
	s_and_saveexec_b64 s[10:11], s[0:1]
	s_cbranch_execz .LBB228_5
; %bb.4:
	v_cvt_f32_u32_e32 v16, s7
	v_mov_b32_e32 v17, s13
	v_mov_b32_e32 v18, s12
	v_cndmask_b32_e32 v17, v17, v18, vcc
	s_waitcnt lgkmcnt(0)
	v_div_scale_f32 v19, s[20:21], v16, v16, v15
	v_rcp_f32_e32 v20, v19
	v_div_scale_f32 v18, vcc, v15, v16, v15
	s_mov_b32 s7, 0x800000
	v_fma_f32 v21, -v19, v20, 1.0
	v_fmac_f32_e32 v20, v21, v20
	v_mul_f32_e32 v21, v18, v20
	v_fma_f32 v22, -v19, v21, v18
	v_fmac_f32_e32 v21, v22, v20
	v_fma_f32 v18, -v19, v21, v18
	v_div_fmas_f32 v18, v18, v20, v21
	v_div_fixup_f32 v15, v18, v16, v15
	v_add_f32_e32 v15, v17, v15
	v_mul_f32_e32 v16, 0x4b800000, v15
	v_cmp_gt_f32_e32 vcc, s7, v15
	v_cndmask_b32_e32 v15, v15, v16, vcc
	v_rsq_f32_e32 v15, v15
	s_waitcnt vmcnt(0)
	v_cvt_f32_u32_sdwa v19, v2 dst_sel:DWORD dst_unused:UNUSED_PAD src0_sel:WORD_1
	v_cvt_f32_u32_sdwa v18, v2 dst_sel:DWORD dst_unused:UNUSED_PAD src0_sel:WORD_0
	v_cvt_f32_u32_sdwa v21, v3 dst_sel:DWORD dst_unused:UNUSED_PAD src0_sel:WORD_1
	v_mul_f32_e32 v16, 0x45800000, v15
	v_cndmask_b32_e32 v16, v15, v16, vcc
	v_mov_b32_e32 v17, v16
	;;#ASMSTART
	v_pk_mul_f32 v[10:11], v[10:11], v[16:17]
	;;#ASMEND
	;;#ASMSTART
	v_pk_mul_f32 v[12:13], v[12:13], v[16:17]
	;;#ASMEND
	;; [unrolled: 3-line block ×3, first 2 shown]
	v_cvt_f32_u32_sdwa v20, v3 dst_sel:DWORD dst_unused:UNUSED_PAD src0_sel:WORD_0
	;;#ASMSTART
	v_pk_mul_f32 v[2:3], v[6:7], v[16:17]
	;;#ASMEND
	v_cvt_f32_u32_sdwa v17, v4 dst_sel:DWORD dst_unused:UNUSED_PAD src0_sel:WORD_1
	v_cvt_f32_u32_sdwa v16, v4 dst_sel:DWORD dst_unused:UNUSED_PAD src0_sel:WORD_0
	v_pk_add_f32 v[6:7], v[18:19], 1.0 op_sel_hi:[1,0]
	v_cvt_f32_u32_sdwa v19, v5 dst_sel:DWORD dst_unused:UNUSED_PAD src0_sel:WORD_1
	v_cvt_f32_u32_sdwa v18, v5 dst_sel:DWORD dst_unused:UNUSED_PAD src0_sel:WORD_0
	;;#ASMSTART
	v_pk_mul_f32 v[10:11], v[10:11], v[6:7]
	;;#ASMEND
	v_pk_add_f32 v[6:7], v[20:21], 1.0 op_sel_hi:[1,0]
	v_pk_add_f32 v[4:5], v[16:17], 1.0 op_sel_hi:[1,0]
	;;#ASMSTART
	v_pk_mul_f32 v[12:13], v[12:13], v[6:7]
	;;#ASMEND
	;;#ASMSTART
	v_pk_mul_f32 v[8:9], v[8:9], v[4:5]
	;;#ASMEND
	v_pk_add_f32 v[4:5], v[18:19], 1.0 op_sel_hi:[1,0]
	;;#ASMSTART
	v_pk_mul_f32 v[6:7], v[2:3], v[4:5]
	;;#ASMEND
.LBB228_5:
	s_or_b64 exec, exec, s[10:11]
	s_load_dword s7, s[4:5], 0x80
	s_mov_b64 s[10:11], -1
	s_and_b64 vcc, exec, s[2:3]
	s_cbranch_vccnz .LBB228_9
; %bb.6:
	s_andn2_b64 vcc, exec, s[10:11]
	s_cbranch_vccz .LBB228_12
.LBB228_7:
	s_cmp_lt_i32 s16, 1
	s_cbranch_scc0 .LBB228_21
.LBB228_8:
	s_endpgm
.LBB228_9:
	s_and_saveexec_b64 s[2:3], s[0:1]
	s_cbranch_execz .LBB228_11
; %bb.10:
	s_waitcnt lgkmcnt(0)
	s_mul_hi_i32 s11, s7, s6
	s_mul_i32 s10, s7, s6
	s_lshl_b64 s[10:11], s[10:11], 1
	s_add_u32 s20, s28, s10
	s_addc_u32 s10, s29, s11
	s_and_b32 s21, s10, 0xffff
	s_mov_b32 s10, 0x7060302
	s_mov_b32 s23, 0x20000
	s_waitcnt vmcnt(0)
	v_perm_b32 v2, v11, v10, s10
	v_perm_b32 v3, v13, v12, s10
	v_perm_b32 v4, v9, v8, s10
	v_perm_b32 v5, v7, v6, s10
	v_lshlrev_b32_e32 v15, 4, v0
	buffer_store_dwordx4 v[2:5], v15, s[20:23], 0 offen
	;;#ASMSTART
	s_nop 0
	;;#ASMEND
.LBB228_11:
	s_or_b64 exec, exec, s[2:3]
	s_cbranch_execnz .LBB228_7
.LBB228_12:
	s_load_dwordx4 s[24:27], s[4:5], 0x70
	s_waitcnt vmcnt(0)
	v_mov_b32_e32 v2, 0
	s_and_saveexec_b64 s[2:3], s[0:1]
	s_cbranch_execz .LBB228_14
; %bb.13:
	s_load_dwordx2 s[10:11], s[4:5], 0x10
	s_waitcnt lgkmcnt(0)
	s_mul_hi_i32 s21, s27, s6
	s_mul_i32 s20, s27, s6
	s_lshl_b64 s[20:21], s[20:21], 1
	s_mov_b32 s23, 0x20000
	s_add_u32 s20, s10, s20
	s_addc_u32 s10, s11, s21
	s_and_b32 s21, s10, 0xffff
	s_mov_b32 s10, 0x7060302
	v_perm_b32 v2, v11, v10, s10
	v_perm_b32 v3, v13, v12, s10
	;; [unrolled: 1-line block ×4, first 2 shown]
	v_lshlrev_b32_e32 v15, 4, v0
	buffer_store_dwordx4 v[2:5], v15, s[20:23], 0 offen
	;;#ASMSTART
	s_nop 0
	;;#ASMEND
	s_nop 0
	v_mov_b32_e32 v2, 0x2edbe6ff
.LBB228_14:
	s_or_b64 exec, exec, s[2:3]
	s_and_saveexec_b64 s[2:3], s[0:1]
	s_cbranch_execz .LBB228_16
; %bb.15:
	v_and_b32_e32 v3, 0x7fffffff, v10
	v_and_b32_e32 v4, 0x7fffffff, v11
	;;#ASMSTART
	v_max3_f32 v2, v2, v3, v4

	;;#ASMEND
	v_and_b32_e32 v3, 0x7fffffff, v12
	v_and_b32_e32 v4, 0x7fffffff, v13
	;;#ASMSTART
	v_max3_f32 v2, v2, v3, v4

	;;#ASMEND
	;; [unrolled: 6-line block ×4, first 2 shown]
.LBB228_16:
	s_or_b64 exec, exec, s[2:3]
	;;#ASMSTART
	v_max_f32 v3, v2, v2 quad_perm:[1,0,3,2] row_mask:0xf bank_mask:0xf bound_ctrl:1
	;;#ASMEND
	;;#ASMSTART
	v_max_f32 v2, v3, v3 quad_perm:[2,3,0,1] row_mask:0xf bank_mask:0xf bound_ctrl:1
	;;#ASMEND
	v_and_b32_e32 v3, 3, v0
	v_cmp_eq_u32_e32 vcc, 0, v3
	v_cmp_gt_i32_e64 s[2:3], s15, v1
	s_and_b64 s[10:11], vcc, s[2:3]
	s_and_saveexec_b64 s[2:3], s[10:11]
	s_cbranch_execz .LBB228_18
; %bb.17:
	s_load_dwordx2 s[10:11], s[4:5], 0x8
	v_mul_f32_e32 v2, 0x3e2aaaab, v2
	v_lshrrev_b32_e32 v3, 23, v2
	v_and_b32_e32 v4, 0x7f800000, v2
	v_and_b32_e32 v2, 0x7fffff, v2
	v_cmp_ne_u32_e32 vcc, 0, v2
	s_waitcnt lgkmcnt(0)
	s_mul_i32 s17, s25, s6
	s_mov_b32 s12, 0x7f800000
	v_addc_co_u32_e32 v2, vcc, 0, v3, vcc
	s_mul_hi_i32 s14, s25, s6
	s_add_u32 s10, s10, s17
	v_cmp_ne_u32_e32 vcc, s12, v4
	s_addc_u32 s11, s11, s14
	v_lshrrev_b32_e32 v5, 2, v0
	v_cndmask_b32_e32 v4, -1, v2, vcc
	v_pk_mov_b32 v[2:3], s[10:11], s[10:11] op_sel:[0,1]
	v_mad_i64_i32 v[2:3], s[10:11], s26, v5, v[2:3]
	global_store_byte v[2:3], v4, off
.LBB228_18:
	s_or_b64 exec, exec, s[2:3]
	s_and_saveexec_b64 s[2:3], s[0:1]
	s_cbranch_execz .LBB228_20
; %bb.19:
	s_load_dwordx2 s[0:1], s[4:5], 0x0
	s_waitcnt lgkmcnt(0)
	s_mul_i32 s11, s24, s6
	s_mul_hi_i32 s10, s24, s6
	v_lshlrev_b32_e32 v2, 2, v0
	s_mov_b32 s23, 0x20000
	s_add_u32 s20, s0, s11
	s_addc_u32 s0, s1, s10
	s_lshr_b32 s1, s15, 31
	s_add_i32 s1, s15, s1
	s_ashr_i32 s1, s1, 1
	s_add_i32 s1, s1, 3
	s_ashr_i32 s10, s1, 31
	s_lshr_b32 s10, s10, 30
	s_add_i32 s1, s1, s10
	s_and_b32 s22, s1, -4
	s_and_b32 s21, s0, 0xffff
	v_mov_b32_e32 v3, 0
	buffer_store_dword v3, v2, s[20:23], 0 offen
	;;#ASMSTART
	s_nop 0
	;;#ASMEND
.LBB228_20:
	s_or_b64 exec, exec, s[2:3]
	s_cmp_lt_i32 s16, 1
	s_cbranch_scc1 .LBB228_8
.LBB228_21:
	s_load_dword s0, s[4:5], 0x94
	s_waitcnt lgkmcnt(0)
	s_cmp_lg_u32 s0, 1
	s_cbranch_scc1 .LBB228_8
; %bb.22:
	s_lshl_b32 s0, s16, 1
	s_add_i32 s0, s0, 2
	v_cmp_gt_u32_e32 vcc, s16, v1
	s_and_b32 s10, s0, -4
	s_waitcnt vmcnt(0)
	v_mov_b32_e32 v4, 0
	v_lshlrev_b32_e32 v12, 4, v0
	v_mov_b32_e32 v5, 0
	v_mov_b32_e32 v6, 0
	;; [unrolled: 1-line block ×7, first 2 shown]
	s_barrier
	s_and_saveexec_b64 s[0:1], vcc
	s_cbranch_execz .LBB228_24
; %bb.23:
	s_mul_hi_i32 s3, s18, s6
	s_mul_i32 s2, s18, s6
	s_and_b32 s9, s9, 0xffff
	s_lshl_b64 s[2:3], s[2:3], 1
	s_add_u32 s20, s30, s2
	s_mov_b32 s11, 0x20000
	s_addc_u32 s2, s31, s3
	s_and_b32 s21, s2, 0xffff
	s_mov_b32 s22, s10
	s_mov_b32 s23, s11
	buffer_load_dwordx4 v[4:7], v12, s[20:23], 0 offen glc slc
	buffer_load_dwordx4 v[0:3], v12, s[8:11], 0 offen
.LBB228_24:
	s_or_b64 exec, exec, s[0:1]
	s_waitcnt vmcnt(1)
	v_cvt_f32_u32_sdwa v11, v4 dst_sel:DWORD dst_unused:UNUSED_PAD src0_sel:WORD_1
	v_cvt_f32_u32_sdwa v10, v4 dst_sel:DWORD dst_unused:UNUSED_PAD src0_sel:WORD_0
	v_cvt_f32_u32_sdwa v4, v7 dst_sel:DWORD dst_unused:UNUSED_PAD src0_sel:WORD_1
	v_cvt_f32_u32_sdwa v7, v7 dst_sel:DWORD dst_unused:UNUSED_PAD src0_sel:WORD_0
	;; [unrolled: 2-line block ×4, first 2 shown]
	v_cndmask_b32_e32 v11, 0, v11, vcc
	v_cndmask_b32_e32 v5, 0, v4, vcc
	v_cndmask_b32_e32 v4, 0, v7, vcc
	v_cndmask_b32_e32 v7, 0, v13, vcc
	v_cndmask_b32_e32 v10, 0, v10, vcc
	v_mul_f32_e32 v13, v11, v11
	v_cndmask_b32_e32 v8, 0, v8, vcc
	v_fmac_f32_e32 v13, v10, v10
	v_cndmask_b32_e32 v9, 0, v9, vcc
	v_fmac_f32_e32 v13, v8, v8
	;; [unrolled: 2-line block ×3, first 2 shown]
	v_fmac_f32_e32 v13, v6, v6
	v_fmac_f32_e32 v13, v7, v7
	;; [unrolled: 1-line block ×4, first 2 shown]
	s_nop 1
	v_mov_b32_dpp v15, v13 quad_perm:[1,0,3,2] row_mask:0xf bank_mask:0xf
	v_add_f32_e32 v13, v13, v15
	s_nop 1
	v_mov_b32_dpp v15, v13 quad_perm:[2,3,0,1] row_mask:0xf bank_mask:0xf
	v_add_f32_e32 v13, v13, v15
	s_nop 1
	v_mov_b32_dpp v15, v13 row_half_mirror row_mask:0xf bank_mask:0xf
	v_add_f32_e32 v13, v13, v15
	s_nop 1
	v_mov_b32_dpp v15, v13 row_mirror row_mask:0xf bank_mask:0xf
	v_add_f32_e32 v13, v13, v15
	s_nop 1
	v_mov_b32_dpp v15, v13 row_bcast:15 row_mask:0xf bank_mask:0xf
	v_add_f32_e32 v13, v13, v15
	s_nop 1
	v_mov_b32_dpp v15, v13 row_bcast:31 row_mask:0xf bank_mask:0xf
	v_add_f32_e32 v13, v13, v15
	ds_bpermute_b32 v13, v14, v13
	s_and_saveexec_b64 s[0:1], vcc
	s_cbranch_execz .LBB228_8
; %bb.25:
	v_cvt_f32_u32_e32 v14, s16
	s_mov_b32 s11, 0x20000
	s_waitcnt lgkmcnt(0)
	v_div_scale_f32 v15, s[0:1], v14, v14, v13
	v_rcp_f32_e32 v16, v15
	v_div_scale_f32 v17, vcc, v13, v14, v13
	s_mov_b32 s0, 0x800000
	v_fma_f32 v18, -v15, v16, 1.0
	v_fmac_f32_e32 v16, v18, v16
	v_mul_f32_e32 v18, v17, v16
	v_fma_f32 v19, -v15, v18, v17
	v_fmac_f32_e32 v18, v19, v16
	v_fma_f32 v15, -v15, v18, v17
	v_div_fmas_f32 v15, v15, v16, v18
	v_div_fixup_f32 v13, v15, v14, v13
	v_add_f32_e32 v13, s13, v13
	v_mul_f32_e32 v14, 0x4b800000, v13
	v_cmp_gt_f32_e32 vcc, s0, v13
	v_cndmask_b32_e32 v13, v13, v14, vcc
	v_rsq_f32_e32 v13, v13
	s_waitcnt vmcnt(0)
	v_cvt_f32_u32_sdwa v15, v0 dst_sel:DWORD dst_unused:UNUSED_PAD src0_sel:WORD_1
	v_cvt_f32_u32_sdwa v19, v1 dst_sel:DWORD dst_unused:UNUSED_PAD src0_sel:WORD_1
	v_cvt_f32_u32_sdwa v18, v1 dst_sel:DWORD dst_unused:UNUSED_PAD src0_sel:WORD_0
	v_mul_f32_e32 v14, 0x45800000, v13
	v_cndmask_b32_e32 v16, v13, v14, vcc
	v_cvt_f32_u32_sdwa v14, v0 dst_sel:DWORD dst_unused:UNUSED_PAD src0_sel:WORD_0
	v_mov_b32_e32 v17, v16
	;;#ASMSTART
	v_pk_mul_f32 v[10:11], v[10:11], v[16:17]
	;;#ASMEND
	;;#ASMSTART
	v_pk_mul_f32 v[8:9], v[8:9], v[16:17]
	;;#ASMEND
	;; [unrolled: 3-line block ×4, first 2 shown]
	v_pk_add_f32 v[4:5], v[14:15], 1.0 op_sel_hi:[1,0]
	v_cvt_f32_u32_sdwa v15, v2 dst_sel:DWORD dst_unused:UNUSED_PAD src0_sel:WORD_1
	v_cvt_f32_u32_sdwa v14, v2 dst_sel:DWORD dst_unused:UNUSED_PAD src0_sel:WORD_0
	v_cvt_f32_u32_sdwa v17, v3 dst_sel:DWORD dst_unused:UNUSED_PAD src0_sel:WORD_1
	v_cvt_f32_u32_sdwa v16, v3 dst_sel:DWORD dst_unused:UNUSED_PAD src0_sel:WORD_0
	s_mul_hi_i32 s1, s7, s6
	s_mul_i32 s0, s7, s6
	s_lshl_b64 s[0:1], s[0:1], 1
	s_add_u32 s8, s28, s0
	;;#ASMSTART
	v_pk_mul_f32 v[4:5], v[10:11], v[4:5]
	;;#ASMEND
	v_pk_add_f32 v[10:11], v[18:19], 1.0 op_sel_hi:[1,0]
	;;#ASMSTART
	v_pk_mul_f32 v[2:3], v[8:9], v[10:11]
	;;#ASMEND
	v_pk_add_f32 v[8:9], v[14:15], 1.0 op_sel_hi:[1,0]
	s_addc_u32 s0, s29, s1
	;;#ASMSTART
	v_pk_mul_f32 v[6:7], v[6:7], v[8:9]
	;;#ASMEND
	v_pk_add_f32 v[8:9], v[16:17], 1.0 op_sel_hi:[1,0]
	s_and_b32 s9, s0, 0xffff
	s_mov_b32 s0, 0x7060302
	;;#ASMSTART
	v_pk_mul_f32 v[8:9], v[0:1], v[8:9]
	;;#ASMEND
	v_perm_b32 v0, v5, v4, s0
	v_perm_b32 v1, v3, v2, s0
	;; [unrolled: 1-line block ×4, first 2 shown]
	buffer_store_dwordx4 v[0:3], v12, s[8:11], 0 offen
	;;#ASMSTART
	s_nop 0
	;;#ASMEND
	s_endpgm
	.section	.rodata,"a",@progbits
	.p2align	6, 0x0
	.amdhsa_kernel _ZN5aiter35fused_qk_rmsnorm_group_quant_kernelItN4opus5fp4_tELi64ELi8ELi4ELb0ELb1ELb1ELb0ELb0ELb0EEEvPT0_PvPT_S7_S7_PKS6_S9_S9_S9_S9_ffiiiiiiiiiiiii
		.amdhsa_group_segment_fixed_size 0
		.amdhsa_private_segment_fixed_size 0
		.amdhsa_kernarg_size 400
		.amdhsa_user_sgpr_count 6
		.amdhsa_user_sgpr_private_segment_buffer 1
		.amdhsa_user_sgpr_dispatch_ptr 0
		.amdhsa_user_sgpr_queue_ptr 0
		.amdhsa_user_sgpr_kernarg_segment_ptr 1
		.amdhsa_user_sgpr_dispatch_id 0
		.amdhsa_user_sgpr_flat_scratch_init 0
		.amdhsa_user_sgpr_kernarg_preload_length 0
		.amdhsa_user_sgpr_kernarg_preload_offset 0
		.amdhsa_user_sgpr_private_segment_size 0
		.amdhsa_uses_dynamic_stack 0
		.amdhsa_system_sgpr_private_segment_wavefront_offset 0
		.amdhsa_system_sgpr_workgroup_id_x 1
		.amdhsa_system_sgpr_workgroup_id_y 1
		.amdhsa_system_sgpr_workgroup_id_z 0
		.amdhsa_system_sgpr_workgroup_info 0
		.amdhsa_system_vgpr_workitem_id 0
		.amdhsa_next_free_vgpr 23
		.amdhsa_next_free_sgpr 32
		.amdhsa_accum_offset 24
		.amdhsa_reserve_vcc 1
		.amdhsa_reserve_flat_scratch 0
		.amdhsa_float_round_mode_32 0
		.amdhsa_float_round_mode_16_64 0
		.amdhsa_float_denorm_mode_32 3
		.amdhsa_float_denorm_mode_16_64 3
		.amdhsa_dx10_clamp 1
		.amdhsa_ieee_mode 1
		.amdhsa_fp16_overflow 0
		.amdhsa_tg_split 0
		.amdhsa_exception_fp_ieee_invalid_op 0
		.amdhsa_exception_fp_denorm_src 0
		.amdhsa_exception_fp_ieee_div_zero 0
		.amdhsa_exception_fp_ieee_overflow 0
		.amdhsa_exception_fp_ieee_underflow 0
		.amdhsa_exception_fp_ieee_inexact 0
		.amdhsa_exception_int_div_zero 0
	.end_amdhsa_kernel
	.section	.text._ZN5aiter35fused_qk_rmsnorm_group_quant_kernelItN4opus5fp4_tELi64ELi8ELi4ELb0ELb1ELb1ELb0ELb0ELb0EEEvPT0_PvPT_S7_S7_PKS6_S9_S9_S9_S9_ffiiiiiiiiiiiii,"axG",@progbits,_ZN5aiter35fused_qk_rmsnorm_group_quant_kernelItN4opus5fp4_tELi64ELi8ELi4ELb0ELb1ELb1ELb0ELb0ELb0EEEvPT0_PvPT_S7_S7_PKS6_S9_S9_S9_S9_ffiiiiiiiiiiiii,comdat
.Lfunc_end228:
	.size	_ZN5aiter35fused_qk_rmsnorm_group_quant_kernelItN4opus5fp4_tELi64ELi8ELi4ELb0ELb1ELb1ELb0ELb0ELb0EEEvPT0_PvPT_S7_S7_PKS6_S9_S9_S9_S9_ffiiiiiiiiiiiii, .Lfunc_end228-_ZN5aiter35fused_qk_rmsnorm_group_quant_kernelItN4opus5fp4_tELi64ELi8ELi4ELb0ELb1ELb1ELb0ELb0ELb0EEEvPT0_PvPT_S7_S7_PKS6_S9_S9_S9_S9_ffiiiiiiiiiiiii
                                        ; -- End function
	.section	.AMDGPU.csdata,"",@progbits
; Kernel info:
; codeLenInByte = 2368
; NumSgprs: 36
; NumVgprs: 23
; NumAgprs: 0
; TotalNumVgprs: 23
; ScratchSize: 0
; MemoryBound: 0
; FloatMode: 240
; IeeeMode: 1
; LDSByteSize: 0 bytes/workgroup (compile time only)
; SGPRBlocks: 4
; VGPRBlocks: 2
; NumSGPRsForWavesPerEU: 36
; NumVGPRsForWavesPerEU: 23
; AccumOffset: 24
; Occupancy: 8
; WaveLimiterHint : 0
; COMPUTE_PGM_RSRC2:SCRATCH_EN: 0
; COMPUTE_PGM_RSRC2:USER_SGPR: 6
; COMPUTE_PGM_RSRC2:TRAP_HANDLER: 0
; COMPUTE_PGM_RSRC2:TGID_X_EN: 1
; COMPUTE_PGM_RSRC2:TGID_Y_EN: 1
; COMPUTE_PGM_RSRC2:TGID_Z_EN: 0
; COMPUTE_PGM_RSRC2:TIDIG_COMP_CNT: 0
; COMPUTE_PGM_RSRC3_GFX90A:ACCUM_OFFSET: 5
; COMPUTE_PGM_RSRC3_GFX90A:TG_SPLIT: 0
	.section	.text._ZN5aiter35fused_qk_rmsnorm_group_quant_kernelIDF16_DB8_Li64ELi8ELi4ELb0ELb1ELb0ELb0ELb0ELb0EEEvPT0_PvPT_S6_S6_PKS5_S8_S8_S8_S8_ffiiiiiiiiiiiii,"axG",@progbits,_ZN5aiter35fused_qk_rmsnorm_group_quant_kernelIDF16_DB8_Li64ELi8ELi4ELb0ELb1ELb0ELb0ELb0ELb0EEEvPT0_PvPT_S6_S6_PKS5_S8_S8_S8_S8_ffiiiiiiiiiiiii,comdat
	.protected	_ZN5aiter35fused_qk_rmsnorm_group_quant_kernelIDF16_DB8_Li64ELi8ELi4ELb0ELb1ELb0ELb0ELb0ELb0EEEvPT0_PvPT_S6_S6_PKS5_S8_S8_S8_S8_ffiiiiiiiiiiiii ; -- Begin function _ZN5aiter35fused_qk_rmsnorm_group_quant_kernelIDF16_DB8_Li64ELi8ELi4ELb0ELb1ELb0ELb0ELb0ELb0EEEvPT0_PvPT_S6_S6_PKS5_S8_S8_S8_S8_ffiiiiiiiiiiiii
	.globl	_ZN5aiter35fused_qk_rmsnorm_group_quant_kernelIDF16_DB8_Li64ELi8ELi4ELb0ELb1ELb0ELb0ELb0ELb0EEEvPT0_PvPT_S6_S6_PKS5_S8_S8_S8_S8_ffiiiiiiiiiiiii
	.p2align	8
	.type	_ZN5aiter35fused_qk_rmsnorm_group_quant_kernelIDF16_DB8_Li64ELi8ELi4ELb0ELb1ELb0ELb0ELb0ELb0EEEvPT0_PvPT_S6_S6_PKS5_S8_S8_S8_S8_ffiiiiiiiiiiiii,@function
_ZN5aiter35fused_qk_rmsnorm_group_quant_kernelIDF16_DB8_Li64ELi8ELi4ELb0ELb1ELb0ELb0ELb0ELb0EEEvPT0_PvPT_S6_S6_PKS5_S8_S8_S8_S8_ffiiiiiiiiiiiii: ; @_ZN5aiter35fused_qk_rmsnorm_group_quant_kernelIDF16_DB8_Li64ELi8ELi4ELb0ELb1ELb0ELb0ELb0ELb0EEEvPT0_PvPT_S6_S6_PKS5_S8_S8_S8_S8_ffiiiiiiiiiiiii
; %bb.0:
	s_load_dwordx4 s[12:15], s[4:5], 0x50
	s_waitcnt lgkmcnt(0)
	s_cmp_ge_i32 s6, s14
	s_cbranch_scc1 .LBB229_10
; %bb.1:
	s_load_dwordx2 s[8:9], s[4:5], 0x48
	s_load_dwordx2 s[30:31], s[4:5], 0x30
	s_load_dwordx4 s[16:19], s[4:5], 0x60
	s_cmp_lg_u32 s7, 0
	s_cselect_b64 s[2:3], -1, 0
	s_cmp_eq_u32 s7, 0
	s_cselect_b64 vcc, -1, 0
	s_and_b64 s[0:1], vcc, exec
	s_waitcnt lgkmcnt(0)
	s_cselect_b32 s7, s15, s16
	s_add_i32 s0, s7, 1
	s_lshr_b32 s1, s0, 31
	s_add_i32 s0, s0, s1
	s_lshl_b32 s0, s0, 1
	v_lshlrev_b32_e32 v1, 3, v0
	s_and_b32 s22, s0, -4
	v_cmp_gt_i32_e64 s[0:1], s7, v1
	v_mov_b32_e32 v10, 0
	v_mov_b32_e32 v2, 0
	;; [unrolled: 1-line block ×9, first 2 shown]
	s_and_saveexec_b64 s[10:11], s[0:1]
	s_cbranch_execz .LBB229_3
; %bb.2:
	s_load_dwordx2 s[20:21], s[4:5], 0x28
	s_load_dwordx2 s[26:27], s[4:5], 0x40
	s_and_b64 s[24:25], vcc, exec
	s_cselect_b32 s14, s17, s18
	s_mov_b32 s23, 0x20000
	s_waitcnt lgkmcnt(0)
	s_cselect_b32 s17, s21, s31
	s_cselect_b32 s19, s20, s30
	s_mul_hi_i32 s21, s14, s6
	s_mul_i32 s20, s14, s6
	s_lshl_b64 s[20:21], s[20:21], 1
	s_add_u32 s24, s19, s20
	s_addc_u32 s14, s17, s21
	s_and_b64 s[20:21], vcc, exec
	s_cselect_b32 s20, s26, s8
	s_cselect_b32 s17, s27, s9
	v_lshlrev_b32_e32 v11, 4, v0
	s_and_b32 s25, s14, 0xffff
	s_mov_b32 s26, s22
	s_mov_b32 s27, s23
	s_and_b32 s21, s17, 0xffff
	buffer_load_dwordx4 v[6:9], v11, s[24:27], 0 offen glc slc
	buffer_load_dwordx4 v[2:5], v11, s[20:23], 0 offen
.LBB229_3:
	s_or_b64 exec, exec, s[10:11]
	v_mov_b32_e32 v11, 0
	v_mov_b32_e32 v16, 0
	v_mov_b32_e32 v17, 0
	v_mov_b32_e32 v14, 0
	v_mov_b32_e32 v15, 0
	v_mov_b32_e32 v12, 0
	v_mov_b32_e32 v13, 0
	s_and_saveexec_b64 s[10:11], s[0:1]
	s_cbranch_execz .LBB229_5
; %bb.4:
	s_waitcnt vmcnt(1)
	v_cvt_f32_f16_sdwa v11, v6 dst_sel:DWORD dst_unused:UNUSED_PAD src0_sel:WORD_1
	v_cvt_f32_f16_e32 v10, v6
	v_cvt_f32_f16_sdwa v17, v7 dst_sel:DWORD dst_unused:UNUSED_PAD src0_sel:WORD_1
	v_cvt_f32_f16_e32 v16, v7
	;; [unrolled: 2-line block ×4, first 2 shown]
.LBB229_5:
	s_or_b64 exec, exec, s[10:11]
	s_waitcnt vmcnt(1)
	v_mul_f32_e32 v6, v11, v11
	v_fmac_f32_e32 v6, v10, v10
	v_fmac_f32_e32 v6, v16, v16
	;; [unrolled: 1-line block ×7, first 2 shown]
	v_bfrev_b32_e32 v8, 0.5
	s_load_dwordx2 s[28:29], s[4:5], 0x18
	v_mov_b32_dpp v7, v6 quad_perm:[1,0,3,2] row_mask:0xf bank_mask:0xf
	v_add_f32_e32 v6, v6, v7
	s_nop 1
	v_mov_b32_dpp v7, v6 quad_perm:[2,3,0,1] row_mask:0xf bank_mask:0xf
	v_add_f32_e32 v6, v6, v7
	s_nop 1
	v_mov_b32_dpp v7, v6 row_half_mirror row_mask:0xf bank_mask:0xf
	v_add_f32_e32 v6, v6, v7
	s_nop 1
	v_mov_b32_dpp v7, v6 row_mirror row_mask:0xf bank_mask:0xf
	v_add_f32_e32 v6, v6, v7
	s_nop 1
	v_mov_b32_dpp v7, v6 row_bcast:15 row_mask:0xf bank_mask:0xf
	v_add_f32_e32 v6, v6, v7
	s_nop 1
	v_mov_b32_dpp v7, v6 row_bcast:31 row_mask:0xf bank_mask:0xf
	v_add_f32_e32 v6, v6, v7
	v_mbcnt_lo_u32_b32 v7, -1, 0
	v_mbcnt_hi_u32_b32 v7, -1, v7
	v_lshl_or_b32 v18, v7, 2, v8
	ds_bpermute_b32 v6, v18, v6
	s_and_saveexec_b64 s[10:11], s[0:1]
	s_cbranch_execz .LBB229_7
; %bb.6:
	v_cvt_f32_u32_e32 v7, s7
	v_mov_b32_e32 v8, s13
	v_mov_b32_e32 v9, s12
	v_cndmask_b32_e32 v8, v8, v9, vcc
	s_waitcnt lgkmcnt(0)
	v_div_scale_f32 v19, s[20:21], v7, v7, v6
	v_rcp_f32_e32 v20, v19
	v_div_scale_f32 v9, vcc, v6, v7, v6
	s_mov_b32 s7, 0x800000
	v_fma_f32 v21, -v19, v20, 1.0
	v_fmac_f32_e32 v20, v21, v20
	v_mul_f32_e32 v21, v9, v20
	v_fma_f32 v22, -v19, v21, v9
	v_fmac_f32_e32 v21, v22, v20
	v_fma_f32 v9, -v19, v21, v9
	v_div_fmas_f32 v9, v9, v20, v21
	v_div_fixup_f32 v6, v9, v7, v6
	v_add_f32_e32 v6, v8, v6
	v_mul_f32_e32 v7, 0x4b800000, v6
	v_cmp_gt_f32_e32 vcc, s7, v6
	v_cndmask_b32_e32 v6, v6, v7, vcc
	v_rsq_f32_e32 v6, v6
	s_waitcnt vmcnt(0)
	v_cvt_f32_f16_sdwa v21, v5 dst_sel:DWORD dst_unused:UNUSED_PAD src0_sel:WORD_1
	v_cvt_f32_f16_e32 v20, v5
	v_mul_f32_e32 v7, 0x45800000, v6
	v_cndmask_b32_e32 v6, v6, v7, vcc
	v_mov_b32_e32 v7, v6
	;;#ASMSTART
	v_pk_mul_f32 v[8:9], v[10:11], v[6:7]
	;;#ASMEND
	;;#ASMSTART
	v_pk_mul_f32 v[16:17], v[16:17], v[6:7]
	;;#ASMEND
	;; [unrolled: 3-line block ×4, first 2 shown]
	v_cvt_f32_f16_sdwa v11, v2 dst_sel:DWORD dst_unused:UNUSED_PAD src0_sel:WORD_1
	v_cvt_f32_f16_e32 v10, v2
	v_cvt_f32_f16_sdwa v13, v3 dst_sel:DWORD dst_unused:UNUSED_PAD src0_sel:WORD_1
	v_cvt_f32_f16_e32 v12, v3
	;; [unrolled: 2-line block ×3, first 2 shown]
	;;#ASMSTART
	v_pk_mul_f32 v[10:11], v[8:9], v[10:11]
	;;#ASMEND
	;;#ASMSTART
	v_pk_mul_f32 v[16:17], v[16:17], v[12:13]
	;;#ASMEND
	;; [unrolled: 3-line block ×4, first 2 shown]
.LBB229_7:
	s_or_b64 exec, exec, s[10:11]
	s_load_dword s7, s[4:5], 0x80
	s_mov_b64 s[10:11], -1
	s_and_b64 vcc, exec, s[2:3]
	s_cbranch_vccnz .LBB229_11
; %bb.8:
	s_andn2_b64 vcc, exec, s[10:11]
	s_cbranch_vccz .LBB229_14
.LBB229_9:
	s_cmp_lt_i32 s16, 1
	s_cbranch_scc0 .LBB229_23
.LBB229_10:
	s_endpgm
.LBB229_11:
	s_and_saveexec_b64 s[2:3], s[0:1]
	s_cbranch_execz .LBB229_13
; %bb.12:
	s_waitcnt lgkmcnt(0)
	s_mul_hi_i32 s11, s7, s6
	s_mul_i32 s10, s7, s6
	s_waitcnt vmcnt(0)
	v_cvt_f16_f32_e32 v2, v10
	v_cvt_f16_f32_e32 v3, v16
	;; [unrolled: 1-line block ×8, first 2 shown]
	s_lshl_b64 s[10:11], s[10:11], 1
	s_add_u32 s20, s28, s10
	s_addc_u32 s10, s29, s11
	s_and_b32 s21, s10, 0xffff
	s_mov_b32 s23, 0x20000
	v_pack_b32_f16 v5, v5, v6
	v_pack_b32_f16 v4, v4, v7
	;; [unrolled: 1-line block ×4, first 2 shown]
	v_lshlrev_b32_e32 v6, 4, v0
	buffer_store_dwordx4 v[2:5], v6, s[20:23], 0 offen
	;;#ASMSTART
	s_nop 0
	;;#ASMEND
.LBB229_13:
	s_or_b64 exec, exec, s[2:3]
	s_cbranch_execnz .LBB229_9
.LBB229_14:
	s_load_dwordx4 s[24:27], s[4:5], 0x70
	s_waitcnt vmcnt(0)
	v_mov_b32_e32 v2, 0
	s_and_saveexec_b64 s[2:3], s[0:1]
	s_cbranch_execz .LBB229_16
; %bb.15:
	s_load_dwordx2 s[10:11], s[4:5], 0x10
	s_waitcnt lgkmcnt(0)
	s_mul_hi_i32 s21, s27, s6
	s_mul_i32 s20, s27, s6
	v_cvt_f16_f32_e32 v2, v10
	v_cvt_f16_f32_e32 v3, v16
	;; [unrolled: 1-line block ×8, first 2 shown]
	s_lshl_b64 s[20:21], s[20:21], 1
	s_add_u32 s20, s10, s20
	s_addc_u32 s10, s11, s21
	s_mov_b32 s23, 0x20000
	s_and_b32 s21, s10, 0xffff
	v_pack_b32_f16 v5, v5, v6
	v_pack_b32_f16 v4, v4, v7
	;; [unrolled: 1-line block ×4, first 2 shown]
	v_lshlrev_b32_e32 v6, 4, v0
	buffer_store_dwordx4 v[2:5], v6, s[20:23], 0 offen
	;;#ASMSTART
	s_nop 0
	;;#ASMEND
	s_nop 0
	v_mov_b32_e32 v2, 0x2edbe6ff
.LBB229_16:
	s_or_b64 exec, exec, s[2:3]
	s_and_saveexec_b64 s[2:3], s[0:1]
	s_cbranch_execz .LBB229_18
; %bb.17:
	v_and_b32_e32 v3, 0x7fffffff, v10
	v_and_b32_e32 v4, 0x7fffffff, v11
	;;#ASMSTART
	v_max3_f32 v2, v2, v3, v4

	;;#ASMEND
	v_and_b32_e32 v3, 0x7fffffff, v16
	v_and_b32_e32 v4, 0x7fffffff, v17
	;;#ASMSTART
	v_max3_f32 v2, v2, v3, v4

	;;#ASMEND
	;; [unrolled: 6-line block ×4, first 2 shown]
.LBB229_18:
	s_or_b64 exec, exec, s[2:3]
	;;#ASMSTART
	v_max_f32 v3, v2, v2 quad_perm:[1,0,3,2] row_mask:0xf bank_mask:0xf bound_ctrl:1
	;;#ASMEND
	;;#ASMSTART
	v_max_f32 v2, v3, v3 quad_perm:[2,3,0,1] row_mask:0xf bank_mask:0xf bound_ctrl:1
	;;#ASMEND
	v_and_b32_e32 v3, 3, v0
	v_cmp_eq_u32_e32 vcc, 0, v3
	v_cmp_gt_i32_e64 s[2:3], s15, v1
	v_mul_f32_e32 v2, 0x3b124925, v2
	s_and_b64 s[10:11], vcc, s[2:3]
	s_and_saveexec_b64 s[2:3], s[10:11]
	s_cbranch_execz .LBB229_20
; %bb.19:
	s_load_dwordx2 s[10:11], s[4:5], 0x8
	s_waitcnt lgkmcnt(0)
	s_mul_hi_i32 s21, s25, s6
	s_mul_i32 s20, s25, s6
	v_lshrrev_b32_e32 v3, 2, v0
	s_lshl_b64 s[20:21], s[20:21], 2
	v_mad_i64_i32 v[4:5], s[22:23], s26, v3, 0
	s_add_u32 s10, s10, s20
	s_addc_u32 s11, s11, s21
	v_lshlrev_b64 v[4:5], 2, v[4:5]
	v_mov_b32_e32 v3, s11
	v_add_co_u32_e32 v4, vcc, s10, v4
	v_addc_co_u32_e32 v5, vcc, v3, v5, vcc
	global_store_dword v[4:5], v2, off
.LBB229_20:
	s_or_b64 exec, exec, s[2:3]
	;;#ASMSTART
	v_rcp_f32 v2, v2
	;;#ASMEND
	s_and_saveexec_b64 s[10:11], s[0:1]
	s_cbranch_execz .LBB229_22
; %bb.21:
	v_mov_b32_e32 v3, v2
	;;#ASMSTART
	v_pk_mul_f32 v[4:5], v[10:11], v[2:3]
	;;#ASMEND
	s_load_dwordx2 s[0:1], s[4:5], 0x0
	v_mov_b32_e32 v8, 0xc3e00000
	v_mov_b32_e32 v9, 0x43e00000
	s_waitcnt lgkmcnt(0)
	;;#ASMSTART
	v_med3_f32 v4, v4, v8, v9
v_med3_f32 v5, v5, v8, v9
v_cvt_pk_fp8_f32 v6, v4, v5
	;;#ASMEND
	;;#ASMSTART
	v_pk_mul_f32 v[4:5], v[16:17], v[2:3]
	;;#ASMEND
	;;#ASMSTART
	v_med3_f32 v4, v4, v8, v9
v_med3_f32 v5, v5, v8, v9
v_cvt_pk_fp8_f32 v7, v4, v5
	;;#ASMEND
	s_mov_b32 s14, 0x5040100
	v_perm_b32 v5, v7, v6, s14
	s_movk_i32 s14, 0xff
	s_mul_i32 s3, s24, s6
	v_and_b32_e32 v4, 0xffffff00, v7
	v_and_b32_sdwa v6, v5, s14 dst_sel:DWORD dst_unused:UNUSED_PAD src0_sel:WORD_1 src1_sel:DWORD
	s_mul_hi_i32 s2, s24, s6
	s_mov_b32 s12, 0xffff
	s_add_u32 s0, s0, s3
	v_or_b32_sdwa v4, v6, v4 dst_sel:WORD_1 dst_unused:UNUSED_PAD src0_sel:DWORD src1_sel:DWORD
	s_addc_u32 s1, s1, s2
	s_add_i32 s2, s15, 3
	v_and_or_b32 v4, v5, s12, v4
	;;#ASMSTART
	v_pk_mul_f32 v[6:7], v[14:15], v[2:3]
	;;#ASMEND
	v_mov_b32_e32 v5, v7
	s_ashr_i32 s3, s2, 31
	;;#ASMSTART
	v_med3_f32 v6, v6, v8, v9
v_med3_f32 v5, v5, v8, v9
v_cvt_pk_fp8_f32 v7, v6, v5
	;;#ASMEND
	;;#ASMSTART
	v_pk_mul_f32 v[2:3], v[12:13], v[2:3]
	;;#ASMEND
	s_lshr_b32 s3, s3, 30
	;;#ASMSTART
	v_med3_f32 v2, v2, v8, v9
v_med3_f32 v3, v3, v8, v9
v_cvt_pk_fp8_f32 v5, v2, v3
	;;#ASMEND
	s_add_i32 s2, s2, s3
	v_lshlrev_b32_e32 v2, 16, v5
	s_and_b32 s2, s2, -4
	s_and_b32 s1, s1, 0xffff
	s_mov_b32 s3, 0x20000
	v_and_or_b32 v5, v7, s12, v2
	buffer_store_dwordx2 v[4:5], v1, s[0:3], 0 offen
	;;#ASMSTART
	s_nop 0
	;;#ASMEND
.LBB229_22:
	s_or_b64 exec, exec, s[10:11]
	s_cmp_lt_i32 s16, 1
	s_cbranch_scc1 .LBB229_10
.LBB229_23:
	s_load_dword s0, s[4:5], 0x94
	s_waitcnt lgkmcnt(0)
	s_cmp_lg_u32 s0, 1
	s_cbranch_scc1 .LBB229_10
; %bb.24:
	s_lshl_b32 s0, s16, 1
	s_add_i32 s0, s0, 2
	v_cmp_gt_u32_e32 vcc, s16, v1
	s_and_b32 s10, s0, -4
	v_mov_b32_e32 v8, 0
	v_lshlrev_b32_e32 v16, 4, v0
	s_waitcnt vmcnt(0)
	v_mov_b32_e32 v4, 0
	v_mov_b32_e32 v5, 0
	;; [unrolled: 1-line block ×8, first 2 shown]
	s_barrier
	s_and_saveexec_b64 s[0:1], vcc
	s_cbranch_execz .LBB229_26
; %bb.25:
	s_mul_hi_i32 s3, s18, s6
	s_mul_i32 s2, s18, s6
	s_and_b32 s9, s9, 0xffff
	s_lshl_b64 s[2:3], s[2:3], 1
	s_add_u32 s20, s30, s2
	s_mov_b32 s11, 0x20000
	s_addc_u32 s2, s31, s3
	s_and_b32 s21, s2, 0xffff
	s_mov_b32 s22, s10
	s_mov_b32 s23, s11
	buffer_load_dwordx4 v[4:7], v16, s[20:23], 0 offen glc slc
	buffer_load_dwordx4 v[0:3], v16, s[8:11], 0 offen
.LBB229_26:
	s_or_b64 exec, exec, s[0:1]
	v_mov_b32_e32 v9, 0
	v_mov_b32_e32 v14, 0
	;; [unrolled: 1-line block ×7, first 2 shown]
	s_and_saveexec_b64 s[0:1], vcc
	s_cbranch_execz .LBB229_28
; %bb.27:
	s_waitcnt vmcnt(1)
	v_cvt_f32_f16_sdwa v9, v4 dst_sel:DWORD dst_unused:UNUSED_PAD src0_sel:WORD_1
	v_cvt_f32_f16_e32 v8, v4
	v_cvt_f32_f16_sdwa v15, v5 dst_sel:DWORD dst_unused:UNUSED_PAD src0_sel:WORD_1
	v_cvt_f32_f16_e32 v14, v5
	;; [unrolled: 2-line block ×4, first 2 shown]
.LBB229_28:
	s_or_b64 exec, exec, s[0:1]
	s_waitcnt vmcnt(1)
	v_mul_f32_e32 v4, v9, v9
	v_fmac_f32_e32 v4, v8, v8
	v_fmac_f32_e32 v4, v14, v14
	;; [unrolled: 1-line block ×7, first 2 shown]
	s_nop 1
	v_mov_b32_dpp v5, v4 quad_perm:[1,0,3,2] row_mask:0xf bank_mask:0xf
	v_add_f32_e32 v4, v4, v5
	s_nop 1
	v_mov_b32_dpp v5, v4 quad_perm:[2,3,0,1] row_mask:0xf bank_mask:0xf
	v_add_f32_e32 v4, v4, v5
	s_nop 1
	v_mov_b32_dpp v5, v4 row_half_mirror row_mask:0xf bank_mask:0xf
	v_add_f32_e32 v4, v4, v5
	s_nop 1
	v_mov_b32_dpp v5, v4 row_mirror row_mask:0xf bank_mask:0xf
	v_add_f32_e32 v4, v4, v5
	s_nop 1
	v_mov_b32_dpp v5, v4 row_bcast:15 row_mask:0xf bank_mask:0xf
	v_add_f32_e32 v4, v4, v5
	s_nop 1
	v_mov_b32_dpp v5, v4 row_bcast:31 row_mask:0xf bank_mask:0xf
	v_add_f32_e32 v4, v4, v5
	ds_bpermute_b32 v4, v18, v4
	s_and_saveexec_b64 s[0:1], vcc
	s_cbranch_execz .LBB229_10
; %bb.29:
	v_cvt_f32_u32_e32 v5, s16
	s_mov_b32 s11, 0x20000
	s_waitcnt lgkmcnt(0)
	v_div_scale_f32 v6, s[0:1], v5, v5, v4
	v_rcp_f32_e32 v7, v6
	v_div_scale_f32 v17, vcc, v4, v5, v4
	s_mov_b32 s0, 0x800000
	v_fma_f32 v18, -v6, v7, 1.0
	v_fmac_f32_e32 v7, v18, v7
	v_mul_f32_e32 v18, v17, v7
	v_fma_f32 v19, -v6, v18, v17
	v_fmac_f32_e32 v18, v19, v7
	v_fma_f32 v6, -v6, v18, v17
	v_div_fmas_f32 v6, v6, v7, v18
	v_div_fixup_f32 v4, v6, v5, v4
	v_add_f32_e32 v4, s13, v4
	v_mul_f32_e32 v5, 0x4b800000, v4
	v_cmp_gt_f32_e32 vcc, s0, v4
	v_cndmask_b32_e32 v4, v4, v5, vcc
	v_rsq_f32_e32 v4, v4
	s_waitcnt vmcnt(0)
	v_cvt_f32_f16_sdwa v19, v3 dst_sel:DWORD dst_unused:UNUSED_PAD src0_sel:WORD_1
	v_cvt_f32_f16_e32 v18, v3
	s_mul_hi_i32 s1, s7, s6
	v_mul_f32_e32 v5, 0x45800000, v4
	v_cndmask_b32_e32 v4, v4, v5, vcc
	v_mov_b32_e32 v5, v4
	;;#ASMSTART
	v_pk_mul_f32 v[6:7], v[8:9], v[4:5]
	;;#ASMEND
	;;#ASMSTART
	v_pk_mul_f32 v[8:9], v[14:15], v[4:5]
	;;#ASMEND
	;; [unrolled: 3-line block ×4, first 2 shown]
	v_cvt_f32_f16_sdwa v11, v0 dst_sel:DWORD dst_unused:UNUSED_PAD src0_sel:WORD_1
	v_cvt_f32_f16_e32 v10, v0
	v_cvt_f32_f16_sdwa v15, v1 dst_sel:DWORD dst_unused:UNUSED_PAD src0_sel:WORD_1
	v_cvt_f32_f16_e32 v14, v1
	;; [unrolled: 2-line block ×3, first 2 shown]
	;;#ASMSTART
	v_pk_mul_f32 v[2:3], v[6:7], v[10:11]
	;;#ASMEND
	;;#ASMSTART
	v_pk_mul_f32 v[6:7], v[8:9], v[14:15]
	;;#ASMEND
	;; [unrolled: 3-line block ×4, first 2 shown]
	s_mul_i32 s0, s7, s6
	v_cvt_f16_f32_e32 v2, v2
	v_cvt_f16_f32_e32 v3, v3
	v_cvt_f16_f32_e32 v6, v6
	v_cvt_f16_f32_e32 v7, v7
	v_cvt_f16_f32_e32 v8, v0
	v_cvt_f16_f32_e32 v9, v1
	v_cvt_f16_f32_e32 v4, v4
	v_cvt_f16_f32_e32 v5, v5
	s_lshl_b64 s[0:1], s[0:1], 1
	s_add_u32 s8, s28, s0
	s_addc_u32 s0, s29, s1
	s_and_b32 s9, s0, 0xffff
	v_pack_b32_f16 v0, v2, v3
	v_pack_b32_f16 v1, v6, v7
	;; [unrolled: 1-line block ×4, first 2 shown]
	buffer_store_dwordx4 v[0:3], v16, s[8:11], 0 offen
	;;#ASMSTART
	s_nop 0
	;;#ASMEND
	s_endpgm
	.section	.rodata,"a",@progbits
	.p2align	6, 0x0
	.amdhsa_kernel _ZN5aiter35fused_qk_rmsnorm_group_quant_kernelIDF16_DB8_Li64ELi8ELi4ELb0ELb1ELb0ELb0ELb0ELb0EEEvPT0_PvPT_S6_S6_PKS5_S8_S8_S8_S8_ffiiiiiiiiiiiii
		.amdhsa_group_segment_fixed_size 0
		.amdhsa_private_segment_fixed_size 0
		.amdhsa_kernarg_size 400
		.amdhsa_user_sgpr_count 6
		.amdhsa_user_sgpr_private_segment_buffer 1
		.amdhsa_user_sgpr_dispatch_ptr 0
		.amdhsa_user_sgpr_queue_ptr 0
		.amdhsa_user_sgpr_kernarg_segment_ptr 1
		.amdhsa_user_sgpr_dispatch_id 0
		.amdhsa_user_sgpr_flat_scratch_init 0
		.amdhsa_user_sgpr_kernarg_preload_length 0
		.amdhsa_user_sgpr_kernarg_preload_offset 0
		.amdhsa_user_sgpr_private_segment_size 0
		.amdhsa_uses_dynamic_stack 0
		.amdhsa_system_sgpr_private_segment_wavefront_offset 0
		.amdhsa_system_sgpr_workgroup_id_x 1
		.amdhsa_system_sgpr_workgroup_id_y 1
		.amdhsa_system_sgpr_workgroup_id_z 0
		.amdhsa_system_sgpr_workgroup_info 0
		.amdhsa_system_vgpr_workitem_id 0
		.amdhsa_next_free_vgpr 23
		.amdhsa_next_free_sgpr 32
		.amdhsa_accum_offset 24
		.amdhsa_reserve_vcc 1
		.amdhsa_reserve_flat_scratch 0
		.amdhsa_float_round_mode_32 0
		.amdhsa_float_round_mode_16_64 0
		.amdhsa_float_denorm_mode_32 3
		.amdhsa_float_denorm_mode_16_64 3
		.amdhsa_dx10_clamp 1
		.amdhsa_ieee_mode 1
		.amdhsa_fp16_overflow 0
		.amdhsa_tg_split 0
		.amdhsa_exception_fp_ieee_invalid_op 0
		.amdhsa_exception_fp_denorm_src 0
		.amdhsa_exception_fp_ieee_div_zero 0
		.amdhsa_exception_fp_ieee_overflow 0
		.amdhsa_exception_fp_ieee_underflow 0
		.amdhsa_exception_fp_ieee_inexact 0
		.amdhsa_exception_int_div_zero 0
	.end_amdhsa_kernel
	.section	.text._ZN5aiter35fused_qk_rmsnorm_group_quant_kernelIDF16_DB8_Li64ELi8ELi4ELb0ELb1ELb0ELb0ELb0ELb0EEEvPT0_PvPT_S6_S6_PKS5_S8_S8_S8_S8_ffiiiiiiiiiiiii,"axG",@progbits,_ZN5aiter35fused_qk_rmsnorm_group_quant_kernelIDF16_DB8_Li64ELi8ELi4ELb0ELb1ELb0ELb0ELb0ELb0EEEvPT0_PvPT_S6_S6_PKS5_S8_S8_S8_S8_ffiiiiiiiiiiiii,comdat
.Lfunc_end229:
	.size	_ZN5aiter35fused_qk_rmsnorm_group_quant_kernelIDF16_DB8_Li64ELi8ELi4ELb0ELb1ELb0ELb0ELb0ELb0EEEvPT0_PvPT_S6_S6_PKS5_S8_S8_S8_S8_ffiiiiiiiiiiiii, .Lfunc_end229-_ZN5aiter35fused_qk_rmsnorm_group_quant_kernelIDF16_DB8_Li64ELi8ELi4ELb0ELb1ELb0ELb0ELb0ELb0EEEvPT0_PvPT_S6_S6_PKS5_S8_S8_S8_S8_ffiiiiiiiiiiiii
                                        ; -- End function
	.section	.AMDGPU.csdata,"",@progbits
; Kernel info:
; codeLenInByte = 2496
; NumSgprs: 36
; NumVgprs: 23
; NumAgprs: 0
; TotalNumVgprs: 23
; ScratchSize: 0
; MemoryBound: 0
; FloatMode: 240
; IeeeMode: 1
; LDSByteSize: 0 bytes/workgroup (compile time only)
; SGPRBlocks: 4
; VGPRBlocks: 2
; NumSGPRsForWavesPerEU: 36
; NumVGPRsForWavesPerEU: 23
; AccumOffset: 24
; Occupancy: 8
; WaveLimiterHint : 0
; COMPUTE_PGM_RSRC2:SCRATCH_EN: 0
; COMPUTE_PGM_RSRC2:USER_SGPR: 6
; COMPUTE_PGM_RSRC2:TRAP_HANDLER: 0
; COMPUTE_PGM_RSRC2:TGID_X_EN: 1
; COMPUTE_PGM_RSRC2:TGID_Y_EN: 1
; COMPUTE_PGM_RSRC2:TGID_Z_EN: 0
; COMPUTE_PGM_RSRC2:TIDIG_COMP_CNT: 0
; COMPUTE_PGM_RSRC3_GFX90A:ACCUM_OFFSET: 5
; COMPUTE_PGM_RSRC3_GFX90A:TG_SPLIT: 0
	.section	.text._ZN5aiter35fused_qk_rmsnorm_group_quant_kernelItDB8_Li64ELi8ELi4ELb0ELb1ELb0ELb0ELb0ELb0EEEvPT0_PvPT_S6_S6_PKS5_S8_S8_S8_S8_ffiiiiiiiiiiiii,"axG",@progbits,_ZN5aiter35fused_qk_rmsnorm_group_quant_kernelItDB8_Li64ELi8ELi4ELb0ELb1ELb0ELb0ELb0ELb0EEEvPT0_PvPT_S6_S6_PKS5_S8_S8_S8_S8_ffiiiiiiiiiiiii,comdat
	.protected	_ZN5aiter35fused_qk_rmsnorm_group_quant_kernelItDB8_Li64ELi8ELi4ELb0ELb1ELb0ELb0ELb0ELb0EEEvPT0_PvPT_S6_S6_PKS5_S8_S8_S8_S8_ffiiiiiiiiiiiii ; -- Begin function _ZN5aiter35fused_qk_rmsnorm_group_quant_kernelItDB8_Li64ELi8ELi4ELb0ELb1ELb0ELb0ELb0ELb0EEEvPT0_PvPT_S6_S6_PKS5_S8_S8_S8_S8_ffiiiiiiiiiiiii
	.globl	_ZN5aiter35fused_qk_rmsnorm_group_quant_kernelItDB8_Li64ELi8ELi4ELb0ELb1ELb0ELb0ELb0ELb0EEEvPT0_PvPT_S6_S6_PKS5_S8_S8_S8_S8_ffiiiiiiiiiiiii
	.p2align	8
	.type	_ZN5aiter35fused_qk_rmsnorm_group_quant_kernelItDB8_Li64ELi8ELi4ELb0ELb1ELb0ELb0ELb0ELb0EEEvPT0_PvPT_S6_S6_PKS5_S8_S8_S8_S8_ffiiiiiiiiiiiii,@function
_ZN5aiter35fused_qk_rmsnorm_group_quant_kernelItDB8_Li64ELi8ELi4ELb0ELb1ELb0ELb0ELb0ELb0EEEvPT0_PvPT_S6_S6_PKS5_S8_S8_S8_S8_ffiiiiiiiiiiiii: ; @_ZN5aiter35fused_qk_rmsnorm_group_quant_kernelItDB8_Li64ELi8ELi4ELb0ELb1ELb0ELb0ELb0ELb0EEEvPT0_PvPT_S6_S6_PKS5_S8_S8_S8_S8_ffiiiiiiiiiiiii
; %bb.0:
	s_load_dwordx4 s[12:15], s[4:5], 0x50
	s_waitcnt lgkmcnt(0)
	s_cmp_ge_i32 s6, s14
	s_cbranch_scc1 .LBB230_8
; %bb.1:
	s_load_dwordx2 s[8:9], s[4:5], 0x48
	s_load_dwordx2 s[30:31], s[4:5], 0x30
	s_load_dwordx4 s[16:19], s[4:5], 0x60
	s_cmp_lg_u32 s7, 0
	s_cselect_b64 s[2:3], -1, 0
	s_cmp_eq_u32 s7, 0
	s_cselect_b64 vcc, -1, 0
	s_and_b64 s[0:1], vcc, exec
	s_waitcnt lgkmcnt(0)
	s_cselect_b32 s7, s15, s16
	s_add_i32 s0, s7, 1
	s_lshr_b32 s1, s0, 31
	s_add_i32 s0, s0, s1
	s_lshl_b32 s0, s0, 1
	v_lshlrev_b32_e32 v1, 3, v0
	s_and_b32 s22, s0, -4
	v_cmp_gt_i32_e64 s[0:1], s7, v1
	v_mov_b32_e32 v2, 0
	v_mov_b32_e32 v3, 0
	v_mov_b32_e32 v4, 0
	v_mov_b32_e32 v5, 0
	v_mov_b32_e32 v6, 0
	v_mov_b32_e32 v7, 0
	v_mov_b32_e32 v8, 0
	v_mov_b32_e32 v9, 0
	s_and_saveexec_b64 s[10:11], s[0:1]
	s_cbranch_execz .LBB230_3
; %bb.2:
	s_load_dwordx2 s[20:21], s[4:5], 0x28
	s_load_dwordx2 s[26:27], s[4:5], 0x40
	s_and_b64 s[24:25], vcc, exec
	s_cselect_b32 s14, s17, s18
	s_mov_b32 s23, 0x20000
	s_waitcnt lgkmcnt(0)
	s_cselect_b32 s17, s21, s31
	s_cselect_b32 s19, s20, s30
	s_mul_hi_i32 s21, s14, s6
	s_mul_i32 s20, s14, s6
	s_lshl_b64 s[20:21], s[20:21], 1
	s_add_u32 s24, s19, s20
	s_addc_u32 s14, s17, s21
	s_and_b64 s[20:21], vcc, exec
	s_cselect_b32 s20, s26, s8
	s_cselect_b32 s17, s27, s9
	v_lshlrev_b32_e32 v10, 4, v0
	s_and_b32 s25, s14, 0xffff
	s_mov_b32 s26, s22
	s_mov_b32 s27, s23
	s_and_b32 s21, s17, 0xffff
	buffer_load_dwordx4 v[6:9], v10, s[24:27], 0 offen glc slc
	buffer_load_dwordx4 v[2:5], v10, s[20:23], 0 offen
.LBB230_3:
	s_or_b64 exec, exec, s[10:11]
	s_waitcnt vmcnt(1)
	v_cvt_f32_u32_sdwa v13, v6 dst_sel:DWORD dst_unused:UNUSED_PAD src0_sel:WORD_1
	v_cvt_f32_u32_sdwa v12, v6 dst_sel:DWORD dst_unused:UNUSED_PAD src0_sel:WORD_0
	v_cvt_f32_u32_sdwa v6, v9 dst_sel:DWORD dst_unused:UNUSED_PAD src0_sel:WORD_1
	v_cvt_f32_u32_sdwa v9, v9 dst_sel:DWORD dst_unused:UNUSED_PAD src0_sel:WORD_0
	;; [unrolled: 2-line block ×4, first 2 shown]
	v_cndmask_b32_e64 v13, 0, v13, s[0:1]
	v_cndmask_b32_e64 v7, 0, v6, s[0:1]
	;; [unrolled: 1-line block ×5, first 2 shown]
	v_mul_f32_e32 v14, v13, v13
	v_cndmask_b32_e64 v10, 0, v10, s[0:1]
	v_fmac_f32_e32 v14, v12, v12
	v_cndmask_b32_e64 v11, 0, v11, s[0:1]
	v_fmac_f32_e32 v14, v10, v10
	;; [unrolled: 2-line block ×3, first 2 shown]
	v_fmac_f32_e32 v14, v8, v8
	v_fmac_f32_e32 v14, v9, v9
	;; [unrolled: 1-line block ×4, first 2 shown]
	v_bfrev_b32_e32 v16, 0.5
	s_load_dwordx2 s[28:29], s[4:5], 0x18
	v_mov_b32_dpp v15, v14 quad_perm:[1,0,3,2] row_mask:0xf bank_mask:0xf
	v_add_f32_e32 v14, v14, v15
	s_nop 1
	v_mov_b32_dpp v15, v14 quad_perm:[2,3,0,1] row_mask:0xf bank_mask:0xf
	v_add_f32_e32 v14, v14, v15
	s_nop 1
	v_mov_b32_dpp v15, v14 row_half_mirror row_mask:0xf bank_mask:0xf
	v_add_f32_e32 v14, v14, v15
	s_nop 1
	v_mov_b32_dpp v15, v14 row_mirror row_mask:0xf bank_mask:0xf
	v_add_f32_e32 v14, v14, v15
	s_nop 1
	v_mov_b32_dpp v15, v14 row_bcast:15 row_mask:0xf bank_mask:0xf
	v_add_f32_e32 v14, v14, v15
	s_nop 1
	v_mov_b32_dpp v15, v14 row_bcast:31 row_mask:0xf bank_mask:0xf
	v_add_f32_e32 v15, v14, v15
	v_mbcnt_lo_u32_b32 v14, -1, 0
	v_mbcnt_hi_u32_b32 v14, -1, v14
	v_lshl_or_b32 v14, v14, 2, v16
	ds_bpermute_b32 v15, v14, v15
	s_and_saveexec_b64 s[10:11], s[0:1]
	s_cbranch_execz .LBB230_5
; %bb.4:
	v_cvt_f32_u32_e32 v16, s7
	v_mov_b32_e32 v17, s13
	v_mov_b32_e32 v18, s12
	v_cndmask_b32_e32 v17, v17, v18, vcc
	s_waitcnt lgkmcnt(0)
	v_div_scale_f32 v19, s[20:21], v16, v16, v15
	v_rcp_f32_e32 v20, v19
	v_div_scale_f32 v18, vcc, v15, v16, v15
	s_mov_b32 s7, 0x800000
	v_fma_f32 v21, -v19, v20, 1.0
	v_fmac_f32_e32 v20, v21, v20
	v_mul_f32_e32 v21, v18, v20
	v_fma_f32 v22, -v19, v21, v18
	v_fmac_f32_e32 v21, v22, v20
	v_fma_f32 v18, -v19, v21, v18
	v_div_fmas_f32 v18, v18, v20, v21
	v_div_fixup_f32 v15, v18, v16, v15
	v_add_f32_e32 v15, v17, v15
	v_mul_f32_e32 v16, 0x4b800000, v15
	v_cmp_gt_f32_e32 vcc, s7, v15
	v_cndmask_b32_e32 v15, v15, v16, vcc
	v_rsq_f32_e32 v15, v15
	s_waitcnt vmcnt(0)
	v_cvt_f32_u32_sdwa v19, v3 dst_sel:DWORD dst_unused:UNUSED_PAD src0_sel:WORD_1
	v_cvt_f32_u32_sdwa v18, v3 dst_sel:DWORD dst_unused:UNUSED_PAD src0_sel:WORD_0
	v_cvt_f32_u32_sdwa v3, v4 dst_sel:DWORD dst_unused:UNUSED_PAD src0_sel:WORD_1
	v_mul_f32_e32 v16, 0x45800000, v15
	v_cndmask_b32_e32 v16, v15, v16, vcc
	v_mov_b32_e32 v17, v16
	;;#ASMSTART
	v_pk_mul_f32 v[12:13], v[12:13], v[16:17]
	;;#ASMEND
	;;#ASMSTART
	v_pk_mul_f32 v[10:11], v[10:11], v[16:17]
	;;#ASMEND
	;; [unrolled: 3-line block ×4, first 2 shown]
	v_cvt_f32_u32_sdwa v17, v2 dst_sel:DWORD dst_unused:UNUSED_PAD src0_sel:WORD_1
	v_cvt_f32_u32_sdwa v16, v2 dst_sel:DWORD dst_unused:UNUSED_PAD src0_sel:WORD_0
	v_cvt_f32_u32_sdwa v2, v4 dst_sel:DWORD dst_unused:UNUSED_PAD src0_sel:WORD_0
	v_cvt_f32_u32_sdwa v21, v5 dst_sel:DWORD dst_unused:UNUSED_PAD src0_sel:WORD_1
	v_cvt_f32_u32_sdwa v20, v5 dst_sel:DWORD dst_unused:UNUSED_PAD src0_sel:WORD_0
	;;#ASMSTART
	v_pk_mul_f32 v[12:13], v[12:13], v[16:17]
	;;#ASMEND
	;;#ASMSTART
	v_pk_mul_f32 v[10:11], v[10:11], v[18:19]
	;;#ASMEND
	;; [unrolled: 3-line block ×4, first 2 shown]
.LBB230_5:
	s_or_b64 exec, exec, s[10:11]
	s_load_dword s7, s[4:5], 0x80
	s_mov_b64 s[10:11], -1
	s_and_b64 vcc, exec, s[2:3]
	s_cbranch_vccnz .LBB230_9
; %bb.6:
	s_andn2_b64 vcc, exec, s[10:11]
	s_cbranch_vccz .LBB230_12
.LBB230_7:
	s_cmp_lt_i32 s16, 1
	s_cbranch_scc0 .LBB230_21
.LBB230_8:
	s_endpgm
.LBB230_9:
	s_and_saveexec_b64 s[2:3], s[0:1]
	s_cbranch_execz .LBB230_11
; %bb.10:
	s_waitcnt lgkmcnt(0)
	s_mul_hi_i32 s11, s7, s6
	s_mul_i32 s10, s7, s6
	s_lshl_b64 s[10:11], s[10:11], 1
	s_add_u32 s20, s28, s10
	s_addc_u32 s10, s29, s11
	s_and_b32 s21, s10, 0xffff
	s_mov_b32 s10, 0x7060302
	s_mov_b32 s23, 0x20000
	s_waitcnt vmcnt(0)
	v_perm_b32 v2, v13, v12, s10
	v_perm_b32 v3, v11, v10, s10
	;; [unrolled: 1-line block ×4, first 2 shown]
	v_lshlrev_b32_e32 v15, 4, v0
	buffer_store_dwordx4 v[2:5], v15, s[20:23], 0 offen
	;;#ASMSTART
	s_nop 0
	;;#ASMEND
.LBB230_11:
	s_or_b64 exec, exec, s[2:3]
	s_cbranch_execnz .LBB230_7
.LBB230_12:
	s_load_dwordx4 s[24:27], s[4:5], 0x70
	s_waitcnt vmcnt(0)
	v_mov_b32_e32 v2, 0
	s_and_saveexec_b64 s[2:3], s[0:1]
	s_cbranch_execz .LBB230_14
; %bb.13:
	s_load_dwordx2 s[10:11], s[4:5], 0x10
	s_waitcnt lgkmcnt(0)
	s_mul_hi_i32 s21, s27, s6
	s_mul_i32 s20, s27, s6
	s_lshl_b64 s[20:21], s[20:21], 1
	s_mov_b32 s23, 0x20000
	s_add_u32 s20, s10, s20
	s_addc_u32 s10, s11, s21
	s_and_b32 s21, s10, 0xffff
	s_mov_b32 s10, 0x7060302
	v_perm_b32 v2, v13, v12, s10
	v_perm_b32 v3, v11, v10, s10
	;; [unrolled: 1-line block ×4, first 2 shown]
	v_lshlrev_b32_e32 v15, 4, v0
	buffer_store_dwordx4 v[2:5], v15, s[20:23], 0 offen
	;;#ASMSTART
	s_nop 0
	;;#ASMEND
	s_nop 0
	v_mov_b32_e32 v2, 0x2edbe6ff
.LBB230_14:
	s_or_b64 exec, exec, s[2:3]
	s_and_saveexec_b64 s[2:3], s[0:1]
	s_cbranch_execz .LBB230_16
; %bb.15:
	v_and_b32_e32 v3, 0x7fffffff, v12
	v_and_b32_e32 v4, 0x7fffffff, v13
	;;#ASMSTART
	v_max3_f32 v2, v2, v3, v4

	;;#ASMEND
	v_and_b32_e32 v3, 0x7fffffff, v10
	v_and_b32_e32 v4, 0x7fffffff, v11
	;;#ASMSTART
	v_max3_f32 v2, v2, v3, v4

	;;#ASMEND
	;; [unrolled: 6-line block ×4, first 2 shown]
.LBB230_16:
	s_or_b64 exec, exec, s[2:3]
	;;#ASMSTART
	v_max_f32 v3, v2, v2 quad_perm:[1,0,3,2] row_mask:0xf bank_mask:0xf bound_ctrl:1
	;;#ASMEND
	;;#ASMSTART
	v_max_f32 v2, v3, v3 quad_perm:[2,3,0,1] row_mask:0xf bank_mask:0xf bound_ctrl:1
	;;#ASMEND
	v_and_b32_e32 v3, 3, v0
	v_cmp_eq_u32_e32 vcc, 0, v3
	v_cmp_gt_i32_e64 s[2:3], s15, v1
	v_mul_f32_e32 v2, 0x3b124925, v2
	s_and_b64 s[10:11], vcc, s[2:3]
	s_and_saveexec_b64 s[2:3], s[10:11]
	s_cbranch_execz .LBB230_18
; %bb.17:
	s_load_dwordx2 s[10:11], s[4:5], 0x8
	s_waitcnt lgkmcnt(0)
	s_mul_hi_i32 s21, s25, s6
	s_mul_i32 s20, s25, s6
	v_lshrrev_b32_e32 v3, 2, v0
	s_lshl_b64 s[20:21], s[20:21], 2
	v_mad_i64_i32 v[4:5], s[22:23], s26, v3, 0
	s_add_u32 s10, s10, s20
	s_addc_u32 s11, s11, s21
	v_lshlrev_b64 v[4:5], 2, v[4:5]
	v_mov_b32_e32 v3, s11
	v_add_co_u32_e32 v4, vcc, s10, v4
	v_addc_co_u32_e32 v5, vcc, v3, v5, vcc
	global_store_dword v[4:5], v2, off
.LBB230_18:
	s_or_b64 exec, exec, s[2:3]
	;;#ASMSTART
	v_rcp_f32 v2, v2
	;;#ASMEND
	s_and_saveexec_b64 s[10:11], s[0:1]
	s_cbranch_execz .LBB230_20
; %bb.19:
	v_mov_b32_e32 v3, v2
	;;#ASMSTART
	v_pk_mul_f32 v[4:5], v[12:13], v[2:3]
	;;#ASMEND
	s_load_dwordx2 s[0:1], s[4:5], 0x0
	v_mov_b32_e32 v12, 0xc3e00000
	v_mov_b32_e32 v13, 0x43e00000
	s_waitcnt lgkmcnt(0)
	;;#ASMSTART
	v_med3_f32 v4, v4, v12, v13
v_med3_f32 v5, v5, v12, v13
v_cvt_pk_fp8_f32 v15, v4, v5
	;;#ASMEND
	;;#ASMSTART
	v_pk_mul_f32 v[4:5], v[10:11], v[2:3]
	;;#ASMEND
	;;#ASMSTART
	v_med3_f32 v4, v4, v12, v13
v_med3_f32 v5, v5, v12, v13
v_cvt_pk_fp8_f32 v10, v4, v5
	;;#ASMEND
	s_mov_b32 s14, 0x5040100
	v_perm_b32 v5, v10, v15, s14
	s_movk_i32 s14, 0xff
	s_mul_i32 s3, s24, s6
	v_and_b32_e32 v4, 0xffffff00, v10
	v_and_b32_sdwa v10, v5, s14 dst_sel:DWORD dst_unused:UNUSED_PAD src0_sel:WORD_1 src1_sel:DWORD
	s_mul_hi_i32 s2, s24, s6
	s_mov_b32 s12, 0xffff
	s_add_u32 s0, s0, s3
	v_or_b32_sdwa v4, v10, v4 dst_sel:WORD_1 dst_unused:UNUSED_PAD src0_sel:DWORD src1_sel:DWORD
	s_addc_u32 s1, s1, s2
	s_add_i32 s2, s15, 3
	v_and_or_b32 v4, v5, s12, v4
	;;#ASMSTART
	v_pk_mul_f32 v[8:9], v[8:9], v[2:3]
	;;#ASMEND
	v_mov_b32_e32 v5, v9
	s_ashr_i32 s3, s2, 31
	;;#ASMSTART
	v_med3_f32 v8, v8, v12, v13
v_med3_f32 v5, v5, v12, v13
v_cvt_pk_fp8_f32 v9, v8, v5
	;;#ASMEND
	;;#ASMSTART
	v_pk_mul_f32 v[2:3], v[6:7], v[2:3]
	;;#ASMEND
	s_lshr_b32 s3, s3, 30
	;;#ASMSTART
	v_med3_f32 v2, v2, v12, v13
v_med3_f32 v3, v3, v12, v13
v_cvt_pk_fp8_f32 v5, v2, v3
	;;#ASMEND
	s_add_i32 s2, s2, s3
	v_lshlrev_b32_e32 v2, 16, v5
	s_and_b32 s2, s2, -4
	s_and_b32 s1, s1, 0xffff
	s_mov_b32 s3, 0x20000
	v_and_or_b32 v5, v9, s12, v2
	buffer_store_dwordx2 v[4:5], v1, s[0:3], 0 offen
	;;#ASMSTART
	s_nop 0
	;;#ASMEND
.LBB230_20:
	s_or_b64 exec, exec, s[10:11]
	s_cmp_lt_i32 s16, 1
	s_cbranch_scc1 .LBB230_8
.LBB230_21:
	s_load_dword s0, s[4:5], 0x94
	s_waitcnt lgkmcnt(0)
	s_cmp_lg_u32 s0, 1
	s_cbranch_scc1 .LBB230_8
; %bb.22:
	s_lshl_b32 s0, s16, 1
	s_add_i32 s0, s0, 2
	v_cmp_gt_u32_e32 vcc, s16, v1
	s_and_b32 s10, s0, -4
	s_waitcnt vmcnt(0)
	v_mov_b32_e32 v4, 0
	v_lshlrev_b32_e32 v12, 4, v0
	v_mov_b32_e32 v5, 0
	v_mov_b32_e32 v6, 0
	;; [unrolled: 1-line block ×7, first 2 shown]
	s_barrier
	s_and_saveexec_b64 s[0:1], vcc
	s_cbranch_execz .LBB230_24
; %bb.23:
	s_mul_hi_i32 s3, s18, s6
	s_mul_i32 s2, s18, s6
	s_and_b32 s9, s9, 0xffff
	s_lshl_b64 s[2:3], s[2:3], 1
	s_add_u32 s20, s30, s2
	s_mov_b32 s11, 0x20000
	s_addc_u32 s2, s31, s3
	s_and_b32 s21, s2, 0xffff
	s_mov_b32 s22, s10
	s_mov_b32 s23, s11
	buffer_load_dwordx4 v[4:7], v12, s[20:23], 0 offen glc slc
	buffer_load_dwordx4 v[0:3], v12, s[8:11], 0 offen
.LBB230_24:
	s_or_b64 exec, exec, s[0:1]
	s_waitcnt vmcnt(1)
	v_cvt_f32_u32_sdwa v11, v4 dst_sel:DWORD dst_unused:UNUSED_PAD src0_sel:WORD_1
	v_cvt_f32_u32_sdwa v10, v4 dst_sel:DWORD dst_unused:UNUSED_PAD src0_sel:WORD_0
	v_cvt_f32_u32_sdwa v4, v7 dst_sel:DWORD dst_unused:UNUSED_PAD src0_sel:WORD_1
	v_cvt_f32_u32_sdwa v7, v7 dst_sel:DWORD dst_unused:UNUSED_PAD src0_sel:WORD_0
	;; [unrolled: 2-line block ×4, first 2 shown]
	v_cndmask_b32_e32 v11, 0, v11, vcc
	v_cndmask_b32_e32 v5, 0, v4, vcc
	;; [unrolled: 1-line block ×5, first 2 shown]
	v_mul_f32_e32 v13, v11, v11
	v_cndmask_b32_e32 v8, 0, v8, vcc
	v_fmac_f32_e32 v13, v10, v10
	v_cndmask_b32_e32 v9, 0, v9, vcc
	v_fmac_f32_e32 v13, v8, v8
	;; [unrolled: 2-line block ×3, first 2 shown]
	v_fmac_f32_e32 v13, v6, v6
	v_fmac_f32_e32 v13, v7, v7
	;; [unrolled: 1-line block ×4, first 2 shown]
	s_nop 1
	v_mov_b32_dpp v15, v13 quad_perm:[1,0,3,2] row_mask:0xf bank_mask:0xf
	v_add_f32_e32 v13, v13, v15
	s_nop 1
	v_mov_b32_dpp v15, v13 quad_perm:[2,3,0,1] row_mask:0xf bank_mask:0xf
	v_add_f32_e32 v13, v13, v15
	s_nop 1
	v_mov_b32_dpp v15, v13 row_half_mirror row_mask:0xf bank_mask:0xf
	v_add_f32_e32 v13, v13, v15
	s_nop 1
	v_mov_b32_dpp v15, v13 row_mirror row_mask:0xf bank_mask:0xf
	v_add_f32_e32 v13, v13, v15
	s_nop 1
	v_mov_b32_dpp v15, v13 row_bcast:15 row_mask:0xf bank_mask:0xf
	v_add_f32_e32 v13, v13, v15
	s_nop 1
	v_mov_b32_dpp v15, v13 row_bcast:31 row_mask:0xf bank_mask:0xf
	v_add_f32_e32 v13, v13, v15
	ds_bpermute_b32 v13, v14, v13
	s_and_saveexec_b64 s[0:1], vcc
	s_cbranch_execz .LBB230_8
; %bb.25:
	v_cvt_f32_u32_e32 v14, s16
	s_mov_b32 s11, 0x20000
	s_waitcnt lgkmcnt(0)
	v_div_scale_f32 v15, s[0:1], v14, v14, v13
	v_rcp_f32_e32 v16, v15
	v_div_scale_f32 v17, vcc, v13, v14, v13
	s_mov_b32 s0, 0x800000
	v_fma_f32 v18, -v15, v16, 1.0
	v_fmac_f32_e32 v16, v18, v16
	v_mul_f32_e32 v18, v17, v16
	v_fma_f32 v19, -v15, v18, v17
	v_fmac_f32_e32 v18, v19, v16
	v_fma_f32 v15, -v15, v18, v17
	v_div_fmas_f32 v15, v15, v16, v18
	v_div_fixup_f32 v13, v15, v14, v13
	v_add_f32_e32 v13, s13, v13
	v_mul_f32_e32 v14, 0x4b800000, v13
	v_cmp_gt_f32_e32 vcc, s0, v13
	v_cndmask_b32_e32 v13, v13, v14, vcc
	v_rsq_f32_e32 v13, v13
	s_mul_hi_i32 s1, s7, s6
	s_mul_i32 s0, s7, s6
	s_lshl_b64 s[0:1], s[0:1], 1
	v_mul_f32_e32 v14, 0x45800000, v13
	v_cndmask_b32_e32 v14, v13, v14, vcc
	s_add_u32 s8, s28, s0
	v_mov_b32_e32 v15, v14
	s_addc_u32 s0, s29, s1
	;;#ASMSTART
	v_pk_mul_f32 v[10:11], v[10:11], v[14:15]
	;;#ASMEND
	;;#ASMSTART
	v_pk_mul_f32 v[8:9], v[8:9], v[14:15]
	;;#ASMEND
	;; [unrolled: 3-line block ×4, first 2 shown]
	s_waitcnt vmcnt(0)
	v_cvt_f32_u32_sdwa v15, v0 dst_sel:DWORD dst_unused:UNUSED_PAD src0_sel:WORD_1
	v_cvt_f32_u32_sdwa v14, v0 dst_sel:DWORD dst_unused:UNUSED_PAD src0_sel:WORD_0
	v_cvt_f32_u32_sdwa v17, v1 dst_sel:DWORD dst_unused:UNUSED_PAD src0_sel:WORD_1
	v_cvt_f32_u32_sdwa v16, v1 dst_sel:DWORD dst_unused:UNUSED_PAD src0_sel:WORD_0
	;; [unrolled: 2-line block ×4, first 2 shown]
	;;#ASMSTART
	v_pk_mul_f32 v[2:3], v[10:11], v[14:15]
	;;#ASMEND
	s_and_b32 s9, s0, 0xffff
	s_mov_b32 s0, 0x7060302
	;;#ASMSTART
	v_pk_mul_f32 v[8:9], v[8:9], v[16:17]
	;;#ASMEND
	;;#ASMSTART
	v_pk_mul_f32 v[6:7], v[6:7], v[0:1]
	;;#ASMEND
	;; [unrolled: 3-line block ×3, first 2 shown]
	v_perm_b32 v0, v3, v2, s0
	v_perm_b32 v1, v9, v8, s0
	;; [unrolled: 1-line block ×4, first 2 shown]
	buffer_store_dwordx4 v[0:3], v12, s[8:11], 0 offen
	;;#ASMSTART
	s_nop 0
	;;#ASMEND
	s_endpgm
	.section	.rodata,"a",@progbits
	.p2align	6, 0x0
	.amdhsa_kernel _ZN5aiter35fused_qk_rmsnorm_group_quant_kernelItDB8_Li64ELi8ELi4ELb0ELb1ELb0ELb0ELb0ELb0EEEvPT0_PvPT_S6_S6_PKS5_S8_S8_S8_S8_ffiiiiiiiiiiiii
		.amdhsa_group_segment_fixed_size 0
		.amdhsa_private_segment_fixed_size 0
		.amdhsa_kernarg_size 400
		.amdhsa_user_sgpr_count 6
		.amdhsa_user_sgpr_private_segment_buffer 1
		.amdhsa_user_sgpr_dispatch_ptr 0
		.amdhsa_user_sgpr_queue_ptr 0
		.amdhsa_user_sgpr_kernarg_segment_ptr 1
		.amdhsa_user_sgpr_dispatch_id 0
		.amdhsa_user_sgpr_flat_scratch_init 0
		.amdhsa_user_sgpr_kernarg_preload_length 0
		.amdhsa_user_sgpr_kernarg_preload_offset 0
		.amdhsa_user_sgpr_private_segment_size 0
		.amdhsa_uses_dynamic_stack 0
		.amdhsa_system_sgpr_private_segment_wavefront_offset 0
		.amdhsa_system_sgpr_workgroup_id_x 1
		.amdhsa_system_sgpr_workgroup_id_y 1
		.amdhsa_system_sgpr_workgroup_id_z 0
		.amdhsa_system_sgpr_workgroup_info 0
		.amdhsa_system_vgpr_workitem_id 0
		.amdhsa_next_free_vgpr 23
		.amdhsa_next_free_sgpr 32
		.amdhsa_accum_offset 24
		.amdhsa_reserve_vcc 1
		.amdhsa_reserve_flat_scratch 0
		.amdhsa_float_round_mode_32 0
		.amdhsa_float_round_mode_16_64 0
		.amdhsa_float_denorm_mode_32 3
		.amdhsa_float_denorm_mode_16_64 3
		.amdhsa_dx10_clamp 1
		.amdhsa_ieee_mode 1
		.amdhsa_fp16_overflow 0
		.amdhsa_tg_split 0
		.amdhsa_exception_fp_ieee_invalid_op 0
		.amdhsa_exception_fp_denorm_src 0
		.amdhsa_exception_fp_ieee_div_zero 0
		.amdhsa_exception_fp_ieee_overflow 0
		.amdhsa_exception_fp_ieee_underflow 0
		.amdhsa_exception_fp_ieee_inexact 0
		.amdhsa_exception_int_div_zero 0
	.end_amdhsa_kernel
	.section	.text._ZN5aiter35fused_qk_rmsnorm_group_quant_kernelItDB8_Li64ELi8ELi4ELb0ELb1ELb0ELb0ELb0ELb0EEEvPT0_PvPT_S6_S6_PKS5_S8_S8_S8_S8_ffiiiiiiiiiiiii,"axG",@progbits,_ZN5aiter35fused_qk_rmsnorm_group_quant_kernelItDB8_Li64ELi8ELi4ELb0ELb1ELb0ELb0ELb0ELb0EEEvPT0_PvPT_S6_S6_PKS5_S8_S8_S8_S8_ffiiiiiiiiiiiii,comdat
.Lfunc_end230:
	.size	_ZN5aiter35fused_qk_rmsnorm_group_quant_kernelItDB8_Li64ELi8ELi4ELb0ELb1ELb0ELb0ELb0ELb0EEEvPT0_PvPT_S6_S6_PKS5_S8_S8_S8_S8_ffiiiiiiiiiiiii, .Lfunc_end230-_ZN5aiter35fused_qk_rmsnorm_group_quant_kernelItDB8_Li64ELi8ELi4ELb0ELb1ELb0ELb0ELb0ELb0EEEvPT0_PvPT_S6_S6_PKS5_S8_S8_S8_S8_ffiiiiiiiiiiiii
                                        ; -- End function
	.section	.AMDGPU.csdata,"",@progbits
; Kernel info:
; codeLenInByte = 2488
; NumSgprs: 36
; NumVgprs: 23
; NumAgprs: 0
; TotalNumVgprs: 23
; ScratchSize: 0
; MemoryBound: 0
; FloatMode: 240
; IeeeMode: 1
; LDSByteSize: 0 bytes/workgroup (compile time only)
; SGPRBlocks: 4
; VGPRBlocks: 2
; NumSGPRsForWavesPerEU: 36
; NumVGPRsForWavesPerEU: 23
; AccumOffset: 24
; Occupancy: 8
; WaveLimiterHint : 0
; COMPUTE_PGM_RSRC2:SCRATCH_EN: 0
; COMPUTE_PGM_RSRC2:USER_SGPR: 6
; COMPUTE_PGM_RSRC2:TRAP_HANDLER: 0
; COMPUTE_PGM_RSRC2:TGID_X_EN: 1
; COMPUTE_PGM_RSRC2:TGID_Y_EN: 1
; COMPUTE_PGM_RSRC2:TGID_Z_EN: 0
; COMPUTE_PGM_RSRC2:TIDIG_COMP_CNT: 0
; COMPUTE_PGM_RSRC3_GFX90A:ACCUM_OFFSET: 5
; COMPUTE_PGM_RSRC3_GFX90A:TG_SPLIT: 0
	.section	.text._ZN5aiter35fused_qk_rmsnorm_group_quant_kernelIDF16_N4opus5fp4_tELi64ELi8ELi4ELb0ELb1ELb0ELb0ELb0ELb0EEEvPT0_PvPT_S7_S7_PKS6_S9_S9_S9_S9_ffiiiiiiiiiiiii,"axG",@progbits,_ZN5aiter35fused_qk_rmsnorm_group_quant_kernelIDF16_N4opus5fp4_tELi64ELi8ELi4ELb0ELb1ELb0ELb0ELb0ELb0EEEvPT0_PvPT_S7_S7_PKS6_S9_S9_S9_S9_ffiiiiiiiiiiiii,comdat
	.protected	_ZN5aiter35fused_qk_rmsnorm_group_quant_kernelIDF16_N4opus5fp4_tELi64ELi8ELi4ELb0ELb1ELb0ELb0ELb0ELb0EEEvPT0_PvPT_S7_S7_PKS6_S9_S9_S9_S9_ffiiiiiiiiiiiii ; -- Begin function _ZN5aiter35fused_qk_rmsnorm_group_quant_kernelIDF16_N4opus5fp4_tELi64ELi8ELi4ELb0ELb1ELb0ELb0ELb0ELb0EEEvPT0_PvPT_S7_S7_PKS6_S9_S9_S9_S9_ffiiiiiiiiiiiii
	.globl	_ZN5aiter35fused_qk_rmsnorm_group_quant_kernelIDF16_N4opus5fp4_tELi64ELi8ELi4ELb0ELb1ELb0ELb0ELb0ELb0EEEvPT0_PvPT_S7_S7_PKS6_S9_S9_S9_S9_ffiiiiiiiiiiiii
	.p2align	8
	.type	_ZN5aiter35fused_qk_rmsnorm_group_quant_kernelIDF16_N4opus5fp4_tELi64ELi8ELi4ELb0ELb1ELb0ELb0ELb0ELb0EEEvPT0_PvPT_S7_S7_PKS6_S9_S9_S9_S9_ffiiiiiiiiiiiii,@function
_ZN5aiter35fused_qk_rmsnorm_group_quant_kernelIDF16_N4opus5fp4_tELi64ELi8ELi4ELb0ELb1ELb0ELb0ELb0ELb0EEEvPT0_PvPT_S7_S7_PKS6_S9_S9_S9_S9_ffiiiiiiiiiiiii: ; @_ZN5aiter35fused_qk_rmsnorm_group_quant_kernelIDF16_N4opus5fp4_tELi64ELi8ELi4ELb0ELb1ELb0ELb0ELb0ELb0EEEvPT0_PvPT_S7_S7_PKS6_S9_S9_S9_S9_ffiiiiiiiiiiiii
; %bb.0:
	s_load_dwordx4 s[12:15], s[4:5], 0x50
	s_waitcnt lgkmcnt(0)
	s_cmp_ge_i32 s6, s14
	s_cbranch_scc1 .LBB231_10
; %bb.1:
	s_load_dwordx2 s[8:9], s[4:5], 0x48
	s_load_dwordx2 s[30:31], s[4:5], 0x30
	s_load_dwordx4 s[16:19], s[4:5], 0x60
	s_cmp_lg_u32 s7, 0
	s_cselect_b64 s[2:3], -1, 0
	s_cmp_eq_u32 s7, 0
	s_cselect_b64 vcc, -1, 0
	s_and_b64 s[0:1], vcc, exec
	s_waitcnt lgkmcnt(0)
	s_cselect_b32 s7, s15, s16
	s_add_i32 s0, s7, 1
	s_lshr_b32 s1, s0, 31
	s_add_i32 s0, s0, s1
	s_lshl_b32 s0, s0, 1
	v_lshlrev_b32_e32 v1, 3, v0
	s_and_b32 s22, s0, -4
	v_cmp_gt_i32_e64 s[0:1], s7, v1
	v_mov_b32_e32 v10, 0
	v_mov_b32_e32 v2, 0
	;; [unrolled: 1-line block ×9, first 2 shown]
	s_and_saveexec_b64 s[10:11], s[0:1]
	s_cbranch_execz .LBB231_3
; %bb.2:
	s_load_dwordx2 s[20:21], s[4:5], 0x28
	s_load_dwordx2 s[26:27], s[4:5], 0x40
	s_and_b64 s[24:25], vcc, exec
	s_cselect_b32 s14, s17, s18
	s_mov_b32 s23, 0x20000
	s_waitcnt lgkmcnt(0)
	s_cselect_b32 s17, s21, s31
	s_cselect_b32 s19, s20, s30
	s_mul_hi_i32 s21, s14, s6
	s_mul_i32 s20, s14, s6
	s_lshl_b64 s[20:21], s[20:21], 1
	s_add_u32 s24, s19, s20
	s_addc_u32 s14, s17, s21
	s_and_b64 s[20:21], vcc, exec
	s_cselect_b32 s20, s26, s8
	s_cselect_b32 s17, s27, s9
	v_lshlrev_b32_e32 v11, 4, v0
	s_and_b32 s25, s14, 0xffff
	s_mov_b32 s26, s22
	s_mov_b32 s27, s23
	s_and_b32 s21, s17, 0xffff
	buffer_load_dwordx4 v[6:9], v11, s[24:27], 0 offen glc slc
	buffer_load_dwordx4 v[2:5], v11, s[20:23], 0 offen
.LBB231_3:
	s_or_b64 exec, exec, s[10:11]
	v_mov_b32_e32 v11, 0
	v_mov_b32_e32 v16, 0
	;; [unrolled: 1-line block ×7, first 2 shown]
	s_and_saveexec_b64 s[10:11], s[0:1]
	s_cbranch_execz .LBB231_5
; %bb.4:
	s_waitcnt vmcnt(1)
	v_cvt_f32_f16_sdwa v11, v6 dst_sel:DWORD dst_unused:UNUSED_PAD src0_sel:WORD_1
	v_cvt_f32_f16_e32 v10, v6
	v_cvt_f32_f16_sdwa v17, v7 dst_sel:DWORD dst_unused:UNUSED_PAD src0_sel:WORD_1
	v_cvt_f32_f16_e32 v16, v7
	;; [unrolled: 2-line block ×4, first 2 shown]
.LBB231_5:
	s_or_b64 exec, exec, s[10:11]
	s_waitcnt vmcnt(1)
	v_mul_f32_e32 v6, v11, v11
	v_fmac_f32_e32 v6, v10, v10
	v_fmac_f32_e32 v6, v16, v16
	v_fmac_f32_e32 v6, v17, v17
	v_fmac_f32_e32 v6, v12, v12
	v_fmac_f32_e32 v6, v13, v13
	v_fmac_f32_e32 v6, v14, v14
	v_fmac_f32_e32 v6, v15, v15
	v_bfrev_b32_e32 v8, 0.5
	s_load_dwordx2 s[28:29], s[4:5], 0x18
	v_mov_b32_dpp v7, v6 quad_perm:[1,0,3,2] row_mask:0xf bank_mask:0xf
	v_add_f32_e32 v6, v6, v7
	s_nop 1
	v_mov_b32_dpp v7, v6 quad_perm:[2,3,0,1] row_mask:0xf bank_mask:0xf
	v_add_f32_e32 v6, v6, v7
	s_nop 1
	v_mov_b32_dpp v7, v6 row_half_mirror row_mask:0xf bank_mask:0xf
	v_add_f32_e32 v6, v6, v7
	s_nop 1
	v_mov_b32_dpp v7, v6 row_mirror row_mask:0xf bank_mask:0xf
	v_add_f32_e32 v6, v6, v7
	s_nop 1
	v_mov_b32_dpp v7, v6 row_bcast:15 row_mask:0xf bank_mask:0xf
	v_add_f32_e32 v6, v6, v7
	s_nop 1
	v_mov_b32_dpp v7, v6 row_bcast:31 row_mask:0xf bank_mask:0xf
	v_add_f32_e32 v6, v6, v7
	v_mbcnt_lo_u32_b32 v7, -1, 0
	v_mbcnt_hi_u32_b32 v7, -1, v7
	v_lshl_or_b32 v18, v7, 2, v8
	ds_bpermute_b32 v6, v18, v6
	s_and_saveexec_b64 s[10:11], s[0:1]
	s_cbranch_execz .LBB231_7
; %bb.6:
	v_cvt_f32_u32_e32 v7, s7
	v_mov_b32_e32 v8, s13
	v_mov_b32_e32 v9, s12
	v_cndmask_b32_e32 v8, v8, v9, vcc
	s_waitcnt lgkmcnt(0)
	v_div_scale_f32 v19, s[20:21], v7, v7, v6
	v_rcp_f32_e32 v20, v19
	v_div_scale_f32 v9, vcc, v6, v7, v6
	s_mov_b32 s7, 0x800000
	v_fma_f32 v21, -v19, v20, 1.0
	v_fmac_f32_e32 v20, v21, v20
	v_mul_f32_e32 v21, v9, v20
	v_fma_f32 v22, -v19, v21, v9
	v_fmac_f32_e32 v21, v22, v20
	v_fma_f32 v9, -v19, v21, v9
	v_div_fmas_f32 v9, v9, v20, v21
	v_div_fixup_f32 v6, v9, v7, v6
	v_add_f32_e32 v6, v8, v6
	v_mul_f32_e32 v7, 0x4b800000, v6
	v_cmp_gt_f32_e32 vcc, s7, v6
	v_cndmask_b32_e32 v6, v6, v7, vcc
	v_rsq_f32_e32 v6, v6
	s_waitcnt vmcnt(0)
	v_cvt_f32_f16_sdwa v21, v5 dst_sel:DWORD dst_unused:UNUSED_PAD src0_sel:WORD_1
	v_cvt_f32_f16_e32 v20, v5
	v_mul_f32_e32 v7, 0x45800000, v6
	v_cndmask_b32_e32 v6, v6, v7, vcc
	v_mov_b32_e32 v7, v6
	;;#ASMSTART
	v_pk_mul_f32 v[8:9], v[10:11], v[6:7]
	;;#ASMEND
	;;#ASMSTART
	v_pk_mul_f32 v[16:17], v[16:17], v[6:7]
	;;#ASMEND
	;; [unrolled: 3-line block ×4, first 2 shown]
	v_cvt_f32_f16_sdwa v11, v2 dst_sel:DWORD dst_unused:UNUSED_PAD src0_sel:WORD_1
	v_cvt_f32_f16_e32 v10, v2
	v_cvt_f32_f16_sdwa v15, v3 dst_sel:DWORD dst_unused:UNUSED_PAD src0_sel:WORD_1
	v_cvt_f32_f16_e32 v14, v3
	;; [unrolled: 2-line block ×3, first 2 shown]
	;;#ASMSTART
	v_pk_mul_f32 v[10:11], v[8:9], v[10:11]
	;;#ASMEND
	;;#ASMSTART
	v_pk_mul_f32 v[16:17], v[16:17], v[14:15]
	;;#ASMEND
	;; [unrolled: 3-line block ×4, first 2 shown]
.LBB231_7:
	s_or_b64 exec, exec, s[10:11]
	s_load_dword s7, s[4:5], 0x80
	s_mov_b64 s[10:11], -1
	s_and_b64 vcc, exec, s[2:3]
	s_cbranch_vccnz .LBB231_11
; %bb.8:
	s_andn2_b64 vcc, exec, s[10:11]
	s_cbranch_vccz .LBB231_14
.LBB231_9:
	s_cmp_lt_i32 s16, 1
	s_cbranch_scc0 .LBB231_23
.LBB231_10:
	s_endpgm
.LBB231_11:
	s_and_saveexec_b64 s[2:3], s[0:1]
	s_cbranch_execz .LBB231_13
; %bb.12:
	s_waitcnt lgkmcnt(0)
	s_mul_hi_i32 s11, s7, s6
	s_mul_i32 s10, s7, s6
	s_waitcnt vmcnt(0)
	v_cvt_f16_f32_e32 v2, v10
	v_cvt_f16_f32_e32 v3, v16
	;; [unrolled: 1-line block ×8, first 2 shown]
	s_lshl_b64 s[10:11], s[10:11], 1
	s_add_u32 s20, s28, s10
	s_addc_u32 s10, s29, s11
	s_and_b32 s21, s10, 0xffff
	s_mov_b32 s23, 0x20000
	v_pack_b32_f16 v5, v5, v6
	v_pack_b32_f16 v4, v4, v7
	;; [unrolled: 1-line block ×4, first 2 shown]
	v_lshlrev_b32_e32 v6, 4, v0
	buffer_store_dwordx4 v[2:5], v6, s[20:23], 0 offen
	;;#ASMSTART
	s_nop 0
	;;#ASMEND
.LBB231_13:
	s_or_b64 exec, exec, s[2:3]
	s_cbranch_execnz .LBB231_9
.LBB231_14:
	s_load_dwordx4 s[24:27], s[4:5], 0x70
	s_waitcnt vmcnt(0)
	v_mov_b32_e32 v2, 0
	s_and_saveexec_b64 s[2:3], s[0:1]
	s_cbranch_execz .LBB231_16
; %bb.15:
	s_load_dwordx2 s[10:11], s[4:5], 0x10
	s_waitcnt lgkmcnt(0)
	s_mul_hi_i32 s21, s27, s6
	s_mul_i32 s20, s27, s6
	v_cvt_f16_f32_e32 v2, v10
	v_cvt_f16_f32_e32 v3, v16
	;; [unrolled: 1-line block ×8, first 2 shown]
	s_lshl_b64 s[20:21], s[20:21], 1
	s_add_u32 s20, s10, s20
	s_addc_u32 s10, s11, s21
	s_mov_b32 s23, 0x20000
	s_and_b32 s21, s10, 0xffff
	v_pack_b32_f16 v5, v5, v6
	v_pack_b32_f16 v4, v4, v7
	;; [unrolled: 1-line block ×4, first 2 shown]
	v_lshlrev_b32_e32 v6, 4, v0
	buffer_store_dwordx4 v[2:5], v6, s[20:23], 0 offen
	;;#ASMSTART
	s_nop 0
	;;#ASMEND
	s_nop 0
	v_mov_b32_e32 v2, 0x2edbe6ff
.LBB231_16:
	s_or_b64 exec, exec, s[2:3]
	s_and_saveexec_b64 s[2:3], s[0:1]
	s_cbranch_execz .LBB231_18
; %bb.17:
	v_and_b32_e32 v3, 0x7fffffff, v10
	v_and_b32_e32 v4, 0x7fffffff, v11
	;;#ASMSTART
	v_max3_f32 v2, v2, v3, v4

	;;#ASMEND
	v_and_b32_e32 v3, 0x7fffffff, v16
	v_and_b32_e32 v4, 0x7fffffff, v17
	;;#ASMSTART
	v_max3_f32 v2, v2, v3, v4

	;;#ASMEND
	;; [unrolled: 6-line block ×4, first 2 shown]
.LBB231_18:
	s_or_b64 exec, exec, s[2:3]
	;;#ASMSTART
	v_max_f32 v3, v2, v2 quad_perm:[1,0,3,2] row_mask:0xf bank_mask:0xf bound_ctrl:1
	;;#ASMEND
	;;#ASMSTART
	v_max_f32 v2, v3, v3 quad_perm:[2,3,0,1] row_mask:0xf bank_mask:0xf bound_ctrl:1
	;;#ASMEND
	v_and_b32_e32 v3, 3, v0
	v_cmp_eq_u32_e32 vcc, 0, v3
	v_cmp_gt_i32_e64 s[2:3], s15, v1
	s_and_b64 s[10:11], vcc, s[2:3]
	s_and_saveexec_b64 s[2:3], s[10:11]
	s_cbranch_execz .LBB231_20
; %bb.19:
	s_load_dwordx2 s[10:11], s[4:5], 0x8
	v_mul_f32_e32 v2, 0x3e2aaaab, v2
	v_lshrrev_b32_e32 v3, 23, v2
	v_and_b32_e32 v4, 0x7f800000, v2
	v_and_b32_e32 v2, 0x7fffff, v2
	v_cmp_ne_u32_e32 vcc, 0, v2
	s_waitcnt lgkmcnt(0)
	s_mul_i32 s17, s25, s6
	s_mov_b32 s12, 0x7f800000
	v_addc_co_u32_e32 v2, vcc, 0, v3, vcc
	s_mul_hi_i32 s14, s25, s6
	s_add_u32 s10, s10, s17
	v_cmp_ne_u32_e32 vcc, s12, v4
	s_addc_u32 s11, s11, s14
	v_lshrrev_b32_e32 v5, 2, v0
	v_cndmask_b32_e32 v4, -1, v2, vcc
	v_pk_mov_b32 v[2:3], s[10:11], s[10:11] op_sel:[0,1]
	v_mad_i64_i32 v[2:3], s[10:11], s26, v5, v[2:3]
	global_store_byte v[2:3], v4, off
.LBB231_20:
	s_or_b64 exec, exec, s[2:3]
	s_and_saveexec_b64 s[2:3], s[0:1]
	s_cbranch_execz .LBB231_22
; %bb.21:
	s_load_dwordx2 s[0:1], s[4:5], 0x0
	s_waitcnt lgkmcnt(0)
	s_mul_i32 s11, s24, s6
	s_mul_hi_i32 s10, s24, s6
	v_lshlrev_b32_e32 v2, 2, v0
	s_mov_b32 s23, 0x20000
	s_add_u32 s20, s0, s11
	s_addc_u32 s0, s1, s10
	s_lshr_b32 s1, s15, 31
	s_add_i32 s1, s15, s1
	s_ashr_i32 s1, s1, 1
	s_add_i32 s1, s1, 3
	s_ashr_i32 s10, s1, 31
	s_lshr_b32 s10, s10, 30
	s_add_i32 s1, s1, s10
	s_and_b32 s22, s1, -4
	s_and_b32 s21, s0, 0xffff
	v_mov_b32_e32 v3, 0
	buffer_store_dword v3, v2, s[20:23], 0 offen
	;;#ASMSTART
	s_nop 0
	;;#ASMEND
.LBB231_22:
	s_or_b64 exec, exec, s[2:3]
	s_cmp_lt_i32 s16, 1
	s_cbranch_scc1 .LBB231_10
.LBB231_23:
	s_load_dword s0, s[4:5], 0x94
	s_waitcnt lgkmcnt(0)
	s_cmp_lg_u32 s0, 1
	s_cbranch_scc1 .LBB231_10
; %bb.24:
	s_lshl_b32 s0, s16, 1
	s_add_i32 s0, s0, 2
	v_cmp_gt_u32_e32 vcc, s16, v1
	s_and_b32 s10, s0, -4
	v_mov_b32_e32 v8, 0
	v_lshlrev_b32_e32 v16, 4, v0
	s_waitcnt vmcnt(0)
	v_mov_b32_e32 v4, 0
	v_mov_b32_e32 v5, 0
	;; [unrolled: 1-line block ×8, first 2 shown]
	s_barrier
	s_and_saveexec_b64 s[0:1], vcc
	s_cbranch_execz .LBB231_26
; %bb.25:
	s_mul_hi_i32 s3, s18, s6
	s_mul_i32 s2, s18, s6
	s_and_b32 s9, s9, 0xffff
	s_lshl_b64 s[2:3], s[2:3], 1
	s_add_u32 s20, s30, s2
	s_mov_b32 s11, 0x20000
	s_addc_u32 s2, s31, s3
	s_and_b32 s21, s2, 0xffff
	s_mov_b32 s22, s10
	s_mov_b32 s23, s11
	buffer_load_dwordx4 v[4:7], v16, s[20:23], 0 offen glc slc
	buffer_load_dwordx4 v[0:3], v16, s[8:11], 0 offen
.LBB231_26:
	s_or_b64 exec, exec, s[0:1]
	v_mov_b32_e32 v9, 0
	v_mov_b32_e32 v14, 0
	;; [unrolled: 1-line block ×7, first 2 shown]
	s_and_saveexec_b64 s[0:1], vcc
	s_cbranch_execz .LBB231_28
; %bb.27:
	s_waitcnt vmcnt(1)
	v_cvt_f32_f16_sdwa v9, v4 dst_sel:DWORD dst_unused:UNUSED_PAD src0_sel:WORD_1
	v_cvt_f32_f16_e32 v8, v4
	v_cvt_f32_f16_sdwa v15, v5 dst_sel:DWORD dst_unused:UNUSED_PAD src0_sel:WORD_1
	v_cvt_f32_f16_e32 v14, v5
	;; [unrolled: 2-line block ×4, first 2 shown]
.LBB231_28:
	s_or_b64 exec, exec, s[0:1]
	s_waitcnt vmcnt(1)
	v_mul_f32_e32 v4, v9, v9
	v_fmac_f32_e32 v4, v8, v8
	v_fmac_f32_e32 v4, v14, v14
	v_fmac_f32_e32 v4, v15, v15
	v_fmac_f32_e32 v4, v12, v12
	v_fmac_f32_e32 v4, v13, v13
	v_fmac_f32_e32 v4, v10, v10
	v_fmac_f32_e32 v4, v11, v11
	s_nop 1
	v_mov_b32_dpp v5, v4 quad_perm:[1,0,3,2] row_mask:0xf bank_mask:0xf
	v_add_f32_e32 v4, v4, v5
	s_nop 1
	v_mov_b32_dpp v5, v4 quad_perm:[2,3,0,1] row_mask:0xf bank_mask:0xf
	v_add_f32_e32 v4, v4, v5
	s_nop 1
	v_mov_b32_dpp v5, v4 row_half_mirror row_mask:0xf bank_mask:0xf
	v_add_f32_e32 v4, v4, v5
	s_nop 1
	v_mov_b32_dpp v5, v4 row_mirror row_mask:0xf bank_mask:0xf
	v_add_f32_e32 v4, v4, v5
	s_nop 1
	v_mov_b32_dpp v5, v4 row_bcast:15 row_mask:0xf bank_mask:0xf
	v_add_f32_e32 v4, v4, v5
	s_nop 1
	v_mov_b32_dpp v5, v4 row_bcast:31 row_mask:0xf bank_mask:0xf
	v_add_f32_e32 v4, v4, v5
	ds_bpermute_b32 v4, v18, v4
	s_and_saveexec_b64 s[0:1], vcc
	s_cbranch_execz .LBB231_10
; %bb.29:
	v_cvt_f32_u32_e32 v5, s16
	s_mov_b32 s11, 0x20000
	s_waitcnt lgkmcnt(0)
	v_div_scale_f32 v6, s[0:1], v5, v5, v4
	v_rcp_f32_e32 v7, v6
	v_div_scale_f32 v17, vcc, v4, v5, v4
	s_mov_b32 s0, 0x800000
	v_fma_f32 v18, -v6, v7, 1.0
	v_fmac_f32_e32 v7, v18, v7
	v_mul_f32_e32 v18, v17, v7
	v_fma_f32 v19, -v6, v18, v17
	v_fmac_f32_e32 v18, v19, v7
	v_fma_f32 v6, -v6, v18, v17
	v_div_fmas_f32 v6, v6, v7, v18
	v_div_fixup_f32 v4, v6, v5, v4
	v_add_f32_e32 v4, s13, v4
	v_mul_f32_e32 v5, 0x4b800000, v4
	v_cmp_gt_f32_e32 vcc, s0, v4
	v_cndmask_b32_e32 v4, v4, v5, vcc
	v_rsq_f32_e32 v4, v4
	s_waitcnt vmcnt(0)
	v_cvt_f32_f16_sdwa v19, v3 dst_sel:DWORD dst_unused:UNUSED_PAD src0_sel:WORD_1
	v_cvt_f32_f16_e32 v18, v3
	s_mul_hi_i32 s1, s7, s6
	v_mul_f32_e32 v5, 0x45800000, v4
	v_cndmask_b32_e32 v4, v4, v5, vcc
	v_mov_b32_e32 v5, v4
	;;#ASMSTART
	v_pk_mul_f32 v[6:7], v[8:9], v[4:5]
	;;#ASMEND
	;;#ASMSTART
	v_pk_mul_f32 v[8:9], v[14:15], v[4:5]
	;;#ASMEND
	;;#ASMSTART
	v_pk_mul_f32 v[12:13], v[12:13], v[4:5]
	;;#ASMEND
	;;#ASMSTART
	v_pk_mul_f32 v[4:5], v[10:11], v[4:5]
	;;#ASMEND
	v_cvt_f32_f16_sdwa v11, v0 dst_sel:DWORD dst_unused:UNUSED_PAD src0_sel:WORD_1
	v_cvt_f32_f16_e32 v10, v0
	v_cvt_f32_f16_sdwa v15, v1 dst_sel:DWORD dst_unused:UNUSED_PAD src0_sel:WORD_1
	v_cvt_f32_f16_e32 v14, v1
	v_cvt_f32_f16_sdwa v1, v2 dst_sel:DWORD dst_unused:UNUSED_PAD src0_sel:WORD_1
	v_cvt_f32_f16_e32 v0, v2
	;;#ASMSTART
	v_pk_mul_f32 v[2:3], v[6:7], v[10:11]
	;;#ASMEND
	;;#ASMSTART
	v_pk_mul_f32 v[6:7], v[8:9], v[14:15]
	;;#ASMEND
	;; [unrolled: 3-line block ×4, first 2 shown]
	s_mul_i32 s0, s7, s6
	v_cvt_f16_f32_e32 v2, v2
	v_cvt_f16_f32_e32 v3, v3
	;; [unrolled: 1-line block ×8, first 2 shown]
	s_lshl_b64 s[0:1], s[0:1], 1
	s_add_u32 s8, s28, s0
	s_addc_u32 s0, s29, s1
	s_and_b32 s9, s0, 0xffff
	v_pack_b32_f16 v0, v2, v3
	v_pack_b32_f16 v1, v6, v7
	;; [unrolled: 1-line block ×4, first 2 shown]
	buffer_store_dwordx4 v[0:3], v16, s[8:11], 0 offen
	;;#ASMSTART
	s_nop 0
	;;#ASMEND
	s_endpgm
	.section	.rodata,"a",@progbits
	.p2align	6, 0x0
	.amdhsa_kernel _ZN5aiter35fused_qk_rmsnorm_group_quant_kernelIDF16_N4opus5fp4_tELi64ELi8ELi4ELb0ELb1ELb0ELb0ELb0ELb0EEEvPT0_PvPT_S7_S7_PKS6_S9_S9_S9_S9_ffiiiiiiiiiiiii
		.amdhsa_group_segment_fixed_size 0
		.amdhsa_private_segment_fixed_size 0
		.amdhsa_kernarg_size 400
		.amdhsa_user_sgpr_count 6
		.amdhsa_user_sgpr_private_segment_buffer 1
		.amdhsa_user_sgpr_dispatch_ptr 0
		.amdhsa_user_sgpr_queue_ptr 0
		.amdhsa_user_sgpr_kernarg_segment_ptr 1
		.amdhsa_user_sgpr_dispatch_id 0
		.amdhsa_user_sgpr_flat_scratch_init 0
		.amdhsa_user_sgpr_kernarg_preload_length 0
		.amdhsa_user_sgpr_kernarg_preload_offset 0
		.amdhsa_user_sgpr_private_segment_size 0
		.amdhsa_uses_dynamic_stack 0
		.amdhsa_system_sgpr_private_segment_wavefront_offset 0
		.amdhsa_system_sgpr_workgroup_id_x 1
		.amdhsa_system_sgpr_workgroup_id_y 1
		.amdhsa_system_sgpr_workgroup_id_z 0
		.amdhsa_system_sgpr_workgroup_info 0
		.amdhsa_system_vgpr_workitem_id 0
		.amdhsa_next_free_vgpr 23
		.amdhsa_next_free_sgpr 32
		.amdhsa_accum_offset 24
		.amdhsa_reserve_vcc 1
		.amdhsa_reserve_flat_scratch 0
		.amdhsa_float_round_mode_32 0
		.amdhsa_float_round_mode_16_64 0
		.amdhsa_float_denorm_mode_32 3
		.amdhsa_float_denorm_mode_16_64 3
		.amdhsa_dx10_clamp 1
		.amdhsa_ieee_mode 1
		.amdhsa_fp16_overflow 0
		.amdhsa_tg_split 0
		.amdhsa_exception_fp_ieee_invalid_op 0
		.amdhsa_exception_fp_denorm_src 0
		.amdhsa_exception_fp_ieee_div_zero 0
		.amdhsa_exception_fp_ieee_overflow 0
		.amdhsa_exception_fp_ieee_underflow 0
		.amdhsa_exception_fp_ieee_inexact 0
		.amdhsa_exception_int_div_zero 0
	.end_amdhsa_kernel
	.section	.text._ZN5aiter35fused_qk_rmsnorm_group_quant_kernelIDF16_N4opus5fp4_tELi64ELi8ELi4ELb0ELb1ELb0ELb0ELb0ELb0EEEvPT0_PvPT_S7_S7_PKS6_S9_S9_S9_S9_ffiiiiiiiiiiiii,"axG",@progbits,_ZN5aiter35fused_qk_rmsnorm_group_quant_kernelIDF16_N4opus5fp4_tELi64ELi8ELi4ELb0ELb1ELb0ELb0ELb0ELb0EEEvPT0_PvPT_S7_S7_PKS6_S9_S9_S9_S9_ffiiiiiiiiiiiii,comdat
.Lfunc_end231:
	.size	_ZN5aiter35fused_qk_rmsnorm_group_quant_kernelIDF16_N4opus5fp4_tELi64ELi8ELi4ELb0ELb1ELb0ELb0ELb0ELb0EEEvPT0_PvPT_S7_S7_PKS6_S9_S9_S9_S9_ffiiiiiiiiiiiii, .Lfunc_end231-_ZN5aiter35fused_qk_rmsnorm_group_quant_kernelIDF16_N4opus5fp4_tELi64ELi8ELi4ELb0ELb1ELb0ELb0ELb0ELb0EEEvPT0_PvPT_S7_S7_PKS6_S9_S9_S9_S9_ffiiiiiiiiiiiii
                                        ; -- End function
	.section	.AMDGPU.csdata,"",@progbits
; Kernel info:
; codeLenInByte = 2312
; NumSgprs: 36
; NumVgprs: 23
; NumAgprs: 0
; TotalNumVgprs: 23
; ScratchSize: 0
; MemoryBound: 0
; FloatMode: 240
; IeeeMode: 1
; LDSByteSize: 0 bytes/workgroup (compile time only)
; SGPRBlocks: 4
; VGPRBlocks: 2
; NumSGPRsForWavesPerEU: 36
; NumVGPRsForWavesPerEU: 23
; AccumOffset: 24
; Occupancy: 8
; WaveLimiterHint : 0
; COMPUTE_PGM_RSRC2:SCRATCH_EN: 0
; COMPUTE_PGM_RSRC2:USER_SGPR: 6
; COMPUTE_PGM_RSRC2:TRAP_HANDLER: 0
; COMPUTE_PGM_RSRC2:TGID_X_EN: 1
; COMPUTE_PGM_RSRC2:TGID_Y_EN: 1
; COMPUTE_PGM_RSRC2:TGID_Z_EN: 0
; COMPUTE_PGM_RSRC2:TIDIG_COMP_CNT: 0
; COMPUTE_PGM_RSRC3_GFX90A:ACCUM_OFFSET: 5
; COMPUTE_PGM_RSRC3_GFX90A:TG_SPLIT: 0
	.section	.text._ZN5aiter35fused_qk_rmsnorm_group_quant_kernelItN4opus5fp4_tELi64ELi8ELi4ELb0ELb1ELb0ELb0ELb0ELb0EEEvPT0_PvPT_S7_S7_PKS6_S9_S9_S9_S9_ffiiiiiiiiiiiii,"axG",@progbits,_ZN5aiter35fused_qk_rmsnorm_group_quant_kernelItN4opus5fp4_tELi64ELi8ELi4ELb0ELb1ELb0ELb0ELb0ELb0EEEvPT0_PvPT_S7_S7_PKS6_S9_S9_S9_S9_ffiiiiiiiiiiiii,comdat
	.protected	_ZN5aiter35fused_qk_rmsnorm_group_quant_kernelItN4opus5fp4_tELi64ELi8ELi4ELb0ELb1ELb0ELb0ELb0ELb0EEEvPT0_PvPT_S7_S7_PKS6_S9_S9_S9_S9_ffiiiiiiiiiiiii ; -- Begin function _ZN5aiter35fused_qk_rmsnorm_group_quant_kernelItN4opus5fp4_tELi64ELi8ELi4ELb0ELb1ELb0ELb0ELb0ELb0EEEvPT0_PvPT_S7_S7_PKS6_S9_S9_S9_S9_ffiiiiiiiiiiiii
	.globl	_ZN5aiter35fused_qk_rmsnorm_group_quant_kernelItN4opus5fp4_tELi64ELi8ELi4ELb0ELb1ELb0ELb0ELb0ELb0EEEvPT0_PvPT_S7_S7_PKS6_S9_S9_S9_S9_ffiiiiiiiiiiiii
	.p2align	8
	.type	_ZN5aiter35fused_qk_rmsnorm_group_quant_kernelItN4opus5fp4_tELi64ELi8ELi4ELb0ELb1ELb0ELb0ELb0ELb0EEEvPT0_PvPT_S7_S7_PKS6_S9_S9_S9_S9_ffiiiiiiiiiiiii,@function
_ZN5aiter35fused_qk_rmsnorm_group_quant_kernelItN4opus5fp4_tELi64ELi8ELi4ELb0ELb1ELb0ELb0ELb0ELb0EEEvPT0_PvPT_S7_S7_PKS6_S9_S9_S9_S9_ffiiiiiiiiiiiii: ; @_ZN5aiter35fused_qk_rmsnorm_group_quant_kernelItN4opus5fp4_tELi64ELi8ELi4ELb0ELb1ELb0ELb0ELb0ELb0EEEvPT0_PvPT_S7_S7_PKS6_S9_S9_S9_S9_ffiiiiiiiiiiiii
; %bb.0:
	s_load_dwordx4 s[12:15], s[4:5], 0x50
	s_waitcnt lgkmcnt(0)
	s_cmp_ge_i32 s6, s14
	s_cbranch_scc1 .LBB232_8
; %bb.1:
	s_load_dwordx2 s[8:9], s[4:5], 0x48
	s_load_dwordx2 s[30:31], s[4:5], 0x30
	s_load_dwordx4 s[16:19], s[4:5], 0x60
	s_cmp_lg_u32 s7, 0
	s_cselect_b64 s[2:3], -1, 0
	s_cmp_eq_u32 s7, 0
	s_cselect_b64 vcc, -1, 0
	s_and_b64 s[0:1], vcc, exec
	s_waitcnt lgkmcnt(0)
	s_cselect_b32 s7, s15, s16
	s_add_i32 s0, s7, 1
	s_lshr_b32 s1, s0, 31
	s_add_i32 s0, s0, s1
	s_lshl_b32 s0, s0, 1
	v_lshlrev_b32_e32 v1, 3, v0
	s_and_b32 s22, s0, -4
	v_cmp_gt_i32_e64 s[0:1], s7, v1
	v_mov_b32_e32 v2, 0
	v_mov_b32_e32 v3, 0
	;; [unrolled: 1-line block ×8, first 2 shown]
	s_and_saveexec_b64 s[10:11], s[0:1]
	s_cbranch_execz .LBB232_3
; %bb.2:
	s_load_dwordx2 s[20:21], s[4:5], 0x28
	s_load_dwordx2 s[26:27], s[4:5], 0x40
	s_and_b64 s[24:25], vcc, exec
	s_cselect_b32 s14, s17, s18
	s_mov_b32 s23, 0x20000
	s_waitcnt lgkmcnt(0)
	s_cselect_b32 s17, s21, s31
	s_cselect_b32 s19, s20, s30
	s_mul_hi_i32 s21, s14, s6
	s_mul_i32 s20, s14, s6
	s_lshl_b64 s[20:21], s[20:21], 1
	s_add_u32 s24, s19, s20
	s_addc_u32 s14, s17, s21
	s_and_b64 s[20:21], vcc, exec
	s_cselect_b32 s20, s26, s8
	s_cselect_b32 s17, s27, s9
	v_lshlrev_b32_e32 v10, 4, v0
	s_and_b32 s25, s14, 0xffff
	s_mov_b32 s26, s22
	s_mov_b32 s27, s23
	s_and_b32 s21, s17, 0xffff
	buffer_load_dwordx4 v[6:9], v10, s[24:27], 0 offen glc slc
	buffer_load_dwordx4 v[2:5], v10, s[20:23], 0 offen
.LBB232_3:
	s_or_b64 exec, exec, s[10:11]
	s_waitcnt vmcnt(1)
	v_cvt_f32_u32_sdwa v13, v6 dst_sel:DWORD dst_unused:UNUSED_PAD src0_sel:WORD_1
	v_cvt_f32_u32_sdwa v12, v6 dst_sel:DWORD dst_unused:UNUSED_PAD src0_sel:WORD_0
	v_cvt_f32_u32_sdwa v6, v9 dst_sel:DWORD dst_unused:UNUSED_PAD src0_sel:WORD_1
	v_cvt_f32_u32_sdwa v9, v9 dst_sel:DWORD dst_unused:UNUSED_PAD src0_sel:WORD_0
	;; [unrolled: 2-line block ×4, first 2 shown]
	v_cndmask_b32_e64 v13, 0, v13, s[0:1]
	v_cndmask_b32_e64 v7, 0, v6, s[0:1]
	;; [unrolled: 1-line block ×5, first 2 shown]
	v_mul_f32_e32 v14, v13, v13
	v_cndmask_b32_e64 v10, 0, v10, s[0:1]
	v_fmac_f32_e32 v14, v12, v12
	v_cndmask_b32_e64 v11, 0, v11, s[0:1]
	v_fmac_f32_e32 v14, v10, v10
	;; [unrolled: 2-line block ×3, first 2 shown]
	v_fmac_f32_e32 v14, v8, v8
	v_fmac_f32_e32 v14, v9, v9
	;; [unrolled: 1-line block ×4, first 2 shown]
	v_bfrev_b32_e32 v16, 0.5
	s_load_dwordx2 s[28:29], s[4:5], 0x18
	v_mov_b32_dpp v15, v14 quad_perm:[1,0,3,2] row_mask:0xf bank_mask:0xf
	v_add_f32_e32 v14, v14, v15
	s_nop 1
	v_mov_b32_dpp v15, v14 quad_perm:[2,3,0,1] row_mask:0xf bank_mask:0xf
	v_add_f32_e32 v14, v14, v15
	s_nop 1
	v_mov_b32_dpp v15, v14 row_half_mirror row_mask:0xf bank_mask:0xf
	v_add_f32_e32 v14, v14, v15
	s_nop 1
	v_mov_b32_dpp v15, v14 row_mirror row_mask:0xf bank_mask:0xf
	v_add_f32_e32 v14, v14, v15
	s_nop 1
	v_mov_b32_dpp v15, v14 row_bcast:15 row_mask:0xf bank_mask:0xf
	v_add_f32_e32 v14, v14, v15
	s_nop 1
	v_mov_b32_dpp v15, v14 row_bcast:31 row_mask:0xf bank_mask:0xf
	v_add_f32_e32 v15, v14, v15
	v_mbcnt_lo_u32_b32 v14, -1, 0
	v_mbcnt_hi_u32_b32 v14, -1, v14
	v_lshl_or_b32 v14, v14, 2, v16
	ds_bpermute_b32 v15, v14, v15
	s_and_saveexec_b64 s[10:11], s[0:1]
	s_cbranch_execz .LBB232_5
; %bb.4:
	v_cvt_f32_u32_e32 v16, s7
	v_mov_b32_e32 v17, s13
	v_mov_b32_e32 v18, s12
	v_cndmask_b32_e32 v17, v17, v18, vcc
	s_waitcnt lgkmcnt(0)
	v_div_scale_f32 v19, s[20:21], v16, v16, v15
	v_rcp_f32_e32 v20, v19
	v_div_scale_f32 v18, vcc, v15, v16, v15
	s_mov_b32 s7, 0x800000
	v_fma_f32 v21, -v19, v20, 1.0
	v_fmac_f32_e32 v20, v21, v20
	v_mul_f32_e32 v21, v18, v20
	v_fma_f32 v22, -v19, v21, v18
	v_fmac_f32_e32 v21, v22, v20
	v_fma_f32 v18, -v19, v21, v18
	v_div_fmas_f32 v18, v18, v20, v21
	v_div_fixup_f32 v15, v18, v16, v15
	v_add_f32_e32 v15, v17, v15
	v_mul_f32_e32 v16, 0x4b800000, v15
	v_cmp_gt_f32_e32 vcc, s7, v15
	v_cndmask_b32_e32 v15, v15, v16, vcc
	v_rsq_f32_e32 v15, v15
	s_waitcnt vmcnt(0)
	v_cvt_f32_u32_sdwa v19, v3 dst_sel:DWORD dst_unused:UNUSED_PAD src0_sel:WORD_1
	v_cvt_f32_u32_sdwa v18, v3 dst_sel:DWORD dst_unused:UNUSED_PAD src0_sel:WORD_0
	v_cvt_f32_u32_sdwa v3, v4 dst_sel:DWORD dst_unused:UNUSED_PAD src0_sel:WORD_1
	v_mul_f32_e32 v16, 0x45800000, v15
	v_cndmask_b32_e32 v16, v15, v16, vcc
	v_mov_b32_e32 v17, v16
	;;#ASMSTART
	v_pk_mul_f32 v[12:13], v[12:13], v[16:17]
	;;#ASMEND
	;;#ASMSTART
	v_pk_mul_f32 v[10:11], v[10:11], v[16:17]
	;;#ASMEND
	;; [unrolled: 3-line block ×4, first 2 shown]
	v_cvt_f32_u32_sdwa v17, v2 dst_sel:DWORD dst_unused:UNUSED_PAD src0_sel:WORD_1
	v_cvt_f32_u32_sdwa v16, v2 dst_sel:DWORD dst_unused:UNUSED_PAD src0_sel:WORD_0
	v_cvt_f32_u32_sdwa v2, v4 dst_sel:DWORD dst_unused:UNUSED_PAD src0_sel:WORD_0
	v_cvt_f32_u32_sdwa v21, v5 dst_sel:DWORD dst_unused:UNUSED_PAD src0_sel:WORD_1
	v_cvt_f32_u32_sdwa v20, v5 dst_sel:DWORD dst_unused:UNUSED_PAD src0_sel:WORD_0
	;;#ASMSTART
	v_pk_mul_f32 v[12:13], v[12:13], v[16:17]
	;;#ASMEND
	;;#ASMSTART
	v_pk_mul_f32 v[10:11], v[10:11], v[18:19]
	;;#ASMEND
	;; [unrolled: 3-line block ×4, first 2 shown]
.LBB232_5:
	s_or_b64 exec, exec, s[10:11]
	s_load_dword s7, s[4:5], 0x80
	s_mov_b64 s[10:11], -1
	s_and_b64 vcc, exec, s[2:3]
	s_cbranch_vccnz .LBB232_9
; %bb.6:
	s_andn2_b64 vcc, exec, s[10:11]
	s_cbranch_vccz .LBB232_12
.LBB232_7:
	s_cmp_lt_i32 s16, 1
	s_cbranch_scc0 .LBB232_21
.LBB232_8:
	s_endpgm
.LBB232_9:
	s_and_saveexec_b64 s[2:3], s[0:1]
	s_cbranch_execz .LBB232_11
; %bb.10:
	s_waitcnt lgkmcnt(0)
	s_mul_hi_i32 s11, s7, s6
	s_mul_i32 s10, s7, s6
	s_lshl_b64 s[10:11], s[10:11], 1
	s_add_u32 s20, s28, s10
	s_addc_u32 s10, s29, s11
	s_and_b32 s21, s10, 0xffff
	s_mov_b32 s10, 0x7060302
	s_mov_b32 s23, 0x20000
	s_waitcnt vmcnt(0)
	v_perm_b32 v2, v13, v12, s10
	v_perm_b32 v3, v11, v10, s10
	v_perm_b32 v4, v9, v8, s10
	v_perm_b32 v5, v7, v6, s10
	v_lshlrev_b32_e32 v15, 4, v0
	buffer_store_dwordx4 v[2:5], v15, s[20:23], 0 offen
	;;#ASMSTART
	s_nop 0
	;;#ASMEND
.LBB232_11:
	s_or_b64 exec, exec, s[2:3]
	s_cbranch_execnz .LBB232_7
.LBB232_12:
	s_load_dwordx4 s[24:27], s[4:5], 0x70
	s_waitcnt vmcnt(0)
	v_mov_b32_e32 v2, 0
	s_and_saveexec_b64 s[2:3], s[0:1]
	s_cbranch_execz .LBB232_14
; %bb.13:
	s_load_dwordx2 s[10:11], s[4:5], 0x10
	s_waitcnt lgkmcnt(0)
	s_mul_hi_i32 s21, s27, s6
	s_mul_i32 s20, s27, s6
	s_lshl_b64 s[20:21], s[20:21], 1
	s_mov_b32 s23, 0x20000
	s_add_u32 s20, s10, s20
	s_addc_u32 s10, s11, s21
	s_and_b32 s21, s10, 0xffff
	s_mov_b32 s10, 0x7060302
	v_perm_b32 v2, v13, v12, s10
	v_perm_b32 v3, v11, v10, s10
	;; [unrolled: 1-line block ×4, first 2 shown]
	v_lshlrev_b32_e32 v15, 4, v0
	buffer_store_dwordx4 v[2:5], v15, s[20:23], 0 offen
	;;#ASMSTART
	s_nop 0
	;;#ASMEND
	s_nop 0
	v_mov_b32_e32 v2, 0x2edbe6ff
.LBB232_14:
	s_or_b64 exec, exec, s[2:3]
	s_and_saveexec_b64 s[2:3], s[0:1]
	s_cbranch_execz .LBB232_16
; %bb.15:
	v_and_b32_e32 v3, 0x7fffffff, v12
	v_and_b32_e32 v4, 0x7fffffff, v13
	;;#ASMSTART
	v_max3_f32 v2, v2, v3, v4

	;;#ASMEND
	v_and_b32_e32 v3, 0x7fffffff, v10
	v_and_b32_e32 v4, 0x7fffffff, v11
	;;#ASMSTART
	v_max3_f32 v2, v2, v3, v4

	;;#ASMEND
	;; [unrolled: 6-line block ×4, first 2 shown]
.LBB232_16:
	s_or_b64 exec, exec, s[2:3]
	;;#ASMSTART
	v_max_f32 v3, v2, v2 quad_perm:[1,0,3,2] row_mask:0xf bank_mask:0xf bound_ctrl:1
	;;#ASMEND
	;;#ASMSTART
	v_max_f32 v2, v3, v3 quad_perm:[2,3,0,1] row_mask:0xf bank_mask:0xf bound_ctrl:1
	;;#ASMEND
	v_and_b32_e32 v3, 3, v0
	v_cmp_eq_u32_e32 vcc, 0, v3
	v_cmp_gt_i32_e64 s[2:3], s15, v1
	s_and_b64 s[10:11], vcc, s[2:3]
	s_and_saveexec_b64 s[2:3], s[10:11]
	s_cbranch_execz .LBB232_18
; %bb.17:
	s_load_dwordx2 s[10:11], s[4:5], 0x8
	v_mul_f32_e32 v2, 0x3e2aaaab, v2
	v_lshrrev_b32_e32 v3, 23, v2
	v_and_b32_e32 v4, 0x7f800000, v2
	v_and_b32_e32 v2, 0x7fffff, v2
	v_cmp_ne_u32_e32 vcc, 0, v2
	s_waitcnt lgkmcnt(0)
	s_mul_i32 s17, s25, s6
	s_mov_b32 s12, 0x7f800000
	v_addc_co_u32_e32 v2, vcc, 0, v3, vcc
	s_mul_hi_i32 s14, s25, s6
	s_add_u32 s10, s10, s17
	v_cmp_ne_u32_e32 vcc, s12, v4
	s_addc_u32 s11, s11, s14
	v_lshrrev_b32_e32 v5, 2, v0
	v_cndmask_b32_e32 v4, -1, v2, vcc
	v_pk_mov_b32 v[2:3], s[10:11], s[10:11] op_sel:[0,1]
	v_mad_i64_i32 v[2:3], s[10:11], s26, v5, v[2:3]
	global_store_byte v[2:3], v4, off
.LBB232_18:
	s_or_b64 exec, exec, s[2:3]
	s_and_saveexec_b64 s[2:3], s[0:1]
	s_cbranch_execz .LBB232_20
; %bb.19:
	s_load_dwordx2 s[0:1], s[4:5], 0x0
	s_waitcnt lgkmcnt(0)
	s_mul_i32 s11, s24, s6
	s_mul_hi_i32 s10, s24, s6
	v_lshlrev_b32_e32 v2, 2, v0
	s_mov_b32 s23, 0x20000
	s_add_u32 s20, s0, s11
	s_addc_u32 s0, s1, s10
	s_lshr_b32 s1, s15, 31
	s_add_i32 s1, s15, s1
	s_ashr_i32 s1, s1, 1
	s_add_i32 s1, s1, 3
	s_ashr_i32 s10, s1, 31
	s_lshr_b32 s10, s10, 30
	s_add_i32 s1, s1, s10
	s_and_b32 s22, s1, -4
	s_and_b32 s21, s0, 0xffff
	v_mov_b32_e32 v3, 0
	buffer_store_dword v3, v2, s[20:23], 0 offen
	;;#ASMSTART
	s_nop 0
	;;#ASMEND
.LBB232_20:
	s_or_b64 exec, exec, s[2:3]
	s_cmp_lt_i32 s16, 1
	s_cbranch_scc1 .LBB232_8
.LBB232_21:
	s_load_dword s0, s[4:5], 0x94
	s_waitcnt lgkmcnt(0)
	s_cmp_lg_u32 s0, 1
	s_cbranch_scc1 .LBB232_8
; %bb.22:
	s_lshl_b32 s0, s16, 1
	s_add_i32 s0, s0, 2
	v_cmp_gt_u32_e32 vcc, s16, v1
	s_and_b32 s10, s0, -4
	s_waitcnt vmcnt(0)
	v_mov_b32_e32 v4, 0
	v_lshlrev_b32_e32 v12, 4, v0
	v_mov_b32_e32 v5, 0
	v_mov_b32_e32 v6, 0
	;; [unrolled: 1-line block ×7, first 2 shown]
	s_barrier
	s_and_saveexec_b64 s[0:1], vcc
	s_cbranch_execz .LBB232_24
; %bb.23:
	s_mul_hi_i32 s3, s18, s6
	s_mul_i32 s2, s18, s6
	s_and_b32 s9, s9, 0xffff
	s_lshl_b64 s[2:3], s[2:3], 1
	s_add_u32 s20, s30, s2
	s_mov_b32 s11, 0x20000
	s_addc_u32 s2, s31, s3
	s_and_b32 s21, s2, 0xffff
	s_mov_b32 s22, s10
	s_mov_b32 s23, s11
	buffer_load_dwordx4 v[4:7], v12, s[20:23], 0 offen glc slc
	buffer_load_dwordx4 v[0:3], v12, s[8:11], 0 offen
.LBB232_24:
	s_or_b64 exec, exec, s[0:1]
	s_waitcnt vmcnt(1)
	v_cvt_f32_u32_sdwa v11, v4 dst_sel:DWORD dst_unused:UNUSED_PAD src0_sel:WORD_1
	v_cvt_f32_u32_sdwa v10, v4 dst_sel:DWORD dst_unused:UNUSED_PAD src0_sel:WORD_0
	v_cvt_f32_u32_sdwa v4, v7 dst_sel:DWORD dst_unused:UNUSED_PAD src0_sel:WORD_1
	v_cvt_f32_u32_sdwa v7, v7 dst_sel:DWORD dst_unused:UNUSED_PAD src0_sel:WORD_0
	;; [unrolled: 2-line block ×4, first 2 shown]
	v_cndmask_b32_e32 v11, 0, v11, vcc
	v_cndmask_b32_e32 v5, 0, v4, vcc
	;; [unrolled: 1-line block ×5, first 2 shown]
	v_mul_f32_e32 v13, v11, v11
	v_cndmask_b32_e32 v8, 0, v8, vcc
	v_fmac_f32_e32 v13, v10, v10
	v_cndmask_b32_e32 v9, 0, v9, vcc
	v_fmac_f32_e32 v13, v8, v8
	;; [unrolled: 2-line block ×3, first 2 shown]
	v_fmac_f32_e32 v13, v6, v6
	v_fmac_f32_e32 v13, v7, v7
	;; [unrolled: 1-line block ×4, first 2 shown]
	s_nop 1
	v_mov_b32_dpp v15, v13 quad_perm:[1,0,3,2] row_mask:0xf bank_mask:0xf
	v_add_f32_e32 v13, v13, v15
	s_nop 1
	v_mov_b32_dpp v15, v13 quad_perm:[2,3,0,1] row_mask:0xf bank_mask:0xf
	v_add_f32_e32 v13, v13, v15
	s_nop 1
	v_mov_b32_dpp v15, v13 row_half_mirror row_mask:0xf bank_mask:0xf
	v_add_f32_e32 v13, v13, v15
	s_nop 1
	v_mov_b32_dpp v15, v13 row_mirror row_mask:0xf bank_mask:0xf
	v_add_f32_e32 v13, v13, v15
	s_nop 1
	v_mov_b32_dpp v15, v13 row_bcast:15 row_mask:0xf bank_mask:0xf
	v_add_f32_e32 v13, v13, v15
	s_nop 1
	v_mov_b32_dpp v15, v13 row_bcast:31 row_mask:0xf bank_mask:0xf
	v_add_f32_e32 v13, v13, v15
	ds_bpermute_b32 v13, v14, v13
	s_and_saveexec_b64 s[0:1], vcc
	s_cbranch_execz .LBB232_8
; %bb.25:
	v_cvt_f32_u32_e32 v14, s16
	s_mov_b32 s11, 0x20000
	s_waitcnt lgkmcnt(0)
	v_div_scale_f32 v15, s[0:1], v14, v14, v13
	v_rcp_f32_e32 v16, v15
	v_div_scale_f32 v17, vcc, v13, v14, v13
	s_mov_b32 s0, 0x800000
	v_fma_f32 v18, -v15, v16, 1.0
	v_fmac_f32_e32 v16, v18, v16
	v_mul_f32_e32 v18, v17, v16
	v_fma_f32 v19, -v15, v18, v17
	v_fmac_f32_e32 v18, v19, v16
	v_fma_f32 v15, -v15, v18, v17
	v_div_fmas_f32 v15, v15, v16, v18
	v_div_fixup_f32 v13, v15, v14, v13
	v_add_f32_e32 v13, s13, v13
	v_mul_f32_e32 v14, 0x4b800000, v13
	v_cmp_gt_f32_e32 vcc, s0, v13
	v_cndmask_b32_e32 v13, v13, v14, vcc
	v_rsq_f32_e32 v13, v13
	s_mul_hi_i32 s1, s7, s6
	s_mul_i32 s0, s7, s6
	s_lshl_b64 s[0:1], s[0:1], 1
	v_mul_f32_e32 v14, 0x45800000, v13
	v_cndmask_b32_e32 v14, v13, v14, vcc
	s_add_u32 s8, s28, s0
	v_mov_b32_e32 v15, v14
	s_addc_u32 s0, s29, s1
	;;#ASMSTART
	v_pk_mul_f32 v[10:11], v[10:11], v[14:15]
	;;#ASMEND
	;;#ASMSTART
	v_pk_mul_f32 v[8:9], v[8:9], v[14:15]
	;;#ASMEND
	;; [unrolled: 3-line block ×4, first 2 shown]
	s_waitcnt vmcnt(0)
	v_cvt_f32_u32_sdwa v15, v0 dst_sel:DWORD dst_unused:UNUSED_PAD src0_sel:WORD_1
	v_cvt_f32_u32_sdwa v14, v0 dst_sel:DWORD dst_unused:UNUSED_PAD src0_sel:WORD_0
	v_cvt_f32_u32_sdwa v17, v1 dst_sel:DWORD dst_unused:UNUSED_PAD src0_sel:WORD_1
	v_cvt_f32_u32_sdwa v16, v1 dst_sel:DWORD dst_unused:UNUSED_PAD src0_sel:WORD_0
	;; [unrolled: 2-line block ×4, first 2 shown]
	;;#ASMSTART
	v_pk_mul_f32 v[2:3], v[10:11], v[14:15]
	;;#ASMEND
	s_and_b32 s9, s0, 0xffff
	s_mov_b32 s0, 0x7060302
	;;#ASMSTART
	v_pk_mul_f32 v[8:9], v[8:9], v[16:17]
	;;#ASMEND
	;;#ASMSTART
	v_pk_mul_f32 v[6:7], v[6:7], v[0:1]
	;;#ASMEND
	;; [unrolled: 3-line block ×3, first 2 shown]
	v_perm_b32 v0, v3, v2, s0
	v_perm_b32 v1, v9, v8, s0
	;; [unrolled: 1-line block ×4, first 2 shown]
	buffer_store_dwordx4 v[0:3], v12, s[8:11], 0 offen
	;;#ASMSTART
	s_nop 0
	;;#ASMEND
	s_endpgm
	.section	.rodata,"a",@progbits
	.p2align	6, 0x0
	.amdhsa_kernel _ZN5aiter35fused_qk_rmsnorm_group_quant_kernelItN4opus5fp4_tELi64ELi8ELi4ELb0ELb1ELb0ELb0ELb0ELb0EEEvPT0_PvPT_S7_S7_PKS6_S9_S9_S9_S9_ffiiiiiiiiiiiii
		.amdhsa_group_segment_fixed_size 0
		.amdhsa_private_segment_fixed_size 0
		.amdhsa_kernarg_size 400
		.amdhsa_user_sgpr_count 6
		.amdhsa_user_sgpr_private_segment_buffer 1
		.amdhsa_user_sgpr_dispatch_ptr 0
		.amdhsa_user_sgpr_queue_ptr 0
		.amdhsa_user_sgpr_kernarg_segment_ptr 1
		.amdhsa_user_sgpr_dispatch_id 0
		.amdhsa_user_sgpr_flat_scratch_init 0
		.amdhsa_user_sgpr_kernarg_preload_length 0
		.amdhsa_user_sgpr_kernarg_preload_offset 0
		.amdhsa_user_sgpr_private_segment_size 0
		.amdhsa_uses_dynamic_stack 0
		.amdhsa_system_sgpr_private_segment_wavefront_offset 0
		.amdhsa_system_sgpr_workgroup_id_x 1
		.amdhsa_system_sgpr_workgroup_id_y 1
		.amdhsa_system_sgpr_workgroup_id_z 0
		.amdhsa_system_sgpr_workgroup_info 0
		.amdhsa_system_vgpr_workitem_id 0
		.amdhsa_next_free_vgpr 23
		.amdhsa_next_free_sgpr 32
		.amdhsa_accum_offset 24
		.amdhsa_reserve_vcc 1
		.amdhsa_reserve_flat_scratch 0
		.amdhsa_float_round_mode_32 0
		.amdhsa_float_round_mode_16_64 0
		.amdhsa_float_denorm_mode_32 3
		.amdhsa_float_denorm_mode_16_64 3
		.amdhsa_dx10_clamp 1
		.amdhsa_ieee_mode 1
		.amdhsa_fp16_overflow 0
		.amdhsa_tg_split 0
		.amdhsa_exception_fp_ieee_invalid_op 0
		.amdhsa_exception_fp_denorm_src 0
		.amdhsa_exception_fp_ieee_div_zero 0
		.amdhsa_exception_fp_ieee_overflow 0
		.amdhsa_exception_fp_ieee_underflow 0
		.amdhsa_exception_fp_ieee_inexact 0
		.amdhsa_exception_int_div_zero 0
	.end_amdhsa_kernel
	.section	.text._ZN5aiter35fused_qk_rmsnorm_group_quant_kernelItN4opus5fp4_tELi64ELi8ELi4ELb0ELb1ELb0ELb0ELb0ELb0EEEvPT0_PvPT_S7_S7_PKS6_S9_S9_S9_S9_ffiiiiiiiiiiiii,"axG",@progbits,_ZN5aiter35fused_qk_rmsnorm_group_quant_kernelItN4opus5fp4_tELi64ELi8ELi4ELb0ELb1ELb0ELb0ELb0ELb0EEEvPT0_PvPT_S7_S7_PKS6_S9_S9_S9_S9_ffiiiiiiiiiiiii,comdat
.Lfunc_end232:
	.size	_ZN5aiter35fused_qk_rmsnorm_group_quant_kernelItN4opus5fp4_tELi64ELi8ELi4ELb0ELb1ELb0ELb0ELb0ELb0EEEvPT0_PvPT_S7_S7_PKS6_S9_S9_S9_S9_ffiiiiiiiiiiiii, .Lfunc_end232-_ZN5aiter35fused_qk_rmsnorm_group_quant_kernelItN4opus5fp4_tELi64ELi8ELi4ELb0ELb1ELb0ELb0ELb0ELb0EEEvPT0_PvPT_S7_S7_PKS6_S9_S9_S9_S9_ffiiiiiiiiiiiii
                                        ; -- End function
	.section	.AMDGPU.csdata,"",@progbits
; Kernel info:
; codeLenInByte = 2304
; NumSgprs: 36
; NumVgprs: 23
; NumAgprs: 0
; TotalNumVgprs: 23
; ScratchSize: 0
; MemoryBound: 0
; FloatMode: 240
; IeeeMode: 1
; LDSByteSize: 0 bytes/workgroup (compile time only)
; SGPRBlocks: 4
; VGPRBlocks: 2
; NumSGPRsForWavesPerEU: 36
; NumVGPRsForWavesPerEU: 23
; AccumOffset: 24
; Occupancy: 8
; WaveLimiterHint : 0
; COMPUTE_PGM_RSRC2:SCRATCH_EN: 0
; COMPUTE_PGM_RSRC2:USER_SGPR: 6
; COMPUTE_PGM_RSRC2:TRAP_HANDLER: 0
; COMPUTE_PGM_RSRC2:TGID_X_EN: 1
; COMPUTE_PGM_RSRC2:TGID_Y_EN: 1
; COMPUTE_PGM_RSRC2:TGID_Z_EN: 0
; COMPUTE_PGM_RSRC2:TIDIG_COMP_CNT: 0
; COMPUTE_PGM_RSRC3_GFX90A:ACCUM_OFFSET: 5
; COMPUTE_PGM_RSRC3_GFX90A:TG_SPLIT: 0
	.section	.text._ZN5aiter35fused_qk_rmsnorm_group_quant_kernelIDF16_DB8_Li64ELi8ELi4ELb0ELb0ELb1ELb0ELb0ELb0EEEvPT0_PvPT_S6_S6_PKS5_S8_S8_S8_S8_ffiiiiiiiiiiiii,"axG",@progbits,_ZN5aiter35fused_qk_rmsnorm_group_quant_kernelIDF16_DB8_Li64ELi8ELi4ELb0ELb0ELb1ELb0ELb0ELb0EEEvPT0_PvPT_S6_S6_PKS5_S8_S8_S8_S8_ffiiiiiiiiiiiii,comdat
	.protected	_ZN5aiter35fused_qk_rmsnorm_group_quant_kernelIDF16_DB8_Li64ELi8ELi4ELb0ELb0ELb1ELb0ELb0ELb0EEEvPT0_PvPT_S6_S6_PKS5_S8_S8_S8_S8_ffiiiiiiiiiiiii ; -- Begin function _ZN5aiter35fused_qk_rmsnorm_group_quant_kernelIDF16_DB8_Li64ELi8ELi4ELb0ELb0ELb1ELb0ELb0ELb0EEEvPT0_PvPT_S6_S6_PKS5_S8_S8_S8_S8_ffiiiiiiiiiiiii
	.globl	_ZN5aiter35fused_qk_rmsnorm_group_quant_kernelIDF16_DB8_Li64ELi8ELi4ELb0ELb0ELb1ELb0ELb0ELb0EEEvPT0_PvPT_S6_S6_PKS5_S8_S8_S8_S8_ffiiiiiiiiiiiii
	.p2align	8
	.type	_ZN5aiter35fused_qk_rmsnorm_group_quant_kernelIDF16_DB8_Li64ELi8ELi4ELb0ELb0ELb1ELb0ELb0ELb0EEEvPT0_PvPT_S6_S6_PKS5_S8_S8_S8_S8_ffiiiiiiiiiiiii,@function
_ZN5aiter35fused_qk_rmsnorm_group_quant_kernelIDF16_DB8_Li64ELi8ELi4ELb0ELb0ELb1ELb0ELb0ELb0EEEvPT0_PvPT_S6_S6_PKS5_S8_S8_S8_S8_ffiiiiiiiiiiiii: ; @_ZN5aiter35fused_qk_rmsnorm_group_quant_kernelIDF16_DB8_Li64ELi8ELi4ELb0ELb0ELb1ELb0ELb0ELb0EEEvPT0_PvPT_S6_S6_PKS5_S8_S8_S8_S8_ffiiiiiiiiiiiii
; %bb.0:
	s_load_dwordx4 s[12:15], s[4:5], 0x50
	s_waitcnt lgkmcnt(0)
	s_cmp_ge_i32 s6, s14
	s_cbranch_scc1 .LBB233_10
; %bb.1:
	s_load_dwordx2 s[8:9], s[4:5], 0x48
	s_load_dwordx2 s[26:27], s[4:5], 0x30
	s_load_dwordx4 s[16:19], s[4:5], 0x60
	s_cmp_lg_u32 s7, 0
	s_cselect_b64 s[2:3], -1, 0
	s_cmp_eq_u32 s7, 0
	s_cselect_b64 vcc, -1, 0
	s_and_b64 s[0:1], vcc, exec
	s_waitcnt lgkmcnt(0)
	s_cselect_b32 s7, s15, s16
	s_add_i32 s0, s7, 1
	s_lshr_b32 s1, s0, 31
	s_add_i32 s0, s0, s1
	s_lshl_b32 s0, s0, 1
	v_lshlrev_b32_e32 v1, 3, v0
	s_and_b32 s22, s0, -4
	v_cmp_gt_i32_e64 s[0:1], s7, v1
	v_mov_b32_e32 v10, 0
	v_mov_b32_e32 v2, 0
	;; [unrolled: 1-line block ×9, first 2 shown]
	s_and_saveexec_b64 s[10:11], s[0:1]
	s_cbranch_execz .LBB233_3
; %bb.2:
	s_load_dwordx2 s[20:21], s[4:5], 0x28
	s_load_dwordx2 s[24:25], s[4:5], 0x40
	s_and_b64 s[28:29], vcc, exec
	s_cselect_b32 s14, s17, s18
	s_mov_b32 s23, 0x20000
	s_waitcnt lgkmcnt(0)
	s_cselect_b32 s17, s21, s27
	s_cselect_b32 s19, s20, s26
	s_mul_hi_i32 s21, s14, s6
	s_mul_i32 s20, s14, s6
	s_lshl_b64 s[20:21], s[20:21], 1
	s_add_u32 s28, s19, s20
	s_addc_u32 s14, s17, s21
	s_and_b64 s[20:21], vcc, exec
	s_cselect_b32 s20, s24, s8
	s_cselect_b32 s17, s25, s9
	v_lshlrev_b32_e32 v11, 4, v0
	s_and_b32 s29, s14, 0xffff
	s_mov_b32 s30, s22
	s_mov_b32 s31, s23
	s_and_b32 s21, s17, 0xffff
	buffer_load_dwordx4 v[6:9], v11, s[28:31], 0 offen glc slc
	buffer_load_dwordx4 v[2:5], v11, s[20:23], 0 offen
.LBB233_3:
	s_or_b64 exec, exec, s[10:11]
	v_mov_b32_e32 v11, 0
	v_mov_b32_e32 v16, 0
	;; [unrolled: 1-line block ×7, first 2 shown]
	s_and_saveexec_b64 s[10:11], s[0:1]
	s_cbranch_execz .LBB233_5
; %bb.4:
	s_waitcnt vmcnt(1)
	v_cvt_f32_f16_sdwa v11, v6 dst_sel:DWORD dst_unused:UNUSED_PAD src0_sel:WORD_1
	v_cvt_f32_f16_e32 v10, v6
	v_cvt_f32_f16_sdwa v17, v7 dst_sel:DWORD dst_unused:UNUSED_PAD src0_sel:WORD_1
	v_cvt_f32_f16_e32 v16, v7
	;; [unrolled: 2-line block ×4, first 2 shown]
.LBB233_5:
	s_or_b64 exec, exec, s[10:11]
	s_waitcnt vmcnt(1)
	v_mul_f32_e32 v6, v11, v11
	v_fmac_f32_e32 v6, v10, v10
	v_fmac_f32_e32 v6, v16, v16
	;; [unrolled: 1-line block ×7, first 2 shown]
	v_bfrev_b32_e32 v8, 0.5
	s_load_dwordx2 s[24:25], s[4:5], 0x18
	v_mov_b32_dpp v7, v6 quad_perm:[1,0,3,2] row_mask:0xf bank_mask:0xf
	v_add_f32_e32 v6, v6, v7
	s_nop 1
	v_mov_b32_dpp v7, v6 quad_perm:[2,3,0,1] row_mask:0xf bank_mask:0xf
	v_add_f32_e32 v6, v6, v7
	s_nop 1
	v_mov_b32_dpp v7, v6 row_half_mirror row_mask:0xf bank_mask:0xf
	v_add_f32_e32 v6, v6, v7
	s_nop 1
	v_mov_b32_dpp v7, v6 row_mirror row_mask:0xf bank_mask:0xf
	v_add_f32_e32 v6, v6, v7
	s_nop 1
	v_mov_b32_dpp v7, v6 row_bcast:15 row_mask:0xf bank_mask:0xf
	v_add_f32_e32 v6, v6, v7
	s_nop 1
	v_mov_b32_dpp v7, v6 row_bcast:31 row_mask:0xf bank_mask:0xf
	v_add_f32_e32 v6, v6, v7
	v_mbcnt_lo_u32_b32 v7, -1, 0
	v_mbcnt_hi_u32_b32 v7, -1, v7
	v_lshl_or_b32 v18, v7, 2, v8
	ds_bpermute_b32 v6, v18, v6
	s_and_saveexec_b64 s[10:11], s[0:1]
	s_cbranch_execz .LBB233_7
; %bb.6:
	v_cvt_f32_u32_e32 v7, s7
	v_mov_b32_e32 v8, s13
	v_mov_b32_e32 v9, s12
	v_cndmask_b32_e32 v8, v8, v9, vcc
	s_waitcnt lgkmcnt(0)
	v_div_scale_f32 v19, s[20:21], v7, v7, v6
	v_rcp_f32_e32 v20, v19
	v_div_scale_f32 v9, vcc, v6, v7, v6
	s_mov_b32 s7, 0x800000
	v_fma_f32 v21, -v19, v20, 1.0
	v_fmac_f32_e32 v20, v21, v20
	v_mul_f32_e32 v21, v9, v20
	v_fma_f32 v22, -v19, v21, v9
	v_fmac_f32_e32 v21, v22, v20
	v_fma_f32 v9, -v19, v21, v9
	v_div_fmas_f32 v9, v9, v20, v21
	v_div_fixup_f32 v6, v9, v7, v6
	v_add_f32_e32 v6, v8, v6
	v_mul_f32_e32 v7, 0x4b800000, v6
	v_cmp_gt_f32_e32 vcc, s7, v6
	v_cndmask_b32_e32 v6, v6, v7, vcc
	v_rsq_f32_e32 v6, v6
	s_waitcnt vmcnt(0)
	v_cvt_f32_f16_sdwa v21, v3 dst_sel:DWORD dst_unused:UNUSED_PAD src0_sel:WORD_1
	v_cvt_f32_f16_e32 v20, v3
	v_mul_f32_e32 v7, 0x45800000, v6
	v_cndmask_b32_e32 v6, v6, v7, vcc
	v_mov_b32_e32 v7, v6
	;;#ASMSTART
	v_pk_mul_f32 v[8:9], v[10:11], v[6:7]
	;;#ASMEND
	v_cvt_f32_f16_sdwa v11, v2 dst_sel:DWORD dst_unused:UNUSED_PAD src0_sel:WORD_1
	v_cvt_f32_f16_e32 v10, v2
	;;#ASMSTART
	v_pk_mul_f32 v[16:17], v[16:17], v[6:7]
	;;#ASMEND
	;;#ASMSTART
	v_pk_mul_f32 v[14:15], v[14:15], v[6:7]
	;;#ASMEND
	;; [unrolled: 3-line block ×3, first 2 shown]
	v_pk_add_f32 v[6:7], v[10:11], 1.0 op_sel_hi:[1,0]
	;;#ASMSTART
	v_pk_mul_f32 v[10:11], v[8:9], v[6:7]
	;;#ASMEND
	v_cvt_f32_f16_sdwa v9, v4 dst_sel:DWORD dst_unused:UNUSED_PAD src0_sel:WORD_1
	v_cvt_f32_f16_e32 v8, v4
	v_cvt_f32_f16_sdwa v13, v5 dst_sel:DWORD dst_unused:UNUSED_PAD src0_sel:WORD_1
	v_cvt_f32_f16_e32 v12, v5
	v_pk_add_f32 v[6:7], v[20:21], 1.0 op_sel_hi:[1,0]
	v_pk_add_f32 v[4:5], v[8:9], 1.0 op_sel_hi:[1,0]
	;;#ASMSTART
	v_pk_mul_f32 v[16:17], v[16:17], v[6:7]
	;;#ASMEND
	;;#ASMSTART
	v_pk_mul_f32 v[14:15], v[14:15], v[4:5]
	;;#ASMEND
	v_pk_add_f32 v[4:5], v[12:13], 1.0 op_sel_hi:[1,0]
	;;#ASMSTART
	v_pk_mul_f32 v[12:13], v[2:3], v[4:5]
	;;#ASMEND
.LBB233_7:
	s_or_b64 exec, exec, s[10:11]
	s_load_dword s7, s[4:5], 0x80
	s_mov_b64 s[10:11], -1
	s_and_b64 vcc, exec, s[2:3]
	s_cbranch_vccnz .LBB233_11
; %bb.8:
	s_andn2_b64 vcc, exec, s[10:11]
	s_cbranch_vccz .LBB233_14
.LBB233_9:
	s_cmp_lt_i32 s16, 1
	s_cbranch_scc0 .LBB233_21
.LBB233_10:
	s_endpgm
.LBB233_11:
	s_and_saveexec_b64 s[2:3], s[0:1]
	s_cbranch_execz .LBB233_13
; %bb.12:
	s_waitcnt lgkmcnt(0)
	s_mul_hi_i32 s11, s7, s6
	s_mul_i32 s10, s7, s6
	s_waitcnt vmcnt(0)
	v_cvt_f16_f32_e32 v2, v10
	v_cvt_f16_f32_e32 v3, v16
	;; [unrolled: 1-line block ×8, first 2 shown]
	s_lshl_b64 s[10:11], s[10:11], 1
	s_add_u32 s20, s24, s10
	s_addc_u32 s10, s25, s11
	s_and_b32 s21, s10, 0xffff
	s_mov_b32 s23, 0x20000
	v_pack_b32_f16 v5, v5, v6
	v_pack_b32_f16 v4, v4, v7
	;; [unrolled: 1-line block ×4, first 2 shown]
	v_lshlrev_b32_e32 v6, 4, v0
	buffer_store_dwordx4 v[2:5], v6, s[20:23], 0 offen
	;;#ASMSTART
	s_nop 0
	;;#ASMEND
.LBB233_13:
	s_or_b64 exec, exec, s[2:3]
	s_cbranch_execnz .LBB233_9
.LBB233_14:
	s_waitcnt vmcnt(0)
	v_mov_b32_e32 v2, 0
	s_and_saveexec_b64 s[2:3], s[0:1]
	s_cbranch_execz .LBB233_16
; %bb.15:
	v_and_b32_e32 v2, 0x7fffffff, v10
	v_and_b32_e32 v3, 0x7fffffff, v11
	v_mov_b32_e32 v4, 0x2edbe6ff
	;;#ASMSTART
	v_max3_f32 v2, v4, v2, v3

	;;#ASMEND
	v_and_b32_e32 v3, 0x7fffffff, v16
	v_and_b32_e32 v4, 0x7fffffff, v17
	;;#ASMSTART
	v_max3_f32 v2, v2, v3, v4

	;;#ASMEND
	v_and_b32_e32 v3, 0x7fffffff, v14
	v_and_b32_e32 v4, 0x7fffffff, v15
	;; [unrolled: 6-line block ×3, first 2 shown]
	;;#ASMSTART
	v_max3_f32 v2, v2, v3, v4

	;;#ASMEND
.LBB233_16:
	s_or_b64 exec, exec, s[2:3]
	s_load_dwordx4 s[20:23], s[4:5], 0x70
	;;#ASMSTART
	v_max_f32 v3, v2, v2 quad_perm:[1,0,3,2] row_mask:0xf bank_mask:0xf bound_ctrl:1
	;;#ASMEND
	;;#ASMSTART
	v_max_f32 v2, v3, v3 quad_perm:[2,3,0,1] row_mask:0xf bank_mask:0xf bound_ctrl:1
	;;#ASMEND
	v_and_b32_e32 v3, 3, v0
	v_cmp_eq_u32_e32 vcc, 0, v3
	v_cmp_gt_i32_e64 s[2:3], s15, v1
	v_mul_f32_e32 v2, 0x3b124925, v2
	s_and_b64 s[10:11], vcc, s[2:3]
	s_and_saveexec_b64 s[2:3], s[10:11]
	s_cbranch_execz .LBB233_18
; %bb.17:
	s_load_dwordx2 s[10:11], s[4:5], 0x8
	v_lshrrev_b32_e32 v3, 2, v0
	s_waitcnt lgkmcnt(0)
	s_mul_hi_i32 s29, s21, s6
	s_mul_i32 s28, s21, s6
	v_mad_i64_i32 v[4:5], s[22:23], s22, v3, 0
	s_lshl_b64 s[22:23], s[28:29], 2
	s_add_u32 s10, s10, s22
	s_addc_u32 s11, s11, s23
	v_lshlrev_b64 v[4:5], 2, v[4:5]
	v_mov_b32_e32 v3, s11
	v_add_co_u32_e32 v4, vcc, s10, v4
	v_addc_co_u32_e32 v5, vcc, v3, v5, vcc
	global_store_dword v[4:5], v2, off
.LBB233_18:
	s_or_b64 exec, exec, s[2:3]
	;;#ASMSTART
	v_rcp_f32 v2, v2
	;;#ASMEND
	s_and_saveexec_b64 s[10:11], s[0:1]
	s_cbranch_execz .LBB233_20
; %bb.19:
	v_mov_b32_e32 v3, v2
	;;#ASMSTART
	v_pk_mul_f32 v[4:5], v[10:11], v[2:3]
	;;#ASMEND
	s_load_dwordx2 s[0:1], s[4:5], 0x0
	v_mov_b32_e32 v8, 0xc3e00000
	v_mov_b32_e32 v9, 0x43e00000
	s_waitcnt lgkmcnt(0)
	;;#ASMSTART
	v_med3_f32 v4, v4, v8, v9
v_med3_f32 v5, v5, v8, v9
v_cvt_pk_fp8_f32 v6, v4, v5
	;;#ASMEND
	;;#ASMSTART
	v_pk_mul_f32 v[4:5], v[16:17], v[2:3]
	;;#ASMEND
	;;#ASMSTART
	v_med3_f32 v4, v4, v8, v9
v_med3_f32 v5, v5, v8, v9
v_cvt_pk_fp8_f32 v7, v4, v5
	;;#ASMEND
	s_mov_b32 s14, 0x5040100
	v_perm_b32 v5, v7, v6, s14
	s_movk_i32 s14, 0xff
	s_mul_i32 s3, s20, s6
	v_and_b32_e32 v4, 0xffffff00, v7
	v_and_b32_sdwa v6, v5, s14 dst_sel:DWORD dst_unused:UNUSED_PAD src0_sel:WORD_1 src1_sel:DWORD
	s_mul_hi_i32 s2, s20, s6
	s_mov_b32 s12, 0xffff
	s_add_u32 s0, s0, s3
	v_or_b32_sdwa v4, v6, v4 dst_sel:WORD_1 dst_unused:UNUSED_PAD src0_sel:DWORD src1_sel:DWORD
	s_addc_u32 s1, s1, s2
	s_add_i32 s2, s15, 3
	v_and_or_b32 v4, v5, s12, v4
	;;#ASMSTART
	v_pk_mul_f32 v[6:7], v[14:15], v[2:3]
	;;#ASMEND
	v_mov_b32_e32 v5, v6
	s_ashr_i32 s3, s2, 31
	;;#ASMSTART
	v_med3_f32 v5, v5, v8, v9
v_med3_f32 v7, v7, v8, v9
v_cvt_pk_fp8_f32 v6, v5, v7
	;;#ASMEND
	;;#ASMSTART
	v_pk_mul_f32 v[2:3], v[12:13], v[2:3]
	;;#ASMEND
	s_lshr_b32 s3, s3, 30
	;;#ASMSTART
	v_med3_f32 v2, v2, v8, v9
v_med3_f32 v3, v3, v8, v9
v_cvt_pk_fp8_f32 v5, v2, v3
	;;#ASMEND
	s_add_i32 s2, s2, s3
	v_lshlrev_b32_e32 v2, 16, v5
	s_and_b32 s2, s2, -4
	s_and_b32 s1, s1, 0xffff
	s_mov_b32 s3, 0x20000
	v_and_or_b32 v5, v6, s12, v2
	buffer_store_dwordx2 v[4:5], v1, s[0:3], 0 offen
	;;#ASMSTART
	s_nop 0
	;;#ASMEND
.LBB233_20:
	s_or_b64 exec, exec, s[10:11]
	s_cmp_lt_i32 s16, 1
	s_cbranch_scc1 .LBB233_10
.LBB233_21:
	s_load_dword s0, s[4:5], 0x94
	s_waitcnt lgkmcnt(0)
	s_cmp_lg_u32 s0, 1
	s_cbranch_scc1 .LBB233_10
; %bb.22:
	s_lshl_b32 s0, s16, 1
	s_add_i32 s0, s0, 2
	v_cmp_gt_u32_e32 vcc, s16, v1
	s_and_b32 s10, s0, -4
	v_mov_b32_e32 v8, 0
	v_lshlrev_b32_e32 v16, 4, v0
	s_waitcnt vmcnt(0)
	v_mov_b32_e32 v4, 0
	v_mov_b32_e32 v5, 0
	;; [unrolled: 1-line block ×8, first 2 shown]
	s_barrier
	s_and_saveexec_b64 s[0:1], vcc
	s_cbranch_execz .LBB233_24
; %bb.23:
	s_mul_hi_i32 s3, s18, s6
	s_mul_i32 s2, s18, s6
	s_and_b32 s9, s9, 0xffff
	s_lshl_b64 s[2:3], s[2:3], 1
	s_add_u32 s20, s26, s2
	s_mov_b32 s11, 0x20000
	s_addc_u32 s2, s27, s3
	s_and_b32 s21, s2, 0xffff
	s_mov_b32 s22, s10
	s_mov_b32 s23, s11
	buffer_load_dwordx4 v[4:7], v16, s[20:23], 0 offen glc slc
	buffer_load_dwordx4 v[0:3], v16, s[8:11], 0 offen
.LBB233_24:
	s_or_b64 exec, exec, s[0:1]
	v_mov_b32_e32 v9, 0
	v_mov_b32_e32 v12, 0
	;; [unrolled: 1-line block ×7, first 2 shown]
	s_and_saveexec_b64 s[0:1], vcc
	s_cbranch_execz .LBB233_26
; %bb.25:
	s_waitcnt vmcnt(1)
	v_cvt_f32_f16_sdwa v9, v4 dst_sel:DWORD dst_unused:UNUSED_PAD src0_sel:WORD_1
	v_cvt_f32_f16_e32 v8, v4
	v_cvt_f32_f16_sdwa v13, v5 dst_sel:DWORD dst_unused:UNUSED_PAD src0_sel:WORD_1
	v_cvt_f32_f16_e32 v12, v5
	;; [unrolled: 2-line block ×4, first 2 shown]
.LBB233_26:
	s_or_b64 exec, exec, s[0:1]
	s_waitcnt vmcnt(1)
	v_mul_f32_e32 v4, v9, v9
	v_fmac_f32_e32 v4, v8, v8
	v_fmac_f32_e32 v4, v12, v12
	;; [unrolled: 1-line block ×7, first 2 shown]
	s_nop 1
	v_mov_b32_dpp v5, v4 quad_perm:[1,0,3,2] row_mask:0xf bank_mask:0xf
	v_add_f32_e32 v4, v4, v5
	s_nop 1
	v_mov_b32_dpp v5, v4 quad_perm:[2,3,0,1] row_mask:0xf bank_mask:0xf
	v_add_f32_e32 v4, v4, v5
	s_nop 1
	v_mov_b32_dpp v5, v4 row_half_mirror row_mask:0xf bank_mask:0xf
	v_add_f32_e32 v4, v4, v5
	s_nop 1
	v_mov_b32_dpp v5, v4 row_mirror row_mask:0xf bank_mask:0xf
	v_add_f32_e32 v4, v4, v5
	s_nop 1
	v_mov_b32_dpp v5, v4 row_bcast:15 row_mask:0xf bank_mask:0xf
	v_add_f32_e32 v4, v4, v5
	s_nop 1
	v_mov_b32_dpp v5, v4 row_bcast:31 row_mask:0xf bank_mask:0xf
	v_add_f32_e32 v4, v4, v5
	ds_bpermute_b32 v4, v18, v4
	s_and_saveexec_b64 s[0:1], vcc
	s_cbranch_execz .LBB233_10
; %bb.27:
	v_cvt_f32_u32_e32 v5, s16
	s_mov_b32 s11, 0x20000
	s_waitcnt lgkmcnt(0)
	v_div_scale_f32 v6, s[0:1], v5, v5, v4
	v_rcp_f32_e32 v7, v6
	v_div_scale_f32 v17, vcc, v4, v5, v4
	s_mov_b32 s0, 0x800000
	v_fma_f32 v18, -v6, v7, 1.0
	v_fmac_f32_e32 v7, v18, v7
	v_mul_f32_e32 v18, v17, v7
	v_fma_f32 v19, -v6, v18, v17
	v_fmac_f32_e32 v18, v19, v7
	v_fma_f32 v6, -v6, v18, v17
	v_div_fmas_f32 v6, v6, v7, v18
	v_div_fixup_f32 v4, v6, v5, v4
	v_add_f32_e32 v4, s13, v4
	v_mul_f32_e32 v5, 0x4b800000, v4
	v_cmp_gt_f32_e32 vcc, s0, v4
	v_cndmask_b32_e32 v4, v4, v5, vcc
	v_rsq_f32_e32 v4, v4
	s_waitcnt vmcnt(0)
	v_cvt_f32_f16_sdwa v5, v0 dst_sel:DWORD dst_unused:UNUSED_PAD src0_sel:WORD_1
	v_cvt_f32_f16_sdwa v19, v1 dst_sel:DWORD dst_unused:UNUSED_PAD src0_sel:WORD_1
	v_cvt_f32_f16_e32 v18, v1
	v_mul_f32_e32 v6, 0x45800000, v4
	v_cndmask_b32_e32 v6, v4, v6, vcc
	v_cvt_f32_f16_e32 v4, v0
	v_mov_b32_e32 v7, v6
	;;#ASMSTART
	v_pk_mul_f32 v[8:9], v[8:9], v[6:7]
	;;#ASMEND
	;;#ASMSTART
	v_pk_mul_f32 v[12:13], v[12:13], v[6:7]
	;;#ASMEND
	v_pk_add_f32 v[4:5], v[4:5], 1.0 op_sel_hi:[1,0]
	;;#ASMSTART
	v_pk_mul_f32 v[14:15], v[14:15], v[6:7]
	;;#ASMEND
	;;#ASMSTART
	v_pk_mul_f32 v[0:1], v[10:11], v[6:7]
	;;#ASMEND
	;; [unrolled: 3-line block ×3, first 2 shown]
	v_cvt_f32_f16_sdwa v9, v2 dst_sel:DWORD dst_unused:UNUSED_PAD src0_sel:WORD_1
	v_cvt_f32_f16_e32 v8, v2
	v_cvt_f32_f16_sdwa v11, v3 dst_sel:DWORD dst_unused:UNUSED_PAD src0_sel:WORD_1
	v_cvt_f32_f16_e32 v10, v3
	v_pk_add_f32 v[6:7], v[18:19], 1.0 op_sel_hi:[1,0]
	;;#ASMSTART
	v_pk_mul_f32 v[2:3], v[12:13], v[6:7]
	;;#ASMEND
	v_pk_add_f32 v[6:7], v[8:9], 1.0 op_sel_hi:[1,0]
	;;#ASMSTART
	v_pk_mul_f32 v[6:7], v[14:15], v[6:7]
	;;#ASMEND
	;; [unrolled: 4-line block ×3, first 2 shown]
	s_mul_hi_i32 s1, s7, s6
	s_mul_i32 s0, s7, s6
	v_cvt_f16_f32_e32 v4, v4
	v_cvt_f16_f32_e32 v5, v5
	;; [unrolled: 1-line block ×8, first 2 shown]
	s_lshl_b64 s[0:1], s[0:1], 1
	s_add_u32 s8, s24, s0
	s_addc_u32 s0, s25, s1
	s_and_b32 s9, s0, 0xffff
	v_pack_b32_f16 v0, v4, v5
	v_pack_b32_f16 v1, v2, v3
	;; [unrolled: 1-line block ×4, first 2 shown]
	buffer_store_dwordx4 v[0:3], v16, s[8:11], 0 offen
	;;#ASMSTART
	s_nop 0
	;;#ASMEND
	s_endpgm
	.section	.rodata,"a",@progbits
	.p2align	6, 0x0
	.amdhsa_kernel _ZN5aiter35fused_qk_rmsnorm_group_quant_kernelIDF16_DB8_Li64ELi8ELi4ELb0ELb0ELb1ELb0ELb0ELb0EEEvPT0_PvPT_S6_S6_PKS5_S8_S8_S8_S8_ffiiiiiiiiiiiii
		.amdhsa_group_segment_fixed_size 0
		.amdhsa_private_segment_fixed_size 0
		.amdhsa_kernarg_size 400
		.amdhsa_user_sgpr_count 6
		.amdhsa_user_sgpr_private_segment_buffer 1
		.amdhsa_user_sgpr_dispatch_ptr 0
		.amdhsa_user_sgpr_queue_ptr 0
		.amdhsa_user_sgpr_kernarg_segment_ptr 1
		.amdhsa_user_sgpr_dispatch_id 0
		.amdhsa_user_sgpr_flat_scratch_init 0
		.amdhsa_user_sgpr_kernarg_preload_length 0
		.amdhsa_user_sgpr_kernarg_preload_offset 0
		.amdhsa_user_sgpr_private_segment_size 0
		.amdhsa_uses_dynamic_stack 0
		.amdhsa_system_sgpr_private_segment_wavefront_offset 0
		.amdhsa_system_sgpr_workgroup_id_x 1
		.amdhsa_system_sgpr_workgroup_id_y 1
		.amdhsa_system_sgpr_workgroup_id_z 0
		.amdhsa_system_sgpr_workgroup_info 0
		.amdhsa_system_vgpr_workitem_id 0
		.amdhsa_next_free_vgpr 23
		.amdhsa_next_free_sgpr 32
		.amdhsa_accum_offset 24
		.amdhsa_reserve_vcc 1
		.amdhsa_reserve_flat_scratch 0
		.amdhsa_float_round_mode_32 0
		.amdhsa_float_round_mode_16_64 0
		.amdhsa_float_denorm_mode_32 3
		.amdhsa_float_denorm_mode_16_64 3
		.amdhsa_dx10_clamp 1
		.amdhsa_ieee_mode 1
		.amdhsa_fp16_overflow 0
		.amdhsa_tg_split 0
		.amdhsa_exception_fp_ieee_invalid_op 0
		.amdhsa_exception_fp_denorm_src 0
		.amdhsa_exception_fp_ieee_div_zero 0
		.amdhsa_exception_fp_ieee_overflow 0
		.amdhsa_exception_fp_ieee_underflow 0
		.amdhsa_exception_fp_ieee_inexact 0
		.amdhsa_exception_int_div_zero 0
	.end_amdhsa_kernel
	.section	.text._ZN5aiter35fused_qk_rmsnorm_group_quant_kernelIDF16_DB8_Li64ELi8ELi4ELb0ELb0ELb1ELb0ELb0ELb0EEEvPT0_PvPT_S6_S6_PKS5_S8_S8_S8_S8_ffiiiiiiiiiiiii,"axG",@progbits,_ZN5aiter35fused_qk_rmsnorm_group_quant_kernelIDF16_DB8_Li64ELi8ELi4ELb0ELb0ELb1ELb0ELb0ELb0EEEvPT0_PvPT_S6_S6_PKS5_S8_S8_S8_S8_ffiiiiiiiiiiiii,comdat
.Lfunc_end233:
	.size	_ZN5aiter35fused_qk_rmsnorm_group_quant_kernelIDF16_DB8_Li64ELi8ELi4ELb0ELb0ELb1ELb0ELb0ELb0EEEvPT0_PvPT_S6_S6_PKS5_S8_S8_S8_S8_ffiiiiiiiiiiiii, .Lfunc_end233-_ZN5aiter35fused_qk_rmsnorm_group_quant_kernelIDF16_DB8_Li64ELi8ELi4ELb0ELb0ELb1ELb0ELb0ELb0EEEvPT0_PvPT_S6_S6_PKS5_S8_S8_S8_S8_ffiiiiiiiiiiiii
                                        ; -- End function
	.section	.AMDGPU.csdata,"",@progbits
; Kernel info:
; codeLenInByte = 2412
; NumSgprs: 36
; NumVgprs: 23
; NumAgprs: 0
; TotalNumVgprs: 23
; ScratchSize: 0
; MemoryBound: 0
; FloatMode: 240
; IeeeMode: 1
; LDSByteSize: 0 bytes/workgroup (compile time only)
; SGPRBlocks: 4
; VGPRBlocks: 2
; NumSGPRsForWavesPerEU: 36
; NumVGPRsForWavesPerEU: 23
; AccumOffset: 24
; Occupancy: 8
; WaveLimiterHint : 0
; COMPUTE_PGM_RSRC2:SCRATCH_EN: 0
; COMPUTE_PGM_RSRC2:USER_SGPR: 6
; COMPUTE_PGM_RSRC2:TRAP_HANDLER: 0
; COMPUTE_PGM_RSRC2:TGID_X_EN: 1
; COMPUTE_PGM_RSRC2:TGID_Y_EN: 1
; COMPUTE_PGM_RSRC2:TGID_Z_EN: 0
; COMPUTE_PGM_RSRC2:TIDIG_COMP_CNT: 0
; COMPUTE_PGM_RSRC3_GFX90A:ACCUM_OFFSET: 5
; COMPUTE_PGM_RSRC3_GFX90A:TG_SPLIT: 0
	.section	.text._ZN5aiter35fused_qk_rmsnorm_group_quant_kernelItDB8_Li64ELi8ELi4ELb0ELb0ELb1ELb0ELb0ELb0EEEvPT0_PvPT_S6_S6_PKS5_S8_S8_S8_S8_ffiiiiiiiiiiiii,"axG",@progbits,_ZN5aiter35fused_qk_rmsnorm_group_quant_kernelItDB8_Li64ELi8ELi4ELb0ELb0ELb1ELb0ELb0ELb0EEEvPT0_PvPT_S6_S6_PKS5_S8_S8_S8_S8_ffiiiiiiiiiiiii,comdat
	.protected	_ZN5aiter35fused_qk_rmsnorm_group_quant_kernelItDB8_Li64ELi8ELi4ELb0ELb0ELb1ELb0ELb0ELb0EEEvPT0_PvPT_S6_S6_PKS5_S8_S8_S8_S8_ffiiiiiiiiiiiii ; -- Begin function _ZN5aiter35fused_qk_rmsnorm_group_quant_kernelItDB8_Li64ELi8ELi4ELb0ELb0ELb1ELb0ELb0ELb0EEEvPT0_PvPT_S6_S6_PKS5_S8_S8_S8_S8_ffiiiiiiiiiiiii
	.globl	_ZN5aiter35fused_qk_rmsnorm_group_quant_kernelItDB8_Li64ELi8ELi4ELb0ELb0ELb1ELb0ELb0ELb0EEEvPT0_PvPT_S6_S6_PKS5_S8_S8_S8_S8_ffiiiiiiiiiiiii
	.p2align	8
	.type	_ZN5aiter35fused_qk_rmsnorm_group_quant_kernelItDB8_Li64ELi8ELi4ELb0ELb0ELb1ELb0ELb0ELb0EEEvPT0_PvPT_S6_S6_PKS5_S8_S8_S8_S8_ffiiiiiiiiiiiii,@function
_ZN5aiter35fused_qk_rmsnorm_group_quant_kernelItDB8_Li64ELi8ELi4ELb0ELb0ELb1ELb0ELb0ELb0EEEvPT0_PvPT_S6_S6_PKS5_S8_S8_S8_S8_ffiiiiiiiiiiiii: ; @_ZN5aiter35fused_qk_rmsnorm_group_quant_kernelItDB8_Li64ELi8ELi4ELb0ELb0ELb1ELb0ELb0ELb0EEEvPT0_PvPT_S6_S6_PKS5_S8_S8_S8_S8_ffiiiiiiiiiiiii
; %bb.0:
	s_load_dwordx4 s[12:15], s[4:5], 0x50
	s_waitcnt lgkmcnt(0)
	s_cmp_ge_i32 s6, s14
	s_cbranch_scc1 .LBB234_8
; %bb.1:
	s_load_dwordx2 s[8:9], s[4:5], 0x48
	s_load_dwordx2 s[26:27], s[4:5], 0x30
	s_load_dwordx4 s[16:19], s[4:5], 0x60
	s_cmp_lg_u32 s7, 0
	s_cselect_b64 s[2:3], -1, 0
	s_cmp_eq_u32 s7, 0
	s_cselect_b64 vcc, -1, 0
	s_and_b64 s[0:1], vcc, exec
	s_waitcnt lgkmcnt(0)
	s_cselect_b32 s7, s15, s16
	s_add_i32 s0, s7, 1
	s_lshr_b32 s1, s0, 31
	s_add_i32 s0, s0, s1
	s_lshl_b32 s0, s0, 1
	v_lshlrev_b32_e32 v1, 3, v0
	s_and_b32 s22, s0, -4
	v_cmp_gt_i32_e64 s[0:1], s7, v1
	v_mov_b32_e32 v2, 0
	v_mov_b32_e32 v3, 0
	;; [unrolled: 1-line block ×8, first 2 shown]
	s_and_saveexec_b64 s[10:11], s[0:1]
	s_cbranch_execz .LBB234_3
; %bb.2:
	s_load_dwordx2 s[20:21], s[4:5], 0x28
	s_load_dwordx2 s[24:25], s[4:5], 0x40
	s_and_b64 s[28:29], vcc, exec
	s_cselect_b32 s14, s17, s18
	s_mov_b32 s23, 0x20000
	s_waitcnt lgkmcnt(0)
	s_cselect_b32 s17, s21, s27
	s_cselect_b32 s19, s20, s26
	s_mul_hi_i32 s21, s14, s6
	s_mul_i32 s20, s14, s6
	s_lshl_b64 s[20:21], s[20:21], 1
	s_add_u32 s28, s19, s20
	s_addc_u32 s14, s17, s21
	s_and_b64 s[20:21], vcc, exec
	s_cselect_b32 s20, s24, s8
	s_cselect_b32 s17, s25, s9
	v_lshlrev_b32_e32 v10, 4, v0
	s_and_b32 s29, s14, 0xffff
	s_mov_b32 s30, s22
	s_mov_b32 s31, s23
	s_and_b32 s21, s17, 0xffff
	buffer_load_dwordx4 v[6:9], v10, s[28:31], 0 offen glc slc
	buffer_load_dwordx4 v[2:5], v10, s[20:23], 0 offen
.LBB234_3:
	s_or_b64 exec, exec, s[10:11]
	s_waitcnt vmcnt(1)
	v_cvt_f32_u32_sdwa v13, v6 dst_sel:DWORD dst_unused:UNUSED_PAD src0_sel:WORD_1
	v_cvt_f32_u32_sdwa v12, v6 dst_sel:DWORD dst_unused:UNUSED_PAD src0_sel:WORD_0
	v_cvt_f32_u32_sdwa v6, v9 dst_sel:DWORD dst_unused:UNUSED_PAD src0_sel:WORD_1
	v_cvt_f32_u32_sdwa v9, v9 dst_sel:DWORD dst_unused:UNUSED_PAD src0_sel:WORD_0
	;; [unrolled: 2-line block ×4, first 2 shown]
	v_cndmask_b32_e64 v13, 0, v13, s[0:1]
	v_cndmask_b32_e64 v7, 0, v6, s[0:1]
	v_cndmask_b32_e64 v6, 0, v9, s[0:1]
	v_cndmask_b32_e64 v9, 0, v14, s[0:1]
	v_cndmask_b32_e64 v12, 0, v12, s[0:1]
	v_mul_f32_e32 v14, v13, v13
	v_cndmask_b32_e64 v10, 0, v10, s[0:1]
	v_fmac_f32_e32 v14, v12, v12
	v_cndmask_b32_e64 v11, 0, v11, s[0:1]
	v_fmac_f32_e32 v14, v10, v10
	;; [unrolled: 2-line block ×3, first 2 shown]
	v_fmac_f32_e32 v14, v8, v8
	v_fmac_f32_e32 v14, v9, v9
	;; [unrolled: 1-line block ×4, first 2 shown]
	v_bfrev_b32_e32 v16, 0.5
	s_load_dwordx2 s[24:25], s[4:5], 0x18
	v_mov_b32_dpp v15, v14 quad_perm:[1,0,3,2] row_mask:0xf bank_mask:0xf
	v_add_f32_e32 v14, v14, v15
	s_nop 1
	v_mov_b32_dpp v15, v14 quad_perm:[2,3,0,1] row_mask:0xf bank_mask:0xf
	v_add_f32_e32 v14, v14, v15
	s_nop 1
	v_mov_b32_dpp v15, v14 row_half_mirror row_mask:0xf bank_mask:0xf
	v_add_f32_e32 v14, v14, v15
	s_nop 1
	v_mov_b32_dpp v15, v14 row_mirror row_mask:0xf bank_mask:0xf
	v_add_f32_e32 v14, v14, v15
	s_nop 1
	v_mov_b32_dpp v15, v14 row_bcast:15 row_mask:0xf bank_mask:0xf
	v_add_f32_e32 v14, v14, v15
	s_nop 1
	v_mov_b32_dpp v15, v14 row_bcast:31 row_mask:0xf bank_mask:0xf
	v_add_f32_e32 v15, v14, v15
	v_mbcnt_lo_u32_b32 v14, -1, 0
	v_mbcnt_hi_u32_b32 v14, -1, v14
	v_lshl_or_b32 v14, v14, 2, v16
	ds_bpermute_b32 v15, v14, v15
	s_and_saveexec_b64 s[10:11], s[0:1]
	s_cbranch_execz .LBB234_5
; %bb.4:
	v_cvt_f32_u32_e32 v16, s7
	v_mov_b32_e32 v17, s13
	v_mov_b32_e32 v18, s12
	v_cndmask_b32_e32 v17, v17, v18, vcc
	s_waitcnt lgkmcnt(0)
	v_div_scale_f32 v19, s[20:21], v16, v16, v15
	v_rcp_f32_e32 v20, v19
	v_div_scale_f32 v18, vcc, v15, v16, v15
	s_mov_b32 s7, 0x800000
	v_fma_f32 v21, -v19, v20, 1.0
	v_fmac_f32_e32 v20, v21, v20
	v_mul_f32_e32 v21, v18, v20
	v_fma_f32 v22, -v19, v21, v18
	v_fmac_f32_e32 v21, v22, v20
	v_fma_f32 v18, -v19, v21, v18
	v_div_fmas_f32 v18, v18, v20, v21
	v_div_fixup_f32 v15, v18, v16, v15
	v_add_f32_e32 v15, v17, v15
	v_mul_f32_e32 v16, 0x4b800000, v15
	v_cmp_gt_f32_e32 vcc, s7, v15
	v_cndmask_b32_e32 v15, v15, v16, vcc
	v_rsq_f32_e32 v15, v15
	s_waitcnt vmcnt(0)
	v_cvt_f32_u32_sdwa v19, v2 dst_sel:DWORD dst_unused:UNUSED_PAD src0_sel:WORD_1
	v_cvt_f32_u32_sdwa v18, v2 dst_sel:DWORD dst_unused:UNUSED_PAD src0_sel:WORD_0
	v_cvt_f32_u32_sdwa v21, v3 dst_sel:DWORD dst_unused:UNUSED_PAD src0_sel:WORD_1
	v_mul_f32_e32 v16, 0x45800000, v15
	v_cndmask_b32_e32 v16, v15, v16, vcc
	v_mov_b32_e32 v17, v16
	;;#ASMSTART
	v_pk_mul_f32 v[12:13], v[12:13], v[16:17]
	;;#ASMEND
	;;#ASMSTART
	v_pk_mul_f32 v[10:11], v[10:11], v[16:17]
	;;#ASMEND
	;; [unrolled: 3-line block ×3, first 2 shown]
	v_cvt_f32_u32_sdwa v20, v3 dst_sel:DWORD dst_unused:UNUSED_PAD src0_sel:WORD_0
	;;#ASMSTART
	v_pk_mul_f32 v[2:3], v[6:7], v[16:17]
	;;#ASMEND
	v_cvt_f32_u32_sdwa v17, v4 dst_sel:DWORD dst_unused:UNUSED_PAD src0_sel:WORD_1
	v_cvt_f32_u32_sdwa v16, v4 dst_sel:DWORD dst_unused:UNUSED_PAD src0_sel:WORD_0
	v_pk_add_f32 v[6:7], v[18:19], 1.0 op_sel_hi:[1,0]
	v_cvt_f32_u32_sdwa v19, v5 dst_sel:DWORD dst_unused:UNUSED_PAD src0_sel:WORD_1
	v_cvt_f32_u32_sdwa v18, v5 dst_sel:DWORD dst_unused:UNUSED_PAD src0_sel:WORD_0
	;;#ASMSTART
	v_pk_mul_f32 v[12:13], v[12:13], v[6:7]
	;;#ASMEND
	v_pk_add_f32 v[6:7], v[20:21], 1.0 op_sel_hi:[1,0]
	v_pk_add_f32 v[4:5], v[16:17], 1.0 op_sel_hi:[1,0]
	;;#ASMSTART
	v_pk_mul_f32 v[10:11], v[10:11], v[6:7]
	;;#ASMEND
	;;#ASMSTART
	v_pk_mul_f32 v[8:9], v[8:9], v[4:5]
	;;#ASMEND
	v_pk_add_f32 v[4:5], v[18:19], 1.0 op_sel_hi:[1,0]
	;;#ASMSTART
	v_pk_mul_f32 v[6:7], v[2:3], v[4:5]
	;;#ASMEND
.LBB234_5:
	s_or_b64 exec, exec, s[10:11]
	s_load_dword s7, s[4:5], 0x80
	s_mov_b64 s[10:11], -1
	s_and_b64 vcc, exec, s[2:3]
	s_cbranch_vccnz .LBB234_9
; %bb.6:
	s_andn2_b64 vcc, exec, s[10:11]
	s_cbranch_vccz .LBB234_12
.LBB234_7:
	s_cmp_lt_i32 s16, 1
	s_cbranch_scc0 .LBB234_19
.LBB234_8:
	s_endpgm
.LBB234_9:
	s_and_saveexec_b64 s[2:3], s[0:1]
	s_cbranch_execz .LBB234_11
; %bb.10:
	s_waitcnt lgkmcnt(0)
	s_mul_hi_i32 s11, s7, s6
	s_mul_i32 s10, s7, s6
	s_lshl_b64 s[10:11], s[10:11], 1
	s_add_u32 s20, s24, s10
	s_addc_u32 s10, s25, s11
	s_and_b32 s21, s10, 0xffff
	s_mov_b32 s10, 0x7060302
	s_mov_b32 s23, 0x20000
	s_waitcnt vmcnt(0)
	v_perm_b32 v2, v13, v12, s10
	v_perm_b32 v3, v11, v10, s10
	;; [unrolled: 1-line block ×4, first 2 shown]
	v_lshlrev_b32_e32 v15, 4, v0
	buffer_store_dwordx4 v[2:5], v15, s[20:23], 0 offen
	;;#ASMSTART
	s_nop 0
	;;#ASMEND
.LBB234_11:
	s_or_b64 exec, exec, s[2:3]
	s_cbranch_execnz .LBB234_7
.LBB234_12:
	s_waitcnt vmcnt(0)
	v_mov_b32_e32 v2, 0
	s_and_saveexec_b64 s[2:3], s[0:1]
	s_cbranch_execz .LBB234_14
; %bb.13:
	v_and_b32_e32 v2, 0x7fffffff, v12
	v_and_b32_e32 v3, 0x7fffffff, v13
	v_mov_b32_e32 v4, 0x2edbe6ff
	;;#ASMSTART
	v_max3_f32 v2, v4, v2, v3

	;;#ASMEND
	v_and_b32_e32 v3, 0x7fffffff, v10
	v_and_b32_e32 v4, 0x7fffffff, v11
	;;#ASMSTART
	v_max3_f32 v2, v2, v3, v4

	;;#ASMEND
	v_and_b32_e32 v3, 0x7fffffff, v8
	v_and_b32_e32 v4, 0x7fffffff, v9
	;; [unrolled: 6-line block ×3, first 2 shown]
	;;#ASMSTART
	v_max3_f32 v2, v2, v3, v4

	;;#ASMEND
.LBB234_14:
	s_or_b64 exec, exec, s[2:3]
	s_load_dwordx4 s[20:23], s[4:5], 0x70
	;;#ASMSTART
	v_max_f32 v3, v2, v2 quad_perm:[1,0,3,2] row_mask:0xf bank_mask:0xf bound_ctrl:1
	;;#ASMEND
	;;#ASMSTART
	v_max_f32 v2, v3, v3 quad_perm:[2,3,0,1] row_mask:0xf bank_mask:0xf bound_ctrl:1
	;;#ASMEND
	v_and_b32_e32 v3, 3, v0
	v_cmp_eq_u32_e32 vcc, 0, v3
	v_cmp_gt_i32_e64 s[2:3], s15, v1
	v_mul_f32_e32 v2, 0x3b124925, v2
	s_and_b64 s[10:11], vcc, s[2:3]
	s_and_saveexec_b64 s[2:3], s[10:11]
	s_cbranch_execz .LBB234_16
; %bb.15:
	s_load_dwordx2 s[10:11], s[4:5], 0x8
	v_lshrrev_b32_e32 v3, 2, v0
	s_waitcnt lgkmcnt(0)
	s_mul_hi_i32 s29, s21, s6
	s_mul_i32 s28, s21, s6
	v_mad_i64_i32 v[4:5], s[22:23], s22, v3, 0
	s_lshl_b64 s[22:23], s[28:29], 2
	s_add_u32 s10, s10, s22
	s_addc_u32 s11, s11, s23
	v_lshlrev_b64 v[4:5], 2, v[4:5]
	v_mov_b32_e32 v3, s11
	v_add_co_u32_e32 v4, vcc, s10, v4
	v_addc_co_u32_e32 v5, vcc, v3, v5, vcc
	global_store_dword v[4:5], v2, off
.LBB234_16:
	s_or_b64 exec, exec, s[2:3]
	;;#ASMSTART
	v_rcp_f32 v2, v2
	;;#ASMEND
	s_and_saveexec_b64 s[10:11], s[0:1]
	s_cbranch_execz .LBB234_18
; %bb.17:
	v_mov_b32_e32 v3, v2
	;;#ASMSTART
	v_pk_mul_f32 v[4:5], v[12:13], v[2:3]
	;;#ASMEND
	s_load_dwordx2 s[0:1], s[4:5], 0x0
	v_mov_b32_e32 v12, 0xc3e00000
	v_mov_b32_e32 v13, 0x43e00000
	s_waitcnt lgkmcnt(0)
	;;#ASMSTART
	v_med3_f32 v4, v4, v12, v13
v_med3_f32 v5, v5, v12, v13
v_cvt_pk_fp8_f32 v15, v4, v5
	;;#ASMEND
	;;#ASMSTART
	v_pk_mul_f32 v[4:5], v[10:11], v[2:3]
	;;#ASMEND
	;;#ASMSTART
	v_med3_f32 v4, v4, v12, v13
v_med3_f32 v5, v5, v12, v13
v_cvt_pk_fp8_f32 v10, v4, v5
	;;#ASMEND
	s_mov_b32 s14, 0x5040100
	v_perm_b32 v5, v10, v15, s14
	s_movk_i32 s14, 0xff
	s_mul_i32 s3, s20, s6
	v_and_b32_e32 v4, 0xffffff00, v10
	v_and_b32_sdwa v10, v5, s14 dst_sel:DWORD dst_unused:UNUSED_PAD src0_sel:WORD_1 src1_sel:DWORD
	s_mul_hi_i32 s2, s20, s6
	s_mov_b32 s12, 0xffff
	s_add_u32 s0, s0, s3
	v_or_b32_sdwa v4, v10, v4 dst_sel:WORD_1 dst_unused:UNUSED_PAD src0_sel:DWORD src1_sel:DWORD
	s_addc_u32 s1, s1, s2
	s_add_i32 s2, s15, 3
	v_and_or_b32 v4, v5, s12, v4
	;;#ASMSTART
	v_pk_mul_f32 v[8:9], v[8:9], v[2:3]
	;;#ASMEND
	v_mov_b32_e32 v5, v9
	s_ashr_i32 s3, s2, 31
	;;#ASMSTART
	v_med3_f32 v8, v8, v12, v13
v_med3_f32 v5, v5, v12, v13
v_cvt_pk_fp8_f32 v9, v8, v5
	;;#ASMEND
	;;#ASMSTART
	v_pk_mul_f32 v[2:3], v[6:7], v[2:3]
	;;#ASMEND
	s_lshr_b32 s3, s3, 30
	;;#ASMSTART
	v_med3_f32 v2, v2, v12, v13
v_med3_f32 v3, v3, v12, v13
v_cvt_pk_fp8_f32 v5, v2, v3
	;;#ASMEND
	s_add_i32 s2, s2, s3
	v_lshlrev_b32_e32 v2, 16, v5
	s_and_b32 s2, s2, -4
	s_and_b32 s1, s1, 0xffff
	s_mov_b32 s3, 0x20000
	v_and_or_b32 v5, v9, s12, v2
	buffer_store_dwordx2 v[4:5], v1, s[0:3], 0 offen
	;;#ASMSTART
	s_nop 0
	;;#ASMEND
.LBB234_18:
	s_or_b64 exec, exec, s[10:11]
	s_cmp_lt_i32 s16, 1
	s_cbranch_scc1 .LBB234_8
.LBB234_19:
	s_load_dword s0, s[4:5], 0x94
	s_waitcnt lgkmcnt(0)
	s_cmp_lg_u32 s0, 1
	s_cbranch_scc1 .LBB234_8
; %bb.20:
	s_lshl_b32 s0, s16, 1
	s_add_i32 s0, s0, 2
	v_cmp_gt_u32_e32 vcc, s16, v1
	s_and_b32 s10, s0, -4
	s_waitcnt vmcnt(0)
	v_mov_b32_e32 v4, 0
	v_lshlrev_b32_e32 v12, 4, v0
	v_mov_b32_e32 v5, 0
	v_mov_b32_e32 v6, 0
	;; [unrolled: 1-line block ×7, first 2 shown]
	s_barrier
	s_and_saveexec_b64 s[0:1], vcc
	s_cbranch_execz .LBB234_22
; %bb.21:
	s_mul_hi_i32 s3, s18, s6
	s_mul_i32 s2, s18, s6
	s_and_b32 s9, s9, 0xffff
	s_lshl_b64 s[2:3], s[2:3], 1
	s_add_u32 s20, s26, s2
	s_mov_b32 s11, 0x20000
	s_addc_u32 s2, s27, s3
	s_and_b32 s21, s2, 0xffff
	s_mov_b32 s22, s10
	s_mov_b32 s23, s11
	buffer_load_dwordx4 v[4:7], v12, s[20:23], 0 offen glc slc
	buffer_load_dwordx4 v[0:3], v12, s[8:11], 0 offen
.LBB234_22:
	s_or_b64 exec, exec, s[0:1]
	s_waitcnt vmcnt(1)
	v_cvt_f32_u32_sdwa v11, v4 dst_sel:DWORD dst_unused:UNUSED_PAD src0_sel:WORD_1
	v_cvt_f32_u32_sdwa v10, v4 dst_sel:DWORD dst_unused:UNUSED_PAD src0_sel:WORD_0
	v_cvt_f32_u32_sdwa v4, v7 dst_sel:DWORD dst_unused:UNUSED_PAD src0_sel:WORD_1
	v_cvt_f32_u32_sdwa v7, v7 dst_sel:DWORD dst_unused:UNUSED_PAD src0_sel:WORD_0
	;; [unrolled: 2-line block ×4, first 2 shown]
	v_cndmask_b32_e32 v11, 0, v11, vcc
	v_cndmask_b32_e32 v5, 0, v4, vcc
	;; [unrolled: 1-line block ×5, first 2 shown]
	v_mul_f32_e32 v13, v11, v11
	v_cndmask_b32_e32 v8, 0, v8, vcc
	v_fmac_f32_e32 v13, v10, v10
	v_cndmask_b32_e32 v9, 0, v9, vcc
	v_fmac_f32_e32 v13, v8, v8
	;; [unrolled: 2-line block ×3, first 2 shown]
	v_fmac_f32_e32 v13, v6, v6
	v_fmac_f32_e32 v13, v7, v7
	;; [unrolled: 1-line block ×4, first 2 shown]
	s_nop 1
	v_mov_b32_dpp v15, v13 quad_perm:[1,0,3,2] row_mask:0xf bank_mask:0xf
	v_add_f32_e32 v13, v13, v15
	s_nop 1
	v_mov_b32_dpp v15, v13 quad_perm:[2,3,0,1] row_mask:0xf bank_mask:0xf
	v_add_f32_e32 v13, v13, v15
	s_nop 1
	v_mov_b32_dpp v15, v13 row_half_mirror row_mask:0xf bank_mask:0xf
	v_add_f32_e32 v13, v13, v15
	s_nop 1
	v_mov_b32_dpp v15, v13 row_mirror row_mask:0xf bank_mask:0xf
	v_add_f32_e32 v13, v13, v15
	s_nop 1
	v_mov_b32_dpp v15, v13 row_bcast:15 row_mask:0xf bank_mask:0xf
	v_add_f32_e32 v13, v13, v15
	s_nop 1
	v_mov_b32_dpp v15, v13 row_bcast:31 row_mask:0xf bank_mask:0xf
	v_add_f32_e32 v13, v13, v15
	ds_bpermute_b32 v13, v14, v13
	s_and_saveexec_b64 s[0:1], vcc
	s_cbranch_execz .LBB234_8
; %bb.23:
	v_cvt_f32_u32_e32 v14, s16
	s_mov_b32 s11, 0x20000
	s_waitcnt lgkmcnt(0)
	v_div_scale_f32 v15, s[0:1], v14, v14, v13
	v_rcp_f32_e32 v16, v15
	v_div_scale_f32 v17, vcc, v13, v14, v13
	s_mov_b32 s0, 0x800000
	v_fma_f32 v18, -v15, v16, 1.0
	v_fmac_f32_e32 v16, v18, v16
	v_mul_f32_e32 v18, v17, v16
	v_fma_f32 v19, -v15, v18, v17
	v_fmac_f32_e32 v18, v19, v16
	v_fma_f32 v15, -v15, v18, v17
	v_div_fmas_f32 v15, v15, v16, v18
	v_div_fixup_f32 v13, v15, v14, v13
	v_add_f32_e32 v13, s13, v13
	v_mul_f32_e32 v14, 0x4b800000, v13
	v_cmp_gt_f32_e32 vcc, s0, v13
	v_cndmask_b32_e32 v13, v13, v14, vcc
	v_rsq_f32_e32 v13, v13
	s_waitcnt vmcnt(0)
	v_cvt_f32_u32_sdwa v15, v0 dst_sel:DWORD dst_unused:UNUSED_PAD src0_sel:WORD_1
	v_cvt_f32_u32_sdwa v19, v1 dst_sel:DWORD dst_unused:UNUSED_PAD src0_sel:WORD_1
	v_cvt_f32_u32_sdwa v18, v1 dst_sel:DWORD dst_unused:UNUSED_PAD src0_sel:WORD_0
	v_mul_f32_e32 v14, 0x45800000, v13
	v_cndmask_b32_e32 v16, v13, v14, vcc
	v_cvt_f32_u32_sdwa v14, v0 dst_sel:DWORD dst_unused:UNUSED_PAD src0_sel:WORD_0
	v_mov_b32_e32 v17, v16
	;;#ASMSTART
	v_pk_mul_f32 v[10:11], v[10:11], v[16:17]
	;;#ASMEND
	;;#ASMSTART
	v_pk_mul_f32 v[8:9], v[8:9], v[16:17]
	;;#ASMEND
	;; [unrolled: 3-line block ×4, first 2 shown]
	v_pk_add_f32 v[4:5], v[14:15], 1.0 op_sel_hi:[1,0]
	v_cvt_f32_u32_sdwa v15, v2 dst_sel:DWORD dst_unused:UNUSED_PAD src0_sel:WORD_1
	v_cvt_f32_u32_sdwa v14, v2 dst_sel:DWORD dst_unused:UNUSED_PAD src0_sel:WORD_0
	v_cvt_f32_u32_sdwa v17, v3 dst_sel:DWORD dst_unused:UNUSED_PAD src0_sel:WORD_1
	v_cvt_f32_u32_sdwa v16, v3 dst_sel:DWORD dst_unused:UNUSED_PAD src0_sel:WORD_0
	s_mul_hi_i32 s1, s7, s6
	s_mul_i32 s0, s7, s6
	s_lshl_b64 s[0:1], s[0:1], 1
	s_add_u32 s8, s24, s0
	;;#ASMSTART
	v_pk_mul_f32 v[4:5], v[10:11], v[4:5]
	;;#ASMEND
	v_pk_add_f32 v[10:11], v[18:19], 1.0 op_sel_hi:[1,0]
	;;#ASMSTART
	v_pk_mul_f32 v[2:3], v[8:9], v[10:11]
	;;#ASMEND
	v_pk_add_f32 v[8:9], v[14:15], 1.0 op_sel_hi:[1,0]
	s_addc_u32 s0, s25, s1
	;;#ASMSTART
	v_pk_mul_f32 v[6:7], v[6:7], v[8:9]
	;;#ASMEND
	v_pk_add_f32 v[8:9], v[16:17], 1.0 op_sel_hi:[1,0]
	s_and_b32 s9, s0, 0xffff
	s_mov_b32 s0, 0x7060302
	;;#ASMSTART
	v_pk_mul_f32 v[8:9], v[0:1], v[8:9]
	;;#ASMEND
	v_perm_b32 v0, v5, v4, s0
	v_perm_b32 v1, v3, v2, s0
	;; [unrolled: 1-line block ×4, first 2 shown]
	buffer_store_dwordx4 v[0:3], v12, s[8:11], 0 offen
	;;#ASMSTART
	s_nop 0
	;;#ASMEND
	s_endpgm
	.section	.rodata,"a",@progbits
	.p2align	6, 0x0
	.amdhsa_kernel _ZN5aiter35fused_qk_rmsnorm_group_quant_kernelItDB8_Li64ELi8ELi4ELb0ELb0ELb1ELb0ELb0ELb0EEEvPT0_PvPT_S6_S6_PKS5_S8_S8_S8_S8_ffiiiiiiiiiiiii
		.amdhsa_group_segment_fixed_size 0
		.amdhsa_private_segment_fixed_size 0
		.amdhsa_kernarg_size 400
		.amdhsa_user_sgpr_count 6
		.amdhsa_user_sgpr_private_segment_buffer 1
		.amdhsa_user_sgpr_dispatch_ptr 0
		.amdhsa_user_sgpr_queue_ptr 0
		.amdhsa_user_sgpr_kernarg_segment_ptr 1
		.amdhsa_user_sgpr_dispatch_id 0
		.amdhsa_user_sgpr_flat_scratch_init 0
		.amdhsa_user_sgpr_kernarg_preload_length 0
		.amdhsa_user_sgpr_kernarg_preload_offset 0
		.amdhsa_user_sgpr_private_segment_size 0
		.amdhsa_uses_dynamic_stack 0
		.amdhsa_system_sgpr_private_segment_wavefront_offset 0
		.amdhsa_system_sgpr_workgroup_id_x 1
		.amdhsa_system_sgpr_workgroup_id_y 1
		.amdhsa_system_sgpr_workgroup_id_z 0
		.amdhsa_system_sgpr_workgroup_info 0
		.amdhsa_system_vgpr_workitem_id 0
		.amdhsa_next_free_vgpr 23
		.amdhsa_next_free_sgpr 32
		.amdhsa_accum_offset 24
		.amdhsa_reserve_vcc 1
		.amdhsa_reserve_flat_scratch 0
		.amdhsa_float_round_mode_32 0
		.amdhsa_float_round_mode_16_64 0
		.amdhsa_float_denorm_mode_32 3
		.amdhsa_float_denorm_mode_16_64 3
		.amdhsa_dx10_clamp 1
		.amdhsa_ieee_mode 1
		.amdhsa_fp16_overflow 0
		.amdhsa_tg_split 0
		.amdhsa_exception_fp_ieee_invalid_op 0
		.amdhsa_exception_fp_denorm_src 0
		.amdhsa_exception_fp_ieee_div_zero 0
		.amdhsa_exception_fp_ieee_overflow 0
		.amdhsa_exception_fp_ieee_underflow 0
		.amdhsa_exception_fp_ieee_inexact 0
		.amdhsa_exception_int_div_zero 0
	.end_amdhsa_kernel
	.section	.text._ZN5aiter35fused_qk_rmsnorm_group_quant_kernelItDB8_Li64ELi8ELi4ELb0ELb0ELb1ELb0ELb0ELb0EEEvPT0_PvPT_S6_S6_PKS5_S8_S8_S8_S8_ffiiiiiiiiiiiii,"axG",@progbits,_ZN5aiter35fused_qk_rmsnorm_group_quant_kernelItDB8_Li64ELi8ELi4ELb0ELb0ELb1ELb0ELb0ELb0EEEvPT0_PvPT_S6_S6_PKS5_S8_S8_S8_S8_ffiiiiiiiiiiiii,comdat
.Lfunc_end234:
	.size	_ZN5aiter35fused_qk_rmsnorm_group_quant_kernelItDB8_Li64ELi8ELi4ELb0ELb0ELb1ELb0ELb0ELb0EEEvPT0_PvPT_S6_S6_PKS5_S8_S8_S8_S8_ffiiiiiiiiiiiii, .Lfunc_end234-_ZN5aiter35fused_qk_rmsnorm_group_quant_kernelItDB8_Li64ELi8ELi4ELb0ELb0ELb1ELb0ELb0ELb0EEEvPT0_PvPT_S6_S6_PKS5_S8_S8_S8_S8_ffiiiiiiiiiiiii
                                        ; -- End function
	.section	.AMDGPU.csdata,"",@progbits
; Kernel info:
; codeLenInByte = 2428
; NumSgprs: 36
; NumVgprs: 23
; NumAgprs: 0
; TotalNumVgprs: 23
; ScratchSize: 0
; MemoryBound: 0
; FloatMode: 240
; IeeeMode: 1
; LDSByteSize: 0 bytes/workgroup (compile time only)
; SGPRBlocks: 4
; VGPRBlocks: 2
; NumSGPRsForWavesPerEU: 36
; NumVGPRsForWavesPerEU: 23
; AccumOffset: 24
; Occupancy: 8
; WaveLimiterHint : 0
; COMPUTE_PGM_RSRC2:SCRATCH_EN: 0
; COMPUTE_PGM_RSRC2:USER_SGPR: 6
; COMPUTE_PGM_RSRC2:TRAP_HANDLER: 0
; COMPUTE_PGM_RSRC2:TGID_X_EN: 1
; COMPUTE_PGM_RSRC2:TGID_Y_EN: 1
; COMPUTE_PGM_RSRC2:TGID_Z_EN: 0
; COMPUTE_PGM_RSRC2:TIDIG_COMP_CNT: 0
; COMPUTE_PGM_RSRC3_GFX90A:ACCUM_OFFSET: 5
; COMPUTE_PGM_RSRC3_GFX90A:TG_SPLIT: 0
	.section	.text._ZN5aiter35fused_qk_rmsnorm_group_quant_kernelIDF16_N4opus5fp4_tELi64ELi8ELi4ELb0ELb0ELb1ELb0ELb0ELb0EEEvPT0_PvPT_S7_S7_PKS6_S9_S9_S9_S9_ffiiiiiiiiiiiii,"axG",@progbits,_ZN5aiter35fused_qk_rmsnorm_group_quant_kernelIDF16_N4opus5fp4_tELi64ELi8ELi4ELb0ELb0ELb1ELb0ELb0ELb0EEEvPT0_PvPT_S7_S7_PKS6_S9_S9_S9_S9_ffiiiiiiiiiiiii,comdat
	.protected	_ZN5aiter35fused_qk_rmsnorm_group_quant_kernelIDF16_N4opus5fp4_tELi64ELi8ELi4ELb0ELb0ELb1ELb0ELb0ELb0EEEvPT0_PvPT_S7_S7_PKS6_S9_S9_S9_S9_ffiiiiiiiiiiiii ; -- Begin function _ZN5aiter35fused_qk_rmsnorm_group_quant_kernelIDF16_N4opus5fp4_tELi64ELi8ELi4ELb0ELb0ELb1ELb0ELb0ELb0EEEvPT0_PvPT_S7_S7_PKS6_S9_S9_S9_S9_ffiiiiiiiiiiiii
	.globl	_ZN5aiter35fused_qk_rmsnorm_group_quant_kernelIDF16_N4opus5fp4_tELi64ELi8ELi4ELb0ELb0ELb1ELb0ELb0ELb0EEEvPT0_PvPT_S7_S7_PKS6_S9_S9_S9_S9_ffiiiiiiiiiiiii
	.p2align	8
	.type	_ZN5aiter35fused_qk_rmsnorm_group_quant_kernelIDF16_N4opus5fp4_tELi64ELi8ELi4ELb0ELb0ELb1ELb0ELb0ELb0EEEvPT0_PvPT_S7_S7_PKS6_S9_S9_S9_S9_ffiiiiiiiiiiiii,@function
_ZN5aiter35fused_qk_rmsnorm_group_quant_kernelIDF16_N4opus5fp4_tELi64ELi8ELi4ELb0ELb0ELb1ELb0ELb0ELb0EEEvPT0_PvPT_S7_S7_PKS6_S9_S9_S9_S9_ffiiiiiiiiiiiii: ; @_ZN5aiter35fused_qk_rmsnorm_group_quant_kernelIDF16_N4opus5fp4_tELi64ELi8ELi4ELb0ELb0ELb1ELb0ELb0ELb0EEEvPT0_PvPT_S7_S7_PKS6_S9_S9_S9_S9_ffiiiiiiiiiiiii
; %bb.0:
	s_load_dwordx4 s[12:15], s[4:5], 0x50
	s_waitcnt lgkmcnt(0)
	s_cmp_ge_i32 s6, s14
	s_cbranch_scc1 .LBB235_10
; %bb.1:
	s_load_dwordx2 s[8:9], s[4:5], 0x48
	s_load_dwordx2 s[26:27], s[4:5], 0x30
	s_load_dwordx4 s[16:19], s[4:5], 0x60
	s_cmp_lg_u32 s7, 0
	s_cselect_b64 s[2:3], -1, 0
	s_cmp_eq_u32 s7, 0
	s_cselect_b64 vcc, -1, 0
	s_and_b64 s[0:1], vcc, exec
	s_waitcnt lgkmcnt(0)
	s_cselect_b32 s7, s15, s16
	s_add_i32 s0, s7, 1
	s_lshr_b32 s1, s0, 31
	s_add_i32 s0, s0, s1
	s_lshl_b32 s0, s0, 1
	v_lshlrev_b32_e32 v1, 3, v0
	s_and_b32 s22, s0, -4
	v_cmp_gt_i32_e64 s[0:1], s7, v1
	v_mov_b32_e32 v10, 0
	v_mov_b32_e32 v2, 0
	;; [unrolled: 1-line block ×9, first 2 shown]
	s_and_saveexec_b64 s[10:11], s[0:1]
	s_cbranch_execz .LBB235_3
; %bb.2:
	s_load_dwordx2 s[20:21], s[4:5], 0x28
	s_load_dwordx2 s[24:25], s[4:5], 0x40
	s_and_b64 s[28:29], vcc, exec
	s_cselect_b32 s14, s17, s18
	s_mov_b32 s23, 0x20000
	s_waitcnt lgkmcnt(0)
	s_cselect_b32 s17, s21, s27
	s_cselect_b32 s19, s20, s26
	s_mul_hi_i32 s21, s14, s6
	s_mul_i32 s20, s14, s6
	s_lshl_b64 s[20:21], s[20:21], 1
	s_add_u32 s28, s19, s20
	s_addc_u32 s14, s17, s21
	s_and_b64 s[20:21], vcc, exec
	s_cselect_b32 s20, s24, s8
	s_cselect_b32 s17, s25, s9
	v_lshlrev_b32_e32 v11, 4, v0
	s_and_b32 s29, s14, 0xffff
	s_mov_b32 s30, s22
	s_mov_b32 s31, s23
	s_and_b32 s21, s17, 0xffff
	buffer_load_dwordx4 v[6:9], v11, s[28:31], 0 offen glc slc
	buffer_load_dwordx4 v[2:5], v11, s[20:23], 0 offen
.LBB235_3:
	s_or_b64 exec, exec, s[10:11]
	v_mov_b32_e32 v11, 0
	v_mov_b32_e32 v16, 0
	;; [unrolled: 1-line block ×7, first 2 shown]
	s_and_saveexec_b64 s[10:11], s[0:1]
	s_cbranch_execz .LBB235_5
; %bb.4:
	s_waitcnt vmcnt(1)
	v_cvt_f32_f16_sdwa v11, v6 dst_sel:DWORD dst_unused:UNUSED_PAD src0_sel:WORD_1
	v_cvt_f32_f16_e32 v10, v6
	v_cvt_f32_f16_sdwa v17, v7 dst_sel:DWORD dst_unused:UNUSED_PAD src0_sel:WORD_1
	v_cvt_f32_f16_e32 v16, v7
	;; [unrolled: 2-line block ×4, first 2 shown]
.LBB235_5:
	s_or_b64 exec, exec, s[10:11]
	s_waitcnt vmcnt(1)
	v_mul_f32_e32 v6, v11, v11
	v_fmac_f32_e32 v6, v10, v10
	v_fmac_f32_e32 v6, v16, v16
	;; [unrolled: 1-line block ×7, first 2 shown]
	v_bfrev_b32_e32 v8, 0.5
	s_load_dwordx2 s[24:25], s[4:5], 0x18
	v_mov_b32_dpp v7, v6 quad_perm:[1,0,3,2] row_mask:0xf bank_mask:0xf
	v_add_f32_e32 v6, v6, v7
	s_nop 1
	v_mov_b32_dpp v7, v6 quad_perm:[2,3,0,1] row_mask:0xf bank_mask:0xf
	v_add_f32_e32 v6, v6, v7
	s_nop 1
	v_mov_b32_dpp v7, v6 row_half_mirror row_mask:0xf bank_mask:0xf
	v_add_f32_e32 v6, v6, v7
	s_nop 1
	v_mov_b32_dpp v7, v6 row_mirror row_mask:0xf bank_mask:0xf
	v_add_f32_e32 v6, v6, v7
	s_nop 1
	v_mov_b32_dpp v7, v6 row_bcast:15 row_mask:0xf bank_mask:0xf
	v_add_f32_e32 v6, v6, v7
	s_nop 1
	v_mov_b32_dpp v7, v6 row_bcast:31 row_mask:0xf bank_mask:0xf
	v_add_f32_e32 v6, v6, v7
	v_mbcnt_lo_u32_b32 v7, -1, 0
	v_mbcnt_hi_u32_b32 v7, -1, v7
	v_lshl_or_b32 v18, v7, 2, v8
	ds_bpermute_b32 v6, v18, v6
	s_and_saveexec_b64 s[10:11], s[0:1]
	s_cbranch_execz .LBB235_7
; %bb.6:
	v_cvt_f32_u32_e32 v7, s7
	v_mov_b32_e32 v8, s13
	v_mov_b32_e32 v9, s12
	v_cndmask_b32_e32 v8, v8, v9, vcc
	s_waitcnt lgkmcnt(0)
	v_div_scale_f32 v19, s[20:21], v7, v7, v6
	v_rcp_f32_e32 v20, v19
	v_div_scale_f32 v9, vcc, v6, v7, v6
	s_mov_b32 s7, 0x800000
	v_fma_f32 v21, -v19, v20, 1.0
	v_fmac_f32_e32 v20, v21, v20
	v_mul_f32_e32 v21, v9, v20
	v_fma_f32 v22, -v19, v21, v9
	v_fmac_f32_e32 v21, v22, v20
	v_fma_f32 v9, -v19, v21, v9
	v_div_fmas_f32 v9, v9, v20, v21
	v_div_fixup_f32 v6, v9, v7, v6
	v_add_f32_e32 v6, v8, v6
	v_mul_f32_e32 v7, 0x4b800000, v6
	v_cmp_gt_f32_e32 vcc, s7, v6
	v_cndmask_b32_e32 v6, v6, v7, vcc
	v_rsq_f32_e32 v6, v6
	s_waitcnt vmcnt(0)
	v_cvt_f32_f16_sdwa v21, v3 dst_sel:DWORD dst_unused:UNUSED_PAD src0_sel:WORD_1
	v_cvt_f32_f16_e32 v20, v3
	v_mul_f32_e32 v7, 0x45800000, v6
	v_cndmask_b32_e32 v6, v6, v7, vcc
	v_mov_b32_e32 v7, v6
	;;#ASMSTART
	v_pk_mul_f32 v[8:9], v[10:11], v[6:7]
	;;#ASMEND
	v_cvt_f32_f16_sdwa v11, v2 dst_sel:DWORD dst_unused:UNUSED_PAD src0_sel:WORD_1
	v_cvt_f32_f16_e32 v10, v2
	;;#ASMSTART
	v_pk_mul_f32 v[16:17], v[16:17], v[6:7]
	;;#ASMEND
	;;#ASMSTART
	v_pk_mul_f32 v[14:15], v[14:15], v[6:7]
	;;#ASMEND
	;; [unrolled: 3-line block ×3, first 2 shown]
	v_pk_add_f32 v[6:7], v[10:11], 1.0 op_sel_hi:[1,0]
	;;#ASMSTART
	v_pk_mul_f32 v[10:11], v[8:9], v[6:7]
	;;#ASMEND
	v_cvt_f32_f16_sdwa v9, v4 dst_sel:DWORD dst_unused:UNUSED_PAD src0_sel:WORD_1
	v_cvt_f32_f16_e32 v8, v4
	v_cvt_f32_f16_sdwa v13, v5 dst_sel:DWORD dst_unused:UNUSED_PAD src0_sel:WORD_1
	v_cvt_f32_f16_e32 v12, v5
	v_pk_add_f32 v[6:7], v[20:21], 1.0 op_sel_hi:[1,0]
	v_pk_add_f32 v[4:5], v[8:9], 1.0 op_sel_hi:[1,0]
	;;#ASMSTART
	v_pk_mul_f32 v[16:17], v[16:17], v[6:7]
	;;#ASMEND
	;;#ASMSTART
	v_pk_mul_f32 v[14:15], v[14:15], v[4:5]
	;;#ASMEND
	v_pk_add_f32 v[4:5], v[12:13], 1.0 op_sel_hi:[1,0]
	;;#ASMSTART
	v_pk_mul_f32 v[12:13], v[2:3], v[4:5]
	;;#ASMEND
.LBB235_7:
	s_or_b64 exec, exec, s[10:11]
	s_load_dword s7, s[4:5], 0x80
	s_mov_b64 s[10:11], -1
	s_and_b64 vcc, exec, s[2:3]
	s_cbranch_vccnz .LBB235_11
; %bb.8:
	s_andn2_b64 vcc, exec, s[10:11]
	s_cbranch_vccz .LBB235_14
.LBB235_9:
	s_cmp_lt_i32 s16, 1
	s_cbranch_scc0 .LBB235_21
.LBB235_10:
	s_endpgm
.LBB235_11:
	s_and_saveexec_b64 s[2:3], s[0:1]
	s_cbranch_execz .LBB235_13
; %bb.12:
	s_waitcnt lgkmcnt(0)
	s_mul_hi_i32 s11, s7, s6
	s_mul_i32 s10, s7, s6
	s_waitcnt vmcnt(0)
	v_cvt_f16_f32_e32 v2, v10
	v_cvt_f16_f32_e32 v3, v16
	;; [unrolled: 1-line block ×8, first 2 shown]
	s_lshl_b64 s[10:11], s[10:11], 1
	s_add_u32 s20, s24, s10
	s_addc_u32 s10, s25, s11
	s_and_b32 s21, s10, 0xffff
	s_mov_b32 s23, 0x20000
	v_pack_b32_f16 v5, v5, v6
	v_pack_b32_f16 v4, v4, v7
	;; [unrolled: 1-line block ×4, first 2 shown]
	v_lshlrev_b32_e32 v6, 4, v0
	buffer_store_dwordx4 v[2:5], v6, s[20:23], 0 offen
	;;#ASMSTART
	s_nop 0
	;;#ASMEND
.LBB235_13:
	s_or_b64 exec, exec, s[2:3]
	s_cbranch_execnz .LBB235_9
.LBB235_14:
	s_waitcnt vmcnt(0)
	v_mov_b32_e32 v2, 0
	s_and_saveexec_b64 s[2:3], s[0:1]
	s_cbranch_execz .LBB235_16
; %bb.15:
	v_and_b32_e32 v2, 0x7fffffff, v10
	v_and_b32_e32 v3, 0x7fffffff, v11
	v_mov_b32_e32 v4, 0x2edbe6ff
	;;#ASMSTART
	v_max3_f32 v2, v4, v2, v3

	;;#ASMEND
	v_and_b32_e32 v3, 0x7fffffff, v16
	v_and_b32_e32 v4, 0x7fffffff, v17
	;;#ASMSTART
	v_max3_f32 v2, v2, v3, v4

	;;#ASMEND
	v_and_b32_e32 v3, 0x7fffffff, v14
	v_and_b32_e32 v4, 0x7fffffff, v15
	;;#ASMSTART
	v_max3_f32 v2, v2, v3, v4

	;;#ASMEND
	v_and_b32_e32 v3, 0x7fffffff, v12
	v_and_b32_e32 v4, 0x7fffffff, v13
	;;#ASMSTART
	v_max3_f32 v2, v2, v3, v4

	;;#ASMEND
.LBB235_16:
	s_or_b64 exec, exec, s[2:3]
	s_load_dwordx4 s[20:23], s[4:5], 0x70
	;;#ASMSTART
	v_max_f32 v3, v2, v2 quad_perm:[1,0,3,2] row_mask:0xf bank_mask:0xf bound_ctrl:1
	;;#ASMEND
	;;#ASMSTART
	v_max_f32 v2, v3, v3 quad_perm:[2,3,0,1] row_mask:0xf bank_mask:0xf bound_ctrl:1
	;;#ASMEND
	v_and_b32_e32 v3, 3, v0
	v_cmp_eq_u32_e32 vcc, 0, v3
	v_cmp_gt_i32_e64 s[2:3], s15, v1
	s_and_b64 s[10:11], vcc, s[2:3]
	s_and_saveexec_b64 s[2:3], s[10:11]
	s_cbranch_execz .LBB235_18
; %bb.17:
	s_load_dwordx2 s[10:11], s[4:5], 0x8
	v_mul_f32_e32 v2, 0x3e2aaaab, v2
	v_lshrrev_b32_e32 v3, 23, v2
	v_and_b32_e32 v4, 0x7f800000, v2
	v_and_b32_e32 v2, 0x7fffff, v2
	v_cmp_ne_u32_e32 vcc, 0, v2
	s_waitcnt lgkmcnt(0)
	s_mul_i32 s17, s21, s6
	s_mov_b32 s12, 0x7f800000
	v_addc_co_u32_e32 v2, vcc, 0, v3, vcc
	s_mul_hi_i32 s14, s21, s6
	s_add_u32 s10, s10, s17
	v_cmp_ne_u32_e32 vcc, s12, v4
	s_addc_u32 s11, s11, s14
	v_lshrrev_b32_e32 v5, 2, v0
	v_cndmask_b32_e32 v4, -1, v2, vcc
	v_pk_mov_b32 v[2:3], s[10:11], s[10:11] op_sel:[0,1]
	v_mad_i64_i32 v[2:3], s[10:11], s22, v5, v[2:3]
	global_store_byte v[2:3], v4, off
.LBB235_18:
	s_or_b64 exec, exec, s[2:3]
	s_and_saveexec_b64 s[2:3], s[0:1]
	s_cbranch_execz .LBB235_20
; %bb.19:
	s_load_dwordx2 s[0:1], s[4:5], 0x0
	s_waitcnt lgkmcnt(0)
	s_mul_i32 s11, s20, s6
	s_mul_hi_i32 s10, s20, s6
	v_lshlrev_b32_e32 v2, 2, v0
	s_mov_b32 s23, 0x20000
	s_add_u32 s20, s0, s11
	s_addc_u32 s0, s1, s10
	s_lshr_b32 s1, s15, 31
	s_add_i32 s1, s15, s1
	s_ashr_i32 s1, s1, 1
	s_add_i32 s1, s1, 3
	s_ashr_i32 s10, s1, 31
	s_lshr_b32 s10, s10, 30
	s_add_i32 s1, s1, s10
	s_and_b32 s22, s1, -4
	s_and_b32 s21, s0, 0xffff
	v_mov_b32_e32 v3, 0
	buffer_store_dword v3, v2, s[20:23], 0 offen
	;;#ASMSTART
	s_nop 0
	;;#ASMEND
.LBB235_20:
	s_or_b64 exec, exec, s[2:3]
	s_cmp_lt_i32 s16, 1
	s_cbranch_scc1 .LBB235_10
.LBB235_21:
	s_load_dword s0, s[4:5], 0x94
	s_waitcnt lgkmcnt(0)
	s_cmp_lg_u32 s0, 1
	s_cbranch_scc1 .LBB235_10
; %bb.22:
	s_lshl_b32 s0, s16, 1
	s_add_i32 s0, s0, 2
	v_cmp_gt_u32_e32 vcc, s16, v1
	s_and_b32 s10, s0, -4
	v_mov_b32_e32 v8, 0
	v_lshlrev_b32_e32 v16, 4, v0
	s_waitcnt vmcnt(0)
	v_mov_b32_e32 v4, 0
	v_mov_b32_e32 v5, 0
	;; [unrolled: 1-line block ×8, first 2 shown]
	s_barrier
	s_and_saveexec_b64 s[0:1], vcc
	s_cbranch_execz .LBB235_24
; %bb.23:
	s_mul_hi_i32 s3, s18, s6
	s_mul_i32 s2, s18, s6
	s_and_b32 s9, s9, 0xffff
	s_lshl_b64 s[2:3], s[2:3], 1
	s_add_u32 s20, s26, s2
	s_mov_b32 s11, 0x20000
	s_addc_u32 s2, s27, s3
	s_and_b32 s21, s2, 0xffff
	s_mov_b32 s22, s10
	s_mov_b32 s23, s11
	buffer_load_dwordx4 v[4:7], v16, s[20:23], 0 offen glc slc
	buffer_load_dwordx4 v[0:3], v16, s[8:11], 0 offen
.LBB235_24:
	s_or_b64 exec, exec, s[0:1]
	v_mov_b32_e32 v9, 0
	v_mov_b32_e32 v12, 0
	;; [unrolled: 1-line block ×7, first 2 shown]
	s_and_saveexec_b64 s[0:1], vcc
	s_cbranch_execz .LBB235_26
; %bb.25:
	s_waitcnt vmcnt(1)
	v_cvt_f32_f16_sdwa v9, v4 dst_sel:DWORD dst_unused:UNUSED_PAD src0_sel:WORD_1
	v_cvt_f32_f16_e32 v8, v4
	v_cvt_f32_f16_sdwa v13, v5 dst_sel:DWORD dst_unused:UNUSED_PAD src0_sel:WORD_1
	v_cvt_f32_f16_e32 v12, v5
	;; [unrolled: 2-line block ×4, first 2 shown]
.LBB235_26:
	s_or_b64 exec, exec, s[0:1]
	s_waitcnt vmcnt(1)
	v_mul_f32_e32 v4, v9, v9
	v_fmac_f32_e32 v4, v8, v8
	v_fmac_f32_e32 v4, v12, v12
	;; [unrolled: 1-line block ×7, first 2 shown]
	s_nop 1
	v_mov_b32_dpp v5, v4 quad_perm:[1,0,3,2] row_mask:0xf bank_mask:0xf
	v_add_f32_e32 v4, v4, v5
	s_nop 1
	v_mov_b32_dpp v5, v4 quad_perm:[2,3,0,1] row_mask:0xf bank_mask:0xf
	v_add_f32_e32 v4, v4, v5
	s_nop 1
	v_mov_b32_dpp v5, v4 row_half_mirror row_mask:0xf bank_mask:0xf
	v_add_f32_e32 v4, v4, v5
	s_nop 1
	v_mov_b32_dpp v5, v4 row_mirror row_mask:0xf bank_mask:0xf
	v_add_f32_e32 v4, v4, v5
	s_nop 1
	v_mov_b32_dpp v5, v4 row_bcast:15 row_mask:0xf bank_mask:0xf
	v_add_f32_e32 v4, v4, v5
	s_nop 1
	v_mov_b32_dpp v5, v4 row_bcast:31 row_mask:0xf bank_mask:0xf
	v_add_f32_e32 v4, v4, v5
	ds_bpermute_b32 v4, v18, v4
	s_and_saveexec_b64 s[0:1], vcc
	s_cbranch_execz .LBB235_10
; %bb.27:
	v_cvt_f32_u32_e32 v5, s16
	s_mov_b32 s11, 0x20000
	s_waitcnt lgkmcnt(0)
	v_div_scale_f32 v6, s[0:1], v5, v5, v4
	v_rcp_f32_e32 v7, v6
	v_div_scale_f32 v17, vcc, v4, v5, v4
	s_mov_b32 s0, 0x800000
	v_fma_f32 v18, -v6, v7, 1.0
	v_fmac_f32_e32 v7, v18, v7
	v_mul_f32_e32 v18, v17, v7
	v_fma_f32 v19, -v6, v18, v17
	v_fmac_f32_e32 v18, v19, v7
	v_fma_f32 v6, -v6, v18, v17
	v_div_fmas_f32 v6, v6, v7, v18
	v_div_fixup_f32 v4, v6, v5, v4
	v_add_f32_e32 v4, s13, v4
	v_mul_f32_e32 v5, 0x4b800000, v4
	v_cmp_gt_f32_e32 vcc, s0, v4
	v_cndmask_b32_e32 v4, v4, v5, vcc
	v_rsq_f32_e32 v4, v4
	s_waitcnt vmcnt(0)
	v_cvt_f32_f16_sdwa v5, v0 dst_sel:DWORD dst_unused:UNUSED_PAD src0_sel:WORD_1
	v_cvt_f32_f16_sdwa v19, v1 dst_sel:DWORD dst_unused:UNUSED_PAD src0_sel:WORD_1
	v_cvt_f32_f16_e32 v18, v1
	v_mul_f32_e32 v6, 0x45800000, v4
	v_cndmask_b32_e32 v6, v4, v6, vcc
	v_cvt_f32_f16_e32 v4, v0
	v_mov_b32_e32 v7, v6
	;;#ASMSTART
	v_pk_mul_f32 v[8:9], v[8:9], v[6:7]
	;;#ASMEND
	;;#ASMSTART
	v_pk_mul_f32 v[12:13], v[12:13], v[6:7]
	;;#ASMEND
	v_pk_add_f32 v[4:5], v[4:5], 1.0 op_sel_hi:[1,0]
	;;#ASMSTART
	v_pk_mul_f32 v[14:15], v[14:15], v[6:7]
	;;#ASMEND
	;;#ASMSTART
	v_pk_mul_f32 v[0:1], v[10:11], v[6:7]
	;;#ASMEND
	;; [unrolled: 3-line block ×3, first 2 shown]
	v_cvt_f32_f16_sdwa v9, v2 dst_sel:DWORD dst_unused:UNUSED_PAD src0_sel:WORD_1
	v_cvt_f32_f16_e32 v8, v2
	v_cvt_f32_f16_sdwa v11, v3 dst_sel:DWORD dst_unused:UNUSED_PAD src0_sel:WORD_1
	v_cvt_f32_f16_e32 v10, v3
	v_pk_add_f32 v[6:7], v[18:19], 1.0 op_sel_hi:[1,0]
	;;#ASMSTART
	v_pk_mul_f32 v[2:3], v[12:13], v[6:7]
	;;#ASMEND
	v_pk_add_f32 v[6:7], v[8:9], 1.0 op_sel_hi:[1,0]
	;;#ASMSTART
	v_pk_mul_f32 v[6:7], v[14:15], v[6:7]
	;;#ASMEND
	;; [unrolled: 4-line block ×3, first 2 shown]
	s_mul_hi_i32 s1, s7, s6
	s_mul_i32 s0, s7, s6
	v_cvt_f16_f32_e32 v4, v4
	v_cvt_f16_f32_e32 v5, v5
	;; [unrolled: 1-line block ×8, first 2 shown]
	s_lshl_b64 s[0:1], s[0:1], 1
	s_add_u32 s8, s24, s0
	s_addc_u32 s0, s25, s1
	s_and_b32 s9, s0, 0xffff
	v_pack_b32_f16 v0, v4, v5
	v_pack_b32_f16 v1, v2, v3
	v_pack_b32_f16 v2, v6, v7
	v_pack_b32_f16 v3, v8, v9
	buffer_store_dwordx4 v[0:3], v16, s[8:11], 0 offen
	;;#ASMSTART
	s_nop 0
	;;#ASMEND
	s_endpgm
	.section	.rodata,"a",@progbits
	.p2align	6, 0x0
	.amdhsa_kernel _ZN5aiter35fused_qk_rmsnorm_group_quant_kernelIDF16_N4opus5fp4_tELi64ELi8ELi4ELb0ELb0ELb1ELb0ELb0ELb0EEEvPT0_PvPT_S7_S7_PKS6_S9_S9_S9_S9_ffiiiiiiiiiiiii
		.amdhsa_group_segment_fixed_size 0
		.amdhsa_private_segment_fixed_size 0
		.amdhsa_kernarg_size 400
		.amdhsa_user_sgpr_count 6
		.amdhsa_user_sgpr_private_segment_buffer 1
		.amdhsa_user_sgpr_dispatch_ptr 0
		.amdhsa_user_sgpr_queue_ptr 0
		.amdhsa_user_sgpr_kernarg_segment_ptr 1
		.amdhsa_user_sgpr_dispatch_id 0
		.amdhsa_user_sgpr_flat_scratch_init 0
		.amdhsa_user_sgpr_kernarg_preload_length 0
		.amdhsa_user_sgpr_kernarg_preload_offset 0
		.amdhsa_user_sgpr_private_segment_size 0
		.amdhsa_uses_dynamic_stack 0
		.amdhsa_system_sgpr_private_segment_wavefront_offset 0
		.amdhsa_system_sgpr_workgroup_id_x 1
		.amdhsa_system_sgpr_workgroup_id_y 1
		.amdhsa_system_sgpr_workgroup_id_z 0
		.amdhsa_system_sgpr_workgroup_info 0
		.amdhsa_system_vgpr_workitem_id 0
		.amdhsa_next_free_vgpr 23
		.amdhsa_next_free_sgpr 32
		.amdhsa_accum_offset 24
		.amdhsa_reserve_vcc 1
		.amdhsa_reserve_flat_scratch 0
		.amdhsa_float_round_mode_32 0
		.amdhsa_float_round_mode_16_64 0
		.amdhsa_float_denorm_mode_32 3
		.amdhsa_float_denorm_mode_16_64 3
		.amdhsa_dx10_clamp 1
		.amdhsa_ieee_mode 1
		.amdhsa_fp16_overflow 0
		.amdhsa_tg_split 0
		.amdhsa_exception_fp_ieee_invalid_op 0
		.amdhsa_exception_fp_denorm_src 0
		.amdhsa_exception_fp_ieee_div_zero 0
		.amdhsa_exception_fp_ieee_overflow 0
		.amdhsa_exception_fp_ieee_underflow 0
		.amdhsa_exception_fp_ieee_inexact 0
		.amdhsa_exception_int_div_zero 0
	.end_amdhsa_kernel
	.section	.text._ZN5aiter35fused_qk_rmsnorm_group_quant_kernelIDF16_N4opus5fp4_tELi64ELi8ELi4ELb0ELb0ELb1ELb0ELb0ELb0EEEvPT0_PvPT_S7_S7_PKS6_S9_S9_S9_S9_ffiiiiiiiiiiiii,"axG",@progbits,_ZN5aiter35fused_qk_rmsnorm_group_quant_kernelIDF16_N4opus5fp4_tELi64ELi8ELi4ELb0ELb0ELb1ELb0ELb0ELb0EEEvPT0_PvPT_S7_S7_PKS6_S9_S9_S9_S9_ffiiiiiiiiiiiii,comdat
.Lfunc_end235:
	.size	_ZN5aiter35fused_qk_rmsnorm_group_quant_kernelIDF16_N4opus5fp4_tELi64ELi8ELi4ELb0ELb0ELb1ELb0ELb0ELb0EEEvPT0_PvPT_S7_S7_PKS6_S9_S9_S9_S9_ffiiiiiiiiiiiii, .Lfunc_end235-_ZN5aiter35fused_qk_rmsnorm_group_quant_kernelIDF16_N4opus5fp4_tELi64ELi8ELi4ELb0ELb0ELb1ELb0ELb0ELb0EEEvPT0_PvPT_S7_S7_PKS6_S9_S9_S9_S9_ffiiiiiiiiiiiii
                                        ; -- End function
	.section	.AMDGPU.csdata,"",@progbits
; Kernel info:
; codeLenInByte = 2228
; NumSgprs: 36
; NumVgprs: 23
; NumAgprs: 0
; TotalNumVgprs: 23
; ScratchSize: 0
; MemoryBound: 0
; FloatMode: 240
; IeeeMode: 1
; LDSByteSize: 0 bytes/workgroup (compile time only)
; SGPRBlocks: 4
; VGPRBlocks: 2
; NumSGPRsForWavesPerEU: 36
; NumVGPRsForWavesPerEU: 23
; AccumOffset: 24
; Occupancy: 8
; WaveLimiterHint : 0
; COMPUTE_PGM_RSRC2:SCRATCH_EN: 0
; COMPUTE_PGM_RSRC2:USER_SGPR: 6
; COMPUTE_PGM_RSRC2:TRAP_HANDLER: 0
; COMPUTE_PGM_RSRC2:TGID_X_EN: 1
; COMPUTE_PGM_RSRC2:TGID_Y_EN: 1
; COMPUTE_PGM_RSRC2:TGID_Z_EN: 0
; COMPUTE_PGM_RSRC2:TIDIG_COMP_CNT: 0
; COMPUTE_PGM_RSRC3_GFX90A:ACCUM_OFFSET: 5
; COMPUTE_PGM_RSRC3_GFX90A:TG_SPLIT: 0
	.section	.text._ZN5aiter35fused_qk_rmsnorm_group_quant_kernelItN4opus5fp4_tELi64ELi8ELi4ELb0ELb0ELb1ELb0ELb0ELb0EEEvPT0_PvPT_S7_S7_PKS6_S9_S9_S9_S9_ffiiiiiiiiiiiii,"axG",@progbits,_ZN5aiter35fused_qk_rmsnorm_group_quant_kernelItN4opus5fp4_tELi64ELi8ELi4ELb0ELb0ELb1ELb0ELb0ELb0EEEvPT0_PvPT_S7_S7_PKS6_S9_S9_S9_S9_ffiiiiiiiiiiiii,comdat
	.protected	_ZN5aiter35fused_qk_rmsnorm_group_quant_kernelItN4opus5fp4_tELi64ELi8ELi4ELb0ELb0ELb1ELb0ELb0ELb0EEEvPT0_PvPT_S7_S7_PKS6_S9_S9_S9_S9_ffiiiiiiiiiiiii ; -- Begin function _ZN5aiter35fused_qk_rmsnorm_group_quant_kernelItN4opus5fp4_tELi64ELi8ELi4ELb0ELb0ELb1ELb0ELb0ELb0EEEvPT0_PvPT_S7_S7_PKS6_S9_S9_S9_S9_ffiiiiiiiiiiiii
	.globl	_ZN5aiter35fused_qk_rmsnorm_group_quant_kernelItN4opus5fp4_tELi64ELi8ELi4ELb0ELb0ELb1ELb0ELb0ELb0EEEvPT0_PvPT_S7_S7_PKS6_S9_S9_S9_S9_ffiiiiiiiiiiiii
	.p2align	8
	.type	_ZN5aiter35fused_qk_rmsnorm_group_quant_kernelItN4opus5fp4_tELi64ELi8ELi4ELb0ELb0ELb1ELb0ELb0ELb0EEEvPT0_PvPT_S7_S7_PKS6_S9_S9_S9_S9_ffiiiiiiiiiiiii,@function
_ZN5aiter35fused_qk_rmsnorm_group_quant_kernelItN4opus5fp4_tELi64ELi8ELi4ELb0ELb0ELb1ELb0ELb0ELb0EEEvPT0_PvPT_S7_S7_PKS6_S9_S9_S9_S9_ffiiiiiiiiiiiii: ; @_ZN5aiter35fused_qk_rmsnorm_group_quant_kernelItN4opus5fp4_tELi64ELi8ELi4ELb0ELb0ELb1ELb0ELb0ELb0EEEvPT0_PvPT_S7_S7_PKS6_S9_S9_S9_S9_ffiiiiiiiiiiiii
; %bb.0:
	s_load_dwordx4 s[12:15], s[4:5], 0x50
	s_waitcnt lgkmcnt(0)
	s_cmp_ge_i32 s6, s14
	s_cbranch_scc1 .LBB236_8
; %bb.1:
	s_load_dwordx2 s[8:9], s[4:5], 0x48
	s_load_dwordx2 s[26:27], s[4:5], 0x30
	s_load_dwordx4 s[16:19], s[4:5], 0x60
	s_cmp_lg_u32 s7, 0
	s_cselect_b64 s[2:3], -1, 0
	s_cmp_eq_u32 s7, 0
	s_cselect_b64 vcc, -1, 0
	s_and_b64 s[0:1], vcc, exec
	s_waitcnt lgkmcnt(0)
	s_cselect_b32 s7, s15, s16
	s_add_i32 s0, s7, 1
	s_lshr_b32 s1, s0, 31
	s_add_i32 s0, s0, s1
	s_lshl_b32 s0, s0, 1
	v_lshlrev_b32_e32 v1, 3, v0
	s_and_b32 s22, s0, -4
	v_cmp_gt_i32_e64 s[0:1], s7, v1
	v_mov_b32_e32 v2, 0
	v_mov_b32_e32 v3, 0
	;; [unrolled: 1-line block ×8, first 2 shown]
	s_and_saveexec_b64 s[10:11], s[0:1]
	s_cbranch_execz .LBB236_3
; %bb.2:
	s_load_dwordx2 s[20:21], s[4:5], 0x28
	s_load_dwordx2 s[24:25], s[4:5], 0x40
	s_and_b64 s[28:29], vcc, exec
	s_cselect_b32 s14, s17, s18
	s_mov_b32 s23, 0x20000
	s_waitcnt lgkmcnt(0)
	s_cselect_b32 s17, s21, s27
	s_cselect_b32 s19, s20, s26
	s_mul_hi_i32 s21, s14, s6
	s_mul_i32 s20, s14, s6
	s_lshl_b64 s[20:21], s[20:21], 1
	s_add_u32 s28, s19, s20
	s_addc_u32 s14, s17, s21
	s_and_b64 s[20:21], vcc, exec
	s_cselect_b32 s20, s24, s8
	s_cselect_b32 s17, s25, s9
	v_lshlrev_b32_e32 v10, 4, v0
	s_and_b32 s29, s14, 0xffff
	s_mov_b32 s30, s22
	s_mov_b32 s31, s23
	s_and_b32 s21, s17, 0xffff
	buffer_load_dwordx4 v[6:9], v10, s[28:31], 0 offen glc slc
	buffer_load_dwordx4 v[2:5], v10, s[20:23], 0 offen
.LBB236_3:
	s_or_b64 exec, exec, s[10:11]
	s_waitcnt vmcnt(1)
	v_cvt_f32_u32_sdwa v11, v6 dst_sel:DWORD dst_unused:UNUSED_PAD src0_sel:WORD_1
	v_cvt_f32_u32_sdwa v10, v6 dst_sel:DWORD dst_unused:UNUSED_PAD src0_sel:WORD_0
	v_cvt_f32_u32_sdwa v6, v9 dst_sel:DWORD dst_unused:UNUSED_PAD src0_sel:WORD_1
	v_cvt_f32_u32_sdwa v9, v9 dst_sel:DWORD dst_unused:UNUSED_PAD src0_sel:WORD_0
	;; [unrolled: 2-line block ×4, first 2 shown]
	v_cndmask_b32_e64 v11, 0, v11, s[0:1]
	v_cndmask_b32_e64 v7, 0, v6, s[0:1]
	;; [unrolled: 1-line block ×5, first 2 shown]
	v_mul_f32_e32 v14, v11, v11
	v_cndmask_b32_e64 v12, 0, v12, s[0:1]
	v_fmac_f32_e32 v14, v10, v10
	v_cndmask_b32_e64 v13, 0, v13, s[0:1]
	v_fmac_f32_e32 v14, v12, v12
	;; [unrolled: 2-line block ×3, first 2 shown]
	v_fmac_f32_e32 v14, v8, v8
	v_fmac_f32_e32 v14, v9, v9
	;; [unrolled: 1-line block ×4, first 2 shown]
	v_bfrev_b32_e32 v16, 0.5
	s_load_dwordx2 s[24:25], s[4:5], 0x18
	v_mov_b32_dpp v15, v14 quad_perm:[1,0,3,2] row_mask:0xf bank_mask:0xf
	v_add_f32_e32 v14, v14, v15
	s_nop 1
	v_mov_b32_dpp v15, v14 quad_perm:[2,3,0,1] row_mask:0xf bank_mask:0xf
	v_add_f32_e32 v14, v14, v15
	s_nop 1
	v_mov_b32_dpp v15, v14 row_half_mirror row_mask:0xf bank_mask:0xf
	v_add_f32_e32 v14, v14, v15
	s_nop 1
	v_mov_b32_dpp v15, v14 row_mirror row_mask:0xf bank_mask:0xf
	v_add_f32_e32 v14, v14, v15
	s_nop 1
	v_mov_b32_dpp v15, v14 row_bcast:15 row_mask:0xf bank_mask:0xf
	v_add_f32_e32 v14, v14, v15
	s_nop 1
	v_mov_b32_dpp v15, v14 row_bcast:31 row_mask:0xf bank_mask:0xf
	v_add_f32_e32 v15, v14, v15
	v_mbcnt_lo_u32_b32 v14, -1, 0
	v_mbcnt_hi_u32_b32 v14, -1, v14
	v_lshl_or_b32 v14, v14, 2, v16
	ds_bpermute_b32 v15, v14, v15
	s_and_saveexec_b64 s[10:11], s[0:1]
	s_cbranch_execz .LBB236_5
; %bb.4:
	v_cvt_f32_u32_e32 v16, s7
	v_mov_b32_e32 v17, s13
	v_mov_b32_e32 v18, s12
	v_cndmask_b32_e32 v17, v17, v18, vcc
	s_waitcnt lgkmcnt(0)
	v_div_scale_f32 v19, s[20:21], v16, v16, v15
	v_rcp_f32_e32 v20, v19
	v_div_scale_f32 v18, vcc, v15, v16, v15
	s_mov_b32 s7, 0x800000
	v_fma_f32 v21, -v19, v20, 1.0
	v_fmac_f32_e32 v20, v21, v20
	v_mul_f32_e32 v21, v18, v20
	v_fma_f32 v22, -v19, v21, v18
	v_fmac_f32_e32 v21, v22, v20
	v_fma_f32 v18, -v19, v21, v18
	v_div_fmas_f32 v18, v18, v20, v21
	v_div_fixup_f32 v15, v18, v16, v15
	v_add_f32_e32 v15, v17, v15
	v_mul_f32_e32 v16, 0x4b800000, v15
	v_cmp_gt_f32_e32 vcc, s7, v15
	v_cndmask_b32_e32 v15, v15, v16, vcc
	v_rsq_f32_e32 v15, v15
	s_waitcnt vmcnt(0)
	v_cvt_f32_u32_sdwa v19, v2 dst_sel:DWORD dst_unused:UNUSED_PAD src0_sel:WORD_1
	v_cvt_f32_u32_sdwa v18, v2 dst_sel:DWORD dst_unused:UNUSED_PAD src0_sel:WORD_0
	v_cvt_f32_u32_sdwa v21, v3 dst_sel:DWORD dst_unused:UNUSED_PAD src0_sel:WORD_1
	v_mul_f32_e32 v16, 0x45800000, v15
	v_cndmask_b32_e32 v16, v15, v16, vcc
	v_mov_b32_e32 v17, v16
	;;#ASMSTART
	v_pk_mul_f32 v[10:11], v[10:11], v[16:17]
	;;#ASMEND
	;;#ASMSTART
	v_pk_mul_f32 v[12:13], v[12:13], v[16:17]
	;;#ASMEND
	;; [unrolled: 3-line block ×3, first 2 shown]
	v_cvt_f32_u32_sdwa v20, v3 dst_sel:DWORD dst_unused:UNUSED_PAD src0_sel:WORD_0
	;;#ASMSTART
	v_pk_mul_f32 v[2:3], v[6:7], v[16:17]
	;;#ASMEND
	v_cvt_f32_u32_sdwa v17, v4 dst_sel:DWORD dst_unused:UNUSED_PAD src0_sel:WORD_1
	v_cvt_f32_u32_sdwa v16, v4 dst_sel:DWORD dst_unused:UNUSED_PAD src0_sel:WORD_0
	v_pk_add_f32 v[6:7], v[18:19], 1.0 op_sel_hi:[1,0]
	v_cvt_f32_u32_sdwa v19, v5 dst_sel:DWORD dst_unused:UNUSED_PAD src0_sel:WORD_1
	v_cvt_f32_u32_sdwa v18, v5 dst_sel:DWORD dst_unused:UNUSED_PAD src0_sel:WORD_0
	;;#ASMSTART
	v_pk_mul_f32 v[10:11], v[10:11], v[6:7]
	;;#ASMEND
	v_pk_add_f32 v[6:7], v[20:21], 1.0 op_sel_hi:[1,0]
	v_pk_add_f32 v[4:5], v[16:17], 1.0 op_sel_hi:[1,0]
	;;#ASMSTART
	v_pk_mul_f32 v[12:13], v[12:13], v[6:7]
	;;#ASMEND
	;;#ASMSTART
	v_pk_mul_f32 v[8:9], v[8:9], v[4:5]
	;;#ASMEND
	v_pk_add_f32 v[4:5], v[18:19], 1.0 op_sel_hi:[1,0]
	;;#ASMSTART
	v_pk_mul_f32 v[6:7], v[2:3], v[4:5]
	;;#ASMEND
.LBB236_5:
	s_or_b64 exec, exec, s[10:11]
	s_load_dword s7, s[4:5], 0x80
	s_mov_b64 s[10:11], -1
	s_and_b64 vcc, exec, s[2:3]
	s_cbranch_vccnz .LBB236_9
; %bb.6:
	s_andn2_b64 vcc, exec, s[10:11]
	s_cbranch_vccz .LBB236_12
.LBB236_7:
	s_cmp_lt_i32 s16, 1
	s_cbranch_scc0 .LBB236_19
.LBB236_8:
	s_endpgm
.LBB236_9:
	s_and_saveexec_b64 s[2:3], s[0:1]
	s_cbranch_execz .LBB236_11
; %bb.10:
	s_waitcnt lgkmcnt(0)
	s_mul_hi_i32 s11, s7, s6
	s_mul_i32 s10, s7, s6
	s_lshl_b64 s[10:11], s[10:11], 1
	s_add_u32 s20, s24, s10
	s_addc_u32 s10, s25, s11
	s_and_b32 s21, s10, 0xffff
	s_mov_b32 s10, 0x7060302
	s_mov_b32 s23, 0x20000
	s_waitcnt vmcnt(0)
	v_perm_b32 v2, v11, v10, s10
	v_perm_b32 v3, v13, v12, s10
	;; [unrolled: 1-line block ×4, first 2 shown]
	v_lshlrev_b32_e32 v15, 4, v0
	buffer_store_dwordx4 v[2:5], v15, s[20:23], 0 offen
	;;#ASMSTART
	s_nop 0
	;;#ASMEND
.LBB236_11:
	s_or_b64 exec, exec, s[2:3]
	s_cbranch_execnz .LBB236_7
.LBB236_12:
	s_waitcnt vmcnt(0)
	v_mov_b32_e32 v2, 0
	s_and_saveexec_b64 s[2:3], s[0:1]
	s_cbranch_execz .LBB236_14
; %bb.13:
	v_and_b32_e32 v2, 0x7fffffff, v10
	v_and_b32_e32 v3, 0x7fffffff, v11
	v_mov_b32_e32 v4, 0x2edbe6ff
	;;#ASMSTART
	v_max3_f32 v2, v4, v2, v3

	;;#ASMEND
	v_and_b32_e32 v3, 0x7fffffff, v12
	v_and_b32_e32 v4, 0x7fffffff, v13
	;;#ASMSTART
	v_max3_f32 v2, v2, v3, v4

	;;#ASMEND
	v_and_b32_e32 v3, 0x7fffffff, v8
	v_and_b32_e32 v4, 0x7fffffff, v9
	;; [unrolled: 6-line block ×3, first 2 shown]
	;;#ASMSTART
	v_max3_f32 v2, v2, v3, v4

	;;#ASMEND
.LBB236_14:
	s_or_b64 exec, exec, s[2:3]
	s_load_dwordx4 s[20:23], s[4:5], 0x70
	;;#ASMSTART
	v_max_f32 v3, v2, v2 quad_perm:[1,0,3,2] row_mask:0xf bank_mask:0xf bound_ctrl:1
	;;#ASMEND
	;;#ASMSTART
	v_max_f32 v2, v3, v3 quad_perm:[2,3,0,1] row_mask:0xf bank_mask:0xf bound_ctrl:1
	;;#ASMEND
	v_and_b32_e32 v3, 3, v0
	v_cmp_eq_u32_e32 vcc, 0, v3
	v_cmp_gt_i32_e64 s[2:3], s15, v1
	s_and_b64 s[10:11], vcc, s[2:3]
	s_and_saveexec_b64 s[2:3], s[10:11]
	s_cbranch_execz .LBB236_16
; %bb.15:
	s_load_dwordx2 s[10:11], s[4:5], 0x8
	v_mul_f32_e32 v2, 0x3e2aaaab, v2
	v_lshrrev_b32_e32 v3, 23, v2
	v_and_b32_e32 v4, 0x7f800000, v2
	v_and_b32_e32 v2, 0x7fffff, v2
	v_cmp_ne_u32_e32 vcc, 0, v2
	s_waitcnt lgkmcnt(0)
	s_mul_i32 s17, s21, s6
	s_mov_b32 s12, 0x7f800000
	v_addc_co_u32_e32 v2, vcc, 0, v3, vcc
	s_mul_hi_i32 s14, s21, s6
	s_add_u32 s10, s10, s17
	v_cmp_ne_u32_e32 vcc, s12, v4
	s_addc_u32 s11, s11, s14
	v_lshrrev_b32_e32 v5, 2, v0
	v_cndmask_b32_e32 v4, -1, v2, vcc
	v_pk_mov_b32 v[2:3], s[10:11], s[10:11] op_sel:[0,1]
	v_mad_i64_i32 v[2:3], s[10:11], s22, v5, v[2:3]
	global_store_byte v[2:3], v4, off
.LBB236_16:
	s_or_b64 exec, exec, s[2:3]
	s_and_saveexec_b64 s[2:3], s[0:1]
	s_cbranch_execz .LBB236_18
; %bb.17:
	s_load_dwordx2 s[0:1], s[4:5], 0x0
	s_waitcnt lgkmcnt(0)
	s_mul_i32 s11, s20, s6
	s_mul_hi_i32 s10, s20, s6
	v_lshlrev_b32_e32 v2, 2, v0
	s_mov_b32 s23, 0x20000
	s_add_u32 s20, s0, s11
	s_addc_u32 s0, s1, s10
	s_lshr_b32 s1, s15, 31
	s_add_i32 s1, s15, s1
	s_ashr_i32 s1, s1, 1
	s_add_i32 s1, s1, 3
	s_ashr_i32 s10, s1, 31
	s_lshr_b32 s10, s10, 30
	s_add_i32 s1, s1, s10
	s_and_b32 s22, s1, -4
	s_and_b32 s21, s0, 0xffff
	v_mov_b32_e32 v3, 0
	buffer_store_dword v3, v2, s[20:23], 0 offen
	;;#ASMSTART
	s_nop 0
	;;#ASMEND
.LBB236_18:
	s_or_b64 exec, exec, s[2:3]
	s_cmp_lt_i32 s16, 1
	s_cbranch_scc1 .LBB236_8
.LBB236_19:
	s_load_dword s0, s[4:5], 0x94
	s_waitcnt lgkmcnt(0)
	s_cmp_lg_u32 s0, 1
	s_cbranch_scc1 .LBB236_8
; %bb.20:
	s_lshl_b32 s0, s16, 1
	s_add_i32 s0, s0, 2
	v_cmp_gt_u32_e32 vcc, s16, v1
	s_and_b32 s10, s0, -4
	s_waitcnt vmcnt(0)
	v_mov_b32_e32 v4, 0
	v_lshlrev_b32_e32 v12, 4, v0
	v_mov_b32_e32 v5, 0
	v_mov_b32_e32 v6, 0
	;; [unrolled: 1-line block ×7, first 2 shown]
	s_barrier
	s_and_saveexec_b64 s[0:1], vcc
	s_cbranch_execz .LBB236_22
; %bb.21:
	s_mul_hi_i32 s3, s18, s6
	s_mul_i32 s2, s18, s6
	s_and_b32 s9, s9, 0xffff
	s_lshl_b64 s[2:3], s[2:3], 1
	s_add_u32 s20, s26, s2
	s_mov_b32 s11, 0x20000
	s_addc_u32 s2, s27, s3
	s_and_b32 s21, s2, 0xffff
	s_mov_b32 s22, s10
	s_mov_b32 s23, s11
	buffer_load_dwordx4 v[4:7], v12, s[20:23], 0 offen glc slc
	buffer_load_dwordx4 v[0:3], v12, s[8:11], 0 offen
.LBB236_22:
	s_or_b64 exec, exec, s[0:1]
	s_waitcnt vmcnt(1)
	v_cvt_f32_u32_sdwa v11, v4 dst_sel:DWORD dst_unused:UNUSED_PAD src0_sel:WORD_1
	v_cvt_f32_u32_sdwa v10, v4 dst_sel:DWORD dst_unused:UNUSED_PAD src0_sel:WORD_0
	v_cvt_f32_u32_sdwa v4, v7 dst_sel:DWORD dst_unused:UNUSED_PAD src0_sel:WORD_1
	v_cvt_f32_u32_sdwa v7, v7 dst_sel:DWORD dst_unused:UNUSED_PAD src0_sel:WORD_0
	;; [unrolled: 2-line block ×4, first 2 shown]
	v_cndmask_b32_e32 v11, 0, v11, vcc
	v_cndmask_b32_e32 v5, 0, v4, vcc
	;; [unrolled: 1-line block ×5, first 2 shown]
	v_mul_f32_e32 v13, v11, v11
	v_cndmask_b32_e32 v8, 0, v8, vcc
	v_fmac_f32_e32 v13, v10, v10
	v_cndmask_b32_e32 v9, 0, v9, vcc
	v_fmac_f32_e32 v13, v8, v8
	;; [unrolled: 2-line block ×3, first 2 shown]
	v_fmac_f32_e32 v13, v6, v6
	v_fmac_f32_e32 v13, v7, v7
	;; [unrolled: 1-line block ×4, first 2 shown]
	s_nop 1
	v_mov_b32_dpp v15, v13 quad_perm:[1,0,3,2] row_mask:0xf bank_mask:0xf
	v_add_f32_e32 v13, v13, v15
	s_nop 1
	v_mov_b32_dpp v15, v13 quad_perm:[2,3,0,1] row_mask:0xf bank_mask:0xf
	v_add_f32_e32 v13, v13, v15
	s_nop 1
	v_mov_b32_dpp v15, v13 row_half_mirror row_mask:0xf bank_mask:0xf
	v_add_f32_e32 v13, v13, v15
	s_nop 1
	v_mov_b32_dpp v15, v13 row_mirror row_mask:0xf bank_mask:0xf
	v_add_f32_e32 v13, v13, v15
	s_nop 1
	v_mov_b32_dpp v15, v13 row_bcast:15 row_mask:0xf bank_mask:0xf
	v_add_f32_e32 v13, v13, v15
	s_nop 1
	v_mov_b32_dpp v15, v13 row_bcast:31 row_mask:0xf bank_mask:0xf
	v_add_f32_e32 v13, v13, v15
	ds_bpermute_b32 v13, v14, v13
	s_and_saveexec_b64 s[0:1], vcc
	s_cbranch_execz .LBB236_8
; %bb.23:
	v_cvt_f32_u32_e32 v14, s16
	s_mov_b32 s11, 0x20000
	s_waitcnt lgkmcnt(0)
	v_div_scale_f32 v15, s[0:1], v14, v14, v13
	v_rcp_f32_e32 v16, v15
	v_div_scale_f32 v17, vcc, v13, v14, v13
	s_mov_b32 s0, 0x800000
	v_fma_f32 v18, -v15, v16, 1.0
	v_fmac_f32_e32 v16, v18, v16
	v_mul_f32_e32 v18, v17, v16
	v_fma_f32 v19, -v15, v18, v17
	v_fmac_f32_e32 v18, v19, v16
	v_fma_f32 v15, -v15, v18, v17
	v_div_fmas_f32 v15, v15, v16, v18
	v_div_fixup_f32 v13, v15, v14, v13
	v_add_f32_e32 v13, s13, v13
	v_mul_f32_e32 v14, 0x4b800000, v13
	v_cmp_gt_f32_e32 vcc, s0, v13
	v_cndmask_b32_e32 v13, v13, v14, vcc
	v_rsq_f32_e32 v13, v13
	s_waitcnt vmcnt(0)
	v_cvt_f32_u32_sdwa v15, v0 dst_sel:DWORD dst_unused:UNUSED_PAD src0_sel:WORD_1
	v_cvt_f32_u32_sdwa v19, v1 dst_sel:DWORD dst_unused:UNUSED_PAD src0_sel:WORD_1
	v_cvt_f32_u32_sdwa v18, v1 dst_sel:DWORD dst_unused:UNUSED_PAD src0_sel:WORD_0
	v_mul_f32_e32 v14, 0x45800000, v13
	v_cndmask_b32_e32 v16, v13, v14, vcc
	v_cvt_f32_u32_sdwa v14, v0 dst_sel:DWORD dst_unused:UNUSED_PAD src0_sel:WORD_0
	v_mov_b32_e32 v17, v16
	;;#ASMSTART
	v_pk_mul_f32 v[10:11], v[10:11], v[16:17]
	;;#ASMEND
	;;#ASMSTART
	v_pk_mul_f32 v[8:9], v[8:9], v[16:17]
	;;#ASMEND
	;; [unrolled: 3-line block ×4, first 2 shown]
	v_pk_add_f32 v[4:5], v[14:15], 1.0 op_sel_hi:[1,0]
	v_cvt_f32_u32_sdwa v15, v2 dst_sel:DWORD dst_unused:UNUSED_PAD src0_sel:WORD_1
	v_cvt_f32_u32_sdwa v14, v2 dst_sel:DWORD dst_unused:UNUSED_PAD src0_sel:WORD_0
	v_cvt_f32_u32_sdwa v17, v3 dst_sel:DWORD dst_unused:UNUSED_PAD src0_sel:WORD_1
	v_cvt_f32_u32_sdwa v16, v3 dst_sel:DWORD dst_unused:UNUSED_PAD src0_sel:WORD_0
	s_mul_hi_i32 s1, s7, s6
	s_mul_i32 s0, s7, s6
	s_lshl_b64 s[0:1], s[0:1], 1
	s_add_u32 s8, s24, s0
	;;#ASMSTART
	v_pk_mul_f32 v[4:5], v[10:11], v[4:5]
	;;#ASMEND
	v_pk_add_f32 v[10:11], v[18:19], 1.0 op_sel_hi:[1,0]
	;;#ASMSTART
	v_pk_mul_f32 v[2:3], v[8:9], v[10:11]
	;;#ASMEND
	v_pk_add_f32 v[8:9], v[14:15], 1.0 op_sel_hi:[1,0]
	s_addc_u32 s0, s25, s1
	;;#ASMSTART
	v_pk_mul_f32 v[6:7], v[6:7], v[8:9]
	;;#ASMEND
	v_pk_add_f32 v[8:9], v[16:17], 1.0 op_sel_hi:[1,0]
	s_and_b32 s9, s0, 0xffff
	s_mov_b32 s0, 0x7060302
	;;#ASMSTART
	v_pk_mul_f32 v[8:9], v[0:1], v[8:9]
	;;#ASMEND
	v_perm_b32 v0, v5, v4, s0
	v_perm_b32 v1, v3, v2, s0
	;; [unrolled: 1-line block ×4, first 2 shown]
	buffer_store_dwordx4 v[0:3], v12, s[8:11], 0 offen
	;;#ASMSTART
	s_nop 0
	;;#ASMEND
	s_endpgm
	.section	.rodata,"a",@progbits
	.p2align	6, 0x0
	.amdhsa_kernel _ZN5aiter35fused_qk_rmsnorm_group_quant_kernelItN4opus5fp4_tELi64ELi8ELi4ELb0ELb0ELb1ELb0ELb0ELb0EEEvPT0_PvPT_S7_S7_PKS6_S9_S9_S9_S9_ffiiiiiiiiiiiii
		.amdhsa_group_segment_fixed_size 0
		.amdhsa_private_segment_fixed_size 0
		.amdhsa_kernarg_size 400
		.amdhsa_user_sgpr_count 6
		.amdhsa_user_sgpr_private_segment_buffer 1
		.amdhsa_user_sgpr_dispatch_ptr 0
		.amdhsa_user_sgpr_queue_ptr 0
		.amdhsa_user_sgpr_kernarg_segment_ptr 1
		.amdhsa_user_sgpr_dispatch_id 0
		.amdhsa_user_sgpr_flat_scratch_init 0
		.amdhsa_user_sgpr_kernarg_preload_length 0
		.amdhsa_user_sgpr_kernarg_preload_offset 0
		.amdhsa_user_sgpr_private_segment_size 0
		.amdhsa_uses_dynamic_stack 0
		.amdhsa_system_sgpr_private_segment_wavefront_offset 0
		.amdhsa_system_sgpr_workgroup_id_x 1
		.amdhsa_system_sgpr_workgroup_id_y 1
		.amdhsa_system_sgpr_workgroup_id_z 0
		.amdhsa_system_sgpr_workgroup_info 0
		.amdhsa_system_vgpr_workitem_id 0
		.amdhsa_next_free_vgpr 23
		.amdhsa_next_free_sgpr 32
		.amdhsa_accum_offset 24
		.amdhsa_reserve_vcc 1
		.amdhsa_reserve_flat_scratch 0
		.amdhsa_float_round_mode_32 0
		.amdhsa_float_round_mode_16_64 0
		.amdhsa_float_denorm_mode_32 3
		.amdhsa_float_denorm_mode_16_64 3
		.amdhsa_dx10_clamp 1
		.amdhsa_ieee_mode 1
		.amdhsa_fp16_overflow 0
		.amdhsa_tg_split 0
		.amdhsa_exception_fp_ieee_invalid_op 0
		.amdhsa_exception_fp_denorm_src 0
		.amdhsa_exception_fp_ieee_div_zero 0
		.amdhsa_exception_fp_ieee_overflow 0
		.amdhsa_exception_fp_ieee_underflow 0
		.amdhsa_exception_fp_ieee_inexact 0
		.amdhsa_exception_int_div_zero 0
	.end_amdhsa_kernel
	.section	.text._ZN5aiter35fused_qk_rmsnorm_group_quant_kernelItN4opus5fp4_tELi64ELi8ELi4ELb0ELb0ELb1ELb0ELb0ELb0EEEvPT0_PvPT_S7_S7_PKS6_S9_S9_S9_S9_ffiiiiiiiiiiiii,"axG",@progbits,_ZN5aiter35fused_qk_rmsnorm_group_quant_kernelItN4opus5fp4_tELi64ELi8ELi4ELb0ELb0ELb1ELb0ELb0ELb0EEEvPT0_PvPT_S7_S7_PKS6_S9_S9_S9_S9_ffiiiiiiiiiiiii,comdat
.Lfunc_end236:
	.size	_ZN5aiter35fused_qk_rmsnorm_group_quant_kernelItN4opus5fp4_tELi64ELi8ELi4ELb0ELb0ELb1ELb0ELb0ELb0EEEvPT0_PvPT_S7_S7_PKS6_S9_S9_S9_S9_ffiiiiiiiiiiiii, .Lfunc_end236-_ZN5aiter35fused_qk_rmsnorm_group_quant_kernelItN4opus5fp4_tELi64ELi8ELi4ELb0ELb0ELb1ELb0ELb0ELb0EEEvPT0_PvPT_S7_S7_PKS6_S9_S9_S9_S9_ffiiiiiiiiiiiii
                                        ; -- End function
	.section	.AMDGPU.csdata,"",@progbits
; Kernel info:
; codeLenInByte = 2244
; NumSgprs: 36
; NumVgprs: 23
; NumAgprs: 0
; TotalNumVgprs: 23
; ScratchSize: 0
; MemoryBound: 0
; FloatMode: 240
; IeeeMode: 1
; LDSByteSize: 0 bytes/workgroup (compile time only)
; SGPRBlocks: 4
; VGPRBlocks: 2
; NumSGPRsForWavesPerEU: 36
; NumVGPRsForWavesPerEU: 23
; AccumOffset: 24
; Occupancy: 8
; WaveLimiterHint : 0
; COMPUTE_PGM_RSRC2:SCRATCH_EN: 0
; COMPUTE_PGM_RSRC2:USER_SGPR: 6
; COMPUTE_PGM_RSRC2:TRAP_HANDLER: 0
; COMPUTE_PGM_RSRC2:TGID_X_EN: 1
; COMPUTE_PGM_RSRC2:TGID_Y_EN: 1
; COMPUTE_PGM_RSRC2:TGID_Z_EN: 0
; COMPUTE_PGM_RSRC2:TIDIG_COMP_CNT: 0
; COMPUTE_PGM_RSRC3_GFX90A:ACCUM_OFFSET: 5
; COMPUTE_PGM_RSRC3_GFX90A:TG_SPLIT: 0
	.section	.text._ZN5aiter35fused_qk_rmsnorm_group_quant_kernelIDF16_DB8_Li64ELi8ELi4ELb0ELb0ELb0ELb0ELb0ELb0EEEvPT0_PvPT_S6_S6_PKS5_S8_S8_S8_S8_ffiiiiiiiiiiiii,"axG",@progbits,_ZN5aiter35fused_qk_rmsnorm_group_quant_kernelIDF16_DB8_Li64ELi8ELi4ELb0ELb0ELb0ELb0ELb0ELb0EEEvPT0_PvPT_S6_S6_PKS5_S8_S8_S8_S8_ffiiiiiiiiiiiii,comdat
	.protected	_ZN5aiter35fused_qk_rmsnorm_group_quant_kernelIDF16_DB8_Li64ELi8ELi4ELb0ELb0ELb0ELb0ELb0ELb0EEEvPT0_PvPT_S6_S6_PKS5_S8_S8_S8_S8_ffiiiiiiiiiiiii ; -- Begin function _ZN5aiter35fused_qk_rmsnorm_group_quant_kernelIDF16_DB8_Li64ELi8ELi4ELb0ELb0ELb0ELb0ELb0ELb0EEEvPT0_PvPT_S6_S6_PKS5_S8_S8_S8_S8_ffiiiiiiiiiiiii
	.globl	_ZN5aiter35fused_qk_rmsnorm_group_quant_kernelIDF16_DB8_Li64ELi8ELi4ELb0ELb0ELb0ELb0ELb0ELb0EEEvPT0_PvPT_S6_S6_PKS5_S8_S8_S8_S8_ffiiiiiiiiiiiii
	.p2align	8
	.type	_ZN5aiter35fused_qk_rmsnorm_group_quant_kernelIDF16_DB8_Li64ELi8ELi4ELb0ELb0ELb0ELb0ELb0ELb0EEEvPT0_PvPT_S6_S6_PKS5_S8_S8_S8_S8_ffiiiiiiiiiiiii,@function
_ZN5aiter35fused_qk_rmsnorm_group_quant_kernelIDF16_DB8_Li64ELi8ELi4ELb0ELb0ELb0ELb0ELb0ELb0EEEvPT0_PvPT_S6_S6_PKS5_S8_S8_S8_S8_ffiiiiiiiiiiiii: ; @_ZN5aiter35fused_qk_rmsnorm_group_quant_kernelIDF16_DB8_Li64ELi8ELi4ELb0ELb0ELb0ELb0ELb0ELb0EEEvPT0_PvPT_S6_S6_PKS5_S8_S8_S8_S8_ffiiiiiiiiiiiii
; %bb.0:
	s_load_dwordx4 s[12:15], s[4:5], 0x50
	s_waitcnt lgkmcnt(0)
	s_cmp_ge_i32 s6, s14
	s_cbranch_scc1 .LBB237_10
; %bb.1:
	s_load_dwordx2 s[8:9], s[4:5], 0x48
	s_load_dwordx2 s[26:27], s[4:5], 0x30
	s_load_dwordx4 s[16:19], s[4:5], 0x60
	s_cmp_lg_u32 s7, 0
	s_cselect_b64 s[2:3], -1, 0
	s_cmp_eq_u32 s7, 0
	s_cselect_b64 vcc, -1, 0
	s_and_b64 s[0:1], vcc, exec
	s_waitcnt lgkmcnt(0)
	s_cselect_b32 s7, s15, s16
	s_add_i32 s0, s7, 1
	s_lshr_b32 s1, s0, 31
	s_add_i32 s0, s0, s1
	s_lshl_b32 s0, s0, 1
	v_lshlrev_b32_e32 v1, 3, v0
	s_and_b32 s22, s0, -4
	v_cmp_gt_i32_e64 s[0:1], s7, v1
	v_mov_b32_e32 v10, 0
	v_mov_b32_e32 v2, 0
	;; [unrolled: 1-line block ×9, first 2 shown]
	s_and_saveexec_b64 s[10:11], s[0:1]
	s_cbranch_execz .LBB237_3
; %bb.2:
	s_load_dwordx2 s[20:21], s[4:5], 0x28
	s_load_dwordx2 s[24:25], s[4:5], 0x40
	s_and_b64 s[28:29], vcc, exec
	s_cselect_b32 s14, s17, s18
	s_mov_b32 s23, 0x20000
	s_waitcnt lgkmcnt(0)
	s_cselect_b32 s17, s21, s27
	s_cselect_b32 s19, s20, s26
	s_mul_hi_i32 s21, s14, s6
	s_mul_i32 s20, s14, s6
	s_lshl_b64 s[20:21], s[20:21], 1
	s_add_u32 s28, s19, s20
	s_addc_u32 s14, s17, s21
	s_and_b64 s[20:21], vcc, exec
	s_cselect_b32 s20, s24, s8
	s_cselect_b32 s17, s25, s9
	v_lshlrev_b32_e32 v11, 4, v0
	s_and_b32 s29, s14, 0xffff
	s_mov_b32 s30, s22
	s_mov_b32 s31, s23
	s_and_b32 s21, s17, 0xffff
	buffer_load_dwordx4 v[6:9], v11, s[28:31], 0 offen glc slc
	buffer_load_dwordx4 v[2:5], v11, s[20:23], 0 offen
.LBB237_3:
	s_or_b64 exec, exec, s[10:11]
	v_mov_b32_e32 v11, 0
	v_mov_b32_e32 v16, 0
	;; [unrolled: 1-line block ×7, first 2 shown]
	s_and_saveexec_b64 s[10:11], s[0:1]
	s_cbranch_execz .LBB237_5
; %bb.4:
	s_waitcnt vmcnt(1)
	v_cvt_f32_f16_sdwa v11, v6 dst_sel:DWORD dst_unused:UNUSED_PAD src0_sel:WORD_1
	v_cvt_f32_f16_e32 v10, v6
	v_cvt_f32_f16_sdwa v17, v7 dst_sel:DWORD dst_unused:UNUSED_PAD src0_sel:WORD_1
	v_cvt_f32_f16_e32 v16, v7
	;; [unrolled: 2-line block ×4, first 2 shown]
.LBB237_5:
	s_or_b64 exec, exec, s[10:11]
	s_waitcnt vmcnt(1)
	v_mul_f32_e32 v6, v11, v11
	v_fmac_f32_e32 v6, v10, v10
	v_fmac_f32_e32 v6, v16, v16
	;; [unrolled: 1-line block ×7, first 2 shown]
	v_bfrev_b32_e32 v8, 0.5
	s_load_dwordx2 s[24:25], s[4:5], 0x18
	v_mov_b32_dpp v7, v6 quad_perm:[1,0,3,2] row_mask:0xf bank_mask:0xf
	v_add_f32_e32 v6, v6, v7
	s_nop 1
	v_mov_b32_dpp v7, v6 quad_perm:[2,3,0,1] row_mask:0xf bank_mask:0xf
	v_add_f32_e32 v6, v6, v7
	s_nop 1
	v_mov_b32_dpp v7, v6 row_half_mirror row_mask:0xf bank_mask:0xf
	v_add_f32_e32 v6, v6, v7
	s_nop 1
	v_mov_b32_dpp v7, v6 row_mirror row_mask:0xf bank_mask:0xf
	v_add_f32_e32 v6, v6, v7
	s_nop 1
	v_mov_b32_dpp v7, v6 row_bcast:15 row_mask:0xf bank_mask:0xf
	v_add_f32_e32 v6, v6, v7
	s_nop 1
	v_mov_b32_dpp v7, v6 row_bcast:31 row_mask:0xf bank_mask:0xf
	v_add_f32_e32 v6, v6, v7
	v_mbcnt_lo_u32_b32 v7, -1, 0
	v_mbcnt_hi_u32_b32 v7, -1, v7
	v_lshl_or_b32 v18, v7, 2, v8
	ds_bpermute_b32 v6, v18, v6
	s_and_saveexec_b64 s[10:11], s[0:1]
	s_cbranch_execz .LBB237_7
; %bb.6:
	v_cvt_f32_u32_e32 v7, s7
	v_mov_b32_e32 v8, s13
	v_mov_b32_e32 v9, s12
	v_cndmask_b32_e32 v8, v8, v9, vcc
	s_waitcnt lgkmcnt(0)
	v_div_scale_f32 v19, s[20:21], v7, v7, v6
	v_rcp_f32_e32 v20, v19
	v_div_scale_f32 v9, vcc, v6, v7, v6
	s_mov_b32 s7, 0x800000
	v_fma_f32 v21, -v19, v20, 1.0
	v_fmac_f32_e32 v20, v21, v20
	v_mul_f32_e32 v21, v9, v20
	v_fma_f32 v22, -v19, v21, v9
	v_fmac_f32_e32 v21, v22, v20
	v_fma_f32 v9, -v19, v21, v9
	v_div_fmas_f32 v9, v9, v20, v21
	v_div_fixup_f32 v6, v9, v7, v6
	v_add_f32_e32 v6, v8, v6
	v_mul_f32_e32 v7, 0x4b800000, v6
	v_cmp_gt_f32_e32 vcc, s7, v6
	v_cndmask_b32_e32 v6, v6, v7, vcc
	v_rsq_f32_e32 v6, v6
	s_waitcnt vmcnt(0)
	v_cvt_f32_f16_sdwa v21, v5 dst_sel:DWORD dst_unused:UNUSED_PAD src0_sel:WORD_1
	v_cvt_f32_f16_e32 v20, v5
	v_mul_f32_e32 v7, 0x45800000, v6
	v_cndmask_b32_e32 v6, v6, v7, vcc
	v_mov_b32_e32 v7, v6
	;;#ASMSTART
	v_pk_mul_f32 v[8:9], v[10:11], v[6:7]
	;;#ASMEND
	;;#ASMSTART
	v_pk_mul_f32 v[16:17], v[16:17], v[6:7]
	;;#ASMEND
	;; [unrolled: 3-line block ×4, first 2 shown]
	v_cvt_f32_f16_sdwa v11, v2 dst_sel:DWORD dst_unused:UNUSED_PAD src0_sel:WORD_1
	v_cvt_f32_f16_e32 v10, v2
	v_cvt_f32_f16_sdwa v13, v3 dst_sel:DWORD dst_unused:UNUSED_PAD src0_sel:WORD_1
	v_cvt_f32_f16_e32 v12, v3
	;; [unrolled: 2-line block ×3, first 2 shown]
	;;#ASMSTART
	v_pk_mul_f32 v[10:11], v[8:9], v[10:11]
	;;#ASMEND
	;;#ASMSTART
	v_pk_mul_f32 v[16:17], v[16:17], v[12:13]
	;;#ASMEND
	;; [unrolled: 3-line block ×4, first 2 shown]
.LBB237_7:
	s_or_b64 exec, exec, s[10:11]
	s_load_dword s7, s[4:5], 0x80
	s_mov_b64 s[10:11], -1
	s_and_b64 vcc, exec, s[2:3]
	s_cbranch_vccnz .LBB237_11
; %bb.8:
	s_andn2_b64 vcc, exec, s[10:11]
	s_cbranch_vccz .LBB237_14
.LBB237_9:
	s_cmp_lt_i32 s16, 1
	s_cbranch_scc0 .LBB237_21
.LBB237_10:
	s_endpgm
.LBB237_11:
	s_and_saveexec_b64 s[2:3], s[0:1]
	s_cbranch_execz .LBB237_13
; %bb.12:
	s_waitcnt lgkmcnt(0)
	s_mul_hi_i32 s11, s7, s6
	s_mul_i32 s10, s7, s6
	s_waitcnt vmcnt(0)
	v_cvt_f16_f32_e32 v2, v10
	v_cvt_f16_f32_e32 v3, v16
	;; [unrolled: 1-line block ×8, first 2 shown]
	s_lshl_b64 s[10:11], s[10:11], 1
	s_add_u32 s20, s24, s10
	s_addc_u32 s10, s25, s11
	s_and_b32 s21, s10, 0xffff
	s_mov_b32 s23, 0x20000
	v_pack_b32_f16 v5, v5, v6
	v_pack_b32_f16 v4, v4, v7
	;; [unrolled: 1-line block ×4, first 2 shown]
	v_lshlrev_b32_e32 v6, 4, v0
	buffer_store_dwordx4 v[2:5], v6, s[20:23], 0 offen
	;;#ASMSTART
	s_nop 0
	;;#ASMEND
.LBB237_13:
	s_or_b64 exec, exec, s[2:3]
	s_cbranch_execnz .LBB237_9
.LBB237_14:
	s_waitcnt vmcnt(0)
	v_mov_b32_e32 v2, 0
	s_and_saveexec_b64 s[2:3], s[0:1]
	s_cbranch_execz .LBB237_16
; %bb.15:
	v_and_b32_e32 v2, 0x7fffffff, v10
	v_and_b32_e32 v3, 0x7fffffff, v11
	v_mov_b32_e32 v4, 0x2edbe6ff
	;;#ASMSTART
	v_max3_f32 v2, v4, v2, v3

	;;#ASMEND
	v_and_b32_e32 v3, 0x7fffffff, v16
	v_and_b32_e32 v4, 0x7fffffff, v17
	;;#ASMSTART
	v_max3_f32 v2, v2, v3, v4

	;;#ASMEND
	v_and_b32_e32 v3, 0x7fffffff, v14
	v_and_b32_e32 v4, 0x7fffffff, v15
	;; [unrolled: 6-line block ×3, first 2 shown]
	;;#ASMSTART
	v_max3_f32 v2, v2, v3, v4

	;;#ASMEND
.LBB237_16:
	s_or_b64 exec, exec, s[2:3]
	s_load_dwordx4 s[20:23], s[4:5], 0x70
	;;#ASMSTART
	v_max_f32 v3, v2, v2 quad_perm:[1,0,3,2] row_mask:0xf bank_mask:0xf bound_ctrl:1
	;;#ASMEND
	;;#ASMSTART
	v_max_f32 v2, v3, v3 quad_perm:[2,3,0,1] row_mask:0xf bank_mask:0xf bound_ctrl:1
	;;#ASMEND
	v_and_b32_e32 v3, 3, v0
	v_cmp_eq_u32_e32 vcc, 0, v3
	v_cmp_gt_i32_e64 s[2:3], s15, v1
	v_mul_f32_e32 v2, 0x3b124925, v2
	s_and_b64 s[10:11], vcc, s[2:3]
	s_and_saveexec_b64 s[2:3], s[10:11]
	s_cbranch_execz .LBB237_18
; %bb.17:
	s_load_dwordx2 s[10:11], s[4:5], 0x8
	v_lshrrev_b32_e32 v3, 2, v0
	s_waitcnt lgkmcnt(0)
	s_mul_hi_i32 s29, s21, s6
	s_mul_i32 s28, s21, s6
	v_mad_i64_i32 v[4:5], s[22:23], s22, v3, 0
	s_lshl_b64 s[22:23], s[28:29], 2
	s_add_u32 s10, s10, s22
	s_addc_u32 s11, s11, s23
	v_lshlrev_b64 v[4:5], 2, v[4:5]
	v_mov_b32_e32 v3, s11
	v_add_co_u32_e32 v4, vcc, s10, v4
	v_addc_co_u32_e32 v5, vcc, v3, v5, vcc
	global_store_dword v[4:5], v2, off
.LBB237_18:
	s_or_b64 exec, exec, s[2:3]
	;;#ASMSTART
	v_rcp_f32 v2, v2
	;;#ASMEND
	s_and_saveexec_b64 s[10:11], s[0:1]
	s_cbranch_execz .LBB237_20
; %bb.19:
	v_mov_b32_e32 v3, v2
	;;#ASMSTART
	v_pk_mul_f32 v[4:5], v[10:11], v[2:3]
	;;#ASMEND
	s_load_dwordx2 s[0:1], s[4:5], 0x0
	v_mov_b32_e32 v8, 0xc3e00000
	v_mov_b32_e32 v9, 0x43e00000
	s_waitcnt lgkmcnt(0)
	;;#ASMSTART
	v_med3_f32 v4, v4, v8, v9
v_med3_f32 v5, v5, v8, v9
v_cvt_pk_fp8_f32 v6, v4, v5
	;;#ASMEND
	;;#ASMSTART
	v_pk_mul_f32 v[4:5], v[16:17], v[2:3]
	;;#ASMEND
	;;#ASMSTART
	v_med3_f32 v4, v4, v8, v9
v_med3_f32 v5, v5, v8, v9
v_cvt_pk_fp8_f32 v7, v4, v5
	;;#ASMEND
	s_mov_b32 s14, 0x5040100
	v_perm_b32 v5, v7, v6, s14
	s_movk_i32 s14, 0xff
	s_mul_i32 s3, s20, s6
	v_and_b32_e32 v4, 0xffffff00, v7
	v_and_b32_sdwa v6, v5, s14 dst_sel:DWORD dst_unused:UNUSED_PAD src0_sel:WORD_1 src1_sel:DWORD
	s_mul_hi_i32 s2, s20, s6
	s_mov_b32 s12, 0xffff
	s_add_u32 s0, s0, s3
	v_or_b32_sdwa v4, v6, v4 dst_sel:WORD_1 dst_unused:UNUSED_PAD src0_sel:DWORD src1_sel:DWORD
	s_addc_u32 s1, s1, s2
	s_add_i32 s2, s15, 3
	v_and_or_b32 v4, v5, s12, v4
	;;#ASMSTART
	v_pk_mul_f32 v[6:7], v[14:15], v[2:3]
	;;#ASMEND
	v_mov_b32_e32 v5, v6
	s_ashr_i32 s3, s2, 31
	;;#ASMSTART
	v_med3_f32 v5, v5, v8, v9
v_med3_f32 v7, v7, v8, v9
v_cvt_pk_fp8_f32 v6, v5, v7
	;;#ASMEND
	;;#ASMSTART
	v_pk_mul_f32 v[2:3], v[12:13], v[2:3]
	;;#ASMEND
	s_lshr_b32 s3, s3, 30
	;;#ASMSTART
	v_med3_f32 v2, v2, v8, v9
v_med3_f32 v3, v3, v8, v9
v_cvt_pk_fp8_f32 v5, v2, v3
	;;#ASMEND
	s_add_i32 s2, s2, s3
	v_lshlrev_b32_e32 v2, 16, v5
	s_and_b32 s2, s2, -4
	s_and_b32 s1, s1, 0xffff
	s_mov_b32 s3, 0x20000
	v_and_or_b32 v5, v6, s12, v2
	buffer_store_dwordx2 v[4:5], v1, s[0:3], 0 offen
	;;#ASMSTART
	s_nop 0
	;;#ASMEND
.LBB237_20:
	s_or_b64 exec, exec, s[10:11]
	s_cmp_lt_i32 s16, 1
	s_cbranch_scc1 .LBB237_10
.LBB237_21:
	s_load_dword s0, s[4:5], 0x94
	s_waitcnt lgkmcnt(0)
	s_cmp_lg_u32 s0, 1
	s_cbranch_scc1 .LBB237_10
; %bb.22:
	s_lshl_b32 s0, s16, 1
	s_add_i32 s0, s0, 2
	v_cmp_gt_u32_e32 vcc, s16, v1
	s_and_b32 s10, s0, -4
	v_mov_b32_e32 v8, 0
	v_lshlrev_b32_e32 v16, 4, v0
	s_waitcnt vmcnt(0)
	v_mov_b32_e32 v4, 0
	v_mov_b32_e32 v5, 0
	;; [unrolled: 1-line block ×8, first 2 shown]
	s_barrier
	s_and_saveexec_b64 s[0:1], vcc
	s_cbranch_execz .LBB237_24
; %bb.23:
	s_mul_hi_i32 s3, s18, s6
	s_mul_i32 s2, s18, s6
	s_and_b32 s9, s9, 0xffff
	s_lshl_b64 s[2:3], s[2:3], 1
	s_add_u32 s20, s26, s2
	s_mov_b32 s11, 0x20000
	s_addc_u32 s2, s27, s3
	s_and_b32 s21, s2, 0xffff
	s_mov_b32 s22, s10
	s_mov_b32 s23, s11
	buffer_load_dwordx4 v[4:7], v16, s[20:23], 0 offen glc slc
	buffer_load_dwordx4 v[0:3], v16, s[8:11], 0 offen
.LBB237_24:
	s_or_b64 exec, exec, s[0:1]
	v_mov_b32_e32 v9, 0
	v_mov_b32_e32 v14, 0
	;; [unrolled: 1-line block ×7, first 2 shown]
	s_and_saveexec_b64 s[0:1], vcc
	s_cbranch_execz .LBB237_26
; %bb.25:
	s_waitcnt vmcnt(1)
	v_cvt_f32_f16_sdwa v9, v4 dst_sel:DWORD dst_unused:UNUSED_PAD src0_sel:WORD_1
	v_cvt_f32_f16_e32 v8, v4
	v_cvt_f32_f16_sdwa v15, v5 dst_sel:DWORD dst_unused:UNUSED_PAD src0_sel:WORD_1
	v_cvt_f32_f16_e32 v14, v5
	;; [unrolled: 2-line block ×4, first 2 shown]
.LBB237_26:
	s_or_b64 exec, exec, s[0:1]
	s_waitcnt vmcnt(1)
	v_mul_f32_e32 v4, v9, v9
	v_fmac_f32_e32 v4, v8, v8
	v_fmac_f32_e32 v4, v14, v14
	;; [unrolled: 1-line block ×7, first 2 shown]
	s_nop 1
	v_mov_b32_dpp v5, v4 quad_perm:[1,0,3,2] row_mask:0xf bank_mask:0xf
	v_add_f32_e32 v4, v4, v5
	s_nop 1
	v_mov_b32_dpp v5, v4 quad_perm:[2,3,0,1] row_mask:0xf bank_mask:0xf
	v_add_f32_e32 v4, v4, v5
	s_nop 1
	v_mov_b32_dpp v5, v4 row_half_mirror row_mask:0xf bank_mask:0xf
	v_add_f32_e32 v4, v4, v5
	s_nop 1
	v_mov_b32_dpp v5, v4 row_mirror row_mask:0xf bank_mask:0xf
	v_add_f32_e32 v4, v4, v5
	s_nop 1
	v_mov_b32_dpp v5, v4 row_bcast:15 row_mask:0xf bank_mask:0xf
	v_add_f32_e32 v4, v4, v5
	s_nop 1
	v_mov_b32_dpp v5, v4 row_bcast:31 row_mask:0xf bank_mask:0xf
	v_add_f32_e32 v4, v4, v5
	ds_bpermute_b32 v4, v18, v4
	s_and_saveexec_b64 s[0:1], vcc
	s_cbranch_execz .LBB237_10
; %bb.27:
	v_cvt_f32_u32_e32 v5, s16
	s_mov_b32 s11, 0x20000
	s_waitcnt lgkmcnt(0)
	v_div_scale_f32 v6, s[0:1], v5, v5, v4
	v_rcp_f32_e32 v7, v6
	v_div_scale_f32 v17, vcc, v4, v5, v4
	s_mov_b32 s0, 0x800000
	v_fma_f32 v18, -v6, v7, 1.0
	v_fmac_f32_e32 v7, v18, v7
	v_mul_f32_e32 v18, v17, v7
	v_fma_f32 v19, -v6, v18, v17
	v_fmac_f32_e32 v18, v19, v7
	v_fma_f32 v6, -v6, v18, v17
	v_div_fmas_f32 v6, v6, v7, v18
	v_div_fixup_f32 v4, v6, v5, v4
	v_add_f32_e32 v4, s13, v4
	v_mul_f32_e32 v5, 0x4b800000, v4
	v_cmp_gt_f32_e32 vcc, s0, v4
	v_cndmask_b32_e32 v4, v4, v5, vcc
	v_rsq_f32_e32 v4, v4
	s_waitcnt vmcnt(0)
	v_cvt_f32_f16_sdwa v19, v3 dst_sel:DWORD dst_unused:UNUSED_PAD src0_sel:WORD_1
	v_cvt_f32_f16_e32 v18, v3
	s_mul_hi_i32 s1, s7, s6
	v_mul_f32_e32 v5, 0x45800000, v4
	v_cndmask_b32_e32 v4, v4, v5, vcc
	v_mov_b32_e32 v5, v4
	;;#ASMSTART
	v_pk_mul_f32 v[6:7], v[8:9], v[4:5]
	;;#ASMEND
	;;#ASMSTART
	v_pk_mul_f32 v[8:9], v[14:15], v[4:5]
	;;#ASMEND
	;; [unrolled: 3-line block ×4, first 2 shown]
	v_cvt_f32_f16_sdwa v11, v0 dst_sel:DWORD dst_unused:UNUSED_PAD src0_sel:WORD_1
	v_cvt_f32_f16_e32 v10, v0
	v_cvt_f32_f16_sdwa v15, v1 dst_sel:DWORD dst_unused:UNUSED_PAD src0_sel:WORD_1
	v_cvt_f32_f16_e32 v14, v1
	;; [unrolled: 2-line block ×3, first 2 shown]
	;;#ASMSTART
	v_pk_mul_f32 v[2:3], v[6:7], v[10:11]
	;;#ASMEND
	;;#ASMSTART
	v_pk_mul_f32 v[6:7], v[8:9], v[14:15]
	;;#ASMEND
	;; [unrolled: 3-line block ×4, first 2 shown]
	s_mul_i32 s0, s7, s6
	v_cvt_f16_f32_e32 v2, v2
	v_cvt_f16_f32_e32 v3, v3
	;; [unrolled: 1-line block ×8, first 2 shown]
	s_lshl_b64 s[0:1], s[0:1], 1
	s_add_u32 s8, s24, s0
	s_addc_u32 s0, s25, s1
	s_and_b32 s9, s0, 0xffff
	v_pack_b32_f16 v0, v2, v3
	v_pack_b32_f16 v1, v6, v7
	;; [unrolled: 1-line block ×4, first 2 shown]
	buffer_store_dwordx4 v[0:3], v16, s[8:11], 0 offen
	;;#ASMSTART
	s_nop 0
	;;#ASMEND
	s_endpgm
	.section	.rodata,"a",@progbits
	.p2align	6, 0x0
	.amdhsa_kernel _ZN5aiter35fused_qk_rmsnorm_group_quant_kernelIDF16_DB8_Li64ELi8ELi4ELb0ELb0ELb0ELb0ELb0ELb0EEEvPT0_PvPT_S6_S6_PKS5_S8_S8_S8_S8_ffiiiiiiiiiiiii
		.amdhsa_group_segment_fixed_size 0
		.amdhsa_private_segment_fixed_size 0
		.amdhsa_kernarg_size 400
		.amdhsa_user_sgpr_count 6
		.amdhsa_user_sgpr_private_segment_buffer 1
		.amdhsa_user_sgpr_dispatch_ptr 0
		.amdhsa_user_sgpr_queue_ptr 0
		.amdhsa_user_sgpr_kernarg_segment_ptr 1
		.amdhsa_user_sgpr_dispatch_id 0
		.amdhsa_user_sgpr_flat_scratch_init 0
		.amdhsa_user_sgpr_kernarg_preload_length 0
		.amdhsa_user_sgpr_kernarg_preload_offset 0
		.amdhsa_user_sgpr_private_segment_size 0
		.amdhsa_uses_dynamic_stack 0
		.amdhsa_system_sgpr_private_segment_wavefront_offset 0
		.amdhsa_system_sgpr_workgroup_id_x 1
		.amdhsa_system_sgpr_workgroup_id_y 1
		.amdhsa_system_sgpr_workgroup_id_z 0
		.amdhsa_system_sgpr_workgroup_info 0
		.amdhsa_system_vgpr_workitem_id 0
		.amdhsa_next_free_vgpr 23
		.amdhsa_next_free_sgpr 32
		.amdhsa_accum_offset 24
		.amdhsa_reserve_vcc 1
		.amdhsa_reserve_flat_scratch 0
		.amdhsa_float_round_mode_32 0
		.amdhsa_float_round_mode_16_64 0
		.amdhsa_float_denorm_mode_32 3
		.amdhsa_float_denorm_mode_16_64 3
		.amdhsa_dx10_clamp 1
		.amdhsa_ieee_mode 1
		.amdhsa_fp16_overflow 0
		.amdhsa_tg_split 0
		.amdhsa_exception_fp_ieee_invalid_op 0
		.amdhsa_exception_fp_denorm_src 0
		.amdhsa_exception_fp_ieee_div_zero 0
		.amdhsa_exception_fp_ieee_overflow 0
		.amdhsa_exception_fp_ieee_underflow 0
		.amdhsa_exception_fp_ieee_inexact 0
		.amdhsa_exception_int_div_zero 0
	.end_amdhsa_kernel
	.section	.text._ZN5aiter35fused_qk_rmsnorm_group_quant_kernelIDF16_DB8_Li64ELi8ELi4ELb0ELb0ELb0ELb0ELb0ELb0EEEvPT0_PvPT_S6_S6_PKS5_S8_S8_S8_S8_ffiiiiiiiiiiiii,"axG",@progbits,_ZN5aiter35fused_qk_rmsnorm_group_quant_kernelIDF16_DB8_Li64ELi8ELi4ELb0ELb0ELb0ELb0ELb0ELb0EEEvPT0_PvPT_S6_S6_PKS5_S8_S8_S8_S8_ffiiiiiiiiiiiii,comdat
.Lfunc_end237:
	.size	_ZN5aiter35fused_qk_rmsnorm_group_quant_kernelIDF16_DB8_Li64ELi8ELi4ELb0ELb0ELb0ELb0ELb0ELb0EEEvPT0_PvPT_S6_S6_PKS5_S8_S8_S8_S8_ffiiiiiiiiiiiii, .Lfunc_end237-_ZN5aiter35fused_qk_rmsnorm_group_quant_kernelIDF16_DB8_Li64ELi8ELi4ELb0ELb0ELb0ELb0ELb0ELb0EEEvPT0_PvPT_S6_S6_PKS5_S8_S8_S8_S8_ffiiiiiiiiiiiii
                                        ; -- End function
	.section	.AMDGPU.csdata,"",@progbits
; Kernel info:
; codeLenInByte = 2348
; NumSgprs: 36
; NumVgprs: 23
; NumAgprs: 0
; TotalNumVgprs: 23
; ScratchSize: 0
; MemoryBound: 0
; FloatMode: 240
; IeeeMode: 1
; LDSByteSize: 0 bytes/workgroup (compile time only)
; SGPRBlocks: 4
; VGPRBlocks: 2
; NumSGPRsForWavesPerEU: 36
; NumVGPRsForWavesPerEU: 23
; AccumOffset: 24
; Occupancy: 8
; WaveLimiterHint : 0
; COMPUTE_PGM_RSRC2:SCRATCH_EN: 0
; COMPUTE_PGM_RSRC2:USER_SGPR: 6
; COMPUTE_PGM_RSRC2:TRAP_HANDLER: 0
; COMPUTE_PGM_RSRC2:TGID_X_EN: 1
; COMPUTE_PGM_RSRC2:TGID_Y_EN: 1
; COMPUTE_PGM_RSRC2:TGID_Z_EN: 0
; COMPUTE_PGM_RSRC2:TIDIG_COMP_CNT: 0
; COMPUTE_PGM_RSRC3_GFX90A:ACCUM_OFFSET: 5
; COMPUTE_PGM_RSRC3_GFX90A:TG_SPLIT: 0
	.section	.text._ZN5aiter35fused_qk_rmsnorm_group_quant_kernelItDB8_Li64ELi8ELi4ELb0ELb0ELb0ELb0ELb0ELb0EEEvPT0_PvPT_S6_S6_PKS5_S8_S8_S8_S8_ffiiiiiiiiiiiii,"axG",@progbits,_ZN5aiter35fused_qk_rmsnorm_group_quant_kernelItDB8_Li64ELi8ELi4ELb0ELb0ELb0ELb0ELb0ELb0EEEvPT0_PvPT_S6_S6_PKS5_S8_S8_S8_S8_ffiiiiiiiiiiiii,comdat
	.protected	_ZN5aiter35fused_qk_rmsnorm_group_quant_kernelItDB8_Li64ELi8ELi4ELb0ELb0ELb0ELb0ELb0ELb0EEEvPT0_PvPT_S6_S6_PKS5_S8_S8_S8_S8_ffiiiiiiiiiiiii ; -- Begin function _ZN5aiter35fused_qk_rmsnorm_group_quant_kernelItDB8_Li64ELi8ELi4ELb0ELb0ELb0ELb0ELb0ELb0EEEvPT0_PvPT_S6_S6_PKS5_S8_S8_S8_S8_ffiiiiiiiiiiiii
	.globl	_ZN5aiter35fused_qk_rmsnorm_group_quant_kernelItDB8_Li64ELi8ELi4ELb0ELb0ELb0ELb0ELb0ELb0EEEvPT0_PvPT_S6_S6_PKS5_S8_S8_S8_S8_ffiiiiiiiiiiiii
	.p2align	8
	.type	_ZN5aiter35fused_qk_rmsnorm_group_quant_kernelItDB8_Li64ELi8ELi4ELb0ELb0ELb0ELb0ELb0ELb0EEEvPT0_PvPT_S6_S6_PKS5_S8_S8_S8_S8_ffiiiiiiiiiiiii,@function
_ZN5aiter35fused_qk_rmsnorm_group_quant_kernelItDB8_Li64ELi8ELi4ELb0ELb0ELb0ELb0ELb0ELb0EEEvPT0_PvPT_S6_S6_PKS5_S8_S8_S8_S8_ffiiiiiiiiiiiii: ; @_ZN5aiter35fused_qk_rmsnorm_group_quant_kernelItDB8_Li64ELi8ELi4ELb0ELb0ELb0ELb0ELb0ELb0EEEvPT0_PvPT_S6_S6_PKS5_S8_S8_S8_S8_ffiiiiiiiiiiiii
; %bb.0:
	s_load_dwordx4 s[12:15], s[4:5], 0x50
	s_waitcnt lgkmcnt(0)
	s_cmp_ge_i32 s6, s14
	s_cbranch_scc1 .LBB238_8
; %bb.1:
	s_load_dwordx2 s[8:9], s[4:5], 0x48
	s_load_dwordx2 s[26:27], s[4:5], 0x30
	s_load_dwordx4 s[16:19], s[4:5], 0x60
	s_cmp_lg_u32 s7, 0
	s_cselect_b64 s[2:3], -1, 0
	s_cmp_eq_u32 s7, 0
	s_cselect_b64 vcc, -1, 0
	s_and_b64 s[0:1], vcc, exec
	s_waitcnt lgkmcnt(0)
	s_cselect_b32 s7, s15, s16
	s_add_i32 s0, s7, 1
	s_lshr_b32 s1, s0, 31
	s_add_i32 s0, s0, s1
	s_lshl_b32 s0, s0, 1
	v_lshlrev_b32_e32 v1, 3, v0
	s_and_b32 s22, s0, -4
	v_cmp_gt_i32_e64 s[0:1], s7, v1
	v_mov_b32_e32 v2, 0
	v_mov_b32_e32 v3, 0
	;; [unrolled: 1-line block ×8, first 2 shown]
	s_and_saveexec_b64 s[10:11], s[0:1]
	s_cbranch_execz .LBB238_3
; %bb.2:
	s_load_dwordx2 s[20:21], s[4:5], 0x28
	s_load_dwordx2 s[24:25], s[4:5], 0x40
	s_and_b64 s[28:29], vcc, exec
	s_cselect_b32 s14, s17, s18
	s_mov_b32 s23, 0x20000
	s_waitcnt lgkmcnt(0)
	s_cselect_b32 s17, s21, s27
	s_cselect_b32 s19, s20, s26
	s_mul_hi_i32 s21, s14, s6
	s_mul_i32 s20, s14, s6
	s_lshl_b64 s[20:21], s[20:21], 1
	s_add_u32 s28, s19, s20
	s_addc_u32 s14, s17, s21
	s_and_b64 s[20:21], vcc, exec
	s_cselect_b32 s20, s24, s8
	s_cselect_b32 s17, s25, s9
	v_lshlrev_b32_e32 v10, 4, v0
	s_and_b32 s29, s14, 0xffff
	s_mov_b32 s30, s22
	s_mov_b32 s31, s23
	s_and_b32 s21, s17, 0xffff
	buffer_load_dwordx4 v[6:9], v10, s[28:31], 0 offen glc slc
	buffer_load_dwordx4 v[2:5], v10, s[20:23], 0 offen
.LBB238_3:
	s_or_b64 exec, exec, s[10:11]
	s_waitcnt vmcnt(1)
	v_cvt_f32_u32_sdwa v13, v6 dst_sel:DWORD dst_unused:UNUSED_PAD src0_sel:WORD_1
	v_cvt_f32_u32_sdwa v12, v6 dst_sel:DWORD dst_unused:UNUSED_PAD src0_sel:WORD_0
	v_cvt_f32_u32_sdwa v6, v9 dst_sel:DWORD dst_unused:UNUSED_PAD src0_sel:WORD_1
	v_cvt_f32_u32_sdwa v9, v9 dst_sel:DWORD dst_unused:UNUSED_PAD src0_sel:WORD_0
	;; [unrolled: 2-line block ×4, first 2 shown]
	v_cndmask_b32_e64 v13, 0, v13, s[0:1]
	v_cndmask_b32_e64 v7, 0, v6, s[0:1]
	v_cndmask_b32_e64 v6, 0, v9, s[0:1]
	v_cndmask_b32_e64 v9, 0, v14, s[0:1]
	v_cndmask_b32_e64 v12, 0, v12, s[0:1]
	v_mul_f32_e32 v14, v13, v13
	v_cndmask_b32_e64 v10, 0, v10, s[0:1]
	v_fmac_f32_e32 v14, v12, v12
	v_cndmask_b32_e64 v11, 0, v11, s[0:1]
	v_fmac_f32_e32 v14, v10, v10
	;; [unrolled: 2-line block ×3, first 2 shown]
	v_fmac_f32_e32 v14, v8, v8
	v_fmac_f32_e32 v14, v9, v9
	v_fmac_f32_e32 v14, v6, v6
	v_fmac_f32_e32 v14, v7, v7
	v_bfrev_b32_e32 v16, 0.5
	s_load_dwordx2 s[24:25], s[4:5], 0x18
	v_mov_b32_dpp v15, v14 quad_perm:[1,0,3,2] row_mask:0xf bank_mask:0xf
	v_add_f32_e32 v14, v14, v15
	s_nop 1
	v_mov_b32_dpp v15, v14 quad_perm:[2,3,0,1] row_mask:0xf bank_mask:0xf
	v_add_f32_e32 v14, v14, v15
	s_nop 1
	v_mov_b32_dpp v15, v14 row_half_mirror row_mask:0xf bank_mask:0xf
	v_add_f32_e32 v14, v14, v15
	s_nop 1
	v_mov_b32_dpp v15, v14 row_mirror row_mask:0xf bank_mask:0xf
	v_add_f32_e32 v14, v14, v15
	s_nop 1
	v_mov_b32_dpp v15, v14 row_bcast:15 row_mask:0xf bank_mask:0xf
	v_add_f32_e32 v14, v14, v15
	s_nop 1
	v_mov_b32_dpp v15, v14 row_bcast:31 row_mask:0xf bank_mask:0xf
	v_add_f32_e32 v15, v14, v15
	v_mbcnt_lo_u32_b32 v14, -1, 0
	v_mbcnt_hi_u32_b32 v14, -1, v14
	v_lshl_or_b32 v14, v14, 2, v16
	ds_bpermute_b32 v15, v14, v15
	s_and_saveexec_b64 s[10:11], s[0:1]
	s_cbranch_execz .LBB238_5
; %bb.4:
	v_cvt_f32_u32_e32 v16, s7
	v_mov_b32_e32 v17, s13
	v_mov_b32_e32 v18, s12
	v_cndmask_b32_e32 v17, v17, v18, vcc
	s_waitcnt lgkmcnt(0)
	v_div_scale_f32 v19, s[20:21], v16, v16, v15
	v_rcp_f32_e32 v20, v19
	v_div_scale_f32 v18, vcc, v15, v16, v15
	s_mov_b32 s7, 0x800000
	v_fma_f32 v21, -v19, v20, 1.0
	v_fmac_f32_e32 v20, v21, v20
	v_mul_f32_e32 v21, v18, v20
	v_fma_f32 v22, -v19, v21, v18
	v_fmac_f32_e32 v21, v22, v20
	v_fma_f32 v18, -v19, v21, v18
	v_div_fmas_f32 v18, v18, v20, v21
	v_div_fixup_f32 v15, v18, v16, v15
	v_add_f32_e32 v15, v17, v15
	v_mul_f32_e32 v16, 0x4b800000, v15
	v_cmp_gt_f32_e32 vcc, s7, v15
	v_cndmask_b32_e32 v15, v15, v16, vcc
	v_rsq_f32_e32 v15, v15
	s_waitcnt vmcnt(0)
	v_cvt_f32_u32_sdwa v19, v3 dst_sel:DWORD dst_unused:UNUSED_PAD src0_sel:WORD_1
	v_cvt_f32_u32_sdwa v18, v3 dst_sel:DWORD dst_unused:UNUSED_PAD src0_sel:WORD_0
	v_cvt_f32_u32_sdwa v3, v4 dst_sel:DWORD dst_unused:UNUSED_PAD src0_sel:WORD_1
	v_mul_f32_e32 v16, 0x45800000, v15
	v_cndmask_b32_e32 v16, v15, v16, vcc
	v_mov_b32_e32 v17, v16
	;;#ASMSTART
	v_pk_mul_f32 v[12:13], v[12:13], v[16:17]
	;;#ASMEND
	;;#ASMSTART
	v_pk_mul_f32 v[10:11], v[10:11], v[16:17]
	;;#ASMEND
	;; [unrolled: 3-line block ×4, first 2 shown]
	v_cvt_f32_u32_sdwa v17, v2 dst_sel:DWORD dst_unused:UNUSED_PAD src0_sel:WORD_1
	v_cvt_f32_u32_sdwa v16, v2 dst_sel:DWORD dst_unused:UNUSED_PAD src0_sel:WORD_0
	v_cvt_f32_u32_sdwa v2, v4 dst_sel:DWORD dst_unused:UNUSED_PAD src0_sel:WORD_0
	v_cvt_f32_u32_sdwa v21, v5 dst_sel:DWORD dst_unused:UNUSED_PAD src0_sel:WORD_1
	v_cvt_f32_u32_sdwa v20, v5 dst_sel:DWORD dst_unused:UNUSED_PAD src0_sel:WORD_0
	;;#ASMSTART
	v_pk_mul_f32 v[12:13], v[12:13], v[16:17]
	;;#ASMEND
	;;#ASMSTART
	v_pk_mul_f32 v[10:11], v[10:11], v[18:19]
	;;#ASMEND
	;; [unrolled: 3-line block ×4, first 2 shown]
.LBB238_5:
	s_or_b64 exec, exec, s[10:11]
	s_load_dword s7, s[4:5], 0x80
	s_mov_b64 s[10:11], -1
	s_and_b64 vcc, exec, s[2:3]
	s_cbranch_vccnz .LBB238_9
; %bb.6:
	s_andn2_b64 vcc, exec, s[10:11]
	s_cbranch_vccz .LBB238_12
.LBB238_7:
	s_cmp_lt_i32 s16, 1
	s_cbranch_scc0 .LBB238_19
.LBB238_8:
	s_endpgm
.LBB238_9:
	s_and_saveexec_b64 s[2:3], s[0:1]
	s_cbranch_execz .LBB238_11
; %bb.10:
	s_waitcnt lgkmcnt(0)
	s_mul_hi_i32 s11, s7, s6
	s_mul_i32 s10, s7, s6
	s_lshl_b64 s[10:11], s[10:11], 1
	s_add_u32 s20, s24, s10
	s_addc_u32 s10, s25, s11
	s_and_b32 s21, s10, 0xffff
	s_mov_b32 s10, 0x7060302
	s_mov_b32 s23, 0x20000
	s_waitcnt vmcnt(0)
	v_perm_b32 v2, v13, v12, s10
	v_perm_b32 v3, v11, v10, s10
	;; [unrolled: 1-line block ×4, first 2 shown]
	v_lshlrev_b32_e32 v15, 4, v0
	buffer_store_dwordx4 v[2:5], v15, s[20:23], 0 offen
	;;#ASMSTART
	s_nop 0
	;;#ASMEND
.LBB238_11:
	s_or_b64 exec, exec, s[2:3]
	s_cbranch_execnz .LBB238_7
.LBB238_12:
	s_waitcnt vmcnt(0)
	v_mov_b32_e32 v2, 0
	s_and_saveexec_b64 s[2:3], s[0:1]
	s_cbranch_execz .LBB238_14
; %bb.13:
	v_and_b32_e32 v2, 0x7fffffff, v12
	v_and_b32_e32 v3, 0x7fffffff, v13
	v_mov_b32_e32 v4, 0x2edbe6ff
	;;#ASMSTART
	v_max3_f32 v2, v4, v2, v3

	;;#ASMEND
	v_and_b32_e32 v3, 0x7fffffff, v10
	v_and_b32_e32 v4, 0x7fffffff, v11
	;;#ASMSTART
	v_max3_f32 v2, v2, v3, v4

	;;#ASMEND
	v_and_b32_e32 v3, 0x7fffffff, v8
	v_and_b32_e32 v4, 0x7fffffff, v9
	;; [unrolled: 6-line block ×3, first 2 shown]
	;;#ASMSTART
	v_max3_f32 v2, v2, v3, v4

	;;#ASMEND
.LBB238_14:
	s_or_b64 exec, exec, s[2:3]
	s_load_dwordx4 s[20:23], s[4:5], 0x70
	;;#ASMSTART
	v_max_f32 v3, v2, v2 quad_perm:[1,0,3,2] row_mask:0xf bank_mask:0xf bound_ctrl:1
	;;#ASMEND
	;;#ASMSTART
	v_max_f32 v2, v3, v3 quad_perm:[2,3,0,1] row_mask:0xf bank_mask:0xf bound_ctrl:1
	;;#ASMEND
	v_and_b32_e32 v3, 3, v0
	v_cmp_eq_u32_e32 vcc, 0, v3
	v_cmp_gt_i32_e64 s[2:3], s15, v1
	v_mul_f32_e32 v2, 0x3b124925, v2
	s_and_b64 s[10:11], vcc, s[2:3]
	s_and_saveexec_b64 s[2:3], s[10:11]
	s_cbranch_execz .LBB238_16
; %bb.15:
	s_load_dwordx2 s[10:11], s[4:5], 0x8
	v_lshrrev_b32_e32 v3, 2, v0
	s_waitcnt lgkmcnt(0)
	s_mul_hi_i32 s29, s21, s6
	s_mul_i32 s28, s21, s6
	v_mad_i64_i32 v[4:5], s[22:23], s22, v3, 0
	s_lshl_b64 s[22:23], s[28:29], 2
	s_add_u32 s10, s10, s22
	s_addc_u32 s11, s11, s23
	v_lshlrev_b64 v[4:5], 2, v[4:5]
	v_mov_b32_e32 v3, s11
	v_add_co_u32_e32 v4, vcc, s10, v4
	v_addc_co_u32_e32 v5, vcc, v3, v5, vcc
	global_store_dword v[4:5], v2, off
.LBB238_16:
	s_or_b64 exec, exec, s[2:3]
	;;#ASMSTART
	v_rcp_f32 v2, v2
	;;#ASMEND
	s_and_saveexec_b64 s[10:11], s[0:1]
	s_cbranch_execz .LBB238_18
; %bb.17:
	v_mov_b32_e32 v3, v2
	;;#ASMSTART
	v_pk_mul_f32 v[4:5], v[12:13], v[2:3]
	;;#ASMEND
	s_load_dwordx2 s[0:1], s[4:5], 0x0
	v_mov_b32_e32 v12, 0xc3e00000
	v_mov_b32_e32 v13, 0x43e00000
	s_waitcnt lgkmcnt(0)
	;;#ASMSTART
	v_med3_f32 v4, v4, v12, v13
v_med3_f32 v5, v5, v12, v13
v_cvt_pk_fp8_f32 v15, v4, v5
	;;#ASMEND
	;;#ASMSTART
	v_pk_mul_f32 v[4:5], v[10:11], v[2:3]
	;;#ASMEND
	;;#ASMSTART
	v_med3_f32 v4, v4, v12, v13
v_med3_f32 v5, v5, v12, v13
v_cvt_pk_fp8_f32 v10, v4, v5
	;;#ASMEND
	s_mov_b32 s14, 0x5040100
	v_perm_b32 v5, v10, v15, s14
	s_movk_i32 s14, 0xff
	s_mul_i32 s3, s20, s6
	v_and_b32_e32 v4, 0xffffff00, v10
	v_and_b32_sdwa v10, v5, s14 dst_sel:DWORD dst_unused:UNUSED_PAD src0_sel:WORD_1 src1_sel:DWORD
	s_mul_hi_i32 s2, s20, s6
	s_mov_b32 s12, 0xffff
	s_add_u32 s0, s0, s3
	v_or_b32_sdwa v4, v10, v4 dst_sel:WORD_1 dst_unused:UNUSED_PAD src0_sel:DWORD src1_sel:DWORD
	s_addc_u32 s1, s1, s2
	s_add_i32 s2, s15, 3
	v_and_or_b32 v4, v5, s12, v4
	;;#ASMSTART
	v_pk_mul_f32 v[8:9], v[8:9], v[2:3]
	;;#ASMEND
	v_mov_b32_e32 v5, v9
	s_ashr_i32 s3, s2, 31
	;;#ASMSTART
	v_med3_f32 v8, v8, v12, v13
v_med3_f32 v5, v5, v12, v13
v_cvt_pk_fp8_f32 v9, v8, v5
	;;#ASMEND
	;;#ASMSTART
	v_pk_mul_f32 v[2:3], v[6:7], v[2:3]
	;;#ASMEND
	s_lshr_b32 s3, s3, 30
	;;#ASMSTART
	v_med3_f32 v2, v2, v12, v13
v_med3_f32 v3, v3, v12, v13
v_cvt_pk_fp8_f32 v5, v2, v3
	;;#ASMEND
	s_add_i32 s2, s2, s3
	v_lshlrev_b32_e32 v2, 16, v5
	s_and_b32 s2, s2, -4
	s_and_b32 s1, s1, 0xffff
	s_mov_b32 s3, 0x20000
	v_and_or_b32 v5, v9, s12, v2
	buffer_store_dwordx2 v[4:5], v1, s[0:3], 0 offen
	;;#ASMSTART
	s_nop 0
	;;#ASMEND
.LBB238_18:
	s_or_b64 exec, exec, s[10:11]
	s_cmp_lt_i32 s16, 1
	s_cbranch_scc1 .LBB238_8
.LBB238_19:
	s_load_dword s0, s[4:5], 0x94
	s_waitcnt lgkmcnt(0)
	s_cmp_lg_u32 s0, 1
	s_cbranch_scc1 .LBB238_8
; %bb.20:
	s_lshl_b32 s0, s16, 1
	s_add_i32 s0, s0, 2
	v_cmp_gt_u32_e32 vcc, s16, v1
	s_and_b32 s10, s0, -4
	s_waitcnt vmcnt(0)
	v_mov_b32_e32 v4, 0
	v_lshlrev_b32_e32 v12, 4, v0
	v_mov_b32_e32 v5, 0
	v_mov_b32_e32 v6, 0
	;; [unrolled: 1-line block ×7, first 2 shown]
	s_barrier
	s_and_saveexec_b64 s[0:1], vcc
	s_cbranch_execz .LBB238_22
; %bb.21:
	s_mul_hi_i32 s3, s18, s6
	s_mul_i32 s2, s18, s6
	s_and_b32 s9, s9, 0xffff
	s_lshl_b64 s[2:3], s[2:3], 1
	s_add_u32 s20, s26, s2
	s_mov_b32 s11, 0x20000
	s_addc_u32 s2, s27, s3
	s_and_b32 s21, s2, 0xffff
	s_mov_b32 s22, s10
	s_mov_b32 s23, s11
	buffer_load_dwordx4 v[4:7], v12, s[20:23], 0 offen glc slc
	buffer_load_dwordx4 v[0:3], v12, s[8:11], 0 offen
.LBB238_22:
	s_or_b64 exec, exec, s[0:1]
	s_waitcnt vmcnt(1)
	v_cvt_f32_u32_sdwa v11, v4 dst_sel:DWORD dst_unused:UNUSED_PAD src0_sel:WORD_1
	v_cvt_f32_u32_sdwa v10, v4 dst_sel:DWORD dst_unused:UNUSED_PAD src0_sel:WORD_0
	v_cvt_f32_u32_sdwa v4, v7 dst_sel:DWORD dst_unused:UNUSED_PAD src0_sel:WORD_1
	v_cvt_f32_u32_sdwa v7, v7 dst_sel:DWORD dst_unused:UNUSED_PAD src0_sel:WORD_0
	;; [unrolled: 2-line block ×4, first 2 shown]
	v_cndmask_b32_e32 v11, 0, v11, vcc
	v_cndmask_b32_e32 v5, 0, v4, vcc
	;; [unrolled: 1-line block ×5, first 2 shown]
	v_mul_f32_e32 v13, v11, v11
	v_cndmask_b32_e32 v8, 0, v8, vcc
	v_fmac_f32_e32 v13, v10, v10
	v_cndmask_b32_e32 v9, 0, v9, vcc
	v_fmac_f32_e32 v13, v8, v8
	v_cndmask_b32_e32 v6, 0, v6, vcc
	v_fmac_f32_e32 v13, v9, v9
	v_fmac_f32_e32 v13, v6, v6
	v_fmac_f32_e32 v13, v7, v7
	;; [unrolled: 1-line block ×4, first 2 shown]
	s_nop 1
	v_mov_b32_dpp v15, v13 quad_perm:[1,0,3,2] row_mask:0xf bank_mask:0xf
	v_add_f32_e32 v13, v13, v15
	s_nop 1
	v_mov_b32_dpp v15, v13 quad_perm:[2,3,0,1] row_mask:0xf bank_mask:0xf
	v_add_f32_e32 v13, v13, v15
	s_nop 1
	v_mov_b32_dpp v15, v13 row_half_mirror row_mask:0xf bank_mask:0xf
	v_add_f32_e32 v13, v13, v15
	s_nop 1
	v_mov_b32_dpp v15, v13 row_mirror row_mask:0xf bank_mask:0xf
	v_add_f32_e32 v13, v13, v15
	s_nop 1
	v_mov_b32_dpp v15, v13 row_bcast:15 row_mask:0xf bank_mask:0xf
	v_add_f32_e32 v13, v13, v15
	s_nop 1
	v_mov_b32_dpp v15, v13 row_bcast:31 row_mask:0xf bank_mask:0xf
	v_add_f32_e32 v13, v13, v15
	ds_bpermute_b32 v13, v14, v13
	s_and_saveexec_b64 s[0:1], vcc
	s_cbranch_execz .LBB238_8
; %bb.23:
	v_cvt_f32_u32_e32 v14, s16
	s_mov_b32 s11, 0x20000
	s_waitcnt lgkmcnt(0)
	v_div_scale_f32 v15, s[0:1], v14, v14, v13
	v_rcp_f32_e32 v16, v15
	v_div_scale_f32 v17, vcc, v13, v14, v13
	s_mov_b32 s0, 0x800000
	v_fma_f32 v18, -v15, v16, 1.0
	v_fmac_f32_e32 v16, v18, v16
	v_mul_f32_e32 v18, v17, v16
	v_fma_f32 v19, -v15, v18, v17
	v_fmac_f32_e32 v18, v19, v16
	v_fma_f32 v15, -v15, v18, v17
	v_div_fmas_f32 v15, v15, v16, v18
	v_div_fixup_f32 v13, v15, v14, v13
	v_add_f32_e32 v13, s13, v13
	v_mul_f32_e32 v14, 0x4b800000, v13
	v_cmp_gt_f32_e32 vcc, s0, v13
	v_cndmask_b32_e32 v13, v13, v14, vcc
	v_rsq_f32_e32 v13, v13
	s_mul_hi_i32 s1, s7, s6
	s_mul_i32 s0, s7, s6
	s_lshl_b64 s[0:1], s[0:1], 1
	v_mul_f32_e32 v14, 0x45800000, v13
	v_cndmask_b32_e32 v14, v13, v14, vcc
	s_add_u32 s8, s24, s0
	v_mov_b32_e32 v15, v14
	s_addc_u32 s0, s25, s1
	;;#ASMSTART
	v_pk_mul_f32 v[10:11], v[10:11], v[14:15]
	;;#ASMEND
	;;#ASMSTART
	v_pk_mul_f32 v[8:9], v[8:9], v[14:15]
	;;#ASMEND
	;;#ASMSTART
	v_pk_mul_f32 v[6:7], v[6:7], v[14:15]
	;;#ASMEND
	;;#ASMSTART
	v_pk_mul_f32 v[4:5], v[4:5], v[14:15]
	;;#ASMEND
	s_waitcnt vmcnt(0)
	v_cvt_f32_u32_sdwa v15, v0 dst_sel:DWORD dst_unused:UNUSED_PAD src0_sel:WORD_1
	v_cvt_f32_u32_sdwa v14, v0 dst_sel:DWORD dst_unused:UNUSED_PAD src0_sel:WORD_0
	v_cvt_f32_u32_sdwa v17, v1 dst_sel:DWORD dst_unused:UNUSED_PAD src0_sel:WORD_1
	v_cvt_f32_u32_sdwa v16, v1 dst_sel:DWORD dst_unused:UNUSED_PAD src0_sel:WORD_0
	;; [unrolled: 2-line block ×4, first 2 shown]
	;;#ASMSTART
	v_pk_mul_f32 v[2:3], v[10:11], v[14:15]
	;;#ASMEND
	s_and_b32 s9, s0, 0xffff
	s_mov_b32 s0, 0x7060302
	;;#ASMSTART
	v_pk_mul_f32 v[8:9], v[8:9], v[16:17]
	;;#ASMEND
	;;#ASMSTART
	v_pk_mul_f32 v[6:7], v[6:7], v[0:1]
	;;#ASMEND
	;; [unrolled: 3-line block ×3, first 2 shown]
	v_perm_b32 v0, v3, v2, s0
	v_perm_b32 v1, v9, v8, s0
	;; [unrolled: 1-line block ×4, first 2 shown]
	buffer_store_dwordx4 v[0:3], v12, s[8:11], 0 offen
	;;#ASMSTART
	s_nop 0
	;;#ASMEND
	s_endpgm
	.section	.rodata,"a",@progbits
	.p2align	6, 0x0
	.amdhsa_kernel _ZN5aiter35fused_qk_rmsnorm_group_quant_kernelItDB8_Li64ELi8ELi4ELb0ELb0ELb0ELb0ELb0ELb0EEEvPT0_PvPT_S6_S6_PKS5_S8_S8_S8_S8_ffiiiiiiiiiiiii
		.amdhsa_group_segment_fixed_size 0
		.amdhsa_private_segment_fixed_size 0
		.amdhsa_kernarg_size 400
		.amdhsa_user_sgpr_count 6
		.amdhsa_user_sgpr_private_segment_buffer 1
		.amdhsa_user_sgpr_dispatch_ptr 0
		.amdhsa_user_sgpr_queue_ptr 0
		.amdhsa_user_sgpr_kernarg_segment_ptr 1
		.amdhsa_user_sgpr_dispatch_id 0
		.amdhsa_user_sgpr_flat_scratch_init 0
		.amdhsa_user_sgpr_kernarg_preload_length 0
		.amdhsa_user_sgpr_kernarg_preload_offset 0
		.amdhsa_user_sgpr_private_segment_size 0
		.amdhsa_uses_dynamic_stack 0
		.amdhsa_system_sgpr_private_segment_wavefront_offset 0
		.amdhsa_system_sgpr_workgroup_id_x 1
		.amdhsa_system_sgpr_workgroup_id_y 1
		.amdhsa_system_sgpr_workgroup_id_z 0
		.amdhsa_system_sgpr_workgroup_info 0
		.amdhsa_system_vgpr_workitem_id 0
		.amdhsa_next_free_vgpr 23
		.amdhsa_next_free_sgpr 32
		.amdhsa_accum_offset 24
		.amdhsa_reserve_vcc 1
		.amdhsa_reserve_flat_scratch 0
		.amdhsa_float_round_mode_32 0
		.amdhsa_float_round_mode_16_64 0
		.amdhsa_float_denorm_mode_32 3
		.amdhsa_float_denorm_mode_16_64 3
		.amdhsa_dx10_clamp 1
		.amdhsa_ieee_mode 1
		.amdhsa_fp16_overflow 0
		.amdhsa_tg_split 0
		.amdhsa_exception_fp_ieee_invalid_op 0
		.amdhsa_exception_fp_denorm_src 0
		.amdhsa_exception_fp_ieee_div_zero 0
		.amdhsa_exception_fp_ieee_overflow 0
		.amdhsa_exception_fp_ieee_underflow 0
		.amdhsa_exception_fp_ieee_inexact 0
		.amdhsa_exception_int_div_zero 0
	.end_amdhsa_kernel
	.section	.text._ZN5aiter35fused_qk_rmsnorm_group_quant_kernelItDB8_Li64ELi8ELi4ELb0ELb0ELb0ELb0ELb0ELb0EEEvPT0_PvPT_S6_S6_PKS5_S8_S8_S8_S8_ffiiiiiiiiiiiii,"axG",@progbits,_ZN5aiter35fused_qk_rmsnorm_group_quant_kernelItDB8_Li64ELi8ELi4ELb0ELb0ELb0ELb0ELb0ELb0EEEvPT0_PvPT_S6_S6_PKS5_S8_S8_S8_S8_ffiiiiiiiiiiiii,comdat
.Lfunc_end238:
	.size	_ZN5aiter35fused_qk_rmsnorm_group_quant_kernelItDB8_Li64ELi8ELi4ELb0ELb0ELb0ELb0ELb0ELb0EEEvPT0_PvPT_S6_S6_PKS5_S8_S8_S8_S8_ffiiiiiiiiiiiii, .Lfunc_end238-_ZN5aiter35fused_qk_rmsnorm_group_quant_kernelItDB8_Li64ELi8ELi4ELb0ELb0ELb0ELb0ELb0ELb0EEEvPT0_PvPT_S6_S6_PKS5_S8_S8_S8_S8_ffiiiiiiiiiiiii
                                        ; -- End function
	.section	.AMDGPU.csdata,"",@progbits
; Kernel info:
; codeLenInByte = 2364
; NumSgprs: 36
; NumVgprs: 23
; NumAgprs: 0
; TotalNumVgprs: 23
; ScratchSize: 0
; MemoryBound: 0
; FloatMode: 240
; IeeeMode: 1
; LDSByteSize: 0 bytes/workgroup (compile time only)
; SGPRBlocks: 4
; VGPRBlocks: 2
; NumSGPRsForWavesPerEU: 36
; NumVGPRsForWavesPerEU: 23
; AccumOffset: 24
; Occupancy: 8
; WaveLimiterHint : 0
; COMPUTE_PGM_RSRC2:SCRATCH_EN: 0
; COMPUTE_PGM_RSRC2:USER_SGPR: 6
; COMPUTE_PGM_RSRC2:TRAP_HANDLER: 0
; COMPUTE_PGM_RSRC2:TGID_X_EN: 1
; COMPUTE_PGM_RSRC2:TGID_Y_EN: 1
; COMPUTE_PGM_RSRC2:TGID_Z_EN: 0
; COMPUTE_PGM_RSRC2:TIDIG_COMP_CNT: 0
; COMPUTE_PGM_RSRC3_GFX90A:ACCUM_OFFSET: 5
; COMPUTE_PGM_RSRC3_GFX90A:TG_SPLIT: 0
	.section	.text._ZN5aiter35fused_qk_rmsnorm_group_quant_kernelIDF16_N4opus5fp4_tELi64ELi8ELi4ELb0ELb0ELb0ELb0ELb0ELb0EEEvPT0_PvPT_S7_S7_PKS6_S9_S9_S9_S9_ffiiiiiiiiiiiii,"axG",@progbits,_ZN5aiter35fused_qk_rmsnorm_group_quant_kernelIDF16_N4opus5fp4_tELi64ELi8ELi4ELb0ELb0ELb0ELb0ELb0ELb0EEEvPT0_PvPT_S7_S7_PKS6_S9_S9_S9_S9_ffiiiiiiiiiiiii,comdat
	.protected	_ZN5aiter35fused_qk_rmsnorm_group_quant_kernelIDF16_N4opus5fp4_tELi64ELi8ELi4ELb0ELb0ELb0ELb0ELb0ELb0EEEvPT0_PvPT_S7_S7_PKS6_S9_S9_S9_S9_ffiiiiiiiiiiiii ; -- Begin function _ZN5aiter35fused_qk_rmsnorm_group_quant_kernelIDF16_N4opus5fp4_tELi64ELi8ELi4ELb0ELb0ELb0ELb0ELb0ELb0EEEvPT0_PvPT_S7_S7_PKS6_S9_S9_S9_S9_ffiiiiiiiiiiiii
	.globl	_ZN5aiter35fused_qk_rmsnorm_group_quant_kernelIDF16_N4opus5fp4_tELi64ELi8ELi4ELb0ELb0ELb0ELb0ELb0ELb0EEEvPT0_PvPT_S7_S7_PKS6_S9_S9_S9_S9_ffiiiiiiiiiiiii
	.p2align	8
	.type	_ZN5aiter35fused_qk_rmsnorm_group_quant_kernelIDF16_N4opus5fp4_tELi64ELi8ELi4ELb0ELb0ELb0ELb0ELb0ELb0EEEvPT0_PvPT_S7_S7_PKS6_S9_S9_S9_S9_ffiiiiiiiiiiiii,@function
_ZN5aiter35fused_qk_rmsnorm_group_quant_kernelIDF16_N4opus5fp4_tELi64ELi8ELi4ELb0ELb0ELb0ELb0ELb0ELb0EEEvPT0_PvPT_S7_S7_PKS6_S9_S9_S9_S9_ffiiiiiiiiiiiii: ; @_ZN5aiter35fused_qk_rmsnorm_group_quant_kernelIDF16_N4opus5fp4_tELi64ELi8ELi4ELb0ELb0ELb0ELb0ELb0ELb0EEEvPT0_PvPT_S7_S7_PKS6_S9_S9_S9_S9_ffiiiiiiiiiiiii
; %bb.0:
	s_load_dwordx4 s[12:15], s[4:5], 0x50
	s_waitcnt lgkmcnt(0)
	s_cmp_ge_i32 s6, s14
	s_cbranch_scc1 .LBB239_10
; %bb.1:
	s_load_dwordx2 s[8:9], s[4:5], 0x48
	s_load_dwordx2 s[26:27], s[4:5], 0x30
	s_load_dwordx4 s[16:19], s[4:5], 0x60
	s_cmp_lg_u32 s7, 0
	s_cselect_b64 s[2:3], -1, 0
	s_cmp_eq_u32 s7, 0
	s_cselect_b64 vcc, -1, 0
	s_and_b64 s[0:1], vcc, exec
	s_waitcnt lgkmcnt(0)
	s_cselect_b32 s7, s15, s16
	s_add_i32 s0, s7, 1
	s_lshr_b32 s1, s0, 31
	s_add_i32 s0, s0, s1
	s_lshl_b32 s0, s0, 1
	v_lshlrev_b32_e32 v1, 3, v0
	s_and_b32 s22, s0, -4
	v_cmp_gt_i32_e64 s[0:1], s7, v1
	v_mov_b32_e32 v10, 0
	v_mov_b32_e32 v2, 0
	;; [unrolled: 1-line block ×9, first 2 shown]
	s_and_saveexec_b64 s[10:11], s[0:1]
	s_cbranch_execz .LBB239_3
; %bb.2:
	s_load_dwordx2 s[20:21], s[4:5], 0x28
	s_load_dwordx2 s[24:25], s[4:5], 0x40
	s_and_b64 s[28:29], vcc, exec
	s_cselect_b32 s14, s17, s18
	s_mov_b32 s23, 0x20000
	s_waitcnt lgkmcnt(0)
	s_cselect_b32 s17, s21, s27
	s_cselect_b32 s19, s20, s26
	s_mul_hi_i32 s21, s14, s6
	s_mul_i32 s20, s14, s6
	s_lshl_b64 s[20:21], s[20:21], 1
	s_add_u32 s28, s19, s20
	s_addc_u32 s14, s17, s21
	s_and_b64 s[20:21], vcc, exec
	s_cselect_b32 s20, s24, s8
	s_cselect_b32 s17, s25, s9
	v_lshlrev_b32_e32 v11, 4, v0
	s_and_b32 s29, s14, 0xffff
	s_mov_b32 s30, s22
	s_mov_b32 s31, s23
	s_and_b32 s21, s17, 0xffff
	buffer_load_dwordx4 v[6:9], v11, s[28:31], 0 offen glc slc
	buffer_load_dwordx4 v[2:5], v11, s[20:23], 0 offen
.LBB239_3:
	s_or_b64 exec, exec, s[10:11]
	v_mov_b32_e32 v11, 0
	v_mov_b32_e32 v16, 0
	;; [unrolled: 1-line block ×7, first 2 shown]
	s_and_saveexec_b64 s[10:11], s[0:1]
	s_cbranch_execz .LBB239_5
; %bb.4:
	s_waitcnt vmcnt(1)
	v_cvt_f32_f16_sdwa v11, v6 dst_sel:DWORD dst_unused:UNUSED_PAD src0_sel:WORD_1
	v_cvt_f32_f16_e32 v10, v6
	v_cvt_f32_f16_sdwa v17, v7 dst_sel:DWORD dst_unused:UNUSED_PAD src0_sel:WORD_1
	v_cvt_f32_f16_e32 v16, v7
	;; [unrolled: 2-line block ×4, first 2 shown]
.LBB239_5:
	s_or_b64 exec, exec, s[10:11]
	s_waitcnt vmcnt(1)
	v_mul_f32_e32 v6, v11, v11
	v_fmac_f32_e32 v6, v10, v10
	v_fmac_f32_e32 v6, v16, v16
	;; [unrolled: 1-line block ×7, first 2 shown]
	v_bfrev_b32_e32 v8, 0.5
	s_load_dwordx2 s[24:25], s[4:5], 0x18
	v_mov_b32_dpp v7, v6 quad_perm:[1,0,3,2] row_mask:0xf bank_mask:0xf
	v_add_f32_e32 v6, v6, v7
	s_nop 1
	v_mov_b32_dpp v7, v6 quad_perm:[2,3,0,1] row_mask:0xf bank_mask:0xf
	v_add_f32_e32 v6, v6, v7
	s_nop 1
	v_mov_b32_dpp v7, v6 row_half_mirror row_mask:0xf bank_mask:0xf
	v_add_f32_e32 v6, v6, v7
	s_nop 1
	v_mov_b32_dpp v7, v6 row_mirror row_mask:0xf bank_mask:0xf
	v_add_f32_e32 v6, v6, v7
	s_nop 1
	v_mov_b32_dpp v7, v6 row_bcast:15 row_mask:0xf bank_mask:0xf
	v_add_f32_e32 v6, v6, v7
	s_nop 1
	v_mov_b32_dpp v7, v6 row_bcast:31 row_mask:0xf bank_mask:0xf
	v_add_f32_e32 v6, v6, v7
	v_mbcnt_lo_u32_b32 v7, -1, 0
	v_mbcnt_hi_u32_b32 v7, -1, v7
	v_lshl_or_b32 v18, v7, 2, v8
	ds_bpermute_b32 v6, v18, v6
	s_and_saveexec_b64 s[10:11], s[0:1]
	s_cbranch_execz .LBB239_7
; %bb.6:
	v_cvt_f32_u32_e32 v7, s7
	v_mov_b32_e32 v8, s13
	v_mov_b32_e32 v9, s12
	v_cndmask_b32_e32 v8, v8, v9, vcc
	s_waitcnt lgkmcnt(0)
	v_div_scale_f32 v19, s[20:21], v7, v7, v6
	v_rcp_f32_e32 v20, v19
	v_div_scale_f32 v9, vcc, v6, v7, v6
	s_mov_b32 s7, 0x800000
	v_fma_f32 v21, -v19, v20, 1.0
	v_fmac_f32_e32 v20, v21, v20
	v_mul_f32_e32 v21, v9, v20
	v_fma_f32 v22, -v19, v21, v9
	v_fmac_f32_e32 v21, v22, v20
	v_fma_f32 v9, -v19, v21, v9
	v_div_fmas_f32 v9, v9, v20, v21
	v_div_fixup_f32 v6, v9, v7, v6
	v_add_f32_e32 v6, v8, v6
	v_mul_f32_e32 v7, 0x4b800000, v6
	v_cmp_gt_f32_e32 vcc, s7, v6
	v_cndmask_b32_e32 v6, v6, v7, vcc
	v_rsq_f32_e32 v6, v6
	s_waitcnt vmcnt(0)
	v_cvt_f32_f16_sdwa v21, v5 dst_sel:DWORD dst_unused:UNUSED_PAD src0_sel:WORD_1
	v_cvt_f32_f16_e32 v20, v5
	v_mul_f32_e32 v7, 0x45800000, v6
	v_cndmask_b32_e32 v6, v6, v7, vcc
	v_mov_b32_e32 v7, v6
	;;#ASMSTART
	v_pk_mul_f32 v[8:9], v[10:11], v[6:7]
	;;#ASMEND
	;;#ASMSTART
	v_pk_mul_f32 v[16:17], v[16:17], v[6:7]
	;;#ASMEND
	;; [unrolled: 3-line block ×4, first 2 shown]
	v_cvt_f32_f16_sdwa v11, v2 dst_sel:DWORD dst_unused:UNUSED_PAD src0_sel:WORD_1
	v_cvt_f32_f16_e32 v10, v2
	v_cvt_f32_f16_sdwa v15, v3 dst_sel:DWORD dst_unused:UNUSED_PAD src0_sel:WORD_1
	v_cvt_f32_f16_e32 v14, v3
	;; [unrolled: 2-line block ×3, first 2 shown]
	;;#ASMSTART
	v_pk_mul_f32 v[10:11], v[8:9], v[10:11]
	;;#ASMEND
	;;#ASMSTART
	v_pk_mul_f32 v[16:17], v[16:17], v[14:15]
	;;#ASMEND
	;; [unrolled: 3-line block ×4, first 2 shown]
.LBB239_7:
	s_or_b64 exec, exec, s[10:11]
	s_load_dword s7, s[4:5], 0x80
	s_mov_b64 s[10:11], -1
	s_and_b64 vcc, exec, s[2:3]
	s_cbranch_vccnz .LBB239_11
; %bb.8:
	s_andn2_b64 vcc, exec, s[10:11]
	s_cbranch_vccz .LBB239_14
.LBB239_9:
	s_cmp_lt_i32 s16, 1
	s_cbranch_scc0 .LBB239_21
.LBB239_10:
	s_endpgm
.LBB239_11:
	s_and_saveexec_b64 s[2:3], s[0:1]
	s_cbranch_execz .LBB239_13
; %bb.12:
	s_waitcnt lgkmcnt(0)
	s_mul_hi_i32 s11, s7, s6
	s_mul_i32 s10, s7, s6
	s_waitcnt vmcnt(0)
	v_cvt_f16_f32_e32 v2, v10
	v_cvt_f16_f32_e32 v3, v16
	v_cvt_f16_f32_e32 v4, v12
	v_cvt_f16_f32_e32 v5, v14
	v_cvt_f16_f32_e32 v6, v15
	v_cvt_f16_f32_e32 v7, v13
	v_cvt_f16_f32_e32 v8, v17
	v_cvt_f16_f32_e32 v9, v11
	s_lshl_b64 s[10:11], s[10:11], 1
	s_add_u32 s20, s24, s10
	s_addc_u32 s10, s25, s11
	s_and_b32 s21, s10, 0xffff
	s_mov_b32 s23, 0x20000
	v_pack_b32_f16 v5, v5, v6
	v_pack_b32_f16 v4, v4, v7
	;; [unrolled: 1-line block ×4, first 2 shown]
	v_lshlrev_b32_e32 v6, 4, v0
	buffer_store_dwordx4 v[2:5], v6, s[20:23], 0 offen
	;;#ASMSTART
	s_nop 0
	;;#ASMEND
.LBB239_13:
	s_or_b64 exec, exec, s[2:3]
	s_cbranch_execnz .LBB239_9
.LBB239_14:
	s_waitcnt vmcnt(0)
	v_mov_b32_e32 v2, 0
	s_and_saveexec_b64 s[2:3], s[0:1]
	s_cbranch_execz .LBB239_16
; %bb.15:
	v_and_b32_e32 v2, 0x7fffffff, v10
	v_and_b32_e32 v3, 0x7fffffff, v11
	v_mov_b32_e32 v4, 0x2edbe6ff
	;;#ASMSTART
	v_max3_f32 v2, v4, v2, v3

	;;#ASMEND
	v_and_b32_e32 v3, 0x7fffffff, v16
	v_and_b32_e32 v4, 0x7fffffff, v17
	;;#ASMSTART
	v_max3_f32 v2, v2, v3, v4

	;;#ASMEND
	v_and_b32_e32 v3, 0x7fffffff, v12
	v_and_b32_e32 v4, 0x7fffffff, v13
	;; [unrolled: 6-line block ×3, first 2 shown]
	;;#ASMSTART
	v_max3_f32 v2, v2, v3, v4

	;;#ASMEND
.LBB239_16:
	s_or_b64 exec, exec, s[2:3]
	s_load_dwordx4 s[20:23], s[4:5], 0x70
	;;#ASMSTART
	v_max_f32 v3, v2, v2 quad_perm:[1,0,3,2] row_mask:0xf bank_mask:0xf bound_ctrl:1
	;;#ASMEND
	;;#ASMSTART
	v_max_f32 v2, v3, v3 quad_perm:[2,3,0,1] row_mask:0xf bank_mask:0xf bound_ctrl:1
	;;#ASMEND
	v_and_b32_e32 v3, 3, v0
	v_cmp_eq_u32_e32 vcc, 0, v3
	v_cmp_gt_i32_e64 s[2:3], s15, v1
	s_and_b64 s[10:11], vcc, s[2:3]
	s_and_saveexec_b64 s[2:3], s[10:11]
	s_cbranch_execz .LBB239_18
; %bb.17:
	s_load_dwordx2 s[10:11], s[4:5], 0x8
	v_mul_f32_e32 v2, 0x3e2aaaab, v2
	v_lshrrev_b32_e32 v3, 23, v2
	v_and_b32_e32 v4, 0x7f800000, v2
	v_and_b32_e32 v2, 0x7fffff, v2
	v_cmp_ne_u32_e32 vcc, 0, v2
	s_waitcnt lgkmcnt(0)
	s_mul_i32 s17, s21, s6
	s_mov_b32 s12, 0x7f800000
	v_addc_co_u32_e32 v2, vcc, 0, v3, vcc
	s_mul_hi_i32 s14, s21, s6
	s_add_u32 s10, s10, s17
	v_cmp_ne_u32_e32 vcc, s12, v4
	s_addc_u32 s11, s11, s14
	v_lshrrev_b32_e32 v5, 2, v0
	v_cndmask_b32_e32 v4, -1, v2, vcc
	v_pk_mov_b32 v[2:3], s[10:11], s[10:11] op_sel:[0,1]
	v_mad_i64_i32 v[2:3], s[10:11], s22, v5, v[2:3]
	global_store_byte v[2:3], v4, off
.LBB239_18:
	s_or_b64 exec, exec, s[2:3]
	s_and_saveexec_b64 s[2:3], s[0:1]
	s_cbranch_execz .LBB239_20
; %bb.19:
	s_load_dwordx2 s[0:1], s[4:5], 0x0
	s_waitcnt lgkmcnt(0)
	s_mul_i32 s11, s20, s6
	s_mul_hi_i32 s10, s20, s6
	v_lshlrev_b32_e32 v2, 2, v0
	s_mov_b32 s23, 0x20000
	s_add_u32 s20, s0, s11
	s_addc_u32 s0, s1, s10
	s_lshr_b32 s1, s15, 31
	s_add_i32 s1, s15, s1
	s_ashr_i32 s1, s1, 1
	s_add_i32 s1, s1, 3
	s_ashr_i32 s10, s1, 31
	s_lshr_b32 s10, s10, 30
	s_add_i32 s1, s1, s10
	s_and_b32 s22, s1, -4
	s_and_b32 s21, s0, 0xffff
	v_mov_b32_e32 v3, 0
	buffer_store_dword v3, v2, s[20:23], 0 offen
	;;#ASMSTART
	s_nop 0
	;;#ASMEND
.LBB239_20:
	s_or_b64 exec, exec, s[2:3]
	s_cmp_lt_i32 s16, 1
	s_cbranch_scc1 .LBB239_10
.LBB239_21:
	s_load_dword s0, s[4:5], 0x94
	s_waitcnt lgkmcnt(0)
	s_cmp_lg_u32 s0, 1
	s_cbranch_scc1 .LBB239_10
; %bb.22:
	s_lshl_b32 s0, s16, 1
	s_add_i32 s0, s0, 2
	v_cmp_gt_u32_e32 vcc, s16, v1
	s_and_b32 s10, s0, -4
	v_mov_b32_e32 v8, 0
	v_lshlrev_b32_e32 v16, 4, v0
	s_waitcnt vmcnt(0)
	v_mov_b32_e32 v4, 0
	v_mov_b32_e32 v5, 0
	;; [unrolled: 1-line block ×8, first 2 shown]
	s_barrier
	s_and_saveexec_b64 s[0:1], vcc
	s_cbranch_execz .LBB239_24
; %bb.23:
	s_mul_hi_i32 s3, s18, s6
	s_mul_i32 s2, s18, s6
	s_and_b32 s9, s9, 0xffff
	s_lshl_b64 s[2:3], s[2:3], 1
	s_add_u32 s20, s26, s2
	s_mov_b32 s11, 0x20000
	s_addc_u32 s2, s27, s3
	s_and_b32 s21, s2, 0xffff
	s_mov_b32 s22, s10
	s_mov_b32 s23, s11
	buffer_load_dwordx4 v[4:7], v16, s[20:23], 0 offen glc slc
	buffer_load_dwordx4 v[0:3], v16, s[8:11], 0 offen
.LBB239_24:
	s_or_b64 exec, exec, s[0:1]
	v_mov_b32_e32 v9, 0
	v_mov_b32_e32 v14, 0
	;; [unrolled: 1-line block ×7, first 2 shown]
	s_and_saveexec_b64 s[0:1], vcc
	s_cbranch_execz .LBB239_26
; %bb.25:
	s_waitcnt vmcnt(1)
	v_cvt_f32_f16_sdwa v9, v4 dst_sel:DWORD dst_unused:UNUSED_PAD src0_sel:WORD_1
	v_cvt_f32_f16_e32 v8, v4
	v_cvt_f32_f16_sdwa v15, v5 dst_sel:DWORD dst_unused:UNUSED_PAD src0_sel:WORD_1
	v_cvt_f32_f16_e32 v14, v5
	;; [unrolled: 2-line block ×4, first 2 shown]
.LBB239_26:
	s_or_b64 exec, exec, s[0:1]
	s_waitcnt vmcnt(1)
	v_mul_f32_e32 v4, v9, v9
	v_fmac_f32_e32 v4, v8, v8
	v_fmac_f32_e32 v4, v14, v14
	;; [unrolled: 1-line block ×7, first 2 shown]
	s_nop 1
	v_mov_b32_dpp v5, v4 quad_perm:[1,0,3,2] row_mask:0xf bank_mask:0xf
	v_add_f32_e32 v4, v4, v5
	s_nop 1
	v_mov_b32_dpp v5, v4 quad_perm:[2,3,0,1] row_mask:0xf bank_mask:0xf
	v_add_f32_e32 v4, v4, v5
	s_nop 1
	v_mov_b32_dpp v5, v4 row_half_mirror row_mask:0xf bank_mask:0xf
	v_add_f32_e32 v4, v4, v5
	s_nop 1
	v_mov_b32_dpp v5, v4 row_mirror row_mask:0xf bank_mask:0xf
	v_add_f32_e32 v4, v4, v5
	s_nop 1
	v_mov_b32_dpp v5, v4 row_bcast:15 row_mask:0xf bank_mask:0xf
	v_add_f32_e32 v4, v4, v5
	s_nop 1
	v_mov_b32_dpp v5, v4 row_bcast:31 row_mask:0xf bank_mask:0xf
	v_add_f32_e32 v4, v4, v5
	ds_bpermute_b32 v4, v18, v4
	s_and_saveexec_b64 s[0:1], vcc
	s_cbranch_execz .LBB239_10
; %bb.27:
	v_cvt_f32_u32_e32 v5, s16
	s_mov_b32 s11, 0x20000
	s_waitcnt lgkmcnt(0)
	v_div_scale_f32 v6, s[0:1], v5, v5, v4
	v_rcp_f32_e32 v7, v6
	v_div_scale_f32 v17, vcc, v4, v5, v4
	s_mov_b32 s0, 0x800000
	v_fma_f32 v18, -v6, v7, 1.0
	v_fmac_f32_e32 v7, v18, v7
	v_mul_f32_e32 v18, v17, v7
	v_fma_f32 v19, -v6, v18, v17
	v_fmac_f32_e32 v18, v19, v7
	v_fma_f32 v6, -v6, v18, v17
	v_div_fmas_f32 v6, v6, v7, v18
	v_div_fixup_f32 v4, v6, v5, v4
	v_add_f32_e32 v4, s13, v4
	v_mul_f32_e32 v5, 0x4b800000, v4
	v_cmp_gt_f32_e32 vcc, s0, v4
	v_cndmask_b32_e32 v4, v4, v5, vcc
	v_rsq_f32_e32 v4, v4
	s_waitcnt vmcnt(0)
	v_cvt_f32_f16_sdwa v19, v3 dst_sel:DWORD dst_unused:UNUSED_PAD src0_sel:WORD_1
	v_cvt_f32_f16_e32 v18, v3
	s_mul_hi_i32 s1, s7, s6
	v_mul_f32_e32 v5, 0x45800000, v4
	v_cndmask_b32_e32 v4, v4, v5, vcc
	v_mov_b32_e32 v5, v4
	;;#ASMSTART
	v_pk_mul_f32 v[6:7], v[8:9], v[4:5]
	;;#ASMEND
	;;#ASMSTART
	v_pk_mul_f32 v[8:9], v[14:15], v[4:5]
	;;#ASMEND
	;; [unrolled: 3-line block ×4, first 2 shown]
	v_cvt_f32_f16_sdwa v11, v0 dst_sel:DWORD dst_unused:UNUSED_PAD src0_sel:WORD_1
	v_cvt_f32_f16_e32 v10, v0
	v_cvt_f32_f16_sdwa v15, v1 dst_sel:DWORD dst_unused:UNUSED_PAD src0_sel:WORD_1
	v_cvt_f32_f16_e32 v14, v1
	;; [unrolled: 2-line block ×3, first 2 shown]
	;;#ASMSTART
	v_pk_mul_f32 v[2:3], v[6:7], v[10:11]
	;;#ASMEND
	;;#ASMSTART
	v_pk_mul_f32 v[6:7], v[8:9], v[14:15]
	;;#ASMEND
	;; [unrolled: 3-line block ×4, first 2 shown]
	s_mul_i32 s0, s7, s6
	v_cvt_f16_f32_e32 v2, v2
	v_cvt_f16_f32_e32 v3, v3
	;; [unrolled: 1-line block ×8, first 2 shown]
	s_lshl_b64 s[0:1], s[0:1], 1
	s_add_u32 s8, s24, s0
	s_addc_u32 s0, s25, s1
	s_and_b32 s9, s0, 0xffff
	v_pack_b32_f16 v0, v2, v3
	v_pack_b32_f16 v1, v6, v7
	v_pack_b32_f16 v2, v8, v9
	v_pack_b32_f16 v3, v4, v5
	buffer_store_dwordx4 v[0:3], v16, s[8:11], 0 offen
	;;#ASMSTART
	s_nop 0
	;;#ASMEND
	s_endpgm
	.section	.rodata,"a",@progbits
	.p2align	6, 0x0
	.amdhsa_kernel _ZN5aiter35fused_qk_rmsnorm_group_quant_kernelIDF16_N4opus5fp4_tELi64ELi8ELi4ELb0ELb0ELb0ELb0ELb0ELb0EEEvPT0_PvPT_S7_S7_PKS6_S9_S9_S9_S9_ffiiiiiiiiiiiii
		.amdhsa_group_segment_fixed_size 0
		.amdhsa_private_segment_fixed_size 0
		.amdhsa_kernarg_size 400
		.amdhsa_user_sgpr_count 6
		.amdhsa_user_sgpr_private_segment_buffer 1
		.amdhsa_user_sgpr_dispatch_ptr 0
		.amdhsa_user_sgpr_queue_ptr 0
		.amdhsa_user_sgpr_kernarg_segment_ptr 1
		.amdhsa_user_sgpr_dispatch_id 0
		.amdhsa_user_sgpr_flat_scratch_init 0
		.amdhsa_user_sgpr_kernarg_preload_length 0
		.amdhsa_user_sgpr_kernarg_preload_offset 0
		.amdhsa_user_sgpr_private_segment_size 0
		.amdhsa_uses_dynamic_stack 0
		.amdhsa_system_sgpr_private_segment_wavefront_offset 0
		.amdhsa_system_sgpr_workgroup_id_x 1
		.amdhsa_system_sgpr_workgroup_id_y 1
		.amdhsa_system_sgpr_workgroup_id_z 0
		.amdhsa_system_sgpr_workgroup_info 0
		.amdhsa_system_vgpr_workitem_id 0
		.amdhsa_next_free_vgpr 23
		.amdhsa_next_free_sgpr 32
		.amdhsa_accum_offset 24
		.amdhsa_reserve_vcc 1
		.amdhsa_reserve_flat_scratch 0
		.amdhsa_float_round_mode_32 0
		.amdhsa_float_round_mode_16_64 0
		.amdhsa_float_denorm_mode_32 3
		.amdhsa_float_denorm_mode_16_64 3
		.amdhsa_dx10_clamp 1
		.amdhsa_ieee_mode 1
		.amdhsa_fp16_overflow 0
		.amdhsa_tg_split 0
		.amdhsa_exception_fp_ieee_invalid_op 0
		.amdhsa_exception_fp_denorm_src 0
		.amdhsa_exception_fp_ieee_div_zero 0
		.amdhsa_exception_fp_ieee_overflow 0
		.amdhsa_exception_fp_ieee_underflow 0
		.amdhsa_exception_fp_ieee_inexact 0
		.amdhsa_exception_int_div_zero 0
	.end_amdhsa_kernel
	.section	.text._ZN5aiter35fused_qk_rmsnorm_group_quant_kernelIDF16_N4opus5fp4_tELi64ELi8ELi4ELb0ELb0ELb0ELb0ELb0ELb0EEEvPT0_PvPT_S7_S7_PKS6_S9_S9_S9_S9_ffiiiiiiiiiiiii,"axG",@progbits,_ZN5aiter35fused_qk_rmsnorm_group_quant_kernelIDF16_N4opus5fp4_tELi64ELi8ELi4ELb0ELb0ELb0ELb0ELb0ELb0EEEvPT0_PvPT_S7_S7_PKS6_S9_S9_S9_S9_ffiiiiiiiiiiiii,comdat
.Lfunc_end239:
	.size	_ZN5aiter35fused_qk_rmsnorm_group_quant_kernelIDF16_N4opus5fp4_tELi64ELi8ELi4ELb0ELb0ELb0ELb0ELb0ELb0EEEvPT0_PvPT_S7_S7_PKS6_S9_S9_S9_S9_ffiiiiiiiiiiiii, .Lfunc_end239-_ZN5aiter35fused_qk_rmsnorm_group_quant_kernelIDF16_N4opus5fp4_tELi64ELi8ELi4ELb0ELb0ELb0ELb0ELb0ELb0EEEvPT0_PvPT_S7_S7_PKS6_S9_S9_S9_S9_ffiiiiiiiiiiiii
                                        ; -- End function
	.section	.AMDGPU.csdata,"",@progbits
; Kernel info:
; codeLenInByte = 2164
; NumSgprs: 36
; NumVgprs: 23
; NumAgprs: 0
; TotalNumVgprs: 23
; ScratchSize: 0
; MemoryBound: 0
; FloatMode: 240
; IeeeMode: 1
; LDSByteSize: 0 bytes/workgroup (compile time only)
; SGPRBlocks: 4
; VGPRBlocks: 2
; NumSGPRsForWavesPerEU: 36
; NumVGPRsForWavesPerEU: 23
; AccumOffset: 24
; Occupancy: 8
; WaveLimiterHint : 0
; COMPUTE_PGM_RSRC2:SCRATCH_EN: 0
; COMPUTE_PGM_RSRC2:USER_SGPR: 6
; COMPUTE_PGM_RSRC2:TRAP_HANDLER: 0
; COMPUTE_PGM_RSRC2:TGID_X_EN: 1
; COMPUTE_PGM_RSRC2:TGID_Y_EN: 1
; COMPUTE_PGM_RSRC2:TGID_Z_EN: 0
; COMPUTE_PGM_RSRC2:TIDIG_COMP_CNT: 0
; COMPUTE_PGM_RSRC3_GFX90A:ACCUM_OFFSET: 5
; COMPUTE_PGM_RSRC3_GFX90A:TG_SPLIT: 0
	.section	.text._ZN5aiter35fused_qk_rmsnorm_group_quant_kernelItN4opus5fp4_tELi64ELi8ELi4ELb0ELb0ELb0ELb0ELb0ELb0EEEvPT0_PvPT_S7_S7_PKS6_S9_S9_S9_S9_ffiiiiiiiiiiiii,"axG",@progbits,_ZN5aiter35fused_qk_rmsnorm_group_quant_kernelItN4opus5fp4_tELi64ELi8ELi4ELb0ELb0ELb0ELb0ELb0ELb0EEEvPT0_PvPT_S7_S7_PKS6_S9_S9_S9_S9_ffiiiiiiiiiiiii,comdat
	.protected	_ZN5aiter35fused_qk_rmsnorm_group_quant_kernelItN4opus5fp4_tELi64ELi8ELi4ELb0ELb0ELb0ELb0ELb0ELb0EEEvPT0_PvPT_S7_S7_PKS6_S9_S9_S9_S9_ffiiiiiiiiiiiii ; -- Begin function _ZN5aiter35fused_qk_rmsnorm_group_quant_kernelItN4opus5fp4_tELi64ELi8ELi4ELb0ELb0ELb0ELb0ELb0ELb0EEEvPT0_PvPT_S7_S7_PKS6_S9_S9_S9_S9_ffiiiiiiiiiiiii
	.globl	_ZN5aiter35fused_qk_rmsnorm_group_quant_kernelItN4opus5fp4_tELi64ELi8ELi4ELb0ELb0ELb0ELb0ELb0ELb0EEEvPT0_PvPT_S7_S7_PKS6_S9_S9_S9_S9_ffiiiiiiiiiiiii
	.p2align	8
	.type	_ZN5aiter35fused_qk_rmsnorm_group_quant_kernelItN4opus5fp4_tELi64ELi8ELi4ELb0ELb0ELb0ELb0ELb0ELb0EEEvPT0_PvPT_S7_S7_PKS6_S9_S9_S9_S9_ffiiiiiiiiiiiii,@function
_ZN5aiter35fused_qk_rmsnorm_group_quant_kernelItN4opus5fp4_tELi64ELi8ELi4ELb0ELb0ELb0ELb0ELb0ELb0EEEvPT0_PvPT_S7_S7_PKS6_S9_S9_S9_S9_ffiiiiiiiiiiiii: ; @_ZN5aiter35fused_qk_rmsnorm_group_quant_kernelItN4opus5fp4_tELi64ELi8ELi4ELb0ELb0ELb0ELb0ELb0ELb0EEEvPT0_PvPT_S7_S7_PKS6_S9_S9_S9_S9_ffiiiiiiiiiiiii
; %bb.0:
	s_load_dwordx4 s[12:15], s[4:5], 0x50
	s_waitcnt lgkmcnt(0)
	s_cmp_ge_i32 s6, s14
	s_cbranch_scc1 .LBB240_8
; %bb.1:
	s_load_dwordx2 s[8:9], s[4:5], 0x48
	s_load_dwordx2 s[26:27], s[4:5], 0x30
	s_load_dwordx4 s[16:19], s[4:5], 0x60
	s_cmp_lg_u32 s7, 0
	s_cselect_b64 s[2:3], -1, 0
	s_cmp_eq_u32 s7, 0
	s_cselect_b64 vcc, -1, 0
	s_and_b64 s[0:1], vcc, exec
	s_waitcnt lgkmcnt(0)
	s_cselect_b32 s7, s15, s16
	s_add_i32 s0, s7, 1
	s_lshr_b32 s1, s0, 31
	s_add_i32 s0, s0, s1
	s_lshl_b32 s0, s0, 1
	v_lshlrev_b32_e32 v1, 3, v0
	s_and_b32 s22, s0, -4
	v_cmp_gt_i32_e64 s[0:1], s7, v1
	v_mov_b32_e32 v2, 0
	v_mov_b32_e32 v3, 0
	;; [unrolled: 1-line block ×8, first 2 shown]
	s_and_saveexec_b64 s[10:11], s[0:1]
	s_cbranch_execz .LBB240_3
; %bb.2:
	s_load_dwordx2 s[20:21], s[4:5], 0x28
	s_load_dwordx2 s[24:25], s[4:5], 0x40
	s_and_b64 s[28:29], vcc, exec
	s_cselect_b32 s14, s17, s18
	s_mov_b32 s23, 0x20000
	s_waitcnt lgkmcnt(0)
	s_cselect_b32 s17, s21, s27
	s_cselect_b32 s19, s20, s26
	s_mul_hi_i32 s21, s14, s6
	s_mul_i32 s20, s14, s6
	s_lshl_b64 s[20:21], s[20:21], 1
	s_add_u32 s28, s19, s20
	s_addc_u32 s14, s17, s21
	s_and_b64 s[20:21], vcc, exec
	s_cselect_b32 s20, s24, s8
	s_cselect_b32 s17, s25, s9
	v_lshlrev_b32_e32 v10, 4, v0
	s_and_b32 s29, s14, 0xffff
	s_mov_b32 s30, s22
	s_mov_b32 s31, s23
	s_and_b32 s21, s17, 0xffff
	buffer_load_dwordx4 v[6:9], v10, s[28:31], 0 offen glc slc
	buffer_load_dwordx4 v[2:5], v10, s[20:23], 0 offen
.LBB240_3:
	s_or_b64 exec, exec, s[10:11]
	s_waitcnt vmcnt(1)
	v_cvt_f32_u32_sdwa v13, v6 dst_sel:DWORD dst_unused:UNUSED_PAD src0_sel:WORD_1
	v_cvt_f32_u32_sdwa v12, v6 dst_sel:DWORD dst_unused:UNUSED_PAD src0_sel:WORD_0
	v_cvt_f32_u32_sdwa v6, v9 dst_sel:DWORD dst_unused:UNUSED_PAD src0_sel:WORD_1
	v_cvt_f32_u32_sdwa v9, v9 dst_sel:DWORD dst_unused:UNUSED_PAD src0_sel:WORD_0
	;; [unrolled: 2-line block ×4, first 2 shown]
	v_cndmask_b32_e64 v13, 0, v13, s[0:1]
	v_cndmask_b32_e64 v7, 0, v6, s[0:1]
	;; [unrolled: 1-line block ×5, first 2 shown]
	v_mul_f32_e32 v14, v13, v13
	v_cndmask_b32_e64 v10, 0, v10, s[0:1]
	v_fmac_f32_e32 v14, v12, v12
	v_cndmask_b32_e64 v11, 0, v11, s[0:1]
	v_fmac_f32_e32 v14, v10, v10
	;; [unrolled: 2-line block ×3, first 2 shown]
	v_fmac_f32_e32 v14, v8, v8
	v_fmac_f32_e32 v14, v9, v9
	;; [unrolled: 1-line block ×4, first 2 shown]
	v_bfrev_b32_e32 v16, 0.5
	s_load_dwordx2 s[24:25], s[4:5], 0x18
	v_mov_b32_dpp v15, v14 quad_perm:[1,0,3,2] row_mask:0xf bank_mask:0xf
	v_add_f32_e32 v14, v14, v15
	s_nop 1
	v_mov_b32_dpp v15, v14 quad_perm:[2,3,0,1] row_mask:0xf bank_mask:0xf
	v_add_f32_e32 v14, v14, v15
	s_nop 1
	v_mov_b32_dpp v15, v14 row_half_mirror row_mask:0xf bank_mask:0xf
	v_add_f32_e32 v14, v14, v15
	s_nop 1
	v_mov_b32_dpp v15, v14 row_mirror row_mask:0xf bank_mask:0xf
	v_add_f32_e32 v14, v14, v15
	s_nop 1
	v_mov_b32_dpp v15, v14 row_bcast:15 row_mask:0xf bank_mask:0xf
	v_add_f32_e32 v14, v14, v15
	s_nop 1
	v_mov_b32_dpp v15, v14 row_bcast:31 row_mask:0xf bank_mask:0xf
	v_add_f32_e32 v15, v14, v15
	v_mbcnt_lo_u32_b32 v14, -1, 0
	v_mbcnt_hi_u32_b32 v14, -1, v14
	v_lshl_or_b32 v14, v14, 2, v16
	ds_bpermute_b32 v15, v14, v15
	s_and_saveexec_b64 s[10:11], s[0:1]
	s_cbranch_execz .LBB240_5
; %bb.4:
	v_cvt_f32_u32_e32 v16, s7
	v_mov_b32_e32 v17, s13
	v_mov_b32_e32 v18, s12
	v_cndmask_b32_e32 v17, v17, v18, vcc
	s_waitcnt lgkmcnt(0)
	v_div_scale_f32 v19, s[20:21], v16, v16, v15
	v_rcp_f32_e32 v20, v19
	v_div_scale_f32 v18, vcc, v15, v16, v15
	s_mov_b32 s7, 0x800000
	v_fma_f32 v21, -v19, v20, 1.0
	v_fmac_f32_e32 v20, v21, v20
	v_mul_f32_e32 v21, v18, v20
	v_fma_f32 v22, -v19, v21, v18
	v_fmac_f32_e32 v21, v22, v20
	v_fma_f32 v18, -v19, v21, v18
	v_div_fmas_f32 v18, v18, v20, v21
	v_div_fixup_f32 v15, v18, v16, v15
	v_add_f32_e32 v15, v17, v15
	v_mul_f32_e32 v16, 0x4b800000, v15
	v_cmp_gt_f32_e32 vcc, s7, v15
	v_cndmask_b32_e32 v15, v15, v16, vcc
	v_rsq_f32_e32 v15, v15
	s_waitcnt vmcnt(0)
	v_cvt_f32_u32_sdwa v19, v3 dst_sel:DWORD dst_unused:UNUSED_PAD src0_sel:WORD_1
	v_cvt_f32_u32_sdwa v18, v3 dst_sel:DWORD dst_unused:UNUSED_PAD src0_sel:WORD_0
	v_cvt_f32_u32_sdwa v3, v4 dst_sel:DWORD dst_unused:UNUSED_PAD src0_sel:WORD_1
	v_mul_f32_e32 v16, 0x45800000, v15
	v_cndmask_b32_e32 v16, v15, v16, vcc
	v_mov_b32_e32 v17, v16
	;;#ASMSTART
	v_pk_mul_f32 v[12:13], v[12:13], v[16:17]
	;;#ASMEND
	;;#ASMSTART
	v_pk_mul_f32 v[10:11], v[10:11], v[16:17]
	;;#ASMEND
	;; [unrolled: 3-line block ×4, first 2 shown]
	v_cvt_f32_u32_sdwa v17, v2 dst_sel:DWORD dst_unused:UNUSED_PAD src0_sel:WORD_1
	v_cvt_f32_u32_sdwa v16, v2 dst_sel:DWORD dst_unused:UNUSED_PAD src0_sel:WORD_0
	v_cvt_f32_u32_sdwa v2, v4 dst_sel:DWORD dst_unused:UNUSED_PAD src0_sel:WORD_0
	v_cvt_f32_u32_sdwa v21, v5 dst_sel:DWORD dst_unused:UNUSED_PAD src0_sel:WORD_1
	v_cvt_f32_u32_sdwa v20, v5 dst_sel:DWORD dst_unused:UNUSED_PAD src0_sel:WORD_0
	;;#ASMSTART
	v_pk_mul_f32 v[12:13], v[12:13], v[16:17]
	;;#ASMEND
	;;#ASMSTART
	v_pk_mul_f32 v[10:11], v[10:11], v[18:19]
	;;#ASMEND
	;; [unrolled: 3-line block ×4, first 2 shown]
.LBB240_5:
	s_or_b64 exec, exec, s[10:11]
	s_load_dword s7, s[4:5], 0x80
	s_mov_b64 s[10:11], -1
	s_and_b64 vcc, exec, s[2:3]
	s_cbranch_vccnz .LBB240_9
; %bb.6:
	s_andn2_b64 vcc, exec, s[10:11]
	s_cbranch_vccz .LBB240_12
.LBB240_7:
	s_cmp_lt_i32 s16, 1
	s_cbranch_scc0 .LBB240_19
.LBB240_8:
	s_endpgm
.LBB240_9:
	s_and_saveexec_b64 s[2:3], s[0:1]
	s_cbranch_execz .LBB240_11
; %bb.10:
	s_waitcnt lgkmcnt(0)
	s_mul_hi_i32 s11, s7, s6
	s_mul_i32 s10, s7, s6
	s_lshl_b64 s[10:11], s[10:11], 1
	s_add_u32 s20, s24, s10
	s_addc_u32 s10, s25, s11
	s_and_b32 s21, s10, 0xffff
	s_mov_b32 s10, 0x7060302
	s_mov_b32 s23, 0x20000
	s_waitcnt vmcnt(0)
	v_perm_b32 v2, v13, v12, s10
	v_perm_b32 v3, v11, v10, s10
	;; [unrolled: 1-line block ×4, first 2 shown]
	v_lshlrev_b32_e32 v15, 4, v0
	buffer_store_dwordx4 v[2:5], v15, s[20:23], 0 offen
	;;#ASMSTART
	s_nop 0
	;;#ASMEND
.LBB240_11:
	s_or_b64 exec, exec, s[2:3]
	s_cbranch_execnz .LBB240_7
.LBB240_12:
	s_waitcnt vmcnt(0)
	v_mov_b32_e32 v2, 0
	s_and_saveexec_b64 s[2:3], s[0:1]
	s_cbranch_execz .LBB240_14
; %bb.13:
	v_and_b32_e32 v2, 0x7fffffff, v12
	v_and_b32_e32 v3, 0x7fffffff, v13
	v_mov_b32_e32 v4, 0x2edbe6ff
	;;#ASMSTART
	v_max3_f32 v2, v4, v2, v3

	;;#ASMEND
	v_and_b32_e32 v3, 0x7fffffff, v10
	v_and_b32_e32 v4, 0x7fffffff, v11
	;;#ASMSTART
	v_max3_f32 v2, v2, v3, v4

	;;#ASMEND
	v_and_b32_e32 v3, 0x7fffffff, v8
	v_and_b32_e32 v4, 0x7fffffff, v9
	;; [unrolled: 6-line block ×3, first 2 shown]
	;;#ASMSTART
	v_max3_f32 v2, v2, v3, v4

	;;#ASMEND
.LBB240_14:
	s_or_b64 exec, exec, s[2:3]
	s_load_dwordx4 s[20:23], s[4:5], 0x70
	;;#ASMSTART
	v_max_f32 v3, v2, v2 quad_perm:[1,0,3,2] row_mask:0xf bank_mask:0xf bound_ctrl:1
	;;#ASMEND
	;;#ASMSTART
	v_max_f32 v2, v3, v3 quad_perm:[2,3,0,1] row_mask:0xf bank_mask:0xf bound_ctrl:1
	;;#ASMEND
	v_and_b32_e32 v3, 3, v0
	v_cmp_eq_u32_e32 vcc, 0, v3
	v_cmp_gt_i32_e64 s[2:3], s15, v1
	s_and_b64 s[10:11], vcc, s[2:3]
	s_and_saveexec_b64 s[2:3], s[10:11]
	s_cbranch_execz .LBB240_16
; %bb.15:
	s_load_dwordx2 s[10:11], s[4:5], 0x8
	v_mul_f32_e32 v2, 0x3e2aaaab, v2
	v_lshrrev_b32_e32 v3, 23, v2
	v_and_b32_e32 v4, 0x7f800000, v2
	v_and_b32_e32 v2, 0x7fffff, v2
	v_cmp_ne_u32_e32 vcc, 0, v2
	s_waitcnt lgkmcnt(0)
	s_mul_i32 s17, s21, s6
	s_mov_b32 s12, 0x7f800000
	v_addc_co_u32_e32 v2, vcc, 0, v3, vcc
	s_mul_hi_i32 s14, s21, s6
	s_add_u32 s10, s10, s17
	v_cmp_ne_u32_e32 vcc, s12, v4
	s_addc_u32 s11, s11, s14
	v_lshrrev_b32_e32 v5, 2, v0
	v_cndmask_b32_e32 v4, -1, v2, vcc
	v_pk_mov_b32 v[2:3], s[10:11], s[10:11] op_sel:[0,1]
	v_mad_i64_i32 v[2:3], s[10:11], s22, v5, v[2:3]
	global_store_byte v[2:3], v4, off
.LBB240_16:
	s_or_b64 exec, exec, s[2:3]
	s_and_saveexec_b64 s[2:3], s[0:1]
	s_cbranch_execz .LBB240_18
; %bb.17:
	s_load_dwordx2 s[0:1], s[4:5], 0x0
	s_waitcnt lgkmcnt(0)
	s_mul_i32 s11, s20, s6
	s_mul_hi_i32 s10, s20, s6
	v_lshlrev_b32_e32 v2, 2, v0
	s_mov_b32 s23, 0x20000
	s_add_u32 s20, s0, s11
	s_addc_u32 s0, s1, s10
	s_lshr_b32 s1, s15, 31
	s_add_i32 s1, s15, s1
	s_ashr_i32 s1, s1, 1
	s_add_i32 s1, s1, 3
	s_ashr_i32 s10, s1, 31
	s_lshr_b32 s10, s10, 30
	s_add_i32 s1, s1, s10
	s_and_b32 s22, s1, -4
	s_and_b32 s21, s0, 0xffff
	v_mov_b32_e32 v3, 0
	buffer_store_dword v3, v2, s[20:23], 0 offen
	;;#ASMSTART
	s_nop 0
	;;#ASMEND
.LBB240_18:
	s_or_b64 exec, exec, s[2:3]
	s_cmp_lt_i32 s16, 1
	s_cbranch_scc1 .LBB240_8
.LBB240_19:
	s_load_dword s0, s[4:5], 0x94
	s_waitcnt lgkmcnt(0)
	s_cmp_lg_u32 s0, 1
	s_cbranch_scc1 .LBB240_8
; %bb.20:
	s_lshl_b32 s0, s16, 1
	s_add_i32 s0, s0, 2
	v_cmp_gt_u32_e32 vcc, s16, v1
	s_and_b32 s10, s0, -4
	s_waitcnt vmcnt(0)
	v_mov_b32_e32 v4, 0
	v_lshlrev_b32_e32 v12, 4, v0
	v_mov_b32_e32 v5, 0
	v_mov_b32_e32 v6, 0
	;; [unrolled: 1-line block ×7, first 2 shown]
	s_barrier
	s_and_saveexec_b64 s[0:1], vcc
	s_cbranch_execz .LBB240_22
; %bb.21:
	s_mul_hi_i32 s3, s18, s6
	s_mul_i32 s2, s18, s6
	s_and_b32 s9, s9, 0xffff
	s_lshl_b64 s[2:3], s[2:3], 1
	s_add_u32 s20, s26, s2
	s_mov_b32 s11, 0x20000
	s_addc_u32 s2, s27, s3
	s_and_b32 s21, s2, 0xffff
	s_mov_b32 s22, s10
	s_mov_b32 s23, s11
	buffer_load_dwordx4 v[4:7], v12, s[20:23], 0 offen glc slc
	buffer_load_dwordx4 v[0:3], v12, s[8:11], 0 offen
.LBB240_22:
	s_or_b64 exec, exec, s[0:1]
	s_waitcnt vmcnt(1)
	v_cvt_f32_u32_sdwa v11, v4 dst_sel:DWORD dst_unused:UNUSED_PAD src0_sel:WORD_1
	v_cvt_f32_u32_sdwa v10, v4 dst_sel:DWORD dst_unused:UNUSED_PAD src0_sel:WORD_0
	v_cvt_f32_u32_sdwa v4, v7 dst_sel:DWORD dst_unused:UNUSED_PAD src0_sel:WORD_1
	v_cvt_f32_u32_sdwa v7, v7 dst_sel:DWORD dst_unused:UNUSED_PAD src0_sel:WORD_0
	;; [unrolled: 2-line block ×4, first 2 shown]
	v_cndmask_b32_e32 v11, 0, v11, vcc
	v_cndmask_b32_e32 v5, 0, v4, vcc
	;; [unrolled: 1-line block ×5, first 2 shown]
	v_mul_f32_e32 v13, v11, v11
	v_cndmask_b32_e32 v8, 0, v8, vcc
	v_fmac_f32_e32 v13, v10, v10
	v_cndmask_b32_e32 v9, 0, v9, vcc
	v_fmac_f32_e32 v13, v8, v8
	;; [unrolled: 2-line block ×3, first 2 shown]
	v_fmac_f32_e32 v13, v6, v6
	v_fmac_f32_e32 v13, v7, v7
	;; [unrolled: 1-line block ×4, first 2 shown]
	s_nop 1
	v_mov_b32_dpp v15, v13 quad_perm:[1,0,3,2] row_mask:0xf bank_mask:0xf
	v_add_f32_e32 v13, v13, v15
	s_nop 1
	v_mov_b32_dpp v15, v13 quad_perm:[2,3,0,1] row_mask:0xf bank_mask:0xf
	v_add_f32_e32 v13, v13, v15
	s_nop 1
	v_mov_b32_dpp v15, v13 row_half_mirror row_mask:0xf bank_mask:0xf
	v_add_f32_e32 v13, v13, v15
	s_nop 1
	v_mov_b32_dpp v15, v13 row_mirror row_mask:0xf bank_mask:0xf
	v_add_f32_e32 v13, v13, v15
	s_nop 1
	v_mov_b32_dpp v15, v13 row_bcast:15 row_mask:0xf bank_mask:0xf
	v_add_f32_e32 v13, v13, v15
	s_nop 1
	v_mov_b32_dpp v15, v13 row_bcast:31 row_mask:0xf bank_mask:0xf
	v_add_f32_e32 v13, v13, v15
	ds_bpermute_b32 v13, v14, v13
	s_and_saveexec_b64 s[0:1], vcc
	s_cbranch_execz .LBB240_8
; %bb.23:
	v_cvt_f32_u32_e32 v14, s16
	s_mov_b32 s11, 0x20000
	s_waitcnt lgkmcnt(0)
	v_div_scale_f32 v15, s[0:1], v14, v14, v13
	v_rcp_f32_e32 v16, v15
	v_div_scale_f32 v17, vcc, v13, v14, v13
	s_mov_b32 s0, 0x800000
	v_fma_f32 v18, -v15, v16, 1.0
	v_fmac_f32_e32 v16, v18, v16
	v_mul_f32_e32 v18, v17, v16
	v_fma_f32 v19, -v15, v18, v17
	v_fmac_f32_e32 v18, v19, v16
	v_fma_f32 v15, -v15, v18, v17
	v_div_fmas_f32 v15, v15, v16, v18
	v_div_fixup_f32 v13, v15, v14, v13
	v_add_f32_e32 v13, s13, v13
	v_mul_f32_e32 v14, 0x4b800000, v13
	v_cmp_gt_f32_e32 vcc, s0, v13
	v_cndmask_b32_e32 v13, v13, v14, vcc
	v_rsq_f32_e32 v13, v13
	s_mul_hi_i32 s1, s7, s6
	s_mul_i32 s0, s7, s6
	s_lshl_b64 s[0:1], s[0:1], 1
	v_mul_f32_e32 v14, 0x45800000, v13
	v_cndmask_b32_e32 v14, v13, v14, vcc
	s_add_u32 s8, s24, s0
	v_mov_b32_e32 v15, v14
	s_addc_u32 s0, s25, s1
	;;#ASMSTART
	v_pk_mul_f32 v[10:11], v[10:11], v[14:15]
	;;#ASMEND
	;;#ASMSTART
	v_pk_mul_f32 v[8:9], v[8:9], v[14:15]
	;;#ASMEND
	;; [unrolled: 3-line block ×4, first 2 shown]
	s_waitcnt vmcnt(0)
	v_cvt_f32_u32_sdwa v15, v0 dst_sel:DWORD dst_unused:UNUSED_PAD src0_sel:WORD_1
	v_cvt_f32_u32_sdwa v14, v0 dst_sel:DWORD dst_unused:UNUSED_PAD src0_sel:WORD_0
	v_cvt_f32_u32_sdwa v17, v1 dst_sel:DWORD dst_unused:UNUSED_PAD src0_sel:WORD_1
	v_cvt_f32_u32_sdwa v16, v1 dst_sel:DWORD dst_unused:UNUSED_PAD src0_sel:WORD_0
	;; [unrolled: 2-line block ×4, first 2 shown]
	;;#ASMSTART
	v_pk_mul_f32 v[2:3], v[10:11], v[14:15]
	;;#ASMEND
	s_and_b32 s9, s0, 0xffff
	s_mov_b32 s0, 0x7060302
	;;#ASMSTART
	v_pk_mul_f32 v[8:9], v[8:9], v[16:17]
	;;#ASMEND
	;;#ASMSTART
	v_pk_mul_f32 v[6:7], v[6:7], v[0:1]
	;;#ASMEND
	;;#ASMSTART
	v_pk_mul_f32 v[4:5], v[4:5], v[18:19]
	;;#ASMEND
	v_perm_b32 v0, v3, v2, s0
	v_perm_b32 v1, v9, v8, s0
	v_perm_b32 v2, v7, v6, s0
	v_perm_b32 v3, v5, v4, s0
	buffer_store_dwordx4 v[0:3], v12, s[8:11], 0 offen
	;;#ASMSTART
	s_nop 0
	;;#ASMEND
	s_endpgm
	.section	.rodata,"a",@progbits
	.p2align	6, 0x0
	.amdhsa_kernel _ZN5aiter35fused_qk_rmsnorm_group_quant_kernelItN4opus5fp4_tELi64ELi8ELi4ELb0ELb0ELb0ELb0ELb0ELb0EEEvPT0_PvPT_S7_S7_PKS6_S9_S9_S9_S9_ffiiiiiiiiiiiii
		.amdhsa_group_segment_fixed_size 0
		.amdhsa_private_segment_fixed_size 0
		.amdhsa_kernarg_size 400
		.amdhsa_user_sgpr_count 6
		.amdhsa_user_sgpr_private_segment_buffer 1
		.amdhsa_user_sgpr_dispatch_ptr 0
		.amdhsa_user_sgpr_queue_ptr 0
		.amdhsa_user_sgpr_kernarg_segment_ptr 1
		.amdhsa_user_sgpr_dispatch_id 0
		.amdhsa_user_sgpr_flat_scratch_init 0
		.amdhsa_user_sgpr_kernarg_preload_length 0
		.amdhsa_user_sgpr_kernarg_preload_offset 0
		.amdhsa_user_sgpr_private_segment_size 0
		.amdhsa_uses_dynamic_stack 0
		.amdhsa_system_sgpr_private_segment_wavefront_offset 0
		.amdhsa_system_sgpr_workgroup_id_x 1
		.amdhsa_system_sgpr_workgroup_id_y 1
		.amdhsa_system_sgpr_workgroup_id_z 0
		.amdhsa_system_sgpr_workgroup_info 0
		.amdhsa_system_vgpr_workitem_id 0
		.amdhsa_next_free_vgpr 23
		.amdhsa_next_free_sgpr 32
		.amdhsa_accum_offset 24
		.amdhsa_reserve_vcc 1
		.amdhsa_reserve_flat_scratch 0
		.amdhsa_float_round_mode_32 0
		.amdhsa_float_round_mode_16_64 0
		.amdhsa_float_denorm_mode_32 3
		.amdhsa_float_denorm_mode_16_64 3
		.amdhsa_dx10_clamp 1
		.amdhsa_ieee_mode 1
		.amdhsa_fp16_overflow 0
		.amdhsa_tg_split 0
		.amdhsa_exception_fp_ieee_invalid_op 0
		.amdhsa_exception_fp_denorm_src 0
		.amdhsa_exception_fp_ieee_div_zero 0
		.amdhsa_exception_fp_ieee_overflow 0
		.amdhsa_exception_fp_ieee_underflow 0
		.amdhsa_exception_fp_ieee_inexact 0
		.amdhsa_exception_int_div_zero 0
	.end_amdhsa_kernel
	.section	.text._ZN5aiter35fused_qk_rmsnorm_group_quant_kernelItN4opus5fp4_tELi64ELi8ELi4ELb0ELb0ELb0ELb0ELb0ELb0EEEvPT0_PvPT_S7_S7_PKS6_S9_S9_S9_S9_ffiiiiiiiiiiiii,"axG",@progbits,_ZN5aiter35fused_qk_rmsnorm_group_quant_kernelItN4opus5fp4_tELi64ELi8ELi4ELb0ELb0ELb0ELb0ELb0ELb0EEEvPT0_PvPT_S7_S7_PKS6_S9_S9_S9_S9_ffiiiiiiiiiiiii,comdat
.Lfunc_end240:
	.size	_ZN5aiter35fused_qk_rmsnorm_group_quant_kernelItN4opus5fp4_tELi64ELi8ELi4ELb0ELb0ELb0ELb0ELb0ELb0EEEvPT0_PvPT_S7_S7_PKS6_S9_S9_S9_S9_ffiiiiiiiiiiiii, .Lfunc_end240-_ZN5aiter35fused_qk_rmsnorm_group_quant_kernelItN4opus5fp4_tELi64ELi8ELi4ELb0ELb0ELb0ELb0ELb0ELb0EEEvPT0_PvPT_S7_S7_PKS6_S9_S9_S9_S9_ffiiiiiiiiiiiii
                                        ; -- End function
	.section	.AMDGPU.csdata,"",@progbits
; Kernel info:
; codeLenInByte = 2180
; NumSgprs: 36
; NumVgprs: 23
; NumAgprs: 0
; TotalNumVgprs: 23
; ScratchSize: 0
; MemoryBound: 0
; FloatMode: 240
; IeeeMode: 1
; LDSByteSize: 0 bytes/workgroup (compile time only)
; SGPRBlocks: 4
; VGPRBlocks: 2
; NumSGPRsForWavesPerEU: 36
; NumVGPRsForWavesPerEU: 23
; AccumOffset: 24
; Occupancy: 8
; WaveLimiterHint : 0
; COMPUTE_PGM_RSRC2:SCRATCH_EN: 0
; COMPUTE_PGM_RSRC2:USER_SGPR: 6
; COMPUTE_PGM_RSRC2:TRAP_HANDLER: 0
; COMPUTE_PGM_RSRC2:TGID_X_EN: 1
; COMPUTE_PGM_RSRC2:TGID_Y_EN: 1
; COMPUTE_PGM_RSRC2:TGID_Z_EN: 0
; COMPUTE_PGM_RSRC2:TIDIG_COMP_CNT: 0
; COMPUTE_PGM_RSRC3_GFX90A:ACCUM_OFFSET: 5
; COMPUTE_PGM_RSRC3_GFX90A:TG_SPLIT: 0
	.section	.text._ZN5aiter35fused_qk_rmsnorm_group_quant_kernelIDF16_DB8_Li64ELi4ELi32ELb1ELb1ELb1ELb1ELb0ELb0EEEvPT0_PvPT_S6_S6_PKS5_S8_S8_S8_S8_ffiiiiiiiiiiiii,"axG",@progbits,_ZN5aiter35fused_qk_rmsnorm_group_quant_kernelIDF16_DB8_Li64ELi4ELi32ELb1ELb1ELb1ELb1ELb0ELb0EEEvPT0_PvPT_S6_S6_PKS5_S8_S8_S8_S8_ffiiiiiiiiiiiii,comdat
	.protected	_ZN5aiter35fused_qk_rmsnorm_group_quant_kernelIDF16_DB8_Li64ELi4ELi32ELb1ELb1ELb1ELb1ELb0ELb0EEEvPT0_PvPT_S6_S6_PKS5_S8_S8_S8_S8_ffiiiiiiiiiiiii ; -- Begin function _ZN5aiter35fused_qk_rmsnorm_group_quant_kernelIDF16_DB8_Li64ELi4ELi32ELb1ELb1ELb1ELb1ELb0ELb0EEEvPT0_PvPT_S6_S6_PKS5_S8_S8_S8_S8_ffiiiiiiiiiiiii
	.globl	_ZN5aiter35fused_qk_rmsnorm_group_quant_kernelIDF16_DB8_Li64ELi4ELi32ELb1ELb1ELb1ELb1ELb0ELb0EEEvPT0_PvPT_S6_S6_PKS5_S8_S8_S8_S8_ffiiiiiiiiiiiii
	.p2align	8
	.type	_ZN5aiter35fused_qk_rmsnorm_group_quant_kernelIDF16_DB8_Li64ELi4ELi32ELb1ELb1ELb1ELb1ELb0ELb0EEEvPT0_PvPT_S6_S6_PKS5_S8_S8_S8_S8_ffiiiiiiiiiiiii,@function
_ZN5aiter35fused_qk_rmsnorm_group_quant_kernelIDF16_DB8_Li64ELi4ELi32ELb1ELb1ELb1ELb1ELb0ELb0EEEvPT0_PvPT_S6_S6_PKS5_S8_S8_S8_S8_ffiiiiiiiiiiiii: ; @_ZN5aiter35fused_qk_rmsnorm_group_quant_kernelIDF16_DB8_Li64ELi4ELi32ELb1ELb1ELb1ELb1ELb0ELb0EEEvPT0_PvPT_S6_S6_PKS5_S8_S8_S8_S8_ffiiiiiiiiiiiii
; %bb.0:
	s_load_dwordx8 s[8:15], s[4:5], 0x50
	s_waitcnt lgkmcnt(0)
	s_cmp_ge_i32 s6, s10
	s_cbranch_scc1 .LBB241_15
; %bb.1:
	s_cmp_lg_u32 s7, 0
	s_cselect_b64 s[18:19], -1, 0
	s_cmp_eq_u32 s7, 0
	s_cselect_b64 s[20:21], -1, 0
	s_and_b64 s[0:1], s[20:21], exec
	s_cselect_b32 s7, s11, s12
	s_load_dwordx2 s[2:3], s[4:5], 0x30
	s_load_dwordx2 s[16:17], s[4:5], 0x48
	s_add_i32 s0, s7, 1
	s_lshr_b32 s1, s0, 31
	s_add_i32 s0, s0, s1
	s_lshl_b32 s0, s0, 1
	v_lshlrev_b32_e32 v1, 2, v0
	s_and_b32 s26, s0, -4
	v_cmp_gt_i32_e64 s[0:1], s7, v1
	v_mov_b32_e32 v2, 0
	v_mov_b32_e32 v3, 0
	;; [unrolled: 1-line block ×4, first 2 shown]
	s_and_saveexec_b64 s[10:11], s[0:1]
	s_cbranch_execz .LBB241_3
; %bb.2:
	s_load_dwordx2 s[22:23], s[4:5], 0x28
	s_load_dwordx2 s[24:25], s[4:5], 0x40
	s_and_b64 s[28:29], s[20:21], exec
	s_cselect_b32 s13, s13, s14
	v_lshlrev_b32_e32 v4, 3, v0
	s_waitcnt lgkmcnt(0)
	s_cselect_b32 s27, s23, s3
	s_cselect_b32 s28, s22, s2
	s_mul_hi_i32 s23, s13, s6
	s_mul_i32 s22, s13, s6
	s_lshl_b64 s[22:23], s[22:23], 1
	s_add_u32 s28, s28, s22
	s_addc_u32 s13, s27, s23
	s_and_b64 s[20:21], s[20:21], exec
	s_mov_b32 s27, 0x20000
	s_cselect_b32 s24, s24, s16
	s_cselect_b32 s20, s25, s17
	s_and_b32 s29, s13, 0xffff
	s_mov_b32 s30, s26
	s_mov_b32 s31, s27
	s_and_b32 s25, s20, 0xffff
	buffer_load_dwordx2 v[8:9], v4, s[28:31], 0 offen glc slc
	buffer_load_dwordx2 v[2:3], v4, s[24:27], 0 offen
.LBB241_3:
	s_or_b64 exec, exec, s[10:11]
	s_load_dwordx4 s[20:23], s[4:5], 0x7c
	s_and_b64 vcc, exec, s[18:19]
	s_cbranch_vccz .LBB241_7
; %bb.4:
	v_mov_b32_e32 v7, 0
	v_mov_b32_e32 v6, 0
	;; [unrolled: 1-line block ×4, first 2 shown]
	s_and_saveexec_b64 s[10:11], s[0:1]
	s_cbranch_execz .LBB241_6
; %bb.5:
	s_waitcnt vmcnt(1)
	v_cvt_f32_f16_sdwa v5, v8 dst_sel:DWORD dst_unused:UNUSED_PAD src0_sel:WORD_1
	v_cvt_f32_f16_e32 v4, v8
	v_cvt_f32_f16_sdwa v7, v9 dst_sel:DWORD dst_unused:UNUSED_PAD src0_sel:WORD_1
	v_cvt_f32_f16_e32 v6, v9
.LBB241_6:
	s_or_b64 exec, exec, s[10:11]
	s_mov_b32 s13, s9
	s_cbranch_execz .LBB241_8
	s_branch .LBB241_11
.LBB241_7:
                                        ; implicit-def: $vgpr7
                                        ; implicit-def: $vgpr5
	s_mov_b32 s13, s9
.LBB241_8:
	v_mov_b32_e32 v7, 0
	v_mov_b32_e32 v6, 0
	;; [unrolled: 1-line block ×4, first 2 shown]
	s_and_saveexec_b64 s[10:11], s[0:1]
	s_cbranch_execz .LBB241_10
; %bb.9:
	s_load_dwordx2 s[24:25], s[4:5], 0x38
	s_mul_hi_i32 s29, s15, s6
	s_mul_i32 s28, s15, s6
	s_lshl_b64 s[28:29], s[28:29], 1
	s_mov_b32 s27, 0x20000
	s_waitcnt lgkmcnt(0)
	s_add_u32 s24, s24, s28
	s_addc_u32 s13, s25, s29
	s_and_b32 s25, s13, 0xffff
	v_lshlrev_b32_e32 v14, 3, v0
	buffer_load_dwordx2 v[4:5], v14, s[24:27], 0 offen glc slc
	s_waitcnt vmcnt(2)
	v_cvt_f32_f16_sdwa v7, v8 dst_sel:DWORD dst_unused:UNUSED_PAD src0_sel:WORD_1
	v_cvt_f32_f16_e32 v6, v8
	v_cvt_f32_f16_sdwa v11, v9 dst_sel:DWORD dst_unused:UNUSED_PAD src0_sel:WORD_1
	v_cvt_f32_f16_e32 v10, v9
	s_load_dwordx2 s[24:25], s[4:5], 0x20
	s_mul_hi_i32 s23, s22, s6
	s_mul_i32 s22, s22, s6
	s_lshl_b64 s[22:23], s[22:23], 1
	s_waitcnt lgkmcnt(0)
	s_add_u32 s24, s24, s22
	s_addc_u32 s13, s25, s23
	s_and_b32 s25, s13, 0xffff
	s_waitcnt vmcnt(0)
	v_cvt_f32_f16_e32 v8, v4
	v_cvt_f32_f16_sdwa v9, v4 dst_sel:DWORD dst_unused:UNUSED_PAD src0_sel:WORD_1
	v_cvt_f32_f16_e32 v12, v5
	v_cvt_f32_f16_sdwa v13, v5 dst_sel:DWORD dst_unused:UNUSED_PAD src0_sel:WORD_1
	v_pk_add_f32 v[4:5], v[6:7], v[8:9]
	v_cvt_f16_f32_e32 v8, v5
	v_pk_add_f32 v[6:7], v[10:11], v[12:13]
	v_cvt_f16_f32_e32 v9, v7
	v_cvt_f16_f32_e32 v10, v6
	;; [unrolled: 1-line block ×3, first 2 shown]
	v_pack_b32_f16 v9, v10, v9
	v_pack_b32_f16 v8, v11, v8
	buffer_store_dwordx2 v[8:9], v14, s[24:27], 0 offen glc slc
	;;#ASMSTART
	s_nop 0
	;;#ASMEND
.LBB241_10:
	s_or_b64 exec, exec, s[10:11]
	s_mov_b32 s13, s8
.LBB241_11:
	s_waitcnt vmcnt(1)
	v_mul_f32_e32 v8, v5, v5
	v_fmac_f32_e32 v8, v4, v4
	v_fmac_f32_e32 v8, v6, v6
	;; [unrolled: 1-line block ×3, first 2 shown]
	v_bfrev_b32_e32 v10, 0.5
	s_load_dwordx2 s[10:11], s[4:5], 0x18
	v_mov_b32_dpp v9, v8 quad_perm:[1,0,3,2] row_mask:0xf bank_mask:0xf
	v_add_f32_e32 v8, v8, v9
	s_nop 1
	v_mov_b32_dpp v9, v8 quad_perm:[2,3,0,1] row_mask:0xf bank_mask:0xf
	v_add_f32_e32 v8, v8, v9
	s_nop 1
	v_mov_b32_dpp v9, v8 row_half_mirror row_mask:0xf bank_mask:0xf
	v_add_f32_e32 v8, v8, v9
	s_nop 1
	v_mov_b32_dpp v9, v8 row_mirror row_mask:0xf bank_mask:0xf
	v_add_f32_e32 v8, v8, v9
	s_nop 1
	v_mov_b32_dpp v9, v8 row_bcast:15 row_mask:0xf bank_mask:0xf
	v_add_f32_e32 v8, v8, v9
	s_nop 1
	v_mov_b32_dpp v9, v8 row_bcast:31 row_mask:0xf bank_mask:0xf
	v_add_f32_e32 v9, v8, v9
	v_mbcnt_lo_u32_b32 v8, -1, 0
	v_mbcnt_hi_u32_b32 v8, -1, v8
	v_lshl_or_b32 v8, v8, 2, v10
	ds_bpermute_b32 v9, v8, v9
	s_waitcnt lgkmcnt(0)
	s_and_saveexec_b64 s[22:23], s[0:1]
	s_cbranch_execnz .LBB241_16
; %bb.12:
	s_or_b64 exec, exec, s[22:23]
	s_mov_b64 s[22:23], -1
	s_and_b64 vcc, exec, s[18:19]
	s_cbranch_vccnz .LBB241_17
.LBB241_13:
	s_andn2_b64 vcc, exec, s[22:23]
	s_cbranch_vccz .LBB241_20
.LBB241_14:
	s_cmp_lt_i32 s12, 1
	s_cbranch_scc0 .LBB241_23
.LBB241_15:
	s_endpgm
.LBB241_16:
	v_cvt_f32_u32_e32 v10, s7
	s_mov_b32 s7, 0x800000
	v_div_scale_f32 v11, s[24:25], v10, v10, v9
	v_rcp_f32_e32 v12, v11
	v_div_scale_f32 v13, vcc, v9, v10, v9
	v_fma_f32 v14, -v11, v12, 1.0
	v_fmac_f32_e32 v12, v14, v12
	v_mul_f32_e32 v14, v13, v12
	v_fma_f32 v15, -v11, v14, v13
	v_fmac_f32_e32 v14, v15, v12
	v_fma_f32 v11, -v11, v14, v13
	v_div_fmas_f32 v11, v11, v12, v14
	v_div_fixup_f32 v9, v11, v10, v9
	v_add_f32_e32 v9, s13, v9
	v_mul_f32_e32 v10, 0x4b800000, v9
	v_cmp_gt_f32_e32 vcc, s7, v9
	v_cndmask_b32_e32 v9, v9, v10, vcc
	v_rsq_f32_e32 v9, v9
	s_waitcnt vmcnt(0)
	v_cvt_f32_f16_sdwa v11, v2 dst_sel:DWORD dst_unused:UNUSED_PAD src0_sel:WORD_1
	v_cvt_f32_f16_e32 v10, v2
	v_cvt_f32_f16_sdwa v13, v3 dst_sel:DWORD dst_unused:UNUSED_PAD src0_sel:WORD_1
	v_cvt_f32_f16_e32 v12, v3
	v_mul_f32_e32 v2, 0x45800000, v9
	v_cndmask_b32_e32 v14, v9, v2, vcc
	v_mov_b32_e32 v15, v14
	;;#ASMSTART
	v_pk_mul_f32 v[4:5], v[4:5], v[14:15]
	;;#ASMEND
	;;#ASMSTART
	v_pk_mul_f32 v[2:3], v[6:7], v[14:15]
	;;#ASMEND
	v_pk_add_f32 v[6:7], v[10:11], 1.0 op_sel_hi:[1,0]
	;;#ASMSTART
	v_pk_mul_f32 v[4:5], v[4:5], v[6:7]
	;;#ASMEND
	v_pk_add_f32 v[6:7], v[12:13], 1.0 op_sel_hi:[1,0]
	;;#ASMSTART
	v_pk_mul_f32 v[6:7], v[2:3], v[6:7]
	;;#ASMEND
	s_or_b64 exec, exec, s[22:23]
	s_mov_b64 s[22:23], -1
	s_and_b64 vcc, exec, s[18:19]
	s_cbranch_vccz .LBB241_13
.LBB241_17:
	s_and_saveexec_b64 s[18:19], s[0:1]
	s_cbranch_execz .LBB241_19
; %bb.18:
	s_mul_hi_i32 s23, s21, s6
	s_mul_i32 s22, s21, s6
	s_waitcnt vmcnt(0)
	v_cvt_f16_f32_e32 v2, v4
	v_cvt_f16_f32_e32 v3, v6
	;; [unrolled: 1-line block ×4, first 2 shown]
	s_lshl_b64 s[22:23], s[22:23], 1
	s_add_u32 s24, s10, s22
	s_addc_u32 s7, s11, s23
	s_and_b32 s25, s7, 0xffff
	s_mov_b32 s27, 0x20000
	v_pack_b32_f16 v3, v3, v9
	v_pack_b32_f16 v2, v2, v10
	v_lshlrev_b32_e32 v9, 3, v0
	buffer_store_dwordx2 v[2:3], v9, s[24:27], 0 offen
	;;#ASMSTART
	s_nop 0
	;;#ASMEND
.LBB241_19:
	s_or_b64 exec, exec, s[18:19]
	s_cbranch_execnz .LBB241_14
.LBB241_20:
	s_and_saveexec_b64 s[18:19], s[0:1]
	s_cbranch_execz .LBB241_22
; %bb.21:
	s_load_dwordx2 s[0:1], s[4:5], 0x10
	s_mul_hi_i32 s23, s20, s6
	s_mul_i32 s22, s20, s6
	s_waitcnt vmcnt(0)
	v_cvt_f16_f32_e32 v2, v4
	v_cvt_f16_f32_e32 v3, v6
	;; [unrolled: 1-line block ×4, first 2 shown]
	s_lshl_b64 s[22:23], s[22:23], 1
	s_waitcnt lgkmcnt(0)
	s_add_u32 s24, s0, s22
	s_addc_u32 s0, s1, s23
	s_and_b32 s25, s0, 0xffff
	s_mov_b32 s27, 0x20000
	v_pack_b32_f16 v3, v3, v4
	v_pack_b32_f16 v2, v2, v5
	v_lshlrev_b32_e32 v4, 3, v0
	buffer_store_dwordx2 v[2:3], v4, s[24:27], 0 offen
	;;#ASMSTART
	s_nop 0
	;;#ASMEND
.LBB241_22:
	s_or_b64 exec, exec, s[18:19]
	s_cmp_lt_i32 s12, 1
	s_cbranch_scc1 .LBB241_15
.LBB241_23:
	s_load_dword s0, s[4:5], 0x94
	s_waitcnt lgkmcnt(0)
	s_cmp_lg_u32 s0, 1
	s_cbranch_scc1 .LBB241_15
; %bb.24:
	s_lshl_b32 s0, s12, 1
	s_add_i32 s0, s0, 2
	v_cmp_gt_u32_e32 vcc, s12, v1
	s_and_b32 s18, s0, -4
	s_waitcnt vmcnt(0)
	v_mov_b32_e32 v2, 0
	v_lshlrev_b32_e32 v6, 3, v0
	v_mov_b32_e32 v3, 0
	v_mov_b32_e32 v0, 0
	;; [unrolled: 1-line block ×3, first 2 shown]
	s_barrier
	s_and_saveexec_b64 s[0:1], vcc
	s_cbranch_execz .LBB241_26
; %bb.25:
	s_mul_hi_i32 s5, s14, s6
	s_mul_i32 s4, s14, s6
	s_and_b32 s17, s17, 0xffff
	s_lshl_b64 s[4:5], s[4:5], 1
	s_add_u32 s24, s2, s4
	s_mov_b32 s19, 0x20000
	s_addc_u32 s2, s3, s5
	s_and_b32 s25, s2, 0xffff
	s_mov_b32 s26, s18
	s_mov_b32 s27, s19
	buffer_load_dwordx2 v[2:3], v6, s[24:27], 0 offen glc slc
	buffer_load_dwordx2 v[0:1], v6, s[16:19], 0 offen
.LBB241_26:
	s_or_b64 exec, exec, s[0:1]
	s_waitcnt vmcnt(1)
	v_cvt_f32_f16_e32 v4, v3
	v_cvt_f32_f16_e32 v5, v2
	v_cvt_f32_f16_sdwa v7, v2 dst_sel:DWORD dst_unused:UNUSED_PAD src0_sel:WORD_1
	v_cvt_f32_f16_sdwa v3, v3 dst_sel:DWORD dst_unused:UNUSED_PAD src0_sel:WORD_1
	v_cndmask_b32_e32 v2, 0, v4, vcc
	v_cndmask_b32_e32 v4, 0, v5, vcc
	;; [unrolled: 1-line block ×3, first 2 shown]
	v_mul_f32_e32 v7, v5, v5
	v_fmac_f32_e32 v7, v4, v4
	v_cndmask_b32_e32 v3, 0, v3, vcc
	v_fmac_f32_e32 v7, v2, v2
	v_fmac_f32_e32 v7, v3, v3
	s_nop 1
	v_mov_b32_dpp v9, v7 quad_perm:[1,0,3,2] row_mask:0xf bank_mask:0xf
	v_add_f32_e32 v7, v7, v9
	s_nop 1
	v_mov_b32_dpp v9, v7 quad_perm:[2,3,0,1] row_mask:0xf bank_mask:0xf
	v_add_f32_e32 v7, v7, v9
	s_nop 1
	v_mov_b32_dpp v9, v7 row_half_mirror row_mask:0xf bank_mask:0xf
	v_add_f32_e32 v7, v7, v9
	s_nop 1
	v_mov_b32_dpp v9, v7 row_mirror row_mask:0xf bank_mask:0xf
	v_add_f32_e32 v7, v7, v9
	s_nop 1
	v_mov_b32_dpp v9, v7 row_bcast:15 row_mask:0xf bank_mask:0xf
	v_add_f32_e32 v7, v7, v9
	s_nop 1
	v_mov_b32_dpp v9, v7 row_bcast:31 row_mask:0xf bank_mask:0xf
	v_add_f32_e32 v7, v7, v9
	ds_bpermute_b32 v7, v8, v7
	s_and_saveexec_b64 s[0:1], vcc
	s_cbranch_execz .LBB241_15
; %bb.27:
	v_cvt_f32_u32_e32 v8, s12
	s_mov_b32 s19, 0x20000
	s_waitcnt lgkmcnt(0)
	v_div_scale_f32 v9, s[0:1], v8, v8, v7
	v_rcp_f32_e32 v10, v9
	v_div_scale_f32 v11, vcc, v7, v8, v7
	s_mov_b32 s0, 0x800000
	v_fma_f32 v12, -v9, v10, 1.0
	v_fmac_f32_e32 v10, v12, v10
	v_mul_f32_e32 v12, v11, v10
	v_fma_f32 v13, -v9, v12, v11
	v_fmac_f32_e32 v12, v13, v10
	v_fma_f32 v9, -v9, v12, v11
	v_div_fmas_f32 v9, v9, v10, v12
	v_div_fixup_f32 v7, v9, v8, v7
	v_add_f32_e32 v7, s9, v7
	v_mul_f32_e32 v8, 0x4b800000, v7
	v_cmp_gt_f32_e32 vcc, s0, v7
	v_cndmask_b32_e32 v7, v7, v8, vcc
	v_rsq_f32_e32 v7, v7
	s_waitcnt vmcnt(0)
	v_cvt_f32_f16_sdwa v9, v0 dst_sel:DWORD dst_unused:UNUSED_PAD src0_sel:WORD_1
	v_cvt_f32_f16_e32 v8, v0
	v_cvt_f32_f16_sdwa v11, v1 dst_sel:DWORD dst_unused:UNUSED_PAD src0_sel:WORD_1
	v_cvt_f32_f16_e32 v10, v1
	v_mul_f32_e32 v0, 0x45800000, v7
	v_cndmask_b32_e32 v12, v7, v0, vcc
	v_mov_b32_e32 v13, v12
	;;#ASMSTART
	v_pk_mul_f32 v[4:5], v[4:5], v[12:13]
	;;#ASMEND
	;;#ASMSTART
	v_pk_mul_f32 v[0:1], v[2:3], v[12:13]
	;;#ASMEND
	v_pk_add_f32 v[2:3], v[8:9], 1.0 op_sel_hi:[1,0]
	;;#ASMSTART
	v_pk_mul_f32 v[2:3], v[4:5], v[2:3]
	;;#ASMEND
	v_pk_add_f32 v[4:5], v[10:11], 1.0 op_sel_hi:[1,0]
	;;#ASMSTART
	v_pk_mul_f32 v[0:1], v[0:1], v[4:5]
	;;#ASMEND
	s_mul_hi_i32 s1, s21, s6
	s_mul_i32 s0, s21, s6
	v_cvt_f16_f32_e32 v2, v2
	v_cvt_f16_f32_e32 v3, v3
	;; [unrolled: 1-line block ×4, first 2 shown]
	s_lshl_b64 s[0:1], s[0:1], 1
	s_add_u32 s16, s10, s0
	s_addc_u32 s0, s11, s1
	s_and_b32 s17, s0, 0xffff
	v_pack_b32_f16 v0, v2, v3
	v_pack_b32_f16 v1, v4, v1
	buffer_store_dwordx2 v[0:1], v6, s[16:19], 0 offen
	;;#ASMSTART
	s_nop 0
	;;#ASMEND
	s_endpgm
	.section	.rodata,"a",@progbits
	.p2align	6, 0x0
	.amdhsa_kernel _ZN5aiter35fused_qk_rmsnorm_group_quant_kernelIDF16_DB8_Li64ELi4ELi32ELb1ELb1ELb1ELb1ELb0ELb0EEEvPT0_PvPT_S6_S6_PKS5_S8_S8_S8_S8_ffiiiiiiiiiiiii
		.amdhsa_group_segment_fixed_size 0
		.amdhsa_private_segment_fixed_size 0
		.amdhsa_kernarg_size 400
		.amdhsa_user_sgpr_count 6
		.amdhsa_user_sgpr_private_segment_buffer 1
		.amdhsa_user_sgpr_dispatch_ptr 0
		.amdhsa_user_sgpr_queue_ptr 0
		.amdhsa_user_sgpr_kernarg_segment_ptr 1
		.amdhsa_user_sgpr_dispatch_id 0
		.amdhsa_user_sgpr_flat_scratch_init 0
		.amdhsa_user_sgpr_kernarg_preload_length 0
		.amdhsa_user_sgpr_kernarg_preload_offset 0
		.amdhsa_user_sgpr_private_segment_size 0
		.amdhsa_uses_dynamic_stack 0
		.amdhsa_system_sgpr_private_segment_wavefront_offset 0
		.amdhsa_system_sgpr_workgroup_id_x 1
		.amdhsa_system_sgpr_workgroup_id_y 1
		.amdhsa_system_sgpr_workgroup_id_z 0
		.amdhsa_system_sgpr_workgroup_info 0
		.amdhsa_system_vgpr_workitem_id 0
		.amdhsa_next_free_vgpr 16
		.amdhsa_next_free_sgpr 32
		.amdhsa_accum_offset 16
		.amdhsa_reserve_vcc 1
		.amdhsa_reserve_flat_scratch 0
		.amdhsa_float_round_mode_32 0
		.amdhsa_float_round_mode_16_64 0
		.amdhsa_float_denorm_mode_32 3
		.amdhsa_float_denorm_mode_16_64 3
		.amdhsa_dx10_clamp 1
		.amdhsa_ieee_mode 1
		.amdhsa_fp16_overflow 0
		.amdhsa_tg_split 0
		.amdhsa_exception_fp_ieee_invalid_op 0
		.amdhsa_exception_fp_denorm_src 0
		.amdhsa_exception_fp_ieee_div_zero 0
		.amdhsa_exception_fp_ieee_overflow 0
		.amdhsa_exception_fp_ieee_underflow 0
		.amdhsa_exception_fp_ieee_inexact 0
		.amdhsa_exception_int_div_zero 0
	.end_amdhsa_kernel
	.section	.text._ZN5aiter35fused_qk_rmsnorm_group_quant_kernelIDF16_DB8_Li64ELi4ELi32ELb1ELb1ELb1ELb1ELb0ELb0EEEvPT0_PvPT_S6_S6_PKS5_S8_S8_S8_S8_ffiiiiiiiiiiiii,"axG",@progbits,_ZN5aiter35fused_qk_rmsnorm_group_quant_kernelIDF16_DB8_Li64ELi4ELi32ELb1ELb1ELb1ELb1ELb0ELb0EEEvPT0_PvPT_S6_S6_PKS5_S8_S8_S8_S8_ffiiiiiiiiiiiii,comdat
.Lfunc_end241:
	.size	_ZN5aiter35fused_qk_rmsnorm_group_quant_kernelIDF16_DB8_Li64ELi4ELi32ELb1ELb1ELb1ELb1ELb0ELb0EEEvPT0_PvPT_S6_S6_PKS5_S8_S8_S8_S8_ffiiiiiiiiiiiii, .Lfunc_end241-_ZN5aiter35fused_qk_rmsnorm_group_quant_kernelIDF16_DB8_Li64ELi4ELi32ELb1ELb1ELb1ELb1ELb0ELb0EEEvPT0_PvPT_S6_S6_PKS5_S8_S8_S8_S8_ffiiiiiiiiiiiii
                                        ; -- End function
	.section	.AMDGPU.csdata,"",@progbits
; Kernel info:
; codeLenInByte = 1840
; NumSgprs: 36
; NumVgprs: 16
; NumAgprs: 0
; TotalNumVgprs: 16
; ScratchSize: 0
; MemoryBound: 0
; FloatMode: 240
; IeeeMode: 1
; LDSByteSize: 0 bytes/workgroup (compile time only)
; SGPRBlocks: 4
; VGPRBlocks: 1
; NumSGPRsForWavesPerEU: 36
; NumVGPRsForWavesPerEU: 16
; AccumOffset: 16
; Occupancy: 8
; WaveLimiterHint : 0
; COMPUTE_PGM_RSRC2:SCRATCH_EN: 0
; COMPUTE_PGM_RSRC2:USER_SGPR: 6
; COMPUTE_PGM_RSRC2:TRAP_HANDLER: 0
; COMPUTE_PGM_RSRC2:TGID_X_EN: 1
; COMPUTE_PGM_RSRC2:TGID_Y_EN: 1
; COMPUTE_PGM_RSRC2:TGID_Z_EN: 0
; COMPUTE_PGM_RSRC2:TIDIG_COMP_CNT: 0
; COMPUTE_PGM_RSRC3_GFX90A:ACCUM_OFFSET: 3
; COMPUTE_PGM_RSRC3_GFX90A:TG_SPLIT: 0
	.section	.text._ZN5aiter35fused_qk_rmsnorm_group_quant_kernelItDB8_Li64ELi4ELi32ELb1ELb1ELb1ELb1ELb0ELb0EEEvPT0_PvPT_S6_S6_PKS5_S8_S8_S8_S8_ffiiiiiiiiiiiii,"axG",@progbits,_ZN5aiter35fused_qk_rmsnorm_group_quant_kernelItDB8_Li64ELi4ELi32ELb1ELb1ELb1ELb1ELb0ELb0EEEvPT0_PvPT_S6_S6_PKS5_S8_S8_S8_S8_ffiiiiiiiiiiiii,comdat
	.protected	_ZN5aiter35fused_qk_rmsnorm_group_quant_kernelItDB8_Li64ELi4ELi32ELb1ELb1ELb1ELb1ELb0ELb0EEEvPT0_PvPT_S6_S6_PKS5_S8_S8_S8_S8_ffiiiiiiiiiiiii ; -- Begin function _ZN5aiter35fused_qk_rmsnorm_group_quant_kernelItDB8_Li64ELi4ELi32ELb1ELb1ELb1ELb1ELb0ELb0EEEvPT0_PvPT_S6_S6_PKS5_S8_S8_S8_S8_ffiiiiiiiiiiiii
	.globl	_ZN5aiter35fused_qk_rmsnorm_group_quant_kernelItDB8_Li64ELi4ELi32ELb1ELb1ELb1ELb1ELb0ELb0EEEvPT0_PvPT_S6_S6_PKS5_S8_S8_S8_S8_ffiiiiiiiiiiiii
	.p2align	8
	.type	_ZN5aiter35fused_qk_rmsnorm_group_quant_kernelItDB8_Li64ELi4ELi32ELb1ELb1ELb1ELb1ELb0ELb0EEEvPT0_PvPT_S6_S6_PKS5_S8_S8_S8_S8_ffiiiiiiiiiiiii,@function
_ZN5aiter35fused_qk_rmsnorm_group_quant_kernelItDB8_Li64ELi4ELi32ELb1ELb1ELb1ELb1ELb0ELb0EEEvPT0_PvPT_S6_S6_PKS5_S8_S8_S8_S8_ffiiiiiiiiiiiii: ; @_ZN5aiter35fused_qk_rmsnorm_group_quant_kernelItDB8_Li64ELi4ELi32ELb1ELb1ELb1ELb1ELb0ELb0EEEvPT0_PvPT_S6_S6_PKS5_S8_S8_S8_S8_ffiiiiiiiiiiiii
; %bb.0:
	s_load_dwordx8 s[8:15], s[4:5], 0x50
	s_waitcnt lgkmcnt(0)
	s_cmp_ge_i32 s6, s10
	s_cbranch_scc1 .LBB242_15
; %bb.1:
	s_cmp_lg_u32 s7, 0
	s_cselect_b64 s[18:19], -1, 0
	s_cmp_eq_u32 s7, 0
	s_cselect_b64 s[20:21], -1, 0
	s_and_b64 s[0:1], s[20:21], exec
	s_cselect_b32 s7, s11, s12
	s_load_dwordx2 s[2:3], s[4:5], 0x30
	s_load_dwordx2 s[16:17], s[4:5], 0x48
	s_add_i32 s0, s7, 1
	s_lshr_b32 s1, s0, 31
	s_add_i32 s0, s0, s1
	s_lshl_b32 s0, s0, 1
	v_lshlrev_b32_e32 v1, 2, v0
	s_and_b32 s26, s0, -4
	v_cmp_gt_i32_e64 s[0:1], s7, v1
	v_mov_b32_e32 v6, 0
	v_mov_b32_e32 v7, 0
	;; [unrolled: 1-line block ×4, first 2 shown]
	s_and_saveexec_b64 s[10:11], s[0:1]
	s_cbranch_execz .LBB242_3
; %bb.2:
	s_load_dwordx2 s[22:23], s[4:5], 0x28
	s_load_dwordx2 s[24:25], s[4:5], 0x40
	s_and_b64 s[28:29], s[20:21], exec
	s_cselect_b32 s13, s13, s14
	v_lshlrev_b32_e32 v2, 3, v0
	s_waitcnt lgkmcnt(0)
	s_cselect_b32 s27, s23, s3
	s_cselect_b32 s28, s22, s2
	s_mul_hi_i32 s23, s13, s6
	s_mul_i32 s22, s13, s6
	s_lshl_b64 s[22:23], s[22:23], 1
	s_add_u32 s28, s28, s22
	s_addc_u32 s13, s27, s23
	s_and_b64 s[20:21], s[20:21], exec
	s_mov_b32 s27, 0x20000
	s_cselect_b32 s24, s24, s16
	s_cselect_b32 s20, s25, s17
	s_and_b32 s29, s13, 0xffff
	s_mov_b32 s30, s26
	s_mov_b32 s31, s27
	s_and_b32 s25, s20, 0xffff
	buffer_load_dwordx2 v[8:9], v2, s[28:31], 0 offen glc slc
	buffer_load_dwordx2 v[6:7], v2, s[24:27], 0 offen
.LBB242_3:
	s_or_b64 exec, exec, s[10:11]
	s_load_dwordx4 s[20:23], s[4:5], 0x7c
	s_and_b64 vcc, exec, s[18:19]
	s_cbranch_vccz .LBB242_7
; %bb.4:
	s_mov_b32 s28, 0
	s_mov_b32 s29, s28
	;; [unrolled: 1-line block ×4, first 2 shown]
	v_pk_mov_b32 v[2:3], s[28:29], s[28:29] op_sel:[0,1]
	v_pk_mov_b32 v[4:5], s[30:31], s[30:31] op_sel:[0,1]
	s_and_saveexec_b64 s[10:11], s[0:1]
	s_cbranch_execz .LBB242_6
; %bb.5:
	s_waitcnt vmcnt(1)
	v_cvt_f32_u32_sdwa v3, v8 dst_sel:DWORD dst_unused:UNUSED_PAD src0_sel:WORD_1
	v_cvt_f32_u32_sdwa v2, v8 dst_sel:DWORD dst_unused:UNUSED_PAD src0_sel:WORD_0
	v_cvt_f32_u32_sdwa v5, v9 dst_sel:DWORD dst_unused:UNUSED_PAD src0_sel:WORD_1
	v_cvt_f32_u32_sdwa v4, v9 dst_sel:DWORD dst_unused:UNUSED_PAD src0_sel:WORD_0
.LBB242_6:
	s_or_b64 exec, exec, s[10:11]
	s_mov_b32 s13, s9
	s_cbranch_execz .LBB242_8
	s_branch .LBB242_11
.LBB242_7:
                                        ; implicit-def: $vgpr2_vgpr3_vgpr4_vgpr5
	s_mov_b32 s13, s9
.LBB242_8:
	s_mov_b32 s28, 0
	s_mov_b32 s29, s28
	;; [unrolled: 1-line block ×4, first 2 shown]
	v_pk_mov_b32 v[2:3], s[28:29], s[28:29] op_sel:[0,1]
	v_pk_mov_b32 v[4:5], s[30:31], s[30:31] op_sel:[0,1]
	s_and_saveexec_b64 s[10:11], s[0:1]
	s_cbranch_execz .LBB242_10
; %bb.9:
	s_load_dwordx2 s[24:25], s[4:5], 0x38
	s_mul_hi_i32 s29, s15, s6
	s_mul_i32 s28, s15, s6
	s_lshl_b64 s[28:29], s[28:29], 1
	s_mov_b32 s27, 0x20000
	s_waitcnt lgkmcnt(0)
	s_add_u32 s24, s24, s28
	s_addc_u32 s13, s25, s29
	s_and_b32 s25, s13, 0xffff
	v_lshlrev_b32_e32 v14, 3, v0
	buffer_load_dwordx2 v[2:3], v14, s[24:27], 0 offen glc slc
	s_load_dwordx2 s[24:25], s[4:5], 0x20
	s_waitcnt vmcnt(2)
	v_cvt_f32_u32_sdwa v5, v8 dst_sel:DWORD dst_unused:UNUSED_PAD src0_sel:WORD_1
	v_cvt_f32_u32_sdwa v4, v8 dst_sel:DWORD dst_unused:UNUSED_PAD src0_sel:WORD_0
	v_cvt_f32_u32_sdwa v11, v9 dst_sel:DWORD dst_unused:UNUSED_PAD src0_sel:WORD_1
	v_cvt_f32_u32_sdwa v10, v9 dst_sel:DWORD dst_unused:UNUSED_PAD src0_sel:WORD_0
	s_mul_hi_i32 s23, s22, s6
	s_mul_i32 s22, s22, s6
	s_lshl_b64 s[22:23], s[22:23], 1
	s_waitcnt lgkmcnt(0)
	s_add_u32 s24, s24, s22
	s_mov_b32 s13, 0x7060302
	s_addc_u32 s15, s25, s23
	s_and_b32 s25, s15, 0xffff
	s_waitcnt vmcnt(0)
	v_cvt_f32_u32_sdwa v9, v2 dst_sel:DWORD dst_unused:UNUSED_PAD src0_sel:WORD_1
	v_cvt_f32_u32_sdwa v8, v2 dst_sel:DWORD dst_unused:UNUSED_PAD src0_sel:WORD_0
	v_cvt_f32_u32_sdwa v13, v3 dst_sel:DWORD dst_unused:UNUSED_PAD src0_sel:WORD_1
	v_cvt_f32_u32_sdwa v12, v3 dst_sel:DWORD dst_unused:UNUSED_PAD src0_sel:WORD_0
	v_pk_add_f32 v[2:3], v[4:5], v[8:9]
	v_perm_b32 v8, v3, v2, s13
	v_pk_add_f32 v[4:5], v[10:11], v[12:13]
	v_perm_b32 v9, v5, v4, s13
	buffer_store_dwordx2 v[8:9], v14, s[24:27], 0 offen glc slc
	;;#ASMSTART
	s_nop 0
	;;#ASMEND
.LBB242_10:
	s_or_b64 exec, exec, s[10:11]
	s_mov_b32 s13, s8
.LBB242_11:
	s_waitcnt vmcnt(1)
	v_mul_f32_e32 v8, v3, v3
	v_fmac_f32_e32 v8, v2, v2
	v_fmac_f32_e32 v8, v4, v4
	;; [unrolled: 1-line block ×3, first 2 shown]
	v_bfrev_b32_e32 v10, 0.5
	s_load_dwordx2 s[10:11], s[4:5], 0x18
	v_mov_b32_dpp v9, v8 quad_perm:[1,0,3,2] row_mask:0xf bank_mask:0xf
	v_add_f32_e32 v8, v8, v9
	s_nop 1
	v_mov_b32_dpp v9, v8 quad_perm:[2,3,0,1] row_mask:0xf bank_mask:0xf
	v_add_f32_e32 v8, v8, v9
	s_nop 1
	v_mov_b32_dpp v9, v8 row_half_mirror row_mask:0xf bank_mask:0xf
	v_add_f32_e32 v8, v8, v9
	s_nop 1
	v_mov_b32_dpp v9, v8 row_mirror row_mask:0xf bank_mask:0xf
	v_add_f32_e32 v8, v8, v9
	s_nop 1
	v_mov_b32_dpp v9, v8 row_bcast:15 row_mask:0xf bank_mask:0xf
	v_add_f32_e32 v8, v8, v9
	s_nop 1
	v_mov_b32_dpp v9, v8 row_bcast:31 row_mask:0xf bank_mask:0xf
	v_add_f32_e32 v9, v8, v9
	v_mbcnt_lo_u32_b32 v8, -1, 0
	v_mbcnt_hi_u32_b32 v8, -1, v8
	v_lshl_or_b32 v8, v8, 2, v10
	ds_bpermute_b32 v9, v8, v9
	s_waitcnt lgkmcnt(0)
	s_and_saveexec_b64 s[22:23], s[0:1]
	s_cbranch_execnz .LBB242_16
; %bb.12:
	s_or_b64 exec, exec, s[22:23]
	s_mov_b64 s[22:23], -1
	s_and_b64 vcc, exec, s[18:19]
	s_cbranch_vccnz .LBB242_17
.LBB242_13:
	s_andn2_b64 vcc, exec, s[22:23]
	s_cbranch_vccz .LBB242_20
.LBB242_14:
	s_cmp_lt_i32 s12, 1
	s_cbranch_scc0 .LBB242_23
.LBB242_15:
	s_endpgm
.LBB242_16:
	v_cvt_f32_u32_e32 v10, s7
	s_mov_b32 s7, 0x800000
	v_div_scale_f32 v11, s[24:25], v10, v10, v9
	v_rcp_f32_e32 v12, v11
	v_div_scale_f32 v13, vcc, v9, v10, v9
	v_fma_f32 v14, -v11, v12, 1.0
	v_fmac_f32_e32 v12, v14, v12
	v_mul_f32_e32 v14, v13, v12
	v_fma_f32 v15, -v11, v14, v13
	v_fmac_f32_e32 v14, v15, v12
	v_fma_f32 v11, -v11, v14, v13
	v_div_fmas_f32 v11, v11, v12, v14
	v_div_fixup_f32 v9, v11, v10, v9
	v_add_f32_e32 v9, s13, v9
	v_mul_f32_e32 v10, 0x4b800000, v9
	v_cmp_gt_f32_e32 vcc, s7, v9
	v_cndmask_b32_e32 v9, v9, v10, vcc
	v_rsq_f32_e32 v9, v9
	s_waitcnt vmcnt(0)
	v_cvt_f32_u32_sdwa v11, v6 dst_sel:DWORD dst_unused:UNUSED_PAD src0_sel:WORD_1
	v_cvt_f32_u32_sdwa v10, v6 dst_sel:DWORD dst_unused:UNUSED_PAD src0_sel:WORD_0
	v_cvt_f32_u32_sdwa v13, v7 dst_sel:DWORD dst_unused:UNUSED_PAD src0_sel:WORD_1
	v_cvt_f32_u32_sdwa v12, v7 dst_sel:DWORD dst_unused:UNUSED_PAD src0_sel:WORD_0
	v_mul_f32_e32 v6, 0x45800000, v9
	v_cndmask_b32_e32 v14, v9, v6, vcc
	v_mov_b32_e32 v15, v14
	;;#ASMSTART
	v_pk_mul_f32 v[2:3], v[2:3], v[14:15]
	;;#ASMEND
	;;#ASMSTART
	v_pk_mul_f32 v[4:5], v[4:5], v[14:15]
	;;#ASMEND
	v_pk_add_f32 v[6:7], v[10:11], 1.0 op_sel_hi:[1,0]
	;;#ASMSTART
	v_pk_mul_f32 v[2:3], v[2:3], v[6:7]
	;;#ASMEND
	v_pk_add_f32 v[6:7], v[12:13], 1.0 op_sel_hi:[1,0]
	;;#ASMSTART
	v_pk_mul_f32 v[4:5], v[4:5], v[6:7]
	;;#ASMEND
	s_or_b64 exec, exec, s[22:23]
	s_mov_b64 s[22:23], -1
	s_and_b64 vcc, exec, s[18:19]
	s_cbranch_vccz .LBB242_13
.LBB242_17:
	s_and_saveexec_b64 s[18:19], s[0:1]
	s_cbranch_execz .LBB242_19
; %bb.18:
	s_mul_hi_i32 s23, s21, s6
	s_mul_i32 s22, s21, s6
	s_lshl_b64 s[22:23], s[22:23], 1
	s_add_u32 s24, s10, s22
	s_addc_u32 s7, s11, s23
	s_and_b32 s25, s7, 0xffff
	s_mov_b32 s7, 0x7060302
	s_mov_b32 s27, 0x20000
	s_waitcnt vmcnt(0)
	v_perm_b32 v6, v3, v2, s7
	v_perm_b32 v7, v5, v4, s7
	v_lshlrev_b32_e32 v9, 3, v0
	buffer_store_dwordx2 v[6:7], v9, s[24:27], 0 offen
	;;#ASMSTART
	s_nop 0
	;;#ASMEND
.LBB242_19:
	s_or_b64 exec, exec, s[18:19]
	s_cbranch_execnz .LBB242_14
.LBB242_20:
	s_and_saveexec_b64 s[18:19], s[0:1]
	s_cbranch_execz .LBB242_22
; %bb.21:
	s_load_dwordx2 s[0:1], s[4:5], 0x10
	s_mul_hi_i32 s23, s20, s6
	s_mul_i32 s22, s20, s6
	s_lshl_b64 s[22:23], s[22:23], 1
	s_mov_b32 s27, 0x20000
	s_waitcnt lgkmcnt(0)
	s_add_u32 s24, s0, s22
	s_addc_u32 s0, s1, s23
	s_and_b32 s25, s0, 0xffff
	s_mov_b32 s0, 0x7060302
	v_perm_b32 v2, v3, v2, s0
	v_perm_b32 v3, v5, v4, s0
	v_lshlrev_b32_e32 v4, 3, v0
	buffer_store_dwordx2 v[2:3], v4, s[24:27], 0 offen
	;;#ASMSTART
	s_nop 0
	;;#ASMEND
.LBB242_22:
	s_or_b64 exec, exec, s[18:19]
	s_cmp_lt_i32 s12, 1
	s_cbranch_scc1 .LBB242_15
.LBB242_23:
	s_load_dword s0, s[4:5], 0x94
	s_waitcnt lgkmcnt(0)
	s_cmp_lg_u32 s0, 1
	s_cbranch_scc1 .LBB242_15
; %bb.24:
	s_lshl_b32 s0, s12, 1
	s_add_i32 s0, s0, 2
	v_cmp_gt_u32_e32 vcc, s12, v1
	s_and_b32 s18, s0, -4
	v_mov_b32_e32 v2, 0
	s_waitcnt vmcnt(0)
	v_lshlrev_b32_e32 v6, 3, v0
	v_mov_b32_e32 v3, 0
	v_mov_b32_e32 v0, 0
	;; [unrolled: 1-line block ×3, first 2 shown]
	s_barrier
	s_and_saveexec_b64 s[0:1], vcc
	s_cbranch_execz .LBB242_26
; %bb.25:
	s_mul_hi_i32 s5, s14, s6
	s_mul_i32 s4, s14, s6
	s_and_b32 s17, s17, 0xffff
	s_lshl_b64 s[4:5], s[4:5], 1
	s_add_u32 s24, s2, s4
	s_mov_b32 s19, 0x20000
	s_addc_u32 s2, s3, s5
	s_and_b32 s25, s2, 0xffff
	s_mov_b32 s26, s18
	s_mov_b32 s27, s19
	buffer_load_dwordx2 v[2:3], v6, s[24:27], 0 offen glc slc
	buffer_load_dwordx2 v[0:1], v6, s[16:19], 0 offen
.LBB242_26:
	s_or_b64 exec, exec, s[0:1]
	s_waitcnt vmcnt(1)
	v_cvt_f32_u32_sdwa v5, v3 dst_sel:DWORD dst_unused:UNUSED_PAD src0_sel:WORD_0
	v_cvt_f32_u32_sdwa v7, v2 dst_sel:DWORD dst_unused:UNUSED_PAD src0_sel:WORD_1
	v_cvt_f32_u32_sdwa v4, v3 dst_sel:DWORD dst_unused:UNUSED_PAD src0_sel:WORD_1
	v_cvt_f32_u32_sdwa v9, v2 dst_sel:DWORD dst_unused:UNUSED_PAD src0_sel:WORD_0
	v_cndmask_b32_e32 v2, 0, v5, vcc
	v_cndmask_b32_e32 v5, 0, v7, vcc
	;; [unrolled: 1-line block ×4, first 2 shown]
	v_mul_f32_e32 v7, v5, v5
	v_fmac_f32_e32 v7, v4, v4
	v_fmac_f32_e32 v7, v2, v2
	;; [unrolled: 1-line block ×3, first 2 shown]
	s_nop 1
	v_mov_b32_dpp v9, v7 quad_perm:[1,0,3,2] row_mask:0xf bank_mask:0xf
	v_add_f32_e32 v7, v7, v9
	s_nop 1
	v_mov_b32_dpp v9, v7 quad_perm:[2,3,0,1] row_mask:0xf bank_mask:0xf
	v_add_f32_e32 v7, v7, v9
	s_nop 1
	v_mov_b32_dpp v9, v7 row_half_mirror row_mask:0xf bank_mask:0xf
	v_add_f32_e32 v7, v7, v9
	s_nop 1
	v_mov_b32_dpp v9, v7 row_mirror row_mask:0xf bank_mask:0xf
	v_add_f32_e32 v7, v7, v9
	s_nop 1
	v_mov_b32_dpp v9, v7 row_bcast:15 row_mask:0xf bank_mask:0xf
	v_add_f32_e32 v7, v7, v9
	s_nop 1
	v_mov_b32_dpp v9, v7 row_bcast:31 row_mask:0xf bank_mask:0xf
	v_add_f32_e32 v7, v7, v9
	ds_bpermute_b32 v7, v8, v7
	s_and_saveexec_b64 s[0:1], vcc
	s_cbranch_execz .LBB242_15
; %bb.27:
	v_cvt_f32_u32_e32 v8, s12
	s_mov_b32 s19, 0x20000
	s_waitcnt lgkmcnt(0)
	v_div_scale_f32 v9, s[0:1], v8, v8, v7
	v_rcp_f32_e32 v10, v9
	v_div_scale_f32 v11, vcc, v7, v8, v7
	s_mov_b32 s0, 0x800000
	v_fma_f32 v12, -v9, v10, 1.0
	v_fmac_f32_e32 v10, v12, v10
	v_mul_f32_e32 v12, v11, v10
	v_fma_f32 v13, -v9, v12, v11
	v_fmac_f32_e32 v12, v13, v10
	v_fma_f32 v9, -v9, v12, v11
	v_div_fmas_f32 v9, v9, v10, v12
	v_div_fixup_f32 v7, v9, v8, v7
	v_add_f32_e32 v7, s9, v7
	v_mul_f32_e32 v8, 0x4b800000, v7
	v_cmp_gt_f32_e32 vcc, s0, v7
	v_cndmask_b32_e32 v7, v7, v8, vcc
	v_rsq_f32_e32 v7, v7
	s_waitcnt vmcnt(0)
	v_cvt_f32_u32_sdwa v9, v0 dst_sel:DWORD dst_unused:UNUSED_PAD src0_sel:WORD_1
	v_cvt_f32_u32_sdwa v8, v0 dst_sel:DWORD dst_unused:UNUSED_PAD src0_sel:WORD_0
	s_mul_hi_i32 s1, s21, s6
	s_mul_i32 s0, s21, s6
	v_cvt_f32_u32_sdwa v11, v1 dst_sel:DWORD dst_unused:UNUSED_PAD src0_sel:WORD_1
	v_mul_f32_e32 v0, 0x45800000, v7
	v_cvt_f32_u32_sdwa v10, v1 dst_sel:DWORD dst_unused:UNUSED_PAD src0_sel:WORD_0
	s_lshl_b64 s[0:1], s[0:1], 1
	v_cndmask_b32_e32 v12, v7, v0, vcc
	s_add_u32 s16, s10, s0
	v_mov_b32_e32 v13, v12
	;;#ASMSTART
	v_pk_mul_f32 v[4:5], v[4:5], v[12:13]
	;;#ASMEND
	;;#ASMSTART
	v_pk_mul_f32 v[0:1], v[2:3], v[12:13]
	;;#ASMEND
	v_pk_add_f32 v[2:3], v[8:9], 1.0 op_sel_hi:[1,0]
	s_addc_u32 s0, s11, s1
	;;#ASMSTART
	v_pk_mul_f32 v[2:3], v[4:5], v[2:3]
	;;#ASMEND
	s_and_b32 s17, s0, 0xffff
	s_mov_b32 s0, 0x7060302
	v_pk_add_f32 v[4:5], v[10:11], 1.0 op_sel_hi:[1,0]
	;;#ASMSTART
	v_pk_mul_f32 v[0:1], v[0:1], v[4:5]
	;;#ASMEND
	v_perm_b32 v2, v3, v2, s0
	v_perm_b32 v3, v1, v0, s0
	buffer_store_dwordx2 v[2:3], v6, s[16:19], 0 offen
	;;#ASMSTART
	s_nop 0
	;;#ASMEND
	s_endpgm
	.section	.rodata,"a",@progbits
	.p2align	6, 0x0
	.amdhsa_kernel _ZN5aiter35fused_qk_rmsnorm_group_quant_kernelItDB8_Li64ELi4ELi32ELb1ELb1ELb1ELb1ELb0ELb0EEEvPT0_PvPT_S6_S6_PKS5_S8_S8_S8_S8_ffiiiiiiiiiiiii
		.amdhsa_group_segment_fixed_size 0
		.amdhsa_private_segment_fixed_size 0
		.amdhsa_kernarg_size 400
		.amdhsa_user_sgpr_count 6
		.amdhsa_user_sgpr_private_segment_buffer 1
		.amdhsa_user_sgpr_dispatch_ptr 0
		.amdhsa_user_sgpr_queue_ptr 0
		.amdhsa_user_sgpr_kernarg_segment_ptr 1
		.amdhsa_user_sgpr_dispatch_id 0
		.amdhsa_user_sgpr_flat_scratch_init 0
		.amdhsa_user_sgpr_kernarg_preload_length 0
		.amdhsa_user_sgpr_kernarg_preload_offset 0
		.amdhsa_user_sgpr_private_segment_size 0
		.amdhsa_uses_dynamic_stack 0
		.amdhsa_system_sgpr_private_segment_wavefront_offset 0
		.amdhsa_system_sgpr_workgroup_id_x 1
		.amdhsa_system_sgpr_workgroup_id_y 1
		.amdhsa_system_sgpr_workgroup_id_z 0
		.amdhsa_system_sgpr_workgroup_info 0
		.amdhsa_system_vgpr_workitem_id 0
		.amdhsa_next_free_vgpr 16
		.amdhsa_next_free_sgpr 32
		.amdhsa_accum_offset 16
		.amdhsa_reserve_vcc 1
		.amdhsa_reserve_flat_scratch 0
		.amdhsa_float_round_mode_32 0
		.amdhsa_float_round_mode_16_64 0
		.amdhsa_float_denorm_mode_32 3
		.amdhsa_float_denorm_mode_16_64 3
		.amdhsa_dx10_clamp 1
		.amdhsa_ieee_mode 1
		.amdhsa_fp16_overflow 0
		.amdhsa_tg_split 0
		.amdhsa_exception_fp_ieee_invalid_op 0
		.amdhsa_exception_fp_denorm_src 0
		.amdhsa_exception_fp_ieee_div_zero 0
		.amdhsa_exception_fp_ieee_overflow 0
		.amdhsa_exception_fp_ieee_underflow 0
		.amdhsa_exception_fp_ieee_inexact 0
		.amdhsa_exception_int_div_zero 0
	.end_amdhsa_kernel
	.section	.text._ZN5aiter35fused_qk_rmsnorm_group_quant_kernelItDB8_Li64ELi4ELi32ELb1ELb1ELb1ELb1ELb0ELb0EEEvPT0_PvPT_S6_S6_PKS5_S8_S8_S8_S8_ffiiiiiiiiiiiii,"axG",@progbits,_ZN5aiter35fused_qk_rmsnorm_group_quant_kernelItDB8_Li64ELi4ELi32ELb1ELb1ELb1ELb1ELb0ELb0EEEvPT0_PvPT_S6_S6_PKS5_S8_S8_S8_S8_ffiiiiiiiiiiiii,comdat
.Lfunc_end242:
	.size	_ZN5aiter35fused_qk_rmsnorm_group_quant_kernelItDB8_Li64ELi4ELi32ELb1ELb1ELb1ELb1ELb0ELb0EEEvPT0_PvPT_S6_S6_PKS5_S8_S8_S8_S8_ffiiiiiiiiiiiii, .Lfunc_end242-_ZN5aiter35fused_qk_rmsnorm_group_quant_kernelItDB8_Li64ELi4ELi32ELb1ELb1ELb1ELb1ELb0ELb0EEEvPT0_PvPT_S6_S6_PKS5_S8_S8_S8_S8_ffiiiiiiiiiiiii
                                        ; -- End function
	.section	.AMDGPU.csdata,"",@progbits
; Kernel info:
; codeLenInByte = 1884
; NumSgprs: 36
; NumVgprs: 16
; NumAgprs: 0
; TotalNumVgprs: 16
; ScratchSize: 0
; MemoryBound: 0
; FloatMode: 240
; IeeeMode: 1
; LDSByteSize: 0 bytes/workgroup (compile time only)
; SGPRBlocks: 4
; VGPRBlocks: 1
; NumSGPRsForWavesPerEU: 36
; NumVGPRsForWavesPerEU: 16
; AccumOffset: 16
; Occupancy: 8
; WaveLimiterHint : 0
; COMPUTE_PGM_RSRC2:SCRATCH_EN: 0
; COMPUTE_PGM_RSRC2:USER_SGPR: 6
; COMPUTE_PGM_RSRC2:TRAP_HANDLER: 0
; COMPUTE_PGM_RSRC2:TGID_X_EN: 1
; COMPUTE_PGM_RSRC2:TGID_Y_EN: 1
; COMPUTE_PGM_RSRC2:TGID_Z_EN: 0
; COMPUTE_PGM_RSRC2:TIDIG_COMP_CNT: 0
; COMPUTE_PGM_RSRC3_GFX90A:ACCUM_OFFSET: 3
; COMPUTE_PGM_RSRC3_GFX90A:TG_SPLIT: 0
	.section	.text._ZN5aiter35fused_qk_rmsnorm_group_quant_kernelIDF16_DB8_Li64ELi4ELi32ELb1ELb1ELb0ELb1ELb0ELb0EEEvPT0_PvPT_S6_S6_PKS5_S8_S8_S8_S8_ffiiiiiiiiiiiii,"axG",@progbits,_ZN5aiter35fused_qk_rmsnorm_group_quant_kernelIDF16_DB8_Li64ELi4ELi32ELb1ELb1ELb0ELb1ELb0ELb0EEEvPT0_PvPT_S6_S6_PKS5_S8_S8_S8_S8_ffiiiiiiiiiiiii,comdat
	.protected	_ZN5aiter35fused_qk_rmsnorm_group_quant_kernelIDF16_DB8_Li64ELi4ELi32ELb1ELb1ELb0ELb1ELb0ELb0EEEvPT0_PvPT_S6_S6_PKS5_S8_S8_S8_S8_ffiiiiiiiiiiiii ; -- Begin function _ZN5aiter35fused_qk_rmsnorm_group_quant_kernelIDF16_DB8_Li64ELi4ELi32ELb1ELb1ELb0ELb1ELb0ELb0EEEvPT0_PvPT_S6_S6_PKS5_S8_S8_S8_S8_ffiiiiiiiiiiiii
	.globl	_ZN5aiter35fused_qk_rmsnorm_group_quant_kernelIDF16_DB8_Li64ELi4ELi32ELb1ELb1ELb0ELb1ELb0ELb0EEEvPT0_PvPT_S6_S6_PKS5_S8_S8_S8_S8_ffiiiiiiiiiiiii
	.p2align	8
	.type	_ZN5aiter35fused_qk_rmsnorm_group_quant_kernelIDF16_DB8_Li64ELi4ELi32ELb1ELb1ELb0ELb1ELb0ELb0EEEvPT0_PvPT_S6_S6_PKS5_S8_S8_S8_S8_ffiiiiiiiiiiiii,@function
_ZN5aiter35fused_qk_rmsnorm_group_quant_kernelIDF16_DB8_Li64ELi4ELi32ELb1ELb1ELb0ELb1ELb0ELb0EEEvPT0_PvPT_S6_S6_PKS5_S8_S8_S8_S8_ffiiiiiiiiiiiii: ; @_ZN5aiter35fused_qk_rmsnorm_group_quant_kernelIDF16_DB8_Li64ELi4ELi32ELb1ELb1ELb0ELb1ELb0ELb0EEEvPT0_PvPT_S6_S6_PKS5_S8_S8_S8_S8_ffiiiiiiiiiiiii
; %bb.0:
	s_load_dwordx8 s[8:15], s[4:5], 0x50
	s_waitcnt lgkmcnt(0)
	s_cmp_ge_i32 s6, s10
	s_cbranch_scc1 .LBB243_15
; %bb.1:
	s_cmp_lg_u32 s7, 0
	s_cselect_b64 s[18:19], -1, 0
	s_cmp_eq_u32 s7, 0
	s_cselect_b64 s[20:21], -1, 0
	s_and_b64 s[0:1], s[20:21], exec
	s_cselect_b32 s7, s11, s12
	s_load_dwordx2 s[2:3], s[4:5], 0x30
	s_load_dwordx2 s[16:17], s[4:5], 0x48
	s_add_i32 s0, s7, 1
	s_lshr_b32 s1, s0, 31
	s_add_i32 s0, s0, s1
	s_lshl_b32 s0, s0, 1
	v_lshlrev_b32_e32 v1, 2, v0
	s_and_b32 s26, s0, -4
	v_cmp_gt_i32_e64 s[0:1], s7, v1
	v_mov_b32_e32 v2, 0
	v_mov_b32_e32 v3, 0
	;; [unrolled: 1-line block ×4, first 2 shown]
	s_and_saveexec_b64 s[10:11], s[0:1]
	s_cbranch_execz .LBB243_3
; %bb.2:
	s_load_dwordx2 s[22:23], s[4:5], 0x28
	s_load_dwordx2 s[24:25], s[4:5], 0x40
	s_and_b64 s[28:29], s[20:21], exec
	s_cselect_b32 s13, s13, s14
	v_lshlrev_b32_e32 v4, 3, v0
	s_waitcnt lgkmcnt(0)
	s_cselect_b32 s27, s23, s3
	s_cselect_b32 s28, s22, s2
	s_mul_hi_i32 s23, s13, s6
	s_mul_i32 s22, s13, s6
	s_lshl_b64 s[22:23], s[22:23], 1
	s_add_u32 s28, s28, s22
	s_addc_u32 s13, s27, s23
	s_and_b64 s[20:21], s[20:21], exec
	s_mov_b32 s27, 0x20000
	s_cselect_b32 s24, s24, s16
	s_cselect_b32 s20, s25, s17
	s_and_b32 s29, s13, 0xffff
	s_mov_b32 s30, s26
	s_mov_b32 s31, s27
	s_and_b32 s25, s20, 0xffff
	buffer_load_dwordx2 v[8:9], v4, s[28:31], 0 offen glc slc
	buffer_load_dwordx2 v[2:3], v4, s[24:27], 0 offen
.LBB243_3:
	s_or_b64 exec, exec, s[10:11]
	s_load_dwordx4 s[20:23], s[4:5], 0x7c
	s_and_b64 vcc, exec, s[18:19]
	s_cbranch_vccz .LBB243_7
; %bb.4:
	v_mov_b32_e32 v7, 0
	v_mov_b32_e32 v6, 0
	;; [unrolled: 1-line block ×4, first 2 shown]
	s_and_saveexec_b64 s[10:11], s[0:1]
	s_cbranch_execz .LBB243_6
; %bb.5:
	s_waitcnt vmcnt(1)
	v_cvt_f32_f16_sdwa v5, v8 dst_sel:DWORD dst_unused:UNUSED_PAD src0_sel:WORD_1
	v_cvt_f32_f16_e32 v4, v8
	v_cvt_f32_f16_sdwa v7, v9 dst_sel:DWORD dst_unused:UNUSED_PAD src0_sel:WORD_1
	v_cvt_f32_f16_e32 v6, v9
.LBB243_6:
	s_or_b64 exec, exec, s[10:11]
	s_mov_b32 s13, s9
	s_cbranch_execz .LBB243_8
	s_branch .LBB243_11
.LBB243_7:
                                        ; implicit-def: $vgpr7
                                        ; implicit-def: $vgpr5
	s_mov_b32 s13, s9
.LBB243_8:
	v_mov_b32_e32 v7, 0
	v_mov_b32_e32 v6, 0
	;; [unrolled: 1-line block ×4, first 2 shown]
	s_and_saveexec_b64 s[10:11], s[0:1]
	s_cbranch_execz .LBB243_10
; %bb.9:
	s_load_dwordx2 s[24:25], s[4:5], 0x38
	s_mul_hi_i32 s29, s15, s6
	s_mul_i32 s28, s15, s6
	s_lshl_b64 s[28:29], s[28:29], 1
	s_mov_b32 s27, 0x20000
	s_waitcnt lgkmcnt(0)
	s_add_u32 s24, s24, s28
	s_addc_u32 s13, s25, s29
	s_and_b32 s25, s13, 0xffff
	v_lshlrev_b32_e32 v14, 3, v0
	buffer_load_dwordx2 v[4:5], v14, s[24:27], 0 offen glc slc
	s_waitcnt vmcnt(2)
	v_cvt_f32_f16_sdwa v7, v8 dst_sel:DWORD dst_unused:UNUSED_PAD src0_sel:WORD_1
	v_cvt_f32_f16_e32 v6, v8
	v_cvt_f32_f16_sdwa v11, v9 dst_sel:DWORD dst_unused:UNUSED_PAD src0_sel:WORD_1
	v_cvt_f32_f16_e32 v10, v9
	s_load_dwordx2 s[24:25], s[4:5], 0x20
	s_mul_hi_i32 s23, s22, s6
	s_mul_i32 s22, s22, s6
	s_lshl_b64 s[22:23], s[22:23], 1
	s_waitcnt lgkmcnt(0)
	s_add_u32 s24, s24, s22
	s_addc_u32 s13, s25, s23
	s_and_b32 s25, s13, 0xffff
	s_waitcnt vmcnt(0)
	v_cvt_f32_f16_e32 v8, v4
	v_cvt_f32_f16_sdwa v9, v4 dst_sel:DWORD dst_unused:UNUSED_PAD src0_sel:WORD_1
	v_cvt_f32_f16_e32 v12, v5
	v_cvt_f32_f16_sdwa v13, v5 dst_sel:DWORD dst_unused:UNUSED_PAD src0_sel:WORD_1
	v_pk_add_f32 v[4:5], v[6:7], v[8:9]
	v_cvt_f16_f32_e32 v8, v5
	v_pk_add_f32 v[6:7], v[10:11], v[12:13]
	v_cvt_f16_f32_e32 v9, v7
	v_cvt_f16_f32_e32 v10, v6
	;; [unrolled: 1-line block ×3, first 2 shown]
	v_pack_b32_f16 v9, v10, v9
	v_pack_b32_f16 v8, v11, v8
	buffer_store_dwordx2 v[8:9], v14, s[24:27], 0 offen glc slc
	;;#ASMSTART
	s_nop 0
	;;#ASMEND
.LBB243_10:
	s_or_b64 exec, exec, s[10:11]
	s_mov_b32 s13, s8
.LBB243_11:
	s_waitcnt vmcnt(1)
	v_mul_f32_e32 v8, v5, v5
	v_fmac_f32_e32 v8, v4, v4
	v_fmac_f32_e32 v8, v6, v6
	;; [unrolled: 1-line block ×3, first 2 shown]
	v_bfrev_b32_e32 v10, 0.5
	s_load_dwordx2 s[10:11], s[4:5], 0x18
	v_mov_b32_dpp v9, v8 quad_perm:[1,0,3,2] row_mask:0xf bank_mask:0xf
	v_add_f32_e32 v8, v8, v9
	s_nop 1
	v_mov_b32_dpp v9, v8 quad_perm:[2,3,0,1] row_mask:0xf bank_mask:0xf
	v_add_f32_e32 v8, v8, v9
	s_nop 1
	v_mov_b32_dpp v9, v8 row_half_mirror row_mask:0xf bank_mask:0xf
	v_add_f32_e32 v8, v8, v9
	s_nop 1
	v_mov_b32_dpp v9, v8 row_mirror row_mask:0xf bank_mask:0xf
	v_add_f32_e32 v8, v8, v9
	s_nop 1
	v_mov_b32_dpp v9, v8 row_bcast:15 row_mask:0xf bank_mask:0xf
	v_add_f32_e32 v8, v8, v9
	s_nop 1
	v_mov_b32_dpp v9, v8 row_bcast:31 row_mask:0xf bank_mask:0xf
	v_add_f32_e32 v9, v8, v9
	v_mbcnt_lo_u32_b32 v8, -1, 0
	v_mbcnt_hi_u32_b32 v8, -1, v8
	v_lshl_or_b32 v8, v8, 2, v10
	ds_bpermute_b32 v9, v8, v9
	s_waitcnt lgkmcnt(0)
	s_and_saveexec_b64 s[22:23], s[0:1]
	s_cbranch_execnz .LBB243_16
; %bb.12:
	s_or_b64 exec, exec, s[22:23]
	s_mov_b64 s[22:23], -1
	s_and_b64 vcc, exec, s[18:19]
	s_cbranch_vccnz .LBB243_17
.LBB243_13:
	s_andn2_b64 vcc, exec, s[22:23]
	s_cbranch_vccz .LBB243_20
.LBB243_14:
	s_cmp_lt_i32 s12, 1
	s_cbranch_scc0 .LBB243_23
.LBB243_15:
	s_endpgm
.LBB243_16:
	v_cvt_f32_u32_e32 v10, s7
	s_mov_b32 s7, 0x800000
	v_div_scale_f32 v11, s[24:25], v10, v10, v9
	v_rcp_f32_e32 v12, v11
	v_div_scale_f32 v13, vcc, v9, v10, v9
	v_fma_f32 v14, -v11, v12, 1.0
	v_fmac_f32_e32 v12, v14, v12
	v_mul_f32_e32 v14, v13, v12
	v_fma_f32 v15, -v11, v14, v13
	v_fmac_f32_e32 v14, v15, v12
	v_fma_f32 v11, -v11, v14, v13
	v_div_fmas_f32 v11, v11, v12, v14
	v_div_fixup_f32 v9, v11, v10, v9
	v_add_f32_e32 v9, s13, v9
	v_mul_f32_e32 v10, 0x4b800000, v9
	v_cmp_gt_f32_e32 vcc, s7, v9
	v_cndmask_b32_e32 v9, v9, v10, vcc
	v_rsq_f32_e32 v9, v9
	s_waitcnt vmcnt(0)
	v_cvt_f32_f16_sdwa v11, v2 dst_sel:DWORD dst_unused:UNUSED_PAD src0_sel:WORD_1
	v_cvt_f32_f16_e32 v10, v2
	v_cvt_f32_f16_sdwa v13, v3 dst_sel:DWORD dst_unused:UNUSED_PAD src0_sel:WORD_1
	v_mul_f32_e32 v2, 0x45800000, v9
	v_cndmask_b32_e32 v14, v9, v2, vcc
	v_mov_b32_e32 v15, v14
	v_cvt_f32_f16_e32 v12, v3
	;;#ASMSTART
	v_pk_mul_f32 v[2:3], v[4:5], v[14:15]
	;;#ASMEND
	;;#ASMSTART
	v_pk_mul_f32 v[6:7], v[6:7], v[14:15]
	;;#ASMEND
	;;#ASMSTART
	v_pk_mul_f32 v[4:5], v[2:3], v[10:11]
	;;#ASMEND
	;;#ASMSTART
	v_pk_mul_f32 v[6:7], v[6:7], v[12:13]
	;;#ASMEND
	s_or_b64 exec, exec, s[22:23]
	s_mov_b64 s[22:23], -1
	s_and_b64 vcc, exec, s[18:19]
	s_cbranch_vccz .LBB243_13
.LBB243_17:
	s_and_saveexec_b64 s[18:19], s[0:1]
	s_cbranch_execz .LBB243_19
; %bb.18:
	s_mul_hi_i32 s23, s21, s6
	s_mul_i32 s22, s21, s6
	s_waitcnt vmcnt(0)
	v_cvt_f16_f32_e32 v2, v4
	v_cvt_f16_f32_e32 v3, v6
	;; [unrolled: 1-line block ×4, first 2 shown]
	s_lshl_b64 s[22:23], s[22:23], 1
	s_add_u32 s24, s10, s22
	s_addc_u32 s7, s11, s23
	s_and_b32 s25, s7, 0xffff
	s_mov_b32 s27, 0x20000
	v_pack_b32_f16 v3, v3, v9
	v_pack_b32_f16 v2, v2, v10
	v_lshlrev_b32_e32 v9, 3, v0
	buffer_store_dwordx2 v[2:3], v9, s[24:27], 0 offen
	;;#ASMSTART
	s_nop 0
	;;#ASMEND
.LBB243_19:
	s_or_b64 exec, exec, s[18:19]
	s_cbranch_execnz .LBB243_14
.LBB243_20:
	s_and_saveexec_b64 s[18:19], s[0:1]
	s_cbranch_execz .LBB243_22
; %bb.21:
	s_load_dwordx2 s[0:1], s[4:5], 0x10
	s_mul_hi_i32 s23, s20, s6
	s_mul_i32 s22, s20, s6
	s_waitcnt vmcnt(0)
	v_cvt_f16_f32_e32 v2, v4
	v_cvt_f16_f32_e32 v3, v6
	;; [unrolled: 1-line block ×4, first 2 shown]
	s_lshl_b64 s[22:23], s[22:23], 1
	s_waitcnt lgkmcnt(0)
	s_add_u32 s24, s0, s22
	s_addc_u32 s0, s1, s23
	s_and_b32 s25, s0, 0xffff
	s_mov_b32 s27, 0x20000
	v_pack_b32_f16 v3, v3, v4
	v_pack_b32_f16 v2, v2, v5
	v_lshlrev_b32_e32 v4, 3, v0
	buffer_store_dwordx2 v[2:3], v4, s[24:27], 0 offen
	;;#ASMSTART
	s_nop 0
	;;#ASMEND
.LBB243_22:
	s_or_b64 exec, exec, s[18:19]
	s_cmp_lt_i32 s12, 1
	s_cbranch_scc1 .LBB243_15
.LBB243_23:
	s_load_dword s0, s[4:5], 0x94
	s_waitcnt lgkmcnt(0)
	s_cmp_lg_u32 s0, 1
	s_cbranch_scc1 .LBB243_15
; %bb.24:
	s_lshl_b32 s0, s12, 1
	s_add_i32 s0, s0, 2
	v_cmp_gt_u32_e32 vcc, s12, v1
	s_and_b32 s18, s0, -4
	s_waitcnt vmcnt(0)
	v_mov_b32_e32 v2, 0
	v_lshlrev_b32_e32 v6, 3, v0
	v_mov_b32_e32 v3, 0
	v_mov_b32_e32 v0, 0
	;; [unrolled: 1-line block ×3, first 2 shown]
	s_barrier
	s_and_saveexec_b64 s[0:1], vcc
	s_cbranch_execz .LBB243_26
; %bb.25:
	s_mul_hi_i32 s5, s14, s6
	s_mul_i32 s4, s14, s6
	s_and_b32 s17, s17, 0xffff
	s_lshl_b64 s[4:5], s[4:5], 1
	s_add_u32 s24, s2, s4
	s_mov_b32 s19, 0x20000
	s_addc_u32 s2, s3, s5
	s_and_b32 s25, s2, 0xffff
	s_mov_b32 s26, s18
	s_mov_b32 s27, s19
	buffer_load_dwordx2 v[2:3], v6, s[24:27], 0 offen glc slc
	buffer_load_dwordx2 v[0:1], v6, s[16:19], 0 offen
.LBB243_26:
	s_or_b64 exec, exec, s[0:1]
	s_waitcnt vmcnt(1)
	v_cvt_f32_f16_e32 v4, v3
	v_cvt_f32_f16_e32 v5, v2
	v_cvt_f32_f16_sdwa v7, v2 dst_sel:DWORD dst_unused:UNUSED_PAD src0_sel:WORD_1
	v_cvt_f32_f16_sdwa v3, v3 dst_sel:DWORD dst_unused:UNUSED_PAD src0_sel:WORD_1
	v_cndmask_b32_e32 v2, 0, v4, vcc
	v_cndmask_b32_e32 v4, 0, v5, vcc
	;; [unrolled: 1-line block ×3, first 2 shown]
	v_mul_f32_e32 v7, v5, v5
	v_fmac_f32_e32 v7, v4, v4
	v_cndmask_b32_e32 v3, 0, v3, vcc
	v_fmac_f32_e32 v7, v2, v2
	v_fmac_f32_e32 v7, v3, v3
	s_nop 1
	v_mov_b32_dpp v9, v7 quad_perm:[1,0,3,2] row_mask:0xf bank_mask:0xf
	v_add_f32_e32 v7, v7, v9
	s_nop 1
	v_mov_b32_dpp v9, v7 quad_perm:[2,3,0,1] row_mask:0xf bank_mask:0xf
	v_add_f32_e32 v7, v7, v9
	s_nop 1
	v_mov_b32_dpp v9, v7 row_half_mirror row_mask:0xf bank_mask:0xf
	v_add_f32_e32 v7, v7, v9
	s_nop 1
	v_mov_b32_dpp v9, v7 row_mirror row_mask:0xf bank_mask:0xf
	v_add_f32_e32 v7, v7, v9
	s_nop 1
	v_mov_b32_dpp v9, v7 row_bcast:15 row_mask:0xf bank_mask:0xf
	v_add_f32_e32 v7, v7, v9
	s_nop 1
	v_mov_b32_dpp v9, v7 row_bcast:31 row_mask:0xf bank_mask:0xf
	v_add_f32_e32 v7, v7, v9
	ds_bpermute_b32 v7, v8, v7
	s_and_saveexec_b64 s[0:1], vcc
	s_cbranch_execz .LBB243_15
; %bb.27:
	v_cvt_f32_u32_e32 v8, s12
	s_mov_b32 s19, 0x20000
	s_waitcnt lgkmcnt(0)
	v_div_scale_f32 v9, s[0:1], v8, v8, v7
	v_rcp_f32_e32 v10, v9
	v_div_scale_f32 v11, vcc, v7, v8, v7
	s_mov_b32 s0, 0x800000
	v_fma_f32 v12, -v9, v10, 1.0
	v_fmac_f32_e32 v10, v12, v10
	v_mul_f32_e32 v12, v11, v10
	v_fma_f32 v13, -v9, v12, v11
	v_fmac_f32_e32 v12, v13, v10
	v_fma_f32 v9, -v9, v12, v11
	v_div_fmas_f32 v9, v9, v10, v12
	v_div_fixup_f32 v7, v9, v8, v7
	v_add_f32_e32 v7, s9, v7
	v_mul_f32_e32 v8, 0x4b800000, v7
	v_cmp_gt_f32_e32 vcc, s0, v7
	v_cndmask_b32_e32 v7, v7, v8, vcc
	v_rsq_f32_e32 v7, v7
	s_waitcnt vmcnt(0)
	v_cvt_f32_f16_sdwa v9, v0 dst_sel:DWORD dst_unused:UNUSED_PAD src0_sel:WORD_1
	v_cvt_f32_f16_e32 v8, v0
	v_cvt_f32_f16_sdwa v11, v1 dst_sel:DWORD dst_unused:UNUSED_PAD src0_sel:WORD_1
	v_mul_f32_e32 v0, 0x45800000, v7
	v_cndmask_b32_e32 v12, v7, v0, vcc
	v_mov_b32_e32 v13, v12
	v_cvt_f32_f16_e32 v10, v1
	;;#ASMSTART
	v_pk_mul_f32 v[0:1], v[4:5], v[12:13]
	;;#ASMEND
	;;#ASMSTART
	v_pk_mul_f32 v[2:3], v[2:3], v[12:13]
	;;#ASMEND
	;; [unrolled: 3-line block ×4, first 2 shown]
	s_mul_hi_i32 s1, s21, s6
	s_mul_i32 s0, s21, s6
	v_cvt_f16_f32_e32 v0, v0
	v_cvt_f16_f32_e32 v1, v1
	;; [unrolled: 1-line block ×4, first 2 shown]
	s_lshl_b64 s[0:1], s[0:1], 1
	s_add_u32 s16, s10, s0
	s_addc_u32 s0, s11, s1
	s_and_b32 s17, s0, 0xffff
	v_pack_b32_f16 v0, v0, v1
	v_pack_b32_f16 v1, v2, v3
	buffer_store_dwordx2 v[0:1], v6, s[16:19], 0 offen
	;;#ASMSTART
	s_nop 0
	;;#ASMEND
	s_endpgm
	.section	.rodata,"a",@progbits
	.p2align	6, 0x0
	.amdhsa_kernel _ZN5aiter35fused_qk_rmsnorm_group_quant_kernelIDF16_DB8_Li64ELi4ELi32ELb1ELb1ELb0ELb1ELb0ELb0EEEvPT0_PvPT_S6_S6_PKS5_S8_S8_S8_S8_ffiiiiiiiiiiiii
		.amdhsa_group_segment_fixed_size 0
		.amdhsa_private_segment_fixed_size 0
		.amdhsa_kernarg_size 400
		.amdhsa_user_sgpr_count 6
		.amdhsa_user_sgpr_private_segment_buffer 1
		.amdhsa_user_sgpr_dispatch_ptr 0
		.amdhsa_user_sgpr_queue_ptr 0
		.amdhsa_user_sgpr_kernarg_segment_ptr 1
		.amdhsa_user_sgpr_dispatch_id 0
		.amdhsa_user_sgpr_flat_scratch_init 0
		.amdhsa_user_sgpr_kernarg_preload_length 0
		.amdhsa_user_sgpr_kernarg_preload_offset 0
		.amdhsa_user_sgpr_private_segment_size 0
		.amdhsa_uses_dynamic_stack 0
		.amdhsa_system_sgpr_private_segment_wavefront_offset 0
		.amdhsa_system_sgpr_workgroup_id_x 1
		.amdhsa_system_sgpr_workgroup_id_y 1
		.amdhsa_system_sgpr_workgroup_id_z 0
		.amdhsa_system_sgpr_workgroup_info 0
		.amdhsa_system_vgpr_workitem_id 0
		.amdhsa_next_free_vgpr 16
		.amdhsa_next_free_sgpr 32
		.amdhsa_accum_offset 16
		.amdhsa_reserve_vcc 1
		.amdhsa_reserve_flat_scratch 0
		.amdhsa_float_round_mode_32 0
		.amdhsa_float_round_mode_16_64 0
		.amdhsa_float_denorm_mode_32 3
		.amdhsa_float_denorm_mode_16_64 3
		.amdhsa_dx10_clamp 1
		.amdhsa_ieee_mode 1
		.amdhsa_fp16_overflow 0
		.amdhsa_tg_split 0
		.amdhsa_exception_fp_ieee_invalid_op 0
		.amdhsa_exception_fp_denorm_src 0
		.amdhsa_exception_fp_ieee_div_zero 0
		.amdhsa_exception_fp_ieee_overflow 0
		.amdhsa_exception_fp_ieee_underflow 0
		.amdhsa_exception_fp_ieee_inexact 0
		.amdhsa_exception_int_div_zero 0
	.end_amdhsa_kernel
	.section	.text._ZN5aiter35fused_qk_rmsnorm_group_quant_kernelIDF16_DB8_Li64ELi4ELi32ELb1ELb1ELb0ELb1ELb0ELb0EEEvPT0_PvPT_S6_S6_PKS5_S8_S8_S8_S8_ffiiiiiiiiiiiii,"axG",@progbits,_ZN5aiter35fused_qk_rmsnorm_group_quant_kernelIDF16_DB8_Li64ELi4ELi32ELb1ELb1ELb0ELb1ELb0ELb0EEEvPT0_PvPT_S6_S6_PKS5_S8_S8_S8_S8_ffiiiiiiiiiiiii,comdat
.Lfunc_end243:
	.size	_ZN5aiter35fused_qk_rmsnorm_group_quant_kernelIDF16_DB8_Li64ELi4ELi32ELb1ELb1ELb0ELb1ELb0ELb0EEEvPT0_PvPT_S6_S6_PKS5_S8_S8_S8_S8_ffiiiiiiiiiiiii, .Lfunc_end243-_ZN5aiter35fused_qk_rmsnorm_group_quant_kernelIDF16_DB8_Li64ELi4ELi32ELb1ELb1ELb0ELb1ELb0ELb0EEEvPT0_PvPT_S6_S6_PKS5_S8_S8_S8_S8_ffiiiiiiiiiiiii
                                        ; -- End function
	.section	.AMDGPU.csdata,"",@progbits
; Kernel info:
; codeLenInByte = 1808
; NumSgprs: 36
; NumVgprs: 16
; NumAgprs: 0
; TotalNumVgprs: 16
; ScratchSize: 0
; MemoryBound: 0
; FloatMode: 240
; IeeeMode: 1
; LDSByteSize: 0 bytes/workgroup (compile time only)
; SGPRBlocks: 4
; VGPRBlocks: 1
; NumSGPRsForWavesPerEU: 36
; NumVGPRsForWavesPerEU: 16
; AccumOffset: 16
; Occupancy: 8
; WaveLimiterHint : 0
; COMPUTE_PGM_RSRC2:SCRATCH_EN: 0
; COMPUTE_PGM_RSRC2:USER_SGPR: 6
; COMPUTE_PGM_RSRC2:TRAP_HANDLER: 0
; COMPUTE_PGM_RSRC2:TGID_X_EN: 1
; COMPUTE_PGM_RSRC2:TGID_Y_EN: 1
; COMPUTE_PGM_RSRC2:TGID_Z_EN: 0
; COMPUTE_PGM_RSRC2:TIDIG_COMP_CNT: 0
; COMPUTE_PGM_RSRC3_GFX90A:ACCUM_OFFSET: 3
; COMPUTE_PGM_RSRC3_GFX90A:TG_SPLIT: 0
	.section	.text._ZN5aiter35fused_qk_rmsnorm_group_quant_kernelItDB8_Li64ELi4ELi32ELb1ELb1ELb0ELb1ELb0ELb0EEEvPT0_PvPT_S6_S6_PKS5_S8_S8_S8_S8_ffiiiiiiiiiiiii,"axG",@progbits,_ZN5aiter35fused_qk_rmsnorm_group_quant_kernelItDB8_Li64ELi4ELi32ELb1ELb1ELb0ELb1ELb0ELb0EEEvPT0_PvPT_S6_S6_PKS5_S8_S8_S8_S8_ffiiiiiiiiiiiii,comdat
	.protected	_ZN5aiter35fused_qk_rmsnorm_group_quant_kernelItDB8_Li64ELi4ELi32ELb1ELb1ELb0ELb1ELb0ELb0EEEvPT0_PvPT_S6_S6_PKS5_S8_S8_S8_S8_ffiiiiiiiiiiiii ; -- Begin function _ZN5aiter35fused_qk_rmsnorm_group_quant_kernelItDB8_Li64ELi4ELi32ELb1ELb1ELb0ELb1ELb0ELb0EEEvPT0_PvPT_S6_S6_PKS5_S8_S8_S8_S8_ffiiiiiiiiiiiii
	.globl	_ZN5aiter35fused_qk_rmsnorm_group_quant_kernelItDB8_Li64ELi4ELi32ELb1ELb1ELb0ELb1ELb0ELb0EEEvPT0_PvPT_S6_S6_PKS5_S8_S8_S8_S8_ffiiiiiiiiiiiii
	.p2align	8
	.type	_ZN5aiter35fused_qk_rmsnorm_group_quant_kernelItDB8_Li64ELi4ELi32ELb1ELb1ELb0ELb1ELb0ELb0EEEvPT0_PvPT_S6_S6_PKS5_S8_S8_S8_S8_ffiiiiiiiiiiiii,@function
_ZN5aiter35fused_qk_rmsnorm_group_quant_kernelItDB8_Li64ELi4ELi32ELb1ELb1ELb0ELb1ELb0ELb0EEEvPT0_PvPT_S6_S6_PKS5_S8_S8_S8_S8_ffiiiiiiiiiiiii: ; @_ZN5aiter35fused_qk_rmsnorm_group_quant_kernelItDB8_Li64ELi4ELi32ELb1ELb1ELb0ELb1ELb0ELb0EEEvPT0_PvPT_S6_S6_PKS5_S8_S8_S8_S8_ffiiiiiiiiiiiii
; %bb.0:
	s_load_dwordx8 s[8:15], s[4:5], 0x50
	s_waitcnt lgkmcnt(0)
	s_cmp_ge_i32 s6, s10
	s_cbranch_scc1 .LBB244_15
; %bb.1:
	s_cmp_lg_u32 s7, 0
	s_cselect_b64 s[18:19], -1, 0
	s_cmp_eq_u32 s7, 0
	s_cselect_b64 s[20:21], -1, 0
	s_and_b64 s[0:1], s[20:21], exec
	s_cselect_b32 s7, s11, s12
	s_load_dwordx2 s[2:3], s[4:5], 0x30
	s_load_dwordx2 s[16:17], s[4:5], 0x48
	s_add_i32 s0, s7, 1
	s_lshr_b32 s1, s0, 31
	s_add_i32 s0, s0, s1
	s_lshl_b32 s0, s0, 1
	v_lshlrev_b32_e32 v1, 2, v0
	s_and_b32 s26, s0, -4
	v_cmp_gt_i32_e64 s[0:1], s7, v1
	v_mov_b32_e32 v6, 0
	v_mov_b32_e32 v7, 0
	;; [unrolled: 1-line block ×4, first 2 shown]
	s_and_saveexec_b64 s[10:11], s[0:1]
	s_cbranch_execz .LBB244_3
; %bb.2:
	s_load_dwordx2 s[22:23], s[4:5], 0x28
	s_load_dwordx2 s[24:25], s[4:5], 0x40
	s_and_b64 s[28:29], s[20:21], exec
	s_cselect_b32 s13, s13, s14
	v_lshlrev_b32_e32 v2, 3, v0
	s_waitcnt lgkmcnt(0)
	s_cselect_b32 s27, s23, s3
	s_cselect_b32 s28, s22, s2
	s_mul_hi_i32 s23, s13, s6
	s_mul_i32 s22, s13, s6
	s_lshl_b64 s[22:23], s[22:23], 1
	s_add_u32 s28, s28, s22
	s_addc_u32 s13, s27, s23
	s_and_b64 s[20:21], s[20:21], exec
	s_mov_b32 s27, 0x20000
	s_cselect_b32 s24, s24, s16
	s_cselect_b32 s20, s25, s17
	s_and_b32 s29, s13, 0xffff
	s_mov_b32 s30, s26
	s_mov_b32 s31, s27
	s_and_b32 s25, s20, 0xffff
	buffer_load_dwordx2 v[8:9], v2, s[28:31], 0 offen glc slc
	buffer_load_dwordx2 v[6:7], v2, s[24:27], 0 offen
.LBB244_3:
	s_or_b64 exec, exec, s[10:11]
	s_load_dwordx4 s[20:23], s[4:5], 0x7c
	s_and_b64 vcc, exec, s[18:19]
	s_cbranch_vccz .LBB244_7
; %bb.4:
	s_mov_b32 s28, 0
	s_mov_b32 s29, s28
	;; [unrolled: 1-line block ×4, first 2 shown]
	v_pk_mov_b32 v[2:3], s[28:29], s[28:29] op_sel:[0,1]
	v_pk_mov_b32 v[4:5], s[30:31], s[30:31] op_sel:[0,1]
	s_and_saveexec_b64 s[10:11], s[0:1]
	s_cbranch_execz .LBB244_6
; %bb.5:
	s_waitcnt vmcnt(1)
	v_cvt_f32_u32_sdwa v3, v8 dst_sel:DWORD dst_unused:UNUSED_PAD src0_sel:WORD_1
	v_cvt_f32_u32_sdwa v2, v8 dst_sel:DWORD dst_unused:UNUSED_PAD src0_sel:WORD_0
	v_cvt_f32_u32_sdwa v5, v9 dst_sel:DWORD dst_unused:UNUSED_PAD src0_sel:WORD_1
	v_cvt_f32_u32_sdwa v4, v9 dst_sel:DWORD dst_unused:UNUSED_PAD src0_sel:WORD_0
.LBB244_6:
	s_or_b64 exec, exec, s[10:11]
	s_mov_b32 s13, s9
	s_cbranch_execz .LBB244_8
	s_branch .LBB244_11
.LBB244_7:
                                        ; implicit-def: $vgpr2_vgpr3_vgpr4_vgpr5
	s_mov_b32 s13, s9
.LBB244_8:
	s_mov_b32 s28, 0
	s_mov_b32 s29, s28
	;; [unrolled: 1-line block ×4, first 2 shown]
	v_pk_mov_b32 v[2:3], s[28:29], s[28:29] op_sel:[0,1]
	v_pk_mov_b32 v[4:5], s[30:31], s[30:31] op_sel:[0,1]
	s_and_saveexec_b64 s[10:11], s[0:1]
	s_cbranch_execz .LBB244_10
; %bb.9:
	s_load_dwordx2 s[24:25], s[4:5], 0x38
	s_mul_hi_i32 s29, s15, s6
	s_mul_i32 s28, s15, s6
	s_lshl_b64 s[28:29], s[28:29], 1
	s_mov_b32 s27, 0x20000
	s_waitcnt lgkmcnt(0)
	s_add_u32 s24, s24, s28
	s_addc_u32 s13, s25, s29
	s_and_b32 s25, s13, 0xffff
	v_lshlrev_b32_e32 v14, 3, v0
	buffer_load_dwordx2 v[2:3], v14, s[24:27], 0 offen glc slc
	s_load_dwordx2 s[24:25], s[4:5], 0x20
	s_waitcnt vmcnt(2)
	v_cvt_f32_u32_sdwa v5, v8 dst_sel:DWORD dst_unused:UNUSED_PAD src0_sel:WORD_1
	v_cvt_f32_u32_sdwa v4, v8 dst_sel:DWORD dst_unused:UNUSED_PAD src0_sel:WORD_0
	v_cvt_f32_u32_sdwa v11, v9 dst_sel:DWORD dst_unused:UNUSED_PAD src0_sel:WORD_1
	v_cvt_f32_u32_sdwa v10, v9 dst_sel:DWORD dst_unused:UNUSED_PAD src0_sel:WORD_0
	s_mul_hi_i32 s23, s22, s6
	s_mul_i32 s22, s22, s6
	s_lshl_b64 s[22:23], s[22:23], 1
	s_waitcnt lgkmcnt(0)
	s_add_u32 s24, s24, s22
	s_mov_b32 s13, 0x7060302
	s_addc_u32 s15, s25, s23
	s_and_b32 s25, s15, 0xffff
	s_waitcnt vmcnt(0)
	v_cvt_f32_u32_sdwa v9, v2 dst_sel:DWORD dst_unused:UNUSED_PAD src0_sel:WORD_1
	v_cvt_f32_u32_sdwa v8, v2 dst_sel:DWORD dst_unused:UNUSED_PAD src0_sel:WORD_0
	v_cvt_f32_u32_sdwa v13, v3 dst_sel:DWORD dst_unused:UNUSED_PAD src0_sel:WORD_1
	v_cvt_f32_u32_sdwa v12, v3 dst_sel:DWORD dst_unused:UNUSED_PAD src0_sel:WORD_0
	v_pk_add_f32 v[2:3], v[4:5], v[8:9]
	v_perm_b32 v8, v3, v2, s13
	v_pk_add_f32 v[4:5], v[10:11], v[12:13]
	v_perm_b32 v9, v5, v4, s13
	buffer_store_dwordx2 v[8:9], v14, s[24:27], 0 offen glc slc
	;;#ASMSTART
	s_nop 0
	;;#ASMEND
.LBB244_10:
	s_or_b64 exec, exec, s[10:11]
	s_mov_b32 s13, s8
.LBB244_11:
	s_waitcnt vmcnt(1)
	v_mul_f32_e32 v8, v3, v3
	v_fmac_f32_e32 v8, v2, v2
	v_fmac_f32_e32 v8, v4, v4
	;; [unrolled: 1-line block ×3, first 2 shown]
	v_bfrev_b32_e32 v10, 0.5
	s_load_dwordx2 s[10:11], s[4:5], 0x18
	v_mov_b32_dpp v9, v8 quad_perm:[1,0,3,2] row_mask:0xf bank_mask:0xf
	v_add_f32_e32 v8, v8, v9
	s_nop 1
	v_mov_b32_dpp v9, v8 quad_perm:[2,3,0,1] row_mask:0xf bank_mask:0xf
	v_add_f32_e32 v8, v8, v9
	s_nop 1
	v_mov_b32_dpp v9, v8 row_half_mirror row_mask:0xf bank_mask:0xf
	v_add_f32_e32 v8, v8, v9
	s_nop 1
	v_mov_b32_dpp v9, v8 row_mirror row_mask:0xf bank_mask:0xf
	v_add_f32_e32 v8, v8, v9
	s_nop 1
	v_mov_b32_dpp v9, v8 row_bcast:15 row_mask:0xf bank_mask:0xf
	v_add_f32_e32 v8, v8, v9
	s_nop 1
	v_mov_b32_dpp v9, v8 row_bcast:31 row_mask:0xf bank_mask:0xf
	v_add_f32_e32 v9, v8, v9
	v_mbcnt_lo_u32_b32 v8, -1, 0
	v_mbcnt_hi_u32_b32 v8, -1, v8
	v_lshl_or_b32 v8, v8, 2, v10
	ds_bpermute_b32 v9, v8, v9
	s_waitcnt lgkmcnt(0)
	s_and_saveexec_b64 s[22:23], s[0:1]
	s_cbranch_execnz .LBB244_16
; %bb.12:
	s_or_b64 exec, exec, s[22:23]
	s_mov_b64 s[22:23], -1
	s_and_b64 vcc, exec, s[18:19]
	s_cbranch_vccnz .LBB244_17
.LBB244_13:
	s_andn2_b64 vcc, exec, s[22:23]
	s_cbranch_vccz .LBB244_20
.LBB244_14:
	s_cmp_lt_i32 s12, 1
	s_cbranch_scc0 .LBB244_23
.LBB244_15:
	s_endpgm
.LBB244_16:
	v_cvt_f32_u32_e32 v10, s7
	s_mov_b32 s7, 0x800000
	v_div_scale_f32 v11, s[24:25], v10, v10, v9
	v_rcp_f32_e32 v12, v11
	v_div_scale_f32 v13, vcc, v9, v10, v9
	v_fma_f32 v14, -v11, v12, 1.0
	v_fmac_f32_e32 v12, v14, v12
	v_mul_f32_e32 v14, v13, v12
	v_fma_f32 v15, -v11, v14, v13
	v_fmac_f32_e32 v14, v15, v12
	v_fma_f32 v11, -v11, v14, v13
	v_div_fmas_f32 v11, v11, v12, v14
	v_div_fixup_f32 v9, v11, v10, v9
	v_add_f32_e32 v9, s13, v9
	v_mul_f32_e32 v10, 0x4b800000, v9
	v_cmp_gt_f32_e32 vcc, s7, v9
	v_cndmask_b32_e32 v9, v9, v10, vcc
	v_rsq_f32_e32 v9, v9
	s_waitcnt vmcnt(0)
	v_cvt_f32_u32_sdwa v11, v6 dst_sel:DWORD dst_unused:UNUSED_PAD src0_sel:WORD_1
	v_cvt_f32_u32_sdwa v10, v6 dst_sel:DWORD dst_unused:UNUSED_PAD src0_sel:WORD_0
	v_cvt_f32_u32_sdwa v13, v7 dst_sel:DWORD dst_unused:UNUSED_PAD src0_sel:WORD_1
	v_mul_f32_e32 v6, 0x45800000, v9
	v_cndmask_b32_e32 v14, v9, v6, vcc
	v_mov_b32_e32 v15, v14
	;;#ASMSTART
	v_pk_mul_f32 v[2:3], v[2:3], v[14:15]
	;;#ASMEND
	;;#ASMSTART
	v_pk_mul_f32 v[4:5], v[4:5], v[14:15]
	;;#ASMEND
	v_cvt_f32_u32_sdwa v12, v7 dst_sel:DWORD dst_unused:UNUSED_PAD src0_sel:WORD_0
	;;#ASMSTART
	v_pk_mul_f32 v[2:3], v[2:3], v[10:11]
	;;#ASMEND
	;;#ASMSTART
	v_pk_mul_f32 v[4:5], v[4:5], v[12:13]
	;;#ASMEND
	s_or_b64 exec, exec, s[22:23]
	s_mov_b64 s[22:23], -1
	s_and_b64 vcc, exec, s[18:19]
	s_cbranch_vccz .LBB244_13
.LBB244_17:
	s_and_saveexec_b64 s[18:19], s[0:1]
	s_cbranch_execz .LBB244_19
; %bb.18:
	s_mul_hi_i32 s23, s21, s6
	s_mul_i32 s22, s21, s6
	s_lshl_b64 s[22:23], s[22:23], 1
	s_add_u32 s24, s10, s22
	s_addc_u32 s7, s11, s23
	s_and_b32 s25, s7, 0xffff
	s_mov_b32 s7, 0x7060302
	s_mov_b32 s27, 0x20000
	s_waitcnt vmcnt(0)
	v_perm_b32 v6, v3, v2, s7
	v_perm_b32 v7, v5, v4, s7
	v_lshlrev_b32_e32 v9, 3, v0
	buffer_store_dwordx2 v[6:7], v9, s[24:27], 0 offen
	;;#ASMSTART
	s_nop 0
	;;#ASMEND
.LBB244_19:
	s_or_b64 exec, exec, s[18:19]
	s_cbranch_execnz .LBB244_14
.LBB244_20:
	s_and_saveexec_b64 s[18:19], s[0:1]
	s_cbranch_execz .LBB244_22
; %bb.21:
	s_load_dwordx2 s[0:1], s[4:5], 0x10
	s_mul_hi_i32 s23, s20, s6
	s_mul_i32 s22, s20, s6
	s_lshl_b64 s[22:23], s[22:23], 1
	s_mov_b32 s27, 0x20000
	s_waitcnt lgkmcnt(0)
	s_add_u32 s24, s0, s22
	s_addc_u32 s0, s1, s23
	s_and_b32 s25, s0, 0xffff
	s_mov_b32 s0, 0x7060302
	v_perm_b32 v2, v3, v2, s0
	v_perm_b32 v3, v5, v4, s0
	v_lshlrev_b32_e32 v4, 3, v0
	buffer_store_dwordx2 v[2:3], v4, s[24:27], 0 offen
	;;#ASMSTART
	s_nop 0
	;;#ASMEND
.LBB244_22:
	s_or_b64 exec, exec, s[18:19]
	s_cmp_lt_i32 s12, 1
	s_cbranch_scc1 .LBB244_15
.LBB244_23:
	s_load_dword s0, s[4:5], 0x94
	s_waitcnt lgkmcnt(0)
	s_cmp_lg_u32 s0, 1
	s_cbranch_scc1 .LBB244_15
; %bb.24:
	s_lshl_b32 s0, s12, 1
	s_add_i32 s0, s0, 2
	v_cmp_gt_u32_e32 vcc, s12, v1
	s_and_b32 s18, s0, -4
	v_mov_b32_e32 v2, 0
	s_waitcnt vmcnt(0)
	v_lshlrev_b32_e32 v6, 3, v0
	v_mov_b32_e32 v3, 0
	v_mov_b32_e32 v0, 0
	;; [unrolled: 1-line block ×3, first 2 shown]
	s_barrier
	s_and_saveexec_b64 s[0:1], vcc
	s_cbranch_execz .LBB244_26
; %bb.25:
	s_mul_hi_i32 s5, s14, s6
	s_mul_i32 s4, s14, s6
	s_and_b32 s17, s17, 0xffff
	s_lshl_b64 s[4:5], s[4:5], 1
	s_add_u32 s24, s2, s4
	s_mov_b32 s19, 0x20000
	s_addc_u32 s2, s3, s5
	s_and_b32 s25, s2, 0xffff
	s_mov_b32 s26, s18
	s_mov_b32 s27, s19
	buffer_load_dwordx2 v[2:3], v6, s[24:27], 0 offen glc slc
	buffer_load_dwordx2 v[0:1], v6, s[16:19], 0 offen
.LBB244_26:
	s_or_b64 exec, exec, s[0:1]
	s_waitcnt vmcnt(1)
	v_cvt_f32_u32_sdwa v5, v3 dst_sel:DWORD dst_unused:UNUSED_PAD src0_sel:WORD_0
	v_cvt_f32_u32_sdwa v7, v2 dst_sel:DWORD dst_unused:UNUSED_PAD src0_sel:WORD_1
	v_cvt_f32_u32_sdwa v4, v3 dst_sel:DWORD dst_unused:UNUSED_PAD src0_sel:WORD_1
	v_cvt_f32_u32_sdwa v9, v2 dst_sel:DWORD dst_unused:UNUSED_PAD src0_sel:WORD_0
	v_cndmask_b32_e32 v2, 0, v5, vcc
	v_cndmask_b32_e32 v5, 0, v7, vcc
	;; [unrolled: 1-line block ×4, first 2 shown]
	v_mul_f32_e32 v7, v5, v5
	v_fmac_f32_e32 v7, v4, v4
	v_fmac_f32_e32 v7, v2, v2
	;; [unrolled: 1-line block ×3, first 2 shown]
	s_nop 1
	v_mov_b32_dpp v9, v7 quad_perm:[1,0,3,2] row_mask:0xf bank_mask:0xf
	v_add_f32_e32 v7, v7, v9
	s_nop 1
	v_mov_b32_dpp v9, v7 quad_perm:[2,3,0,1] row_mask:0xf bank_mask:0xf
	v_add_f32_e32 v7, v7, v9
	s_nop 1
	v_mov_b32_dpp v9, v7 row_half_mirror row_mask:0xf bank_mask:0xf
	v_add_f32_e32 v7, v7, v9
	s_nop 1
	v_mov_b32_dpp v9, v7 row_mirror row_mask:0xf bank_mask:0xf
	v_add_f32_e32 v7, v7, v9
	s_nop 1
	v_mov_b32_dpp v9, v7 row_bcast:15 row_mask:0xf bank_mask:0xf
	v_add_f32_e32 v7, v7, v9
	s_nop 1
	v_mov_b32_dpp v9, v7 row_bcast:31 row_mask:0xf bank_mask:0xf
	v_add_f32_e32 v7, v7, v9
	ds_bpermute_b32 v7, v8, v7
	s_and_saveexec_b64 s[0:1], vcc
	s_cbranch_execz .LBB244_15
; %bb.27:
	v_cvt_f32_u32_e32 v8, s12
	s_mov_b32 s19, 0x20000
	s_waitcnt lgkmcnt(0)
	v_div_scale_f32 v9, s[0:1], v8, v8, v7
	v_rcp_f32_e32 v10, v9
	v_div_scale_f32 v11, vcc, v7, v8, v7
	s_mov_b32 s0, 0x800000
	v_fma_f32 v12, -v9, v10, 1.0
	v_fmac_f32_e32 v10, v12, v10
	v_mul_f32_e32 v12, v11, v10
	v_fma_f32 v13, -v9, v12, v11
	v_fmac_f32_e32 v12, v13, v10
	v_fma_f32 v9, -v9, v12, v11
	v_div_fmas_f32 v9, v9, v10, v12
	v_div_fixup_f32 v7, v9, v8, v7
	v_add_f32_e32 v7, s9, v7
	v_mul_f32_e32 v8, 0x4b800000, v7
	v_cmp_gt_f32_e32 vcc, s0, v7
	v_cndmask_b32_e32 v7, v7, v8, vcc
	v_rsq_f32_e32 v7, v7
	s_mul_hi_i32 s1, s21, s6
	s_mul_i32 s0, s21, s6
	s_waitcnt vmcnt(0)
	v_cvt_f32_u32_sdwa v9, v0 dst_sel:DWORD dst_unused:UNUSED_PAD src0_sel:WORD_1
	v_cvt_f32_u32_sdwa v8, v0 dst_sel:DWORD dst_unused:UNUSED_PAD src0_sel:WORD_0
	v_mul_f32_e32 v0, 0x45800000, v7
	s_lshl_b64 s[0:1], s[0:1], 1
	v_cndmask_b32_e32 v12, v7, v0, vcc
	s_add_u32 s16, s10, s0
	v_cvt_f32_u32_sdwa v11, v1 dst_sel:DWORD dst_unused:UNUSED_PAD src0_sel:WORD_1
	v_mov_b32_e32 v13, v12
	v_cvt_f32_u32_sdwa v10, v1 dst_sel:DWORD dst_unused:UNUSED_PAD src0_sel:WORD_0
	;;#ASMSTART
	v_pk_mul_f32 v[0:1], v[4:5], v[12:13]
	;;#ASMEND
	s_addc_u32 s0, s11, s1
	;;#ASMSTART
	v_pk_mul_f32 v[2:3], v[2:3], v[12:13]
	;;#ASMEND
	;;#ASMSTART
	v_pk_mul_f32 v[0:1], v[0:1], v[8:9]
	;;#ASMEND
	s_and_b32 s17, s0, 0xffff
	s_mov_b32 s0, 0x7060302
	;;#ASMSTART
	v_pk_mul_f32 v[2:3], v[2:3], v[10:11]
	;;#ASMEND
	v_perm_b32 v0, v1, v0, s0
	v_perm_b32 v1, v3, v2, s0
	buffer_store_dwordx2 v[0:1], v6, s[16:19], 0 offen
	;;#ASMSTART
	s_nop 0
	;;#ASMEND
	s_endpgm
	.section	.rodata,"a",@progbits
	.p2align	6, 0x0
	.amdhsa_kernel _ZN5aiter35fused_qk_rmsnorm_group_quant_kernelItDB8_Li64ELi4ELi32ELb1ELb1ELb0ELb1ELb0ELb0EEEvPT0_PvPT_S6_S6_PKS5_S8_S8_S8_S8_ffiiiiiiiiiiiii
		.amdhsa_group_segment_fixed_size 0
		.amdhsa_private_segment_fixed_size 0
		.amdhsa_kernarg_size 400
		.amdhsa_user_sgpr_count 6
		.amdhsa_user_sgpr_private_segment_buffer 1
		.amdhsa_user_sgpr_dispatch_ptr 0
		.amdhsa_user_sgpr_queue_ptr 0
		.amdhsa_user_sgpr_kernarg_segment_ptr 1
		.amdhsa_user_sgpr_dispatch_id 0
		.amdhsa_user_sgpr_flat_scratch_init 0
		.amdhsa_user_sgpr_kernarg_preload_length 0
		.amdhsa_user_sgpr_kernarg_preload_offset 0
		.amdhsa_user_sgpr_private_segment_size 0
		.amdhsa_uses_dynamic_stack 0
		.amdhsa_system_sgpr_private_segment_wavefront_offset 0
		.amdhsa_system_sgpr_workgroup_id_x 1
		.amdhsa_system_sgpr_workgroup_id_y 1
		.amdhsa_system_sgpr_workgroup_id_z 0
		.amdhsa_system_sgpr_workgroup_info 0
		.amdhsa_system_vgpr_workitem_id 0
		.amdhsa_next_free_vgpr 16
		.amdhsa_next_free_sgpr 32
		.amdhsa_accum_offset 16
		.amdhsa_reserve_vcc 1
		.amdhsa_reserve_flat_scratch 0
		.amdhsa_float_round_mode_32 0
		.amdhsa_float_round_mode_16_64 0
		.amdhsa_float_denorm_mode_32 3
		.amdhsa_float_denorm_mode_16_64 3
		.amdhsa_dx10_clamp 1
		.amdhsa_ieee_mode 1
		.amdhsa_fp16_overflow 0
		.amdhsa_tg_split 0
		.amdhsa_exception_fp_ieee_invalid_op 0
		.amdhsa_exception_fp_denorm_src 0
		.amdhsa_exception_fp_ieee_div_zero 0
		.amdhsa_exception_fp_ieee_overflow 0
		.amdhsa_exception_fp_ieee_underflow 0
		.amdhsa_exception_fp_ieee_inexact 0
		.amdhsa_exception_int_div_zero 0
	.end_amdhsa_kernel
	.section	.text._ZN5aiter35fused_qk_rmsnorm_group_quant_kernelItDB8_Li64ELi4ELi32ELb1ELb1ELb0ELb1ELb0ELb0EEEvPT0_PvPT_S6_S6_PKS5_S8_S8_S8_S8_ffiiiiiiiiiiiii,"axG",@progbits,_ZN5aiter35fused_qk_rmsnorm_group_quant_kernelItDB8_Li64ELi4ELi32ELb1ELb1ELb0ELb1ELb0ELb0EEEvPT0_PvPT_S6_S6_PKS5_S8_S8_S8_S8_ffiiiiiiiiiiiii,comdat
.Lfunc_end244:
	.size	_ZN5aiter35fused_qk_rmsnorm_group_quant_kernelItDB8_Li64ELi4ELi32ELb1ELb1ELb0ELb1ELb0ELb0EEEvPT0_PvPT_S6_S6_PKS5_S8_S8_S8_S8_ffiiiiiiiiiiiii, .Lfunc_end244-_ZN5aiter35fused_qk_rmsnorm_group_quant_kernelItDB8_Li64ELi4ELi32ELb1ELb1ELb0ELb1ELb0ELb0EEEvPT0_PvPT_S6_S6_PKS5_S8_S8_S8_S8_ffiiiiiiiiiiiii
                                        ; -- End function
	.section	.AMDGPU.csdata,"",@progbits
; Kernel info:
; codeLenInByte = 1852
; NumSgprs: 36
; NumVgprs: 16
; NumAgprs: 0
; TotalNumVgprs: 16
; ScratchSize: 0
; MemoryBound: 0
; FloatMode: 240
; IeeeMode: 1
; LDSByteSize: 0 bytes/workgroup (compile time only)
; SGPRBlocks: 4
; VGPRBlocks: 1
; NumSGPRsForWavesPerEU: 36
; NumVGPRsForWavesPerEU: 16
; AccumOffset: 16
; Occupancy: 8
; WaveLimiterHint : 0
; COMPUTE_PGM_RSRC2:SCRATCH_EN: 0
; COMPUTE_PGM_RSRC2:USER_SGPR: 6
; COMPUTE_PGM_RSRC2:TRAP_HANDLER: 0
; COMPUTE_PGM_RSRC2:TGID_X_EN: 1
; COMPUTE_PGM_RSRC2:TGID_Y_EN: 1
; COMPUTE_PGM_RSRC2:TGID_Z_EN: 0
; COMPUTE_PGM_RSRC2:TIDIG_COMP_CNT: 0
; COMPUTE_PGM_RSRC3_GFX90A:ACCUM_OFFSET: 3
; COMPUTE_PGM_RSRC3_GFX90A:TG_SPLIT: 0
	.section	.text._ZN5aiter35fused_qk_rmsnorm_group_quant_kernelIDF16_DB8_Li64ELi4ELi32ELb0ELb1ELb1ELb1ELb0ELb0EEEvPT0_PvPT_S6_S6_PKS5_S8_S8_S8_S8_ffiiiiiiiiiiiii,"axG",@progbits,_ZN5aiter35fused_qk_rmsnorm_group_quant_kernelIDF16_DB8_Li64ELi4ELi32ELb0ELb1ELb1ELb1ELb0ELb0EEEvPT0_PvPT_S6_S6_PKS5_S8_S8_S8_S8_ffiiiiiiiiiiiii,comdat
	.protected	_ZN5aiter35fused_qk_rmsnorm_group_quant_kernelIDF16_DB8_Li64ELi4ELi32ELb0ELb1ELb1ELb1ELb0ELb0EEEvPT0_PvPT_S6_S6_PKS5_S8_S8_S8_S8_ffiiiiiiiiiiiii ; -- Begin function _ZN5aiter35fused_qk_rmsnorm_group_quant_kernelIDF16_DB8_Li64ELi4ELi32ELb0ELb1ELb1ELb1ELb0ELb0EEEvPT0_PvPT_S6_S6_PKS5_S8_S8_S8_S8_ffiiiiiiiiiiiii
	.globl	_ZN5aiter35fused_qk_rmsnorm_group_quant_kernelIDF16_DB8_Li64ELi4ELi32ELb0ELb1ELb1ELb1ELb0ELb0EEEvPT0_PvPT_S6_S6_PKS5_S8_S8_S8_S8_ffiiiiiiiiiiiii
	.p2align	8
	.type	_ZN5aiter35fused_qk_rmsnorm_group_quant_kernelIDF16_DB8_Li64ELi4ELi32ELb0ELb1ELb1ELb1ELb0ELb0EEEvPT0_PvPT_S6_S6_PKS5_S8_S8_S8_S8_ffiiiiiiiiiiiii,@function
_ZN5aiter35fused_qk_rmsnorm_group_quant_kernelIDF16_DB8_Li64ELi4ELi32ELb0ELb1ELb1ELb1ELb0ELb0EEEvPT0_PvPT_S6_S6_PKS5_S8_S8_S8_S8_ffiiiiiiiiiiiii: ; @_ZN5aiter35fused_qk_rmsnorm_group_quant_kernelIDF16_DB8_Li64ELi4ELi32ELb0ELb1ELb1ELb1ELb0ELb0EEEvPT0_PvPT_S6_S6_PKS5_S8_S8_S8_S8_ffiiiiiiiiiiiii
; %bb.0:
	s_load_dwordx4 s[12:15], s[4:5], 0x50
	s_waitcnt lgkmcnt(0)
	s_cmp_ge_i32 s6, s14
	s_cbranch_scc1 .LBB245_8
; %bb.1:
	s_load_dwordx2 s[24:25], s[4:5], 0x30
	s_load_dwordx2 s[8:9], s[4:5], 0x48
	s_load_dwordx4 s[16:19], s[4:5], 0x60
	s_cmp_lg_u32 s7, 0
	s_cselect_b64 s[10:11], -1, 0
	s_cmp_eq_u32 s7, 0
	s_cselect_b64 vcc, -1, 0
	s_and_b64 s[0:1], vcc, exec
	s_waitcnt lgkmcnt(0)
	s_cselect_b32 s7, s15, s16
	s_add_i32 s0, s7, 1
	s_lshr_b32 s1, s0, 31
	s_add_i32 s0, s0, s1
	s_lshl_b32 s0, s0, 1
	v_lshlrev_b32_e32 v1, 2, v0
	s_and_b32 s22, s0, -4
	v_cmp_gt_i32_e64 s[0:1], s7, v1
	v_mov_b32_e32 v6, 0
	v_mov_b32_e32 v7, 0
	;; [unrolled: 1-line block ×4, first 2 shown]
	s_and_saveexec_b64 s[2:3], s[0:1]
	s_cbranch_execz .LBB245_3
; %bb.2:
	s_load_dwordx2 s[14:15], s[4:5], 0x28
	s_load_dwordx2 s[20:21], s[4:5], 0x40
	s_and_b64 s[26:27], vcc, exec
	s_cselect_b32 s17, s17, s18
	v_lshlrev_b32_e32 v4, 3, v0
	s_waitcnt lgkmcnt(0)
	s_cselect_b32 s19, s15, s25
	s_cselect_b32 s23, s14, s24
	s_mul_hi_i32 s15, s17, s6
	s_mul_i32 s14, s17, s6
	s_lshl_b64 s[14:15], s[14:15], 1
	s_add_u32 s28, s23, s14
	s_addc_u32 s17, s19, s15
	s_and_b64 s[14:15], vcc, exec
	s_mov_b32 s23, 0x20000
	s_cselect_b32 s20, s20, s8
	s_cselect_b32 s14, s21, s9
	s_and_b32 s29, s17, 0xffff
	s_mov_b32 s30, s22
	s_mov_b32 s31, s23
	s_and_b32 s21, s14, 0xffff
	buffer_load_dwordx2 v[2:3], v4, s[28:31], 0 offen glc slc
	buffer_load_dwordx2 v[6:7], v4, s[20:23], 0 offen
.LBB245_3:
	s_or_b64 exec, exec, s[2:3]
	s_waitcnt vmcnt(1)
	v_cvt_f32_f16_e32 v4, v3
	v_cvt_f32_f16_e32 v5, v2
	v_cvt_f32_f16_sdwa v8, v2 dst_sel:DWORD dst_unused:UNUSED_PAD src0_sel:WORD_1
	v_cvt_f32_f16_sdwa v3, v3 dst_sel:DWORD dst_unused:UNUSED_PAD src0_sel:WORD_1
	v_cndmask_b32_e64 v2, 0, v4, s[0:1]
	v_cndmask_b32_e64 v4, 0, v5, s[0:1]
	;; [unrolled: 1-line block ×3, first 2 shown]
	v_mul_f32_e32 v8, v5, v5
	v_fmac_f32_e32 v8, v4, v4
	v_cndmask_b32_e64 v3, 0, v3, s[0:1]
	v_fmac_f32_e32 v8, v2, v2
	v_fmac_f32_e32 v8, v3, v3
	v_bfrev_b32_e32 v10, 0.5
	s_load_dwordx2 s[2:3], s[4:5], 0x18
	v_mov_b32_dpp v9, v8 quad_perm:[1,0,3,2] row_mask:0xf bank_mask:0xf
	v_add_f32_e32 v8, v8, v9
	s_nop 1
	v_mov_b32_dpp v9, v8 quad_perm:[2,3,0,1] row_mask:0xf bank_mask:0xf
	v_add_f32_e32 v8, v8, v9
	s_nop 1
	v_mov_b32_dpp v9, v8 row_half_mirror row_mask:0xf bank_mask:0xf
	v_add_f32_e32 v8, v8, v9
	s_nop 1
	v_mov_b32_dpp v9, v8 row_mirror row_mask:0xf bank_mask:0xf
	v_add_f32_e32 v8, v8, v9
	s_nop 1
	v_mov_b32_dpp v9, v8 row_bcast:15 row_mask:0xf bank_mask:0xf
	v_add_f32_e32 v8, v8, v9
	s_nop 1
	v_mov_b32_dpp v9, v8 row_bcast:31 row_mask:0xf bank_mask:0xf
	v_add_f32_e32 v9, v8, v9
	v_mbcnt_lo_u32_b32 v8, -1, 0
	v_mbcnt_hi_u32_b32 v8, -1, v8
	v_lshl_or_b32 v8, v8, 2, v10
	ds_bpermute_b32 v9, v8, v9
	s_and_saveexec_b64 s[14:15], s[0:1]
	s_cbranch_execz .LBB245_5
; %bb.4:
	v_cvt_f32_u32_e32 v10, s7
	v_mov_b32_e32 v11, s13
	v_mov_b32_e32 v12, s12
	v_cndmask_b32_e32 v11, v11, v12, vcc
	s_waitcnt lgkmcnt(0)
	v_div_scale_f32 v13, s[20:21], v10, v10, v9
	v_rcp_f32_e32 v14, v13
	v_div_scale_f32 v12, vcc, v9, v10, v9
	s_mov_b32 s7, 0x800000
	v_fma_f32 v15, -v13, v14, 1.0
	v_fmac_f32_e32 v14, v15, v14
	v_mul_f32_e32 v15, v12, v14
	v_fma_f32 v16, -v13, v15, v12
	v_fmac_f32_e32 v15, v16, v14
	v_fma_f32 v12, -v13, v15, v12
	v_div_fmas_f32 v12, v12, v14, v15
	v_div_fixup_f32 v9, v12, v10, v9
	v_add_f32_e32 v9, v11, v9
	v_mul_f32_e32 v10, 0x4b800000, v9
	v_cmp_gt_f32_e32 vcc, s7, v9
	v_cndmask_b32_e32 v9, v9, v10, vcc
	v_rsq_f32_e32 v9, v9
	s_waitcnt vmcnt(0)
	v_cvt_f32_f16_sdwa v13, v6 dst_sel:DWORD dst_unused:UNUSED_PAD src0_sel:WORD_1
	v_cvt_f32_f16_e32 v12, v6
	v_cvt_f32_f16_sdwa v15, v7 dst_sel:DWORD dst_unused:UNUSED_PAD src0_sel:WORD_1
	v_cvt_f32_f16_e32 v14, v7
	v_mul_f32_e32 v10, 0x45800000, v9
	v_cndmask_b32_e32 v10, v9, v10, vcc
	v_mov_b32_e32 v11, v10
	;;#ASMSTART
	v_pk_mul_f32 v[4:5], v[4:5], v[10:11]
	;;#ASMEND
	;;#ASMSTART
	v_pk_mul_f32 v[2:3], v[2:3], v[10:11]
	;;#ASMEND
	v_pk_add_f32 v[6:7], v[12:13], 1.0 op_sel_hi:[1,0]
	;;#ASMSTART
	v_pk_mul_f32 v[4:5], v[4:5], v[6:7]
	;;#ASMEND
	v_pk_add_f32 v[6:7], v[14:15], 1.0 op_sel_hi:[1,0]
	;;#ASMSTART
	v_pk_mul_f32 v[2:3], v[2:3], v[6:7]
	;;#ASMEND
.LBB245_5:
	s_or_b64 exec, exec, s[14:15]
	s_load_dwordx2 s[14:15], s[4:5], 0x7c
	s_mov_b64 s[20:21], -1
	s_and_b64 vcc, exec, s[10:11]
	s_cbranch_vccnz .LBB245_9
; %bb.6:
	s_andn2_b64 vcc, exec, s[20:21]
	s_cbranch_vccz .LBB245_12
.LBB245_7:
	s_cmp_lt_i32 s16, 1
	s_cbranch_scc0 .LBB245_15
.LBB245_8:
	s_endpgm
.LBB245_9:
	s_and_saveexec_b64 s[10:11], s[0:1]
	s_cbranch_execz .LBB245_11
; %bb.10:
	s_waitcnt lgkmcnt(0)
	s_mul_hi_i32 s21, s15, s6
	s_mul_i32 s20, s15, s6
	s_waitcnt vmcnt(0)
	v_cvt_f16_f32_e32 v6, v4
	v_cvt_f16_f32_e32 v7, v2
	;; [unrolled: 1-line block ×4, first 2 shown]
	s_lshl_b64 s[20:21], s[20:21], 1
	s_add_u32 s20, s2, s20
	s_addc_u32 s7, s3, s21
	s_and_b32 s21, s7, 0xffff
	s_mov_b32 s23, 0x20000
	v_pack_b32_f16 v7, v7, v9
	v_pack_b32_f16 v6, v6, v10
	v_lshlrev_b32_e32 v9, 3, v0
	buffer_store_dwordx2 v[6:7], v9, s[20:23], 0 offen
	;;#ASMSTART
	s_nop 0
	;;#ASMEND
.LBB245_11:
	s_or_b64 exec, exec, s[10:11]
	s_cbranch_execnz .LBB245_7
.LBB245_12:
	s_and_saveexec_b64 s[10:11], s[0:1]
	s_cbranch_execz .LBB245_14
; %bb.13:
	s_load_dwordx2 s[0:1], s[4:5], 0x10
	s_waitcnt lgkmcnt(0)
	s_mul_hi_i32 s21, s14, s6
	s_mul_i32 s20, s14, s6
	v_cvt_f16_f32_e32 v4, v4
	v_cvt_f16_f32_e32 v2, v2
	;; [unrolled: 1-line block ×4, first 2 shown]
	s_lshl_b64 s[20:21], s[20:21], 1
	s_add_u32 s20, s0, s20
	s_addc_u32 s0, s1, s21
	s_and_b32 s21, s0, 0xffff
	s_mov_b32 s23, 0x20000
	v_pack_b32_f16 v3, v2, v3
	v_pack_b32_f16 v2, v4, v5
	v_lshlrev_b32_e32 v4, 3, v0
	buffer_store_dwordx2 v[2:3], v4, s[20:23], 0 offen
	;;#ASMSTART
	s_nop 0
	;;#ASMEND
.LBB245_14:
	s_or_b64 exec, exec, s[10:11]
	s_cmp_lt_i32 s16, 1
	s_cbranch_scc1 .LBB245_8
.LBB245_15:
	s_load_dword s0, s[4:5], 0x94
	s_waitcnt lgkmcnt(0)
	s_cmp_lg_u32 s0, 1
	s_cbranch_scc1 .LBB245_8
; %bb.16:
	s_lshl_b32 s0, s16, 1
	s_add_i32 s0, s0, 2
	v_cmp_gt_u32_e32 vcc, s16, v1
	s_and_b32 s10, s0, -4
	v_mov_b32_e32 v2, 0
	s_waitcnt vmcnt(0)
	v_lshlrev_b32_e32 v6, 3, v0
	v_mov_b32_e32 v3, 0
	v_mov_b32_e32 v0, 0
	;; [unrolled: 1-line block ×3, first 2 shown]
	s_barrier
	s_and_saveexec_b64 s[0:1], vcc
	s_cbranch_execz .LBB245_18
; %bb.17:
	s_mul_hi_i32 s5, s18, s6
	s_mul_i32 s4, s18, s6
	s_and_b32 s9, s9, 0xffff
	s_lshl_b64 s[4:5], s[4:5], 1
	s_add_u32 s20, s24, s4
	s_mov_b32 s11, 0x20000
	s_addc_u32 s4, s25, s5
	s_and_b32 s21, s4, 0xffff
	s_mov_b32 s22, s10
	s_mov_b32 s23, s11
	buffer_load_dwordx2 v[2:3], v6, s[20:23], 0 offen glc slc
	buffer_load_dwordx2 v[0:1], v6, s[8:11], 0 offen
.LBB245_18:
	s_or_b64 exec, exec, s[0:1]
	s_waitcnt vmcnt(1)
	v_cvt_f32_f16_e32 v4, v3
	v_cvt_f32_f16_e32 v5, v2
	v_cvt_f32_f16_sdwa v7, v2 dst_sel:DWORD dst_unused:UNUSED_PAD src0_sel:WORD_1
	v_cvt_f32_f16_sdwa v3, v3 dst_sel:DWORD dst_unused:UNUSED_PAD src0_sel:WORD_1
	v_cndmask_b32_e32 v2, 0, v4, vcc
	v_cndmask_b32_e32 v4, 0, v5, vcc
	;; [unrolled: 1-line block ×3, first 2 shown]
	v_mul_f32_e32 v7, v5, v5
	v_fmac_f32_e32 v7, v4, v4
	v_cndmask_b32_e32 v3, 0, v3, vcc
	v_fmac_f32_e32 v7, v2, v2
	v_fmac_f32_e32 v7, v3, v3
	s_nop 1
	v_mov_b32_dpp v9, v7 quad_perm:[1,0,3,2] row_mask:0xf bank_mask:0xf
	v_add_f32_e32 v7, v7, v9
	s_nop 1
	v_mov_b32_dpp v9, v7 quad_perm:[2,3,0,1] row_mask:0xf bank_mask:0xf
	v_add_f32_e32 v7, v7, v9
	s_nop 1
	v_mov_b32_dpp v9, v7 row_half_mirror row_mask:0xf bank_mask:0xf
	v_add_f32_e32 v7, v7, v9
	s_nop 1
	v_mov_b32_dpp v9, v7 row_mirror row_mask:0xf bank_mask:0xf
	v_add_f32_e32 v7, v7, v9
	s_nop 1
	v_mov_b32_dpp v9, v7 row_bcast:15 row_mask:0xf bank_mask:0xf
	v_add_f32_e32 v7, v7, v9
	s_nop 1
	v_mov_b32_dpp v9, v7 row_bcast:31 row_mask:0xf bank_mask:0xf
	v_add_f32_e32 v7, v7, v9
	ds_bpermute_b32 v7, v8, v7
	s_and_saveexec_b64 s[0:1], vcc
	s_cbranch_execz .LBB245_8
; %bb.19:
	v_cvt_f32_u32_e32 v8, s16
	s_mov_b32 s11, 0x20000
	s_waitcnt lgkmcnt(0)
	v_div_scale_f32 v9, s[0:1], v8, v8, v7
	v_rcp_f32_e32 v10, v9
	v_div_scale_f32 v11, vcc, v7, v8, v7
	s_mov_b32 s0, 0x800000
	v_fma_f32 v12, -v9, v10, 1.0
	v_fmac_f32_e32 v10, v12, v10
	v_mul_f32_e32 v12, v11, v10
	v_fma_f32 v13, -v9, v12, v11
	v_fmac_f32_e32 v12, v13, v10
	v_fma_f32 v9, -v9, v12, v11
	v_div_fmas_f32 v9, v9, v10, v12
	v_div_fixup_f32 v7, v9, v8, v7
	v_add_f32_e32 v7, s13, v7
	v_mul_f32_e32 v8, 0x4b800000, v7
	v_cmp_gt_f32_e32 vcc, s0, v7
	v_cndmask_b32_e32 v7, v7, v8, vcc
	v_rsq_f32_e32 v7, v7
	s_waitcnt vmcnt(0)
	v_cvt_f32_f16_sdwa v9, v0 dst_sel:DWORD dst_unused:UNUSED_PAD src0_sel:WORD_1
	v_cvt_f32_f16_e32 v8, v0
	v_cvt_f32_f16_sdwa v11, v1 dst_sel:DWORD dst_unused:UNUSED_PAD src0_sel:WORD_1
	v_cvt_f32_f16_e32 v10, v1
	v_mul_f32_e32 v0, 0x45800000, v7
	v_cndmask_b32_e32 v12, v7, v0, vcc
	v_mov_b32_e32 v13, v12
	;;#ASMSTART
	v_pk_mul_f32 v[4:5], v[4:5], v[12:13]
	;;#ASMEND
	;;#ASMSTART
	v_pk_mul_f32 v[0:1], v[2:3], v[12:13]
	;;#ASMEND
	v_pk_add_f32 v[2:3], v[8:9], 1.0 op_sel_hi:[1,0]
	;;#ASMSTART
	v_pk_mul_f32 v[2:3], v[4:5], v[2:3]
	;;#ASMEND
	v_pk_add_f32 v[4:5], v[10:11], 1.0 op_sel_hi:[1,0]
	;;#ASMSTART
	v_pk_mul_f32 v[0:1], v[0:1], v[4:5]
	;;#ASMEND
	s_mul_hi_i32 s1, s15, s6
	s_mul_i32 s0, s15, s6
	v_cvt_f16_f32_e32 v2, v2
	v_cvt_f16_f32_e32 v3, v3
	;; [unrolled: 1-line block ×4, first 2 shown]
	s_lshl_b64 s[0:1], s[0:1], 1
	s_add_u32 s8, s2, s0
	s_addc_u32 s0, s3, s1
	s_and_b32 s9, s0, 0xffff
	v_pack_b32_f16 v0, v2, v3
	v_pack_b32_f16 v1, v4, v1
	buffer_store_dwordx2 v[0:1], v6, s[8:11], 0 offen
	;;#ASMSTART
	s_nop 0
	;;#ASMEND
	s_endpgm
	.section	.rodata,"a",@progbits
	.p2align	6, 0x0
	.amdhsa_kernel _ZN5aiter35fused_qk_rmsnorm_group_quant_kernelIDF16_DB8_Li64ELi4ELi32ELb0ELb1ELb1ELb1ELb0ELb0EEEvPT0_PvPT_S6_S6_PKS5_S8_S8_S8_S8_ffiiiiiiiiiiiii
		.amdhsa_group_segment_fixed_size 0
		.amdhsa_private_segment_fixed_size 0
		.amdhsa_kernarg_size 400
		.amdhsa_user_sgpr_count 6
		.amdhsa_user_sgpr_private_segment_buffer 1
		.amdhsa_user_sgpr_dispatch_ptr 0
		.amdhsa_user_sgpr_queue_ptr 0
		.amdhsa_user_sgpr_kernarg_segment_ptr 1
		.amdhsa_user_sgpr_dispatch_id 0
		.amdhsa_user_sgpr_flat_scratch_init 0
		.amdhsa_user_sgpr_kernarg_preload_length 0
		.amdhsa_user_sgpr_kernarg_preload_offset 0
		.amdhsa_user_sgpr_private_segment_size 0
		.amdhsa_uses_dynamic_stack 0
		.amdhsa_system_sgpr_private_segment_wavefront_offset 0
		.amdhsa_system_sgpr_workgroup_id_x 1
		.amdhsa_system_sgpr_workgroup_id_y 1
		.amdhsa_system_sgpr_workgroup_id_z 0
		.amdhsa_system_sgpr_workgroup_info 0
		.amdhsa_system_vgpr_workitem_id 0
		.amdhsa_next_free_vgpr 17
		.amdhsa_next_free_sgpr 32
		.amdhsa_accum_offset 20
		.amdhsa_reserve_vcc 1
		.amdhsa_reserve_flat_scratch 0
		.amdhsa_float_round_mode_32 0
		.amdhsa_float_round_mode_16_64 0
		.amdhsa_float_denorm_mode_32 3
		.amdhsa_float_denorm_mode_16_64 3
		.amdhsa_dx10_clamp 1
		.amdhsa_ieee_mode 1
		.amdhsa_fp16_overflow 0
		.amdhsa_tg_split 0
		.amdhsa_exception_fp_ieee_invalid_op 0
		.amdhsa_exception_fp_denorm_src 0
		.amdhsa_exception_fp_ieee_div_zero 0
		.amdhsa_exception_fp_ieee_overflow 0
		.amdhsa_exception_fp_ieee_underflow 0
		.amdhsa_exception_fp_ieee_inexact 0
		.amdhsa_exception_int_div_zero 0
	.end_amdhsa_kernel
	.section	.text._ZN5aiter35fused_qk_rmsnorm_group_quant_kernelIDF16_DB8_Li64ELi4ELi32ELb0ELb1ELb1ELb1ELb0ELb0EEEvPT0_PvPT_S6_S6_PKS5_S8_S8_S8_S8_ffiiiiiiiiiiiii,"axG",@progbits,_ZN5aiter35fused_qk_rmsnorm_group_quant_kernelIDF16_DB8_Li64ELi4ELi32ELb0ELb1ELb1ELb1ELb0ELb0EEEvPT0_PvPT_S6_S6_PKS5_S8_S8_S8_S8_ffiiiiiiiiiiiii,comdat
.Lfunc_end245:
	.size	_ZN5aiter35fused_qk_rmsnorm_group_quant_kernelIDF16_DB8_Li64ELi4ELi32ELb0ELb1ELb1ELb1ELb0ELb0EEEvPT0_PvPT_S6_S6_PKS5_S8_S8_S8_S8_ffiiiiiiiiiiiii, .Lfunc_end245-_ZN5aiter35fused_qk_rmsnorm_group_quant_kernelIDF16_DB8_Li64ELi4ELi32ELb0ELb1ELb1ELb1ELb0ELb0EEEvPT0_PvPT_S6_S6_PKS5_S8_S8_S8_S8_ffiiiiiiiiiiiii
                                        ; -- End function
	.section	.AMDGPU.csdata,"",@progbits
; Kernel info:
; codeLenInByte = 1572
; NumSgprs: 36
; NumVgprs: 17
; NumAgprs: 0
; TotalNumVgprs: 17
; ScratchSize: 0
; MemoryBound: 0
; FloatMode: 240
; IeeeMode: 1
; LDSByteSize: 0 bytes/workgroup (compile time only)
; SGPRBlocks: 4
; VGPRBlocks: 2
; NumSGPRsForWavesPerEU: 36
; NumVGPRsForWavesPerEU: 17
; AccumOffset: 20
; Occupancy: 8
; WaveLimiterHint : 0
; COMPUTE_PGM_RSRC2:SCRATCH_EN: 0
; COMPUTE_PGM_RSRC2:USER_SGPR: 6
; COMPUTE_PGM_RSRC2:TRAP_HANDLER: 0
; COMPUTE_PGM_RSRC2:TGID_X_EN: 1
; COMPUTE_PGM_RSRC2:TGID_Y_EN: 1
; COMPUTE_PGM_RSRC2:TGID_Z_EN: 0
; COMPUTE_PGM_RSRC2:TIDIG_COMP_CNT: 0
; COMPUTE_PGM_RSRC3_GFX90A:ACCUM_OFFSET: 4
; COMPUTE_PGM_RSRC3_GFX90A:TG_SPLIT: 0
	.section	.text._ZN5aiter35fused_qk_rmsnorm_group_quant_kernelItDB8_Li64ELi4ELi32ELb0ELb1ELb1ELb1ELb0ELb0EEEvPT0_PvPT_S6_S6_PKS5_S8_S8_S8_S8_ffiiiiiiiiiiiii,"axG",@progbits,_ZN5aiter35fused_qk_rmsnorm_group_quant_kernelItDB8_Li64ELi4ELi32ELb0ELb1ELb1ELb1ELb0ELb0EEEvPT0_PvPT_S6_S6_PKS5_S8_S8_S8_S8_ffiiiiiiiiiiiii,comdat
	.protected	_ZN5aiter35fused_qk_rmsnorm_group_quant_kernelItDB8_Li64ELi4ELi32ELb0ELb1ELb1ELb1ELb0ELb0EEEvPT0_PvPT_S6_S6_PKS5_S8_S8_S8_S8_ffiiiiiiiiiiiii ; -- Begin function _ZN5aiter35fused_qk_rmsnorm_group_quant_kernelItDB8_Li64ELi4ELi32ELb0ELb1ELb1ELb1ELb0ELb0EEEvPT0_PvPT_S6_S6_PKS5_S8_S8_S8_S8_ffiiiiiiiiiiiii
	.globl	_ZN5aiter35fused_qk_rmsnorm_group_quant_kernelItDB8_Li64ELi4ELi32ELb0ELb1ELb1ELb1ELb0ELb0EEEvPT0_PvPT_S6_S6_PKS5_S8_S8_S8_S8_ffiiiiiiiiiiiii
	.p2align	8
	.type	_ZN5aiter35fused_qk_rmsnorm_group_quant_kernelItDB8_Li64ELi4ELi32ELb0ELb1ELb1ELb1ELb0ELb0EEEvPT0_PvPT_S6_S6_PKS5_S8_S8_S8_S8_ffiiiiiiiiiiiii,@function
_ZN5aiter35fused_qk_rmsnorm_group_quant_kernelItDB8_Li64ELi4ELi32ELb0ELb1ELb1ELb1ELb0ELb0EEEvPT0_PvPT_S6_S6_PKS5_S8_S8_S8_S8_ffiiiiiiiiiiiii: ; @_ZN5aiter35fused_qk_rmsnorm_group_quant_kernelItDB8_Li64ELi4ELi32ELb0ELb1ELb1ELb1ELb0ELb0EEEvPT0_PvPT_S6_S6_PKS5_S8_S8_S8_S8_ffiiiiiiiiiiiii
; %bb.0:
	s_load_dwordx4 s[12:15], s[4:5], 0x50
	s_waitcnt lgkmcnt(0)
	s_cmp_ge_i32 s6, s14
	s_cbranch_scc1 .LBB246_8
; %bb.1:
	s_load_dwordx2 s[24:25], s[4:5], 0x30
	s_load_dwordx2 s[8:9], s[4:5], 0x48
	s_load_dwordx4 s[16:19], s[4:5], 0x60
	s_cmp_lg_u32 s7, 0
	s_cselect_b64 s[10:11], -1, 0
	s_cmp_eq_u32 s7, 0
	s_cselect_b64 vcc, -1, 0
	s_and_b64 s[0:1], vcc, exec
	s_waitcnt lgkmcnt(0)
	s_cselect_b32 s7, s15, s16
	s_add_i32 s0, s7, 1
	s_lshr_b32 s1, s0, 31
	s_add_i32 s0, s0, s1
	s_lshl_b32 s0, s0, 1
	v_lshlrev_b32_e32 v1, 2, v0
	s_and_b32 s22, s0, -4
	v_cmp_gt_i32_e64 s[0:1], s7, v1
	v_mov_b32_e32 v6, 0
	v_mov_b32_e32 v7, 0
	v_mov_b32_e32 v2, 0
	v_mov_b32_e32 v3, 0
	s_and_saveexec_b64 s[2:3], s[0:1]
	s_cbranch_execz .LBB246_3
; %bb.2:
	s_load_dwordx2 s[14:15], s[4:5], 0x28
	s_load_dwordx2 s[20:21], s[4:5], 0x40
	s_and_b64 s[26:27], vcc, exec
	s_cselect_b32 s17, s17, s18
	v_lshlrev_b32_e32 v4, 3, v0
	s_waitcnt lgkmcnt(0)
	s_cselect_b32 s19, s15, s25
	s_cselect_b32 s23, s14, s24
	s_mul_hi_i32 s15, s17, s6
	s_mul_i32 s14, s17, s6
	s_lshl_b64 s[14:15], s[14:15], 1
	s_add_u32 s28, s23, s14
	s_addc_u32 s17, s19, s15
	s_and_b64 s[14:15], vcc, exec
	s_mov_b32 s23, 0x20000
	s_cselect_b32 s20, s20, s8
	s_cselect_b32 s14, s21, s9
	s_and_b32 s29, s17, 0xffff
	s_mov_b32 s30, s22
	s_mov_b32 s31, s23
	s_and_b32 s21, s14, 0xffff
	buffer_load_dwordx2 v[2:3], v4, s[28:31], 0 offen glc slc
	buffer_load_dwordx2 v[6:7], v4, s[20:23], 0 offen
.LBB246_3:
	s_or_b64 exec, exec, s[2:3]
	s_waitcnt vmcnt(1)
	v_cvt_f32_u32_sdwa v5, v3 dst_sel:DWORD dst_unused:UNUSED_PAD src0_sel:WORD_0
	v_cvt_f32_u32_sdwa v8, v2 dst_sel:DWORD dst_unused:UNUSED_PAD src0_sel:WORD_1
	v_cvt_f32_u32_sdwa v4, v3 dst_sel:DWORD dst_unused:UNUSED_PAD src0_sel:WORD_1
	v_cvt_f32_u32_sdwa v9, v2 dst_sel:DWORD dst_unused:UNUSED_PAD src0_sel:WORD_0
	v_cndmask_b32_e64 v2, 0, v5, s[0:1]
	v_cndmask_b32_e64 v5, 0, v8, s[0:1]
	;; [unrolled: 1-line block ×4, first 2 shown]
	v_mul_f32_e32 v8, v5, v5
	v_fmac_f32_e32 v8, v4, v4
	v_fmac_f32_e32 v8, v2, v2
	;; [unrolled: 1-line block ×3, first 2 shown]
	v_bfrev_b32_e32 v10, 0.5
	s_load_dwordx2 s[2:3], s[4:5], 0x18
	v_mov_b32_dpp v9, v8 quad_perm:[1,0,3,2] row_mask:0xf bank_mask:0xf
	v_add_f32_e32 v8, v8, v9
	s_nop 1
	v_mov_b32_dpp v9, v8 quad_perm:[2,3,0,1] row_mask:0xf bank_mask:0xf
	v_add_f32_e32 v8, v8, v9
	s_nop 1
	v_mov_b32_dpp v9, v8 row_half_mirror row_mask:0xf bank_mask:0xf
	v_add_f32_e32 v8, v8, v9
	s_nop 1
	v_mov_b32_dpp v9, v8 row_mirror row_mask:0xf bank_mask:0xf
	v_add_f32_e32 v8, v8, v9
	s_nop 1
	v_mov_b32_dpp v9, v8 row_bcast:15 row_mask:0xf bank_mask:0xf
	v_add_f32_e32 v8, v8, v9
	s_nop 1
	v_mov_b32_dpp v9, v8 row_bcast:31 row_mask:0xf bank_mask:0xf
	v_add_f32_e32 v9, v8, v9
	v_mbcnt_lo_u32_b32 v8, -1, 0
	v_mbcnt_hi_u32_b32 v8, -1, v8
	v_lshl_or_b32 v8, v8, 2, v10
	ds_bpermute_b32 v9, v8, v9
	s_and_saveexec_b64 s[14:15], s[0:1]
	s_cbranch_execz .LBB246_5
; %bb.4:
	v_cvt_f32_u32_e32 v10, s7
	v_mov_b32_e32 v11, s13
	v_mov_b32_e32 v12, s12
	v_cndmask_b32_e32 v11, v11, v12, vcc
	s_waitcnt lgkmcnt(0)
	v_div_scale_f32 v13, s[20:21], v10, v10, v9
	v_rcp_f32_e32 v14, v13
	v_div_scale_f32 v12, vcc, v9, v10, v9
	s_mov_b32 s7, 0x800000
	v_fma_f32 v15, -v13, v14, 1.0
	v_fmac_f32_e32 v14, v15, v14
	v_mul_f32_e32 v15, v12, v14
	v_fma_f32 v16, -v13, v15, v12
	v_fmac_f32_e32 v15, v16, v14
	v_fma_f32 v12, -v13, v15, v12
	v_div_fmas_f32 v12, v12, v14, v15
	v_div_fixup_f32 v9, v12, v10, v9
	v_add_f32_e32 v9, v11, v9
	v_mul_f32_e32 v10, 0x4b800000, v9
	v_cmp_gt_f32_e32 vcc, s7, v9
	v_cndmask_b32_e32 v9, v9, v10, vcc
	v_rsq_f32_e32 v9, v9
	s_waitcnt vmcnt(0)
	v_cvt_f32_u32_sdwa v13, v6 dst_sel:DWORD dst_unused:UNUSED_PAD src0_sel:WORD_1
	v_cvt_f32_u32_sdwa v12, v6 dst_sel:DWORD dst_unused:UNUSED_PAD src0_sel:WORD_0
	v_cvt_f32_u32_sdwa v15, v7 dst_sel:DWORD dst_unused:UNUSED_PAD src0_sel:WORD_1
	v_cvt_f32_u32_sdwa v14, v7 dst_sel:DWORD dst_unused:UNUSED_PAD src0_sel:WORD_0
	v_mul_f32_e32 v10, 0x45800000, v9
	v_cndmask_b32_e32 v10, v9, v10, vcc
	v_mov_b32_e32 v11, v10
	;;#ASMSTART
	v_pk_mul_f32 v[4:5], v[4:5], v[10:11]
	;;#ASMEND
	;;#ASMSTART
	v_pk_mul_f32 v[2:3], v[2:3], v[10:11]
	;;#ASMEND
	v_pk_add_f32 v[6:7], v[12:13], 1.0 op_sel_hi:[1,0]
	;;#ASMSTART
	v_pk_mul_f32 v[4:5], v[4:5], v[6:7]
	;;#ASMEND
	v_pk_add_f32 v[6:7], v[14:15], 1.0 op_sel_hi:[1,0]
	;;#ASMSTART
	v_pk_mul_f32 v[2:3], v[2:3], v[6:7]
	;;#ASMEND
.LBB246_5:
	s_or_b64 exec, exec, s[14:15]
	s_load_dwordx2 s[14:15], s[4:5], 0x7c
	s_mov_b64 s[20:21], -1
	s_and_b64 vcc, exec, s[10:11]
	s_cbranch_vccnz .LBB246_9
; %bb.6:
	s_andn2_b64 vcc, exec, s[20:21]
	s_cbranch_vccz .LBB246_12
.LBB246_7:
	s_cmp_lt_i32 s16, 1
	s_cbranch_scc0 .LBB246_15
.LBB246_8:
	s_endpgm
.LBB246_9:
	s_and_saveexec_b64 s[10:11], s[0:1]
	s_cbranch_execz .LBB246_11
; %bb.10:
	s_waitcnt lgkmcnt(0)
	s_mul_hi_i32 s21, s15, s6
	s_mul_i32 s20, s15, s6
	s_lshl_b64 s[20:21], s[20:21], 1
	s_add_u32 s20, s2, s20
	s_addc_u32 s7, s3, s21
	s_and_b32 s21, s7, 0xffff
	s_mov_b32 s7, 0x7060302
	s_mov_b32 s23, 0x20000
	s_waitcnt vmcnt(0)
	v_perm_b32 v6, v5, v4, s7
	v_perm_b32 v7, v3, v2, s7
	v_lshlrev_b32_e32 v9, 3, v0
	buffer_store_dwordx2 v[6:7], v9, s[20:23], 0 offen
	;;#ASMSTART
	s_nop 0
	;;#ASMEND
.LBB246_11:
	s_or_b64 exec, exec, s[10:11]
	s_cbranch_execnz .LBB246_7
.LBB246_12:
	s_and_saveexec_b64 s[10:11], s[0:1]
	s_cbranch_execz .LBB246_14
; %bb.13:
	s_load_dwordx2 s[0:1], s[4:5], 0x10
	s_waitcnt lgkmcnt(0)
	s_mul_hi_i32 s21, s14, s6
	s_mul_i32 s20, s14, s6
	s_lshl_b64 s[20:21], s[20:21], 1
	s_mov_b32 s23, 0x20000
	s_add_u32 s20, s0, s20
	s_addc_u32 s0, s1, s21
	s_and_b32 s21, s0, 0xffff
	s_mov_b32 s0, 0x7060302
	v_perm_b32 v4, v5, v4, s0
	v_perm_b32 v5, v3, v2, s0
	v_lshlrev_b32_e32 v2, 3, v0
	buffer_store_dwordx2 v[4:5], v2, s[20:23], 0 offen
	;;#ASMSTART
	s_nop 0
	;;#ASMEND
.LBB246_14:
	s_or_b64 exec, exec, s[10:11]
	s_cmp_lt_i32 s16, 1
	s_cbranch_scc1 .LBB246_8
.LBB246_15:
	s_load_dword s0, s[4:5], 0x94
	s_waitcnt lgkmcnt(0)
	s_cmp_lg_u32 s0, 1
	s_cbranch_scc1 .LBB246_8
; %bb.16:
	s_lshl_b32 s0, s16, 1
	s_add_i32 s0, s0, 2
	v_cmp_gt_u32_e32 vcc, s16, v1
	s_and_b32 s10, s0, -4
	v_mov_b32_e32 v2, 0
	s_waitcnt vmcnt(0)
	v_lshlrev_b32_e32 v6, 3, v0
	v_mov_b32_e32 v3, 0
	v_mov_b32_e32 v0, 0
	;; [unrolled: 1-line block ×3, first 2 shown]
	s_barrier
	s_and_saveexec_b64 s[0:1], vcc
	s_cbranch_execz .LBB246_18
; %bb.17:
	s_mul_hi_i32 s5, s18, s6
	s_mul_i32 s4, s18, s6
	s_and_b32 s9, s9, 0xffff
	s_lshl_b64 s[4:5], s[4:5], 1
	s_add_u32 s20, s24, s4
	s_mov_b32 s11, 0x20000
	s_addc_u32 s4, s25, s5
	s_and_b32 s21, s4, 0xffff
	s_mov_b32 s22, s10
	s_mov_b32 s23, s11
	buffer_load_dwordx2 v[2:3], v6, s[20:23], 0 offen glc slc
	buffer_load_dwordx2 v[0:1], v6, s[8:11], 0 offen
.LBB246_18:
	s_or_b64 exec, exec, s[0:1]
	s_waitcnt vmcnt(1)
	v_cvt_f32_u32_sdwa v5, v3 dst_sel:DWORD dst_unused:UNUSED_PAD src0_sel:WORD_0
	v_cvt_f32_u32_sdwa v7, v2 dst_sel:DWORD dst_unused:UNUSED_PAD src0_sel:WORD_1
	v_cvt_f32_u32_sdwa v4, v3 dst_sel:DWORD dst_unused:UNUSED_PAD src0_sel:WORD_1
	v_cvt_f32_u32_sdwa v9, v2 dst_sel:DWORD dst_unused:UNUSED_PAD src0_sel:WORD_0
	v_cndmask_b32_e32 v2, 0, v5, vcc
	v_cndmask_b32_e32 v5, 0, v7, vcc
	;; [unrolled: 1-line block ×4, first 2 shown]
	v_mul_f32_e32 v7, v5, v5
	v_fmac_f32_e32 v7, v4, v4
	v_fmac_f32_e32 v7, v2, v2
	v_fmac_f32_e32 v7, v3, v3
	s_nop 1
	v_mov_b32_dpp v9, v7 quad_perm:[1,0,3,2] row_mask:0xf bank_mask:0xf
	v_add_f32_e32 v7, v7, v9
	s_nop 1
	v_mov_b32_dpp v9, v7 quad_perm:[2,3,0,1] row_mask:0xf bank_mask:0xf
	v_add_f32_e32 v7, v7, v9
	s_nop 1
	v_mov_b32_dpp v9, v7 row_half_mirror row_mask:0xf bank_mask:0xf
	v_add_f32_e32 v7, v7, v9
	s_nop 1
	v_mov_b32_dpp v9, v7 row_mirror row_mask:0xf bank_mask:0xf
	v_add_f32_e32 v7, v7, v9
	s_nop 1
	v_mov_b32_dpp v9, v7 row_bcast:15 row_mask:0xf bank_mask:0xf
	v_add_f32_e32 v7, v7, v9
	s_nop 1
	v_mov_b32_dpp v9, v7 row_bcast:31 row_mask:0xf bank_mask:0xf
	v_add_f32_e32 v7, v7, v9
	ds_bpermute_b32 v7, v8, v7
	s_and_saveexec_b64 s[0:1], vcc
	s_cbranch_execz .LBB246_8
; %bb.19:
	v_cvt_f32_u32_e32 v8, s16
	s_mov_b32 s11, 0x20000
	s_waitcnt lgkmcnt(0)
	v_div_scale_f32 v9, s[0:1], v8, v8, v7
	v_rcp_f32_e32 v10, v9
	v_div_scale_f32 v11, vcc, v7, v8, v7
	s_mov_b32 s0, 0x800000
	v_fma_f32 v12, -v9, v10, 1.0
	v_fmac_f32_e32 v10, v12, v10
	v_mul_f32_e32 v12, v11, v10
	v_fma_f32 v13, -v9, v12, v11
	v_fmac_f32_e32 v12, v13, v10
	v_fma_f32 v9, -v9, v12, v11
	v_div_fmas_f32 v9, v9, v10, v12
	v_div_fixup_f32 v7, v9, v8, v7
	v_add_f32_e32 v7, s13, v7
	v_mul_f32_e32 v8, 0x4b800000, v7
	v_cmp_gt_f32_e32 vcc, s0, v7
	v_cndmask_b32_e32 v7, v7, v8, vcc
	v_rsq_f32_e32 v7, v7
	s_waitcnt vmcnt(0)
	v_cvt_f32_u32_sdwa v9, v0 dst_sel:DWORD dst_unused:UNUSED_PAD src0_sel:WORD_1
	v_cvt_f32_u32_sdwa v8, v0 dst_sel:DWORD dst_unused:UNUSED_PAD src0_sel:WORD_0
	s_mul_hi_i32 s1, s15, s6
	s_mul_i32 s0, s15, s6
	v_cvt_f32_u32_sdwa v11, v1 dst_sel:DWORD dst_unused:UNUSED_PAD src0_sel:WORD_1
	v_mul_f32_e32 v0, 0x45800000, v7
	v_cvt_f32_u32_sdwa v10, v1 dst_sel:DWORD dst_unused:UNUSED_PAD src0_sel:WORD_0
	s_lshl_b64 s[0:1], s[0:1], 1
	v_cndmask_b32_e32 v12, v7, v0, vcc
	s_add_u32 s8, s2, s0
	v_mov_b32_e32 v13, v12
	;;#ASMSTART
	v_pk_mul_f32 v[4:5], v[4:5], v[12:13]
	;;#ASMEND
	;;#ASMSTART
	v_pk_mul_f32 v[0:1], v[2:3], v[12:13]
	;;#ASMEND
	v_pk_add_f32 v[2:3], v[8:9], 1.0 op_sel_hi:[1,0]
	s_addc_u32 s0, s3, s1
	;;#ASMSTART
	v_pk_mul_f32 v[2:3], v[4:5], v[2:3]
	;;#ASMEND
	s_and_b32 s9, s0, 0xffff
	s_mov_b32 s0, 0x7060302
	v_pk_add_f32 v[4:5], v[10:11], 1.0 op_sel_hi:[1,0]
	;;#ASMSTART
	v_pk_mul_f32 v[0:1], v[0:1], v[4:5]
	;;#ASMEND
	v_perm_b32 v2, v3, v2, s0
	v_perm_b32 v3, v1, v0, s0
	buffer_store_dwordx2 v[2:3], v6, s[8:11], 0 offen
	;;#ASMSTART
	s_nop 0
	;;#ASMEND
	s_endpgm
	.section	.rodata,"a",@progbits
	.p2align	6, 0x0
	.amdhsa_kernel _ZN5aiter35fused_qk_rmsnorm_group_quant_kernelItDB8_Li64ELi4ELi32ELb0ELb1ELb1ELb1ELb0ELb0EEEvPT0_PvPT_S6_S6_PKS5_S8_S8_S8_S8_ffiiiiiiiiiiiii
		.amdhsa_group_segment_fixed_size 0
		.amdhsa_private_segment_fixed_size 0
		.amdhsa_kernarg_size 400
		.amdhsa_user_sgpr_count 6
		.amdhsa_user_sgpr_private_segment_buffer 1
		.amdhsa_user_sgpr_dispatch_ptr 0
		.amdhsa_user_sgpr_queue_ptr 0
		.amdhsa_user_sgpr_kernarg_segment_ptr 1
		.amdhsa_user_sgpr_dispatch_id 0
		.amdhsa_user_sgpr_flat_scratch_init 0
		.amdhsa_user_sgpr_kernarg_preload_length 0
		.amdhsa_user_sgpr_kernarg_preload_offset 0
		.amdhsa_user_sgpr_private_segment_size 0
		.amdhsa_uses_dynamic_stack 0
		.amdhsa_system_sgpr_private_segment_wavefront_offset 0
		.amdhsa_system_sgpr_workgroup_id_x 1
		.amdhsa_system_sgpr_workgroup_id_y 1
		.amdhsa_system_sgpr_workgroup_id_z 0
		.amdhsa_system_sgpr_workgroup_info 0
		.amdhsa_system_vgpr_workitem_id 0
		.amdhsa_next_free_vgpr 17
		.amdhsa_next_free_sgpr 32
		.amdhsa_accum_offset 20
		.amdhsa_reserve_vcc 1
		.amdhsa_reserve_flat_scratch 0
		.amdhsa_float_round_mode_32 0
		.amdhsa_float_round_mode_16_64 0
		.amdhsa_float_denorm_mode_32 3
		.amdhsa_float_denorm_mode_16_64 3
		.amdhsa_dx10_clamp 1
		.amdhsa_ieee_mode 1
		.amdhsa_fp16_overflow 0
		.amdhsa_tg_split 0
		.amdhsa_exception_fp_ieee_invalid_op 0
		.amdhsa_exception_fp_denorm_src 0
		.amdhsa_exception_fp_ieee_div_zero 0
		.amdhsa_exception_fp_ieee_overflow 0
		.amdhsa_exception_fp_ieee_underflow 0
		.amdhsa_exception_fp_ieee_inexact 0
		.amdhsa_exception_int_div_zero 0
	.end_amdhsa_kernel
	.section	.text._ZN5aiter35fused_qk_rmsnorm_group_quant_kernelItDB8_Li64ELi4ELi32ELb0ELb1ELb1ELb1ELb0ELb0EEEvPT0_PvPT_S6_S6_PKS5_S8_S8_S8_S8_ffiiiiiiiiiiiii,"axG",@progbits,_ZN5aiter35fused_qk_rmsnorm_group_quant_kernelItDB8_Li64ELi4ELi32ELb0ELb1ELb1ELb1ELb0ELb0EEEvPT0_PvPT_S6_S6_PKS5_S8_S8_S8_S8_ffiiiiiiiiiiiii,comdat
.Lfunc_end246:
	.size	_ZN5aiter35fused_qk_rmsnorm_group_quant_kernelItDB8_Li64ELi4ELi32ELb0ELb1ELb1ELb1ELb0ELb0EEEvPT0_PvPT_S6_S6_PKS5_S8_S8_S8_S8_ffiiiiiiiiiiiii, .Lfunc_end246-_ZN5aiter35fused_qk_rmsnorm_group_quant_kernelItDB8_Li64ELi4ELi32ELb0ELb1ELb1ELb1ELb0ELb0EEEvPT0_PvPT_S6_S6_PKS5_S8_S8_S8_S8_ffiiiiiiiiiiiii
                                        ; -- End function
	.section	.AMDGPU.csdata,"",@progbits
; Kernel info:
; codeLenInByte = 1580
; NumSgprs: 36
; NumVgprs: 17
; NumAgprs: 0
; TotalNumVgprs: 17
; ScratchSize: 0
; MemoryBound: 0
; FloatMode: 240
; IeeeMode: 1
; LDSByteSize: 0 bytes/workgroup (compile time only)
; SGPRBlocks: 4
; VGPRBlocks: 2
; NumSGPRsForWavesPerEU: 36
; NumVGPRsForWavesPerEU: 17
; AccumOffset: 20
; Occupancy: 8
; WaveLimiterHint : 0
; COMPUTE_PGM_RSRC2:SCRATCH_EN: 0
; COMPUTE_PGM_RSRC2:USER_SGPR: 6
; COMPUTE_PGM_RSRC2:TRAP_HANDLER: 0
; COMPUTE_PGM_RSRC2:TGID_X_EN: 1
; COMPUTE_PGM_RSRC2:TGID_Y_EN: 1
; COMPUTE_PGM_RSRC2:TGID_Z_EN: 0
; COMPUTE_PGM_RSRC2:TIDIG_COMP_CNT: 0
; COMPUTE_PGM_RSRC3_GFX90A:ACCUM_OFFSET: 4
; COMPUTE_PGM_RSRC3_GFX90A:TG_SPLIT: 0
	.section	.text._ZN5aiter35fused_qk_rmsnorm_group_quant_kernelIDF16_DB8_Li64ELi4ELi32ELb0ELb1ELb0ELb1ELb0ELb0EEEvPT0_PvPT_S6_S6_PKS5_S8_S8_S8_S8_ffiiiiiiiiiiiii,"axG",@progbits,_ZN5aiter35fused_qk_rmsnorm_group_quant_kernelIDF16_DB8_Li64ELi4ELi32ELb0ELb1ELb0ELb1ELb0ELb0EEEvPT0_PvPT_S6_S6_PKS5_S8_S8_S8_S8_ffiiiiiiiiiiiii,comdat
	.protected	_ZN5aiter35fused_qk_rmsnorm_group_quant_kernelIDF16_DB8_Li64ELi4ELi32ELb0ELb1ELb0ELb1ELb0ELb0EEEvPT0_PvPT_S6_S6_PKS5_S8_S8_S8_S8_ffiiiiiiiiiiiii ; -- Begin function _ZN5aiter35fused_qk_rmsnorm_group_quant_kernelIDF16_DB8_Li64ELi4ELi32ELb0ELb1ELb0ELb1ELb0ELb0EEEvPT0_PvPT_S6_S6_PKS5_S8_S8_S8_S8_ffiiiiiiiiiiiii
	.globl	_ZN5aiter35fused_qk_rmsnorm_group_quant_kernelIDF16_DB8_Li64ELi4ELi32ELb0ELb1ELb0ELb1ELb0ELb0EEEvPT0_PvPT_S6_S6_PKS5_S8_S8_S8_S8_ffiiiiiiiiiiiii
	.p2align	8
	.type	_ZN5aiter35fused_qk_rmsnorm_group_quant_kernelIDF16_DB8_Li64ELi4ELi32ELb0ELb1ELb0ELb1ELb0ELb0EEEvPT0_PvPT_S6_S6_PKS5_S8_S8_S8_S8_ffiiiiiiiiiiiii,@function
_ZN5aiter35fused_qk_rmsnorm_group_quant_kernelIDF16_DB8_Li64ELi4ELi32ELb0ELb1ELb0ELb1ELb0ELb0EEEvPT0_PvPT_S6_S6_PKS5_S8_S8_S8_S8_ffiiiiiiiiiiiii: ; @_ZN5aiter35fused_qk_rmsnorm_group_quant_kernelIDF16_DB8_Li64ELi4ELi32ELb0ELb1ELb0ELb1ELb0ELb0EEEvPT0_PvPT_S6_S6_PKS5_S8_S8_S8_S8_ffiiiiiiiiiiiii
; %bb.0:
	s_load_dwordx4 s[12:15], s[4:5], 0x50
	s_waitcnt lgkmcnt(0)
	s_cmp_ge_i32 s6, s14
	s_cbranch_scc1 .LBB247_8
; %bb.1:
	s_load_dwordx2 s[24:25], s[4:5], 0x30
	s_load_dwordx2 s[8:9], s[4:5], 0x48
	s_load_dwordx4 s[16:19], s[4:5], 0x60
	s_cmp_lg_u32 s7, 0
	s_cselect_b64 s[10:11], -1, 0
	s_cmp_eq_u32 s7, 0
	s_cselect_b64 vcc, -1, 0
	s_and_b64 s[0:1], vcc, exec
	s_waitcnt lgkmcnt(0)
	s_cselect_b32 s7, s15, s16
	s_add_i32 s0, s7, 1
	s_lshr_b32 s1, s0, 31
	s_add_i32 s0, s0, s1
	s_lshl_b32 s0, s0, 1
	v_lshlrev_b32_e32 v1, 2, v0
	s_and_b32 s22, s0, -4
	v_cmp_gt_i32_e64 s[0:1], s7, v1
	v_mov_b32_e32 v6, 0
	v_mov_b32_e32 v7, 0
	v_mov_b32_e32 v2, 0
	v_mov_b32_e32 v3, 0
	s_and_saveexec_b64 s[2:3], s[0:1]
	s_cbranch_execz .LBB247_3
; %bb.2:
	s_load_dwordx2 s[14:15], s[4:5], 0x28
	s_load_dwordx2 s[20:21], s[4:5], 0x40
	s_and_b64 s[26:27], vcc, exec
	s_cselect_b32 s17, s17, s18
	v_lshlrev_b32_e32 v4, 3, v0
	s_waitcnt lgkmcnt(0)
	s_cselect_b32 s19, s15, s25
	s_cselect_b32 s23, s14, s24
	s_mul_hi_i32 s15, s17, s6
	s_mul_i32 s14, s17, s6
	s_lshl_b64 s[14:15], s[14:15], 1
	s_add_u32 s28, s23, s14
	s_addc_u32 s17, s19, s15
	s_and_b64 s[14:15], vcc, exec
	s_mov_b32 s23, 0x20000
	s_cselect_b32 s20, s20, s8
	s_cselect_b32 s14, s21, s9
	s_and_b32 s29, s17, 0xffff
	s_mov_b32 s30, s22
	s_mov_b32 s31, s23
	s_and_b32 s21, s14, 0xffff
	buffer_load_dwordx2 v[2:3], v4, s[28:31], 0 offen glc slc
	buffer_load_dwordx2 v[6:7], v4, s[20:23], 0 offen
.LBB247_3:
	s_or_b64 exec, exec, s[2:3]
	s_waitcnt vmcnt(1)
	v_cvt_f32_f16_e32 v4, v3
	v_cvt_f32_f16_e32 v5, v2
	v_cvt_f32_f16_sdwa v3, v3 dst_sel:DWORD dst_unused:UNUSED_PAD src0_sel:WORD_1
	v_cvt_f32_f16_sdwa v8, v2 dst_sel:DWORD dst_unused:UNUSED_PAD src0_sel:WORD_1
	v_cndmask_b32_e64 v4, 0, v4, s[0:1]
	v_cndmask_b32_e64 v2, 0, v5, s[0:1]
	;; [unrolled: 1-line block ×4, first 2 shown]
	v_mul_f32_e32 v8, v3, v3
	v_fmac_f32_e32 v8, v2, v2
	v_fmac_f32_e32 v8, v4, v4
	;; [unrolled: 1-line block ×3, first 2 shown]
	v_bfrev_b32_e32 v10, 0.5
	s_load_dwordx2 s[2:3], s[4:5], 0x18
	v_mov_b32_dpp v9, v8 quad_perm:[1,0,3,2] row_mask:0xf bank_mask:0xf
	v_add_f32_e32 v8, v8, v9
	s_nop 1
	v_mov_b32_dpp v9, v8 quad_perm:[2,3,0,1] row_mask:0xf bank_mask:0xf
	v_add_f32_e32 v8, v8, v9
	s_nop 1
	v_mov_b32_dpp v9, v8 row_half_mirror row_mask:0xf bank_mask:0xf
	v_add_f32_e32 v8, v8, v9
	s_nop 1
	v_mov_b32_dpp v9, v8 row_mirror row_mask:0xf bank_mask:0xf
	v_add_f32_e32 v8, v8, v9
	s_nop 1
	v_mov_b32_dpp v9, v8 row_bcast:15 row_mask:0xf bank_mask:0xf
	v_add_f32_e32 v8, v8, v9
	s_nop 1
	v_mov_b32_dpp v9, v8 row_bcast:31 row_mask:0xf bank_mask:0xf
	v_add_f32_e32 v9, v8, v9
	v_mbcnt_lo_u32_b32 v8, -1, 0
	v_mbcnt_hi_u32_b32 v8, -1, v8
	v_lshl_or_b32 v8, v8, 2, v10
	ds_bpermute_b32 v9, v8, v9
	s_and_saveexec_b64 s[14:15], s[0:1]
	s_cbranch_execz .LBB247_5
; %bb.4:
	v_cvt_f32_u32_e32 v10, s7
	v_mov_b32_e32 v11, s13
	v_mov_b32_e32 v12, s12
	v_cndmask_b32_e32 v11, v11, v12, vcc
	s_waitcnt lgkmcnt(0)
	v_div_scale_f32 v13, s[20:21], v10, v10, v9
	v_rcp_f32_e32 v14, v13
	v_div_scale_f32 v12, vcc, v9, v10, v9
	s_mov_b32 s7, 0x800000
	v_fma_f32 v15, -v13, v14, 1.0
	v_fmac_f32_e32 v14, v15, v14
	v_mul_f32_e32 v15, v12, v14
	v_fma_f32 v16, -v13, v15, v12
	v_fmac_f32_e32 v15, v16, v14
	v_fma_f32 v12, -v13, v15, v12
	v_div_fmas_f32 v12, v12, v14, v15
	v_div_fixup_f32 v9, v12, v10, v9
	v_add_f32_e32 v9, v11, v9
	v_mul_f32_e32 v10, 0x4b800000, v9
	v_cmp_gt_f32_e32 vcc, s7, v9
	v_cndmask_b32_e32 v9, v9, v10, vcc
	v_rsq_f32_e32 v9, v9
	s_waitcnt vmcnt(0)
	v_cvt_f32_f16_sdwa v13, v6 dst_sel:DWORD dst_unused:UNUSED_PAD src0_sel:WORD_1
	v_cvt_f32_f16_e32 v12, v6
	v_cvt_f32_f16_sdwa v15, v7 dst_sel:DWORD dst_unused:UNUSED_PAD src0_sel:WORD_1
	v_mul_f32_e32 v10, 0x45800000, v9
	v_cndmask_b32_e32 v10, v9, v10, vcc
	v_mov_b32_e32 v11, v10
	;;#ASMSTART
	v_pk_mul_f32 v[2:3], v[2:3], v[10:11]
	;;#ASMEND
	;;#ASMSTART
	v_pk_mul_f32 v[4:5], v[4:5], v[10:11]
	;;#ASMEND
	v_cvt_f32_f16_e32 v14, v7
	;;#ASMSTART
	v_pk_mul_f32 v[2:3], v[2:3], v[12:13]
	;;#ASMEND
	;;#ASMSTART
	v_pk_mul_f32 v[4:5], v[4:5], v[14:15]
	;;#ASMEND
.LBB247_5:
	s_or_b64 exec, exec, s[14:15]
	s_load_dwordx2 s[14:15], s[4:5], 0x7c
	s_mov_b64 s[20:21], -1
	s_and_b64 vcc, exec, s[10:11]
	s_cbranch_vccnz .LBB247_9
; %bb.6:
	s_andn2_b64 vcc, exec, s[20:21]
	s_cbranch_vccz .LBB247_12
.LBB247_7:
	s_cmp_lt_i32 s16, 1
	s_cbranch_scc0 .LBB247_15
.LBB247_8:
	s_endpgm
.LBB247_9:
	s_and_saveexec_b64 s[10:11], s[0:1]
	s_cbranch_execz .LBB247_11
; %bb.10:
	s_waitcnt lgkmcnt(0)
	s_mul_hi_i32 s21, s15, s6
	s_mul_i32 s20, s15, s6
	s_waitcnt vmcnt(0)
	v_cvt_f16_f32_e32 v6, v2
	v_cvt_f16_f32_e32 v7, v4
	;; [unrolled: 1-line block ×4, first 2 shown]
	s_lshl_b64 s[20:21], s[20:21], 1
	s_add_u32 s20, s2, s20
	s_addc_u32 s7, s3, s21
	s_and_b32 s21, s7, 0xffff
	s_mov_b32 s23, 0x20000
	v_pack_b32_f16 v7, v7, v9
	v_pack_b32_f16 v6, v6, v10
	v_lshlrev_b32_e32 v9, 3, v0
	buffer_store_dwordx2 v[6:7], v9, s[20:23], 0 offen
	;;#ASMSTART
	s_nop 0
	;;#ASMEND
.LBB247_11:
	s_or_b64 exec, exec, s[10:11]
	s_cbranch_execnz .LBB247_7
.LBB247_12:
	s_and_saveexec_b64 s[10:11], s[0:1]
	s_cbranch_execz .LBB247_14
; %bb.13:
	s_load_dwordx2 s[0:1], s[4:5], 0x10
	s_waitcnt lgkmcnt(0)
	s_mul_hi_i32 s21, s14, s6
	s_mul_i32 s20, s14, s6
	v_cvt_f16_f32_e32 v2, v2
	v_cvt_f16_f32_e32 v4, v4
	;; [unrolled: 1-line block ×3, first 2 shown]
	s_waitcnt vmcnt(0)
	v_cvt_f16_f32_e32 v6, v3
	s_lshl_b64 s[20:21], s[20:21], 1
	s_add_u32 s20, s0, s20
	s_addc_u32 s0, s1, s21
	s_and_b32 s21, s0, 0xffff
	s_mov_b32 s23, 0x20000
	v_pack_b32_f16 v3, v4, v5
	v_pack_b32_f16 v2, v2, v6
	v_lshlrev_b32_e32 v4, 3, v0
	buffer_store_dwordx2 v[2:3], v4, s[20:23], 0 offen
	;;#ASMSTART
	s_nop 0
	;;#ASMEND
.LBB247_14:
	s_or_b64 exec, exec, s[10:11]
	s_cmp_lt_i32 s16, 1
	s_cbranch_scc1 .LBB247_8
.LBB247_15:
	s_load_dword s0, s[4:5], 0x94
	s_waitcnt lgkmcnt(0)
	s_cmp_lg_u32 s0, 1
	s_cbranch_scc1 .LBB247_8
; %bb.16:
	s_lshl_b32 s0, s16, 1
	s_add_i32 s0, s0, 2
	v_cmp_gt_u32_e32 vcc, s16, v1
	s_and_b32 s10, s0, -4
	v_mov_b32_e32 v2, 0
	s_waitcnt vmcnt(0)
	v_lshlrev_b32_e32 v6, 3, v0
	v_mov_b32_e32 v3, 0
	v_mov_b32_e32 v0, 0
	;; [unrolled: 1-line block ×3, first 2 shown]
	s_barrier
	s_and_saveexec_b64 s[0:1], vcc
	s_cbranch_execz .LBB247_18
; %bb.17:
	s_mul_hi_i32 s5, s18, s6
	s_mul_i32 s4, s18, s6
	s_and_b32 s9, s9, 0xffff
	s_lshl_b64 s[4:5], s[4:5], 1
	s_add_u32 s20, s24, s4
	s_mov_b32 s11, 0x20000
	s_addc_u32 s4, s25, s5
	s_and_b32 s21, s4, 0xffff
	s_mov_b32 s22, s10
	s_mov_b32 s23, s11
	buffer_load_dwordx2 v[2:3], v6, s[20:23], 0 offen glc slc
	buffer_load_dwordx2 v[0:1], v6, s[8:11], 0 offen
.LBB247_18:
	s_or_b64 exec, exec, s[0:1]
	s_waitcnt vmcnt(1)
	v_cvt_f32_f16_e32 v4, v3
	v_cvt_f32_f16_e32 v5, v2
	v_cvt_f32_f16_sdwa v7, v2 dst_sel:DWORD dst_unused:UNUSED_PAD src0_sel:WORD_1
	v_cvt_f32_f16_sdwa v3, v3 dst_sel:DWORD dst_unused:UNUSED_PAD src0_sel:WORD_1
	v_cndmask_b32_e32 v2, 0, v4, vcc
	v_cndmask_b32_e32 v4, 0, v5, vcc
	;; [unrolled: 1-line block ×3, first 2 shown]
	v_mul_f32_e32 v7, v5, v5
	v_fmac_f32_e32 v7, v4, v4
	v_cndmask_b32_e32 v3, 0, v3, vcc
	v_fmac_f32_e32 v7, v2, v2
	v_fmac_f32_e32 v7, v3, v3
	s_nop 1
	v_mov_b32_dpp v9, v7 quad_perm:[1,0,3,2] row_mask:0xf bank_mask:0xf
	v_add_f32_e32 v7, v7, v9
	s_nop 1
	v_mov_b32_dpp v9, v7 quad_perm:[2,3,0,1] row_mask:0xf bank_mask:0xf
	v_add_f32_e32 v7, v7, v9
	s_nop 1
	v_mov_b32_dpp v9, v7 row_half_mirror row_mask:0xf bank_mask:0xf
	v_add_f32_e32 v7, v7, v9
	s_nop 1
	v_mov_b32_dpp v9, v7 row_mirror row_mask:0xf bank_mask:0xf
	v_add_f32_e32 v7, v7, v9
	s_nop 1
	v_mov_b32_dpp v9, v7 row_bcast:15 row_mask:0xf bank_mask:0xf
	v_add_f32_e32 v7, v7, v9
	s_nop 1
	v_mov_b32_dpp v9, v7 row_bcast:31 row_mask:0xf bank_mask:0xf
	v_add_f32_e32 v7, v7, v9
	ds_bpermute_b32 v7, v8, v7
	s_and_saveexec_b64 s[0:1], vcc
	s_cbranch_execz .LBB247_8
; %bb.19:
	v_cvt_f32_u32_e32 v8, s16
	s_mov_b32 s11, 0x20000
	s_waitcnt lgkmcnt(0)
	v_div_scale_f32 v9, s[0:1], v8, v8, v7
	v_rcp_f32_e32 v10, v9
	v_div_scale_f32 v11, vcc, v7, v8, v7
	s_mov_b32 s0, 0x800000
	v_fma_f32 v12, -v9, v10, 1.0
	v_fmac_f32_e32 v10, v12, v10
	v_mul_f32_e32 v12, v11, v10
	v_fma_f32 v13, -v9, v12, v11
	v_fmac_f32_e32 v12, v13, v10
	v_fma_f32 v9, -v9, v12, v11
	v_div_fmas_f32 v9, v9, v10, v12
	v_div_fixup_f32 v7, v9, v8, v7
	v_add_f32_e32 v7, s13, v7
	v_mul_f32_e32 v8, 0x4b800000, v7
	v_cmp_gt_f32_e32 vcc, s0, v7
	v_cndmask_b32_e32 v7, v7, v8, vcc
	v_rsq_f32_e32 v7, v7
	s_waitcnt vmcnt(0)
	v_cvt_f32_f16_sdwa v9, v0 dst_sel:DWORD dst_unused:UNUSED_PAD src0_sel:WORD_1
	v_cvt_f32_f16_e32 v8, v0
	v_cvt_f32_f16_sdwa v11, v1 dst_sel:DWORD dst_unused:UNUSED_PAD src0_sel:WORD_1
	v_mul_f32_e32 v0, 0x45800000, v7
	v_cndmask_b32_e32 v12, v7, v0, vcc
	v_mov_b32_e32 v13, v12
	v_cvt_f32_f16_e32 v10, v1
	;;#ASMSTART
	v_pk_mul_f32 v[0:1], v[4:5], v[12:13]
	;;#ASMEND
	;;#ASMSTART
	v_pk_mul_f32 v[2:3], v[2:3], v[12:13]
	;;#ASMEND
	;; [unrolled: 3-line block ×4, first 2 shown]
	s_mul_hi_i32 s1, s15, s6
	s_mul_i32 s0, s15, s6
	v_cvt_f16_f32_e32 v0, v0
	v_cvt_f16_f32_e32 v1, v1
	;; [unrolled: 1-line block ×4, first 2 shown]
	s_lshl_b64 s[0:1], s[0:1], 1
	s_add_u32 s8, s2, s0
	s_addc_u32 s0, s3, s1
	s_and_b32 s9, s0, 0xffff
	v_pack_b32_f16 v0, v0, v1
	v_pack_b32_f16 v1, v2, v3
	buffer_store_dwordx2 v[0:1], v6, s[8:11], 0 offen
	;;#ASMSTART
	s_nop 0
	;;#ASMEND
	s_endpgm
	.section	.rodata,"a",@progbits
	.p2align	6, 0x0
	.amdhsa_kernel _ZN5aiter35fused_qk_rmsnorm_group_quant_kernelIDF16_DB8_Li64ELi4ELi32ELb0ELb1ELb0ELb1ELb0ELb0EEEvPT0_PvPT_S6_S6_PKS5_S8_S8_S8_S8_ffiiiiiiiiiiiii
		.amdhsa_group_segment_fixed_size 0
		.amdhsa_private_segment_fixed_size 0
		.amdhsa_kernarg_size 400
		.amdhsa_user_sgpr_count 6
		.amdhsa_user_sgpr_private_segment_buffer 1
		.amdhsa_user_sgpr_dispatch_ptr 0
		.amdhsa_user_sgpr_queue_ptr 0
		.amdhsa_user_sgpr_kernarg_segment_ptr 1
		.amdhsa_user_sgpr_dispatch_id 0
		.amdhsa_user_sgpr_flat_scratch_init 0
		.amdhsa_user_sgpr_kernarg_preload_length 0
		.amdhsa_user_sgpr_kernarg_preload_offset 0
		.amdhsa_user_sgpr_private_segment_size 0
		.amdhsa_uses_dynamic_stack 0
		.amdhsa_system_sgpr_private_segment_wavefront_offset 0
		.amdhsa_system_sgpr_workgroup_id_x 1
		.amdhsa_system_sgpr_workgroup_id_y 1
		.amdhsa_system_sgpr_workgroup_id_z 0
		.amdhsa_system_sgpr_workgroup_info 0
		.amdhsa_system_vgpr_workitem_id 0
		.amdhsa_next_free_vgpr 17
		.amdhsa_next_free_sgpr 32
		.amdhsa_accum_offset 20
		.amdhsa_reserve_vcc 1
		.amdhsa_reserve_flat_scratch 0
		.amdhsa_float_round_mode_32 0
		.amdhsa_float_round_mode_16_64 0
		.amdhsa_float_denorm_mode_32 3
		.amdhsa_float_denorm_mode_16_64 3
		.amdhsa_dx10_clamp 1
		.amdhsa_ieee_mode 1
		.amdhsa_fp16_overflow 0
		.amdhsa_tg_split 0
		.amdhsa_exception_fp_ieee_invalid_op 0
		.amdhsa_exception_fp_denorm_src 0
		.amdhsa_exception_fp_ieee_div_zero 0
		.amdhsa_exception_fp_ieee_overflow 0
		.amdhsa_exception_fp_ieee_underflow 0
		.amdhsa_exception_fp_ieee_inexact 0
		.amdhsa_exception_int_div_zero 0
	.end_amdhsa_kernel
	.section	.text._ZN5aiter35fused_qk_rmsnorm_group_quant_kernelIDF16_DB8_Li64ELi4ELi32ELb0ELb1ELb0ELb1ELb0ELb0EEEvPT0_PvPT_S6_S6_PKS5_S8_S8_S8_S8_ffiiiiiiiiiiiii,"axG",@progbits,_ZN5aiter35fused_qk_rmsnorm_group_quant_kernelIDF16_DB8_Li64ELi4ELi32ELb0ELb1ELb0ELb1ELb0ELb0EEEvPT0_PvPT_S6_S6_PKS5_S8_S8_S8_S8_ffiiiiiiiiiiiii,comdat
.Lfunc_end247:
	.size	_ZN5aiter35fused_qk_rmsnorm_group_quant_kernelIDF16_DB8_Li64ELi4ELi32ELb0ELb1ELb0ELb1ELb0ELb0EEEvPT0_PvPT_S6_S6_PKS5_S8_S8_S8_S8_ffiiiiiiiiiiiii, .Lfunc_end247-_ZN5aiter35fused_qk_rmsnorm_group_quant_kernelIDF16_DB8_Li64ELi4ELi32ELb0ELb1ELb0ELb1ELb0ELb0EEEvPT0_PvPT_S6_S6_PKS5_S8_S8_S8_S8_ffiiiiiiiiiiiii
                                        ; -- End function
	.section	.AMDGPU.csdata,"",@progbits
; Kernel info:
; codeLenInByte = 1544
; NumSgprs: 36
; NumVgprs: 17
; NumAgprs: 0
; TotalNumVgprs: 17
; ScratchSize: 0
; MemoryBound: 0
; FloatMode: 240
; IeeeMode: 1
; LDSByteSize: 0 bytes/workgroup (compile time only)
; SGPRBlocks: 4
; VGPRBlocks: 2
; NumSGPRsForWavesPerEU: 36
; NumVGPRsForWavesPerEU: 17
; AccumOffset: 20
; Occupancy: 8
; WaveLimiterHint : 0
; COMPUTE_PGM_RSRC2:SCRATCH_EN: 0
; COMPUTE_PGM_RSRC2:USER_SGPR: 6
; COMPUTE_PGM_RSRC2:TRAP_HANDLER: 0
; COMPUTE_PGM_RSRC2:TGID_X_EN: 1
; COMPUTE_PGM_RSRC2:TGID_Y_EN: 1
; COMPUTE_PGM_RSRC2:TGID_Z_EN: 0
; COMPUTE_PGM_RSRC2:TIDIG_COMP_CNT: 0
; COMPUTE_PGM_RSRC3_GFX90A:ACCUM_OFFSET: 4
; COMPUTE_PGM_RSRC3_GFX90A:TG_SPLIT: 0
	.section	.text._ZN5aiter35fused_qk_rmsnorm_group_quant_kernelItDB8_Li64ELi4ELi32ELb0ELb1ELb0ELb1ELb0ELb0EEEvPT0_PvPT_S6_S6_PKS5_S8_S8_S8_S8_ffiiiiiiiiiiiii,"axG",@progbits,_ZN5aiter35fused_qk_rmsnorm_group_quant_kernelItDB8_Li64ELi4ELi32ELb0ELb1ELb0ELb1ELb0ELb0EEEvPT0_PvPT_S6_S6_PKS5_S8_S8_S8_S8_ffiiiiiiiiiiiii,comdat
	.protected	_ZN5aiter35fused_qk_rmsnorm_group_quant_kernelItDB8_Li64ELi4ELi32ELb0ELb1ELb0ELb1ELb0ELb0EEEvPT0_PvPT_S6_S6_PKS5_S8_S8_S8_S8_ffiiiiiiiiiiiii ; -- Begin function _ZN5aiter35fused_qk_rmsnorm_group_quant_kernelItDB8_Li64ELi4ELi32ELb0ELb1ELb0ELb1ELb0ELb0EEEvPT0_PvPT_S6_S6_PKS5_S8_S8_S8_S8_ffiiiiiiiiiiiii
	.globl	_ZN5aiter35fused_qk_rmsnorm_group_quant_kernelItDB8_Li64ELi4ELi32ELb0ELb1ELb0ELb1ELb0ELb0EEEvPT0_PvPT_S6_S6_PKS5_S8_S8_S8_S8_ffiiiiiiiiiiiii
	.p2align	8
	.type	_ZN5aiter35fused_qk_rmsnorm_group_quant_kernelItDB8_Li64ELi4ELi32ELb0ELb1ELb0ELb1ELb0ELb0EEEvPT0_PvPT_S6_S6_PKS5_S8_S8_S8_S8_ffiiiiiiiiiiiii,@function
_ZN5aiter35fused_qk_rmsnorm_group_quant_kernelItDB8_Li64ELi4ELi32ELb0ELb1ELb0ELb1ELb0ELb0EEEvPT0_PvPT_S6_S6_PKS5_S8_S8_S8_S8_ffiiiiiiiiiiiii: ; @_ZN5aiter35fused_qk_rmsnorm_group_quant_kernelItDB8_Li64ELi4ELi32ELb0ELb1ELb0ELb1ELb0ELb0EEEvPT0_PvPT_S6_S6_PKS5_S8_S8_S8_S8_ffiiiiiiiiiiiii
; %bb.0:
	s_load_dwordx4 s[12:15], s[4:5], 0x50
	s_waitcnt lgkmcnt(0)
	s_cmp_ge_i32 s6, s14
	s_cbranch_scc1 .LBB248_8
; %bb.1:
	s_load_dwordx2 s[24:25], s[4:5], 0x30
	s_load_dwordx2 s[8:9], s[4:5], 0x48
	s_load_dwordx4 s[16:19], s[4:5], 0x60
	s_cmp_lg_u32 s7, 0
	s_cselect_b64 s[10:11], -1, 0
	s_cmp_eq_u32 s7, 0
	s_cselect_b64 vcc, -1, 0
	s_and_b64 s[0:1], vcc, exec
	s_waitcnt lgkmcnt(0)
	s_cselect_b32 s7, s15, s16
	s_add_i32 s0, s7, 1
	s_lshr_b32 s1, s0, 31
	s_add_i32 s0, s0, s1
	s_lshl_b32 s0, s0, 1
	v_lshlrev_b32_e32 v1, 2, v0
	s_and_b32 s22, s0, -4
	v_cmp_gt_i32_e64 s[0:1], s7, v1
	v_mov_b32_e32 v6, 0
	v_mov_b32_e32 v7, 0
	;; [unrolled: 1-line block ×4, first 2 shown]
	s_and_saveexec_b64 s[2:3], s[0:1]
	s_cbranch_execz .LBB248_3
; %bb.2:
	s_load_dwordx2 s[14:15], s[4:5], 0x28
	s_load_dwordx2 s[20:21], s[4:5], 0x40
	s_and_b64 s[26:27], vcc, exec
	s_cselect_b32 s17, s17, s18
	v_lshlrev_b32_e32 v4, 3, v0
	s_waitcnt lgkmcnt(0)
	s_cselect_b32 s19, s15, s25
	s_cselect_b32 s23, s14, s24
	s_mul_hi_i32 s15, s17, s6
	s_mul_i32 s14, s17, s6
	s_lshl_b64 s[14:15], s[14:15], 1
	s_add_u32 s28, s23, s14
	s_addc_u32 s17, s19, s15
	s_and_b64 s[14:15], vcc, exec
	s_mov_b32 s23, 0x20000
	s_cselect_b32 s20, s20, s8
	s_cselect_b32 s14, s21, s9
	s_and_b32 s29, s17, 0xffff
	s_mov_b32 s30, s22
	s_mov_b32 s31, s23
	s_and_b32 s21, s14, 0xffff
	buffer_load_dwordx2 v[2:3], v4, s[28:31], 0 offen glc slc
	buffer_load_dwordx2 v[6:7], v4, s[20:23], 0 offen
.LBB248_3:
	s_or_b64 exec, exec, s[2:3]
	s_waitcnt vmcnt(1)
	v_cvt_f32_u32_sdwa v4, v3 dst_sel:DWORD dst_unused:UNUSED_PAD src0_sel:WORD_1
	v_cvt_f32_u32_sdwa v3, v3 dst_sel:DWORD dst_unused:UNUSED_PAD src0_sel:WORD_0
	v_cvt_f32_u32_sdwa v8, v2 dst_sel:DWORD dst_unused:UNUSED_PAD src0_sel:WORD_1
	v_cvt_f32_u32_sdwa v2, v2 dst_sel:DWORD dst_unused:UNUSED_PAD src0_sel:WORD_0
	v_cndmask_b32_e64 v5, 0, v4, s[0:1]
	v_cndmask_b32_e64 v4, 0, v3, s[0:1]
	;; [unrolled: 1-line block ×4, first 2 shown]
	v_mul_f32_e32 v8, v3, v3
	v_fmac_f32_e32 v8, v2, v2
	v_fmac_f32_e32 v8, v4, v4
	;; [unrolled: 1-line block ×3, first 2 shown]
	v_bfrev_b32_e32 v10, 0.5
	s_load_dwordx2 s[2:3], s[4:5], 0x18
	v_mov_b32_dpp v9, v8 quad_perm:[1,0,3,2] row_mask:0xf bank_mask:0xf
	v_add_f32_e32 v8, v8, v9
	s_nop 1
	v_mov_b32_dpp v9, v8 quad_perm:[2,3,0,1] row_mask:0xf bank_mask:0xf
	v_add_f32_e32 v8, v8, v9
	s_nop 1
	v_mov_b32_dpp v9, v8 row_half_mirror row_mask:0xf bank_mask:0xf
	v_add_f32_e32 v8, v8, v9
	s_nop 1
	v_mov_b32_dpp v9, v8 row_mirror row_mask:0xf bank_mask:0xf
	v_add_f32_e32 v8, v8, v9
	s_nop 1
	v_mov_b32_dpp v9, v8 row_bcast:15 row_mask:0xf bank_mask:0xf
	v_add_f32_e32 v8, v8, v9
	s_nop 1
	v_mov_b32_dpp v9, v8 row_bcast:31 row_mask:0xf bank_mask:0xf
	v_add_f32_e32 v9, v8, v9
	v_mbcnt_lo_u32_b32 v8, -1, 0
	v_mbcnt_hi_u32_b32 v8, -1, v8
	v_lshl_or_b32 v8, v8, 2, v10
	ds_bpermute_b32 v9, v8, v9
	s_and_saveexec_b64 s[14:15], s[0:1]
	s_cbranch_execz .LBB248_5
; %bb.4:
	v_cvt_f32_u32_e32 v10, s7
	v_mov_b32_e32 v11, s13
	v_mov_b32_e32 v12, s12
	v_cndmask_b32_e32 v11, v11, v12, vcc
	s_waitcnt lgkmcnt(0)
	v_div_scale_f32 v13, s[20:21], v10, v10, v9
	v_rcp_f32_e32 v14, v13
	v_div_scale_f32 v12, vcc, v9, v10, v9
	s_mov_b32 s7, 0x800000
	v_fma_f32 v15, -v13, v14, 1.0
	v_fmac_f32_e32 v14, v15, v14
	v_mul_f32_e32 v15, v12, v14
	v_fma_f32 v16, -v13, v15, v12
	v_fmac_f32_e32 v15, v16, v14
	v_fma_f32 v12, -v13, v15, v12
	v_div_fmas_f32 v12, v12, v14, v15
	v_div_fixup_f32 v9, v12, v10, v9
	v_add_f32_e32 v9, v11, v9
	v_mul_f32_e32 v10, 0x4b800000, v9
	v_cmp_gt_f32_e32 vcc, s7, v9
	v_cndmask_b32_e32 v9, v9, v10, vcc
	v_rsq_f32_e32 v9, v9
	s_waitcnt vmcnt(0)
	v_cvt_f32_u32_sdwa v13, v6 dst_sel:DWORD dst_unused:UNUSED_PAD src0_sel:WORD_1
	v_cvt_f32_u32_sdwa v12, v6 dst_sel:DWORD dst_unused:UNUSED_PAD src0_sel:WORD_0
	v_cvt_f32_u32_sdwa v15, v7 dst_sel:DWORD dst_unused:UNUSED_PAD src0_sel:WORD_1
	v_mul_f32_e32 v10, 0x45800000, v9
	v_cndmask_b32_e32 v10, v9, v10, vcc
	v_mov_b32_e32 v11, v10
	;;#ASMSTART
	v_pk_mul_f32 v[2:3], v[2:3], v[10:11]
	;;#ASMEND
	;;#ASMSTART
	v_pk_mul_f32 v[4:5], v[4:5], v[10:11]
	;;#ASMEND
	v_cvt_f32_u32_sdwa v14, v7 dst_sel:DWORD dst_unused:UNUSED_PAD src0_sel:WORD_0
	;;#ASMSTART
	v_pk_mul_f32 v[2:3], v[2:3], v[12:13]
	;;#ASMEND
	;;#ASMSTART
	v_pk_mul_f32 v[4:5], v[4:5], v[14:15]
	;;#ASMEND
.LBB248_5:
	s_or_b64 exec, exec, s[14:15]
	s_load_dwordx2 s[14:15], s[4:5], 0x7c
	s_mov_b64 s[20:21], -1
	s_and_b64 vcc, exec, s[10:11]
	s_cbranch_vccnz .LBB248_9
; %bb.6:
	s_andn2_b64 vcc, exec, s[20:21]
	s_cbranch_vccz .LBB248_12
.LBB248_7:
	s_cmp_lt_i32 s16, 1
	s_cbranch_scc0 .LBB248_15
.LBB248_8:
	s_endpgm
.LBB248_9:
	s_and_saveexec_b64 s[10:11], s[0:1]
	s_cbranch_execz .LBB248_11
; %bb.10:
	s_waitcnt lgkmcnt(0)
	s_mul_hi_i32 s21, s15, s6
	s_mul_i32 s20, s15, s6
	s_lshl_b64 s[20:21], s[20:21], 1
	s_add_u32 s20, s2, s20
	s_addc_u32 s7, s3, s21
	s_and_b32 s21, s7, 0xffff
	s_mov_b32 s7, 0x7060302
	s_mov_b32 s23, 0x20000
	s_waitcnt vmcnt(0)
	v_perm_b32 v6, v3, v2, s7
	v_perm_b32 v7, v5, v4, s7
	v_lshlrev_b32_e32 v9, 3, v0
	buffer_store_dwordx2 v[6:7], v9, s[20:23], 0 offen
	;;#ASMSTART
	s_nop 0
	;;#ASMEND
.LBB248_11:
	s_or_b64 exec, exec, s[10:11]
	s_cbranch_execnz .LBB248_7
.LBB248_12:
	s_and_saveexec_b64 s[10:11], s[0:1]
	s_cbranch_execz .LBB248_14
; %bb.13:
	s_load_dwordx2 s[0:1], s[4:5], 0x10
	s_waitcnt lgkmcnt(0)
	s_mul_hi_i32 s21, s14, s6
	s_mul_i32 s20, s14, s6
	s_lshl_b64 s[20:21], s[20:21], 1
	s_mov_b32 s23, 0x20000
	s_add_u32 s20, s0, s20
	s_addc_u32 s0, s1, s21
	s_and_b32 s21, s0, 0xffff
	s_mov_b32 s0, 0x7060302
	v_perm_b32 v2, v3, v2, s0
	v_perm_b32 v3, v5, v4, s0
	v_lshlrev_b32_e32 v4, 3, v0
	buffer_store_dwordx2 v[2:3], v4, s[20:23], 0 offen
	;;#ASMSTART
	s_nop 0
	;;#ASMEND
.LBB248_14:
	s_or_b64 exec, exec, s[10:11]
	s_cmp_lt_i32 s16, 1
	s_cbranch_scc1 .LBB248_8
.LBB248_15:
	s_load_dword s0, s[4:5], 0x94
	s_waitcnt lgkmcnt(0)
	s_cmp_lg_u32 s0, 1
	s_cbranch_scc1 .LBB248_8
; %bb.16:
	s_lshl_b32 s0, s16, 1
	s_add_i32 s0, s0, 2
	v_cmp_gt_u32_e32 vcc, s16, v1
	s_and_b32 s10, s0, -4
	v_mov_b32_e32 v2, 0
	s_waitcnt vmcnt(0)
	v_lshlrev_b32_e32 v6, 3, v0
	v_mov_b32_e32 v3, 0
	v_mov_b32_e32 v0, 0
	v_mov_b32_e32 v1, 0
	s_barrier
	s_and_saveexec_b64 s[0:1], vcc
	s_cbranch_execz .LBB248_18
; %bb.17:
	s_mul_hi_i32 s5, s18, s6
	s_mul_i32 s4, s18, s6
	s_and_b32 s9, s9, 0xffff
	s_lshl_b64 s[4:5], s[4:5], 1
	s_add_u32 s20, s24, s4
	s_mov_b32 s11, 0x20000
	s_addc_u32 s4, s25, s5
	s_and_b32 s21, s4, 0xffff
	s_mov_b32 s22, s10
	s_mov_b32 s23, s11
	buffer_load_dwordx2 v[2:3], v6, s[20:23], 0 offen glc slc
	buffer_load_dwordx2 v[0:1], v6, s[8:11], 0 offen
.LBB248_18:
	s_or_b64 exec, exec, s[0:1]
	s_waitcnt vmcnt(1)
	v_cvt_f32_u32_sdwa v5, v3 dst_sel:DWORD dst_unused:UNUSED_PAD src0_sel:WORD_0
	v_cvt_f32_u32_sdwa v7, v2 dst_sel:DWORD dst_unused:UNUSED_PAD src0_sel:WORD_1
	v_cvt_f32_u32_sdwa v4, v3 dst_sel:DWORD dst_unused:UNUSED_PAD src0_sel:WORD_1
	v_cvt_f32_u32_sdwa v9, v2 dst_sel:DWORD dst_unused:UNUSED_PAD src0_sel:WORD_0
	v_cndmask_b32_e32 v2, 0, v5, vcc
	v_cndmask_b32_e32 v5, 0, v7, vcc
	;; [unrolled: 1-line block ×4, first 2 shown]
	v_mul_f32_e32 v7, v5, v5
	v_fmac_f32_e32 v7, v4, v4
	v_fmac_f32_e32 v7, v2, v2
	;; [unrolled: 1-line block ×3, first 2 shown]
	s_nop 1
	v_mov_b32_dpp v9, v7 quad_perm:[1,0,3,2] row_mask:0xf bank_mask:0xf
	v_add_f32_e32 v7, v7, v9
	s_nop 1
	v_mov_b32_dpp v9, v7 quad_perm:[2,3,0,1] row_mask:0xf bank_mask:0xf
	v_add_f32_e32 v7, v7, v9
	s_nop 1
	v_mov_b32_dpp v9, v7 row_half_mirror row_mask:0xf bank_mask:0xf
	v_add_f32_e32 v7, v7, v9
	s_nop 1
	v_mov_b32_dpp v9, v7 row_mirror row_mask:0xf bank_mask:0xf
	v_add_f32_e32 v7, v7, v9
	s_nop 1
	v_mov_b32_dpp v9, v7 row_bcast:15 row_mask:0xf bank_mask:0xf
	v_add_f32_e32 v7, v7, v9
	s_nop 1
	v_mov_b32_dpp v9, v7 row_bcast:31 row_mask:0xf bank_mask:0xf
	v_add_f32_e32 v7, v7, v9
	ds_bpermute_b32 v7, v8, v7
	s_and_saveexec_b64 s[0:1], vcc
	s_cbranch_execz .LBB248_8
; %bb.19:
	v_cvt_f32_u32_e32 v8, s16
	s_mov_b32 s11, 0x20000
	s_waitcnt lgkmcnt(0)
	v_div_scale_f32 v9, s[0:1], v8, v8, v7
	v_rcp_f32_e32 v10, v9
	v_div_scale_f32 v11, vcc, v7, v8, v7
	s_mov_b32 s0, 0x800000
	v_fma_f32 v12, -v9, v10, 1.0
	v_fmac_f32_e32 v10, v12, v10
	v_mul_f32_e32 v12, v11, v10
	v_fma_f32 v13, -v9, v12, v11
	v_fmac_f32_e32 v12, v13, v10
	v_fma_f32 v9, -v9, v12, v11
	v_div_fmas_f32 v9, v9, v10, v12
	v_div_fixup_f32 v7, v9, v8, v7
	v_add_f32_e32 v7, s13, v7
	v_mul_f32_e32 v8, 0x4b800000, v7
	v_cmp_gt_f32_e32 vcc, s0, v7
	v_cndmask_b32_e32 v7, v7, v8, vcc
	v_rsq_f32_e32 v7, v7
	s_mul_hi_i32 s1, s15, s6
	s_mul_i32 s0, s15, s6
	s_waitcnt vmcnt(0)
	v_cvt_f32_u32_sdwa v9, v0 dst_sel:DWORD dst_unused:UNUSED_PAD src0_sel:WORD_1
	v_cvt_f32_u32_sdwa v8, v0 dst_sel:DWORD dst_unused:UNUSED_PAD src0_sel:WORD_0
	v_mul_f32_e32 v0, 0x45800000, v7
	s_lshl_b64 s[0:1], s[0:1], 1
	v_cndmask_b32_e32 v12, v7, v0, vcc
	s_add_u32 s8, s2, s0
	v_cvt_f32_u32_sdwa v11, v1 dst_sel:DWORD dst_unused:UNUSED_PAD src0_sel:WORD_1
	v_mov_b32_e32 v13, v12
	v_cvt_f32_u32_sdwa v10, v1 dst_sel:DWORD dst_unused:UNUSED_PAD src0_sel:WORD_0
	;;#ASMSTART
	v_pk_mul_f32 v[0:1], v[4:5], v[12:13]
	;;#ASMEND
	s_addc_u32 s0, s3, s1
	;;#ASMSTART
	v_pk_mul_f32 v[2:3], v[2:3], v[12:13]
	;;#ASMEND
	;;#ASMSTART
	v_pk_mul_f32 v[0:1], v[0:1], v[8:9]
	;;#ASMEND
	s_and_b32 s9, s0, 0xffff
	s_mov_b32 s0, 0x7060302
	;;#ASMSTART
	v_pk_mul_f32 v[2:3], v[2:3], v[10:11]
	;;#ASMEND
	v_perm_b32 v0, v1, v0, s0
	v_perm_b32 v1, v3, v2, s0
	buffer_store_dwordx2 v[0:1], v6, s[8:11], 0 offen
	;;#ASMSTART
	s_nop 0
	;;#ASMEND
	s_endpgm
	.section	.rodata,"a",@progbits
	.p2align	6, 0x0
	.amdhsa_kernel _ZN5aiter35fused_qk_rmsnorm_group_quant_kernelItDB8_Li64ELi4ELi32ELb0ELb1ELb0ELb1ELb0ELb0EEEvPT0_PvPT_S6_S6_PKS5_S8_S8_S8_S8_ffiiiiiiiiiiiii
		.amdhsa_group_segment_fixed_size 0
		.amdhsa_private_segment_fixed_size 0
		.amdhsa_kernarg_size 400
		.amdhsa_user_sgpr_count 6
		.amdhsa_user_sgpr_private_segment_buffer 1
		.amdhsa_user_sgpr_dispatch_ptr 0
		.amdhsa_user_sgpr_queue_ptr 0
		.amdhsa_user_sgpr_kernarg_segment_ptr 1
		.amdhsa_user_sgpr_dispatch_id 0
		.amdhsa_user_sgpr_flat_scratch_init 0
		.amdhsa_user_sgpr_kernarg_preload_length 0
		.amdhsa_user_sgpr_kernarg_preload_offset 0
		.amdhsa_user_sgpr_private_segment_size 0
		.amdhsa_uses_dynamic_stack 0
		.amdhsa_system_sgpr_private_segment_wavefront_offset 0
		.amdhsa_system_sgpr_workgroup_id_x 1
		.amdhsa_system_sgpr_workgroup_id_y 1
		.amdhsa_system_sgpr_workgroup_id_z 0
		.amdhsa_system_sgpr_workgroup_info 0
		.amdhsa_system_vgpr_workitem_id 0
		.amdhsa_next_free_vgpr 17
		.amdhsa_next_free_sgpr 32
		.amdhsa_accum_offset 20
		.amdhsa_reserve_vcc 1
		.amdhsa_reserve_flat_scratch 0
		.amdhsa_float_round_mode_32 0
		.amdhsa_float_round_mode_16_64 0
		.amdhsa_float_denorm_mode_32 3
		.amdhsa_float_denorm_mode_16_64 3
		.amdhsa_dx10_clamp 1
		.amdhsa_ieee_mode 1
		.amdhsa_fp16_overflow 0
		.amdhsa_tg_split 0
		.amdhsa_exception_fp_ieee_invalid_op 0
		.amdhsa_exception_fp_denorm_src 0
		.amdhsa_exception_fp_ieee_div_zero 0
		.amdhsa_exception_fp_ieee_overflow 0
		.amdhsa_exception_fp_ieee_underflow 0
		.amdhsa_exception_fp_ieee_inexact 0
		.amdhsa_exception_int_div_zero 0
	.end_amdhsa_kernel
	.section	.text._ZN5aiter35fused_qk_rmsnorm_group_quant_kernelItDB8_Li64ELi4ELi32ELb0ELb1ELb0ELb1ELb0ELb0EEEvPT0_PvPT_S6_S6_PKS5_S8_S8_S8_S8_ffiiiiiiiiiiiii,"axG",@progbits,_ZN5aiter35fused_qk_rmsnorm_group_quant_kernelItDB8_Li64ELi4ELi32ELb0ELb1ELb0ELb1ELb0ELb0EEEvPT0_PvPT_S6_S6_PKS5_S8_S8_S8_S8_ffiiiiiiiiiiiii,comdat
.Lfunc_end248:
	.size	_ZN5aiter35fused_qk_rmsnorm_group_quant_kernelItDB8_Li64ELi4ELi32ELb0ELb1ELb0ELb1ELb0ELb0EEEvPT0_PvPT_S6_S6_PKS5_S8_S8_S8_S8_ffiiiiiiiiiiiii, .Lfunc_end248-_ZN5aiter35fused_qk_rmsnorm_group_quant_kernelItDB8_Li64ELi4ELi32ELb0ELb1ELb0ELb1ELb0ELb0EEEvPT0_PvPT_S6_S6_PKS5_S8_S8_S8_S8_ffiiiiiiiiiiiii
                                        ; -- End function
	.section	.AMDGPU.csdata,"",@progbits
; Kernel info:
; codeLenInByte = 1548
; NumSgprs: 36
; NumVgprs: 17
; NumAgprs: 0
; TotalNumVgprs: 17
; ScratchSize: 0
; MemoryBound: 0
; FloatMode: 240
; IeeeMode: 1
; LDSByteSize: 0 bytes/workgroup (compile time only)
; SGPRBlocks: 4
; VGPRBlocks: 2
; NumSGPRsForWavesPerEU: 36
; NumVGPRsForWavesPerEU: 17
; AccumOffset: 20
; Occupancy: 8
; WaveLimiterHint : 0
; COMPUTE_PGM_RSRC2:SCRATCH_EN: 0
; COMPUTE_PGM_RSRC2:USER_SGPR: 6
; COMPUTE_PGM_RSRC2:TRAP_HANDLER: 0
; COMPUTE_PGM_RSRC2:TGID_X_EN: 1
; COMPUTE_PGM_RSRC2:TGID_Y_EN: 1
; COMPUTE_PGM_RSRC2:TGID_Z_EN: 0
; COMPUTE_PGM_RSRC2:TIDIG_COMP_CNT: 0
; COMPUTE_PGM_RSRC3_GFX90A:ACCUM_OFFSET: 4
; COMPUTE_PGM_RSRC3_GFX90A:TG_SPLIT: 0
	.section	.text._ZN5aiter35fused_qk_rmsnorm_group_quant_kernelIDF16_DB8_Li64ELi4ELi32ELb1ELb1ELb1ELb0ELb0ELb0EEEvPT0_PvPT_S6_S6_PKS5_S8_S8_S8_S8_ffiiiiiiiiiiiii,"axG",@progbits,_ZN5aiter35fused_qk_rmsnorm_group_quant_kernelIDF16_DB8_Li64ELi4ELi32ELb1ELb1ELb1ELb0ELb0ELb0EEEvPT0_PvPT_S6_S6_PKS5_S8_S8_S8_S8_ffiiiiiiiiiiiii,comdat
	.protected	_ZN5aiter35fused_qk_rmsnorm_group_quant_kernelIDF16_DB8_Li64ELi4ELi32ELb1ELb1ELb1ELb0ELb0ELb0EEEvPT0_PvPT_S6_S6_PKS5_S8_S8_S8_S8_ffiiiiiiiiiiiii ; -- Begin function _ZN5aiter35fused_qk_rmsnorm_group_quant_kernelIDF16_DB8_Li64ELi4ELi32ELb1ELb1ELb1ELb0ELb0ELb0EEEvPT0_PvPT_S6_S6_PKS5_S8_S8_S8_S8_ffiiiiiiiiiiiii
	.globl	_ZN5aiter35fused_qk_rmsnorm_group_quant_kernelIDF16_DB8_Li64ELi4ELi32ELb1ELb1ELb1ELb0ELb0ELb0EEEvPT0_PvPT_S6_S6_PKS5_S8_S8_S8_S8_ffiiiiiiiiiiiii
	.p2align	8
	.type	_ZN5aiter35fused_qk_rmsnorm_group_quant_kernelIDF16_DB8_Li64ELi4ELi32ELb1ELb1ELb1ELb0ELb0ELb0EEEvPT0_PvPT_S6_S6_PKS5_S8_S8_S8_S8_ffiiiiiiiiiiiii,@function
_ZN5aiter35fused_qk_rmsnorm_group_quant_kernelIDF16_DB8_Li64ELi4ELi32ELb1ELb1ELb1ELb0ELb0ELb0EEEvPT0_PvPT_S6_S6_PKS5_S8_S8_S8_S8_ffiiiiiiiiiiiii: ; @_ZN5aiter35fused_qk_rmsnorm_group_quant_kernelIDF16_DB8_Li64ELi4ELi32ELb1ELb1ELb1ELb0ELb0ELb0EEEvPT0_PvPT_S6_S6_PKS5_S8_S8_S8_S8_ffiiiiiiiiiiiii
; %bb.0:
	s_load_dwordx8 s[16:23], s[4:5], 0x50
	s_waitcnt lgkmcnt(0)
	s_cmp_ge_i32 s6, s18
	s_cbranch_scc1 .LBB249_15
; %bb.1:
	s_cmp_lg_u32 s7, 0
	s_cselect_b64 s[2:3], -1, 0
	s_cmp_eq_u32 s7, 0
	s_cselect_b64 s[26:27], -1, 0
	s_and_b64 s[0:1], s[26:27], exec
	s_load_dwordx2 s[24:25], s[4:5], 0x48
	s_load_dwordx2 s[34:35], s[4:5], 0x30
	s_load_dwordx8 s[8:15], s[4:5], 0x70
	s_cselect_b32 s7, s19, s20
	s_add_i32 s0, s7, 1
	s_lshr_b32 s1, s0, 31
	s_add_i32 s0, s0, s1
	s_lshl_b32 s0, s0, 1
	v_lshlrev_b32_e32 v1, 2, v0
	s_and_b32 s30, s0, -4
	v_cmp_gt_i32_e64 s[0:1], s7, v1
	v_mov_b32_e32 v8, 0
	v_mov_b32_e32 v9, 0
	;; [unrolled: 1-line block ×4, first 2 shown]
	s_waitcnt lgkmcnt(0)
	s_and_saveexec_b64 s[14:15], s[0:1]
	s_cbranch_execz .LBB249_3
; %bb.2:
	s_load_dwordx2 s[28:29], s[4:5], 0x28
	s_load_dwordx2 s[38:39], s[4:5], 0x40
	s_and_b64 s[36:37], s[26:27], exec
	s_cselect_b32 s18, s21, s22
	v_lshlrev_b32_e32 v2, 3, v0
	s_waitcnt lgkmcnt(0)
	s_cselect_b32 s21, s29, s35
	s_cselect_b32 s31, s28, s34
	s_mul_hi_i32 s29, s18, s6
	s_mul_i32 s28, s18, s6
	s_lshl_b64 s[28:29], s[28:29], 1
	s_add_u32 s36, s31, s28
	s_addc_u32 s18, s21, s29
	s_and_b64 s[26:27], s[26:27], exec
	s_mov_b32 s31, 0x20000
	s_cselect_b32 s28, s38, s24
	s_cselect_b32 s21, s39, s25
	s_and_b32 s37, s18, 0xffff
	s_mov_b32 s38, s30
	s_mov_b32 s39, s31
	s_and_b32 s29, s21, 0xffff
	buffer_load_dwordx2 v[10:11], v2, s[36:39], 0 offen glc slc
	buffer_load_dwordx2 v[8:9], v2, s[28:31], 0 offen
.LBB249_3:
	s_or_b64 exec, exec, s[14:15]
	s_and_b64 vcc, exec, s[2:3]
	s_cbranch_vccz .LBB249_7
; %bb.4:
	v_mov_b32_e32 v7, 0
	v_mov_b32_e32 v6, 0
	;; [unrolled: 1-line block ×4, first 2 shown]
	s_and_saveexec_b64 s[14:15], s[0:1]
	s_cbranch_execz .LBB249_6
; %bb.5:
	s_waitcnt vmcnt(1)
	v_cvt_f32_f16_sdwa v3, v10 dst_sel:DWORD dst_unused:UNUSED_PAD src0_sel:WORD_1
	v_cvt_f32_f16_e32 v2, v10
	v_cvt_f32_f16_sdwa v7, v11 dst_sel:DWORD dst_unused:UNUSED_PAD src0_sel:WORD_1
	v_cvt_f32_f16_e32 v6, v11
.LBB249_6:
	s_or_b64 exec, exec, s[14:15]
	s_mov_b32 s18, s17
	s_cbranch_execz .LBB249_8
	s_branch .LBB249_11
.LBB249_7:
                                        ; implicit-def: $vgpr7
                                        ; implicit-def: $vgpr2_vgpr3_vgpr4_vgpr5
	s_mov_b32 s18, s17
.LBB249_8:
	v_mov_b32_e32 v7, 0
	v_mov_b32_e32 v6, 0
	;; [unrolled: 1-line block ×4, first 2 shown]
	s_and_saveexec_b64 s[14:15], s[0:1]
	s_cbranch_execz .LBB249_10
; %bb.9:
	s_load_dwordx2 s[26:27], s[4:5], 0x38
	s_mul_hi_i32 s29, s23, s6
	s_mul_i32 s28, s23, s6
	s_lshl_b64 s[28:29], s[28:29], 1
	s_mov_b32 s31, 0x20000
	s_waitcnt lgkmcnt(0)
	s_add_u32 s28, s26, s28
	s_addc_u32 s18, s27, s29
	s_and_b32 s29, s18, 0xffff
	v_lshlrev_b32_e32 v14, 3, v0
	buffer_load_dwordx2 v[2:3], v14, s[28:31], 0 offen glc slc
	s_waitcnt vmcnt(2)
	v_cvt_f32_f16_sdwa v5, v10 dst_sel:DWORD dst_unused:UNUSED_PAD src0_sel:WORD_1
	v_cvt_f32_f16_e32 v4, v10
	v_cvt_f32_f16_sdwa v7, v11 dst_sel:DWORD dst_unused:UNUSED_PAD src0_sel:WORD_1
	v_cvt_f32_f16_e32 v6, v11
	s_load_dwordx2 s[26:27], s[4:5], 0x20
	s_mul_hi_i32 s29, s13, s6
	s_mul_i32 s28, s13, s6
	s_lshl_b64 s[28:29], s[28:29], 1
	s_waitcnt lgkmcnt(0)
	s_add_u32 s28, s26, s28
	s_addc_u32 s13, s27, s29
	s_and_b32 s29, s13, 0xffff
	s_waitcnt vmcnt(0)
	v_cvt_f32_f16_e32 v10, v2
	v_cvt_f32_f16_sdwa v11, v2 dst_sel:DWORD dst_unused:UNUSED_PAD src0_sel:WORD_1
	v_cvt_f32_f16_e32 v12, v3
	v_cvt_f32_f16_sdwa v13, v3 dst_sel:DWORD dst_unused:UNUSED_PAD src0_sel:WORD_1
	v_pk_add_f32 v[2:3], v[4:5], v[10:11]
	v_cvt_f16_f32_e32 v4, v3
	v_pk_add_f32 v[6:7], v[6:7], v[12:13]
	v_cvt_f16_f32_e32 v5, v7
	v_cvt_f16_f32_e32 v10, v6
	;; [unrolled: 1-line block ×3, first 2 shown]
	v_pack_b32_f16 v5, v10, v5
	v_pack_b32_f16 v4, v11, v4
	buffer_store_dwordx2 v[4:5], v14, s[28:31], 0 offen glc slc
	;;#ASMSTART
	s_nop 0
	;;#ASMEND
.LBB249_10:
	s_or_b64 exec, exec, s[14:15]
	s_mov_b32 s18, s16
.LBB249_11:
	v_mul_f32_e32 v4, v3, v3
	v_fmac_f32_e32 v4, v2, v2
	v_fmac_f32_e32 v4, v6, v6
	;; [unrolled: 1-line block ×3, first 2 shown]
	s_load_dwordx2 s[14:15], s[4:5], 0x18
	s_nop 0
	v_mov_b32_dpp v5, v4 quad_perm:[1,0,3,2] row_mask:0xf bank_mask:0xf
	v_add_f32_e32 v4, v4, v5
	s_nop 1
	v_mov_b32_dpp v5, v4 quad_perm:[2,3,0,1] row_mask:0xf bank_mask:0xf
	v_add_f32_e32 v4, v4, v5
	s_nop 1
	v_mov_b32_dpp v5, v4 row_half_mirror row_mask:0xf bank_mask:0xf
	v_add_f32_e32 v4, v4, v5
	s_nop 1
	v_mov_b32_dpp v5, v4 row_mirror row_mask:0xf bank_mask:0xf
	v_add_f32_e32 v4, v4, v5
	s_nop 1
	v_mov_b32_dpp v5, v4 row_bcast:15 row_mask:0xf bank_mask:0xf
	v_add_f32_e32 v4, v4, v5
	s_nop 1
	v_mov_b32_dpp v5, v4 row_bcast:31 row_mask:0xf bank_mask:0xf
	v_add_f32_e32 v5, v4, v5
	v_mbcnt_lo_u32_b32 v4, -1, 0
	v_mbcnt_hi_u32_b32 v4, -1, v4
	v_lshlrev_b32_e32 v4, 2, v4
	s_waitcnt vmcnt(1)
	v_or_b32_e32 v10, 0xfc, v4
	ds_bpermute_b32 v5, v10, v5
	s_and_saveexec_b64 s[26:27], s[0:1]
	s_cbranch_execnz .LBB249_16
; %bb.12:
	s_or_b64 exec, exec, s[26:27]
	s_mov_b64 s[26:27], -1
	s_and_b64 vcc, exec, s[2:3]
	s_cbranch_vccnz .LBB249_17
.LBB249_13:
	s_andn2_b64 vcc, exec, s[26:27]
	s_cbranch_vccz .LBB249_20
.LBB249_14:
	s_cmp_lt_i32 s20, 1
	s_cbranch_scc0 .LBB249_29
.LBB249_15:
	s_endpgm
.LBB249_16:
	v_cvt_f32_u32_e32 v11, s7
	s_mov_b32 s7, 0x800000
	s_waitcnt lgkmcnt(0)
	v_div_scale_f32 v12, s[28:29], v11, v11, v5
	v_rcp_f32_e32 v13, v12
	v_div_scale_f32 v14, vcc, v5, v11, v5
	v_fma_f32 v15, -v12, v13, 1.0
	v_fmac_f32_e32 v13, v15, v13
	v_mul_f32_e32 v15, v14, v13
	v_fma_f32 v16, -v12, v15, v14
	v_fmac_f32_e32 v15, v16, v13
	v_fma_f32 v12, -v12, v15, v14
	v_div_fmas_f32 v12, v12, v13, v15
	v_div_fixup_f32 v5, v12, v11, v5
	v_add_f32_e32 v5, s18, v5
	v_mul_f32_e32 v11, 0x4b800000, v5
	v_cmp_gt_f32_e32 vcc, s7, v5
	v_cndmask_b32_e32 v5, v5, v11, vcc
	v_rsq_f32_e32 v5, v5
	s_waitcnt vmcnt(0)
	v_cvt_f32_f16_sdwa v13, v8 dst_sel:DWORD dst_unused:UNUSED_PAD src0_sel:WORD_1
	v_cvt_f32_f16_e32 v12, v8
	v_cvt_f32_f16_sdwa v15, v9 dst_sel:DWORD dst_unused:UNUSED_PAD src0_sel:WORD_1
	v_cvt_f32_f16_e32 v14, v9
	v_mul_f32_e32 v8, 0x45800000, v5
	v_cndmask_b32_e32 v16, v5, v8, vcc
	v_mov_b32_e32 v17, v16
	;;#ASMSTART
	v_pk_mul_f32 v[2:3], v[2:3], v[16:17]
	;;#ASMEND
	;;#ASMSTART
	v_pk_mul_f32 v[6:7], v[6:7], v[16:17]
	;;#ASMEND
	v_pk_add_f32 v[8:9], v[12:13], 1.0 op_sel_hi:[1,0]
	;;#ASMSTART
	v_pk_mul_f32 v[2:3], v[2:3], v[8:9]
	;;#ASMEND
	v_pk_add_f32 v[8:9], v[14:15], 1.0 op_sel_hi:[1,0]
	;;#ASMSTART
	v_pk_mul_f32 v[6:7], v[6:7], v[8:9]
	;;#ASMEND
	s_or_b64 exec, exec, s[26:27]
	s_mov_b64 s[26:27], -1
	s_and_b64 vcc, exec, s[2:3]
	s_cbranch_vccz .LBB249_13
.LBB249_17:
	s_and_saveexec_b64 s[2:3], s[0:1]
	s_cbranch_execz .LBB249_19
; %bb.18:
	s_mul_hi_i32 s27, s12, s6
	s_mul_i32 s26, s12, s6
	s_waitcnt lgkmcnt(0)
	v_cvt_f16_f32_e32 v5, v2
	s_waitcnt vmcnt(0)
	v_cvt_f16_f32_e32 v8, v6
	v_cvt_f16_f32_e32 v9, v7
	;; [unrolled: 1-line block ×3, first 2 shown]
	s_lshl_b64 s[26:27], s[26:27], 1
	s_add_u32 s28, s14, s26
	s_addc_u32 s7, s15, s27
	s_and_b32 s29, s7, 0xffff
	s_mov_b32 s31, 0x20000
	v_pack_b32_f16 v9, v8, v9
	v_pack_b32_f16 v8, v5, v11
	v_lshlrev_b32_e32 v5, 3, v0
	buffer_store_dwordx2 v[8:9], v5, s[28:31], 0 offen
	;;#ASMSTART
	s_nop 0
	;;#ASMEND
.LBB249_19:
	s_or_b64 exec, exec, s[2:3]
	s_cbranch_execnz .LBB249_14
.LBB249_20:
	s_waitcnt lgkmcnt(0)
	v_mov_b32_e32 v5, 0
	s_and_saveexec_b64 s[2:3], s[0:1]
	s_cbranch_execz .LBB249_22
; %bb.21:
	s_load_dwordx2 s[26:27], s[4:5], 0x10
	s_mul_hi_i32 s29, s11, s6
	s_mul_i32 s28, s11, s6
	v_cvt_f16_f32_e32 v5, v2
	s_waitcnt vmcnt(0)
	v_cvt_f16_f32_e32 v8, v6
	v_cvt_f16_f32_e32 v9, v7
	;; [unrolled: 1-line block ×3, first 2 shown]
	s_lshl_b64 s[28:29], s[28:29], 1
	s_waitcnt lgkmcnt(0)
	s_add_u32 s28, s26, s28
	s_addc_u32 s7, s27, s29
	s_and_b32 s29, s7, 0xffff
	s_mov_b32 s31, 0x20000
	v_pack_b32_f16 v9, v8, v9
	v_pack_b32_f16 v8, v5, v11
	v_lshlrev_b32_e32 v5, 3, v0
	buffer_store_dwordx2 v[8:9], v5, s[28:31], 0 offen
	v_mov_b32_e32 v5, 0x2edbe6ff
	;;#ASMSTART
	s_nop 0
	;;#ASMEND
.LBB249_22:
	s_or_b64 exec, exec, s[2:3]
	s_and_saveexec_b64 s[2:3], s[0:1]
	s_cbranch_execz .LBB249_24
; %bb.23:
	s_waitcnt vmcnt(0)
	v_and_b32_e32 v8, 0x7fffffff, v2
	v_and_b32_e32 v9, 0x7fffffff, v3
	;;#ASMSTART
	v_max3_f32 v5, v5, v8, v9

	;;#ASMEND
	v_and_b32_e32 v8, 0x7fffffff, v6
	v_and_b32_e32 v9, 0x7fffffff, v7
	;;#ASMSTART
	v_max3_f32 v5, v5, v8, v9

	;;#ASMEND
.LBB249_24:
	s_or_b64 exec, exec, s[2:3]
	s_waitcnt vmcnt(0)
	;;#ASMSTART
	v_max_f32 v8, v5, v5 quad_perm:[1,0,3,2] row_mask:0xf bank_mask:0xf bound_ctrl:1
	;;#ASMEND
	;;#ASMSTART
	v_max_f32 v5, v8, v8 quad_perm:[2,3,0,1] row_mask:0xf bank_mask:0xf bound_ctrl:1
	;;#ASMEND
	;;#ASMSTART
	v_max_f32 v8, v5, v5 row_half_mirror row_mask:0xf bank_mask:0xf bound_ctrl:1
	;;#ASMEND
	;;#ASMSTART
	v_max_f32 v5, v8, v8 row_mirror row_mask:0xf bank_mask:0xf bound_ctrl:1
	;;#ASMEND
	;;#ASMSTART
	v_max_f32 v8, v5, v5 row_ror:4 row_mask:0xf bank_mask:0xf bound_ctrl:1
	;;#ASMEND
	v_or_b32_e32 v4, 0x7c, v4
	;;#ASMSTART
	v_max_f32 v5, v8, v8 row_ror:8 row_mask:0xf bank_mask:0xf bound_ctrl:1
	;;#ASMEND
	;;#ASMSTART
	v_max_f32 v8, v5, v5 row_bcast:15 row_mask:0xa bank_mask:0xf bound_ctrl:1
	;;#ASMEND
	ds_bpermute_b32 v4, v4, v8
	v_and_b32_e32 v5, 31, v0
	v_cmp_gt_i32_e32 vcc, s19, v1
	v_cmp_eq_u32_e64 s[2:3], 0, v5
	s_and_b64 s[26:27], s[2:3], vcc
	s_waitcnt lgkmcnt(0)
	v_mul_f32_e32 v4, 0x3b124925, v4
	s_and_saveexec_b64 s[2:3], s[26:27]
	s_cbranch_execz .LBB249_26
; %bb.25:
	s_load_dwordx2 s[26:27], s[4:5], 0x8
	v_lshrrev_b32_e32 v5, 5, v0
	s_mul_hi_i32 s29, s9, s6
	s_mul_i32 s28, s9, s6
	v_mad_i64_i32 v[8:9], s[10:11], s10, v5, 0
	s_lshl_b64 s[10:11], s[28:29], 2
	s_waitcnt lgkmcnt(0)
	s_add_u32 s7, s26, s10
	s_addc_u32 s9, s27, s11
	v_lshlrev_b64 v[8:9], 2, v[8:9]
	v_mov_b32_e32 v5, s9
	v_add_co_u32_e32 v8, vcc, s7, v8
	v_addc_co_u32_e32 v9, vcc, v5, v9, vcc
	global_store_dword v[8:9], v4, off
.LBB249_26:
	s_or_b64 exec, exec, s[2:3]
	;;#ASMSTART
	v_rcp_f32 v4, v4
	;;#ASMEND
	s_and_saveexec_b64 s[2:3], s[0:1]
	s_cbranch_execz .LBB249_28
; %bb.27:
	s_load_dwordx2 s[0:1], s[4:5], 0x0
	s_mul_hi_i32 s7, s8, s6
	s_mul_i32 s8, s8, s6
	v_mov_b32_e32 v5, v4
	;;#ASMSTART
	v_pk_mul_f32 v[2:3], v[2:3], v[4:5]
	;;#ASMEND
	s_waitcnt lgkmcnt(0)
	s_add_u32 s8, s0, s8
	s_addc_u32 s0, s1, s7
	s_add_i32 s1, s19, 3
	s_ashr_i32 s7, s1, 31
	v_mov_b32_e32 v8, 0xc3e00000
	v_mov_b32_e32 v9, 0x43e00000
	;;#ASMSTART
	v_med3_f32 v2, v2, v8, v9
v_med3_f32 v3, v3, v8, v9
v_cvt_pk_fp8_f32 v11, v2, v3
	;;#ASMEND
	s_and_b32 s9, s0, 0xffff
	s_lshr_b32 s0, s7, 30
	;;#ASMSTART
	v_pk_mul_f32 v[2:3], v[6:7], v[4:5]
	;;#ASMEND
	s_add_i32 s1, s1, s0
	;;#ASMSTART
	v_med3_f32 v2, v2, v8, v9
v_med3_f32 v3, v3, v8, v9
v_cvt_pk_fp8_f32 v4, v2, v3
	;;#ASMEND
	s_mov_b32 s0, 0x5040100
	s_and_b32 s10, s1, -4
	s_mov_b32 s11, 0x20000
	v_perm_b32 v2, v4, v11, s0
	buffer_store_dword v2, v1, s[8:11], 0 offen
	;;#ASMSTART
	s_nop 0
	;;#ASMEND
.LBB249_28:
	s_or_b64 exec, exec, s[2:3]
	s_cmp_lt_i32 s20, 1
	s_cbranch_scc1 .LBB249_15
.LBB249_29:
	s_load_dword s0, s[4:5], 0x94
	s_waitcnt lgkmcnt(0)
	s_cmp_lg_u32 s0, 1
	s_cbranch_scc1 .LBB249_15
; %bb.30:
	s_lshl_b32 s0, s20, 1
	s_add_i32 s0, s0, 2
	v_cmp_gt_u32_e32 vcc, s20, v1
	s_and_b32 s26, s0, -4
	v_mov_b32_e32 v2, 0
	v_lshlrev_b32_e32 v6, 3, v0
	v_mov_b32_e32 v3, 0
	v_mov_b32_e32 v0, 0
	v_mov_b32_e32 v1, 0
	s_barrier
	s_and_saveexec_b64 s[0:1], vcc
	s_cbranch_execz .LBB249_32
; %bb.31:
	s_mul_hi_i32 s3, s22, s6
	s_mul_i32 s2, s22, s6
	s_and_b32 s25, s25, 0xffff
	s_lshl_b64 s[2:3], s[2:3], 1
	s_add_u32 s8, s34, s2
	s_mov_b32 s27, 0x20000
	s_addc_u32 s2, s35, s3
	s_and_b32 s9, s2, 0xffff
	s_mov_b32 s10, s26
	s_mov_b32 s11, s27
	buffer_load_dwordx2 v[2:3], v6, s[8:11], 0 offen glc slc
	buffer_load_dwordx2 v[0:1], v6, s[24:27], 0 offen
.LBB249_32:
	s_or_b64 exec, exec, s[0:1]
	s_waitcnt vmcnt(1)
	v_cvt_f32_f16_e32 v4, v3
	v_cvt_f32_f16_e32 v5, v2
	v_cvt_f32_f16_sdwa v7, v2 dst_sel:DWORD dst_unused:UNUSED_PAD src0_sel:WORD_1
	v_cvt_f32_f16_sdwa v3, v3 dst_sel:DWORD dst_unused:UNUSED_PAD src0_sel:WORD_1
	v_cndmask_b32_e32 v2, 0, v4, vcc
	v_cndmask_b32_e32 v4, 0, v5, vcc
	;; [unrolled: 1-line block ×3, first 2 shown]
	v_mul_f32_e32 v7, v5, v5
	v_fmac_f32_e32 v7, v4, v4
	v_cndmask_b32_e32 v3, 0, v3, vcc
	v_fmac_f32_e32 v7, v2, v2
	v_fmac_f32_e32 v7, v3, v3
	s_waitcnt vmcnt(0)
	s_nop 0
	v_mov_b32_dpp v8, v7 quad_perm:[1,0,3,2] row_mask:0xf bank_mask:0xf
	v_add_f32_e32 v7, v7, v8
	s_nop 1
	v_mov_b32_dpp v8, v7 quad_perm:[2,3,0,1] row_mask:0xf bank_mask:0xf
	v_add_f32_e32 v7, v7, v8
	s_nop 1
	v_mov_b32_dpp v8, v7 row_half_mirror row_mask:0xf bank_mask:0xf
	v_add_f32_e32 v7, v7, v8
	s_nop 1
	v_mov_b32_dpp v8, v7 row_mirror row_mask:0xf bank_mask:0xf
	v_add_f32_e32 v7, v7, v8
	s_nop 1
	v_mov_b32_dpp v8, v7 row_bcast:15 row_mask:0xf bank_mask:0xf
	v_add_f32_e32 v7, v7, v8
	s_nop 1
	v_mov_b32_dpp v8, v7 row_bcast:31 row_mask:0xf bank_mask:0xf
	v_add_f32_e32 v7, v7, v8
	ds_bpermute_b32 v7, v10, v7
	s_and_saveexec_b64 s[0:1], vcc
	s_cbranch_execz .LBB249_15
; %bb.33:
	v_cvt_f32_u32_e32 v8, s20
	s_mov_b32 s27, 0x20000
	s_waitcnt lgkmcnt(0)
	v_div_scale_f32 v9, s[0:1], v8, v8, v7
	v_rcp_f32_e32 v10, v9
	v_div_scale_f32 v11, vcc, v7, v8, v7
	s_mov_b32 s0, 0x800000
	v_fma_f32 v12, -v9, v10, 1.0
	v_fmac_f32_e32 v10, v12, v10
	v_mul_f32_e32 v12, v11, v10
	v_fma_f32 v13, -v9, v12, v11
	v_fmac_f32_e32 v12, v13, v10
	v_fma_f32 v9, -v9, v12, v11
	v_div_fmas_f32 v9, v9, v10, v12
	v_div_fixup_f32 v7, v9, v8, v7
	v_add_f32_e32 v7, s17, v7
	v_mul_f32_e32 v8, 0x4b800000, v7
	v_cmp_gt_f32_e32 vcc, s0, v7
	v_cndmask_b32_e32 v7, v7, v8, vcc
	v_rsq_f32_e32 v7, v7
	v_cvt_f32_f16_sdwa v9, v0 dst_sel:DWORD dst_unused:UNUSED_PAD src0_sel:WORD_1
	v_cvt_f32_f16_e32 v8, v0
	v_cvt_f32_f16_sdwa v11, v1 dst_sel:DWORD dst_unused:UNUSED_PAD src0_sel:WORD_1
	v_cvt_f32_f16_e32 v10, v1
	v_mul_f32_e32 v0, 0x45800000, v7
	v_cndmask_b32_e32 v12, v7, v0, vcc
	v_mov_b32_e32 v13, v12
	;;#ASMSTART
	v_pk_mul_f32 v[4:5], v[4:5], v[12:13]
	;;#ASMEND
	;;#ASMSTART
	v_pk_mul_f32 v[0:1], v[2:3], v[12:13]
	;;#ASMEND
	v_pk_add_f32 v[2:3], v[8:9], 1.0 op_sel_hi:[1,0]
	;;#ASMSTART
	v_pk_mul_f32 v[2:3], v[4:5], v[2:3]
	;;#ASMEND
	v_pk_add_f32 v[4:5], v[10:11], 1.0 op_sel_hi:[1,0]
	;;#ASMSTART
	v_pk_mul_f32 v[0:1], v[0:1], v[4:5]
	;;#ASMEND
	s_mul_hi_i32 s1, s12, s6
	s_mul_i32 s0, s12, s6
	v_cvt_f16_f32_e32 v2, v2
	v_cvt_f16_f32_e32 v3, v3
	;; [unrolled: 1-line block ×4, first 2 shown]
	s_lshl_b64 s[0:1], s[0:1], 1
	s_add_u32 s24, s14, s0
	s_addc_u32 s0, s15, s1
	s_and_b32 s25, s0, 0xffff
	v_pack_b32_f16 v0, v2, v3
	v_pack_b32_f16 v1, v4, v1
	buffer_store_dwordx2 v[0:1], v6, s[24:27], 0 offen
	;;#ASMSTART
	s_nop 0
	;;#ASMEND
	s_endpgm
	.section	.rodata,"a",@progbits
	.p2align	6, 0x0
	.amdhsa_kernel _ZN5aiter35fused_qk_rmsnorm_group_quant_kernelIDF16_DB8_Li64ELi4ELi32ELb1ELb1ELb1ELb0ELb0ELb0EEEvPT0_PvPT_S6_S6_PKS5_S8_S8_S8_S8_ffiiiiiiiiiiiii
		.amdhsa_group_segment_fixed_size 0
		.amdhsa_private_segment_fixed_size 0
		.amdhsa_kernarg_size 400
		.amdhsa_user_sgpr_count 6
		.amdhsa_user_sgpr_private_segment_buffer 1
		.amdhsa_user_sgpr_dispatch_ptr 0
		.amdhsa_user_sgpr_queue_ptr 0
		.amdhsa_user_sgpr_kernarg_segment_ptr 1
		.amdhsa_user_sgpr_dispatch_id 0
		.amdhsa_user_sgpr_flat_scratch_init 0
		.amdhsa_user_sgpr_kernarg_preload_length 0
		.amdhsa_user_sgpr_kernarg_preload_offset 0
		.amdhsa_user_sgpr_private_segment_size 0
		.amdhsa_uses_dynamic_stack 0
		.amdhsa_system_sgpr_private_segment_wavefront_offset 0
		.amdhsa_system_sgpr_workgroup_id_x 1
		.amdhsa_system_sgpr_workgroup_id_y 1
		.amdhsa_system_sgpr_workgroup_id_z 0
		.amdhsa_system_sgpr_workgroup_info 0
		.amdhsa_system_vgpr_workitem_id 0
		.amdhsa_next_free_vgpr 18
		.amdhsa_next_free_sgpr 40
		.amdhsa_accum_offset 20
		.amdhsa_reserve_vcc 1
		.amdhsa_reserve_flat_scratch 0
		.amdhsa_float_round_mode_32 0
		.amdhsa_float_round_mode_16_64 0
		.amdhsa_float_denorm_mode_32 3
		.amdhsa_float_denorm_mode_16_64 3
		.amdhsa_dx10_clamp 1
		.amdhsa_ieee_mode 1
		.amdhsa_fp16_overflow 0
		.amdhsa_tg_split 0
		.amdhsa_exception_fp_ieee_invalid_op 0
		.amdhsa_exception_fp_denorm_src 0
		.amdhsa_exception_fp_ieee_div_zero 0
		.amdhsa_exception_fp_ieee_overflow 0
		.amdhsa_exception_fp_ieee_underflow 0
		.amdhsa_exception_fp_ieee_inexact 0
		.amdhsa_exception_int_div_zero 0
	.end_amdhsa_kernel
	.section	.text._ZN5aiter35fused_qk_rmsnorm_group_quant_kernelIDF16_DB8_Li64ELi4ELi32ELb1ELb1ELb1ELb0ELb0ELb0EEEvPT0_PvPT_S6_S6_PKS5_S8_S8_S8_S8_ffiiiiiiiiiiiii,"axG",@progbits,_ZN5aiter35fused_qk_rmsnorm_group_quant_kernelIDF16_DB8_Li64ELi4ELi32ELb1ELb1ELb1ELb0ELb0ELb0EEEvPT0_PvPT_S6_S6_PKS5_S8_S8_S8_S8_ffiiiiiiiiiiiii,comdat
.Lfunc_end249:
	.size	_ZN5aiter35fused_qk_rmsnorm_group_quant_kernelIDF16_DB8_Li64ELi4ELi32ELb1ELb1ELb1ELb0ELb0ELb0EEEvPT0_PvPT_S6_S6_PKS5_S8_S8_S8_S8_ffiiiiiiiiiiiii, .Lfunc_end249-_ZN5aiter35fused_qk_rmsnorm_group_quant_kernelIDF16_DB8_Li64ELi4ELi32ELb1ELb1ELb1ELb0ELb0ELb0EEEvPT0_PvPT_S6_S6_PKS5_S8_S8_S8_S8_ffiiiiiiiiiiiii
                                        ; -- End function
	.section	.AMDGPU.csdata,"",@progbits
; Kernel info:
; codeLenInByte = 2320
; NumSgprs: 44
; NumVgprs: 18
; NumAgprs: 0
; TotalNumVgprs: 18
; ScratchSize: 0
; MemoryBound: 0
; FloatMode: 240
; IeeeMode: 1
; LDSByteSize: 0 bytes/workgroup (compile time only)
; SGPRBlocks: 5
; VGPRBlocks: 2
; NumSGPRsForWavesPerEU: 44
; NumVGPRsForWavesPerEU: 18
; AccumOffset: 20
; Occupancy: 8
; WaveLimiterHint : 0
; COMPUTE_PGM_RSRC2:SCRATCH_EN: 0
; COMPUTE_PGM_RSRC2:USER_SGPR: 6
; COMPUTE_PGM_RSRC2:TRAP_HANDLER: 0
; COMPUTE_PGM_RSRC2:TGID_X_EN: 1
; COMPUTE_PGM_RSRC2:TGID_Y_EN: 1
; COMPUTE_PGM_RSRC2:TGID_Z_EN: 0
; COMPUTE_PGM_RSRC2:TIDIG_COMP_CNT: 0
; COMPUTE_PGM_RSRC3_GFX90A:ACCUM_OFFSET: 4
; COMPUTE_PGM_RSRC3_GFX90A:TG_SPLIT: 0
	.section	.text._ZN5aiter35fused_qk_rmsnorm_group_quant_kernelItDB8_Li64ELi4ELi32ELb1ELb1ELb1ELb0ELb0ELb0EEEvPT0_PvPT_S6_S6_PKS5_S8_S8_S8_S8_ffiiiiiiiiiiiii,"axG",@progbits,_ZN5aiter35fused_qk_rmsnorm_group_quant_kernelItDB8_Li64ELi4ELi32ELb1ELb1ELb1ELb0ELb0ELb0EEEvPT0_PvPT_S6_S6_PKS5_S8_S8_S8_S8_ffiiiiiiiiiiiii,comdat
	.protected	_ZN5aiter35fused_qk_rmsnorm_group_quant_kernelItDB8_Li64ELi4ELi32ELb1ELb1ELb1ELb0ELb0ELb0EEEvPT0_PvPT_S6_S6_PKS5_S8_S8_S8_S8_ffiiiiiiiiiiiii ; -- Begin function _ZN5aiter35fused_qk_rmsnorm_group_quant_kernelItDB8_Li64ELi4ELi32ELb1ELb1ELb1ELb0ELb0ELb0EEEvPT0_PvPT_S6_S6_PKS5_S8_S8_S8_S8_ffiiiiiiiiiiiii
	.globl	_ZN5aiter35fused_qk_rmsnorm_group_quant_kernelItDB8_Li64ELi4ELi32ELb1ELb1ELb1ELb0ELb0ELb0EEEvPT0_PvPT_S6_S6_PKS5_S8_S8_S8_S8_ffiiiiiiiiiiiii
	.p2align	8
	.type	_ZN5aiter35fused_qk_rmsnorm_group_quant_kernelItDB8_Li64ELi4ELi32ELb1ELb1ELb1ELb0ELb0ELb0EEEvPT0_PvPT_S6_S6_PKS5_S8_S8_S8_S8_ffiiiiiiiiiiiii,@function
_ZN5aiter35fused_qk_rmsnorm_group_quant_kernelItDB8_Li64ELi4ELi32ELb1ELb1ELb1ELb0ELb0ELb0EEEvPT0_PvPT_S6_S6_PKS5_S8_S8_S8_S8_ffiiiiiiiiiiiii: ; @_ZN5aiter35fused_qk_rmsnorm_group_quant_kernelItDB8_Li64ELi4ELi32ELb1ELb1ELb1ELb0ELb0ELb0EEEvPT0_PvPT_S6_S6_PKS5_S8_S8_S8_S8_ffiiiiiiiiiiiii
; %bb.0:
	s_load_dwordx8 s[16:23], s[4:5], 0x50
	s_waitcnt lgkmcnt(0)
	s_cmp_ge_i32 s6, s18
	s_cbranch_scc1 .LBB250_15
; %bb.1:
	s_cmp_lg_u32 s7, 0
	s_cselect_b64 s[2:3], -1, 0
	s_cmp_eq_u32 s7, 0
	s_cselect_b64 s[26:27], -1, 0
	s_and_b64 s[0:1], s[26:27], exec
	s_load_dwordx2 s[24:25], s[4:5], 0x48
	s_load_dwordx2 s[34:35], s[4:5], 0x30
	s_load_dwordx8 s[8:15], s[4:5], 0x70
	s_cselect_b32 s7, s19, s20
	s_add_i32 s0, s7, 1
	s_lshr_b32 s1, s0, 31
	s_add_i32 s0, s0, s1
	s_lshl_b32 s0, s0, 1
	v_lshlrev_b32_e32 v1, 2, v0
	s_and_b32 s30, s0, -4
	v_cmp_gt_i32_e64 s[0:1], s7, v1
	v_mov_b32_e32 v6, 0
	v_mov_b32_e32 v7, 0
	v_mov_b32_e32 v8, 0
	v_mov_b32_e32 v9, 0
	s_waitcnt lgkmcnt(0)
	s_and_saveexec_b64 s[14:15], s[0:1]
	s_cbranch_execz .LBB250_3
; %bb.2:
	s_load_dwordx2 s[28:29], s[4:5], 0x28
	s_load_dwordx2 s[38:39], s[4:5], 0x40
	s_and_b64 s[36:37], s[26:27], exec
	s_cselect_b32 s18, s21, s22
	v_lshlrev_b32_e32 v2, 3, v0
	s_waitcnt lgkmcnt(0)
	s_cselect_b32 s21, s29, s35
	s_cselect_b32 s31, s28, s34
	s_mul_hi_i32 s29, s18, s6
	s_mul_i32 s28, s18, s6
	s_lshl_b64 s[28:29], s[28:29], 1
	s_add_u32 s36, s31, s28
	s_addc_u32 s18, s21, s29
	s_and_b64 s[26:27], s[26:27], exec
	s_mov_b32 s31, 0x20000
	s_cselect_b32 s28, s38, s24
	s_cselect_b32 s21, s39, s25
	s_and_b32 s37, s18, 0xffff
	s_mov_b32 s38, s30
	s_mov_b32 s39, s31
	s_and_b32 s29, s21, 0xffff
	buffer_load_dwordx2 v[8:9], v2, s[36:39], 0 offen glc slc
	buffer_load_dwordx2 v[6:7], v2, s[28:31], 0 offen
.LBB250_3:
	s_or_b64 exec, exec, s[14:15]
	s_and_b64 vcc, exec, s[2:3]
	s_cbranch_vccz .LBB250_7
; %bb.4:
	s_mov_b32 s36, 0
	s_mov_b32 s37, s36
	;; [unrolled: 1-line block ×4, first 2 shown]
	v_pk_mov_b32 v[2:3], s[36:37], s[36:37] op_sel:[0,1]
	v_pk_mov_b32 v[4:5], s[38:39], s[38:39] op_sel:[0,1]
	s_and_saveexec_b64 s[14:15], s[0:1]
	s_cbranch_execz .LBB250_6
; %bb.5:
	s_waitcnt vmcnt(1)
	v_cvt_f32_u32_sdwa v3, v8 dst_sel:DWORD dst_unused:UNUSED_PAD src0_sel:WORD_1
	v_cvt_f32_u32_sdwa v2, v8 dst_sel:DWORD dst_unused:UNUSED_PAD src0_sel:WORD_0
	v_cvt_f32_u32_sdwa v5, v9 dst_sel:DWORD dst_unused:UNUSED_PAD src0_sel:WORD_1
	v_cvt_f32_u32_sdwa v4, v9 dst_sel:DWORD dst_unused:UNUSED_PAD src0_sel:WORD_0
.LBB250_6:
	s_or_b64 exec, exec, s[14:15]
	s_mov_b32 s18, s17
	s_cbranch_execz .LBB250_8
	s_branch .LBB250_11
.LBB250_7:
                                        ; implicit-def: $vgpr2_vgpr3_vgpr4_vgpr5
	s_mov_b32 s18, s17
.LBB250_8:
	s_mov_b32 s36, 0
	s_mov_b32 s37, s36
	;; [unrolled: 1-line block ×4, first 2 shown]
	v_pk_mov_b32 v[2:3], s[36:37], s[36:37] op_sel:[0,1]
	v_pk_mov_b32 v[4:5], s[38:39], s[38:39] op_sel:[0,1]
	s_and_saveexec_b64 s[14:15], s[0:1]
	s_cbranch_execz .LBB250_10
; %bb.9:
	s_load_dwordx2 s[26:27], s[4:5], 0x38
	s_mul_hi_i32 s29, s23, s6
	s_mul_i32 s28, s23, s6
	s_lshl_b64 s[28:29], s[28:29], 1
	s_mov_b32 s31, 0x20000
	s_waitcnt lgkmcnt(0)
	s_add_u32 s28, s26, s28
	s_addc_u32 s18, s27, s29
	s_and_b32 s29, s18, 0xffff
	v_lshlrev_b32_e32 v14, 3, v0
	buffer_load_dwordx2 v[2:3], v14, s[28:31], 0 offen glc slc
	s_load_dwordx2 s[26:27], s[4:5], 0x20
	s_waitcnt vmcnt(2)
	v_cvt_f32_u32_sdwa v5, v8 dst_sel:DWORD dst_unused:UNUSED_PAD src0_sel:WORD_1
	v_cvt_f32_u32_sdwa v4, v8 dst_sel:DWORD dst_unused:UNUSED_PAD src0_sel:WORD_0
	v_cvt_f32_u32_sdwa v11, v9 dst_sel:DWORD dst_unused:UNUSED_PAD src0_sel:WORD_1
	v_cvt_f32_u32_sdwa v10, v9 dst_sel:DWORD dst_unused:UNUSED_PAD src0_sel:WORD_0
	s_mul_hi_i32 s29, s13, s6
	s_mul_i32 s28, s13, s6
	s_lshl_b64 s[28:29], s[28:29], 1
	s_waitcnt lgkmcnt(0)
	s_add_u32 s28, s26, s28
	s_mov_b32 s13, 0x7060302
	s_addc_u32 s18, s27, s29
	s_and_b32 s29, s18, 0xffff
	s_waitcnt vmcnt(0)
	v_cvt_f32_u32_sdwa v9, v2 dst_sel:DWORD dst_unused:UNUSED_PAD src0_sel:WORD_1
	v_cvt_f32_u32_sdwa v8, v2 dst_sel:DWORD dst_unused:UNUSED_PAD src0_sel:WORD_0
	v_cvt_f32_u32_sdwa v13, v3 dst_sel:DWORD dst_unused:UNUSED_PAD src0_sel:WORD_1
	v_cvt_f32_u32_sdwa v12, v3 dst_sel:DWORD dst_unused:UNUSED_PAD src0_sel:WORD_0
	v_pk_add_f32 v[2:3], v[4:5], v[8:9]
	v_perm_b32 v8, v3, v2, s13
	v_pk_add_f32 v[4:5], v[10:11], v[12:13]
	v_perm_b32 v9, v5, v4, s13
	buffer_store_dwordx2 v[8:9], v14, s[28:31], 0 offen glc slc
	;;#ASMSTART
	s_nop 0
	;;#ASMEND
.LBB250_10:
	s_or_b64 exec, exec, s[14:15]
	s_mov_b32 s18, s16
.LBB250_11:
	s_waitcnt vmcnt(1)
	v_mul_f32_e32 v8, v3, v3
	v_fmac_f32_e32 v8, v2, v2
	v_fmac_f32_e32 v8, v4, v4
	;; [unrolled: 1-line block ×3, first 2 shown]
	s_load_dwordx2 s[14:15], s[4:5], 0x18
	s_nop 0
	v_mov_b32_dpp v9, v8 quad_perm:[1,0,3,2] row_mask:0xf bank_mask:0xf
	v_add_f32_e32 v8, v8, v9
	s_nop 1
	v_mov_b32_dpp v9, v8 quad_perm:[2,3,0,1] row_mask:0xf bank_mask:0xf
	v_add_f32_e32 v8, v8, v9
	s_nop 1
	v_mov_b32_dpp v9, v8 row_half_mirror row_mask:0xf bank_mask:0xf
	v_add_f32_e32 v8, v8, v9
	s_nop 1
	v_mov_b32_dpp v9, v8 row_mirror row_mask:0xf bank_mask:0xf
	v_add_f32_e32 v8, v8, v9
	s_nop 1
	v_mov_b32_dpp v9, v8 row_bcast:15 row_mask:0xf bank_mask:0xf
	v_add_f32_e32 v8, v8, v9
	s_nop 1
	v_mov_b32_dpp v9, v8 row_bcast:31 row_mask:0xf bank_mask:0xf
	v_add_f32_e32 v10, v8, v9
	v_mbcnt_lo_u32_b32 v8, -1, 0
	v_mbcnt_hi_u32_b32 v8, -1, v8
	v_lshlrev_b32_e32 v9, 2, v8
	v_or_b32_e32 v8, 0xfc, v9
	ds_bpermute_b32 v10, v8, v10
	s_and_saveexec_b64 s[26:27], s[0:1]
	s_cbranch_execnz .LBB250_16
; %bb.12:
	s_or_b64 exec, exec, s[26:27]
	s_mov_b64 s[26:27], -1
	s_and_b64 vcc, exec, s[2:3]
	s_cbranch_vccnz .LBB250_17
.LBB250_13:
	s_andn2_b64 vcc, exec, s[26:27]
	s_cbranch_vccz .LBB250_20
.LBB250_14:
	s_cmp_lt_i32 s20, 1
	s_cbranch_scc0 .LBB250_29
.LBB250_15:
	s_endpgm
.LBB250_16:
	v_cvt_f32_u32_e32 v11, s7
	s_mov_b32 s7, 0x800000
	s_waitcnt lgkmcnt(0)
	v_div_scale_f32 v12, s[28:29], v11, v11, v10
	v_rcp_f32_e32 v13, v12
	v_div_scale_f32 v14, vcc, v10, v11, v10
	v_fma_f32 v15, -v12, v13, 1.0
	v_fmac_f32_e32 v13, v15, v13
	v_mul_f32_e32 v15, v14, v13
	v_fma_f32 v16, -v12, v15, v14
	v_fmac_f32_e32 v15, v16, v13
	v_fma_f32 v12, -v12, v15, v14
	v_div_fmas_f32 v12, v12, v13, v15
	v_div_fixup_f32 v10, v12, v11, v10
	v_add_f32_e32 v10, s18, v10
	v_mul_f32_e32 v11, 0x4b800000, v10
	v_cmp_gt_f32_e32 vcc, s7, v10
	v_cndmask_b32_e32 v10, v10, v11, vcc
	v_rsq_f32_e32 v12, v10
	s_waitcnt vmcnt(0)
	v_cvt_f32_u32_sdwa v11, v6 dst_sel:DWORD dst_unused:UNUSED_PAD src0_sel:WORD_1
	v_cvt_f32_u32_sdwa v10, v6 dst_sel:DWORD dst_unused:UNUSED_PAD src0_sel:WORD_0
	v_cvt_f32_u32_sdwa v13, v7 dst_sel:DWORD dst_unused:UNUSED_PAD src0_sel:WORD_1
	v_mul_f32_e32 v6, 0x45800000, v12
	v_cndmask_b32_e32 v14, v12, v6, vcc
	v_cvt_f32_u32_sdwa v12, v7 dst_sel:DWORD dst_unused:UNUSED_PAD src0_sel:WORD_0
	v_mov_b32_e32 v15, v14
	;;#ASMSTART
	v_pk_mul_f32 v[2:3], v[2:3], v[14:15]
	;;#ASMEND
	;;#ASMSTART
	v_pk_mul_f32 v[4:5], v[4:5], v[14:15]
	;;#ASMEND
	v_pk_add_f32 v[6:7], v[10:11], 1.0 op_sel_hi:[1,0]
	;;#ASMSTART
	v_pk_mul_f32 v[2:3], v[2:3], v[6:7]
	;;#ASMEND
	v_pk_add_f32 v[6:7], v[12:13], 1.0 op_sel_hi:[1,0]
	;;#ASMSTART
	v_pk_mul_f32 v[4:5], v[4:5], v[6:7]
	;;#ASMEND
	s_or_b64 exec, exec, s[26:27]
	s_mov_b64 s[26:27], -1
	s_and_b64 vcc, exec, s[2:3]
	s_cbranch_vccz .LBB250_13
.LBB250_17:
	s_and_saveexec_b64 s[2:3], s[0:1]
	s_cbranch_execz .LBB250_19
; %bb.18:
	s_mul_hi_i32 s27, s12, s6
	s_mul_i32 s26, s12, s6
	s_lshl_b64 s[26:27], s[26:27], 1
	s_waitcnt lgkmcnt(0)
	s_add_u32 s28, s14, s26
	s_addc_u32 s7, s15, s27
	s_and_b32 s29, s7, 0xffff
	s_mov_b32 s7, 0x7060302
	s_mov_b32 s31, 0x20000
	s_waitcnt vmcnt(0)
	v_perm_b32 v6, v3, v2, s7
	v_perm_b32 v7, v5, v4, s7
	v_lshlrev_b32_e32 v10, 3, v0
	buffer_store_dwordx2 v[6:7], v10, s[28:31], 0 offen
	;;#ASMSTART
	s_nop 0
	;;#ASMEND
.LBB250_19:
	s_or_b64 exec, exec, s[2:3]
	s_cbranch_execnz .LBB250_14
.LBB250_20:
	s_waitcnt vmcnt(0)
	v_mov_b32_e32 v6, 0
	s_and_saveexec_b64 s[2:3], s[0:1]
	s_cbranch_execz .LBB250_22
; %bb.21:
	s_load_dwordx2 s[26:27], s[4:5], 0x10
	s_mul_hi_i32 s29, s11, s6
	s_mul_i32 s28, s11, s6
	s_lshl_b64 s[28:29], s[28:29], 1
	s_mov_b32 s31, 0x20000
	s_waitcnt lgkmcnt(0)
	s_add_u32 s28, s26, s28
	s_addc_u32 s7, s27, s29
	s_and_b32 s29, s7, 0xffff
	s_mov_b32 s7, 0x7060302
	v_perm_b32 v6, v3, v2, s7
	v_perm_b32 v7, v5, v4, s7
	v_lshlrev_b32_e32 v10, 3, v0
	buffer_store_dwordx2 v[6:7], v10, s[28:31], 0 offen
	v_mov_b32_e32 v6, 0x2edbe6ff
	;;#ASMSTART
	s_nop 0
	;;#ASMEND
.LBB250_22:
	s_or_b64 exec, exec, s[2:3]
	s_and_saveexec_b64 s[2:3], s[0:1]
	s_cbranch_execz .LBB250_24
; %bb.23:
	v_and_b32_e32 v7, 0x7fffffff, v2
	s_waitcnt lgkmcnt(0)
	v_and_b32_e32 v10, 0x7fffffff, v3
	;;#ASMSTART
	v_max3_f32 v6, v6, v7, v10

	;;#ASMEND
	v_and_b32_e32 v7, 0x7fffffff, v4
	v_and_b32_e32 v10, 0x7fffffff, v5
	;;#ASMSTART
	v_max3_f32 v6, v6, v7, v10

	;;#ASMEND
.LBB250_24:
	s_or_b64 exec, exec, s[2:3]
	;;#ASMSTART
	v_max_f32 v7, v6, v6 quad_perm:[1,0,3,2] row_mask:0xf bank_mask:0xf bound_ctrl:1
	;;#ASMEND
	;;#ASMSTART
	v_max_f32 v6, v7, v7 quad_perm:[2,3,0,1] row_mask:0xf bank_mask:0xf bound_ctrl:1
	;;#ASMEND
	;;#ASMSTART
	v_max_f32 v7, v6, v6 row_half_mirror row_mask:0xf bank_mask:0xf bound_ctrl:1
	;;#ASMEND
	;;#ASMSTART
	v_max_f32 v6, v7, v7 row_mirror row_mask:0xf bank_mask:0xf bound_ctrl:1
	;;#ASMEND
	;;#ASMSTART
	v_max_f32 v7, v6, v6 row_ror:4 row_mask:0xf bank_mask:0xf bound_ctrl:1
	;;#ASMEND
	;;#ASMSTART
	v_max_f32 v6, v7, v7 row_ror:8 row_mask:0xf bank_mask:0xf bound_ctrl:1
	;;#ASMEND
	;;#ASMSTART
	v_max_f32 v7, v6, v6 row_bcast:15 row_mask:0xa bank_mask:0xf bound_ctrl:1
	;;#ASMEND
	v_or_b32_e32 v6, 0x7c, v9
	ds_bpermute_b32 v6, v6, v7
	v_and_b32_e32 v7, 31, v0
	v_cmp_gt_i32_e32 vcc, s19, v1
	v_cmp_eq_u32_e64 s[2:3], 0, v7
	s_and_b64 s[26:27], s[2:3], vcc
	s_waitcnt lgkmcnt(0)
	v_mul_f32_e32 v6, 0x3b124925, v6
	s_and_saveexec_b64 s[2:3], s[26:27]
	s_cbranch_execz .LBB250_26
; %bb.25:
	s_load_dwordx2 s[26:27], s[4:5], 0x8
	v_lshrrev_b32_e32 v7, 5, v0
	s_mul_hi_i32 s29, s9, s6
	s_mul_i32 s28, s9, s6
	v_mad_i64_i32 v[10:11], s[10:11], s10, v7, 0
	s_lshl_b64 s[10:11], s[28:29], 2
	s_waitcnt lgkmcnt(0)
	s_add_u32 s7, s26, s10
	s_addc_u32 s9, s27, s11
	v_lshlrev_b64 v[10:11], 2, v[10:11]
	v_mov_b32_e32 v7, s9
	v_add_co_u32_e32 v10, vcc, s7, v10
	v_addc_co_u32_e32 v11, vcc, v7, v11, vcc
	global_store_dword v[10:11], v6, off
.LBB250_26:
	s_or_b64 exec, exec, s[2:3]
	;;#ASMSTART
	v_rcp_f32 v6, v6
	;;#ASMEND
	s_and_saveexec_b64 s[2:3], s[0:1]
	s_cbranch_execz .LBB250_28
; %bb.27:
	s_load_dwordx2 s[0:1], s[4:5], 0x0
	s_mul_hi_i32 s7, s8, s6
	s_mul_i32 s8, s8, s6
	v_mov_b32_e32 v7, v6
	;;#ASMSTART
	v_pk_mul_f32 v[2:3], v[2:3], v[6:7]
	;;#ASMEND
	s_waitcnt lgkmcnt(0)
	s_add_u32 s8, s0, s8
	s_addc_u32 s0, s1, s7
	s_add_i32 s1, s19, 3
	s_ashr_i32 s7, s1, 31
	v_mov_b32_e32 v9, 0xc3e00000
	v_mov_b32_e32 v10, 0x43e00000
	;;#ASMSTART
	v_med3_f32 v2, v2, v9, v10
v_med3_f32 v3, v3, v9, v10
v_cvt_pk_fp8_f32 v11, v2, v3
	;;#ASMEND
	s_and_b32 s9, s0, 0xffff
	s_lshr_b32 s0, s7, 30
	;;#ASMSTART
	v_pk_mul_f32 v[2:3], v[4:5], v[6:7]
	;;#ASMEND
	s_add_i32 s1, s1, s0
	;;#ASMSTART
	v_med3_f32 v2, v2, v9, v10
v_med3_f32 v3, v3, v9, v10
v_cvt_pk_fp8_f32 v4, v2, v3
	;;#ASMEND
	s_mov_b32 s0, 0x5040100
	s_and_b32 s10, s1, -4
	s_mov_b32 s11, 0x20000
	v_perm_b32 v2, v4, v11, s0
	buffer_store_dword v2, v1, s[8:11], 0 offen
	;;#ASMSTART
	s_nop 0
	;;#ASMEND
.LBB250_28:
	s_or_b64 exec, exec, s[2:3]
	s_cmp_lt_i32 s20, 1
	s_cbranch_scc1 .LBB250_15
.LBB250_29:
	s_load_dword s0, s[4:5], 0x94
	s_waitcnt lgkmcnt(0)
	s_cmp_lg_u32 s0, 1
	s_cbranch_scc1 .LBB250_15
; %bb.30:
	s_lshl_b32 s0, s20, 1
	s_add_i32 s0, s0, 2
	v_cmp_gt_u32_e32 vcc, s20, v1
	s_and_b32 s26, s0, -4
	v_mov_b32_e32 v2, 0
	s_waitcnt vmcnt(0)
	v_lshlrev_b32_e32 v6, 3, v0
	v_mov_b32_e32 v3, 0
	v_mov_b32_e32 v0, 0
	;; [unrolled: 1-line block ×3, first 2 shown]
	s_barrier
	s_and_saveexec_b64 s[0:1], vcc
	s_cbranch_execz .LBB250_32
; %bb.31:
	s_mul_hi_i32 s3, s22, s6
	s_mul_i32 s2, s22, s6
	s_and_b32 s25, s25, 0xffff
	s_lshl_b64 s[2:3], s[2:3], 1
	s_add_u32 s8, s34, s2
	s_mov_b32 s27, 0x20000
	s_addc_u32 s2, s35, s3
	s_and_b32 s9, s2, 0xffff
	s_mov_b32 s10, s26
	s_mov_b32 s11, s27
	buffer_load_dwordx2 v[2:3], v6, s[8:11], 0 offen glc slc
	buffer_load_dwordx2 v[0:1], v6, s[24:27], 0 offen
.LBB250_32:
	s_or_b64 exec, exec, s[0:1]
	s_waitcnt vmcnt(1)
	v_cvt_f32_u32_sdwa v5, v3 dst_sel:DWORD dst_unused:UNUSED_PAD src0_sel:WORD_0
	v_cvt_f32_u32_sdwa v7, v2 dst_sel:DWORD dst_unused:UNUSED_PAD src0_sel:WORD_1
	v_cvt_f32_u32_sdwa v4, v3 dst_sel:DWORD dst_unused:UNUSED_PAD src0_sel:WORD_1
	v_cvt_f32_u32_sdwa v9, v2 dst_sel:DWORD dst_unused:UNUSED_PAD src0_sel:WORD_0
	v_cndmask_b32_e32 v2, 0, v5, vcc
	v_cndmask_b32_e32 v5, 0, v7, vcc
	;; [unrolled: 1-line block ×4, first 2 shown]
	v_mul_f32_e32 v7, v5, v5
	v_fmac_f32_e32 v7, v4, v4
	v_fmac_f32_e32 v7, v2, v2
	;; [unrolled: 1-line block ×3, first 2 shown]
	s_nop 1
	v_mov_b32_dpp v9, v7 quad_perm:[1,0,3,2] row_mask:0xf bank_mask:0xf
	v_add_f32_e32 v7, v7, v9
	s_nop 1
	v_mov_b32_dpp v9, v7 quad_perm:[2,3,0,1] row_mask:0xf bank_mask:0xf
	v_add_f32_e32 v7, v7, v9
	s_nop 1
	v_mov_b32_dpp v9, v7 row_half_mirror row_mask:0xf bank_mask:0xf
	v_add_f32_e32 v7, v7, v9
	s_nop 1
	v_mov_b32_dpp v9, v7 row_mirror row_mask:0xf bank_mask:0xf
	v_add_f32_e32 v7, v7, v9
	s_nop 1
	v_mov_b32_dpp v9, v7 row_bcast:15 row_mask:0xf bank_mask:0xf
	v_add_f32_e32 v7, v7, v9
	s_nop 1
	v_mov_b32_dpp v9, v7 row_bcast:31 row_mask:0xf bank_mask:0xf
	v_add_f32_e32 v7, v7, v9
	ds_bpermute_b32 v7, v8, v7
	s_and_saveexec_b64 s[0:1], vcc
	s_cbranch_execz .LBB250_15
; %bb.33:
	v_cvt_f32_u32_e32 v8, s20
	s_mov_b32 s27, 0x20000
	s_waitcnt lgkmcnt(0)
	v_div_scale_f32 v9, s[0:1], v8, v8, v7
	v_rcp_f32_e32 v10, v9
	v_div_scale_f32 v11, vcc, v7, v8, v7
	s_mov_b32 s0, 0x800000
	v_fma_f32 v12, -v9, v10, 1.0
	v_fmac_f32_e32 v10, v12, v10
	v_mul_f32_e32 v12, v11, v10
	v_fma_f32 v13, -v9, v12, v11
	v_fmac_f32_e32 v12, v13, v10
	v_fma_f32 v9, -v9, v12, v11
	v_div_fmas_f32 v9, v9, v10, v12
	v_div_fixup_f32 v7, v9, v8, v7
	v_add_f32_e32 v7, s17, v7
	v_mul_f32_e32 v8, 0x4b800000, v7
	v_cmp_gt_f32_e32 vcc, s0, v7
	v_cndmask_b32_e32 v7, v7, v8, vcc
	v_rsq_f32_e32 v7, v7
	s_waitcnt vmcnt(0)
	v_cvt_f32_u32_sdwa v9, v0 dst_sel:DWORD dst_unused:UNUSED_PAD src0_sel:WORD_1
	v_cvt_f32_u32_sdwa v8, v0 dst_sel:DWORD dst_unused:UNUSED_PAD src0_sel:WORD_0
	s_mul_hi_i32 s1, s12, s6
	s_mul_i32 s0, s12, s6
	v_cvt_f32_u32_sdwa v11, v1 dst_sel:DWORD dst_unused:UNUSED_PAD src0_sel:WORD_1
	v_mul_f32_e32 v0, 0x45800000, v7
	v_cvt_f32_u32_sdwa v10, v1 dst_sel:DWORD dst_unused:UNUSED_PAD src0_sel:WORD_0
	s_lshl_b64 s[0:1], s[0:1], 1
	v_cndmask_b32_e32 v12, v7, v0, vcc
	s_add_u32 s24, s14, s0
	v_mov_b32_e32 v13, v12
	;;#ASMSTART
	v_pk_mul_f32 v[4:5], v[4:5], v[12:13]
	;;#ASMEND
	;;#ASMSTART
	v_pk_mul_f32 v[0:1], v[2:3], v[12:13]
	;;#ASMEND
	v_pk_add_f32 v[2:3], v[8:9], 1.0 op_sel_hi:[1,0]
	s_addc_u32 s0, s15, s1
	;;#ASMSTART
	v_pk_mul_f32 v[2:3], v[4:5], v[2:3]
	;;#ASMEND
	s_and_b32 s25, s0, 0xffff
	s_mov_b32 s0, 0x7060302
	v_pk_add_f32 v[4:5], v[10:11], 1.0 op_sel_hi:[1,0]
	;;#ASMSTART
	v_pk_mul_f32 v[0:1], v[0:1], v[4:5]
	;;#ASMEND
	v_perm_b32 v2, v3, v2, s0
	v_perm_b32 v3, v1, v0, s0
	buffer_store_dwordx2 v[2:3], v6, s[24:27], 0 offen
	;;#ASMSTART
	s_nop 0
	;;#ASMEND
	s_endpgm
	.section	.rodata,"a",@progbits
	.p2align	6, 0x0
	.amdhsa_kernel _ZN5aiter35fused_qk_rmsnorm_group_quant_kernelItDB8_Li64ELi4ELi32ELb1ELb1ELb1ELb0ELb0ELb0EEEvPT0_PvPT_S6_S6_PKS5_S8_S8_S8_S8_ffiiiiiiiiiiiii
		.amdhsa_group_segment_fixed_size 0
		.amdhsa_private_segment_fixed_size 0
		.amdhsa_kernarg_size 400
		.amdhsa_user_sgpr_count 6
		.amdhsa_user_sgpr_private_segment_buffer 1
		.amdhsa_user_sgpr_dispatch_ptr 0
		.amdhsa_user_sgpr_queue_ptr 0
		.amdhsa_user_sgpr_kernarg_segment_ptr 1
		.amdhsa_user_sgpr_dispatch_id 0
		.amdhsa_user_sgpr_flat_scratch_init 0
		.amdhsa_user_sgpr_kernarg_preload_length 0
		.amdhsa_user_sgpr_kernarg_preload_offset 0
		.amdhsa_user_sgpr_private_segment_size 0
		.amdhsa_uses_dynamic_stack 0
		.amdhsa_system_sgpr_private_segment_wavefront_offset 0
		.amdhsa_system_sgpr_workgroup_id_x 1
		.amdhsa_system_sgpr_workgroup_id_y 1
		.amdhsa_system_sgpr_workgroup_id_z 0
		.amdhsa_system_sgpr_workgroup_info 0
		.amdhsa_system_vgpr_workitem_id 0
		.amdhsa_next_free_vgpr 17
		.amdhsa_next_free_sgpr 40
		.amdhsa_accum_offset 20
		.amdhsa_reserve_vcc 1
		.amdhsa_reserve_flat_scratch 0
		.amdhsa_float_round_mode_32 0
		.amdhsa_float_round_mode_16_64 0
		.amdhsa_float_denorm_mode_32 3
		.amdhsa_float_denorm_mode_16_64 3
		.amdhsa_dx10_clamp 1
		.amdhsa_ieee_mode 1
		.amdhsa_fp16_overflow 0
		.amdhsa_tg_split 0
		.amdhsa_exception_fp_ieee_invalid_op 0
		.amdhsa_exception_fp_denorm_src 0
		.amdhsa_exception_fp_ieee_div_zero 0
		.amdhsa_exception_fp_ieee_overflow 0
		.amdhsa_exception_fp_ieee_underflow 0
		.amdhsa_exception_fp_ieee_inexact 0
		.amdhsa_exception_int_div_zero 0
	.end_amdhsa_kernel
	.section	.text._ZN5aiter35fused_qk_rmsnorm_group_quant_kernelItDB8_Li64ELi4ELi32ELb1ELb1ELb1ELb0ELb0ELb0EEEvPT0_PvPT_S6_S6_PKS5_S8_S8_S8_S8_ffiiiiiiiiiiiii,"axG",@progbits,_ZN5aiter35fused_qk_rmsnorm_group_quant_kernelItDB8_Li64ELi4ELi32ELb1ELb1ELb1ELb0ELb0ELb0EEEvPT0_PvPT_S6_S6_PKS5_S8_S8_S8_S8_ffiiiiiiiiiiiii,comdat
.Lfunc_end250:
	.size	_ZN5aiter35fused_qk_rmsnorm_group_quant_kernelItDB8_Li64ELi4ELi32ELb1ELb1ELb1ELb0ELb0ELb0EEEvPT0_PvPT_S6_S6_PKS5_S8_S8_S8_S8_ffiiiiiiiiiiiii, .Lfunc_end250-_ZN5aiter35fused_qk_rmsnorm_group_quant_kernelItDB8_Li64ELi4ELi32ELb1ELb1ELb1ELb0ELb0ELb0EEEvPT0_PvPT_S6_S6_PKS5_S8_S8_S8_S8_ffiiiiiiiiiiiii
                                        ; -- End function
	.section	.AMDGPU.csdata,"",@progbits
; Kernel info:
; codeLenInByte = 2364
; NumSgprs: 44
; NumVgprs: 17
; NumAgprs: 0
; TotalNumVgprs: 17
; ScratchSize: 0
; MemoryBound: 0
; FloatMode: 240
; IeeeMode: 1
; LDSByteSize: 0 bytes/workgroup (compile time only)
; SGPRBlocks: 5
; VGPRBlocks: 2
; NumSGPRsForWavesPerEU: 44
; NumVGPRsForWavesPerEU: 17
; AccumOffset: 20
; Occupancy: 8
; WaveLimiterHint : 0
; COMPUTE_PGM_RSRC2:SCRATCH_EN: 0
; COMPUTE_PGM_RSRC2:USER_SGPR: 6
; COMPUTE_PGM_RSRC2:TRAP_HANDLER: 0
; COMPUTE_PGM_RSRC2:TGID_X_EN: 1
; COMPUTE_PGM_RSRC2:TGID_Y_EN: 1
; COMPUTE_PGM_RSRC2:TGID_Z_EN: 0
; COMPUTE_PGM_RSRC2:TIDIG_COMP_CNT: 0
; COMPUTE_PGM_RSRC3_GFX90A:ACCUM_OFFSET: 4
; COMPUTE_PGM_RSRC3_GFX90A:TG_SPLIT: 0
	.section	.text._ZN5aiter35fused_qk_rmsnorm_group_quant_kernelIDF16_DB8_Li64ELi4ELi32ELb1ELb1ELb0ELb0ELb0ELb0EEEvPT0_PvPT_S6_S6_PKS5_S8_S8_S8_S8_ffiiiiiiiiiiiii,"axG",@progbits,_ZN5aiter35fused_qk_rmsnorm_group_quant_kernelIDF16_DB8_Li64ELi4ELi32ELb1ELb1ELb0ELb0ELb0ELb0EEEvPT0_PvPT_S6_S6_PKS5_S8_S8_S8_S8_ffiiiiiiiiiiiii,comdat
	.protected	_ZN5aiter35fused_qk_rmsnorm_group_quant_kernelIDF16_DB8_Li64ELi4ELi32ELb1ELb1ELb0ELb0ELb0ELb0EEEvPT0_PvPT_S6_S6_PKS5_S8_S8_S8_S8_ffiiiiiiiiiiiii ; -- Begin function _ZN5aiter35fused_qk_rmsnorm_group_quant_kernelIDF16_DB8_Li64ELi4ELi32ELb1ELb1ELb0ELb0ELb0ELb0EEEvPT0_PvPT_S6_S6_PKS5_S8_S8_S8_S8_ffiiiiiiiiiiiii
	.globl	_ZN5aiter35fused_qk_rmsnorm_group_quant_kernelIDF16_DB8_Li64ELi4ELi32ELb1ELb1ELb0ELb0ELb0ELb0EEEvPT0_PvPT_S6_S6_PKS5_S8_S8_S8_S8_ffiiiiiiiiiiiii
	.p2align	8
	.type	_ZN5aiter35fused_qk_rmsnorm_group_quant_kernelIDF16_DB8_Li64ELi4ELi32ELb1ELb1ELb0ELb0ELb0ELb0EEEvPT0_PvPT_S6_S6_PKS5_S8_S8_S8_S8_ffiiiiiiiiiiiii,@function
_ZN5aiter35fused_qk_rmsnorm_group_quant_kernelIDF16_DB8_Li64ELi4ELi32ELb1ELb1ELb0ELb0ELb0ELb0EEEvPT0_PvPT_S6_S6_PKS5_S8_S8_S8_S8_ffiiiiiiiiiiiii: ; @_ZN5aiter35fused_qk_rmsnorm_group_quant_kernelIDF16_DB8_Li64ELi4ELi32ELb1ELb1ELb0ELb0ELb0ELb0EEEvPT0_PvPT_S6_S6_PKS5_S8_S8_S8_S8_ffiiiiiiiiiiiii
; %bb.0:
	s_load_dwordx8 s[16:23], s[4:5], 0x50
	s_waitcnt lgkmcnt(0)
	s_cmp_ge_i32 s6, s18
	s_cbranch_scc1 .LBB251_15
; %bb.1:
	s_cmp_lg_u32 s7, 0
	s_cselect_b64 s[2:3], -1, 0
	s_cmp_eq_u32 s7, 0
	s_cselect_b64 s[26:27], -1, 0
	s_and_b64 s[0:1], s[26:27], exec
	s_load_dwordx2 s[24:25], s[4:5], 0x48
	s_load_dwordx2 s[34:35], s[4:5], 0x30
	s_load_dwordx8 s[8:15], s[4:5], 0x70
	s_cselect_b32 s7, s19, s20
	s_add_i32 s0, s7, 1
	s_lshr_b32 s1, s0, 31
	s_add_i32 s0, s0, s1
	s_lshl_b32 s0, s0, 1
	v_lshlrev_b32_e32 v1, 2, v0
	s_and_b32 s30, s0, -4
	v_cmp_gt_i32_e64 s[0:1], s7, v1
	v_mov_b32_e32 v8, 0
	v_mov_b32_e32 v9, 0
	;; [unrolled: 1-line block ×4, first 2 shown]
	s_waitcnt lgkmcnt(0)
	s_and_saveexec_b64 s[14:15], s[0:1]
	s_cbranch_execz .LBB251_3
; %bb.2:
	s_load_dwordx2 s[28:29], s[4:5], 0x28
	s_load_dwordx2 s[38:39], s[4:5], 0x40
	s_and_b64 s[36:37], s[26:27], exec
	s_cselect_b32 s18, s21, s22
	v_lshlrev_b32_e32 v2, 3, v0
	s_waitcnt lgkmcnt(0)
	s_cselect_b32 s21, s29, s35
	s_cselect_b32 s31, s28, s34
	s_mul_hi_i32 s29, s18, s6
	s_mul_i32 s28, s18, s6
	s_lshl_b64 s[28:29], s[28:29], 1
	s_add_u32 s36, s31, s28
	s_addc_u32 s18, s21, s29
	s_and_b64 s[26:27], s[26:27], exec
	s_mov_b32 s31, 0x20000
	s_cselect_b32 s28, s38, s24
	s_cselect_b32 s21, s39, s25
	s_and_b32 s37, s18, 0xffff
	s_mov_b32 s38, s30
	s_mov_b32 s39, s31
	s_and_b32 s29, s21, 0xffff
	buffer_load_dwordx2 v[10:11], v2, s[36:39], 0 offen glc slc
	buffer_load_dwordx2 v[8:9], v2, s[28:31], 0 offen
.LBB251_3:
	s_or_b64 exec, exec, s[14:15]
	s_and_b64 vcc, exec, s[2:3]
	s_cbranch_vccz .LBB251_7
; %bb.4:
	v_mov_b32_e32 v7, 0
	v_mov_b32_e32 v6, 0
	;; [unrolled: 1-line block ×4, first 2 shown]
	s_and_saveexec_b64 s[14:15], s[0:1]
	s_cbranch_execz .LBB251_6
; %bb.5:
	s_waitcnt vmcnt(1)
	v_cvt_f32_f16_sdwa v3, v10 dst_sel:DWORD dst_unused:UNUSED_PAD src0_sel:WORD_1
	v_cvt_f32_f16_e32 v2, v10
	v_cvt_f32_f16_sdwa v7, v11 dst_sel:DWORD dst_unused:UNUSED_PAD src0_sel:WORD_1
	v_cvt_f32_f16_e32 v6, v11
.LBB251_6:
	s_or_b64 exec, exec, s[14:15]
	s_mov_b32 s18, s17
	s_cbranch_execz .LBB251_8
	s_branch .LBB251_11
.LBB251_7:
                                        ; implicit-def: $vgpr7
                                        ; implicit-def: $vgpr2_vgpr3_vgpr4_vgpr5
	s_mov_b32 s18, s17
.LBB251_8:
	v_mov_b32_e32 v7, 0
	v_mov_b32_e32 v6, 0
	;; [unrolled: 1-line block ×4, first 2 shown]
	s_and_saveexec_b64 s[14:15], s[0:1]
	s_cbranch_execz .LBB251_10
; %bb.9:
	s_load_dwordx2 s[26:27], s[4:5], 0x38
	s_mul_hi_i32 s29, s23, s6
	s_mul_i32 s28, s23, s6
	s_lshl_b64 s[28:29], s[28:29], 1
	s_mov_b32 s31, 0x20000
	s_waitcnt lgkmcnt(0)
	s_add_u32 s28, s26, s28
	s_addc_u32 s18, s27, s29
	s_and_b32 s29, s18, 0xffff
	v_lshlrev_b32_e32 v14, 3, v0
	buffer_load_dwordx2 v[2:3], v14, s[28:31], 0 offen glc slc
	s_waitcnt vmcnt(2)
	v_cvt_f32_f16_sdwa v5, v10 dst_sel:DWORD dst_unused:UNUSED_PAD src0_sel:WORD_1
	v_cvt_f32_f16_e32 v4, v10
	v_cvt_f32_f16_sdwa v7, v11 dst_sel:DWORD dst_unused:UNUSED_PAD src0_sel:WORD_1
	v_cvt_f32_f16_e32 v6, v11
	s_load_dwordx2 s[26:27], s[4:5], 0x20
	s_mul_hi_i32 s29, s13, s6
	s_mul_i32 s28, s13, s6
	s_lshl_b64 s[28:29], s[28:29], 1
	s_waitcnt lgkmcnt(0)
	s_add_u32 s28, s26, s28
	s_addc_u32 s13, s27, s29
	s_and_b32 s29, s13, 0xffff
	s_waitcnt vmcnt(0)
	v_cvt_f32_f16_e32 v10, v2
	v_cvt_f32_f16_sdwa v11, v2 dst_sel:DWORD dst_unused:UNUSED_PAD src0_sel:WORD_1
	v_cvt_f32_f16_e32 v12, v3
	v_cvt_f32_f16_sdwa v13, v3 dst_sel:DWORD dst_unused:UNUSED_PAD src0_sel:WORD_1
	v_pk_add_f32 v[2:3], v[4:5], v[10:11]
	v_cvt_f16_f32_e32 v4, v3
	v_pk_add_f32 v[6:7], v[6:7], v[12:13]
	v_cvt_f16_f32_e32 v5, v7
	v_cvt_f16_f32_e32 v10, v6
	;; [unrolled: 1-line block ×3, first 2 shown]
	v_pack_b32_f16 v5, v10, v5
	v_pack_b32_f16 v4, v11, v4
	buffer_store_dwordx2 v[4:5], v14, s[28:31], 0 offen glc slc
	;;#ASMSTART
	s_nop 0
	;;#ASMEND
.LBB251_10:
	s_or_b64 exec, exec, s[14:15]
	s_mov_b32 s18, s16
.LBB251_11:
	v_mul_f32_e32 v4, v3, v3
	v_fmac_f32_e32 v4, v2, v2
	v_fmac_f32_e32 v4, v6, v6
	;; [unrolled: 1-line block ×3, first 2 shown]
	s_load_dwordx2 s[14:15], s[4:5], 0x18
	s_nop 0
	v_mov_b32_dpp v5, v4 quad_perm:[1,0,3,2] row_mask:0xf bank_mask:0xf
	v_add_f32_e32 v4, v4, v5
	s_nop 1
	v_mov_b32_dpp v5, v4 quad_perm:[2,3,0,1] row_mask:0xf bank_mask:0xf
	v_add_f32_e32 v4, v4, v5
	s_nop 1
	v_mov_b32_dpp v5, v4 row_half_mirror row_mask:0xf bank_mask:0xf
	v_add_f32_e32 v4, v4, v5
	s_nop 1
	v_mov_b32_dpp v5, v4 row_mirror row_mask:0xf bank_mask:0xf
	v_add_f32_e32 v4, v4, v5
	s_nop 1
	v_mov_b32_dpp v5, v4 row_bcast:15 row_mask:0xf bank_mask:0xf
	v_add_f32_e32 v4, v4, v5
	s_nop 1
	v_mov_b32_dpp v5, v4 row_bcast:31 row_mask:0xf bank_mask:0xf
	v_add_f32_e32 v5, v4, v5
	v_mbcnt_lo_u32_b32 v4, -1, 0
	v_mbcnt_hi_u32_b32 v4, -1, v4
	v_lshlrev_b32_e32 v4, 2, v4
	s_waitcnt vmcnt(1)
	v_or_b32_e32 v10, 0xfc, v4
	ds_bpermute_b32 v5, v10, v5
	s_and_saveexec_b64 s[26:27], s[0:1]
	s_cbranch_execnz .LBB251_16
; %bb.12:
	s_or_b64 exec, exec, s[26:27]
	s_mov_b64 s[26:27], -1
	s_and_b64 vcc, exec, s[2:3]
	s_cbranch_vccnz .LBB251_17
.LBB251_13:
	s_andn2_b64 vcc, exec, s[26:27]
	s_cbranch_vccz .LBB251_20
.LBB251_14:
	s_cmp_lt_i32 s20, 1
	s_cbranch_scc0 .LBB251_29
.LBB251_15:
	s_endpgm
.LBB251_16:
	v_cvt_f32_u32_e32 v11, s7
	s_mov_b32 s7, 0x800000
	s_waitcnt lgkmcnt(0)
	v_div_scale_f32 v12, s[28:29], v11, v11, v5
	v_rcp_f32_e32 v13, v12
	v_div_scale_f32 v14, vcc, v5, v11, v5
	v_fma_f32 v15, -v12, v13, 1.0
	v_fmac_f32_e32 v13, v15, v13
	v_mul_f32_e32 v15, v14, v13
	v_fma_f32 v16, -v12, v15, v14
	v_fmac_f32_e32 v15, v16, v13
	v_fma_f32 v12, -v12, v15, v14
	v_div_fmas_f32 v12, v12, v13, v15
	v_div_fixup_f32 v5, v12, v11, v5
	v_add_f32_e32 v5, s18, v5
	v_mul_f32_e32 v11, 0x4b800000, v5
	v_cmp_gt_f32_e32 vcc, s7, v5
	v_cndmask_b32_e32 v5, v5, v11, vcc
	v_rsq_f32_e32 v5, v5
	s_waitcnt vmcnt(0)
	v_cvt_f32_f16_sdwa v13, v8 dst_sel:DWORD dst_unused:UNUSED_PAD src0_sel:WORD_1
	v_cvt_f32_f16_e32 v12, v8
	v_cvt_f32_f16_sdwa v15, v9 dst_sel:DWORD dst_unused:UNUSED_PAD src0_sel:WORD_1
	v_mul_f32_e32 v8, 0x45800000, v5
	v_cndmask_b32_e32 v16, v5, v8, vcc
	v_mov_b32_e32 v17, v16
	;;#ASMSTART
	v_pk_mul_f32 v[2:3], v[2:3], v[16:17]
	;;#ASMEND
	;;#ASMSTART
	v_pk_mul_f32 v[6:7], v[6:7], v[16:17]
	;;#ASMEND
	v_cvt_f32_f16_e32 v14, v9
	;;#ASMSTART
	v_pk_mul_f32 v[2:3], v[2:3], v[12:13]
	;;#ASMEND
	;;#ASMSTART
	v_pk_mul_f32 v[6:7], v[6:7], v[14:15]
	;;#ASMEND
	s_or_b64 exec, exec, s[26:27]
	s_mov_b64 s[26:27], -1
	s_and_b64 vcc, exec, s[2:3]
	s_cbranch_vccz .LBB251_13
.LBB251_17:
	s_and_saveexec_b64 s[2:3], s[0:1]
	s_cbranch_execz .LBB251_19
; %bb.18:
	s_mul_hi_i32 s27, s12, s6
	s_mul_i32 s26, s12, s6
	s_waitcnt lgkmcnt(0)
	v_cvt_f16_f32_e32 v5, v2
	s_waitcnt vmcnt(0)
	v_cvt_f16_f32_e32 v8, v6
	v_cvt_f16_f32_e32 v9, v7
	;; [unrolled: 1-line block ×3, first 2 shown]
	s_lshl_b64 s[26:27], s[26:27], 1
	s_add_u32 s28, s14, s26
	s_addc_u32 s7, s15, s27
	s_and_b32 s29, s7, 0xffff
	s_mov_b32 s31, 0x20000
	v_pack_b32_f16 v9, v8, v9
	v_pack_b32_f16 v8, v5, v11
	v_lshlrev_b32_e32 v5, 3, v0
	buffer_store_dwordx2 v[8:9], v5, s[28:31], 0 offen
	;;#ASMSTART
	s_nop 0
	;;#ASMEND
.LBB251_19:
	s_or_b64 exec, exec, s[2:3]
	s_cbranch_execnz .LBB251_14
.LBB251_20:
	s_waitcnt lgkmcnt(0)
	v_mov_b32_e32 v5, 0
	s_and_saveexec_b64 s[2:3], s[0:1]
	s_cbranch_execz .LBB251_22
; %bb.21:
	s_load_dwordx2 s[26:27], s[4:5], 0x10
	s_mul_hi_i32 s29, s11, s6
	s_mul_i32 s28, s11, s6
	v_cvt_f16_f32_e32 v5, v2
	s_waitcnt vmcnt(0)
	v_cvt_f16_f32_e32 v8, v6
	v_cvt_f16_f32_e32 v9, v7
	;; [unrolled: 1-line block ×3, first 2 shown]
	s_lshl_b64 s[28:29], s[28:29], 1
	s_waitcnt lgkmcnt(0)
	s_add_u32 s28, s26, s28
	s_addc_u32 s7, s27, s29
	s_and_b32 s29, s7, 0xffff
	s_mov_b32 s31, 0x20000
	v_pack_b32_f16 v9, v8, v9
	v_pack_b32_f16 v8, v5, v11
	v_lshlrev_b32_e32 v5, 3, v0
	buffer_store_dwordx2 v[8:9], v5, s[28:31], 0 offen
	v_mov_b32_e32 v5, 0x2edbe6ff
	;;#ASMSTART
	s_nop 0
	;;#ASMEND
.LBB251_22:
	s_or_b64 exec, exec, s[2:3]
	s_and_saveexec_b64 s[2:3], s[0:1]
	s_cbranch_execz .LBB251_24
; %bb.23:
	s_waitcnt vmcnt(0)
	v_and_b32_e32 v8, 0x7fffffff, v2
	v_and_b32_e32 v9, 0x7fffffff, v3
	;;#ASMSTART
	v_max3_f32 v5, v5, v8, v9

	;;#ASMEND
	v_and_b32_e32 v8, 0x7fffffff, v6
	v_and_b32_e32 v9, 0x7fffffff, v7
	;;#ASMSTART
	v_max3_f32 v5, v5, v8, v9

	;;#ASMEND
.LBB251_24:
	s_or_b64 exec, exec, s[2:3]
	s_waitcnt vmcnt(0)
	;;#ASMSTART
	v_max_f32 v8, v5, v5 quad_perm:[1,0,3,2] row_mask:0xf bank_mask:0xf bound_ctrl:1
	;;#ASMEND
	;;#ASMSTART
	v_max_f32 v5, v8, v8 quad_perm:[2,3,0,1] row_mask:0xf bank_mask:0xf bound_ctrl:1
	;;#ASMEND
	;;#ASMSTART
	v_max_f32 v8, v5, v5 row_half_mirror row_mask:0xf bank_mask:0xf bound_ctrl:1
	;;#ASMEND
	;;#ASMSTART
	v_max_f32 v5, v8, v8 row_mirror row_mask:0xf bank_mask:0xf bound_ctrl:1
	;;#ASMEND
	;;#ASMSTART
	v_max_f32 v8, v5, v5 row_ror:4 row_mask:0xf bank_mask:0xf bound_ctrl:1
	;;#ASMEND
	v_or_b32_e32 v4, 0x7c, v4
	;;#ASMSTART
	v_max_f32 v5, v8, v8 row_ror:8 row_mask:0xf bank_mask:0xf bound_ctrl:1
	;;#ASMEND
	;;#ASMSTART
	v_max_f32 v8, v5, v5 row_bcast:15 row_mask:0xa bank_mask:0xf bound_ctrl:1
	;;#ASMEND
	ds_bpermute_b32 v4, v4, v8
	v_and_b32_e32 v5, 31, v0
	v_cmp_gt_i32_e32 vcc, s19, v1
	v_cmp_eq_u32_e64 s[2:3], 0, v5
	s_and_b64 s[26:27], s[2:3], vcc
	s_waitcnt lgkmcnt(0)
	v_mul_f32_e32 v4, 0x3b124925, v4
	s_and_saveexec_b64 s[2:3], s[26:27]
	s_cbranch_execz .LBB251_26
; %bb.25:
	s_load_dwordx2 s[26:27], s[4:5], 0x8
	v_lshrrev_b32_e32 v5, 5, v0
	s_mul_hi_i32 s29, s9, s6
	s_mul_i32 s28, s9, s6
	v_mad_i64_i32 v[8:9], s[10:11], s10, v5, 0
	s_lshl_b64 s[10:11], s[28:29], 2
	s_waitcnt lgkmcnt(0)
	s_add_u32 s7, s26, s10
	s_addc_u32 s9, s27, s11
	v_lshlrev_b64 v[8:9], 2, v[8:9]
	v_mov_b32_e32 v5, s9
	v_add_co_u32_e32 v8, vcc, s7, v8
	v_addc_co_u32_e32 v9, vcc, v5, v9, vcc
	global_store_dword v[8:9], v4, off
.LBB251_26:
	s_or_b64 exec, exec, s[2:3]
	;;#ASMSTART
	v_rcp_f32 v4, v4
	;;#ASMEND
	s_and_saveexec_b64 s[2:3], s[0:1]
	s_cbranch_execz .LBB251_28
; %bb.27:
	s_load_dwordx2 s[0:1], s[4:5], 0x0
	s_mul_hi_i32 s7, s8, s6
	s_mul_i32 s8, s8, s6
	v_mov_b32_e32 v5, v4
	;;#ASMSTART
	v_pk_mul_f32 v[2:3], v[2:3], v[4:5]
	;;#ASMEND
	s_waitcnt lgkmcnt(0)
	s_add_u32 s8, s0, s8
	s_addc_u32 s0, s1, s7
	s_add_i32 s1, s19, 3
	s_ashr_i32 s7, s1, 31
	v_mov_b32_e32 v8, 0xc3e00000
	v_mov_b32_e32 v9, 0x43e00000
	;;#ASMSTART
	v_med3_f32 v2, v2, v8, v9
v_med3_f32 v3, v3, v8, v9
v_cvt_pk_fp8_f32 v11, v2, v3
	;;#ASMEND
	s_and_b32 s9, s0, 0xffff
	s_lshr_b32 s0, s7, 30
	;;#ASMSTART
	v_pk_mul_f32 v[2:3], v[6:7], v[4:5]
	;;#ASMEND
	s_add_i32 s1, s1, s0
	;;#ASMSTART
	v_med3_f32 v2, v2, v8, v9
v_med3_f32 v3, v3, v8, v9
v_cvt_pk_fp8_f32 v4, v2, v3
	;;#ASMEND
	s_mov_b32 s0, 0x5040100
	s_and_b32 s10, s1, -4
	s_mov_b32 s11, 0x20000
	v_perm_b32 v2, v4, v11, s0
	buffer_store_dword v2, v1, s[8:11], 0 offen
	;;#ASMSTART
	s_nop 0
	;;#ASMEND
.LBB251_28:
	s_or_b64 exec, exec, s[2:3]
	s_cmp_lt_i32 s20, 1
	s_cbranch_scc1 .LBB251_15
.LBB251_29:
	s_load_dword s0, s[4:5], 0x94
	s_waitcnt lgkmcnt(0)
	s_cmp_lg_u32 s0, 1
	s_cbranch_scc1 .LBB251_15
; %bb.30:
	s_lshl_b32 s0, s20, 1
	s_add_i32 s0, s0, 2
	v_cmp_gt_u32_e32 vcc, s20, v1
	s_and_b32 s26, s0, -4
	v_mov_b32_e32 v2, 0
	v_lshlrev_b32_e32 v6, 3, v0
	v_mov_b32_e32 v3, 0
	v_mov_b32_e32 v0, 0
	;; [unrolled: 1-line block ×3, first 2 shown]
	s_barrier
	s_and_saveexec_b64 s[0:1], vcc
	s_cbranch_execz .LBB251_32
; %bb.31:
	s_mul_hi_i32 s3, s22, s6
	s_mul_i32 s2, s22, s6
	s_and_b32 s25, s25, 0xffff
	s_lshl_b64 s[2:3], s[2:3], 1
	s_add_u32 s8, s34, s2
	s_mov_b32 s27, 0x20000
	s_addc_u32 s2, s35, s3
	s_and_b32 s9, s2, 0xffff
	s_mov_b32 s10, s26
	s_mov_b32 s11, s27
	buffer_load_dwordx2 v[2:3], v6, s[8:11], 0 offen glc slc
	buffer_load_dwordx2 v[0:1], v6, s[24:27], 0 offen
.LBB251_32:
	s_or_b64 exec, exec, s[0:1]
	s_waitcnt vmcnt(1)
	v_cvt_f32_f16_e32 v4, v3
	v_cvt_f32_f16_e32 v5, v2
	v_cvt_f32_f16_sdwa v7, v2 dst_sel:DWORD dst_unused:UNUSED_PAD src0_sel:WORD_1
	v_cvt_f32_f16_sdwa v3, v3 dst_sel:DWORD dst_unused:UNUSED_PAD src0_sel:WORD_1
	v_cndmask_b32_e32 v2, 0, v4, vcc
	v_cndmask_b32_e32 v4, 0, v5, vcc
	;; [unrolled: 1-line block ×3, first 2 shown]
	v_mul_f32_e32 v7, v5, v5
	v_fmac_f32_e32 v7, v4, v4
	v_cndmask_b32_e32 v3, 0, v3, vcc
	v_fmac_f32_e32 v7, v2, v2
	v_fmac_f32_e32 v7, v3, v3
	s_waitcnt vmcnt(0)
	s_nop 0
	v_mov_b32_dpp v8, v7 quad_perm:[1,0,3,2] row_mask:0xf bank_mask:0xf
	v_add_f32_e32 v7, v7, v8
	s_nop 1
	v_mov_b32_dpp v8, v7 quad_perm:[2,3,0,1] row_mask:0xf bank_mask:0xf
	v_add_f32_e32 v7, v7, v8
	s_nop 1
	v_mov_b32_dpp v8, v7 row_half_mirror row_mask:0xf bank_mask:0xf
	v_add_f32_e32 v7, v7, v8
	s_nop 1
	v_mov_b32_dpp v8, v7 row_mirror row_mask:0xf bank_mask:0xf
	v_add_f32_e32 v7, v7, v8
	s_nop 1
	v_mov_b32_dpp v8, v7 row_bcast:15 row_mask:0xf bank_mask:0xf
	v_add_f32_e32 v7, v7, v8
	s_nop 1
	v_mov_b32_dpp v8, v7 row_bcast:31 row_mask:0xf bank_mask:0xf
	v_add_f32_e32 v7, v7, v8
	ds_bpermute_b32 v7, v10, v7
	s_and_saveexec_b64 s[0:1], vcc
	s_cbranch_execz .LBB251_15
; %bb.33:
	v_cvt_f32_u32_e32 v8, s20
	s_mov_b32 s27, 0x20000
	s_waitcnt lgkmcnt(0)
	v_div_scale_f32 v9, s[0:1], v8, v8, v7
	v_rcp_f32_e32 v10, v9
	v_div_scale_f32 v11, vcc, v7, v8, v7
	s_mov_b32 s0, 0x800000
	v_fma_f32 v12, -v9, v10, 1.0
	v_fmac_f32_e32 v10, v12, v10
	v_mul_f32_e32 v12, v11, v10
	v_fma_f32 v13, -v9, v12, v11
	v_fmac_f32_e32 v12, v13, v10
	v_fma_f32 v9, -v9, v12, v11
	v_div_fmas_f32 v9, v9, v10, v12
	v_div_fixup_f32 v7, v9, v8, v7
	v_add_f32_e32 v7, s17, v7
	v_mul_f32_e32 v8, 0x4b800000, v7
	v_cmp_gt_f32_e32 vcc, s0, v7
	v_cndmask_b32_e32 v7, v7, v8, vcc
	v_rsq_f32_e32 v7, v7
	v_cvt_f32_f16_sdwa v9, v0 dst_sel:DWORD dst_unused:UNUSED_PAD src0_sel:WORD_1
	v_cvt_f32_f16_e32 v8, v0
	v_cvt_f32_f16_sdwa v11, v1 dst_sel:DWORD dst_unused:UNUSED_PAD src0_sel:WORD_1
	v_mul_f32_e32 v0, 0x45800000, v7
	v_cndmask_b32_e32 v12, v7, v0, vcc
	v_mov_b32_e32 v13, v12
	v_cvt_f32_f16_e32 v10, v1
	;;#ASMSTART
	v_pk_mul_f32 v[0:1], v[4:5], v[12:13]
	;;#ASMEND
	;;#ASMSTART
	v_pk_mul_f32 v[2:3], v[2:3], v[12:13]
	;;#ASMEND
	;; [unrolled: 3-line block ×4, first 2 shown]
	s_mul_hi_i32 s1, s12, s6
	s_mul_i32 s0, s12, s6
	v_cvt_f16_f32_e32 v0, v0
	v_cvt_f16_f32_e32 v1, v1
	;; [unrolled: 1-line block ×4, first 2 shown]
	s_lshl_b64 s[0:1], s[0:1], 1
	s_add_u32 s24, s14, s0
	s_addc_u32 s0, s15, s1
	s_and_b32 s25, s0, 0xffff
	v_pack_b32_f16 v0, v0, v1
	v_pack_b32_f16 v1, v2, v3
	buffer_store_dwordx2 v[0:1], v6, s[24:27], 0 offen
	;;#ASMSTART
	s_nop 0
	;;#ASMEND
	s_endpgm
	.section	.rodata,"a",@progbits
	.p2align	6, 0x0
	.amdhsa_kernel _ZN5aiter35fused_qk_rmsnorm_group_quant_kernelIDF16_DB8_Li64ELi4ELi32ELb1ELb1ELb0ELb0ELb0ELb0EEEvPT0_PvPT_S6_S6_PKS5_S8_S8_S8_S8_ffiiiiiiiiiiiii
		.amdhsa_group_segment_fixed_size 0
		.amdhsa_private_segment_fixed_size 0
		.amdhsa_kernarg_size 400
		.amdhsa_user_sgpr_count 6
		.amdhsa_user_sgpr_private_segment_buffer 1
		.amdhsa_user_sgpr_dispatch_ptr 0
		.amdhsa_user_sgpr_queue_ptr 0
		.amdhsa_user_sgpr_kernarg_segment_ptr 1
		.amdhsa_user_sgpr_dispatch_id 0
		.amdhsa_user_sgpr_flat_scratch_init 0
		.amdhsa_user_sgpr_kernarg_preload_length 0
		.amdhsa_user_sgpr_kernarg_preload_offset 0
		.amdhsa_user_sgpr_private_segment_size 0
		.amdhsa_uses_dynamic_stack 0
		.amdhsa_system_sgpr_private_segment_wavefront_offset 0
		.amdhsa_system_sgpr_workgroup_id_x 1
		.amdhsa_system_sgpr_workgroup_id_y 1
		.amdhsa_system_sgpr_workgroup_id_z 0
		.amdhsa_system_sgpr_workgroup_info 0
		.amdhsa_system_vgpr_workitem_id 0
		.amdhsa_next_free_vgpr 18
		.amdhsa_next_free_sgpr 40
		.amdhsa_accum_offset 20
		.amdhsa_reserve_vcc 1
		.amdhsa_reserve_flat_scratch 0
		.amdhsa_float_round_mode_32 0
		.amdhsa_float_round_mode_16_64 0
		.amdhsa_float_denorm_mode_32 3
		.amdhsa_float_denorm_mode_16_64 3
		.amdhsa_dx10_clamp 1
		.amdhsa_ieee_mode 1
		.amdhsa_fp16_overflow 0
		.amdhsa_tg_split 0
		.amdhsa_exception_fp_ieee_invalid_op 0
		.amdhsa_exception_fp_denorm_src 0
		.amdhsa_exception_fp_ieee_div_zero 0
		.amdhsa_exception_fp_ieee_overflow 0
		.amdhsa_exception_fp_ieee_underflow 0
		.amdhsa_exception_fp_ieee_inexact 0
		.amdhsa_exception_int_div_zero 0
	.end_amdhsa_kernel
	.section	.text._ZN5aiter35fused_qk_rmsnorm_group_quant_kernelIDF16_DB8_Li64ELi4ELi32ELb1ELb1ELb0ELb0ELb0ELb0EEEvPT0_PvPT_S6_S6_PKS5_S8_S8_S8_S8_ffiiiiiiiiiiiii,"axG",@progbits,_ZN5aiter35fused_qk_rmsnorm_group_quant_kernelIDF16_DB8_Li64ELi4ELi32ELb1ELb1ELb0ELb0ELb0ELb0EEEvPT0_PvPT_S6_S6_PKS5_S8_S8_S8_S8_ffiiiiiiiiiiiii,comdat
.Lfunc_end251:
	.size	_ZN5aiter35fused_qk_rmsnorm_group_quant_kernelIDF16_DB8_Li64ELi4ELi32ELb1ELb1ELb0ELb0ELb0ELb0EEEvPT0_PvPT_S6_S6_PKS5_S8_S8_S8_S8_ffiiiiiiiiiiiii, .Lfunc_end251-_ZN5aiter35fused_qk_rmsnorm_group_quant_kernelIDF16_DB8_Li64ELi4ELi32ELb1ELb1ELb0ELb0ELb0ELb0EEEvPT0_PvPT_S6_S6_PKS5_S8_S8_S8_S8_ffiiiiiiiiiiiii
                                        ; -- End function
	.section	.AMDGPU.csdata,"",@progbits
; Kernel info:
; codeLenInByte = 2288
; NumSgprs: 44
; NumVgprs: 18
; NumAgprs: 0
; TotalNumVgprs: 18
; ScratchSize: 0
; MemoryBound: 0
; FloatMode: 240
; IeeeMode: 1
; LDSByteSize: 0 bytes/workgroup (compile time only)
; SGPRBlocks: 5
; VGPRBlocks: 2
; NumSGPRsForWavesPerEU: 44
; NumVGPRsForWavesPerEU: 18
; AccumOffset: 20
; Occupancy: 8
; WaveLimiterHint : 0
; COMPUTE_PGM_RSRC2:SCRATCH_EN: 0
; COMPUTE_PGM_RSRC2:USER_SGPR: 6
; COMPUTE_PGM_RSRC2:TRAP_HANDLER: 0
; COMPUTE_PGM_RSRC2:TGID_X_EN: 1
; COMPUTE_PGM_RSRC2:TGID_Y_EN: 1
; COMPUTE_PGM_RSRC2:TGID_Z_EN: 0
; COMPUTE_PGM_RSRC2:TIDIG_COMP_CNT: 0
; COMPUTE_PGM_RSRC3_GFX90A:ACCUM_OFFSET: 4
; COMPUTE_PGM_RSRC3_GFX90A:TG_SPLIT: 0
	.section	.text._ZN5aiter35fused_qk_rmsnorm_group_quant_kernelItDB8_Li64ELi4ELi32ELb1ELb1ELb0ELb0ELb0ELb0EEEvPT0_PvPT_S6_S6_PKS5_S8_S8_S8_S8_ffiiiiiiiiiiiii,"axG",@progbits,_ZN5aiter35fused_qk_rmsnorm_group_quant_kernelItDB8_Li64ELi4ELi32ELb1ELb1ELb0ELb0ELb0ELb0EEEvPT0_PvPT_S6_S6_PKS5_S8_S8_S8_S8_ffiiiiiiiiiiiii,comdat
	.protected	_ZN5aiter35fused_qk_rmsnorm_group_quant_kernelItDB8_Li64ELi4ELi32ELb1ELb1ELb0ELb0ELb0ELb0EEEvPT0_PvPT_S6_S6_PKS5_S8_S8_S8_S8_ffiiiiiiiiiiiii ; -- Begin function _ZN5aiter35fused_qk_rmsnorm_group_quant_kernelItDB8_Li64ELi4ELi32ELb1ELb1ELb0ELb0ELb0ELb0EEEvPT0_PvPT_S6_S6_PKS5_S8_S8_S8_S8_ffiiiiiiiiiiiii
	.globl	_ZN5aiter35fused_qk_rmsnorm_group_quant_kernelItDB8_Li64ELi4ELi32ELb1ELb1ELb0ELb0ELb0ELb0EEEvPT0_PvPT_S6_S6_PKS5_S8_S8_S8_S8_ffiiiiiiiiiiiii
	.p2align	8
	.type	_ZN5aiter35fused_qk_rmsnorm_group_quant_kernelItDB8_Li64ELi4ELi32ELb1ELb1ELb0ELb0ELb0ELb0EEEvPT0_PvPT_S6_S6_PKS5_S8_S8_S8_S8_ffiiiiiiiiiiiii,@function
_ZN5aiter35fused_qk_rmsnorm_group_quant_kernelItDB8_Li64ELi4ELi32ELb1ELb1ELb0ELb0ELb0ELb0EEEvPT0_PvPT_S6_S6_PKS5_S8_S8_S8_S8_ffiiiiiiiiiiiii: ; @_ZN5aiter35fused_qk_rmsnorm_group_quant_kernelItDB8_Li64ELi4ELi32ELb1ELb1ELb0ELb0ELb0ELb0EEEvPT0_PvPT_S6_S6_PKS5_S8_S8_S8_S8_ffiiiiiiiiiiiii
; %bb.0:
	s_load_dwordx8 s[16:23], s[4:5], 0x50
	s_waitcnt lgkmcnt(0)
	s_cmp_ge_i32 s6, s18
	s_cbranch_scc1 .LBB252_15
; %bb.1:
	s_cmp_lg_u32 s7, 0
	s_cselect_b64 s[2:3], -1, 0
	s_cmp_eq_u32 s7, 0
	s_cselect_b64 s[26:27], -1, 0
	s_and_b64 s[0:1], s[26:27], exec
	s_load_dwordx2 s[24:25], s[4:5], 0x48
	s_load_dwordx2 s[34:35], s[4:5], 0x30
	s_load_dwordx8 s[8:15], s[4:5], 0x70
	s_cselect_b32 s7, s19, s20
	s_add_i32 s0, s7, 1
	s_lshr_b32 s1, s0, 31
	s_add_i32 s0, s0, s1
	s_lshl_b32 s0, s0, 1
	v_lshlrev_b32_e32 v1, 2, v0
	s_and_b32 s30, s0, -4
	v_cmp_gt_i32_e64 s[0:1], s7, v1
	v_mov_b32_e32 v6, 0
	v_mov_b32_e32 v7, 0
	;; [unrolled: 1-line block ×4, first 2 shown]
	s_waitcnt lgkmcnt(0)
	s_and_saveexec_b64 s[14:15], s[0:1]
	s_cbranch_execz .LBB252_3
; %bb.2:
	s_load_dwordx2 s[28:29], s[4:5], 0x28
	s_load_dwordx2 s[38:39], s[4:5], 0x40
	s_and_b64 s[36:37], s[26:27], exec
	s_cselect_b32 s18, s21, s22
	v_lshlrev_b32_e32 v2, 3, v0
	s_waitcnt lgkmcnt(0)
	s_cselect_b32 s21, s29, s35
	s_cselect_b32 s31, s28, s34
	s_mul_hi_i32 s29, s18, s6
	s_mul_i32 s28, s18, s6
	s_lshl_b64 s[28:29], s[28:29], 1
	s_add_u32 s36, s31, s28
	s_addc_u32 s18, s21, s29
	s_and_b64 s[26:27], s[26:27], exec
	s_mov_b32 s31, 0x20000
	s_cselect_b32 s28, s38, s24
	s_cselect_b32 s21, s39, s25
	s_and_b32 s37, s18, 0xffff
	s_mov_b32 s38, s30
	s_mov_b32 s39, s31
	s_and_b32 s29, s21, 0xffff
	buffer_load_dwordx2 v[8:9], v2, s[36:39], 0 offen glc slc
	buffer_load_dwordx2 v[6:7], v2, s[28:31], 0 offen
.LBB252_3:
	s_or_b64 exec, exec, s[14:15]
	s_and_b64 vcc, exec, s[2:3]
	s_cbranch_vccz .LBB252_7
; %bb.4:
	s_mov_b32 s36, 0
	s_mov_b32 s37, s36
	s_mov_b32 s38, s36
	s_mov_b32 s39, s36
	v_pk_mov_b32 v[2:3], s[36:37], s[36:37] op_sel:[0,1]
	v_pk_mov_b32 v[4:5], s[38:39], s[38:39] op_sel:[0,1]
	s_and_saveexec_b64 s[14:15], s[0:1]
	s_cbranch_execz .LBB252_6
; %bb.5:
	s_waitcnt vmcnt(1)
	v_cvt_f32_u32_sdwa v3, v8 dst_sel:DWORD dst_unused:UNUSED_PAD src0_sel:WORD_1
	v_cvt_f32_u32_sdwa v2, v8 dst_sel:DWORD dst_unused:UNUSED_PAD src0_sel:WORD_0
	v_cvt_f32_u32_sdwa v5, v9 dst_sel:DWORD dst_unused:UNUSED_PAD src0_sel:WORD_1
	v_cvt_f32_u32_sdwa v4, v9 dst_sel:DWORD dst_unused:UNUSED_PAD src0_sel:WORD_0
.LBB252_6:
	s_or_b64 exec, exec, s[14:15]
	s_mov_b32 s18, s17
	s_cbranch_execz .LBB252_8
	s_branch .LBB252_11
.LBB252_7:
                                        ; implicit-def: $vgpr2_vgpr3_vgpr4_vgpr5
	s_mov_b32 s18, s17
.LBB252_8:
	s_mov_b32 s36, 0
	s_mov_b32 s37, s36
	;; [unrolled: 1-line block ×4, first 2 shown]
	v_pk_mov_b32 v[2:3], s[36:37], s[36:37] op_sel:[0,1]
	v_pk_mov_b32 v[4:5], s[38:39], s[38:39] op_sel:[0,1]
	s_and_saveexec_b64 s[14:15], s[0:1]
	s_cbranch_execz .LBB252_10
; %bb.9:
	s_load_dwordx2 s[26:27], s[4:5], 0x38
	s_mul_hi_i32 s29, s23, s6
	s_mul_i32 s28, s23, s6
	s_lshl_b64 s[28:29], s[28:29], 1
	s_mov_b32 s31, 0x20000
	s_waitcnt lgkmcnt(0)
	s_add_u32 s28, s26, s28
	s_addc_u32 s18, s27, s29
	s_and_b32 s29, s18, 0xffff
	v_lshlrev_b32_e32 v14, 3, v0
	buffer_load_dwordx2 v[2:3], v14, s[28:31], 0 offen glc slc
	s_load_dwordx2 s[26:27], s[4:5], 0x20
	s_waitcnt vmcnt(2)
	v_cvt_f32_u32_sdwa v5, v8 dst_sel:DWORD dst_unused:UNUSED_PAD src0_sel:WORD_1
	v_cvt_f32_u32_sdwa v4, v8 dst_sel:DWORD dst_unused:UNUSED_PAD src0_sel:WORD_0
	v_cvt_f32_u32_sdwa v11, v9 dst_sel:DWORD dst_unused:UNUSED_PAD src0_sel:WORD_1
	v_cvt_f32_u32_sdwa v10, v9 dst_sel:DWORD dst_unused:UNUSED_PAD src0_sel:WORD_0
	s_mul_hi_i32 s29, s13, s6
	s_mul_i32 s28, s13, s6
	s_lshl_b64 s[28:29], s[28:29], 1
	s_waitcnt lgkmcnt(0)
	s_add_u32 s28, s26, s28
	s_mov_b32 s13, 0x7060302
	s_addc_u32 s18, s27, s29
	s_and_b32 s29, s18, 0xffff
	s_waitcnt vmcnt(0)
	v_cvt_f32_u32_sdwa v9, v2 dst_sel:DWORD dst_unused:UNUSED_PAD src0_sel:WORD_1
	v_cvt_f32_u32_sdwa v8, v2 dst_sel:DWORD dst_unused:UNUSED_PAD src0_sel:WORD_0
	v_cvt_f32_u32_sdwa v13, v3 dst_sel:DWORD dst_unused:UNUSED_PAD src0_sel:WORD_1
	v_cvt_f32_u32_sdwa v12, v3 dst_sel:DWORD dst_unused:UNUSED_PAD src0_sel:WORD_0
	v_pk_add_f32 v[2:3], v[4:5], v[8:9]
	v_perm_b32 v8, v3, v2, s13
	v_pk_add_f32 v[4:5], v[10:11], v[12:13]
	v_perm_b32 v9, v5, v4, s13
	buffer_store_dwordx2 v[8:9], v14, s[28:31], 0 offen glc slc
	;;#ASMSTART
	s_nop 0
	;;#ASMEND
.LBB252_10:
	s_or_b64 exec, exec, s[14:15]
	s_mov_b32 s18, s16
.LBB252_11:
	s_waitcnt vmcnt(1)
	v_mul_f32_e32 v8, v3, v3
	v_fmac_f32_e32 v8, v2, v2
	v_fmac_f32_e32 v8, v4, v4
	;; [unrolled: 1-line block ×3, first 2 shown]
	s_load_dwordx2 s[14:15], s[4:5], 0x18
	s_nop 0
	v_mov_b32_dpp v9, v8 quad_perm:[1,0,3,2] row_mask:0xf bank_mask:0xf
	v_add_f32_e32 v8, v8, v9
	s_nop 1
	v_mov_b32_dpp v9, v8 quad_perm:[2,3,0,1] row_mask:0xf bank_mask:0xf
	v_add_f32_e32 v8, v8, v9
	s_nop 1
	v_mov_b32_dpp v9, v8 row_half_mirror row_mask:0xf bank_mask:0xf
	v_add_f32_e32 v8, v8, v9
	s_nop 1
	v_mov_b32_dpp v9, v8 row_mirror row_mask:0xf bank_mask:0xf
	v_add_f32_e32 v8, v8, v9
	s_nop 1
	v_mov_b32_dpp v9, v8 row_bcast:15 row_mask:0xf bank_mask:0xf
	v_add_f32_e32 v8, v8, v9
	s_nop 1
	v_mov_b32_dpp v9, v8 row_bcast:31 row_mask:0xf bank_mask:0xf
	v_add_f32_e32 v10, v8, v9
	v_mbcnt_lo_u32_b32 v8, -1, 0
	v_mbcnt_hi_u32_b32 v8, -1, v8
	v_lshlrev_b32_e32 v9, 2, v8
	v_or_b32_e32 v8, 0xfc, v9
	ds_bpermute_b32 v10, v8, v10
	s_and_saveexec_b64 s[26:27], s[0:1]
	s_cbranch_execnz .LBB252_16
; %bb.12:
	s_or_b64 exec, exec, s[26:27]
	s_mov_b64 s[26:27], -1
	s_and_b64 vcc, exec, s[2:3]
	s_cbranch_vccnz .LBB252_17
.LBB252_13:
	s_andn2_b64 vcc, exec, s[26:27]
	s_cbranch_vccz .LBB252_20
.LBB252_14:
	s_cmp_lt_i32 s20, 1
	s_cbranch_scc0 .LBB252_29
.LBB252_15:
	s_endpgm
.LBB252_16:
	v_cvt_f32_u32_e32 v11, s7
	s_mov_b32 s7, 0x800000
	s_waitcnt lgkmcnt(0)
	v_div_scale_f32 v12, s[28:29], v11, v11, v10
	v_rcp_f32_e32 v13, v12
	v_div_scale_f32 v14, vcc, v10, v11, v10
	v_fma_f32 v15, -v12, v13, 1.0
	v_fmac_f32_e32 v13, v15, v13
	v_mul_f32_e32 v15, v14, v13
	v_fma_f32 v16, -v12, v15, v14
	v_fmac_f32_e32 v15, v16, v13
	v_fma_f32 v12, -v12, v15, v14
	v_div_fmas_f32 v12, v12, v13, v15
	v_div_fixup_f32 v10, v12, v11, v10
	v_add_f32_e32 v10, s18, v10
	v_mul_f32_e32 v11, 0x4b800000, v10
	v_cmp_gt_f32_e32 vcc, s7, v10
	v_cndmask_b32_e32 v10, v10, v11, vcc
	v_rsq_f32_e32 v12, v10
	s_waitcnt vmcnt(0)
	v_cvt_f32_u32_sdwa v11, v6 dst_sel:DWORD dst_unused:UNUSED_PAD src0_sel:WORD_1
	v_cvt_f32_u32_sdwa v10, v6 dst_sel:DWORD dst_unused:UNUSED_PAD src0_sel:WORD_0
	v_cvt_f32_u32_sdwa v13, v7 dst_sel:DWORD dst_unused:UNUSED_PAD src0_sel:WORD_1
	v_mul_f32_e32 v6, 0x45800000, v12
	v_cndmask_b32_e32 v14, v12, v6, vcc
	v_mov_b32_e32 v15, v14
	;;#ASMSTART
	v_pk_mul_f32 v[2:3], v[2:3], v[14:15]
	;;#ASMEND
	;;#ASMSTART
	v_pk_mul_f32 v[4:5], v[4:5], v[14:15]
	;;#ASMEND
	v_cvt_f32_u32_sdwa v12, v7 dst_sel:DWORD dst_unused:UNUSED_PAD src0_sel:WORD_0
	;;#ASMSTART
	v_pk_mul_f32 v[2:3], v[2:3], v[10:11]
	;;#ASMEND
	;;#ASMSTART
	v_pk_mul_f32 v[4:5], v[4:5], v[12:13]
	;;#ASMEND
	s_or_b64 exec, exec, s[26:27]
	s_mov_b64 s[26:27], -1
	s_and_b64 vcc, exec, s[2:3]
	s_cbranch_vccz .LBB252_13
.LBB252_17:
	s_and_saveexec_b64 s[2:3], s[0:1]
	s_cbranch_execz .LBB252_19
; %bb.18:
	s_mul_hi_i32 s27, s12, s6
	s_mul_i32 s26, s12, s6
	s_lshl_b64 s[26:27], s[26:27], 1
	s_waitcnt lgkmcnt(0)
	s_add_u32 s28, s14, s26
	s_addc_u32 s7, s15, s27
	s_and_b32 s29, s7, 0xffff
	s_mov_b32 s7, 0x7060302
	s_mov_b32 s31, 0x20000
	s_waitcnt vmcnt(0)
	v_perm_b32 v6, v3, v2, s7
	v_perm_b32 v7, v5, v4, s7
	v_lshlrev_b32_e32 v10, 3, v0
	buffer_store_dwordx2 v[6:7], v10, s[28:31], 0 offen
	;;#ASMSTART
	s_nop 0
	;;#ASMEND
.LBB252_19:
	s_or_b64 exec, exec, s[2:3]
	s_cbranch_execnz .LBB252_14
.LBB252_20:
	s_waitcnt vmcnt(0)
	v_mov_b32_e32 v6, 0
	s_and_saveexec_b64 s[2:3], s[0:1]
	s_cbranch_execz .LBB252_22
; %bb.21:
	s_load_dwordx2 s[26:27], s[4:5], 0x10
	s_mul_hi_i32 s29, s11, s6
	s_mul_i32 s28, s11, s6
	s_lshl_b64 s[28:29], s[28:29], 1
	s_mov_b32 s31, 0x20000
	s_waitcnt lgkmcnt(0)
	s_add_u32 s28, s26, s28
	s_addc_u32 s7, s27, s29
	s_and_b32 s29, s7, 0xffff
	s_mov_b32 s7, 0x7060302
	v_perm_b32 v6, v3, v2, s7
	v_perm_b32 v7, v5, v4, s7
	v_lshlrev_b32_e32 v10, 3, v0
	buffer_store_dwordx2 v[6:7], v10, s[28:31], 0 offen
	v_mov_b32_e32 v6, 0x2edbe6ff
	;;#ASMSTART
	s_nop 0
	;;#ASMEND
.LBB252_22:
	s_or_b64 exec, exec, s[2:3]
	s_and_saveexec_b64 s[2:3], s[0:1]
	s_cbranch_execz .LBB252_24
; %bb.23:
	v_and_b32_e32 v7, 0x7fffffff, v2
	s_waitcnt lgkmcnt(0)
	v_and_b32_e32 v10, 0x7fffffff, v3
	;;#ASMSTART
	v_max3_f32 v6, v6, v7, v10

	;;#ASMEND
	v_and_b32_e32 v7, 0x7fffffff, v4
	v_and_b32_e32 v10, 0x7fffffff, v5
	;;#ASMSTART
	v_max3_f32 v6, v6, v7, v10

	;;#ASMEND
.LBB252_24:
	s_or_b64 exec, exec, s[2:3]
	;;#ASMSTART
	v_max_f32 v7, v6, v6 quad_perm:[1,0,3,2] row_mask:0xf bank_mask:0xf bound_ctrl:1
	;;#ASMEND
	;;#ASMSTART
	v_max_f32 v6, v7, v7 quad_perm:[2,3,0,1] row_mask:0xf bank_mask:0xf bound_ctrl:1
	;;#ASMEND
	;;#ASMSTART
	v_max_f32 v7, v6, v6 row_half_mirror row_mask:0xf bank_mask:0xf bound_ctrl:1
	;;#ASMEND
	;;#ASMSTART
	v_max_f32 v6, v7, v7 row_mirror row_mask:0xf bank_mask:0xf bound_ctrl:1
	;;#ASMEND
	;;#ASMSTART
	v_max_f32 v7, v6, v6 row_ror:4 row_mask:0xf bank_mask:0xf bound_ctrl:1
	;;#ASMEND
	;;#ASMSTART
	v_max_f32 v6, v7, v7 row_ror:8 row_mask:0xf bank_mask:0xf bound_ctrl:1
	;;#ASMEND
	;;#ASMSTART
	v_max_f32 v7, v6, v6 row_bcast:15 row_mask:0xa bank_mask:0xf bound_ctrl:1
	;;#ASMEND
	v_or_b32_e32 v6, 0x7c, v9
	ds_bpermute_b32 v6, v6, v7
	v_and_b32_e32 v7, 31, v0
	v_cmp_gt_i32_e32 vcc, s19, v1
	v_cmp_eq_u32_e64 s[2:3], 0, v7
	s_and_b64 s[26:27], s[2:3], vcc
	s_waitcnt lgkmcnt(0)
	v_mul_f32_e32 v6, 0x3b124925, v6
	s_and_saveexec_b64 s[2:3], s[26:27]
	s_cbranch_execz .LBB252_26
; %bb.25:
	s_load_dwordx2 s[26:27], s[4:5], 0x8
	v_lshrrev_b32_e32 v7, 5, v0
	s_mul_hi_i32 s29, s9, s6
	s_mul_i32 s28, s9, s6
	v_mad_i64_i32 v[10:11], s[10:11], s10, v7, 0
	s_lshl_b64 s[10:11], s[28:29], 2
	s_waitcnt lgkmcnt(0)
	s_add_u32 s7, s26, s10
	s_addc_u32 s9, s27, s11
	v_lshlrev_b64 v[10:11], 2, v[10:11]
	v_mov_b32_e32 v7, s9
	v_add_co_u32_e32 v10, vcc, s7, v10
	v_addc_co_u32_e32 v11, vcc, v7, v11, vcc
	global_store_dword v[10:11], v6, off
.LBB252_26:
	s_or_b64 exec, exec, s[2:3]
	;;#ASMSTART
	v_rcp_f32 v6, v6
	;;#ASMEND
	s_and_saveexec_b64 s[2:3], s[0:1]
	s_cbranch_execz .LBB252_28
; %bb.27:
	s_load_dwordx2 s[0:1], s[4:5], 0x0
	s_mul_hi_i32 s7, s8, s6
	s_mul_i32 s8, s8, s6
	v_mov_b32_e32 v7, v6
	;;#ASMSTART
	v_pk_mul_f32 v[2:3], v[2:3], v[6:7]
	;;#ASMEND
	s_waitcnt lgkmcnt(0)
	s_add_u32 s8, s0, s8
	s_addc_u32 s0, s1, s7
	s_add_i32 s1, s19, 3
	s_ashr_i32 s7, s1, 31
	v_mov_b32_e32 v9, 0xc3e00000
	v_mov_b32_e32 v10, 0x43e00000
	;;#ASMSTART
	v_med3_f32 v2, v2, v9, v10
v_med3_f32 v3, v3, v9, v10
v_cvt_pk_fp8_f32 v11, v2, v3
	;;#ASMEND
	s_and_b32 s9, s0, 0xffff
	s_lshr_b32 s0, s7, 30
	;;#ASMSTART
	v_pk_mul_f32 v[2:3], v[4:5], v[6:7]
	;;#ASMEND
	s_add_i32 s1, s1, s0
	;;#ASMSTART
	v_med3_f32 v2, v2, v9, v10
v_med3_f32 v3, v3, v9, v10
v_cvt_pk_fp8_f32 v4, v2, v3
	;;#ASMEND
	s_mov_b32 s0, 0x5040100
	s_and_b32 s10, s1, -4
	s_mov_b32 s11, 0x20000
	v_perm_b32 v2, v4, v11, s0
	buffer_store_dword v2, v1, s[8:11], 0 offen
	;;#ASMSTART
	s_nop 0
	;;#ASMEND
.LBB252_28:
	s_or_b64 exec, exec, s[2:3]
	s_cmp_lt_i32 s20, 1
	s_cbranch_scc1 .LBB252_15
.LBB252_29:
	s_load_dword s0, s[4:5], 0x94
	s_waitcnt lgkmcnt(0)
	s_cmp_lg_u32 s0, 1
	s_cbranch_scc1 .LBB252_15
; %bb.30:
	s_lshl_b32 s0, s20, 1
	s_add_i32 s0, s0, 2
	v_cmp_gt_u32_e32 vcc, s20, v1
	s_and_b32 s26, s0, -4
	v_mov_b32_e32 v2, 0
	s_waitcnt vmcnt(0)
	v_lshlrev_b32_e32 v6, 3, v0
	v_mov_b32_e32 v3, 0
	v_mov_b32_e32 v0, 0
	;; [unrolled: 1-line block ×3, first 2 shown]
	s_barrier
	s_and_saveexec_b64 s[0:1], vcc
	s_cbranch_execz .LBB252_32
; %bb.31:
	s_mul_hi_i32 s3, s22, s6
	s_mul_i32 s2, s22, s6
	s_and_b32 s25, s25, 0xffff
	s_lshl_b64 s[2:3], s[2:3], 1
	s_add_u32 s8, s34, s2
	s_mov_b32 s27, 0x20000
	s_addc_u32 s2, s35, s3
	s_and_b32 s9, s2, 0xffff
	s_mov_b32 s10, s26
	s_mov_b32 s11, s27
	buffer_load_dwordx2 v[2:3], v6, s[8:11], 0 offen glc slc
	buffer_load_dwordx2 v[0:1], v6, s[24:27], 0 offen
.LBB252_32:
	s_or_b64 exec, exec, s[0:1]
	s_waitcnt vmcnt(1)
	v_cvt_f32_u32_sdwa v5, v3 dst_sel:DWORD dst_unused:UNUSED_PAD src0_sel:WORD_0
	v_cvt_f32_u32_sdwa v7, v2 dst_sel:DWORD dst_unused:UNUSED_PAD src0_sel:WORD_1
	v_cvt_f32_u32_sdwa v4, v3 dst_sel:DWORD dst_unused:UNUSED_PAD src0_sel:WORD_1
	v_cvt_f32_u32_sdwa v9, v2 dst_sel:DWORD dst_unused:UNUSED_PAD src0_sel:WORD_0
	v_cndmask_b32_e32 v2, 0, v5, vcc
	v_cndmask_b32_e32 v5, 0, v7, vcc
	;; [unrolled: 1-line block ×4, first 2 shown]
	v_mul_f32_e32 v7, v5, v5
	v_fmac_f32_e32 v7, v4, v4
	v_fmac_f32_e32 v7, v2, v2
	;; [unrolled: 1-line block ×3, first 2 shown]
	s_nop 1
	v_mov_b32_dpp v9, v7 quad_perm:[1,0,3,2] row_mask:0xf bank_mask:0xf
	v_add_f32_e32 v7, v7, v9
	s_nop 1
	v_mov_b32_dpp v9, v7 quad_perm:[2,3,0,1] row_mask:0xf bank_mask:0xf
	v_add_f32_e32 v7, v7, v9
	s_nop 1
	v_mov_b32_dpp v9, v7 row_half_mirror row_mask:0xf bank_mask:0xf
	v_add_f32_e32 v7, v7, v9
	s_nop 1
	v_mov_b32_dpp v9, v7 row_mirror row_mask:0xf bank_mask:0xf
	v_add_f32_e32 v7, v7, v9
	s_nop 1
	v_mov_b32_dpp v9, v7 row_bcast:15 row_mask:0xf bank_mask:0xf
	v_add_f32_e32 v7, v7, v9
	s_nop 1
	v_mov_b32_dpp v9, v7 row_bcast:31 row_mask:0xf bank_mask:0xf
	v_add_f32_e32 v7, v7, v9
	ds_bpermute_b32 v7, v8, v7
	s_and_saveexec_b64 s[0:1], vcc
	s_cbranch_execz .LBB252_15
; %bb.33:
	v_cvt_f32_u32_e32 v8, s20
	s_mov_b32 s27, 0x20000
	s_waitcnt lgkmcnt(0)
	v_div_scale_f32 v9, s[0:1], v8, v8, v7
	v_rcp_f32_e32 v10, v9
	v_div_scale_f32 v11, vcc, v7, v8, v7
	s_mov_b32 s0, 0x800000
	v_fma_f32 v12, -v9, v10, 1.0
	v_fmac_f32_e32 v10, v12, v10
	v_mul_f32_e32 v12, v11, v10
	v_fma_f32 v13, -v9, v12, v11
	v_fmac_f32_e32 v12, v13, v10
	v_fma_f32 v9, -v9, v12, v11
	v_div_fmas_f32 v9, v9, v10, v12
	v_div_fixup_f32 v7, v9, v8, v7
	v_add_f32_e32 v7, s17, v7
	v_mul_f32_e32 v8, 0x4b800000, v7
	v_cmp_gt_f32_e32 vcc, s0, v7
	v_cndmask_b32_e32 v7, v7, v8, vcc
	v_rsq_f32_e32 v7, v7
	s_mul_hi_i32 s1, s12, s6
	s_mul_i32 s0, s12, s6
	s_waitcnt vmcnt(0)
	v_cvt_f32_u32_sdwa v9, v0 dst_sel:DWORD dst_unused:UNUSED_PAD src0_sel:WORD_1
	v_cvt_f32_u32_sdwa v8, v0 dst_sel:DWORD dst_unused:UNUSED_PAD src0_sel:WORD_0
	v_mul_f32_e32 v0, 0x45800000, v7
	s_lshl_b64 s[0:1], s[0:1], 1
	v_cndmask_b32_e32 v12, v7, v0, vcc
	s_add_u32 s24, s14, s0
	v_cvt_f32_u32_sdwa v11, v1 dst_sel:DWORD dst_unused:UNUSED_PAD src0_sel:WORD_1
	v_mov_b32_e32 v13, v12
	v_cvt_f32_u32_sdwa v10, v1 dst_sel:DWORD dst_unused:UNUSED_PAD src0_sel:WORD_0
	;;#ASMSTART
	v_pk_mul_f32 v[0:1], v[4:5], v[12:13]
	;;#ASMEND
	s_addc_u32 s0, s15, s1
	;;#ASMSTART
	v_pk_mul_f32 v[2:3], v[2:3], v[12:13]
	;;#ASMEND
	;;#ASMSTART
	v_pk_mul_f32 v[0:1], v[0:1], v[8:9]
	;;#ASMEND
	s_and_b32 s25, s0, 0xffff
	s_mov_b32 s0, 0x7060302
	;;#ASMSTART
	v_pk_mul_f32 v[2:3], v[2:3], v[10:11]
	;;#ASMEND
	v_perm_b32 v0, v1, v0, s0
	v_perm_b32 v1, v3, v2, s0
	buffer_store_dwordx2 v[0:1], v6, s[24:27], 0 offen
	;;#ASMSTART
	s_nop 0
	;;#ASMEND
	s_endpgm
	.section	.rodata,"a",@progbits
	.p2align	6, 0x0
	.amdhsa_kernel _ZN5aiter35fused_qk_rmsnorm_group_quant_kernelItDB8_Li64ELi4ELi32ELb1ELb1ELb0ELb0ELb0ELb0EEEvPT0_PvPT_S6_S6_PKS5_S8_S8_S8_S8_ffiiiiiiiiiiiii
		.amdhsa_group_segment_fixed_size 0
		.amdhsa_private_segment_fixed_size 0
		.amdhsa_kernarg_size 400
		.amdhsa_user_sgpr_count 6
		.amdhsa_user_sgpr_private_segment_buffer 1
		.amdhsa_user_sgpr_dispatch_ptr 0
		.amdhsa_user_sgpr_queue_ptr 0
		.amdhsa_user_sgpr_kernarg_segment_ptr 1
		.amdhsa_user_sgpr_dispatch_id 0
		.amdhsa_user_sgpr_flat_scratch_init 0
		.amdhsa_user_sgpr_kernarg_preload_length 0
		.amdhsa_user_sgpr_kernarg_preload_offset 0
		.amdhsa_user_sgpr_private_segment_size 0
		.amdhsa_uses_dynamic_stack 0
		.amdhsa_system_sgpr_private_segment_wavefront_offset 0
		.amdhsa_system_sgpr_workgroup_id_x 1
		.amdhsa_system_sgpr_workgroup_id_y 1
		.amdhsa_system_sgpr_workgroup_id_z 0
		.amdhsa_system_sgpr_workgroup_info 0
		.amdhsa_system_vgpr_workitem_id 0
		.amdhsa_next_free_vgpr 17
		.amdhsa_next_free_sgpr 40
		.amdhsa_accum_offset 20
		.amdhsa_reserve_vcc 1
		.amdhsa_reserve_flat_scratch 0
		.amdhsa_float_round_mode_32 0
		.amdhsa_float_round_mode_16_64 0
		.amdhsa_float_denorm_mode_32 3
		.amdhsa_float_denorm_mode_16_64 3
		.amdhsa_dx10_clamp 1
		.amdhsa_ieee_mode 1
		.amdhsa_fp16_overflow 0
		.amdhsa_tg_split 0
		.amdhsa_exception_fp_ieee_invalid_op 0
		.amdhsa_exception_fp_denorm_src 0
		.amdhsa_exception_fp_ieee_div_zero 0
		.amdhsa_exception_fp_ieee_overflow 0
		.amdhsa_exception_fp_ieee_underflow 0
		.amdhsa_exception_fp_ieee_inexact 0
		.amdhsa_exception_int_div_zero 0
	.end_amdhsa_kernel
	.section	.text._ZN5aiter35fused_qk_rmsnorm_group_quant_kernelItDB8_Li64ELi4ELi32ELb1ELb1ELb0ELb0ELb0ELb0EEEvPT0_PvPT_S6_S6_PKS5_S8_S8_S8_S8_ffiiiiiiiiiiiii,"axG",@progbits,_ZN5aiter35fused_qk_rmsnorm_group_quant_kernelItDB8_Li64ELi4ELi32ELb1ELb1ELb0ELb0ELb0ELb0EEEvPT0_PvPT_S6_S6_PKS5_S8_S8_S8_S8_ffiiiiiiiiiiiii,comdat
.Lfunc_end252:
	.size	_ZN5aiter35fused_qk_rmsnorm_group_quant_kernelItDB8_Li64ELi4ELi32ELb1ELb1ELb0ELb0ELb0ELb0EEEvPT0_PvPT_S6_S6_PKS5_S8_S8_S8_S8_ffiiiiiiiiiiiii, .Lfunc_end252-_ZN5aiter35fused_qk_rmsnorm_group_quant_kernelItDB8_Li64ELi4ELi32ELb1ELb1ELb0ELb0ELb0ELb0EEEvPT0_PvPT_S6_S6_PKS5_S8_S8_S8_S8_ffiiiiiiiiiiiii
                                        ; -- End function
	.section	.AMDGPU.csdata,"",@progbits
; Kernel info:
; codeLenInByte = 2332
; NumSgprs: 44
; NumVgprs: 17
; NumAgprs: 0
; TotalNumVgprs: 17
; ScratchSize: 0
; MemoryBound: 0
; FloatMode: 240
; IeeeMode: 1
; LDSByteSize: 0 bytes/workgroup (compile time only)
; SGPRBlocks: 5
; VGPRBlocks: 2
; NumSGPRsForWavesPerEU: 44
; NumVGPRsForWavesPerEU: 17
; AccumOffset: 20
; Occupancy: 8
; WaveLimiterHint : 0
; COMPUTE_PGM_RSRC2:SCRATCH_EN: 0
; COMPUTE_PGM_RSRC2:USER_SGPR: 6
; COMPUTE_PGM_RSRC2:TRAP_HANDLER: 0
; COMPUTE_PGM_RSRC2:TGID_X_EN: 1
; COMPUTE_PGM_RSRC2:TGID_Y_EN: 1
; COMPUTE_PGM_RSRC2:TGID_Z_EN: 0
; COMPUTE_PGM_RSRC2:TIDIG_COMP_CNT: 0
; COMPUTE_PGM_RSRC3_GFX90A:ACCUM_OFFSET: 4
; COMPUTE_PGM_RSRC3_GFX90A:TG_SPLIT: 0
	.section	.text._ZN5aiter35fused_qk_rmsnorm_group_quant_kernelIDF16_DB8_Li64ELi4ELi32ELb1ELb0ELb1ELb0ELb0ELb0EEEvPT0_PvPT_S6_S6_PKS5_S8_S8_S8_S8_ffiiiiiiiiiiiii,"axG",@progbits,_ZN5aiter35fused_qk_rmsnorm_group_quant_kernelIDF16_DB8_Li64ELi4ELi32ELb1ELb0ELb1ELb0ELb0ELb0EEEvPT0_PvPT_S6_S6_PKS5_S8_S8_S8_S8_ffiiiiiiiiiiiii,comdat
	.protected	_ZN5aiter35fused_qk_rmsnorm_group_quant_kernelIDF16_DB8_Li64ELi4ELi32ELb1ELb0ELb1ELb0ELb0ELb0EEEvPT0_PvPT_S6_S6_PKS5_S8_S8_S8_S8_ffiiiiiiiiiiiii ; -- Begin function _ZN5aiter35fused_qk_rmsnorm_group_quant_kernelIDF16_DB8_Li64ELi4ELi32ELb1ELb0ELb1ELb0ELb0ELb0EEEvPT0_PvPT_S6_S6_PKS5_S8_S8_S8_S8_ffiiiiiiiiiiiii
	.globl	_ZN5aiter35fused_qk_rmsnorm_group_quant_kernelIDF16_DB8_Li64ELi4ELi32ELb1ELb0ELb1ELb0ELb0ELb0EEEvPT0_PvPT_S6_S6_PKS5_S8_S8_S8_S8_ffiiiiiiiiiiiii
	.p2align	8
	.type	_ZN5aiter35fused_qk_rmsnorm_group_quant_kernelIDF16_DB8_Li64ELi4ELi32ELb1ELb0ELb1ELb0ELb0ELb0EEEvPT0_PvPT_S6_S6_PKS5_S8_S8_S8_S8_ffiiiiiiiiiiiii,@function
_ZN5aiter35fused_qk_rmsnorm_group_quant_kernelIDF16_DB8_Li64ELi4ELi32ELb1ELb0ELb1ELb0ELb0ELb0EEEvPT0_PvPT_S6_S6_PKS5_S8_S8_S8_S8_ffiiiiiiiiiiiii: ; @_ZN5aiter35fused_qk_rmsnorm_group_quant_kernelIDF16_DB8_Li64ELi4ELi32ELb1ELb0ELb1ELb0ELb0ELb0EEEvPT0_PvPT_S6_S6_PKS5_S8_S8_S8_S8_ffiiiiiiiiiiiii
; %bb.0:
	s_load_dwordx8 s[8:15], s[4:5], 0x50
	s_waitcnt lgkmcnt(0)
	s_cmp_ge_i32 s6, s10
	s_cbranch_scc1 .LBB253_15
; %bb.1:
	s_cmp_lg_u32 s7, 0
	s_cselect_b64 s[2:3], -1, 0
	s_cmp_eq_u32 s7, 0
	s_cselect_b64 s[24:25], -1, 0
	s_and_b64 s[0:1], s[24:25], exec
	s_load_dwordx2 s[16:17], s[4:5], 0x48
	s_load_dwordx2 s[30:31], s[4:5], 0x30
	s_load_dwordx4 s[20:23], s[4:5], 0x70
	s_cselect_b32 s7, s11, s12
	s_add_i32 s0, s7, 1
	s_lshr_b32 s1, s0, 31
	s_add_i32 s0, s0, s1
	s_lshl_b32 s0, s0, 1
	v_lshlrev_b32_e32 v1, 2, v0
	s_and_b32 s26, s0, -4
	v_cmp_gt_i32_e64 s[0:1], s7, v1
	v_mov_b32_e32 v8, 0
	v_mov_b32_e32 v9, 0
	;; [unrolled: 1-line block ×4, first 2 shown]
	s_and_saveexec_b64 s[18:19], s[0:1]
	s_cbranch_execz .LBB253_3
; %bb.2:
	s_load_dwordx2 s[28:29], s[4:5], 0x28
	s_load_dwordx2 s[34:35], s[4:5], 0x40
	s_and_b64 s[36:37], s[24:25], exec
	s_cselect_b32 s10, s13, s14
	s_mov_b32 s27, 0x20000
	s_waitcnt lgkmcnt(0)
	s_cselect_b32 s13, s29, s31
	s_cselect_b32 s23, s28, s30
	s_mul_hi_i32 s29, s10, s6
	s_mul_i32 s28, s10, s6
	s_lshl_b64 s[28:29], s[28:29], 1
	s_add_u32 s36, s23, s28
	s_addc_u32 s10, s13, s29
	s_and_b64 s[24:25], s[24:25], exec
	s_cselect_b32 s24, s34, s16
	s_cselect_b32 s13, s35, s17
	v_lshlrev_b32_e32 v2, 3, v0
	s_and_b32 s37, s10, 0xffff
	s_mov_b32 s38, s26
	s_mov_b32 s39, s27
	s_and_b32 s25, s13, 0xffff
	buffer_load_dwordx2 v[10:11], v2, s[36:39], 0 offen glc slc
	buffer_load_dwordx2 v[8:9], v2, s[24:27], 0 offen
.LBB253_3:
	s_or_b64 exec, exec, s[18:19]
	s_load_dwordx2 s[28:29], s[4:5], 0x80
	s_and_b64 vcc, exec, s[2:3]
	s_cbranch_vccz .LBB253_7
; %bb.4:
	v_mov_b32_e32 v7, 0
	v_mov_b32_e32 v6, 0
	;; [unrolled: 1-line block ×4, first 2 shown]
	s_and_saveexec_b64 s[18:19], s[0:1]
	s_cbranch_execz .LBB253_6
; %bb.5:
	s_waitcnt vmcnt(1)
	v_cvt_f32_f16_sdwa v3, v10 dst_sel:DWORD dst_unused:UNUSED_PAD src0_sel:WORD_1
	v_cvt_f32_f16_e32 v2, v10
	v_cvt_f32_f16_sdwa v7, v11 dst_sel:DWORD dst_unused:UNUSED_PAD src0_sel:WORD_1
	v_cvt_f32_f16_e32 v6, v11
.LBB253_6:
	s_or_b64 exec, exec, s[18:19]
	s_mov_b32 s10, s9
	s_cbranch_execz .LBB253_8
	s_branch .LBB253_11
.LBB253_7:
                                        ; implicit-def: $vgpr7
                                        ; implicit-def: $vgpr2_vgpr3_vgpr4_vgpr5
	s_mov_b32 s10, s9
.LBB253_8:
	v_mov_b32_e32 v7, 0
	v_mov_b32_e32 v6, 0
	;; [unrolled: 1-line block ×4, first 2 shown]
	s_and_saveexec_b64 s[18:19], s[0:1]
	s_cbranch_execz .LBB253_10
; %bb.9:
	s_load_dwordx2 s[24:25], s[4:5], 0x38
	s_mul_hi_i32 s35, s15, s6
	s_mul_i32 s34, s15, s6
	s_lshl_b64 s[34:35], s[34:35], 1
	s_mov_b32 s27, 0x20000
	s_waitcnt lgkmcnt(0)
	s_add_u32 s24, s24, s34
	s_addc_u32 s10, s25, s35
	s_and_b32 s25, s10, 0xffff
	v_lshlrev_b32_e32 v14, 3, v0
	buffer_load_dwordx2 v[2:3], v14, s[24:27], 0 offen glc slc
	s_waitcnt vmcnt(2)
	v_cvt_f32_f16_sdwa v5, v10 dst_sel:DWORD dst_unused:UNUSED_PAD src0_sel:WORD_1
	v_cvt_f32_f16_e32 v4, v10
	v_cvt_f32_f16_sdwa v7, v11 dst_sel:DWORD dst_unused:UNUSED_PAD src0_sel:WORD_1
	v_cvt_f32_f16_e32 v6, v11
	s_load_dwordx2 s[24:25], s[4:5], 0x20
	s_mul_hi_i32 s35, s29, s6
	s_mul_i32 s34, s29, s6
	s_lshl_b64 s[34:35], s[34:35], 1
	s_waitcnt lgkmcnt(0)
	s_add_u32 s24, s24, s34
	s_addc_u32 s10, s25, s35
	s_and_b32 s25, s10, 0xffff
	s_waitcnt vmcnt(0)
	v_cvt_f32_f16_e32 v10, v2
	v_cvt_f32_f16_sdwa v11, v2 dst_sel:DWORD dst_unused:UNUSED_PAD src0_sel:WORD_1
	v_cvt_f32_f16_e32 v12, v3
	v_cvt_f32_f16_sdwa v13, v3 dst_sel:DWORD dst_unused:UNUSED_PAD src0_sel:WORD_1
	v_pk_add_f32 v[2:3], v[4:5], v[10:11]
	v_cvt_f16_f32_e32 v4, v3
	v_pk_add_f32 v[6:7], v[6:7], v[12:13]
	v_cvt_f16_f32_e32 v5, v7
	v_cvt_f16_f32_e32 v10, v6
	v_cvt_f16_f32_e32 v11, v2
	v_pack_b32_f16 v5, v10, v5
	v_pack_b32_f16 v4, v11, v4
	buffer_store_dwordx2 v[4:5], v14, s[24:27], 0 offen glc slc
	;;#ASMSTART
	s_nop 0
	;;#ASMEND
.LBB253_10:
	s_or_b64 exec, exec, s[18:19]
	s_mov_b32 s10, s8
.LBB253_11:
	v_mul_f32_e32 v4, v3, v3
	v_fmac_f32_e32 v4, v2, v2
	v_fmac_f32_e32 v4, v6, v6
	;; [unrolled: 1-line block ×3, first 2 shown]
	s_load_dwordx2 s[34:35], s[4:5], 0x18
	s_nop 0
	v_mov_b32_dpp v5, v4 quad_perm:[1,0,3,2] row_mask:0xf bank_mask:0xf
	v_add_f32_e32 v4, v4, v5
	s_nop 1
	v_mov_b32_dpp v5, v4 quad_perm:[2,3,0,1] row_mask:0xf bank_mask:0xf
	v_add_f32_e32 v4, v4, v5
	s_nop 1
	v_mov_b32_dpp v5, v4 row_half_mirror row_mask:0xf bank_mask:0xf
	v_add_f32_e32 v4, v4, v5
	s_nop 1
	v_mov_b32_dpp v5, v4 row_mirror row_mask:0xf bank_mask:0xf
	v_add_f32_e32 v4, v4, v5
	s_nop 1
	v_mov_b32_dpp v5, v4 row_bcast:15 row_mask:0xf bank_mask:0xf
	v_add_f32_e32 v4, v4, v5
	s_nop 1
	v_mov_b32_dpp v5, v4 row_bcast:31 row_mask:0xf bank_mask:0xf
	v_add_f32_e32 v5, v4, v5
	v_mbcnt_lo_u32_b32 v4, -1, 0
	v_mbcnt_hi_u32_b32 v4, -1, v4
	v_lshlrev_b32_e32 v4, 2, v4
	s_waitcnt vmcnt(1)
	v_or_b32_e32 v10, 0xfc, v4
	ds_bpermute_b32 v5, v10, v5
	s_and_saveexec_b64 s[18:19], s[0:1]
	s_cbranch_execnz .LBB253_16
; %bb.12:
	s_or_b64 exec, exec, s[18:19]
	s_mov_b64 s[18:19], -1
	s_and_b64 vcc, exec, s[2:3]
	s_cbranch_vccnz .LBB253_17
.LBB253_13:
	s_andn2_b64 vcc, exec, s[18:19]
	s_cbranch_vccz .LBB253_20
.LBB253_14:
	s_cmp_lt_i32 s12, 1
	s_cbranch_scc0 .LBB253_27
.LBB253_15:
	s_endpgm
.LBB253_16:
	v_cvt_f32_u32_e32 v11, s7
	s_mov_b32 s7, 0x800000
	s_waitcnt lgkmcnt(0)
	v_div_scale_f32 v12, s[24:25], v11, v11, v5
	v_rcp_f32_e32 v13, v12
	v_div_scale_f32 v14, vcc, v5, v11, v5
	v_fma_f32 v15, -v12, v13, 1.0
	v_fmac_f32_e32 v13, v15, v13
	v_mul_f32_e32 v15, v14, v13
	v_fma_f32 v16, -v12, v15, v14
	v_fmac_f32_e32 v15, v16, v13
	v_fma_f32 v12, -v12, v15, v14
	v_div_fmas_f32 v12, v12, v13, v15
	v_div_fixup_f32 v5, v12, v11, v5
	v_add_f32_e32 v5, s10, v5
	v_mul_f32_e32 v11, 0x4b800000, v5
	v_cmp_gt_f32_e32 vcc, s7, v5
	v_cndmask_b32_e32 v5, v5, v11, vcc
	v_rsq_f32_e32 v5, v5
	s_waitcnt vmcnt(0)
	v_cvt_f32_f16_sdwa v13, v8 dst_sel:DWORD dst_unused:UNUSED_PAD src0_sel:WORD_1
	v_cvt_f32_f16_e32 v12, v8
	v_cvt_f32_f16_sdwa v15, v9 dst_sel:DWORD dst_unused:UNUSED_PAD src0_sel:WORD_1
	v_cvt_f32_f16_e32 v14, v9
	v_mul_f32_e32 v8, 0x45800000, v5
	v_cndmask_b32_e32 v16, v5, v8, vcc
	v_mov_b32_e32 v17, v16
	;;#ASMSTART
	v_pk_mul_f32 v[2:3], v[2:3], v[16:17]
	;;#ASMEND
	;;#ASMSTART
	v_pk_mul_f32 v[6:7], v[6:7], v[16:17]
	;;#ASMEND
	v_pk_add_f32 v[8:9], v[12:13], 1.0 op_sel_hi:[1,0]
	;;#ASMSTART
	v_pk_mul_f32 v[2:3], v[2:3], v[8:9]
	;;#ASMEND
	v_pk_add_f32 v[8:9], v[14:15], 1.0 op_sel_hi:[1,0]
	;;#ASMSTART
	v_pk_mul_f32 v[6:7], v[6:7], v[8:9]
	;;#ASMEND
	s_or_b64 exec, exec, s[18:19]
	s_mov_b64 s[18:19], -1
	s_and_b64 vcc, exec, s[2:3]
	s_cbranch_vccz .LBB253_13
.LBB253_17:
	s_and_saveexec_b64 s[2:3], s[0:1]
	s_cbranch_execz .LBB253_19
; %bb.18:
	s_waitcnt lgkmcnt(0)
	s_mul_hi_i32 s19, s28, s6
	s_mul_i32 s18, s28, s6
	v_cvt_f16_f32_e32 v5, v2
	s_waitcnt vmcnt(0)
	v_cvt_f16_f32_e32 v8, v6
	v_cvt_f16_f32_e32 v9, v7
	;; [unrolled: 1-line block ×3, first 2 shown]
	s_lshl_b64 s[18:19], s[18:19], 1
	s_add_u32 s24, s34, s18
	s_addc_u32 s7, s35, s19
	s_and_b32 s25, s7, 0xffff
	s_mov_b32 s27, 0x20000
	v_pack_b32_f16 v9, v8, v9
	v_pack_b32_f16 v8, v5, v11
	v_lshlrev_b32_e32 v5, 3, v0
	buffer_store_dwordx2 v[8:9], v5, s[24:27], 0 offen
	;;#ASMSTART
	s_nop 0
	;;#ASMEND
.LBB253_19:
	s_or_b64 exec, exec, s[2:3]
	s_cbranch_execnz .LBB253_14
.LBB253_20:
	s_waitcnt lgkmcnt(0)
	v_mov_b32_e32 v5, 0
	s_and_saveexec_b64 s[2:3], s[0:1]
	s_cbranch_execz .LBB253_22
; %bb.21:
	v_and_b32_e32 v5, 0x7fffffff, v2
	s_waitcnt vmcnt(0)
	v_and_b32_e32 v8, 0x7fffffff, v3
	v_mov_b32_e32 v9, 0x2edbe6ff
	;;#ASMSTART
	v_max3_f32 v5, v9, v5, v8

	;;#ASMEND
	v_and_b32_e32 v8, 0x7fffffff, v6
	v_and_b32_e32 v9, 0x7fffffff, v7
	;;#ASMSTART
	v_max3_f32 v5, v5, v8, v9

	;;#ASMEND
.LBB253_22:
	s_or_b64 exec, exec, s[2:3]
	s_waitcnt vmcnt(0)
	;;#ASMSTART
	v_max_f32 v8, v5, v5 quad_perm:[1,0,3,2] row_mask:0xf bank_mask:0xf bound_ctrl:1
	;;#ASMEND
	;;#ASMSTART
	v_max_f32 v5, v8, v8 quad_perm:[2,3,0,1] row_mask:0xf bank_mask:0xf bound_ctrl:1
	;;#ASMEND
	;;#ASMSTART
	v_max_f32 v8, v5, v5 row_half_mirror row_mask:0xf bank_mask:0xf bound_ctrl:1
	;;#ASMEND
	;;#ASMSTART
	v_max_f32 v5, v8, v8 row_mirror row_mask:0xf bank_mask:0xf bound_ctrl:1
	;;#ASMEND
	;;#ASMSTART
	v_max_f32 v8, v5, v5 row_ror:4 row_mask:0xf bank_mask:0xf bound_ctrl:1
	;;#ASMEND
	v_or_b32_e32 v4, 0x7c, v4
	;;#ASMSTART
	v_max_f32 v5, v8, v8 row_ror:8 row_mask:0xf bank_mask:0xf bound_ctrl:1
	;;#ASMEND
	;;#ASMSTART
	v_max_f32 v8, v5, v5 row_bcast:15 row_mask:0xa bank_mask:0xf bound_ctrl:1
	;;#ASMEND
	ds_bpermute_b32 v4, v4, v8
	v_and_b32_e32 v5, 31, v0
	v_cmp_gt_i32_e32 vcc, s11, v1
	v_cmp_eq_u32_e64 s[2:3], 0, v5
	s_and_b64 s[18:19], s[2:3], vcc
	s_waitcnt lgkmcnt(0)
	v_mul_f32_e32 v4, 0x3b124925, v4
	s_and_saveexec_b64 s[2:3], s[18:19]
	s_cbranch_execz .LBB253_24
; %bb.23:
	s_load_dwordx2 s[18:19], s[4:5], 0x8
	v_lshrrev_b32_e32 v5, 5, v0
	s_mul_hi_i32 s25, s21, s6
	s_mul_i32 s24, s21, s6
	v_mad_i64_i32 v[8:9], s[22:23], s22, v5, 0
	s_lshl_b64 s[22:23], s[24:25], 2
	s_waitcnt lgkmcnt(0)
	s_add_u32 s7, s18, s22
	s_addc_u32 s8, s19, s23
	v_lshlrev_b64 v[8:9], 2, v[8:9]
	v_mov_b32_e32 v5, s8
	v_add_co_u32_e32 v8, vcc, s7, v8
	v_addc_co_u32_e32 v9, vcc, v5, v9, vcc
	global_store_dword v[8:9], v4, off
.LBB253_24:
	s_or_b64 exec, exec, s[2:3]
	;;#ASMSTART
	v_rcp_f32 v4, v4
	;;#ASMEND
	s_and_saveexec_b64 s[2:3], s[0:1]
	s_cbranch_execz .LBB253_26
; %bb.25:
	s_load_dwordx2 s[0:1], s[4:5], 0x0
	s_mul_i32 s8, s20, s6
	s_mul_hi_i32 s7, s20, s6
	v_mov_b32_e32 v5, v4
	;;#ASMSTART
	v_pk_mul_f32 v[2:3], v[2:3], v[4:5]
	;;#ASMEND
	s_waitcnt lgkmcnt(0)
	s_add_u32 s20, s0, s8
	s_addc_u32 s0, s1, s7
	s_add_i32 s1, s11, 3
	s_ashr_i32 s7, s1, 31
	v_mov_b32_e32 v8, 0xc3e00000
	v_mov_b32_e32 v9, 0x43e00000
	;;#ASMSTART
	v_med3_f32 v2, v2, v8, v9
v_med3_f32 v3, v3, v8, v9
v_cvt_pk_fp8_f32 v11, v2, v3
	;;#ASMEND
	s_and_b32 s21, s0, 0xffff
	s_lshr_b32 s0, s7, 30
	;;#ASMSTART
	v_pk_mul_f32 v[2:3], v[6:7], v[4:5]
	;;#ASMEND
	s_add_i32 s1, s1, s0
	;;#ASMSTART
	v_med3_f32 v2, v2, v8, v9
v_med3_f32 v3, v3, v8, v9
v_cvt_pk_fp8_f32 v4, v2, v3
	;;#ASMEND
	s_mov_b32 s0, 0x5040100
	s_and_b32 s22, s1, -4
	s_mov_b32 s23, 0x20000
	v_perm_b32 v2, v4, v11, s0
	buffer_store_dword v2, v1, s[20:23], 0 offen
	;;#ASMSTART
	s_nop 0
	;;#ASMEND
.LBB253_26:
	s_or_b64 exec, exec, s[2:3]
	s_cmp_lt_i32 s12, 1
	s_cbranch_scc1 .LBB253_15
.LBB253_27:
	s_load_dword s0, s[4:5], 0x94
	s_waitcnt lgkmcnt(0)
	s_cmp_lg_u32 s0, 1
	s_cbranch_scc1 .LBB253_15
; %bb.28:
	s_lshl_b32 s0, s12, 1
	s_add_i32 s0, s0, 2
	v_cmp_gt_u32_e32 vcc, s12, v1
	s_and_b32 s18, s0, -4
	v_mov_b32_e32 v2, 0
	v_lshlrev_b32_e32 v6, 3, v0
	v_mov_b32_e32 v3, 0
	v_mov_b32_e32 v0, 0
	;; [unrolled: 1-line block ×3, first 2 shown]
	s_barrier
	s_and_saveexec_b64 s[0:1], vcc
	s_cbranch_execz .LBB253_30
; %bb.29:
	s_mul_hi_i32 s3, s14, s6
	s_mul_i32 s2, s14, s6
	s_and_b32 s17, s17, 0xffff
	s_lshl_b64 s[2:3], s[2:3], 1
	s_add_u32 s20, s30, s2
	s_mov_b32 s19, 0x20000
	s_addc_u32 s2, s31, s3
	s_and_b32 s21, s2, 0xffff
	s_mov_b32 s22, s18
	s_mov_b32 s23, s19
	buffer_load_dwordx2 v[2:3], v6, s[20:23], 0 offen glc slc
	buffer_load_dwordx2 v[0:1], v6, s[16:19], 0 offen
.LBB253_30:
	s_or_b64 exec, exec, s[0:1]
	s_waitcnt vmcnt(1)
	v_cvt_f32_f16_e32 v4, v3
	v_cvt_f32_f16_e32 v5, v2
	v_cvt_f32_f16_sdwa v7, v2 dst_sel:DWORD dst_unused:UNUSED_PAD src0_sel:WORD_1
	v_cvt_f32_f16_sdwa v3, v3 dst_sel:DWORD dst_unused:UNUSED_PAD src0_sel:WORD_1
	v_cndmask_b32_e32 v2, 0, v4, vcc
	v_cndmask_b32_e32 v4, 0, v5, vcc
	;; [unrolled: 1-line block ×3, first 2 shown]
	v_mul_f32_e32 v7, v5, v5
	v_fmac_f32_e32 v7, v4, v4
	v_cndmask_b32_e32 v3, 0, v3, vcc
	v_fmac_f32_e32 v7, v2, v2
	v_fmac_f32_e32 v7, v3, v3
	s_waitcnt vmcnt(0)
	s_nop 0
	v_mov_b32_dpp v8, v7 quad_perm:[1,0,3,2] row_mask:0xf bank_mask:0xf
	v_add_f32_e32 v7, v7, v8
	s_nop 1
	v_mov_b32_dpp v8, v7 quad_perm:[2,3,0,1] row_mask:0xf bank_mask:0xf
	v_add_f32_e32 v7, v7, v8
	s_nop 1
	v_mov_b32_dpp v8, v7 row_half_mirror row_mask:0xf bank_mask:0xf
	v_add_f32_e32 v7, v7, v8
	s_nop 1
	v_mov_b32_dpp v8, v7 row_mirror row_mask:0xf bank_mask:0xf
	v_add_f32_e32 v7, v7, v8
	s_nop 1
	v_mov_b32_dpp v8, v7 row_bcast:15 row_mask:0xf bank_mask:0xf
	v_add_f32_e32 v7, v7, v8
	s_nop 1
	v_mov_b32_dpp v8, v7 row_bcast:31 row_mask:0xf bank_mask:0xf
	v_add_f32_e32 v7, v7, v8
	ds_bpermute_b32 v7, v10, v7
	s_and_saveexec_b64 s[0:1], vcc
	s_cbranch_execz .LBB253_15
; %bb.31:
	v_cvt_f32_u32_e32 v8, s12
	s_mov_b32 s19, 0x20000
	s_waitcnt lgkmcnt(0)
	v_div_scale_f32 v9, s[0:1], v8, v8, v7
	v_rcp_f32_e32 v10, v9
	v_div_scale_f32 v11, vcc, v7, v8, v7
	s_mov_b32 s0, 0x800000
	v_fma_f32 v12, -v9, v10, 1.0
	v_fmac_f32_e32 v10, v12, v10
	v_mul_f32_e32 v12, v11, v10
	v_fma_f32 v13, -v9, v12, v11
	v_fmac_f32_e32 v12, v13, v10
	v_fma_f32 v9, -v9, v12, v11
	v_div_fmas_f32 v9, v9, v10, v12
	v_div_fixup_f32 v7, v9, v8, v7
	v_add_f32_e32 v7, s9, v7
	v_mul_f32_e32 v8, 0x4b800000, v7
	v_cmp_gt_f32_e32 vcc, s0, v7
	v_cndmask_b32_e32 v7, v7, v8, vcc
	v_rsq_f32_e32 v7, v7
	v_cvt_f32_f16_sdwa v9, v0 dst_sel:DWORD dst_unused:UNUSED_PAD src0_sel:WORD_1
	v_cvt_f32_f16_e32 v8, v0
	v_cvt_f32_f16_sdwa v11, v1 dst_sel:DWORD dst_unused:UNUSED_PAD src0_sel:WORD_1
	v_cvt_f32_f16_e32 v10, v1
	v_mul_f32_e32 v0, 0x45800000, v7
	v_cndmask_b32_e32 v12, v7, v0, vcc
	v_mov_b32_e32 v13, v12
	;;#ASMSTART
	v_pk_mul_f32 v[4:5], v[4:5], v[12:13]
	;;#ASMEND
	;;#ASMSTART
	v_pk_mul_f32 v[0:1], v[2:3], v[12:13]
	;;#ASMEND
	v_pk_add_f32 v[2:3], v[8:9], 1.0 op_sel_hi:[1,0]
	;;#ASMSTART
	v_pk_mul_f32 v[2:3], v[4:5], v[2:3]
	;;#ASMEND
	v_pk_add_f32 v[4:5], v[10:11], 1.0 op_sel_hi:[1,0]
	;;#ASMSTART
	v_pk_mul_f32 v[0:1], v[0:1], v[4:5]
	;;#ASMEND
	s_mul_hi_i32 s1, s28, s6
	s_mul_i32 s0, s28, s6
	v_cvt_f16_f32_e32 v2, v2
	v_cvt_f16_f32_e32 v3, v3
	;; [unrolled: 1-line block ×4, first 2 shown]
	s_lshl_b64 s[0:1], s[0:1], 1
	s_add_u32 s16, s34, s0
	s_addc_u32 s0, s35, s1
	s_and_b32 s17, s0, 0xffff
	v_pack_b32_f16 v0, v2, v3
	v_pack_b32_f16 v1, v4, v1
	buffer_store_dwordx2 v[0:1], v6, s[16:19], 0 offen
	;;#ASMSTART
	s_nop 0
	;;#ASMEND
	s_endpgm
	.section	.rodata,"a",@progbits
	.p2align	6, 0x0
	.amdhsa_kernel _ZN5aiter35fused_qk_rmsnorm_group_quant_kernelIDF16_DB8_Li64ELi4ELi32ELb1ELb0ELb1ELb0ELb0ELb0EEEvPT0_PvPT_S6_S6_PKS5_S8_S8_S8_S8_ffiiiiiiiiiiiii
		.amdhsa_group_segment_fixed_size 0
		.amdhsa_private_segment_fixed_size 0
		.amdhsa_kernarg_size 400
		.amdhsa_user_sgpr_count 6
		.amdhsa_user_sgpr_private_segment_buffer 1
		.amdhsa_user_sgpr_dispatch_ptr 0
		.amdhsa_user_sgpr_queue_ptr 0
		.amdhsa_user_sgpr_kernarg_segment_ptr 1
		.amdhsa_user_sgpr_dispatch_id 0
		.amdhsa_user_sgpr_flat_scratch_init 0
		.amdhsa_user_sgpr_kernarg_preload_length 0
		.amdhsa_user_sgpr_kernarg_preload_offset 0
		.amdhsa_user_sgpr_private_segment_size 0
		.amdhsa_uses_dynamic_stack 0
		.amdhsa_system_sgpr_private_segment_wavefront_offset 0
		.amdhsa_system_sgpr_workgroup_id_x 1
		.amdhsa_system_sgpr_workgroup_id_y 1
		.amdhsa_system_sgpr_workgroup_id_z 0
		.amdhsa_system_sgpr_workgroup_info 0
		.amdhsa_system_vgpr_workitem_id 0
		.amdhsa_next_free_vgpr 18
		.amdhsa_next_free_sgpr 40
		.amdhsa_accum_offset 20
		.amdhsa_reserve_vcc 1
		.amdhsa_reserve_flat_scratch 0
		.amdhsa_float_round_mode_32 0
		.amdhsa_float_round_mode_16_64 0
		.amdhsa_float_denorm_mode_32 3
		.amdhsa_float_denorm_mode_16_64 3
		.amdhsa_dx10_clamp 1
		.amdhsa_ieee_mode 1
		.amdhsa_fp16_overflow 0
		.amdhsa_tg_split 0
		.amdhsa_exception_fp_ieee_invalid_op 0
		.amdhsa_exception_fp_denorm_src 0
		.amdhsa_exception_fp_ieee_div_zero 0
		.amdhsa_exception_fp_ieee_overflow 0
		.amdhsa_exception_fp_ieee_underflow 0
		.amdhsa_exception_fp_ieee_inexact 0
		.amdhsa_exception_int_div_zero 0
	.end_amdhsa_kernel
	.section	.text._ZN5aiter35fused_qk_rmsnorm_group_quant_kernelIDF16_DB8_Li64ELi4ELi32ELb1ELb0ELb1ELb0ELb0ELb0EEEvPT0_PvPT_S6_S6_PKS5_S8_S8_S8_S8_ffiiiiiiiiiiiii,"axG",@progbits,_ZN5aiter35fused_qk_rmsnorm_group_quant_kernelIDF16_DB8_Li64ELi4ELi32ELb1ELb0ELb1ELb0ELb0ELb0EEEvPT0_PvPT_S6_S6_PKS5_S8_S8_S8_S8_ffiiiiiiiiiiiii,comdat
.Lfunc_end253:
	.size	_ZN5aiter35fused_qk_rmsnorm_group_quant_kernelIDF16_DB8_Li64ELi4ELi32ELb1ELb0ELb1ELb0ELb0ELb0EEEvPT0_PvPT_S6_S6_PKS5_S8_S8_S8_S8_ffiiiiiiiiiiiii, .Lfunc_end253-_ZN5aiter35fused_qk_rmsnorm_group_quant_kernelIDF16_DB8_Li64ELi4ELi32ELb1ELb0ELb1ELb0ELb0ELb0EEEvPT0_PvPT_S6_S6_PKS5_S8_S8_S8_S8_ffiiiiiiiiiiiii
                                        ; -- End function
	.section	.AMDGPU.csdata,"",@progbits
; Kernel info:
; codeLenInByte = 2208
; NumSgprs: 44
; NumVgprs: 18
; NumAgprs: 0
; TotalNumVgprs: 18
; ScratchSize: 0
; MemoryBound: 0
; FloatMode: 240
; IeeeMode: 1
; LDSByteSize: 0 bytes/workgroup (compile time only)
; SGPRBlocks: 5
; VGPRBlocks: 2
; NumSGPRsForWavesPerEU: 44
; NumVGPRsForWavesPerEU: 18
; AccumOffset: 20
; Occupancy: 8
; WaveLimiterHint : 0
; COMPUTE_PGM_RSRC2:SCRATCH_EN: 0
; COMPUTE_PGM_RSRC2:USER_SGPR: 6
; COMPUTE_PGM_RSRC2:TRAP_HANDLER: 0
; COMPUTE_PGM_RSRC2:TGID_X_EN: 1
; COMPUTE_PGM_RSRC2:TGID_Y_EN: 1
; COMPUTE_PGM_RSRC2:TGID_Z_EN: 0
; COMPUTE_PGM_RSRC2:TIDIG_COMP_CNT: 0
; COMPUTE_PGM_RSRC3_GFX90A:ACCUM_OFFSET: 4
; COMPUTE_PGM_RSRC3_GFX90A:TG_SPLIT: 0
	.section	.text._ZN5aiter35fused_qk_rmsnorm_group_quant_kernelItDB8_Li64ELi4ELi32ELb1ELb0ELb1ELb0ELb0ELb0EEEvPT0_PvPT_S6_S6_PKS5_S8_S8_S8_S8_ffiiiiiiiiiiiii,"axG",@progbits,_ZN5aiter35fused_qk_rmsnorm_group_quant_kernelItDB8_Li64ELi4ELi32ELb1ELb0ELb1ELb0ELb0ELb0EEEvPT0_PvPT_S6_S6_PKS5_S8_S8_S8_S8_ffiiiiiiiiiiiii,comdat
	.protected	_ZN5aiter35fused_qk_rmsnorm_group_quant_kernelItDB8_Li64ELi4ELi32ELb1ELb0ELb1ELb0ELb0ELb0EEEvPT0_PvPT_S6_S6_PKS5_S8_S8_S8_S8_ffiiiiiiiiiiiii ; -- Begin function _ZN5aiter35fused_qk_rmsnorm_group_quant_kernelItDB8_Li64ELi4ELi32ELb1ELb0ELb1ELb0ELb0ELb0EEEvPT0_PvPT_S6_S6_PKS5_S8_S8_S8_S8_ffiiiiiiiiiiiii
	.globl	_ZN5aiter35fused_qk_rmsnorm_group_quant_kernelItDB8_Li64ELi4ELi32ELb1ELb0ELb1ELb0ELb0ELb0EEEvPT0_PvPT_S6_S6_PKS5_S8_S8_S8_S8_ffiiiiiiiiiiiii
	.p2align	8
	.type	_ZN5aiter35fused_qk_rmsnorm_group_quant_kernelItDB8_Li64ELi4ELi32ELb1ELb0ELb1ELb0ELb0ELb0EEEvPT0_PvPT_S6_S6_PKS5_S8_S8_S8_S8_ffiiiiiiiiiiiii,@function
_ZN5aiter35fused_qk_rmsnorm_group_quant_kernelItDB8_Li64ELi4ELi32ELb1ELb0ELb1ELb0ELb0ELb0EEEvPT0_PvPT_S6_S6_PKS5_S8_S8_S8_S8_ffiiiiiiiiiiiii: ; @_ZN5aiter35fused_qk_rmsnorm_group_quant_kernelItDB8_Li64ELi4ELi32ELb1ELb0ELb1ELb0ELb0ELb0EEEvPT0_PvPT_S6_S6_PKS5_S8_S8_S8_S8_ffiiiiiiiiiiiii
; %bb.0:
	s_load_dwordx8 s[8:15], s[4:5], 0x50
	s_waitcnt lgkmcnt(0)
	s_cmp_ge_i32 s6, s10
	s_cbranch_scc1 .LBB254_15
; %bb.1:
	s_cmp_lg_u32 s7, 0
	s_cselect_b64 s[2:3], -1, 0
	s_cmp_eq_u32 s7, 0
	s_cselect_b64 s[24:25], -1, 0
	s_and_b64 s[0:1], s[24:25], exec
	s_load_dwordx2 s[16:17], s[4:5], 0x48
	s_load_dwordx2 s[30:31], s[4:5], 0x30
	s_load_dwordx4 s[20:23], s[4:5], 0x70
	s_cselect_b32 s7, s11, s12
	s_add_i32 s0, s7, 1
	s_lshr_b32 s1, s0, 31
	s_add_i32 s0, s0, s1
	s_lshl_b32 s0, s0, 1
	v_lshlrev_b32_e32 v1, 2, v0
	s_and_b32 s26, s0, -4
	v_cmp_gt_i32_e64 s[0:1], s7, v1
	v_mov_b32_e32 v6, 0
	v_mov_b32_e32 v7, 0
	;; [unrolled: 1-line block ×4, first 2 shown]
	s_and_saveexec_b64 s[18:19], s[0:1]
	s_cbranch_execz .LBB254_3
; %bb.2:
	s_load_dwordx2 s[28:29], s[4:5], 0x28
	s_load_dwordx2 s[34:35], s[4:5], 0x40
	s_and_b64 s[36:37], s[24:25], exec
	s_cselect_b32 s10, s13, s14
	s_mov_b32 s27, 0x20000
	s_waitcnt lgkmcnt(0)
	s_cselect_b32 s13, s29, s31
	s_cselect_b32 s23, s28, s30
	s_mul_hi_i32 s29, s10, s6
	s_mul_i32 s28, s10, s6
	s_lshl_b64 s[28:29], s[28:29], 1
	s_add_u32 s36, s23, s28
	s_addc_u32 s10, s13, s29
	s_and_b64 s[24:25], s[24:25], exec
	s_cselect_b32 s24, s34, s16
	s_cselect_b32 s13, s35, s17
	v_lshlrev_b32_e32 v2, 3, v0
	s_and_b32 s37, s10, 0xffff
	s_mov_b32 s38, s26
	s_mov_b32 s39, s27
	s_and_b32 s25, s13, 0xffff
	buffer_load_dwordx2 v[8:9], v2, s[36:39], 0 offen glc slc
	buffer_load_dwordx2 v[6:7], v2, s[24:27], 0 offen
.LBB254_3:
	s_or_b64 exec, exec, s[18:19]
	s_load_dwordx2 s[28:29], s[4:5], 0x80
	s_and_b64 vcc, exec, s[2:3]
	s_cbranch_vccz .LBB254_7
; %bb.4:
	s_mov_b32 s36, 0
	s_mov_b32 s37, s36
	;; [unrolled: 1-line block ×4, first 2 shown]
	v_pk_mov_b32 v[2:3], s[36:37], s[36:37] op_sel:[0,1]
	v_pk_mov_b32 v[4:5], s[38:39], s[38:39] op_sel:[0,1]
	s_and_saveexec_b64 s[18:19], s[0:1]
	s_cbranch_execz .LBB254_6
; %bb.5:
	s_waitcnt vmcnt(1)
	v_cvt_f32_u32_sdwa v3, v8 dst_sel:DWORD dst_unused:UNUSED_PAD src0_sel:WORD_1
	v_cvt_f32_u32_sdwa v2, v8 dst_sel:DWORD dst_unused:UNUSED_PAD src0_sel:WORD_0
	v_cvt_f32_u32_sdwa v5, v9 dst_sel:DWORD dst_unused:UNUSED_PAD src0_sel:WORD_1
	v_cvt_f32_u32_sdwa v4, v9 dst_sel:DWORD dst_unused:UNUSED_PAD src0_sel:WORD_0
.LBB254_6:
	s_or_b64 exec, exec, s[18:19]
	s_mov_b32 s10, s9
	s_cbranch_execz .LBB254_8
	s_branch .LBB254_11
.LBB254_7:
                                        ; implicit-def: $vgpr2_vgpr3_vgpr4_vgpr5
	s_mov_b32 s10, s9
.LBB254_8:
	s_mov_b32 s36, 0
	s_mov_b32 s37, s36
	;; [unrolled: 1-line block ×4, first 2 shown]
	v_pk_mov_b32 v[2:3], s[36:37], s[36:37] op_sel:[0,1]
	v_pk_mov_b32 v[4:5], s[38:39], s[38:39] op_sel:[0,1]
	s_and_saveexec_b64 s[18:19], s[0:1]
	s_cbranch_execz .LBB254_10
; %bb.9:
	s_load_dwordx2 s[24:25], s[4:5], 0x38
	s_mul_hi_i32 s35, s15, s6
	s_mul_i32 s34, s15, s6
	s_lshl_b64 s[34:35], s[34:35], 1
	s_mov_b32 s27, 0x20000
	s_waitcnt lgkmcnt(0)
	s_add_u32 s24, s24, s34
	s_addc_u32 s10, s25, s35
	s_and_b32 s25, s10, 0xffff
	v_lshlrev_b32_e32 v14, 3, v0
	buffer_load_dwordx2 v[2:3], v14, s[24:27], 0 offen glc slc
	s_load_dwordx2 s[24:25], s[4:5], 0x20
	s_waitcnt vmcnt(2)
	v_cvt_f32_u32_sdwa v5, v8 dst_sel:DWORD dst_unused:UNUSED_PAD src0_sel:WORD_1
	v_cvt_f32_u32_sdwa v4, v8 dst_sel:DWORD dst_unused:UNUSED_PAD src0_sel:WORD_0
	v_cvt_f32_u32_sdwa v11, v9 dst_sel:DWORD dst_unused:UNUSED_PAD src0_sel:WORD_1
	v_cvt_f32_u32_sdwa v10, v9 dst_sel:DWORD dst_unused:UNUSED_PAD src0_sel:WORD_0
	s_mul_hi_i32 s35, s29, s6
	s_mul_i32 s34, s29, s6
	s_lshl_b64 s[34:35], s[34:35], 1
	s_waitcnt lgkmcnt(0)
	s_add_u32 s24, s24, s34
	s_mov_b32 s10, 0x7060302
	s_addc_u32 s13, s25, s35
	s_and_b32 s25, s13, 0xffff
	s_waitcnt vmcnt(0)
	v_cvt_f32_u32_sdwa v9, v2 dst_sel:DWORD dst_unused:UNUSED_PAD src0_sel:WORD_1
	v_cvt_f32_u32_sdwa v8, v2 dst_sel:DWORD dst_unused:UNUSED_PAD src0_sel:WORD_0
	v_cvt_f32_u32_sdwa v13, v3 dst_sel:DWORD dst_unused:UNUSED_PAD src0_sel:WORD_1
	v_cvt_f32_u32_sdwa v12, v3 dst_sel:DWORD dst_unused:UNUSED_PAD src0_sel:WORD_0
	v_pk_add_f32 v[2:3], v[4:5], v[8:9]
	v_perm_b32 v8, v3, v2, s10
	v_pk_add_f32 v[4:5], v[10:11], v[12:13]
	v_perm_b32 v9, v5, v4, s10
	buffer_store_dwordx2 v[8:9], v14, s[24:27], 0 offen glc slc
	;;#ASMSTART
	s_nop 0
	;;#ASMEND
.LBB254_10:
	s_or_b64 exec, exec, s[18:19]
	s_mov_b32 s10, s8
.LBB254_11:
	s_waitcnt vmcnt(1)
	v_mul_f32_e32 v8, v3, v3
	v_fmac_f32_e32 v8, v2, v2
	v_fmac_f32_e32 v8, v4, v4
	;; [unrolled: 1-line block ×3, first 2 shown]
	s_load_dwordx2 s[34:35], s[4:5], 0x18
	s_nop 0
	v_mov_b32_dpp v9, v8 quad_perm:[1,0,3,2] row_mask:0xf bank_mask:0xf
	v_add_f32_e32 v8, v8, v9
	s_nop 1
	v_mov_b32_dpp v9, v8 quad_perm:[2,3,0,1] row_mask:0xf bank_mask:0xf
	v_add_f32_e32 v8, v8, v9
	s_nop 1
	v_mov_b32_dpp v9, v8 row_half_mirror row_mask:0xf bank_mask:0xf
	v_add_f32_e32 v8, v8, v9
	s_nop 1
	v_mov_b32_dpp v9, v8 row_mirror row_mask:0xf bank_mask:0xf
	v_add_f32_e32 v8, v8, v9
	s_nop 1
	v_mov_b32_dpp v9, v8 row_bcast:15 row_mask:0xf bank_mask:0xf
	v_add_f32_e32 v8, v8, v9
	s_nop 1
	v_mov_b32_dpp v9, v8 row_bcast:31 row_mask:0xf bank_mask:0xf
	v_add_f32_e32 v10, v8, v9
	v_mbcnt_lo_u32_b32 v8, -1, 0
	v_mbcnt_hi_u32_b32 v8, -1, v8
	v_lshlrev_b32_e32 v9, 2, v8
	v_or_b32_e32 v8, 0xfc, v9
	ds_bpermute_b32 v10, v8, v10
	s_and_saveexec_b64 s[18:19], s[0:1]
	s_cbranch_execnz .LBB254_16
; %bb.12:
	s_or_b64 exec, exec, s[18:19]
	s_mov_b64 s[18:19], -1
	s_and_b64 vcc, exec, s[2:3]
	s_cbranch_vccnz .LBB254_17
.LBB254_13:
	s_andn2_b64 vcc, exec, s[18:19]
	s_cbranch_vccz .LBB254_20
.LBB254_14:
	s_cmp_lt_i32 s12, 1
	s_cbranch_scc0 .LBB254_27
.LBB254_15:
	s_endpgm
.LBB254_16:
	v_cvt_f32_u32_e32 v11, s7
	s_mov_b32 s7, 0x800000
	s_waitcnt lgkmcnt(0)
	v_div_scale_f32 v12, s[24:25], v11, v11, v10
	v_rcp_f32_e32 v13, v12
	v_div_scale_f32 v14, vcc, v10, v11, v10
	v_fma_f32 v15, -v12, v13, 1.0
	v_fmac_f32_e32 v13, v15, v13
	v_mul_f32_e32 v15, v14, v13
	v_fma_f32 v16, -v12, v15, v14
	v_fmac_f32_e32 v15, v16, v13
	v_fma_f32 v12, -v12, v15, v14
	v_div_fmas_f32 v12, v12, v13, v15
	v_div_fixup_f32 v10, v12, v11, v10
	v_add_f32_e32 v10, s10, v10
	v_mul_f32_e32 v11, 0x4b800000, v10
	v_cmp_gt_f32_e32 vcc, s7, v10
	v_cndmask_b32_e32 v10, v10, v11, vcc
	v_rsq_f32_e32 v12, v10
	s_waitcnt vmcnt(0)
	v_cvt_f32_u32_sdwa v11, v6 dst_sel:DWORD dst_unused:UNUSED_PAD src0_sel:WORD_1
	v_cvt_f32_u32_sdwa v10, v6 dst_sel:DWORD dst_unused:UNUSED_PAD src0_sel:WORD_0
	v_cvt_f32_u32_sdwa v13, v7 dst_sel:DWORD dst_unused:UNUSED_PAD src0_sel:WORD_1
	v_mul_f32_e32 v6, 0x45800000, v12
	v_cndmask_b32_e32 v14, v12, v6, vcc
	v_cvt_f32_u32_sdwa v12, v7 dst_sel:DWORD dst_unused:UNUSED_PAD src0_sel:WORD_0
	v_mov_b32_e32 v15, v14
	;;#ASMSTART
	v_pk_mul_f32 v[2:3], v[2:3], v[14:15]
	;;#ASMEND
	;;#ASMSTART
	v_pk_mul_f32 v[4:5], v[4:5], v[14:15]
	;;#ASMEND
	v_pk_add_f32 v[6:7], v[10:11], 1.0 op_sel_hi:[1,0]
	;;#ASMSTART
	v_pk_mul_f32 v[2:3], v[2:3], v[6:7]
	;;#ASMEND
	v_pk_add_f32 v[6:7], v[12:13], 1.0 op_sel_hi:[1,0]
	;;#ASMSTART
	v_pk_mul_f32 v[4:5], v[4:5], v[6:7]
	;;#ASMEND
	s_or_b64 exec, exec, s[18:19]
	s_mov_b64 s[18:19], -1
	s_and_b64 vcc, exec, s[2:3]
	s_cbranch_vccz .LBB254_13
.LBB254_17:
	s_and_saveexec_b64 s[2:3], s[0:1]
	s_cbranch_execz .LBB254_19
; %bb.18:
	s_waitcnt lgkmcnt(0)
	s_mul_hi_i32 s19, s28, s6
	s_mul_i32 s18, s28, s6
	s_lshl_b64 s[18:19], s[18:19], 1
	s_add_u32 s24, s34, s18
	s_addc_u32 s7, s35, s19
	s_and_b32 s25, s7, 0xffff
	s_mov_b32 s7, 0x7060302
	s_mov_b32 s27, 0x20000
	s_waitcnt vmcnt(0)
	v_perm_b32 v6, v3, v2, s7
	v_perm_b32 v7, v5, v4, s7
	v_lshlrev_b32_e32 v10, 3, v0
	buffer_store_dwordx2 v[6:7], v10, s[24:27], 0 offen
	;;#ASMSTART
	s_nop 0
	;;#ASMEND
.LBB254_19:
	s_or_b64 exec, exec, s[2:3]
	s_cbranch_execnz .LBB254_14
.LBB254_20:
	s_waitcnt vmcnt(0)
	v_mov_b32_e32 v6, 0
	s_and_saveexec_b64 s[2:3], s[0:1]
	s_cbranch_execz .LBB254_22
; %bb.21:
	v_and_b32_e32 v6, 0x7fffffff, v2
	v_and_b32_e32 v7, 0x7fffffff, v3
	s_waitcnt lgkmcnt(0)
	v_mov_b32_e32 v10, 0x2edbe6ff
	;;#ASMSTART
	v_max3_f32 v6, v10, v6, v7

	;;#ASMEND
	v_and_b32_e32 v7, 0x7fffffff, v4
	v_and_b32_e32 v10, 0x7fffffff, v5
	;;#ASMSTART
	v_max3_f32 v6, v6, v7, v10

	;;#ASMEND
.LBB254_22:
	s_or_b64 exec, exec, s[2:3]
	;;#ASMSTART
	v_max_f32 v7, v6, v6 quad_perm:[1,0,3,2] row_mask:0xf bank_mask:0xf bound_ctrl:1
	;;#ASMEND
	;;#ASMSTART
	v_max_f32 v6, v7, v7 quad_perm:[2,3,0,1] row_mask:0xf bank_mask:0xf bound_ctrl:1
	;;#ASMEND
	;;#ASMSTART
	v_max_f32 v7, v6, v6 row_half_mirror row_mask:0xf bank_mask:0xf bound_ctrl:1
	;;#ASMEND
	;;#ASMSTART
	v_max_f32 v6, v7, v7 row_mirror row_mask:0xf bank_mask:0xf bound_ctrl:1
	;;#ASMEND
	;;#ASMSTART
	v_max_f32 v7, v6, v6 row_ror:4 row_mask:0xf bank_mask:0xf bound_ctrl:1
	;;#ASMEND
	;;#ASMSTART
	v_max_f32 v6, v7, v7 row_ror:8 row_mask:0xf bank_mask:0xf bound_ctrl:1
	;;#ASMEND
	;;#ASMSTART
	v_max_f32 v7, v6, v6 row_bcast:15 row_mask:0xa bank_mask:0xf bound_ctrl:1
	;;#ASMEND
	v_or_b32_e32 v6, 0x7c, v9
	ds_bpermute_b32 v6, v6, v7
	v_and_b32_e32 v7, 31, v0
	v_cmp_gt_i32_e32 vcc, s11, v1
	v_cmp_eq_u32_e64 s[2:3], 0, v7
	s_and_b64 s[18:19], s[2:3], vcc
	s_waitcnt lgkmcnt(0)
	v_mul_f32_e32 v6, 0x3b124925, v6
	s_and_saveexec_b64 s[2:3], s[18:19]
	s_cbranch_execz .LBB254_24
; %bb.23:
	s_load_dwordx2 s[18:19], s[4:5], 0x8
	v_lshrrev_b32_e32 v7, 5, v0
	s_mul_hi_i32 s25, s21, s6
	s_mul_i32 s24, s21, s6
	v_mad_i64_i32 v[10:11], s[22:23], s22, v7, 0
	s_lshl_b64 s[22:23], s[24:25], 2
	s_waitcnt lgkmcnt(0)
	s_add_u32 s7, s18, s22
	s_addc_u32 s8, s19, s23
	v_lshlrev_b64 v[10:11], 2, v[10:11]
	v_mov_b32_e32 v7, s8
	v_add_co_u32_e32 v10, vcc, s7, v10
	v_addc_co_u32_e32 v11, vcc, v7, v11, vcc
	global_store_dword v[10:11], v6, off
.LBB254_24:
	s_or_b64 exec, exec, s[2:3]
	;;#ASMSTART
	v_rcp_f32 v6, v6
	;;#ASMEND
	s_and_saveexec_b64 s[2:3], s[0:1]
	s_cbranch_execz .LBB254_26
; %bb.25:
	s_load_dwordx2 s[0:1], s[4:5], 0x0
	s_mul_i32 s8, s20, s6
	s_mul_hi_i32 s7, s20, s6
	v_mov_b32_e32 v7, v6
	;;#ASMSTART
	v_pk_mul_f32 v[2:3], v[2:3], v[6:7]
	;;#ASMEND
	s_waitcnt lgkmcnt(0)
	s_add_u32 s20, s0, s8
	s_addc_u32 s0, s1, s7
	s_add_i32 s1, s11, 3
	s_ashr_i32 s7, s1, 31
	v_mov_b32_e32 v9, 0xc3e00000
	v_mov_b32_e32 v10, 0x43e00000
	;;#ASMSTART
	v_med3_f32 v2, v2, v9, v10
v_med3_f32 v3, v3, v9, v10
v_cvt_pk_fp8_f32 v11, v2, v3
	;;#ASMEND
	s_and_b32 s21, s0, 0xffff
	s_lshr_b32 s0, s7, 30
	;;#ASMSTART
	v_pk_mul_f32 v[2:3], v[4:5], v[6:7]
	;;#ASMEND
	s_add_i32 s1, s1, s0
	;;#ASMSTART
	v_med3_f32 v2, v2, v9, v10
v_med3_f32 v3, v3, v9, v10
v_cvt_pk_fp8_f32 v4, v2, v3
	;;#ASMEND
	s_mov_b32 s0, 0x5040100
	s_and_b32 s22, s1, -4
	s_mov_b32 s23, 0x20000
	v_perm_b32 v2, v4, v11, s0
	buffer_store_dword v2, v1, s[20:23], 0 offen
	;;#ASMSTART
	s_nop 0
	;;#ASMEND
.LBB254_26:
	s_or_b64 exec, exec, s[2:3]
	s_cmp_lt_i32 s12, 1
	s_cbranch_scc1 .LBB254_15
.LBB254_27:
	s_load_dword s0, s[4:5], 0x94
	s_waitcnt lgkmcnt(0)
	s_cmp_lg_u32 s0, 1
	s_cbranch_scc1 .LBB254_15
; %bb.28:
	s_lshl_b32 s0, s12, 1
	s_add_i32 s0, s0, 2
	v_cmp_gt_u32_e32 vcc, s12, v1
	s_and_b32 s18, s0, -4
	v_mov_b32_e32 v2, 0
	s_waitcnt vmcnt(0)
	v_lshlrev_b32_e32 v6, 3, v0
	v_mov_b32_e32 v3, 0
	v_mov_b32_e32 v0, 0
	;; [unrolled: 1-line block ×3, first 2 shown]
	s_barrier
	s_and_saveexec_b64 s[0:1], vcc
	s_cbranch_execz .LBB254_30
; %bb.29:
	s_mul_hi_i32 s3, s14, s6
	s_mul_i32 s2, s14, s6
	s_and_b32 s17, s17, 0xffff
	s_lshl_b64 s[2:3], s[2:3], 1
	s_add_u32 s20, s30, s2
	s_mov_b32 s19, 0x20000
	s_addc_u32 s2, s31, s3
	s_and_b32 s21, s2, 0xffff
	s_mov_b32 s22, s18
	s_mov_b32 s23, s19
	buffer_load_dwordx2 v[2:3], v6, s[20:23], 0 offen glc slc
	buffer_load_dwordx2 v[0:1], v6, s[16:19], 0 offen
.LBB254_30:
	s_or_b64 exec, exec, s[0:1]
	s_waitcnt vmcnt(1)
	v_cvt_f32_u32_sdwa v5, v3 dst_sel:DWORD dst_unused:UNUSED_PAD src0_sel:WORD_0
	v_cvt_f32_u32_sdwa v7, v2 dst_sel:DWORD dst_unused:UNUSED_PAD src0_sel:WORD_1
	v_cvt_f32_u32_sdwa v4, v3 dst_sel:DWORD dst_unused:UNUSED_PAD src0_sel:WORD_1
	v_cvt_f32_u32_sdwa v9, v2 dst_sel:DWORD dst_unused:UNUSED_PAD src0_sel:WORD_0
	v_cndmask_b32_e32 v2, 0, v5, vcc
	v_cndmask_b32_e32 v5, 0, v7, vcc
	;; [unrolled: 1-line block ×4, first 2 shown]
	v_mul_f32_e32 v7, v5, v5
	v_fmac_f32_e32 v7, v4, v4
	v_fmac_f32_e32 v7, v2, v2
	;; [unrolled: 1-line block ×3, first 2 shown]
	s_nop 1
	v_mov_b32_dpp v9, v7 quad_perm:[1,0,3,2] row_mask:0xf bank_mask:0xf
	v_add_f32_e32 v7, v7, v9
	s_nop 1
	v_mov_b32_dpp v9, v7 quad_perm:[2,3,0,1] row_mask:0xf bank_mask:0xf
	v_add_f32_e32 v7, v7, v9
	s_nop 1
	v_mov_b32_dpp v9, v7 row_half_mirror row_mask:0xf bank_mask:0xf
	v_add_f32_e32 v7, v7, v9
	s_nop 1
	v_mov_b32_dpp v9, v7 row_mirror row_mask:0xf bank_mask:0xf
	v_add_f32_e32 v7, v7, v9
	s_nop 1
	v_mov_b32_dpp v9, v7 row_bcast:15 row_mask:0xf bank_mask:0xf
	v_add_f32_e32 v7, v7, v9
	s_nop 1
	v_mov_b32_dpp v9, v7 row_bcast:31 row_mask:0xf bank_mask:0xf
	v_add_f32_e32 v7, v7, v9
	ds_bpermute_b32 v7, v8, v7
	s_and_saveexec_b64 s[0:1], vcc
	s_cbranch_execz .LBB254_15
; %bb.31:
	v_cvt_f32_u32_e32 v8, s12
	s_mov_b32 s19, 0x20000
	s_waitcnt lgkmcnt(0)
	v_div_scale_f32 v9, s[0:1], v8, v8, v7
	v_rcp_f32_e32 v10, v9
	v_div_scale_f32 v11, vcc, v7, v8, v7
	s_mov_b32 s0, 0x800000
	v_fma_f32 v12, -v9, v10, 1.0
	v_fmac_f32_e32 v10, v12, v10
	v_mul_f32_e32 v12, v11, v10
	v_fma_f32 v13, -v9, v12, v11
	v_fmac_f32_e32 v12, v13, v10
	v_fma_f32 v9, -v9, v12, v11
	v_div_fmas_f32 v9, v9, v10, v12
	v_div_fixup_f32 v7, v9, v8, v7
	v_add_f32_e32 v7, s9, v7
	v_mul_f32_e32 v8, 0x4b800000, v7
	v_cmp_gt_f32_e32 vcc, s0, v7
	v_cndmask_b32_e32 v7, v7, v8, vcc
	v_rsq_f32_e32 v7, v7
	s_waitcnt vmcnt(0)
	v_cvt_f32_u32_sdwa v9, v0 dst_sel:DWORD dst_unused:UNUSED_PAD src0_sel:WORD_1
	v_cvt_f32_u32_sdwa v8, v0 dst_sel:DWORD dst_unused:UNUSED_PAD src0_sel:WORD_0
	s_mul_hi_i32 s1, s28, s6
	s_mul_i32 s0, s28, s6
	v_cvt_f32_u32_sdwa v11, v1 dst_sel:DWORD dst_unused:UNUSED_PAD src0_sel:WORD_1
	v_mul_f32_e32 v0, 0x45800000, v7
	v_cvt_f32_u32_sdwa v10, v1 dst_sel:DWORD dst_unused:UNUSED_PAD src0_sel:WORD_0
	s_lshl_b64 s[0:1], s[0:1], 1
	v_cndmask_b32_e32 v12, v7, v0, vcc
	s_add_u32 s16, s34, s0
	v_mov_b32_e32 v13, v12
	;;#ASMSTART
	v_pk_mul_f32 v[4:5], v[4:5], v[12:13]
	;;#ASMEND
	;;#ASMSTART
	v_pk_mul_f32 v[0:1], v[2:3], v[12:13]
	;;#ASMEND
	v_pk_add_f32 v[2:3], v[8:9], 1.0 op_sel_hi:[1,0]
	s_addc_u32 s0, s35, s1
	;;#ASMSTART
	v_pk_mul_f32 v[2:3], v[4:5], v[2:3]
	;;#ASMEND
	s_and_b32 s17, s0, 0xffff
	s_mov_b32 s0, 0x7060302
	v_pk_add_f32 v[4:5], v[10:11], 1.0 op_sel_hi:[1,0]
	;;#ASMSTART
	v_pk_mul_f32 v[0:1], v[0:1], v[4:5]
	;;#ASMEND
	v_perm_b32 v2, v3, v2, s0
	v_perm_b32 v3, v1, v0, s0
	buffer_store_dwordx2 v[2:3], v6, s[16:19], 0 offen
	;;#ASMSTART
	s_nop 0
	;;#ASMEND
	s_endpgm
	.section	.rodata,"a",@progbits
	.p2align	6, 0x0
	.amdhsa_kernel _ZN5aiter35fused_qk_rmsnorm_group_quant_kernelItDB8_Li64ELi4ELi32ELb1ELb0ELb1ELb0ELb0ELb0EEEvPT0_PvPT_S6_S6_PKS5_S8_S8_S8_S8_ffiiiiiiiiiiiii
		.amdhsa_group_segment_fixed_size 0
		.amdhsa_private_segment_fixed_size 0
		.amdhsa_kernarg_size 400
		.amdhsa_user_sgpr_count 6
		.amdhsa_user_sgpr_private_segment_buffer 1
		.amdhsa_user_sgpr_dispatch_ptr 0
		.amdhsa_user_sgpr_queue_ptr 0
		.amdhsa_user_sgpr_kernarg_segment_ptr 1
		.amdhsa_user_sgpr_dispatch_id 0
		.amdhsa_user_sgpr_flat_scratch_init 0
		.amdhsa_user_sgpr_kernarg_preload_length 0
		.amdhsa_user_sgpr_kernarg_preload_offset 0
		.amdhsa_user_sgpr_private_segment_size 0
		.amdhsa_uses_dynamic_stack 0
		.amdhsa_system_sgpr_private_segment_wavefront_offset 0
		.amdhsa_system_sgpr_workgroup_id_x 1
		.amdhsa_system_sgpr_workgroup_id_y 1
		.amdhsa_system_sgpr_workgroup_id_z 0
		.amdhsa_system_sgpr_workgroup_info 0
		.amdhsa_system_vgpr_workitem_id 0
		.amdhsa_next_free_vgpr 17
		.amdhsa_next_free_sgpr 40
		.amdhsa_accum_offset 20
		.amdhsa_reserve_vcc 1
		.amdhsa_reserve_flat_scratch 0
		.amdhsa_float_round_mode_32 0
		.amdhsa_float_round_mode_16_64 0
		.amdhsa_float_denorm_mode_32 3
		.amdhsa_float_denorm_mode_16_64 3
		.amdhsa_dx10_clamp 1
		.amdhsa_ieee_mode 1
		.amdhsa_fp16_overflow 0
		.amdhsa_tg_split 0
		.amdhsa_exception_fp_ieee_invalid_op 0
		.amdhsa_exception_fp_denorm_src 0
		.amdhsa_exception_fp_ieee_div_zero 0
		.amdhsa_exception_fp_ieee_overflow 0
		.amdhsa_exception_fp_ieee_underflow 0
		.amdhsa_exception_fp_ieee_inexact 0
		.amdhsa_exception_int_div_zero 0
	.end_amdhsa_kernel
	.section	.text._ZN5aiter35fused_qk_rmsnorm_group_quant_kernelItDB8_Li64ELi4ELi32ELb1ELb0ELb1ELb0ELb0ELb0EEEvPT0_PvPT_S6_S6_PKS5_S8_S8_S8_S8_ffiiiiiiiiiiiii,"axG",@progbits,_ZN5aiter35fused_qk_rmsnorm_group_quant_kernelItDB8_Li64ELi4ELi32ELb1ELb0ELb1ELb0ELb0ELb0EEEvPT0_PvPT_S6_S6_PKS5_S8_S8_S8_S8_ffiiiiiiiiiiiii,comdat
.Lfunc_end254:
	.size	_ZN5aiter35fused_qk_rmsnorm_group_quant_kernelItDB8_Li64ELi4ELi32ELb1ELb0ELb1ELb0ELb0ELb0EEEvPT0_PvPT_S6_S6_PKS5_S8_S8_S8_S8_ffiiiiiiiiiiiii, .Lfunc_end254-_ZN5aiter35fused_qk_rmsnorm_group_quant_kernelItDB8_Li64ELi4ELi32ELb1ELb0ELb1ELb0ELb0ELb0EEEvPT0_PvPT_S6_S6_PKS5_S8_S8_S8_S8_ffiiiiiiiiiiiii
                                        ; -- End function
	.section	.AMDGPU.csdata,"",@progbits
; Kernel info:
; codeLenInByte = 2264
; NumSgprs: 44
; NumVgprs: 17
; NumAgprs: 0
; TotalNumVgprs: 17
; ScratchSize: 0
; MemoryBound: 0
; FloatMode: 240
; IeeeMode: 1
; LDSByteSize: 0 bytes/workgroup (compile time only)
; SGPRBlocks: 5
; VGPRBlocks: 2
; NumSGPRsForWavesPerEU: 44
; NumVGPRsForWavesPerEU: 17
; AccumOffset: 20
; Occupancy: 8
; WaveLimiterHint : 0
; COMPUTE_PGM_RSRC2:SCRATCH_EN: 0
; COMPUTE_PGM_RSRC2:USER_SGPR: 6
; COMPUTE_PGM_RSRC2:TRAP_HANDLER: 0
; COMPUTE_PGM_RSRC2:TGID_X_EN: 1
; COMPUTE_PGM_RSRC2:TGID_Y_EN: 1
; COMPUTE_PGM_RSRC2:TGID_Z_EN: 0
; COMPUTE_PGM_RSRC2:TIDIG_COMP_CNT: 0
; COMPUTE_PGM_RSRC3_GFX90A:ACCUM_OFFSET: 4
; COMPUTE_PGM_RSRC3_GFX90A:TG_SPLIT: 0
	.section	.text._ZN5aiter35fused_qk_rmsnorm_group_quant_kernelIDF16_DB8_Li64ELi4ELi32ELb1ELb0ELb0ELb0ELb0ELb0EEEvPT0_PvPT_S6_S6_PKS5_S8_S8_S8_S8_ffiiiiiiiiiiiii,"axG",@progbits,_ZN5aiter35fused_qk_rmsnorm_group_quant_kernelIDF16_DB8_Li64ELi4ELi32ELb1ELb0ELb0ELb0ELb0ELb0EEEvPT0_PvPT_S6_S6_PKS5_S8_S8_S8_S8_ffiiiiiiiiiiiii,comdat
	.protected	_ZN5aiter35fused_qk_rmsnorm_group_quant_kernelIDF16_DB8_Li64ELi4ELi32ELb1ELb0ELb0ELb0ELb0ELb0EEEvPT0_PvPT_S6_S6_PKS5_S8_S8_S8_S8_ffiiiiiiiiiiiii ; -- Begin function _ZN5aiter35fused_qk_rmsnorm_group_quant_kernelIDF16_DB8_Li64ELi4ELi32ELb1ELb0ELb0ELb0ELb0ELb0EEEvPT0_PvPT_S6_S6_PKS5_S8_S8_S8_S8_ffiiiiiiiiiiiii
	.globl	_ZN5aiter35fused_qk_rmsnorm_group_quant_kernelIDF16_DB8_Li64ELi4ELi32ELb1ELb0ELb0ELb0ELb0ELb0EEEvPT0_PvPT_S6_S6_PKS5_S8_S8_S8_S8_ffiiiiiiiiiiiii
	.p2align	8
	.type	_ZN5aiter35fused_qk_rmsnorm_group_quant_kernelIDF16_DB8_Li64ELi4ELi32ELb1ELb0ELb0ELb0ELb0ELb0EEEvPT0_PvPT_S6_S6_PKS5_S8_S8_S8_S8_ffiiiiiiiiiiiii,@function
_ZN5aiter35fused_qk_rmsnorm_group_quant_kernelIDF16_DB8_Li64ELi4ELi32ELb1ELb0ELb0ELb0ELb0ELb0EEEvPT0_PvPT_S6_S6_PKS5_S8_S8_S8_S8_ffiiiiiiiiiiiii: ; @_ZN5aiter35fused_qk_rmsnorm_group_quant_kernelIDF16_DB8_Li64ELi4ELi32ELb1ELb0ELb0ELb0ELb0ELb0EEEvPT0_PvPT_S6_S6_PKS5_S8_S8_S8_S8_ffiiiiiiiiiiiii
; %bb.0:
	s_load_dwordx8 s[8:15], s[4:5], 0x50
	s_waitcnt lgkmcnt(0)
	s_cmp_ge_i32 s6, s10
	s_cbranch_scc1 .LBB255_15
; %bb.1:
	s_cmp_lg_u32 s7, 0
	s_cselect_b64 s[2:3], -1, 0
	s_cmp_eq_u32 s7, 0
	s_cselect_b64 s[24:25], -1, 0
	s_and_b64 s[0:1], s[24:25], exec
	s_load_dwordx2 s[16:17], s[4:5], 0x48
	s_load_dwordx2 s[30:31], s[4:5], 0x30
	s_load_dwordx4 s[20:23], s[4:5], 0x70
	s_cselect_b32 s7, s11, s12
	s_add_i32 s0, s7, 1
	s_lshr_b32 s1, s0, 31
	s_add_i32 s0, s0, s1
	s_lshl_b32 s0, s0, 1
	v_lshlrev_b32_e32 v1, 2, v0
	s_and_b32 s26, s0, -4
	v_cmp_gt_i32_e64 s[0:1], s7, v1
	v_mov_b32_e32 v8, 0
	v_mov_b32_e32 v9, 0
	;; [unrolled: 1-line block ×4, first 2 shown]
	s_and_saveexec_b64 s[18:19], s[0:1]
	s_cbranch_execz .LBB255_3
; %bb.2:
	s_load_dwordx2 s[28:29], s[4:5], 0x28
	s_load_dwordx2 s[34:35], s[4:5], 0x40
	s_and_b64 s[36:37], s[24:25], exec
	s_cselect_b32 s10, s13, s14
	s_mov_b32 s27, 0x20000
	s_waitcnt lgkmcnt(0)
	s_cselect_b32 s13, s29, s31
	s_cselect_b32 s23, s28, s30
	s_mul_hi_i32 s29, s10, s6
	s_mul_i32 s28, s10, s6
	s_lshl_b64 s[28:29], s[28:29], 1
	s_add_u32 s36, s23, s28
	s_addc_u32 s10, s13, s29
	s_and_b64 s[24:25], s[24:25], exec
	s_cselect_b32 s24, s34, s16
	s_cselect_b32 s13, s35, s17
	v_lshlrev_b32_e32 v2, 3, v0
	s_and_b32 s37, s10, 0xffff
	s_mov_b32 s38, s26
	s_mov_b32 s39, s27
	s_and_b32 s25, s13, 0xffff
	buffer_load_dwordx2 v[10:11], v2, s[36:39], 0 offen glc slc
	buffer_load_dwordx2 v[8:9], v2, s[24:27], 0 offen
.LBB255_3:
	s_or_b64 exec, exec, s[18:19]
	s_load_dwordx2 s[28:29], s[4:5], 0x80
	s_and_b64 vcc, exec, s[2:3]
	s_cbranch_vccz .LBB255_7
; %bb.4:
	v_mov_b32_e32 v7, 0
	v_mov_b32_e32 v6, 0
	;; [unrolled: 1-line block ×4, first 2 shown]
	s_and_saveexec_b64 s[18:19], s[0:1]
	s_cbranch_execz .LBB255_6
; %bb.5:
	s_waitcnt vmcnt(1)
	v_cvt_f32_f16_sdwa v3, v10 dst_sel:DWORD dst_unused:UNUSED_PAD src0_sel:WORD_1
	v_cvt_f32_f16_e32 v2, v10
	v_cvt_f32_f16_sdwa v7, v11 dst_sel:DWORD dst_unused:UNUSED_PAD src0_sel:WORD_1
	v_cvt_f32_f16_e32 v6, v11
.LBB255_6:
	s_or_b64 exec, exec, s[18:19]
	s_mov_b32 s10, s9
	s_cbranch_execz .LBB255_8
	s_branch .LBB255_11
.LBB255_7:
                                        ; implicit-def: $vgpr7
                                        ; implicit-def: $vgpr2_vgpr3_vgpr4_vgpr5
	s_mov_b32 s10, s9
.LBB255_8:
	v_mov_b32_e32 v7, 0
	v_mov_b32_e32 v6, 0
	;; [unrolled: 1-line block ×4, first 2 shown]
	s_and_saveexec_b64 s[18:19], s[0:1]
	s_cbranch_execz .LBB255_10
; %bb.9:
	s_load_dwordx2 s[24:25], s[4:5], 0x38
	s_mul_hi_i32 s35, s15, s6
	s_mul_i32 s34, s15, s6
	s_lshl_b64 s[34:35], s[34:35], 1
	s_mov_b32 s27, 0x20000
	s_waitcnt lgkmcnt(0)
	s_add_u32 s24, s24, s34
	s_addc_u32 s10, s25, s35
	s_and_b32 s25, s10, 0xffff
	v_lshlrev_b32_e32 v14, 3, v0
	buffer_load_dwordx2 v[2:3], v14, s[24:27], 0 offen glc slc
	s_waitcnt vmcnt(2)
	v_cvt_f32_f16_sdwa v5, v10 dst_sel:DWORD dst_unused:UNUSED_PAD src0_sel:WORD_1
	v_cvt_f32_f16_e32 v4, v10
	v_cvt_f32_f16_sdwa v7, v11 dst_sel:DWORD dst_unused:UNUSED_PAD src0_sel:WORD_1
	v_cvt_f32_f16_e32 v6, v11
	s_load_dwordx2 s[24:25], s[4:5], 0x20
	s_mul_hi_i32 s35, s29, s6
	s_mul_i32 s34, s29, s6
	s_lshl_b64 s[34:35], s[34:35], 1
	s_waitcnt lgkmcnt(0)
	s_add_u32 s24, s24, s34
	s_addc_u32 s10, s25, s35
	s_and_b32 s25, s10, 0xffff
	s_waitcnt vmcnt(0)
	v_cvt_f32_f16_e32 v10, v2
	v_cvt_f32_f16_sdwa v11, v2 dst_sel:DWORD dst_unused:UNUSED_PAD src0_sel:WORD_1
	v_cvt_f32_f16_e32 v12, v3
	v_cvt_f32_f16_sdwa v13, v3 dst_sel:DWORD dst_unused:UNUSED_PAD src0_sel:WORD_1
	v_pk_add_f32 v[2:3], v[4:5], v[10:11]
	v_cvt_f16_f32_e32 v4, v3
	v_pk_add_f32 v[6:7], v[6:7], v[12:13]
	v_cvt_f16_f32_e32 v5, v7
	v_cvt_f16_f32_e32 v10, v6
	;; [unrolled: 1-line block ×3, first 2 shown]
	v_pack_b32_f16 v5, v10, v5
	v_pack_b32_f16 v4, v11, v4
	buffer_store_dwordx2 v[4:5], v14, s[24:27], 0 offen glc slc
	;;#ASMSTART
	s_nop 0
	;;#ASMEND
.LBB255_10:
	s_or_b64 exec, exec, s[18:19]
	s_mov_b32 s10, s8
.LBB255_11:
	v_mul_f32_e32 v4, v3, v3
	v_fmac_f32_e32 v4, v2, v2
	v_fmac_f32_e32 v4, v6, v6
	;; [unrolled: 1-line block ×3, first 2 shown]
	s_load_dwordx2 s[34:35], s[4:5], 0x18
	s_nop 0
	v_mov_b32_dpp v5, v4 quad_perm:[1,0,3,2] row_mask:0xf bank_mask:0xf
	v_add_f32_e32 v4, v4, v5
	s_nop 1
	v_mov_b32_dpp v5, v4 quad_perm:[2,3,0,1] row_mask:0xf bank_mask:0xf
	v_add_f32_e32 v4, v4, v5
	s_nop 1
	v_mov_b32_dpp v5, v4 row_half_mirror row_mask:0xf bank_mask:0xf
	v_add_f32_e32 v4, v4, v5
	s_nop 1
	v_mov_b32_dpp v5, v4 row_mirror row_mask:0xf bank_mask:0xf
	v_add_f32_e32 v4, v4, v5
	s_nop 1
	v_mov_b32_dpp v5, v4 row_bcast:15 row_mask:0xf bank_mask:0xf
	v_add_f32_e32 v4, v4, v5
	s_nop 1
	v_mov_b32_dpp v5, v4 row_bcast:31 row_mask:0xf bank_mask:0xf
	v_add_f32_e32 v5, v4, v5
	v_mbcnt_lo_u32_b32 v4, -1, 0
	v_mbcnt_hi_u32_b32 v4, -1, v4
	v_lshlrev_b32_e32 v4, 2, v4
	s_waitcnt vmcnt(1)
	v_or_b32_e32 v10, 0xfc, v4
	ds_bpermute_b32 v5, v10, v5
	s_and_saveexec_b64 s[18:19], s[0:1]
	s_cbranch_execnz .LBB255_16
; %bb.12:
	s_or_b64 exec, exec, s[18:19]
	s_mov_b64 s[18:19], -1
	s_and_b64 vcc, exec, s[2:3]
	s_cbranch_vccnz .LBB255_17
.LBB255_13:
	s_andn2_b64 vcc, exec, s[18:19]
	s_cbranch_vccz .LBB255_20
.LBB255_14:
	s_cmp_lt_i32 s12, 1
	s_cbranch_scc0 .LBB255_27
.LBB255_15:
	s_endpgm
.LBB255_16:
	v_cvt_f32_u32_e32 v11, s7
	s_mov_b32 s7, 0x800000
	s_waitcnt lgkmcnt(0)
	v_div_scale_f32 v12, s[24:25], v11, v11, v5
	v_rcp_f32_e32 v13, v12
	v_div_scale_f32 v14, vcc, v5, v11, v5
	v_fma_f32 v15, -v12, v13, 1.0
	v_fmac_f32_e32 v13, v15, v13
	v_mul_f32_e32 v15, v14, v13
	v_fma_f32 v16, -v12, v15, v14
	v_fmac_f32_e32 v15, v16, v13
	v_fma_f32 v12, -v12, v15, v14
	v_div_fmas_f32 v12, v12, v13, v15
	v_div_fixup_f32 v5, v12, v11, v5
	v_add_f32_e32 v5, s10, v5
	v_mul_f32_e32 v11, 0x4b800000, v5
	v_cmp_gt_f32_e32 vcc, s7, v5
	v_cndmask_b32_e32 v5, v5, v11, vcc
	v_rsq_f32_e32 v5, v5
	s_waitcnt vmcnt(0)
	v_cvt_f32_f16_sdwa v13, v8 dst_sel:DWORD dst_unused:UNUSED_PAD src0_sel:WORD_1
	v_cvt_f32_f16_e32 v12, v8
	v_cvt_f32_f16_sdwa v15, v9 dst_sel:DWORD dst_unused:UNUSED_PAD src0_sel:WORD_1
	v_mul_f32_e32 v8, 0x45800000, v5
	v_cndmask_b32_e32 v16, v5, v8, vcc
	v_mov_b32_e32 v17, v16
	;;#ASMSTART
	v_pk_mul_f32 v[2:3], v[2:3], v[16:17]
	;;#ASMEND
	;;#ASMSTART
	v_pk_mul_f32 v[6:7], v[6:7], v[16:17]
	;;#ASMEND
	v_cvt_f32_f16_e32 v14, v9
	;;#ASMSTART
	v_pk_mul_f32 v[2:3], v[2:3], v[12:13]
	;;#ASMEND
	;;#ASMSTART
	v_pk_mul_f32 v[6:7], v[6:7], v[14:15]
	;;#ASMEND
	s_or_b64 exec, exec, s[18:19]
	s_mov_b64 s[18:19], -1
	s_and_b64 vcc, exec, s[2:3]
	s_cbranch_vccz .LBB255_13
.LBB255_17:
	s_and_saveexec_b64 s[2:3], s[0:1]
	s_cbranch_execz .LBB255_19
; %bb.18:
	s_waitcnt lgkmcnt(0)
	s_mul_hi_i32 s19, s28, s6
	s_mul_i32 s18, s28, s6
	v_cvt_f16_f32_e32 v5, v2
	s_waitcnt vmcnt(0)
	v_cvt_f16_f32_e32 v8, v6
	v_cvt_f16_f32_e32 v9, v7
	v_cvt_f16_f32_e32 v11, v3
	s_lshl_b64 s[18:19], s[18:19], 1
	s_add_u32 s24, s34, s18
	s_addc_u32 s7, s35, s19
	s_and_b32 s25, s7, 0xffff
	s_mov_b32 s27, 0x20000
	v_pack_b32_f16 v9, v8, v9
	v_pack_b32_f16 v8, v5, v11
	v_lshlrev_b32_e32 v5, 3, v0
	buffer_store_dwordx2 v[8:9], v5, s[24:27], 0 offen
	;;#ASMSTART
	s_nop 0
	;;#ASMEND
.LBB255_19:
	s_or_b64 exec, exec, s[2:3]
	s_cbranch_execnz .LBB255_14
.LBB255_20:
	s_waitcnt lgkmcnt(0)
	v_mov_b32_e32 v5, 0
	s_and_saveexec_b64 s[2:3], s[0:1]
	s_cbranch_execz .LBB255_22
; %bb.21:
	v_and_b32_e32 v5, 0x7fffffff, v2
	s_waitcnt vmcnt(0)
	v_and_b32_e32 v8, 0x7fffffff, v3
	v_mov_b32_e32 v9, 0x2edbe6ff
	;;#ASMSTART
	v_max3_f32 v5, v9, v5, v8

	;;#ASMEND
	v_and_b32_e32 v8, 0x7fffffff, v6
	v_and_b32_e32 v9, 0x7fffffff, v7
	;;#ASMSTART
	v_max3_f32 v5, v5, v8, v9

	;;#ASMEND
.LBB255_22:
	s_or_b64 exec, exec, s[2:3]
	s_waitcnt vmcnt(0)
	;;#ASMSTART
	v_max_f32 v8, v5, v5 quad_perm:[1,0,3,2] row_mask:0xf bank_mask:0xf bound_ctrl:1
	;;#ASMEND
	;;#ASMSTART
	v_max_f32 v5, v8, v8 quad_perm:[2,3,0,1] row_mask:0xf bank_mask:0xf bound_ctrl:1
	;;#ASMEND
	;;#ASMSTART
	v_max_f32 v8, v5, v5 row_half_mirror row_mask:0xf bank_mask:0xf bound_ctrl:1
	;;#ASMEND
	;;#ASMSTART
	v_max_f32 v5, v8, v8 row_mirror row_mask:0xf bank_mask:0xf bound_ctrl:1
	;;#ASMEND
	;;#ASMSTART
	v_max_f32 v8, v5, v5 row_ror:4 row_mask:0xf bank_mask:0xf bound_ctrl:1
	;;#ASMEND
	v_or_b32_e32 v4, 0x7c, v4
	;;#ASMSTART
	v_max_f32 v5, v8, v8 row_ror:8 row_mask:0xf bank_mask:0xf bound_ctrl:1
	;;#ASMEND
	;;#ASMSTART
	v_max_f32 v8, v5, v5 row_bcast:15 row_mask:0xa bank_mask:0xf bound_ctrl:1
	;;#ASMEND
	ds_bpermute_b32 v4, v4, v8
	v_and_b32_e32 v5, 31, v0
	v_cmp_gt_i32_e32 vcc, s11, v1
	v_cmp_eq_u32_e64 s[2:3], 0, v5
	s_and_b64 s[18:19], s[2:3], vcc
	s_waitcnt lgkmcnt(0)
	v_mul_f32_e32 v4, 0x3b124925, v4
	s_and_saveexec_b64 s[2:3], s[18:19]
	s_cbranch_execz .LBB255_24
; %bb.23:
	s_load_dwordx2 s[18:19], s[4:5], 0x8
	v_lshrrev_b32_e32 v5, 5, v0
	s_mul_hi_i32 s25, s21, s6
	s_mul_i32 s24, s21, s6
	v_mad_i64_i32 v[8:9], s[22:23], s22, v5, 0
	s_lshl_b64 s[22:23], s[24:25], 2
	s_waitcnt lgkmcnt(0)
	s_add_u32 s7, s18, s22
	s_addc_u32 s8, s19, s23
	v_lshlrev_b64 v[8:9], 2, v[8:9]
	v_mov_b32_e32 v5, s8
	v_add_co_u32_e32 v8, vcc, s7, v8
	v_addc_co_u32_e32 v9, vcc, v5, v9, vcc
	global_store_dword v[8:9], v4, off
.LBB255_24:
	s_or_b64 exec, exec, s[2:3]
	;;#ASMSTART
	v_rcp_f32 v4, v4
	;;#ASMEND
	s_and_saveexec_b64 s[2:3], s[0:1]
	s_cbranch_execz .LBB255_26
; %bb.25:
	s_load_dwordx2 s[0:1], s[4:5], 0x0
	s_mul_i32 s8, s20, s6
	s_mul_hi_i32 s7, s20, s6
	v_mov_b32_e32 v5, v4
	;;#ASMSTART
	v_pk_mul_f32 v[2:3], v[2:3], v[4:5]
	;;#ASMEND
	s_waitcnt lgkmcnt(0)
	s_add_u32 s20, s0, s8
	s_addc_u32 s0, s1, s7
	s_add_i32 s1, s11, 3
	s_ashr_i32 s7, s1, 31
	v_mov_b32_e32 v8, 0xc3e00000
	v_mov_b32_e32 v9, 0x43e00000
	;;#ASMSTART
	v_med3_f32 v2, v2, v8, v9
v_med3_f32 v3, v3, v8, v9
v_cvt_pk_fp8_f32 v11, v2, v3
	;;#ASMEND
	s_and_b32 s21, s0, 0xffff
	s_lshr_b32 s0, s7, 30
	;;#ASMSTART
	v_pk_mul_f32 v[2:3], v[6:7], v[4:5]
	;;#ASMEND
	s_add_i32 s1, s1, s0
	;;#ASMSTART
	v_med3_f32 v2, v2, v8, v9
v_med3_f32 v3, v3, v8, v9
v_cvt_pk_fp8_f32 v4, v2, v3
	;;#ASMEND
	s_mov_b32 s0, 0x5040100
	s_and_b32 s22, s1, -4
	s_mov_b32 s23, 0x20000
	v_perm_b32 v2, v4, v11, s0
	buffer_store_dword v2, v1, s[20:23], 0 offen
	;;#ASMSTART
	s_nop 0
	;;#ASMEND
.LBB255_26:
	s_or_b64 exec, exec, s[2:3]
	s_cmp_lt_i32 s12, 1
	s_cbranch_scc1 .LBB255_15
.LBB255_27:
	s_load_dword s0, s[4:5], 0x94
	s_waitcnt lgkmcnt(0)
	s_cmp_lg_u32 s0, 1
	s_cbranch_scc1 .LBB255_15
; %bb.28:
	s_lshl_b32 s0, s12, 1
	s_add_i32 s0, s0, 2
	v_cmp_gt_u32_e32 vcc, s12, v1
	s_and_b32 s18, s0, -4
	v_mov_b32_e32 v2, 0
	v_lshlrev_b32_e32 v6, 3, v0
	v_mov_b32_e32 v3, 0
	v_mov_b32_e32 v0, 0
	;; [unrolled: 1-line block ×3, first 2 shown]
	s_barrier
	s_and_saveexec_b64 s[0:1], vcc
	s_cbranch_execz .LBB255_30
; %bb.29:
	s_mul_hi_i32 s3, s14, s6
	s_mul_i32 s2, s14, s6
	s_and_b32 s17, s17, 0xffff
	s_lshl_b64 s[2:3], s[2:3], 1
	s_add_u32 s20, s30, s2
	s_mov_b32 s19, 0x20000
	s_addc_u32 s2, s31, s3
	s_and_b32 s21, s2, 0xffff
	s_mov_b32 s22, s18
	s_mov_b32 s23, s19
	buffer_load_dwordx2 v[2:3], v6, s[20:23], 0 offen glc slc
	buffer_load_dwordx2 v[0:1], v6, s[16:19], 0 offen
.LBB255_30:
	s_or_b64 exec, exec, s[0:1]
	s_waitcnt vmcnt(1)
	v_cvt_f32_f16_e32 v4, v3
	v_cvt_f32_f16_e32 v5, v2
	v_cvt_f32_f16_sdwa v7, v2 dst_sel:DWORD dst_unused:UNUSED_PAD src0_sel:WORD_1
	v_cvt_f32_f16_sdwa v3, v3 dst_sel:DWORD dst_unused:UNUSED_PAD src0_sel:WORD_1
	v_cndmask_b32_e32 v2, 0, v4, vcc
	v_cndmask_b32_e32 v4, 0, v5, vcc
	;; [unrolled: 1-line block ×3, first 2 shown]
	v_mul_f32_e32 v7, v5, v5
	v_fmac_f32_e32 v7, v4, v4
	v_cndmask_b32_e32 v3, 0, v3, vcc
	v_fmac_f32_e32 v7, v2, v2
	v_fmac_f32_e32 v7, v3, v3
	s_waitcnt vmcnt(0)
	s_nop 0
	v_mov_b32_dpp v8, v7 quad_perm:[1,0,3,2] row_mask:0xf bank_mask:0xf
	v_add_f32_e32 v7, v7, v8
	s_nop 1
	v_mov_b32_dpp v8, v7 quad_perm:[2,3,0,1] row_mask:0xf bank_mask:0xf
	v_add_f32_e32 v7, v7, v8
	s_nop 1
	v_mov_b32_dpp v8, v7 row_half_mirror row_mask:0xf bank_mask:0xf
	v_add_f32_e32 v7, v7, v8
	s_nop 1
	v_mov_b32_dpp v8, v7 row_mirror row_mask:0xf bank_mask:0xf
	v_add_f32_e32 v7, v7, v8
	s_nop 1
	v_mov_b32_dpp v8, v7 row_bcast:15 row_mask:0xf bank_mask:0xf
	v_add_f32_e32 v7, v7, v8
	s_nop 1
	v_mov_b32_dpp v8, v7 row_bcast:31 row_mask:0xf bank_mask:0xf
	v_add_f32_e32 v7, v7, v8
	ds_bpermute_b32 v7, v10, v7
	s_and_saveexec_b64 s[0:1], vcc
	s_cbranch_execz .LBB255_15
; %bb.31:
	v_cvt_f32_u32_e32 v8, s12
	s_mov_b32 s19, 0x20000
	s_waitcnt lgkmcnt(0)
	v_div_scale_f32 v9, s[0:1], v8, v8, v7
	v_rcp_f32_e32 v10, v9
	v_div_scale_f32 v11, vcc, v7, v8, v7
	s_mov_b32 s0, 0x800000
	v_fma_f32 v12, -v9, v10, 1.0
	v_fmac_f32_e32 v10, v12, v10
	v_mul_f32_e32 v12, v11, v10
	v_fma_f32 v13, -v9, v12, v11
	v_fmac_f32_e32 v12, v13, v10
	v_fma_f32 v9, -v9, v12, v11
	v_div_fmas_f32 v9, v9, v10, v12
	v_div_fixup_f32 v7, v9, v8, v7
	v_add_f32_e32 v7, s9, v7
	v_mul_f32_e32 v8, 0x4b800000, v7
	v_cmp_gt_f32_e32 vcc, s0, v7
	v_cndmask_b32_e32 v7, v7, v8, vcc
	v_rsq_f32_e32 v7, v7
	v_cvt_f32_f16_sdwa v9, v0 dst_sel:DWORD dst_unused:UNUSED_PAD src0_sel:WORD_1
	v_cvt_f32_f16_e32 v8, v0
	v_cvt_f32_f16_sdwa v11, v1 dst_sel:DWORD dst_unused:UNUSED_PAD src0_sel:WORD_1
	v_mul_f32_e32 v0, 0x45800000, v7
	v_cndmask_b32_e32 v12, v7, v0, vcc
	v_mov_b32_e32 v13, v12
	v_cvt_f32_f16_e32 v10, v1
	;;#ASMSTART
	v_pk_mul_f32 v[0:1], v[4:5], v[12:13]
	;;#ASMEND
	;;#ASMSTART
	v_pk_mul_f32 v[2:3], v[2:3], v[12:13]
	;;#ASMEND
	;; [unrolled: 3-line block ×4, first 2 shown]
	s_mul_hi_i32 s1, s28, s6
	s_mul_i32 s0, s28, s6
	v_cvt_f16_f32_e32 v0, v0
	v_cvt_f16_f32_e32 v1, v1
	;; [unrolled: 1-line block ×4, first 2 shown]
	s_lshl_b64 s[0:1], s[0:1], 1
	s_add_u32 s16, s34, s0
	s_addc_u32 s0, s35, s1
	s_and_b32 s17, s0, 0xffff
	v_pack_b32_f16 v0, v0, v1
	v_pack_b32_f16 v1, v2, v3
	buffer_store_dwordx2 v[0:1], v6, s[16:19], 0 offen
	;;#ASMSTART
	s_nop 0
	;;#ASMEND
	s_endpgm
	.section	.rodata,"a",@progbits
	.p2align	6, 0x0
	.amdhsa_kernel _ZN5aiter35fused_qk_rmsnorm_group_quant_kernelIDF16_DB8_Li64ELi4ELi32ELb1ELb0ELb0ELb0ELb0ELb0EEEvPT0_PvPT_S6_S6_PKS5_S8_S8_S8_S8_ffiiiiiiiiiiiii
		.amdhsa_group_segment_fixed_size 0
		.amdhsa_private_segment_fixed_size 0
		.amdhsa_kernarg_size 400
		.amdhsa_user_sgpr_count 6
		.amdhsa_user_sgpr_private_segment_buffer 1
		.amdhsa_user_sgpr_dispatch_ptr 0
		.amdhsa_user_sgpr_queue_ptr 0
		.amdhsa_user_sgpr_kernarg_segment_ptr 1
		.amdhsa_user_sgpr_dispatch_id 0
		.amdhsa_user_sgpr_flat_scratch_init 0
		.amdhsa_user_sgpr_kernarg_preload_length 0
		.amdhsa_user_sgpr_kernarg_preload_offset 0
		.amdhsa_user_sgpr_private_segment_size 0
		.amdhsa_uses_dynamic_stack 0
		.amdhsa_system_sgpr_private_segment_wavefront_offset 0
		.amdhsa_system_sgpr_workgroup_id_x 1
		.amdhsa_system_sgpr_workgroup_id_y 1
		.amdhsa_system_sgpr_workgroup_id_z 0
		.amdhsa_system_sgpr_workgroup_info 0
		.amdhsa_system_vgpr_workitem_id 0
		.amdhsa_next_free_vgpr 18
		.amdhsa_next_free_sgpr 40
		.amdhsa_accum_offset 20
		.amdhsa_reserve_vcc 1
		.amdhsa_reserve_flat_scratch 0
		.amdhsa_float_round_mode_32 0
		.amdhsa_float_round_mode_16_64 0
		.amdhsa_float_denorm_mode_32 3
		.amdhsa_float_denorm_mode_16_64 3
		.amdhsa_dx10_clamp 1
		.amdhsa_ieee_mode 1
		.amdhsa_fp16_overflow 0
		.amdhsa_tg_split 0
		.amdhsa_exception_fp_ieee_invalid_op 0
		.amdhsa_exception_fp_denorm_src 0
		.amdhsa_exception_fp_ieee_div_zero 0
		.amdhsa_exception_fp_ieee_overflow 0
		.amdhsa_exception_fp_ieee_underflow 0
		.amdhsa_exception_fp_ieee_inexact 0
		.amdhsa_exception_int_div_zero 0
	.end_amdhsa_kernel
	.section	.text._ZN5aiter35fused_qk_rmsnorm_group_quant_kernelIDF16_DB8_Li64ELi4ELi32ELb1ELb0ELb0ELb0ELb0ELb0EEEvPT0_PvPT_S6_S6_PKS5_S8_S8_S8_S8_ffiiiiiiiiiiiii,"axG",@progbits,_ZN5aiter35fused_qk_rmsnorm_group_quant_kernelIDF16_DB8_Li64ELi4ELi32ELb1ELb0ELb0ELb0ELb0ELb0EEEvPT0_PvPT_S6_S6_PKS5_S8_S8_S8_S8_ffiiiiiiiiiiiii,comdat
.Lfunc_end255:
	.size	_ZN5aiter35fused_qk_rmsnorm_group_quant_kernelIDF16_DB8_Li64ELi4ELi32ELb1ELb0ELb0ELb0ELb0ELb0EEEvPT0_PvPT_S6_S6_PKS5_S8_S8_S8_S8_ffiiiiiiiiiiiii, .Lfunc_end255-_ZN5aiter35fused_qk_rmsnorm_group_quant_kernelIDF16_DB8_Li64ELi4ELi32ELb1ELb0ELb0ELb0ELb0ELb0EEEvPT0_PvPT_S6_S6_PKS5_S8_S8_S8_S8_ffiiiiiiiiiiiii
                                        ; -- End function
	.section	.AMDGPU.csdata,"",@progbits
; Kernel info:
; codeLenInByte = 2176
; NumSgprs: 44
; NumVgprs: 18
; NumAgprs: 0
; TotalNumVgprs: 18
; ScratchSize: 0
; MemoryBound: 0
; FloatMode: 240
; IeeeMode: 1
; LDSByteSize: 0 bytes/workgroup (compile time only)
; SGPRBlocks: 5
; VGPRBlocks: 2
; NumSGPRsForWavesPerEU: 44
; NumVGPRsForWavesPerEU: 18
; AccumOffset: 20
; Occupancy: 8
; WaveLimiterHint : 0
; COMPUTE_PGM_RSRC2:SCRATCH_EN: 0
; COMPUTE_PGM_RSRC2:USER_SGPR: 6
; COMPUTE_PGM_RSRC2:TRAP_HANDLER: 0
; COMPUTE_PGM_RSRC2:TGID_X_EN: 1
; COMPUTE_PGM_RSRC2:TGID_Y_EN: 1
; COMPUTE_PGM_RSRC2:TGID_Z_EN: 0
; COMPUTE_PGM_RSRC2:TIDIG_COMP_CNT: 0
; COMPUTE_PGM_RSRC3_GFX90A:ACCUM_OFFSET: 4
; COMPUTE_PGM_RSRC3_GFX90A:TG_SPLIT: 0
	.section	.text._ZN5aiter35fused_qk_rmsnorm_group_quant_kernelItDB8_Li64ELi4ELi32ELb1ELb0ELb0ELb0ELb0ELb0EEEvPT0_PvPT_S6_S6_PKS5_S8_S8_S8_S8_ffiiiiiiiiiiiii,"axG",@progbits,_ZN5aiter35fused_qk_rmsnorm_group_quant_kernelItDB8_Li64ELi4ELi32ELb1ELb0ELb0ELb0ELb0ELb0EEEvPT0_PvPT_S6_S6_PKS5_S8_S8_S8_S8_ffiiiiiiiiiiiii,comdat
	.protected	_ZN5aiter35fused_qk_rmsnorm_group_quant_kernelItDB8_Li64ELi4ELi32ELb1ELb0ELb0ELb0ELb0ELb0EEEvPT0_PvPT_S6_S6_PKS5_S8_S8_S8_S8_ffiiiiiiiiiiiii ; -- Begin function _ZN5aiter35fused_qk_rmsnorm_group_quant_kernelItDB8_Li64ELi4ELi32ELb1ELb0ELb0ELb0ELb0ELb0EEEvPT0_PvPT_S6_S6_PKS5_S8_S8_S8_S8_ffiiiiiiiiiiiii
	.globl	_ZN5aiter35fused_qk_rmsnorm_group_quant_kernelItDB8_Li64ELi4ELi32ELb1ELb0ELb0ELb0ELb0ELb0EEEvPT0_PvPT_S6_S6_PKS5_S8_S8_S8_S8_ffiiiiiiiiiiiii
	.p2align	8
	.type	_ZN5aiter35fused_qk_rmsnorm_group_quant_kernelItDB8_Li64ELi4ELi32ELb1ELb0ELb0ELb0ELb0ELb0EEEvPT0_PvPT_S6_S6_PKS5_S8_S8_S8_S8_ffiiiiiiiiiiiii,@function
_ZN5aiter35fused_qk_rmsnorm_group_quant_kernelItDB8_Li64ELi4ELi32ELb1ELb0ELb0ELb0ELb0ELb0EEEvPT0_PvPT_S6_S6_PKS5_S8_S8_S8_S8_ffiiiiiiiiiiiii: ; @_ZN5aiter35fused_qk_rmsnorm_group_quant_kernelItDB8_Li64ELi4ELi32ELb1ELb0ELb0ELb0ELb0ELb0EEEvPT0_PvPT_S6_S6_PKS5_S8_S8_S8_S8_ffiiiiiiiiiiiii
; %bb.0:
	s_load_dwordx8 s[8:15], s[4:5], 0x50
	s_waitcnt lgkmcnt(0)
	s_cmp_ge_i32 s6, s10
	s_cbranch_scc1 .LBB256_15
; %bb.1:
	s_cmp_lg_u32 s7, 0
	s_cselect_b64 s[2:3], -1, 0
	s_cmp_eq_u32 s7, 0
	s_cselect_b64 s[24:25], -1, 0
	s_and_b64 s[0:1], s[24:25], exec
	s_load_dwordx2 s[16:17], s[4:5], 0x48
	s_load_dwordx2 s[30:31], s[4:5], 0x30
	s_load_dwordx4 s[20:23], s[4:5], 0x70
	s_cselect_b32 s7, s11, s12
	s_add_i32 s0, s7, 1
	s_lshr_b32 s1, s0, 31
	s_add_i32 s0, s0, s1
	s_lshl_b32 s0, s0, 1
	v_lshlrev_b32_e32 v1, 2, v0
	s_and_b32 s26, s0, -4
	v_cmp_gt_i32_e64 s[0:1], s7, v1
	v_mov_b32_e32 v6, 0
	v_mov_b32_e32 v7, 0
	v_mov_b32_e32 v8, 0
	v_mov_b32_e32 v9, 0
	s_and_saveexec_b64 s[18:19], s[0:1]
	s_cbranch_execz .LBB256_3
; %bb.2:
	s_load_dwordx2 s[28:29], s[4:5], 0x28
	s_load_dwordx2 s[34:35], s[4:5], 0x40
	s_and_b64 s[36:37], s[24:25], exec
	s_cselect_b32 s10, s13, s14
	s_mov_b32 s27, 0x20000
	s_waitcnt lgkmcnt(0)
	s_cselect_b32 s13, s29, s31
	s_cselect_b32 s23, s28, s30
	s_mul_hi_i32 s29, s10, s6
	s_mul_i32 s28, s10, s6
	s_lshl_b64 s[28:29], s[28:29], 1
	s_add_u32 s36, s23, s28
	s_addc_u32 s10, s13, s29
	s_and_b64 s[24:25], s[24:25], exec
	s_cselect_b32 s24, s34, s16
	s_cselect_b32 s13, s35, s17
	v_lshlrev_b32_e32 v2, 3, v0
	s_and_b32 s37, s10, 0xffff
	s_mov_b32 s38, s26
	s_mov_b32 s39, s27
	s_and_b32 s25, s13, 0xffff
	buffer_load_dwordx2 v[8:9], v2, s[36:39], 0 offen glc slc
	buffer_load_dwordx2 v[6:7], v2, s[24:27], 0 offen
.LBB256_3:
	s_or_b64 exec, exec, s[18:19]
	s_load_dwordx2 s[28:29], s[4:5], 0x80
	s_and_b64 vcc, exec, s[2:3]
	s_cbranch_vccz .LBB256_7
; %bb.4:
	s_mov_b32 s36, 0
	s_mov_b32 s37, s36
	;; [unrolled: 1-line block ×4, first 2 shown]
	v_pk_mov_b32 v[2:3], s[36:37], s[36:37] op_sel:[0,1]
	v_pk_mov_b32 v[4:5], s[38:39], s[38:39] op_sel:[0,1]
	s_and_saveexec_b64 s[18:19], s[0:1]
	s_cbranch_execz .LBB256_6
; %bb.5:
	s_waitcnt vmcnt(1)
	v_cvt_f32_u32_sdwa v3, v8 dst_sel:DWORD dst_unused:UNUSED_PAD src0_sel:WORD_1
	v_cvt_f32_u32_sdwa v2, v8 dst_sel:DWORD dst_unused:UNUSED_PAD src0_sel:WORD_0
	v_cvt_f32_u32_sdwa v5, v9 dst_sel:DWORD dst_unused:UNUSED_PAD src0_sel:WORD_1
	v_cvt_f32_u32_sdwa v4, v9 dst_sel:DWORD dst_unused:UNUSED_PAD src0_sel:WORD_0
.LBB256_6:
	s_or_b64 exec, exec, s[18:19]
	s_mov_b32 s10, s9
	s_cbranch_execz .LBB256_8
	s_branch .LBB256_11
.LBB256_7:
                                        ; implicit-def: $vgpr2_vgpr3_vgpr4_vgpr5
	s_mov_b32 s10, s9
.LBB256_8:
	s_mov_b32 s36, 0
	s_mov_b32 s37, s36
	;; [unrolled: 1-line block ×4, first 2 shown]
	v_pk_mov_b32 v[2:3], s[36:37], s[36:37] op_sel:[0,1]
	v_pk_mov_b32 v[4:5], s[38:39], s[38:39] op_sel:[0,1]
	s_and_saveexec_b64 s[18:19], s[0:1]
	s_cbranch_execz .LBB256_10
; %bb.9:
	s_load_dwordx2 s[24:25], s[4:5], 0x38
	s_mul_hi_i32 s35, s15, s6
	s_mul_i32 s34, s15, s6
	s_lshl_b64 s[34:35], s[34:35], 1
	s_mov_b32 s27, 0x20000
	s_waitcnt lgkmcnt(0)
	s_add_u32 s24, s24, s34
	s_addc_u32 s10, s25, s35
	s_and_b32 s25, s10, 0xffff
	v_lshlrev_b32_e32 v14, 3, v0
	buffer_load_dwordx2 v[2:3], v14, s[24:27], 0 offen glc slc
	s_load_dwordx2 s[24:25], s[4:5], 0x20
	s_waitcnt vmcnt(2)
	v_cvt_f32_u32_sdwa v5, v8 dst_sel:DWORD dst_unused:UNUSED_PAD src0_sel:WORD_1
	v_cvt_f32_u32_sdwa v4, v8 dst_sel:DWORD dst_unused:UNUSED_PAD src0_sel:WORD_0
	v_cvt_f32_u32_sdwa v11, v9 dst_sel:DWORD dst_unused:UNUSED_PAD src0_sel:WORD_1
	v_cvt_f32_u32_sdwa v10, v9 dst_sel:DWORD dst_unused:UNUSED_PAD src0_sel:WORD_0
	s_mul_hi_i32 s35, s29, s6
	s_mul_i32 s34, s29, s6
	s_lshl_b64 s[34:35], s[34:35], 1
	s_waitcnt lgkmcnt(0)
	s_add_u32 s24, s24, s34
	s_mov_b32 s10, 0x7060302
	s_addc_u32 s13, s25, s35
	s_and_b32 s25, s13, 0xffff
	s_waitcnt vmcnt(0)
	v_cvt_f32_u32_sdwa v9, v2 dst_sel:DWORD dst_unused:UNUSED_PAD src0_sel:WORD_1
	v_cvt_f32_u32_sdwa v8, v2 dst_sel:DWORD dst_unused:UNUSED_PAD src0_sel:WORD_0
	v_cvt_f32_u32_sdwa v13, v3 dst_sel:DWORD dst_unused:UNUSED_PAD src0_sel:WORD_1
	v_cvt_f32_u32_sdwa v12, v3 dst_sel:DWORD dst_unused:UNUSED_PAD src0_sel:WORD_0
	v_pk_add_f32 v[2:3], v[4:5], v[8:9]
	v_perm_b32 v8, v3, v2, s10
	v_pk_add_f32 v[4:5], v[10:11], v[12:13]
	v_perm_b32 v9, v5, v4, s10
	buffer_store_dwordx2 v[8:9], v14, s[24:27], 0 offen glc slc
	;;#ASMSTART
	s_nop 0
	;;#ASMEND
.LBB256_10:
	s_or_b64 exec, exec, s[18:19]
	s_mov_b32 s10, s8
.LBB256_11:
	s_waitcnt vmcnt(1)
	v_mul_f32_e32 v8, v3, v3
	v_fmac_f32_e32 v8, v2, v2
	v_fmac_f32_e32 v8, v4, v4
	;; [unrolled: 1-line block ×3, first 2 shown]
	s_load_dwordx2 s[34:35], s[4:5], 0x18
	s_nop 0
	v_mov_b32_dpp v9, v8 quad_perm:[1,0,3,2] row_mask:0xf bank_mask:0xf
	v_add_f32_e32 v8, v8, v9
	s_nop 1
	v_mov_b32_dpp v9, v8 quad_perm:[2,3,0,1] row_mask:0xf bank_mask:0xf
	v_add_f32_e32 v8, v8, v9
	s_nop 1
	v_mov_b32_dpp v9, v8 row_half_mirror row_mask:0xf bank_mask:0xf
	v_add_f32_e32 v8, v8, v9
	s_nop 1
	v_mov_b32_dpp v9, v8 row_mirror row_mask:0xf bank_mask:0xf
	v_add_f32_e32 v8, v8, v9
	s_nop 1
	v_mov_b32_dpp v9, v8 row_bcast:15 row_mask:0xf bank_mask:0xf
	v_add_f32_e32 v8, v8, v9
	s_nop 1
	v_mov_b32_dpp v9, v8 row_bcast:31 row_mask:0xf bank_mask:0xf
	v_add_f32_e32 v10, v8, v9
	v_mbcnt_lo_u32_b32 v8, -1, 0
	v_mbcnt_hi_u32_b32 v8, -1, v8
	v_lshlrev_b32_e32 v9, 2, v8
	v_or_b32_e32 v8, 0xfc, v9
	ds_bpermute_b32 v10, v8, v10
	s_and_saveexec_b64 s[18:19], s[0:1]
	s_cbranch_execnz .LBB256_16
; %bb.12:
	s_or_b64 exec, exec, s[18:19]
	s_mov_b64 s[18:19], -1
	s_and_b64 vcc, exec, s[2:3]
	s_cbranch_vccnz .LBB256_17
.LBB256_13:
	s_andn2_b64 vcc, exec, s[18:19]
	s_cbranch_vccz .LBB256_20
.LBB256_14:
	s_cmp_lt_i32 s12, 1
	s_cbranch_scc0 .LBB256_27
.LBB256_15:
	s_endpgm
.LBB256_16:
	v_cvt_f32_u32_e32 v11, s7
	s_mov_b32 s7, 0x800000
	s_waitcnt lgkmcnt(0)
	v_div_scale_f32 v12, s[24:25], v11, v11, v10
	v_rcp_f32_e32 v13, v12
	v_div_scale_f32 v14, vcc, v10, v11, v10
	v_fma_f32 v15, -v12, v13, 1.0
	v_fmac_f32_e32 v13, v15, v13
	v_mul_f32_e32 v15, v14, v13
	v_fma_f32 v16, -v12, v15, v14
	v_fmac_f32_e32 v15, v16, v13
	v_fma_f32 v12, -v12, v15, v14
	v_div_fmas_f32 v12, v12, v13, v15
	v_div_fixup_f32 v10, v12, v11, v10
	v_add_f32_e32 v10, s10, v10
	v_mul_f32_e32 v11, 0x4b800000, v10
	v_cmp_gt_f32_e32 vcc, s7, v10
	v_cndmask_b32_e32 v10, v10, v11, vcc
	v_rsq_f32_e32 v12, v10
	s_waitcnt vmcnt(0)
	v_cvt_f32_u32_sdwa v11, v6 dst_sel:DWORD dst_unused:UNUSED_PAD src0_sel:WORD_1
	v_cvt_f32_u32_sdwa v10, v6 dst_sel:DWORD dst_unused:UNUSED_PAD src0_sel:WORD_0
	v_cvt_f32_u32_sdwa v13, v7 dst_sel:DWORD dst_unused:UNUSED_PAD src0_sel:WORD_1
	v_mul_f32_e32 v6, 0x45800000, v12
	v_cndmask_b32_e32 v14, v12, v6, vcc
	v_mov_b32_e32 v15, v14
	;;#ASMSTART
	v_pk_mul_f32 v[2:3], v[2:3], v[14:15]
	;;#ASMEND
	;;#ASMSTART
	v_pk_mul_f32 v[4:5], v[4:5], v[14:15]
	;;#ASMEND
	v_cvt_f32_u32_sdwa v12, v7 dst_sel:DWORD dst_unused:UNUSED_PAD src0_sel:WORD_0
	;;#ASMSTART
	v_pk_mul_f32 v[2:3], v[2:3], v[10:11]
	;;#ASMEND
	;;#ASMSTART
	v_pk_mul_f32 v[4:5], v[4:5], v[12:13]
	;;#ASMEND
	s_or_b64 exec, exec, s[18:19]
	s_mov_b64 s[18:19], -1
	s_and_b64 vcc, exec, s[2:3]
	s_cbranch_vccz .LBB256_13
.LBB256_17:
	s_and_saveexec_b64 s[2:3], s[0:1]
	s_cbranch_execz .LBB256_19
; %bb.18:
	s_waitcnt lgkmcnt(0)
	s_mul_hi_i32 s19, s28, s6
	s_mul_i32 s18, s28, s6
	s_lshl_b64 s[18:19], s[18:19], 1
	s_add_u32 s24, s34, s18
	s_addc_u32 s7, s35, s19
	s_and_b32 s25, s7, 0xffff
	s_mov_b32 s7, 0x7060302
	s_mov_b32 s27, 0x20000
	s_waitcnt vmcnt(0)
	v_perm_b32 v6, v3, v2, s7
	v_perm_b32 v7, v5, v4, s7
	v_lshlrev_b32_e32 v10, 3, v0
	buffer_store_dwordx2 v[6:7], v10, s[24:27], 0 offen
	;;#ASMSTART
	s_nop 0
	;;#ASMEND
.LBB256_19:
	s_or_b64 exec, exec, s[2:3]
	s_cbranch_execnz .LBB256_14
.LBB256_20:
	s_waitcnt vmcnt(0)
	v_mov_b32_e32 v6, 0
	s_and_saveexec_b64 s[2:3], s[0:1]
	s_cbranch_execz .LBB256_22
; %bb.21:
	v_and_b32_e32 v6, 0x7fffffff, v2
	v_and_b32_e32 v7, 0x7fffffff, v3
	s_waitcnt lgkmcnt(0)
	v_mov_b32_e32 v10, 0x2edbe6ff
	;;#ASMSTART
	v_max3_f32 v6, v10, v6, v7

	;;#ASMEND
	v_and_b32_e32 v7, 0x7fffffff, v4
	v_and_b32_e32 v10, 0x7fffffff, v5
	;;#ASMSTART
	v_max3_f32 v6, v6, v7, v10

	;;#ASMEND
.LBB256_22:
	s_or_b64 exec, exec, s[2:3]
	;;#ASMSTART
	v_max_f32 v7, v6, v6 quad_perm:[1,0,3,2] row_mask:0xf bank_mask:0xf bound_ctrl:1
	;;#ASMEND
	;;#ASMSTART
	v_max_f32 v6, v7, v7 quad_perm:[2,3,0,1] row_mask:0xf bank_mask:0xf bound_ctrl:1
	;;#ASMEND
	;;#ASMSTART
	v_max_f32 v7, v6, v6 row_half_mirror row_mask:0xf bank_mask:0xf bound_ctrl:1
	;;#ASMEND
	;;#ASMSTART
	v_max_f32 v6, v7, v7 row_mirror row_mask:0xf bank_mask:0xf bound_ctrl:1
	;;#ASMEND
	;;#ASMSTART
	v_max_f32 v7, v6, v6 row_ror:4 row_mask:0xf bank_mask:0xf bound_ctrl:1
	;;#ASMEND
	;;#ASMSTART
	v_max_f32 v6, v7, v7 row_ror:8 row_mask:0xf bank_mask:0xf bound_ctrl:1
	;;#ASMEND
	;;#ASMSTART
	v_max_f32 v7, v6, v6 row_bcast:15 row_mask:0xa bank_mask:0xf bound_ctrl:1
	;;#ASMEND
	v_or_b32_e32 v6, 0x7c, v9
	ds_bpermute_b32 v6, v6, v7
	v_and_b32_e32 v7, 31, v0
	v_cmp_gt_i32_e32 vcc, s11, v1
	v_cmp_eq_u32_e64 s[2:3], 0, v7
	s_and_b64 s[18:19], s[2:3], vcc
	s_waitcnt lgkmcnt(0)
	v_mul_f32_e32 v6, 0x3b124925, v6
	s_and_saveexec_b64 s[2:3], s[18:19]
	s_cbranch_execz .LBB256_24
; %bb.23:
	s_load_dwordx2 s[18:19], s[4:5], 0x8
	v_lshrrev_b32_e32 v7, 5, v0
	s_mul_hi_i32 s25, s21, s6
	s_mul_i32 s24, s21, s6
	v_mad_i64_i32 v[10:11], s[22:23], s22, v7, 0
	s_lshl_b64 s[22:23], s[24:25], 2
	s_waitcnt lgkmcnt(0)
	s_add_u32 s7, s18, s22
	s_addc_u32 s8, s19, s23
	v_lshlrev_b64 v[10:11], 2, v[10:11]
	v_mov_b32_e32 v7, s8
	v_add_co_u32_e32 v10, vcc, s7, v10
	v_addc_co_u32_e32 v11, vcc, v7, v11, vcc
	global_store_dword v[10:11], v6, off
.LBB256_24:
	s_or_b64 exec, exec, s[2:3]
	;;#ASMSTART
	v_rcp_f32 v6, v6
	;;#ASMEND
	s_and_saveexec_b64 s[2:3], s[0:1]
	s_cbranch_execz .LBB256_26
; %bb.25:
	s_load_dwordx2 s[0:1], s[4:5], 0x0
	s_mul_i32 s8, s20, s6
	s_mul_hi_i32 s7, s20, s6
	v_mov_b32_e32 v7, v6
	;;#ASMSTART
	v_pk_mul_f32 v[2:3], v[2:3], v[6:7]
	;;#ASMEND
	s_waitcnt lgkmcnt(0)
	s_add_u32 s20, s0, s8
	s_addc_u32 s0, s1, s7
	s_add_i32 s1, s11, 3
	s_ashr_i32 s7, s1, 31
	v_mov_b32_e32 v9, 0xc3e00000
	v_mov_b32_e32 v10, 0x43e00000
	;;#ASMSTART
	v_med3_f32 v2, v2, v9, v10
v_med3_f32 v3, v3, v9, v10
v_cvt_pk_fp8_f32 v11, v2, v3
	;;#ASMEND
	s_and_b32 s21, s0, 0xffff
	s_lshr_b32 s0, s7, 30
	;;#ASMSTART
	v_pk_mul_f32 v[2:3], v[4:5], v[6:7]
	;;#ASMEND
	s_add_i32 s1, s1, s0
	;;#ASMSTART
	v_med3_f32 v2, v2, v9, v10
v_med3_f32 v3, v3, v9, v10
v_cvt_pk_fp8_f32 v4, v2, v3
	;;#ASMEND
	s_mov_b32 s0, 0x5040100
	s_and_b32 s22, s1, -4
	s_mov_b32 s23, 0x20000
	v_perm_b32 v2, v4, v11, s0
	buffer_store_dword v2, v1, s[20:23], 0 offen
	;;#ASMSTART
	s_nop 0
	;;#ASMEND
.LBB256_26:
	s_or_b64 exec, exec, s[2:3]
	s_cmp_lt_i32 s12, 1
	s_cbranch_scc1 .LBB256_15
.LBB256_27:
	s_load_dword s0, s[4:5], 0x94
	s_waitcnt lgkmcnt(0)
	s_cmp_lg_u32 s0, 1
	s_cbranch_scc1 .LBB256_15
; %bb.28:
	s_lshl_b32 s0, s12, 1
	s_add_i32 s0, s0, 2
	v_cmp_gt_u32_e32 vcc, s12, v1
	s_and_b32 s18, s0, -4
	v_mov_b32_e32 v2, 0
	s_waitcnt vmcnt(0)
	v_lshlrev_b32_e32 v6, 3, v0
	v_mov_b32_e32 v3, 0
	v_mov_b32_e32 v0, 0
	;; [unrolled: 1-line block ×3, first 2 shown]
	s_barrier
	s_and_saveexec_b64 s[0:1], vcc
	s_cbranch_execz .LBB256_30
; %bb.29:
	s_mul_hi_i32 s3, s14, s6
	s_mul_i32 s2, s14, s6
	s_and_b32 s17, s17, 0xffff
	s_lshl_b64 s[2:3], s[2:3], 1
	s_add_u32 s20, s30, s2
	s_mov_b32 s19, 0x20000
	s_addc_u32 s2, s31, s3
	s_and_b32 s21, s2, 0xffff
	s_mov_b32 s22, s18
	s_mov_b32 s23, s19
	buffer_load_dwordx2 v[2:3], v6, s[20:23], 0 offen glc slc
	buffer_load_dwordx2 v[0:1], v6, s[16:19], 0 offen
.LBB256_30:
	s_or_b64 exec, exec, s[0:1]
	s_waitcnt vmcnt(1)
	v_cvt_f32_u32_sdwa v5, v3 dst_sel:DWORD dst_unused:UNUSED_PAD src0_sel:WORD_0
	v_cvt_f32_u32_sdwa v7, v2 dst_sel:DWORD dst_unused:UNUSED_PAD src0_sel:WORD_1
	v_cvt_f32_u32_sdwa v4, v3 dst_sel:DWORD dst_unused:UNUSED_PAD src0_sel:WORD_1
	v_cvt_f32_u32_sdwa v9, v2 dst_sel:DWORD dst_unused:UNUSED_PAD src0_sel:WORD_0
	v_cndmask_b32_e32 v2, 0, v5, vcc
	v_cndmask_b32_e32 v5, 0, v7, vcc
	;; [unrolled: 1-line block ×4, first 2 shown]
	v_mul_f32_e32 v7, v5, v5
	v_fmac_f32_e32 v7, v4, v4
	v_fmac_f32_e32 v7, v2, v2
	v_fmac_f32_e32 v7, v3, v3
	s_nop 1
	v_mov_b32_dpp v9, v7 quad_perm:[1,0,3,2] row_mask:0xf bank_mask:0xf
	v_add_f32_e32 v7, v7, v9
	s_nop 1
	v_mov_b32_dpp v9, v7 quad_perm:[2,3,0,1] row_mask:0xf bank_mask:0xf
	v_add_f32_e32 v7, v7, v9
	s_nop 1
	v_mov_b32_dpp v9, v7 row_half_mirror row_mask:0xf bank_mask:0xf
	v_add_f32_e32 v7, v7, v9
	s_nop 1
	v_mov_b32_dpp v9, v7 row_mirror row_mask:0xf bank_mask:0xf
	v_add_f32_e32 v7, v7, v9
	s_nop 1
	v_mov_b32_dpp v9, v7 row_bcast:15 row_mask:0xf bank_mask:0xf
	v_add_f32_e32 v7, v7, v9
	s_nop 1
	v_mov_b32_dpp v9, v7 row_bcast:31 row_mask:0xf bank_mask:0xf
	v_add_f32_e32 v7, v7, v9
	ds_bpermute_b32 v7, v8, v7
	s_and_saveexec_b64 s[0:1], vcc
	s_cbranch_execz .LBB256_15
; %bb.31:
	v_cvt_f32_u32_e32 v8, s12
	s_mov_b32 s19, 0x20000
	s_waitcnt lgkmcnt(0)
	v_div_scale_f32 v9, s[0:1], v8, v8, v7
	v_rcp_f32_e32 v10, v9
	v_div_scale_f32 v11, vcc, v7, v8, v7
	s_mov_b32 s0, 0x800000
	v_fma_f32 v12, -v9, v10, 1.0
	v_fmac_f32_e32 v10, v12, v10
	v_mul_f32_e32 v12, v11, v10
	v_fma_f32 v13, -v9, v12, v11
	v_fmac_f32_e32 v12, v13, v10
	v_fma_f32 v9, -v9, v12, v11
	v_div_fmas_f32 v9, v9, v10, v12
	v_div_fixup_f32 v7, v9, v8, v7
	v_add_f32_e32 v7, s9, v7
	v_mul_f32_e32 v8, 0x4b800000, v7
	v_cmp_gt_f32_e32 vcc, s0, v7
	v_cndmask_b32_e32 v7, v7, v8, vcc
	v_rsq_f32_e32 v7, v7
	s_mul_hi_i32 s1, s28, s6
	s_mul_i32 s0, s28, s6
	s_waitcnt vmcnt(0)
	v_cvt_f32_u32_sdwa v9, v0 dst_sel:DWORD dst_unused:UNUSED_PAD src0_sel:WORD_1
	v_cvt_f32_u32_sdwa v8, v0 dst_sel:DWORD dst_unused:UNUSED_PAD src0_sel:WORD_0
	v_mul_f32_e32 v0, 0x45800000, v7
	s_lshl_b64 s[0:1], s[0:1], 1
	v_cndmask_b32_e32 v12, v7, v0, vcc
	s_add_u32 s16, s34, s0
	v_cvt_f32_u32_sdwa v11, v1 dst_sel:DWORD dst_unused:UNUSED_PAD src0_sel:WORD_1
	v_mov_b32_e32 v13, v12
	v_cvt_f32_u32_sdwa v10, v1 dst_sel:DWORD dst_unused:UNUSED_PAD src0_sel:WORD_0
	;;#ASMSTART
	v_pk_mul_f32 v[0:1], v[4:5], v[12:13]
	;;#ASMEND
	s_addc_u32 s0, s35, s1
	;;#ASMSTART
	v_pk_mul_f32 v[2:3], v[2:3], v[12:13]
	;;#ASMEND
	;;#ASMSTART
	v_pk_mul_f32 v[0:1], v[0:1], v[8:9]
	;;#ASMEND
	s_and_b32 s17, s0, 0xffff
	s_mov_b32 s0, 0x7060302
	;;#ASMSTART
	v_pk_mul_f32 v[2:3], v[2:3], v[10:11]
	;;#ASMEND
	v_perm_b32 v0, v1, v0, s0
	v_perm_b32 v1, v3, v2, s0
	buffer_store_dwordx2 v[0:1], v6, s[16:19], 0 offen
	;;#ASMSTART
	s_nop 0
	;;#ASMEND
	s_endpgm
	.section	.rodata,"a",@progbits
	.p2align	6, 0x0
	.amdhsa_kernel _ZN5aiter35fused_qk_rmsnorm_group_quant_kernelItDB8_Li64ELi4ELi32ELb1ELb0ELb0ELb0ELb0ELb0EEEvPT0_PvPT_S6_S6_PKS5_S8_S8_S8_S8_ffiiiiiiiiiiiii
		.amdhsa_group_segment_fixed_size 0
		.amdhsa_private_segment_fixed_size 0
		.amdhsa_kernarg_size 400
		.amdhsa_user_sgpr_count 6
		.amdhsa_user_sgpr_private_segment_buffer 1
		.amdhsa_user_sgpr_dispatch_ptr 0
		.amdhsa_user_sgpr_queue_ptr 0
		.amdhsa_user_sgpr_kernarg_segment_ptr 1
		.amdhsa_user_sgpr_dispatch_id 0
		.amdhsa_user_sgpr_flat_scratch_init 0
		.amdhsa_user_sgpr_kernarg_preload_length 0
		.amdhsa_user_sgpr_kernarg_preload_offset 0
		.amdhsa_user_sgpr_private_segment_size 0
		.amdhsa_uses_dynamic_stack 0
		.amdhsa_system_sgpr_private_segment_wavefront_offset 0
		.amdhsa_system_sgpr_workgroup_id_x 1
		.amdhsa_system_sgpr_workgroup_id_y 1
		.amdhsa_system_sgpr_workgroup_id_z 0
		.amdhsa_system_sgpr_workgroup_info 0
		.amdhsa_system_vgpr_workitem_id 0
		.amdhsa_next_free_vgpr 17
		.amdhsa_next_free_sgpr 40
		.amdhsa_accum_offset 20
		.amdhsa_reserve_vcc 1
		.amdhsa_reserve_flat_scratch 0
		.amdhsa_float_round_mode_32 0
		.amdhsa_float_round_mode_16_64 0
		.amdhsa_float_denorm_mode_32 3
		.amdhsa_float_denorm_mode_16_64 3
		.amdhsa_dx10_clamp 1
		.amdhsa_ieee_mode 1
		.amdhsa_fp16_overflow 0
		.amdhsa_tg_split 0
		.amdhsa_exception_fp_ieee_invalid_op 0
		.amdhsa_exception_fp_denorm_src 0
		.amdhsa_exception_fp_ieee_div_zero 0
		.amdhsa_exception_fp_ieee_overflow 0
		.amdhsa_exception_fp_ieee_underflow 0
		.amdhsa_exception_fp_ieee_inexact 0
		.amdhsa_exception_int_div_zero 0
	.end_amdhsa_kernel
	.section	.text._ZN5aiter35fused_qk_rmsnorm_group_quant_kernelItDB8_Li64ELi4ELi32ELb1ELb0ELb0ELb0ELb0ELb0EEEvPT0_PvPT_S6_S6_PKS5_S8_S8_S8_S8_ffiiiiiiiiiiiii,"axG",@progbits,_ZN5aiter35fused_qk_rmsnorm_group_quant_kernelItDB8_Li64ELi4ELi32ELb1ELb0ELb0ELb0ELb0ELb0EEEvPT0_PvPT_S6_S6_PKS5_S8_S8_S8_S8_ffiiiiiiiiiiiii,comdat
.Lfunc_end256:
	.size	_ZN5aiter35fused_qk_rmsnorm_group_quant_kernelItDB8_Li64ELi4ELi32ELb1ELb0ELb0ELb0ELb0ELb0EEEvPT0_PvPT_S6_S6_PKS5_S8_S8_S8_S8_ffiiiiiiiiiiiii, .Lfunc_end256-_ZN5aiter35fused_qk_rmsnorm_group_quant_kernelItDB8_Li64ELi4ELi32ELb1ELb0ELb0ELb0ELb0ELb0EEEvPT0_PvPT_S6_S6_PKS5_S8_S8_S8_S8_ffiiiiiiiiiiiii
                                        ; -- End function
	.section	.AMDGPU.csdata,"",@progbits
; Kernel info:
; codeLenInByte = 2232
; NumSgprs: 44
; NumVgprs: 17
; NumAgprs: 0
; TotalNumVgprs: 17
; ScratchSize: 0
; MemoryBound: 0
; FloatMode: 240
; IeeeMode: 1
; LDSByteSize: 0 bytes/workgroup (compile time only)
; SGPRBlocks: 5
; VGPRBlocks: 2
; NumSGPRsForWavesPerEU: 44
; NumVGPRsForWavesPerEU: 17
; AccumOffset: 20
; Occupancy: 8
; WaveLimiterHint : 0
; COMPUTE_PGM_RSRC2:SCRATCH_EN: 0
; COMPUTE_PGM_RSRC2:USER_SGPR: 6
; COMPUTE_PGM_RSRC2:TRAP_HANDLER: 0
; COMPUTE_PGM_RSRC2:TGID_X_EN: 1
; COMPUTE_PGM_RSRC2:TGID_Y_EN: 1
; COMPUTE_PGM_RSRC2:TGID_Z_EN: 0
; COMPUTE_PGM_RSRC2:TIDIG_COMP_CNT: 0
; COMPUTE_PGM_RSRC3_GFX90A:ACCUM_OFFSET: 4
; COMPUTE_PGM_RSRC3_GFX90A:TG_SPLIT: 0
	.section	.text._ZN5aiter35fused_qk_rmsnorm_group_quant_kernelIDF16_DB8_Li64ELi4ELi32ELb0ELb1ELb1ELb0ELb0ELb0EEEvPT0_PvPT_S6_S6_PKS5_S8_S8_S8_S8_ffiiiiiiiiiiiii,"axG",@progbits,_ZN5aiter35fused_qk_rmsnorm_group_quant_kernelIDF16_DB8_Li64ELi4ELi32ELb0ELb1ELb1ELb0ELb0ELb0EEEvPT0_PvPT_S6_S6_PKS5_S8_S8_S8_S8_ffiiiiiiiiiiiii,comdat
	.protected	_ZN5aiter35fused_qk_rmsnorm_group_quant_kernelIDF16_DB8_Li64ELi4ELi32ELb0ELb1ELb1ELb0ELb0ELb0EEEvPT0_PvPT_S6_S6_PKS5_S8_S8_S8_S8_ffiiiiiiiiiiiii ; -- Begin function _ZN5aiter35fused_qk_rmsnorm_group_quant_kernelIDF16_DB8_Li64ELi4ELi32ELb0ELb1ELb1ELb0ELb0ELb0EEEvPT0_PvPT_S6_S6_PKS5_S8_S8_S8_S8_ffiiiiiiiiiiiii
	.globl	_ZN5aiter35fused_qk_rmsnorm_group_quant_kernelIDF16_DB8_Li64ELi4ELi32ELb0ELb1ELb1ELb0ELb0ELb0EEEvPT0_PvPT_S6_S6_PKS5_S8_S8_S8_S8_ffiiiiiiiiiiiii
	.p2align	8
	.type	_ZN5aiter35fused_qk_rmsnorm_group_quant_kernelIDF16_DB8_Li64ELi4ELi32ELb0ELb1ELb1ELb0ELb0ELb0EEEvPT0_PvPT_S6_S6_PKS5_S8_S8_S8_S8_ffiiiiiiiiiiiii,@function
_ZN5aiter35fused_qk_rmsnorm_group_quant_kernelIDF16_DB8_Li64ELi4ELi32ELb0ELb1ELb1ELb0ELb0ELb0EEEvPT0_PvPT_S6_S6_PKS5_S8_S8_S8_S8_ffiiiiiiiiiiiii: ; @_ZN5aiter35fused_qk_rmsnorm_group_quant_kernelIDF16_DB8_Li64ELi4ELi32ELb0ELb1ELb1ELb0ELb0ELb0EEEvPT0_PvPT_S6_S6_PKS5_S8_S8_S8_S8_ffiiiiiiiiiiiii
; %bb.0:
	s_load_dwordx4 s[12:15], s[4:5], 0x50
	s_waitcnt lgkmcnt(0)
	s_cmp_ge_i32 s6, s14
	s_cbranch_scc1 .LBB257_8
; %bb.1:
	s_load_dwordx2 s[8:9], s[4:5], 0x48
	s_load_dwordx2 s[30:31], s[4:5], 0x30
	s_load_dwordx4 s[16:19], s[4:5], 0x60
	s_cmp_lg_u32 s7, 0
	s_cselect_b64 s[2:3], -1, 0
	s_cmp_eq_u32 s7, 0
	s_cselect_b64 vcc, -1, 0
	s_and_b64 s[0:1], vcc, exec
	s_waitcnt lgkmcnt(0)
	s_cselect_b32 s7, s15, s16
	s_add_i32 s0, s7, 1
	s_lshr_b32 s1, s0, 31
	s_add_i32 s0, s0, s1
	s_lshl_b32 s0, s0, 1
	v_lshlrev_b32_e32 v1, 2, v0
	s_and_b32 s22, s0, -4
	v_cmp_gt_i32_e64 s[0:1], s7, v1
	v_mov_b32_e32 v6, 0
	v_mov_b32_e32 v7, 0
	;; [unrolled: 1-line block ×4, first 2 shown]
	s_and_saveexec_b64 s[10:11], s[0:1]
	s_cbranch_execz .LBB257_3
; %bb.2:
	s_load_dwordx2 s[20:21], s[4:5], 0x28
	s_load_dwordx2 s[26:27], s[4:5], 0x40
	s_and_b64 s[24:25], vcc, exec
	s_cselect_b32 s14, s17, s18
	s_mov_b32 s23, 0x20000
	s_waitcnt lgkmcnt(0)
	s_cselect_b32 s17, s21, s31
	s_cselect_b32 s19, s20, s30
	s_mul_hi_i32 s21, s14, s6
	s_mul_i32 s20, s14, s6
	s_lshl_b64 s[20:21], s[20:21], 1
	s_add_u32 s24, s19, s20
	s_addc_u32 s14, s17, s21
	s_and_b64 s[20:21], vcc, exec
	s_cselect_b32 s20, s26, s8
	s_cselect_b32 s17, s27, s9
	v_lshlrev_b32_e32 v4, 3, v0
	s_and_b32 s25, s14, 0xffff
	s_mov_b32 s26, s22
	s_mov_b32 s27, s23
	s_and_b32 s21, s17, 0xffff
	buffer_load_dwordx2 v[2:3], v4, s[24:27], 0 offen glc slc
	buffer_load_dwordx2 v[6:7], v4, s[20:23], 0 offen
.LBB257_3:
	s_or_b64 exec, exec, s[10:11]
	s_waitcnt vmcnt(1)
	v_cvt_f32_f16_e32 v4, v3
	v_cvt_f32_f16_e32 v5, v2
	v_cvt_f32_f16_sdwa v8, v2 dst_sel:DWORD dst_unused:UNUSED_PAD src0_sel:WORD_1
	v_cvt_f32_f16_sdwa v3, v3 dst_sel:DWORD dst_unused:UNUSED_PAD src0_sel:WORD_1
	v_cndmask_b32_e64 v2, 0, v4, s[0:1]
	v_cndmask_b32_e64 v4, 0, v5, s[0:1]
	;; [unrolled: 1-line block ×3, first 2 shown]
	v_mul_f32_e32 v8, v5, v5
	v_fmac_f32_e32 v8, v4, v4
	v_cndmask_b32_e64 v3, 0, v3, s[0:1]
	v_fmac_f32_e32 v8, v2, v2
	v_fmac_f32_e32 v8, v3, v3
	s_load_dwordx2 s[28:29], s[4:5], 0x18
	s_nop 0
	v_mov_b32_dpp v9, v8 quad_perm:[1,0,3,2] row_mask:0xf bank_mask:0xf
	v_add_f32_e32 v8, v8, v9
	s_nop 1
	v_mov_b32_dpp v9, v8 quad_perm:[2,3,0,1] row_mask:0xf bank_mask:0xf
	v_add_f32_e32 v8, v8, v9
	s_nop 1
	v_mov_b32_dpp v9, v8 row_half_mirror row_mask:0xf bank_mask:0xf
	v_add_f32_e32 v8, v8, v9
	s_nop 1
	v_mov_b32_dpp v9, v8 row_mirror row_mask:0xf bank_mask:0xf
	v_add_f32_e32 v8, v8, v9
	s_nop 1
	v_mov_b32_dpp v9, v8 row_bcast:15 row_mask:0xf bank_mask:0xf
	v_add_f32_e32 v8, v8, v9
	s_nop 1
	v_mov_b32_dpp v9, v8 row_bcast:31 row_mask:0xf bank_mask:0xf
	v_add_f32_e32 v10, v8, v9
	v_mbcnt_lo_u32_b32 v8, -1, 0
	v_mbcnt_hi_u32_b32 v8, -1, v8
	v_lshlrev_b32_e32 v9, 2, v8
	v_or_b32_e32 v8, 0xfc, v9
	ds_bpermute_b32 v10, v8, v10
	s_and_saveexec_b64 s[10:11], s[0:1]
	s_cbranch_execz .LBB257_5
; %bb.4:
	v_cvt_f32_u32_e32 v11, s7
	v_mov_b32_e32 v12, s13
	v_mov_b32_e32 v13, s12
	v_cndmask_b32_e32 v12, v12, v13, vcc
	s_waitcnt lgkmcnt(0)
	v_div_scale_f32 v14, s[20:21], v11, v11, v10
	v_rcp_f32_e32 v15, v14
	v_div_scale_f32 v13, vcc, v10, v11, v10
	s_mov_b32 s7, 0x800000
	v_fma_f32 v16, -v14, v15, 1.0
	v_fmac_f32_e32 v15, v16, v15
	v_mul_f32_e32 v16, v13, v15
	v_fma_f32 v17, -v14, v16, v13
	v_fmac_f32_e32 v16, v17, v15
	v_fma_f32 v13, -v14, v16, v13
	v_div_fmas_f32 v13, v13, v15, v16
	v_div_fixup_f32 v10, v13, v11, v10
	v_add_f32_e32 v10, v12, v10
	v_mul_f32_e32 v11, 0x4b800000, v10
	v_cmp_gt_f32_e32 vcc, s7, v10
	v_cndmask_b32_e32 v10, v10, v11, vcc
	v_rsq_f32_e32 v10, v10
	s_waitcnt vmcnt(0)
	v_cvt_f32_f16_sdwa v13, v6 dst_sel:DWORD dst_unused:UNUSED_PAD src0_sel:WORD_1
	v_cvt_f32_f16_e32 v12, v6
	v_cvt_f32_f16_sdwa v15, v7 dst_sel:DWORD dst_unused:UNUSED_PAD src0_sel:WORD_1
	v_cvt_f32_f16_e32 v14, v7
	v_mul_f32_e32 v11, 0x45800000, v10
	v_cndmask_b32_e32 v10, v10, v11, vcc
	v_mov_b32_e32 v11, v10
	;;#ASMSTART
	v_pk_mul_f32 v[4:5], v[4:5], v[10:11]
	;;#ASMEND
	;;#ASMSTART
	v_pk_mul_f32 v[2:3], v[2:3], v[10:11]
	;;#ASMEND
	v_pk_add_f32 v[6:7], v[12:13], 1.0 op_sel_hi:[1,0]
	;;#ASMSTART
	v_pk_mul_f32 v[4:5], v[4:5], v[6:7]
	;;#ASMEND
	v_pk_add_f32 v[6:7], v[14:15], 1.0 op_sel_hi:[1,0]
	;;#ASMSTART
	v_pk_mul_f32 v[2:3], v[2:3], v[6:7]
	;;#ASMEND
.LBB257_5:
	s_or_b64 exec, exec, s[10:11]
	s_load_dword s7, s[4:5], 0x80
	s_mov_b64 s[10:11], -1
	s_and_b64 vcc, exec, s[2:3]
	s_cbranch_vccnz .LBB257_9
; %bb.6:
	s_andn2_b64 vcc, exec, s[10:11]
	s_cbranch_vccz .LBB257_12
.LBB257_7:
	s_cmp_lt_i32 s16, 1
	s_cbranch_scc0 .LBB257_21
.LBB257_8:
	s_endpgm
.LBB257_9:
	s_and_saveexec_b64 s[2:3], s[0:1]
	s_cbranch_execz .LBB257_11
; %bb.10:
	s_waitcnt lgkmcnt(0)
	s_mul_hi_i32 s11, s7, s6
	s_mul_i32 s10, s7, s6
	s_waitcnt vmcnt(0)
	v_cvt_f16_f32_e32 v6, v4
	v_cvt_f16_f32_e32 v7, v2
	;; [unrolled: 1-line block ×4, first 2 shown]
	s_lshl_b64 s[10:11], s[10:11], 1
	s_add_u32 s20, s28, s10
	s_addc_u32 s10, s29, s11
	s_and_b32 s21, s10, 0xffff
	s_mov_b32 s23, 0x20000
	v_pack_b32_f16 v7, v7, v10
	v_pack_b32_f16 v6, v6, v11
	v_lshlrev_b32_e32 v10, 3, v0
	buffer_store_dwordx2 v[6:7], v10, s[20:23], 0 offen
	;;#ASMSTART
	s_nop 0
	;;#ASMEND
.LBB257_11:
	s_or_b64 exec, exec, s[2:3]
	s_cbranch_execnz .LBB257_7
.LBB257_12:
	s_load_dwordx4 s[24:27], s[4:5], 0x70
	s_waitcnt vmcnt(0)
	v_mov_b32_e32 v6, 0
	s_and_saveexec_b64 s[2:3], s[0:1]
	s_cbranch_execz .LBB257_14
; %bb.13:
	s_load_dwordx2 s[10:11], s[4:5], 0x10
	s_waitcnt lgkmcnt(0)
	s_mul_hi_i32 s21, s27, s6
	s_mul_i32 s20, s27, s6
	v_cvt_f16_f32_e32 v6, v4
	v_cvt_f16_f32_e32 v7, v2
	;; [unrolled: 1-line block ×4, first 2 shown]
	s_lshl_b64 s[20:21], s[20:21], 1
	s_add_u32 s20, s10, s20
	s_addc_u32 s10, s11, s21
	s_and_b32 s21, s10, 0xffff
	s_mov_b32 s23, 0x20000
	v_pack_b32_f16 v7, v7, v10
	v_pack_b32_f16 v6, v6, v11
	v_lshlrev_b32_e32 v10, 3, v0
	buffer_store_dwordx2 v[6:7], v10, s[20:23], 0 offen
	v_mov_b32_e32 v6, 0x2edbe6ff
	;;#ASMSTART
	s_nop 0
	;;#ASMEND
.LBB257_14:
	s_or_b64 exec, exec, s[2:3]
	s_and_saveexec_b64 s[2:3], s[0:1]
	s_cbranch_execz .LBB257_16
; %bb.15:
	v_and_b32_e32 v7, 0x7fffffff, v4
	s_waitcnt lgkmcnt(0)
	v_and_b32_e32 v10, 0x7fffffff, v5
	;;#ASMSTART
	v_max3_f32 v6, v6, v7, v10

	;;#ASMEND
	v_and_b32_e32 v7, 0x7fffffff, v2
	v_and_b32_e32 v10, 0x7fffffff, v3
	;;#ASMSTART
	v_max3_f32 v6, v6, v7, v10

	;;#ASMEND
.LBB257_16:
	s_or_b64 exec, exec, s[2:3]
	;;#ASMSTART
	v_max_f32 v7, v6, v6 quad_perm:[1,0,3,2] row_mask:0xf bank_mask:0xf bound_ctrl:1
	;;#ASMEND
	;;#ASMSTART
	v_max_f32 v6, v7, v7 quad_perm:[2,3,0,1] row_mask:0xf bank_mask:0xf bound_ctrl:1
	;;#ASMEND
	;;#ASMSTART
	v_max_f32 v7, v6, v6 row_half_mirror row_mask:0xf bank_mask:0xf bound_ctrl:1
	;;#ASMEND
	;;#ASMSTART
	v_max_f32 v6, v7, v7 row_mirror row_mask:0xf bank_mask:0xf bound_ctrl:1
	;;#ASMEND
	;;#ASMSTART
	v_max_f32 v7, v6, v6 row_ror:4 row_mask:0xf bank_mask:0xf bound_ctrl:1
	;;#ASMEND
	;;#ASMSTART
	v_max_f32 v6, v7, v7 row_ror:8 row_mask:0xf bank_mask:0xf bound_ctrl:1
	;;#ASMEND
	;;#ASMSTART
	v_max_f32 v7, v6, v6 row_bcast:15 row_mask:0xa bank_mask:0xf bound_ctrl:1
	;;#ASMEND
	v_or_b32_e32 v6, 0x7c, v9
	ds_bpermute_b32 v6, v6, v7
	v_and_b32_e32 v7, 31, v0
	v_cmp_gt_i32_e32 vcc, s15, v1
	v_cmp_eq_u32_e64 s[2:3], 0, v7
	s_and_b64 s[10:11], s[2:3], vcc
	s_waitcnt lgkmcnt(0)
	v_mul_f32_e32 v6, 0x3b124925, v6
	s_and_saveexec_b64 s[2:3], s[10:11]
	s_cbranch_execz .LBB257_18
; %bb.17:
	s_load_dwordx2 s[10:11], s[4:5], 0x8
	s_mul_hi_i32 s21, s25, s6
	s_mul_i32 s20, s25, s6
	v_lshrrev_b32_e32 v7, 5, v0
	s_lshl_b64 s[20:21], s[20:21], 2
	v_mad_i64_i32 v[10:11], s[22:23], s26, v7, 0
	s_waitcnt lgkmcnt(0)
	s_add_u32 s10, s10, s20
	s_addc_u32 s11, s11, s21
	v_lshlrev_b64 v[10:11], 2, v[10:11]
	v_mov_b32_e32 v7, s11
	v_add_co_u32_e32 v10, vcc, s10, v10
	v_addc_co_u32_e32 v11, vcc, v7, v11, vcc
	global_store_dword v[10:11], v6, off
.LBB257_18:
	s_or_b64 exec, exec, s[2:3]
	;;#ASMSTART
	v_rcp_f32 v6, v6
	;;#ASMEND
	s_and_saveexec_b64 s[2:3], s[0:1]
	s_cbranch_execz .LBB257_20
; %bb.19:
	s_load_dwordx2 s[0:1], s[4:5], 0x0
	s_mul_i32 s11, s24, s6
	s_mul_hi_i32 s10, s24, s6
	v_mov_b32_e32 v7, v6
	;;#ASMSTART
	v_pk_mul_f32 v[4:5], v[4:5], v[6:7]
	;;#ASMEND
	s_waitcnt lgkmcnt(0)
	s_add_u32 s20, s0, s11
	s_addc_u32 s0, s1, s10
	s_add_i32 s1, s15, 3
	s_ashr_i32 s10, s1, 31
	s_and_b32 s21, s0, 0xffff
	s_lshr_b32 s0, s10, 30
	v_mov_b32_e32 v9, 0xc3e00000
	v_mov_b32_e32 v10, 0x43e00000
	;;#ASMSTART
	v_med3_f32 v4, v4, v9, v10
v_med3_f32 v5, v5, v9, v10
v_cvt_pk_fp8_f32 v11, v4, v5
	;;#ASMEND
	;;#ASMSTART
	v_pk_mul_f32 v[2:3], v[2:3], v[6:7]
	;;#ASMEND
	s_add_i32 s1, s1, s0
	;;#ASMSTART
	v_med3_f32 v2, v2, v9, v10
v_med3_f32 v3, v3, v9, v10
v_cvt_pk_fp8_f32 v4, v2, v3
	;;#ASMEND
	s_mov_b32 s0, 0x5040100
	s_and_b32 s22, s1, -4
	s_mov_b32 s23, 0x20000
	v_perm_b32 v2, v4, v11, s0
	buffer_store_dword v2, v1, s[20:23], 0 offen
	;;#ASMSTART
	s_nop 0
	;;#ASMEND
.LBB257_20:
	s_or_b64 exec, exec, s[2:3]
	s_cmp_lt_i32 s16, 1
	s_cbranch_scc1 .LBB257_8
.LBB257_21:
	s_load_dword s0, s[4:5], 0x94
	s_waitcnt lgkmcnt(0)
	s_cmp_lg_u32 s0, 1
	s_cbranch_scc1 .LBB257_8
; %bb.22:
	s_lshl_b32 s0, s16, 1
	s_add_i32 s0, s0, 2
	v_cmp_gt_u32_e32 vcc, s16, v1
	s_and_b32 s10, s0, -4
	v_mov_b32_e32 v2, 0
	s_waitcnt vmcnt(0)
	v_lshlrev_b32_e32 v6, 3, v0
	v_mov_b32_e32 v3, 0
	v_mov_b32_e32 v0, 0
	;; [unrolled: 1-line block ×3, first 2 shown]
	s_barrier
	s_and_saveexec_b64 s[0:1], vcc
	s_cbranch_execz .LBB257_24
; %bb.23:
	s_mul_hi_i32 s3, s18, s6
	s_mul_i32 s2, s18, s6
	s_and_b32 s9, s9, 0xffff
	s_lshl_b64 s[2:3], s[2:3], 1
	s_add_u32 s20, s30, s2
	s_mov_b32 s11, 0x20000
	s_addc_u32 s2, s31, s3
	s_and_b32 s21, s2, 0xffff
	s_mov_b32 s22, s10
	s_mov_b32 s23, s11
	buffer_load_dwordx2 v[2:3], v6, s[20:23], 0 offen glc slc
	buffer_load_dwordx2 v[0:1], v6, s[8:11], 0 offen
.LBB257_24:
	s_or_b64 exec, exec, s[0:1]
	s_waitcnt vmcnt(1)
	v_cvt_f32_f16_e32 v4, v3
	v_cvt_f32_f16_e32 v5, v2
	v_cvt_f32_f16_sdwa v7, v2 dst_sel:DWORD dst_unused:UNUSED_PAD src0_sel:WORD_1
	v_cvt_f32_f16_sdwa v3, v3 dst_sel:DWORD dst_unused:UNUSED_PAD src0_sel:WORD_1
	v_cndmask_b32_e32 v2, 0, v4, vcc
	v_cndmask_b32_e32 v4, 0, v5, vcc
	;; [unrolled: 1-line block ×3, first 2 shown]
	v_mul_f32_e32 v7, v5, v5
	v_fmac_f32_e32 v7, v4, v4
	v_cndmask_b32_e32 v3, 0, v3, vcc
	v_fmac_f32_e32 v7, v2, v2
	v_fmac_f32_e32 v7, v3, v3
	s_nop 1
	v_mov_b32_dpp v9, v7 quad_perm:[1,0,3,2] row_mask:0xf bank_mask:0xf
	v_add_f32_e32 v7, v7, v9
	s_nop 1
	v_mov_b32_dpp v9, v7 quad_perm:[2,3,0,1] row_mask:0xf bank_mask:0xf
	v_add_f32_e32 v7, v7, v9
	s_nop 1
	v_mov_b32_dpp v9, v7 row_half_mirror row_mask:0xf bank_mask:0xf
	v_add_f32_e32 v7, v7, v9
	s_nop 1
	v_mov_b32_dpp v9, v7 row_mirror row_mask:0xf bank_mask:0xf
	v_add_f32_e32 v7, v7, v9
	s_nop 1
	v_mov_b32_dpp v9, v7 row_bcast:15 row_mask:0xf bank_mask:0xf
	v_add_f32_e32 v7, v7, v9
	s_nop 1
	v_mov_b32_dpp v9, v7 row_bcast:31 row_mask:0xf bank_mask:0xf
	v_add_f32_e32 v7, v7, v9
	ds_bpermute_b32 v7, v8, v7
	s_and_saveexec_b64 s[0:1], vcc
	s_cbranch_execz .LBB257_8
; %bb.25:
	v_cvt_f32_u32_e32 v8, s16
	s_mov_b32 s11, 0x20000
	s_waitcnt lgkmcnt(0)
	v_div_scale_f32 v9, s[0:1], v8, v8, v7
	v_rcp_f32_e32 v10, v9
	v_div_scale_f32 v11, vcc, v7, v8, v7
	s_mov_b32 s0, 0x800000
	v_fma_f32 v12, -v9, v10, 1.0
	v_fmac_f32_e32 v10, v12, v10
	v_mul_f32_e32 v12, v11, v10
	v_fma_f32 v13, -v9, v12, v11
	v_fmac_f32_e32 v12, v13, v10
	v_fma_f32 v9, -v9, v12, v11
	v_div_fmas_f32 v9, v9, v10, v12
	v_div_fixup_f32 v7, v9, v8, v7
	v_add_f32_e32 v7, s13, v7
	v_mul_f32_e32 v8, 0x4b800000, v7
	v_cmp_gt_f32_e32 vcc, s0, v7
	v_cndmask_b32_e32 v7, v7, v8, vcc
	v_rsq_f32_e32 v7, v7
	s_waitcnt vmcnt(0)
	v_cvt_f32_f16_sdwa v9, v0 dst_sel:DWORD dst_unused:UNUSED_PAD src0_sel:WORD_1
	v_cvt_f32_f16_e32 v8, v0
	v_cvt_f32_f16_sdwa v11, v1 dst_sel:DWORD dst_unused:UNUSED_PAD src0_sel:WORD_1
	v_cvt_f32_f16_e32 v10, v1
	v_mul_f32_e32 v0, 0x45800000, v7
	v_cndmask_b32_e32 v12, v7, v0, vcc
	v_mov_b32_e32 v13, v12
	;;#ASMSTART
	v_pk_mul_f32 v[4:5], v[4:5], v[12:13]
	;;#ASMEND
	;;#ASMSTART
	v_pk_mul_f32 v[0:1], v[2:3], v[12:13]
	;;#ASMEND
	v_pk_add_f32 v[2:3], v[8:9], 1.0 op_sel_hi:[1,0]
	;;#ASMSTART
	v_pk_mul_f32 v[2:3], v[4:5], v[2:3]
	;;#ASMEND
	v_pk_add_f32 v[4:5], v[10:11], 1.0 op_sel_hi:[1,0]
	;;#ASMSTART
	v_pk_mul_f32 v[0:1], v[0:1], v[4:5]
	;;#ASMEND
	s_mul_hi_i32 s1, s7, s6
	s_mul_i32 s0, s7, s6
	v_cvt_f16_f32_e32 v2, v2
	v_cvt_f16_f32_e32 v3, v3
	;; [unrolled: 1-line block ×4, first 2 shown]
	s_lshl_b64 s[0:1], s[0:1], 1
	s_add_u32 s8, s28, s0
	s_addc_u32 s0, s29, s1
	s_and_b32 s9, s0, 0xffff
	v_pack_b32_f16 v0, v2, v3
	v_pack_b32_f16 v1, v4, v1
	buffer_store_dwordx2 v[0:1], v6, s[8:11], 0 offen
	;;#ASMSTART
	s_nop 0
	;;#ASMEND
	s_endpgm
	.section	.rodata,"a",@progbits
	.p2align	6, 0x0
	.amdhsa_kernel _ZN5aiter35fused_qk_rmsnorm_group_quant_kernelIDF16_DB8_Li64ELi4ELi32ELb0ELb1ELb1ELb0ELb0ELb0EEEvPT0_PvPT_S6_S6_PKS5_S8_S8_S8_S8_ffiiiiiiiiiiiii
		.amdhsa_group_segment_fixed_size 0
		.amdhsa_private_segment_fixed_size 0
		.amdhsa_kernarg_size 400
		.amdhsa_user_sgpr_count 6
		.amdhsa_user_sgpr_private_segment_buffer 1
		.amdhsa_user_sgpr_dispatch_ptr 0
		.amdhsa_user_sgpr_queue_ptr 0
		.amdhsa_user_sgpr_kernarg_segment_ptr 1
		.amdhsa_user_sgpr_dispatch_id 0
		.amdhsa_user_sgpr_flat_scratch_init 0
		.amdhsa_user_sgpr_kernarg_preload_length 0
		.amdhsa_user_sgpr_kernarg_preload_offset 0
		.amdhsa_user_sgpr_private_segment_size 0
		.amdhsa_uses_dynamic_stack 0
		.amdhsa_system_sgpr_private_segment_wavefront_offset 0
		.amdhsa_system_sgpr_workgroup_id_x 1
		.amdhsa_system_sgpr_workgroup_id_y 1
		.amdhsa_system_sgpr_workgroup_id_z 0
		.amdhsa_system_sgpr_workgroup_info 0
		.amdhsa_system_vgpr_workitem_id 0
		.amdhsa_next_free_vgpr 18
		.amdhsa_next_free_sgpr 32
		.amdhsa_accum_offset 20
		.amdhsa_reserve_vcc 1
		.amdhsa_reserve_flat_scratch 0
		.amdhsa_float_round_mode_32 0
		.amdhsa_float_round_mode_16_64 0
		.amdhsa_float_denorm_mode_32 3
		.amdhsa_float_denorm_mode_16_64 3
		.amdhsa_dx10_clamp 1
		.amdhsa_ieee_mode 1
		.amdhsa_fp16_overflow 0
		.amdhsa_tg_split 0
		.amdhsa_exception_fp_ieee_invalid_op 0
		.amdhsa_exception_fp_denorm_src 0
		.amdhsa_exception_fp_ieee_div_zero 0
		.amdhsa_exception_fp_ieee_overflow 0
		.amdhsa_exception_fp_ieee_underflow 0
		.amdhsa_exception_fp_ieee_inexact 0
		.amdhsa_exception_int_div_zero 0
	.end_amdhsa_kernel
	.section	.text._ZN5aiter35fused_qk_rmsnorm_group_quant_kernelIDF16_DB8_Li64ELi4ELi32ELb0ELb1ELb1ELb0ELb0ELb0EEEvPT0_PvPT_S6_S6_PKS5_S8_S8_S8_S8_ffiiiiiiiiiiiii,"axG",@progbits,_ZN5aiter35fused_qk_rmsnorm_group_quant_kernelIDF16_DB8_Li64ELi4ELi32ELb0ELb1ELb1ELb0ELb0ELb0EEEvPT0_PvPT_S6_S6_PKS5_S8_S8_S8_S8_ffiiiiiiiiiiiii,comdat
.Lfunc_end257:
	.size	_ZN5aiter35fused_qk_rmsnorm_group_quant_kernelIDF16_DB8_Li64ELi4ELi32ELb0ELb1ELb1ELb0ELb0ELb0EEEvPT0_PvPT_S6_S6_PKS5_S8_S8_S8_S8_ffiiiiiiiiiiiii, .Lfunc_end257-_ZN5aiter35fused_qk_rmsnorm_group_quant_kernelIDF16_DB8_Li64ELi4ELi32ELb0ELb1ELb1ELb0ELb0ELb0EEEvPT0_PvPT_S6_S6_PKS5_S8_S8_S8_S8_ffiiiiiiiiiiiii
                                        ; -- End function
	.section	.AMDGPU.csdata,"",@progbits
; Kernel info:
; codeLenInByte = 2052
; NumSgprs: 36
; NumVgprs: 18
; NumAgprs: 0
; TotalNumVgprs: 18
; ScratchSize: 0
; MemoryBound: 0
; FloatMode: 240
; IeeeMode: 1
; LDSByteSize: 0 bytes/workgroup (compile time only)
; SGPRBlocks: 4
; VGPRBlocks: 2
; NumSGPRsForWavesPerEU: 36
; NumVGPRsForWavesPerEU: 18
; AccumOffset: 20
; Occupancy: 8
; WaveLimiterHint : 0
; COMPUTE_PGM_RSRC2:SCRATCH_EN: 0
; COMPUTE_PGM_RSRC2:USER_SGPR: 6
; COMPUTE_PGM_RSRC2:TRAP_HANDLER: 0
; COMPUTE_PGM_RSRC2:TGID_X_EN: 1
; COMPUTE_PGM_RSRC2:TGID_Y_EN: 1
; COMPUTE_PGM_RSRC2:TGID_Z_EN: 0
; COMPUTE_PGM_RSRC2:TIDIG_COMP_CNT: 0
; COMPUTE_PGM_RSRC3_GFX90A:ACCUM_OFFSET: 4
; COMPUTE_PGM_RSRC3_GFX90A:TG_SPLIT: 0
	.section	.text._ZN5aiter35fused_qk_rmsnorm_group_quant_kernelItDB8_Li64ELi4ELi32ELb0ELb1ELb1ELb0ELb0ELb0EEEvPT0_PvPT_S6_S6_PKS5_S8_S8_S8_S8_ffiiiiiiiiiiiii,"axG",@progbits,_ZN5aiter35fused_qk_rmsnorm_group_quant_kernelItDB8_Li64ELi4ELi32ELb0ELb1ELb1ELb0ELb0ELb0EEEvPT0_PvPT_S6_S6_PKS5_S8_S8_S8_S8_ffiiiiiiiiiiiii,comdat
	.protected	_ZN5aiter35fused_qk_rmsnorm_group_quant_kernelItDB8_Li64ELi4ELi32ELb0ELb1ELb1ELb0ELb0ELb0EEEvPT0_PvPT_S6_S6_PKS5_S8_S8_S8_S8_ffiiiiiiiiiiiii ; -- Begin function _ZN5aiter35fused_qk_rmsnorm_group_quant_kernelItDB8_Li64ELi4ELi32ELb0ELb1ELb1ELb0ELb0ELb0EEEvPT0_PvPT_S6_S6_PKS5_S8_S8_S8_S8_ffiiiiiiiiiiiii
	.globl	_ZN5aiter35fused_qk_rmsnorm_group_quant_kernelItDB8_Li64ELi4ELi32ELb0ELb1ELb1ELb0ELb0ELb0EEEvPT0_PvPT_S6_S6_PKS5_S8_S8_S8_S8_ffiiiiiiiiiiiii
	.p2align	8
	.type	_ZN5aiter35fused_qk_rmsnorm_group_quant_kernelItDB8_Li64ELi4ELi32ELb0ELb1ELb1ELb0ELb0ELb0EEEvPT0_PvPT_S6_S6_PKS5_S8_S8_S8_S8_ffiiiiiiiiiiiii,@function
_ZN5aiter35fused_qk_rmsnorm_group_quant_kernelItDB8_Li64ELi4ELi32ELb0ELb1ELb1ELb0ELb0ELb0EEEvPT0_PvPT_S6_S6_PKS5_S8_S8_S8_S8_ffiiiiiiiiiiiii: ; @_ZN5aiter35fused_qk_rmsnorm_group_quant_kernelItDB8_Li64ELi4ELi32ELb0ELb1ELb1ELb0ELb0ELb0EEEvPT0_PvPT_S6_S6_PKS5_S8_S8_S8_S8_ffiiiiiiiiiiiii
; %bb.0:
	s_load_dwordx4 s[12:15], s[4:5], 0x50
	s_waitcnt lgkmcnt(0)
	s_cmp_ge_i32 s6, s14
	s_cbranch_scc1 .LBB258_8
; %bb.1:
	s_load_dwordx2 s[8:9], s[4:5], 0x48
	s_load_dwordx2 s[30:31], s[4:5], 0x30
	s_load_dwordx4 s[16:19], s[4:5], 0x60
	s_cmp_lg_u32 s7, 0
	s_cselect_b64 s[2:3], -1, 0
	s_cmp_eq_u32 s7, 0
	s_cselect_b64 vcc, -1, 0
	s_and_b64 s[0:1], vcc, exec
	s_waitcnt lgkmcnt(0)
	s_cselect_b32 s7, s15, s16
	s_add_i32 s0, s7, 1
	s_lshr_b32 s1, s0, 31
	s_add_i32 s0, s0, s1
	s_lshl_b32 s0, s0, 1
	v_lshlrev_b32_e32 v1, 2, v0
	s_and_b32 s22, s0, -4
	v_cmp_gt_i32_e64 s[0:1], s7, v1
	v_mov_b32_e32 v6, 0
	v_mov_b32_e32 v7, 0
	;; [unrolled: 1-line block ×4, first 2 shown]
	s_and_saveexec_b64 s[10:11], s[0:1]
	s_cbranch_execz .LBB258_3
; %bb.2:
	s_load_dwordx2 s[20:21], s[4:5], 0x28
	s_load_dwordx2 s[26:27], s[4:5], 0x40
	s_and_b64 s[24:25], vcc, exec
	s_cselect_b32 s14, s17, s18
	s_mov_b32 s23, 0x20000
	s_waitcnt lgkmcnt(0)
	s_cselect_b32 s17, s21, s31
	s_cselect_b32 s19, s20, s30
	s_mul_hi_i32 s21, s14, s6
	s_mul_i32 s20, s14, s6
	s_lshl_b64 s[20:21], s[20:21], 1
	s_add_u32 s24, s19, s20
	s_addc_u32 s14, s17, s21
	s_and_b64 s[20:21], vcc, exec
	s_cselect_b32 s20, s26, s8
	s_cselect_b32 s17, s27, s9
	v_lshlrev_b32_e32 v4, 3, v0
	s_and_b32 s25, s14, 0xffff
	s_mov_b32 s26, s22
	s_mov_b32 s27, s23
	s_and_b32 s21, s17, 0xffff
	buffer_load_dwordx2 v[2:3], v4, s[24:27], 0 offen glc slc
	buffer_load_dwordx2 v[6:7], v4, s[20:23], 0 offen
.LBB258_3:
	s_or_b64 exec, exec, s[10:11]
	s_waitcnt vmcnt(1)
	v_cvt_f32_u32_sdwa v5, v3 dst_sel:DWORD dst_unused:UNUSED_PAD src0_sel:WORD_0
	v_cvt_f32_u32_sdwa v8, v2 dst_sel:DWORD dst_unused:UNUSED_PAD src0_sel:WORD_1
	v_cvt_f32_u32_sdwa v4, v3 dst_sel:DWORD dst_unused:UNUSED_PAD src0_sel:WORD_1
	v_cvt_f32_u32_sdwa v9, v2 dst_sel:DWORD dst_unused:UNUSED_PAD src0_sel:WORD_0
	v_cndmask_b32_e64 v2, 0, v5, s[0:1]
	v_cndmask_b32_e64 v5, 0, v8, s[0:1]
	;; [unrolled: 1-line block ×4, first 2 shown]
	v_mul_f32_e32 v8, v5, v5
	v_fmac_f32_e32 v8, v4, v4
	v_fmac_f32_e32 v8, v2, v2
	;; [unrolled: 1-line block ×3, first 2 shown]
	s_load_dwordx2 s[28:29], s[4:5], 0x18
	s_nop 0
	v_mov_b32_dpp v9, v8 quad_perm:[1,0,3,2] row_mask:0xf bank_mask:0xf
	v_add_f32_e32 v8, v8, v9
	s_nop 1
	v_mov_b32_dpp v9, v8 quad_perm:[2,3,0,1] row_mask:0xf bank_mask:0xf
	v_add_f32_e32 v8, v8, v9
	s_nop 1
	v_mov_b32_dpp v9, v8 row_half_mirror row_mask:0xf bank_mask:0xf
	v_add_f32_e32 v8, v8, v9
	s_nop 1
	v_mov_b32_dpp v9, v8 row_mirror row_mask:0xf bank_mask:0xf
	v_add_f32_e32 v8, v8, v9
	s_nop 1
	v_mov_b32_dpp v9, v8 row_bcast:15 row_mask:0xf bank_mask:0xf
	v_add_f32_e32 v8, v8, v9
	s_nop 1
	v_mov_b32_dpp v9, v8 row_bcast:31 row_mask:0xf bank_mask:0xf
	v_add_f32_e32 v10, v8, v9
	v_mbcnt_lo_u32_b32 v8, -1, 0
	v_mbcnt_hi_u32_b32 v8, -1, v8
	v_lshlrev_b32_e32 v9, 2, v8
	v_or_b32_e32 v8, 0xfc, v9
	ds_bpermute_b32 v10, v8, v10
	s_and_saveexec_b64 s[10:11], s[0:1]
	s_cbranch_execz .LBB258_5
; %bb.4:
	v_cvt_f32_u32_e32 v11, s7
	v_mov_b32_e32 v12, s13
	v_mov_b32_e32 v13, s12
	v_cndmask_b32_e32 v12, v12, v13, vcc
	s_waitcnt lgkmcnt(0)
	v_div_scale_f32 v14, s[20:21], v11, v11, v10
	v_rcp_f32_e32 v15, v14
	v_div_scale_f32 v13, vcc, v10, v11, v10
	s_mov_b32 s7, 0x800000
	v_fma_f32 v16, -v14, v15, 1.0
	v_fmac_f32_e32 v15, v16, v15
	v_mul_f32_e32 v16, v13, v15
	v_fma_f32 v17, -v14, v16, v13
	v_fmac_f32_e32 v16, v17, v15
	v_fma_f32 v13, -v14, v16, v13
	v_div_fmas_f32 v13, v13, v15, v16
	v_div_fixup_f32 v10, v13, v11, v10
	v_add_f32_e32 v10, v12, v10
	v_mul_f32_e32 v11, 0x4b800000, v10
	v_cmp_gt_f32_e32 vcc, s7, v10
	v_cndmask_b32_e32 v10, v10, v11, vcc
	v_rsq_f32_e32 v10, v10
	s_waitcnt vmcnt(0)
	v_cvt_f32_u32_sdwa v13, v6 dst_sel:DWORD dst_unused:UNUSED_PAD src0_sel:WORD_1
	v_cvt_f32_u32_sdwa v12, v6 dst_sel:DWORD dst_unused:UNUSED_PAD src0_sel:WORD_0
	v_cvt_f32_u32_sdwa v15, v7 dst_sel:DWORD dst_unused:UNUSED_PAD src0_sel:WORD_1
	v_cvt_f32_u32_sdwa v14, v7 dst_sel:DWORD dst_unused:UNUSED_PAD src0_sel:WORD_0
	v_mul_f32_e32 v11, 0x45800000, v10
	v_cndmask_b32_e32 v10, v10, v11, vcc
	v_mov_b32_e32 v11, v10
	;;#ASMSTART
	v_pk_mul_f32 v[4:5], v[4:5], v[10:11]
	;;#ASMEND
	;;#ASMSTART
	v_pk_mul_f32 v[2:3], v[2:3], v[10:11]
	;;#ASMEND
	v_pk_add_f32 v[6:7], v[12:13], 1.0 op_sel_hi:[1,0]
	;;#ASMSTART
	v_pk_mul_f32 v[4:5], v[4:5], v[6:7]
	;;#ASMEND
	v_pk_add_f32 v[6:7], v[14:15], 1.0 op_sel_hi:[1,0]
	;;#ASMSTART
	v_pk_mul_f32 v[2:3], v[2:3], v[6:7]
	;;#ASMEND
.LBB258_5:
	s_or_b64 exec, exec, s[10:11]
	s_load_dword s7, s[4:5], 0x80
	s_mov_b64 s[10:11], -1
	s_and_b64 vcc, exec, s[2:3]
	s_cbranch_vccnz .LBB258_9
; %bb.6:
	s_andn2_b64 vcc, exec, s[10:11]
	s_cbranch_vccz .LBB258_12
.LBB258_7:
	s_cmp_lt_i32 s16, 1
	s_cbranch_scc0 .LBB258_21
.LBB258_8:
	s_endpgm
.LBB258_9:
	s_and_saveexec_b64 s[2:3], s[0:1]
	s_cbranch_execz .LBB258_11
; %bb.10:
	s_waitcnt lgkmcnt(0)
	s_mul_hi_i32 s11, s7, s6
	s_mul_i32 s10, s7, s6
	s_lshl_b64 s[10:11], s[10:11], 1
	s_add_u32 s20, s28, s10
	s_addc_u32 s10, s29, s11
	s_and_b32 s21, s10, 0xffff
	s_mov_b32 s10, 0x7060302
	s_mov_b32 s23, 0x20000
	s_waitcnt vmcnt(0)
	v_perm_b32 v6, v5, v4, s10
	v_perm_b32 v7, v3, v2, s10
	v_lshlrev_b32_e32 v10, 3, v0
	buffer_store_dwordx2 v[6:7], v10, s[20:23], 0 offen
	;;#ASMSTART
	s_nop 0
	;;#ASMEND
.LBB258_11:
	s_or_b64 exec, exec, s[2:3]
	s_cbranch_execnz .LBB258_7
.LBB258_12:
	s_load_dwordx4 s[24:27], s[4:5], 0x70
	s_waitcnt vmcnt(0)
	v_mov_b32_e32 v6, 0
	s_and_saveexec_b64 s[2:3], s[0:1]
	s_cbranch_execz .LBB258_14
; %bb.13:
	s_load_dwordx2 s[10:11], s[4:5], 0x10
	s_waitcnt lgkmcnt(0)
	s_mul_hi_i32 s21, s27, s6
	s_mul_i32 s20, s27, s6
	s_lshl_b64 s[20:21], s[20:21], 1
	s_mov_b32 s23, 0x20000
	s_add_u32 s20, s10, s20
	s_addc_u32 s10, s11, s21
	s_and_b32 s21, s10, 0xffff
	s_mov_b32 s10, 0x7060302
	v_perm_b32 v6, v5, v4, s10
	v_perm_b32 v7, v3, v2, s10
	v_lshlrev_b32_e32 v10, 3, v0
	buffer_store_dwordx2 v[6:7], v10, s[20:23], 0 offen
	v_mov_b32_e32 v6, 0x2edbe6ff
	;;#ASMSTART
	s_nop 0
	;;#ASMEND
.LBB258_14:
	s_or_b64 exec, exec, s[2:3]
	s_and_saveexec_b64 s[2:3], s[0:1]
	s_cbranch_execz .LBB258_16
; %bb.15:
	v_and_b32_e32 v7, 0x7fffffff, v4
	s_waitcnt lgkmcnt(0)
	v_and_b32_e32 v10, 0x7fffffff, v5
	;;#ASMSTART
	v_max3_f32 v6, v6, v7, v10

	;;#ASMEND
	v_and_b32_e32 v7, 0x7fffffff, v2
	v_and_b32_e32 v10, 0x7fffffff, v3
	;;#ASMSTART
	v_max3_f32 v6, v6, v7, v10

	;;#ASMEND
.LBB258_16:
	s_or_b64 exec, exec, s[2:3]
	;;#ASMSTART
	v_max_f32 v7, v6, v6 quad_perm:[1,0,3,2] row_mask:0xf bank_mask:0xf bound_ctrl:1
	;;#ASMEND
	;;#ASMSTART
	v_max_f32 v6, v7, v7 quad_perm:[2,3,0,1] row_mask:0xf bank_mask:0xf bound_ctrl:1
	;;#ASMEND
	;;#ASMSTART
	v_max_f32 v7, v6, v6 row_half_mirror row_mask:0xf bank_mask:0xf bound_ctrl:1
	;;#ASMEND
	;;#ASMSTART
	v_max_f32 v6, v7, v7 row_mirror row_mask:0xf bank_mask:0xf bound_ctrl:1
	;;#ASMEND
	;;#ASMSTART
	v_max_f32 v7, v6, v6 row_ror:4 row_mask:0xf bank_mask:0xf bound_ctrl:1
	;;#ASMEND
	;;#ASMSTART
	v_max_f32 v6, v7, v7 row_ror:8 row_mask:0xf bank_mask:0xf bound_ctrl:1
	;;#ASMEND
	;;#ASMSTART
	v_max_f32 v7, v6, v6 row_bcast:15 row_mask:0xa bank_mask:0xf bound_ctrl:1
	;;#ASMEND
	v_or_b32_e32 v6, 0x7c, v9
	ds_bpermute_b32 v6, v6, v7
	v_and_b32_e32 v7, 31, v0
	v_cmp_gt_i32_e32 vcc, s15, v1
	v_cmp_eq_u32_e64 s[2:3], 0, v7
	s_and_b64 s[10:11], s[2:3], vcc
	s_waitcnt lgkmcnt(0)
	v_mul_f32_e32 v6, 0x3b124925, v6
	s_and_saveexec_b64 s[2:3], s[10:11]
	s_cbranch_execz .LBB258_18
; %bb.17:
	s_load_dwordx2 s[10:11], s[4:5], 0x8
	s_mul_hi_i32 s21, s25, s6
	s_mul_i32 s20, s25, s6
	v_lshrrev_b32_e32 v7, 5, v0
	s_lshl_b64 s[20:21], s[20:21], 2
	v_mad_i64_i32 v[10:11], s[22:23], s26, v7, 0
	s_waitcnt lgkmcnt(0)
	s_add_u32 s10, s10, s20
	s_addc_u32 s11, s11, s21
	v_lshlrev_b64 v[10:11], 2, v[10:11]
	v_mov_b32_e32 v7, s11
	v_add_co_u32_e32 v10, vcc, s10, v10
	v_addc_co_u32_e32 v11, vcc, v7, v11, vcc
	global_store_dword v[10:11], v6, off
.LBB258_18:
	s_or_b64 exec, exec, s[2:3]
	;;#ASMSTART
	v_rcp_f32 v6, v6
	;;#ASMEND
	s_and_saveexec_b64 s[2:3], s[0:1]
	s_cbranch_execz .LBB258_20
; %bb.19:
	s_load_dwordx2 s[0:1], s[4:5], 0x0
	s_mul_i32 s11, s24, s6
	s_mul_hi_i32 s10, s24, s6
	v_mov_b32_e32 v7, v6
	;;#ASMSTART
	v_pk_mul_f32 v[4:5], v[4:5], v[6:7]
	;;#ASMEND
	s_waitcnt lgkmcnt(0)
	s_add_u32 s20, s0, s11
	s_addc_u32 s0, s1, s10
	s_add_i32 s1, s15, 3
	s_ashr_i32 s10, s1, 31
	s_and_b32 s21, s0, 0xffff
	s_lshr_b32 s0, s10, 30
	v_mov_b32_e32 v9, 0xc3e00000
	v_mov_b32_e32 v10, 0x43e00000
	;;#ASMSTART
	v_med3_f32 v4, v4, v9, v10
v_med3_f32 v5, v5, v9, v10
v_cvt_pk_fp8_f32 v11, v4, v5
	;;#ASMEND
	;;#ASMSTART
	v_pk_mul_f32 v[2:3], v[2:3], v[6:7]
	;;#ASMEND
	s_add_i32 s1, s1, s0
	;;#ASMSTART
	v_med3_f32 v2, v2, v9, v10
v_med3_f32 v3, v3, v9, v10
v_cvt_pk_fp8_f32 v4, v2, v3
	;;#ASMEND
	s_mov_b32 s0, 0x5040100
	s_and_b32 s22, s1, -4
	s_mov_b32 s23, 0x20000
	v_perm_b32 v2, v4, v11, s0
	buffer_store_dword v2, v1, s[20:23], 0 offen
	;;#ASMSTART
	s_nop 0
	;;#ASMEND
.LBB258_20:
	s_or_b64 exec, exec, s[2:3]
	s_cmp_lt_i32 s16, 1
	s_cbranch_scc1 .LBB258_8
.LBB258_21:
	s_load_dword s0, s[4:5], 0x94
	s_waitcnt lgkmcnt(0)
	s_cmp_lg_u32 s0, 1
	s_cbranch_scc1 .LBB258_8
; %bb.22:
	s_lshl_b32 s0, s16, 1
	s_add_i32 s0, s0, 2
	v_cmp_gt_u32_e32 vcc, s16, v1
	s_and_b32 s10, s0, -4
	v_mov_b32_e32 v2, 0
	s_waitcnt vmcnt(0)
	v_lshlrev_b32_e32 v6, 3, v0
	v_mov_b32_e32 v3, 0
	v_mov_b32_e32 v0, 0
	;; [unrolled: 1-line block ×3, first 2 shown]
	s_barrier
	s_and_saveexec_b64 s[0:1], vcc
	s_cbranch_execz .LBB258_24
; %bb.23:
	s_mul_hi_i32 s3, s18, s6
	s_mul_i32 s2, s18, s6
	s_and_b32 s9, s9, 0xffff
	s_lshl_b64 s[2:3], s[2:3], 1
	s_add_u32 s20, s30, s2
	s_mov_b32 s11, 0x20000
	s_addc_u32 s2, s31, s3
	s_and_b32 s21, s2, 0xffff
	s_mov_b32 s22, s10
	s_mov_b32 s23, s11
	buffer_load_dwordx2 v[2:3], v6, s[20:23], 0 offen glc slc
	buffer_load_dwordx2 v[0:1], v6, s[8:11], 0 offen
.LBB258_24:
	s_or_b64 exec, exec, s[0:1]
	s_waitcnt vmcnt(1)
	v_cvt_f32_u32_sdwa v5, v3 dst_sel:DWORD dst_unused:UNUSED_PAD src0_sel:WORD_0
	v_cvt_f32_u32_sdwa v7, v2 dst_sel:DWORD dst_unused:UNUSED_PAD src0_sel:WORD_1
	v_cvt_f32_u32_sdwa v4, v3 dst_sel:DWORD dst_unused:UNUSED_PAD src0_sel:WORD_1
	v_cvt_f32_u32_sdwa v9, v2 dst_sel:DWORD dst_unused:UNUSED_PAD src0_sel:WORD_0
	v_cndmask_b32_e32 v2, 0, v5, vcc
	v_cndmask_b32_e32 v5, 0, v7, vcc
	;; [unrolled: 1-line block ×4, first 2 shown]
	v_mul_f32_e32 v7, v5, v5
	v_fmac_f32_e32 v7, v4, v4
	v_fmac_f32_e32 v7, v2, v2
	;; [unrolled: 1-line block ×3, first 2 shown]
	s_nop 1
	v_mov_b32_dpp v9, v7 quad_perm:[1,0,3,2] row_mask:0xf bank_mask:0xf
	v_add_f32_e32 v7, v7, v9
	s_nop 1
	v_mov_b32_dpp v9, v7 quad_perm:[2,3,0,1] row_mask:0xf bank_mask:0xf
	v_add_f32_e32 v7, v7, v9
	s_nop 1
	v_mov_b32_dpp v9, v7 row_half_mirror row_mask:0xf bank_mask:0xf
	v_add_f32_e32 v7, v7, v9
	s_nop 1
	v_mov_b32_dpp v9, v7 row_mirror row_mask:0xf bank_mask:0xf
	v_add_f32_e32 v7, v7, v9
	s_nop 1
	v_mov_b32_dpp v9, v7 row_bcast:15 row_mask:0xf bank_mask:0xf
	v_add_f32_e32 v7, v7, v9
	s_nop 1
	v_mov_b32_dpp v9, v7 row_bcast:31 row_mask:0xf bank_mask:0xf
	v_add_f32_e32 v7, v7, v9
	ds_bpermute_b32 v7, v8, v7
	s_and_saveexec_b64 s[0:1], vcc
	s_cbranch_execz .LBB258_8
; %bb.25:
	v_cvt_f32_u32_e32 v8, s16
	s_mov_b32 s11, 0x20000
	s_waitcnt lgkmcnt(0)
	v_div_scale_f32 v9, s[0:1], v8, v8, v7
	v_rcp_f32_e32 v10, v9
	v_div_scale_f32 v11, vcc, v7, v8, v7
	s_mov_b32 s0, 0x800000
	v_fma_f32 v12, -v9, v10, 1.0
	v_fmac_f32_e32 v10, v12, v10
	v_mul_f32_e32 v12, v11, v10
	v_fma_f32 v13, -v9, v12, v11
	v_fmac_f32_e32 v12, v13, v10
	v_fma_f32 v9, -v9, v12, v11
	v_div_fmas_f32 v9, v9, v10, v12
	v_div_fixup_f32 v7, v9, v8, v7
	v_add_f32_e32 v7, s13, v7
	v_mul_f32_e32 v8, 0x4b800000, v7
	v_cmp_gt_f32_e32 vcc, s0, v7
	v_cndmask_b32_e32 v7, v7, v8, vcc
	v_rsq_f32_e32 v7, v7
	s_waitcnt vmcnt(0)
	v_cvt_f32_u32_sdwa v9, v0 dst_sel:DWORD dst_unused:UNUSED_PAD src0_sel:WORD_1
	v_cvt_f32_u32_sdwa v8, v0 dst_sel:DWORD dst_unused:UNUSED_PAD src0_sel:WORD_0
	s_mul_hi_i32 s1, s7, s6
	s_mul_i32 s0, s7, s6
	v_cvt_f32_u32_sdwa v11, v1 dst_sel:DWORD dst_unused:UNUSED_PAD src0_sel:WORD_1
	v_mul_f32_e32 v0, 0x45800000, v7
	v_cvt_f32_u32_sdwa v10, v1 dst_sel:DWORD dst_unused:UNUSED_PAD src0_sel:WORD_0
	s_lshl_b64 s[0:1], s[0:1], 1
	v_cndmask_b32_e32 v12, v7, v0, vcc
	s_add_u32 s8, s28, s0
	v_mov_b32_e32 v13, v12
	;;#ASMSTART
	v_pk_mul_f32 v[4:5], v[4:5], v[12:13]
	;;#ASMEND
	;;#ASMSTART
	v_pk_mul_f32 v[0:1], v[2:3], v[12:13]
	;;#ASMEND
	v_pk_add_f32 v[2:3], v[8:9], 1.0 op_sel_hi:[1,0]
	s_addc_u32 s0, s29, s1
	;;#ASMSTART
	v_pk_mul_f32 v[2:3], v[4:5], v[2:3]
	;;#ASMEND
	s_and_b32 s9, s0, 0xffff
	s_mov_b32 s0, 0x7060302
	v_pk_add_f32 v[4:5], v[10:11], 1.0 op_sel_hi:[1,0]
	;;#ASMSTART
	v_pk_mul_f32 v[0:1], v[0:1], v[4:5]
	;;#ASMEND
	v_perm_b32 v2, v3, v2, s0
	v_perm_b32 v3, v1, v0, s0
	buffer_store_dwordx2 v[2:3], v6, s[8:11], 0 offen
	;;#ASMSTART
	s_nop 0
	;;#ASMEND
	s_endpgm
	.section	.rodata,"a",@progbits
	.p2align	6, 0x0
	.amdhsa_kernel _ZN5aiter35fused_qk_rmsnorm_group_quant_kernelItDB8_Li64ELi4ELi32ELb0ELb1ELb1ELb0ELb0ELb0EEEvPT0_PvPT_S6_S6_PKS5_S8_S8_S8_S8_ffiiiiiiiiiiiii
		.amdhsa_group_segment_fixed_size 0
		.amdhsa_private_segment_fixed_size 0
		.amdhsa_kernarg_size 400
		.amdhsa_user_sgpr_count 6
		.amdhsa_user_sgpr_private_segment_buffer 1
		.amdhsa_user_sgpr_dispatch_ptr 0
		.amdhsa_user_sgpr_queue_ptr 0
		.amdhsa_user_sgpr_kernarg_segment_ptr 1
		.amdhsa_user_sgpr_dispatch_id 0
		.amdhsa_user_sgpr_flat_scratch_init 0
		.amdhsa_user_sgpr_kernarg_preload_length 0
		.amdhsa_user_sgpr_kernarg_preload_offset 0
		.amdhsa_user_sgpr_private_segment_size 0
		.amdhsa_uses_dynamic_stack 0
		.amdhsa_system_sgpr_private_segment_wavefront_offset 0
		.amdhsa_system_sgpr_workgroup_id_x 1
		.amdhsa_system_sgpr_workgroup_id_y 1
		.amdhsa_system_sgpr_workgroup_id_z 0
		.amdhsa_system_sgpr_workgroup_info 0
		.amdhsa_system_vgpr_workitem_id 0
		.amdhsa_next_free_vgpr 18
		.amdhsa_next_free_sgpr 32
		.amdhsa_accum_offset 20
		.amdhsa_reserve_vcc 1
		.amdhsa_reserve_flat_scratch 0
		.amdhsa_float_round_mode_32 0
		.amdhsa_float_round_mode_16_64 0
		.amdhsa_float_denorm_mode_32 3
		.amdhsa_float_denorm_mode_16_64 3
		.amdhsa_dx10_clamp 1
		.amdhsa_ieee_mode 1
		.amdhsa_fp16_overflow 0
		.amdhsa_tg_split 0
		.amdhsa_exception_fp_ieee_invalid_op 0
		.amdhsa_exception_fp_denorm_src 0
		.amdhsa_exception_fp_ieee_div_zero 0
		.amdhsa_exception_fp_ieee_overflow 0
		.amdhsa_exception_fp_ieee_underflow 0
		.amdhsa_exception_fp_ieee_inexact 0
		.amdhsa_exception_int_div_zero 0
	.end_amdhsa_kernel
	.section	.text._ZN5aiter35fused_qk_rmsnorm_group_quant_kernelItDB8_Li64ELi4ELi32ELb0ELb1ELb1ELb0ELb0ELb0EEEvPT0_PvPT_S6_S6_PKS5_S8_S8_S8_S8_ffiiiiiiiiiiiii,"axG",@progbits,_ZN5aiter35fused_qk_rmsnorm_group_quant_kernelItDB8_Li64ELi4ELi32ELb0ELb1ELb1ELb0ELb0ELb0EEEvPT0_PvPT_S6_S6_PKS5_S8_S8_S8_S8_ffiiiiiiiiiiiii,comdat
.Lfunc_end258:
	.size	_ZN5aiter35fused_qk_rmsnorm_group_quant_kernelItDB8_Li64ELi4ELi32ELb0ELb1ELb1ELb0ELb0ELb0EEEvPT0_PvPT_S6_S6_PKS5_S8_S8_S8_S8_ffiiiiiiiiiiiii, .Lfunc_end258-_ZN5aiter35fused_qk_rmsnorm_group_quant_kernelItDB8_Li64ELi4ELi32ELb0ELb1ELb1ELb0ELb0ELb0EEEvPT0_PvPT_S6_S6_PKS5_S8_S8_S8_S8_ffiiiiiiiiiiiii
                                        ; -- End function
	.section	.AMDGPU.csdata,"",@progbits
; Kernel info:
; codeLenInByte = 2060
; NumSgprs: 36
; NumVgprs: 18
; NumAgprs: 0
; TotalNumVgprs: 18
; ScratchSize: 0
; MemoryBound: 0
; FloatMode: 240
; IeeeMode: 1
; LDSByteSize: 0 bytes/workgroup (compile time only)
; SGPRBlocks: 4
; VGPRBlocks: 2
; NumSGPRsForWavesPerEU: 36
; NumVGPRsForWavesPerEU: 18
; AccumOffset: 20
; Occupancy: 8
; WaveLimiterHint : 0
; COMPUTE_PGM_RSRC2:SCRATCH_EN: 0
; COMPUTE_PGM_RSRC2:USER_SGPR: 6
; COMPUTE_PGM_RSRC2:TRAP_HANDLER: 0
; COMPUTE_PGM_RSRC2:TGID_X_EN: 1
; COMPUTE_PGM_RSRC2:TGID_Y_EN: 1
; COMPUTE_PGM_RSRC2:TGID_Z_EN: 0
; COMPUTE_PGM_RSRC2:TIDIG_COMP_CNT: 0
; COMPUTE_PGM_RSRC3_GFX90A:ACCUM_OFFSET: 4
; COMPUTE_PGM_RSRC3_GFX90A:TG_SPLIT: 0
	.section	.text._ZN5aiter35fused_qk_rmsnorm_group_quant_kernelIDF16_DB8_Li64ELi4ELi32ELb0ELb1ELb0ELb0ELb0ELb0EEEvPT0_PvPT_S6_S6_PKS5_S8_S8_S8_S8_ffiiiiiiiiiiiii,"axG",@progbits,_ZN5aiter35fused_qk_rmsnorm_group_quant_kernelIDF16_DB8_Li64ELi4ELi32ELb0ELb1ELb0ELb0ELb0ELb0EEEvPT0_PvPT_S6_S6_PKS5_S8_S8_S8_S8_ffiiiiiiiiiiiii,comdat
	.protected	_ZN5aiter35fused_qk_rmsnorm_group_quant_kernelIDF16_DB8_Li64ELi4ELi32ELb0ELb1ELb0ELb0ELb0ELb0EEEvPT0_PvPT_S6_S6_PKS5_S8_S8_S8_S8_ffiiiiiiiiiiiii ; -- Begin function _ZN5aiter35fused_qk_rmsnorm_group_quant_kernelIDF16_DB8_Li64ELi4ELi32ELb0ELb1ELb0ELb0ELb0ELb0EEEvPT0_PvPT_S6_S6_PKS5_S8_S8_S8_S8_ffiiiiiiiiiiiii
	.globl	_ZN5aiter35fused_qk_rmsnorm_group_quant_kernelIDF16_DB8_Li64ELi4ELi32ELb0ELb1ELb0ELb0ELb0ELb0EEEvPT0_PvPT_S6_S6_PKS5_S8_S8_S8_S8_ffiiiiiiiiiiiii
	.p2align	8
	.type	_ZN5aiter35fused_qk_rmsnorm_group_quant_kernelIDF16_DB8_Li64ELi4ELi32ELb0ELb1ELb0ELb0ELb0ELb0EEEvPT0_PvPT_S6_S6_PKS5_S8_S8_S8_S8_ffiiiiiiiiiiiii,@function
_ZN5aiter35fused_qk_rmsnorm_group_quant_kernelIDF16_DB8_Li64ELi4ELi32ELb0ELb1ELb0ELb0ELb0ELb0EEEvPT0_PvPT_S6_S6_PKS5_S8_S8_S8_S8_ffiiiiiiiiiiiii: ; @_ZN5aiter35fused_qk_rmsnorm_group_quant_kernelIDF16_DB8_Li64ELi4ELi32ELb0ELb1ELb0ELb0ELb0ELb0EEEvPT0_PvPT_S6_S6_PKS5_S8_S8_S8_S8_ffiiiiiiiiiiiii
; %bb.0:
	s_load_dwordx4 s[12:15], s[4:5], 0x50
	s_waitcnt lgkmcnt(0)
	s_cmp_ge_i32 s6, s14
	s_cbranch_scc1 .LBB259_8
; %bb.1:
	s_load_dwordx2 s[8:9], s[4:5], 0x48
	s_load_dwordx2 s[30:31], s[4:5], 0x30
	s_load_dwordx4 s[16:19], s[4:5], 0x60
	s_cmp_lg_u32 s7, 0
	s_cselect_b64 s[2:3], -1, 0
	s_cmp_eq_u32 s7, 0
	s_cselect_b64 vcc, -1, 0
	s_and_b64 s[0:1], vcc, exec
	s_waitcnt lgkmcnt(0)
	s_cselect_b32 s7, s15, s16
	s_add_i32 s0, s7, 1
	s_lshr_b32 s1, s0, 31
	s_add_i32 s0, s0, s1
	s_lshl_b32 s0, s0, 1
	v_lshlrev_b32_e32 v1, 2, v0
	s_and_b32 s22, s0, -4
	v_cmp_gt_i32_e64 s[0:1], s7, v1
	v_mov_b32_e32 v6, 0
	v_mov_b32_e32 v7, 0
	;; [unrolled: 1-line block ×4, first 2 shown]
	s_and_saveexec_b64 s[10:11], s[0:1]
	s_cbranch_execz .LBB259_3
; %bb.2:
	s_load_dwordx2 s[20:21], s[4:5], 0x28
	s_load_dwordx2 s[26:27], s[4:5], 0x40
	s_and_b64 s[24:25], vcc, exec
	s_cselect_b32 s14, s17, s18
	s_mov_b32 s23, 0x20000
	s_waitcnt lgkmcnt(0)
	s_cselect_b32 s17, s21, s31
	s_cselect_b32 s19, s20, s30
	s_mul_hi_i32 s21, s14, s6
	s_mul_i32 s20, s14, s6
	s_lshl_b64 s[20:21], s[20:21], 1
	s_add_u32 s24, s19, s20
	s_addc_u32 s14, s17, s21
	s_and_b64 s[20:21], vcc, exec
	s_cselect_b32 s20, s26, s8
	s_cselect_b32 s17, s27, s9
	v_lshlrev_b32_e32 v4, 3, v0
	s_and_b32 s25, s14, 0xffff
	s_mov_b32 s26, s22
	s_mov_b32 s27, s23
	s_and_b32 s21, s17, 0xffff
	buffer_load_dwordx2 v[2:3], v4, s[24:27], 0 offen glc slc
	buffer_load_dwordx2 v[6:7], v4, s[20:23], 0 offen
.LBB259_3:
	s_or_b64 exec, exec, s[10:11]
	s_waitcnt vmcnt(1)
	v_cvt_f32_f16_e32 v4, v3
	v_cvt_f32_f16_e32 v5, v2
	v_cvt_f32_f16_sdwa v8, v2 dst_sel:DWORD dst_unused:UNUSED_PAD src0_sel:WORD_1
	v_cvt_f32_f16_sdwa v3, v3 dst_sel:DWORD dst_unused:UNUSED_PAD src0_sel:WORD_1
	v_cndmask_b32_e64 v2, 0, v4, s[0:1]
	v_cndmask_b32_e64 v4, 0, v5, s[0:1]
	;; [unrolled: 1-line block ×3, first 2 shown]
	v_mul_f32_e32 v8, v5, v5
	v_fmac_f32_e32 v8, v4, v4
	v_cndmask_b32_e64 v3, 0, v3, s[0:1]
	v_fmac_f32_e32 v8, v2, v2
	v_fmac_f32_e32 v8, v3, v3
	s_load_dwordx2 s[28:29], s[4:5], 0x18
	s_nop 0
	v_mov_b32_dpp v9, v8 quad_perm:[1,0,3,2] row_mask:0xf bank_mask:0xf
	v_add_f32_e32 v8, v8, v9
	s_nop 1
	v_mov_b32_dpp v9, v8 quad_perm:[2,3,0,1] row_mask:0xf bank_mask:0xf
	v_add_f32_e32 v8, v8, v9
	s_nop 1
	v_mov_b32_dpp v9, v8 row_half_mirror row_mask:0xf bank_mask:0xf
	v_add_f32_e32 v8, v8, v9
	s_nop 1
	v_mov_b32_dpp v9, v8 row_mirror row_mask:0xf bank_mask:0xf
	v_add_f32_e32 v8, v8, v9
	s_nop 1
	v_mov_b32_dpp v9, v8 row_bcast:15 row_mask:0xf bank_mask:0xf
	v_add_f32_e32 v8, v8, v9
	s_nop 1
	v_mov_b32_dpp v9, v8 row_bcast:31 row_mask:0xf bank_mask:0xf
	v_add_f32_e32 v10, v8, v9
	v_mbcnt_lo_u32_b32 v8, -1, 0
	v_mbcnt_hi_u32_b32 v8, -1, v8
	v_lshlrev_b32_e32 v9, 2, v8
	v_or_b32_e32 v8, 0xfc, v9
	ds_bpermute_b32 v10, v8, v10
	s_and_saveexec_b64 s[10:11], s[0:1]
	s_cbranch_execz .LBB259_5
; %bb.4:
	v_cvt_f32_u32_e32 v11, s7
	v_mov_b32_e32 v12, s13
	v_mov_b32_e32 v13, s12
	v_cndmask_b32_e32 v12, v12, v13, vcc
	s_waitcnt lgkmcnt(0)
	v_div_scale_f32 v14, s[20:21], v11, v11, v10
	v_rcp_f32_e32 v15, v14
	v_div_scale_f32 v13, vcc, v10, v11, v10
	s_mov_b32 s7, 0x800000
	v_fma_f32 v16, -v14, v15, 1.0
	v_fmac_f32_e32 v15, v16, v15
	v_mul_f32_e32 v16, v13, v15
	v_fma_f32 v17, -v14, v16, v13
	v_fmac_f32_e32 v16, v17, v15
	v_fma_f32 v13, -v14, v16, v13
	v_div_fmas_f32 v13, v13, v15, v16
	v_div_fixup_f32 v10, v13, v11, v10
	v_add_f32_e32 v10, v12, v10
	v_mul_f32_e32 v11, 0x4b800000, v10
	v_cmp_gt_f32_e32 vcc, s7, v10
	v_cndmask_b32_e32 v10, v10, v11, vcc
	v_rsq_f32_e32 v10, v10
	s_waitcnt vmcnt(0)
	v_cvt_f32_f16_sdwa v13, v6 dst_sel:DWORD dst_unused:UNUSED_PAD src0_sel:WORD_1
	v_cvt_f32_f16_e32 v12, v6
	v_cvt_f32_f16_sdwa v15, v7 dst_sel:DWORD dst_unused:UNUSED_PAD src0_sel:WORD_1
	v_mul_f32_e32 v11, 0x45800000, v10
	v_cndmask_b32_e32 v10, v10, v11, vcc
	v_mov_b32_e32 v11, v10
	;;#ASMSTART
	v_pk_mul_f32 v[4:5], v[4:5], v[10:11]
	;;#ASMEND
	;;#ASMSTART
	v_pk_mul_f32 v[2:3], v[2:3], v[10:11]
	;;#ASMEND
	v_cvt_f32_f16_e32 v14, v7
	;;#ASMSTART
	v_pk_mul_f32 v[4:5], v[4:5], v[12:13]
	;;#ASMEND
	;;#ASMSTART
	v_pk_mul_f32 v[2:3], v[2:3], v[14:15]
	;;#ASMEND
.LBB259_5:
	s_or_b64 exec, exec, s[10:11]
	s_load_dword s7, s[4:5], 0x80
	s_mov_b64 s[10:11], -1
	s_and_b64 vcc, exec, s[2:3]
	s_cbranch_vccnz .LBB259_9
; %bb.6:
	s_andn2_b64 vcc, exec, s[10:11]
	s_cbranch_vccz .LBB259_12
.LBB259_7:
	s_cmp_lt_i32 s16, 1
	s_cbranch_scc0 .LBB259_21
.LBB259_8:
	s_endpgm
.LBB259_9:
	s_and_saveexec_b64 s[2:3], s[0:1]
	s_cbranch_execz .LBB259_11
; %bb.10:
	s_waitcnt lgkmcnt(0)
	s_mul_hi_i32 s11, s7, s6
	s_mul_i32 s10, s7, s6
	s_waitcnt vmcnt(0)
	v_cvt_f16_f32_e32 v6, v4
	v_cvt_f16_f32_e32 v7, v2
	;; [unrolled: 1-line block ×4, first 2 shown]
	s_lshl_b64 s[10:11], s[10:11], 1
	s_add_u32 s20, s28, s10
	s_addc_u32 s10, s29, s11
	s_and_b32 s21, s10, 0xffff
	s_mov_b32 s23, 0x20000
	v_pack_b32_f16 v7, v7, v10
	v_pack_b32_f16 v6, v6, v11
	v_lshlrev_b32_e32 v10, 3, v0
	buffer_store_dwordx2 v[6:7], v10, s[20:23], 0 offen
	;;#ASMSTART
	s_nop 0
	;;#ASMEND
.LBB259_11:
	s_or_b64 exec, exec, s[2:3]
	s_cbranch_execnz .LBB259_7
.LBB259_12:
	s_load_dwordx4 s[24:27], s[4:5], 0x70
	s_waitcnt vmcnt(0)
	v_mov_b32_e32 v6, 0
	s_and_saveexec_b64 s[2:3], s[0:1]
	s_cbranch_execz .LBB259_14
; %bb.13:
	s_load_dwordx2 s[10:11], s[4:5], 0x10
	s_waitcnt lgkmcnt(0)
	s_mul_hi_i32 s21, s27, s6
	s_mul_i32 s20, s27, s6
	v_cvt_f16_f32_e32 v6, v4
	v_cvt_f16_f32_e32 v7, v2
	;; [unrolled: 1-line block ×4, first 2 shown]
	s_lshl_b64 s[20:21], s[20:21], 1
	s_add_u32 s20, s10, s20
	s_addc_u32 s10, s11, s21
	s_and_b32 s21, s10, 0xffff
	s_mov_b32 s23, 0x20000
	v_pack_b32_f16 v7, v7, v10
	v_pack_b32_f16 v6, v6, v11
	v_lshlrev_b32_e32 v10, 3, v0
	buffer_store_dwordx2 v[6:7], v10, s[20:23], 0 offen
	v_mov_b32_e32 v6, 0x2edbe6ff
	;;#ASMSTART
	s_nop 0
	;;#ASMEND
.LBB259_14:
	s_or_b64 exec, exec, s[2:3]
	s_and_saveexec_b64 s[2:3], s[0:1]
	s_cbranch_execz .LBB259_16
; %bb.15:
	v_and_b32_e32 v7, 0x7fffffff, v4
	s_waitcnt lgkmcnt(0)
	v_and_b32_e32 v10, 0x7fffffff, v5
	;;#ASMSTART
	v_max3_f32 v6, v6, v7, v10

	;;#ASMEND
	v_and_b32_e32 v7, 0x7fffffff, v2
	v_and_b32_e32 v10, 0x7fffffff, v3
	;;#ASMSTART
	v_max3_f32 v6, v6, v7, v10

	;;#ASMEND
.LBB259_16:
	s_or_b64 exec, exec, s[2:3]
	;;#ASMSTART
	v_max_f32 v7, v6, v6 quad_perm:[1,0,3,2] row_mask:0xf bank_mask:0xf bound_ctrl:1
	;;#ASMEND
	;;#ASMSTART
	v_max_f32 v6, v7, v7 quad_perm:[2,3,0,1] row_mask:0xf bank_mask:0xf bound_ctrl:1
	;;#ASMEND
	;;#ASMSTART
	v_max_f32 v7, v6, v6 row_half_mirror row_mask:0xf bank_mask:0xf bound_ctrl:1
	;;#ASMEND
	;;#ASMSTART
	v_max_f32 v6, v7, v7 row_mirror row_mask:0xf bank_mask:0xf bound_ctrl:1
	;;#ASMEND
	;;#ASMSTART
	v_max_f32 v7, v6, v6 row_ror:4 row_mask:0xf bank_mask:0xf bound_ctrl:1
	;;#ASMEND
	;;#ASMSTART
	v_max_f32 v6, v7, v7 row_ror:8 row_mask:0xf bank_mask:0xf bound_ctrl:1
	;;#ASMEND
	;;#ASMSTART
	v_max_f32 v7, v6, v6 row_bcast:15 row_mask:0xa bank_mask:0xf bound_ctrl:1
	;;#ASMEND
	v_or_b32_e32 v6, 0x7c, v9
	ds_bpermute_b32 v6, v6, v7
	v_and_b32_e32 v7, 31, v0
	v_cmp_gt_i32_e32 vcc, s15, v1
	v_cmp_eq_u32_e64 s[2:3], 0, v7
	s_and_b64 s[10:11], s[2:3], vcc
	s_waitcnt lgkmcnt(0)
	v_mul_f32_e32 v6, 0x3b124925, v6
	s_and_saveexec_b64 s[2:3], s[10:11]
	s_cbranch_execz .LBB259_18
; %bb.17:
	s_load_dwordx2 s[10:11], s[4:5], 0x8
	s_mul_hi_i32 s21, s25, s6
	s_mul_i32 s20, s25, s6
	v_lshrrev_b32_e32 v7, 5, v0
	s_lshl_b64 s[20:21], s[20:21], 2
	v_mad_i64_i32 v[10:11], s[22:23], s26, v7, 0
	s_waitcnt lgkmcnt(0)
	s_add_u32 s10, s10, s20
	s_addc_u32 s11, s11, s21
	v_lshlrev_b64 v[10:11], 2, v[10:11]
	v_mov_b32_e32 v7, s11
	v_add_co_u32_e32 v10, vcc, s10, v10
	v_addc_co_u32_e32 v11, vcc, v7, v11, vcc
	global_store_dword v[10:11], v6, off
.LBB259_18:
	s_or_b64 exec, exec, s[2:3]
	;;#ASMSTART
	v_rcp_f32 v6, v6
	;;#ASMEND
	s_and_saveexec_b64 s[2:3], s[0:1]
	s_cbranch_execz .LBB259_20
; %bb.19:
	s_load_dwordx2 s[0:1], s[4:5], 0x0
	s_mul_i32 s11, s24, s6
	s_mul_hi_i32 s10, s24, s6
	v_mov_b32_e32 v7, v6
	;;#ASMSTART
	v_pk_mul_f32 v[4:5], v[4:5], v[6:7]
	;;#ASMEND
	s_waitcnt lgkmcnt(0)
	s_add_u32 s20, s0, s11
	s_addc_u32 s0, s1, s10
	s_add_i32 s1, s15, 3
	s_ashr_i32 s10, s1, 31
	s_and_b32 s21, s0, 0xffff
	s_lshr_b32 s0, s10, 30
	v_mov_b32_e32 v9, 0xc3e00000
	v_mov_b32_e32 v10, 0x43e00000
	;;#ASMSTART
	v_med3_f32 v4, v4, v9, v10
v_med3_f32 v5, v5, v9, v10
v_cvt_pk_fp8_f32 v11, v4, v5
	;;#ASMEND
	;;#ASMSTART
	v_pk_mul_f32 v[2:3], v[2:3], v[6:7]
	;;#ASMEND
	s_add_i32 s1, s1, s0
	;;#ASMSTART
	v_med3_f32 v2, v2, v9, v10
v_med3_f32 v3, v3, v9, v10
v_cvt_pk_fp8_f32 v4, v2, v3
	;;#ASMEND
	s_mov_b32 s0, 0x5040100
	s_and_b32 s22, s1, -4
	s_mov_b32 s23, 0x20000
	v_perm_b32 v2, v4, v11, s0
	buffer_store_dword v2, v1, s[20:23], 0 offen
	;;#ASMSTART
	s_nop 0
	;;#ASMEND
.LBB259_20:
	s_or_b64 exec, exec, s[2:3]
	s_cmp_lt_i32 s16, 1
	s_cbranch_scc1 .LBB259_8
.LBB259_21:
	s_load_dword s0, s[4:5], 0x94
	s_waitcnt lgkmcnt(0)
	s_cmp_lg_u32 s0, 1
	s_cbranch_scc1 .LBB259_8
; %bb.22:
	s_lshl_b32 s0, s16, 1
	s_add_i32 s0, s0, 2
	v_cmp_gt_u32_e32 vcc, s16, v1
	s_and_b32 s10, s0, -4
	v_mov_b32_e32 v2, 0
	s_waitcnt vmcnt(0)
	v_lshlrev_b32_e32 v6, 3, v0
	v_mov_b32_e32 v3, 0
	v_mov_b32_e32 v0, 0
	;; [unrolled: 1-line block ×3, first 2 shown]
	s_barrier
	s_and_saveexec_b64 s[0:1], vcc
	s_cbranch_execz .LBB259_24
; %bb.23:
	s_mul_hi_i32 s3, s18, s6
	s_mul_i32 s2, s18, s6
	s_and_b32 s9, s9, 0xffff
	s_lshl_b64 s[2:3], s[2:3], 1
	s_add_u32 s20, s30, s2
	s_mov_b32 s11, 0x20000
	s_addc_u32 s2, s31, s3
	s_and_b32 s21, s2, 0xffff
	s_mov_b32 s22, s10
	s_mov_b32 s23, s11
	buffer_load_dwordx2 v[2:3], v6, s[20:23], 0 offen glc slc
	buffer_load_dwordx2 v[0:1], v6, s[8:11], 0 offen
.LBB259_24:
	s_or_b64 exec, exec, s[0:1]
	s_waitcnt vmcnt(1)
	v_cvt_f32_f16_e32 v4, v3
	v_cvt_f32_f16_e32 v5, v2
	v_cvt_f32_f16_sdwa v7, v2 dst_sel:DWORD dst_unused:UNUSED_PAD src0_sel:WORD_1
	v_cvt_f32_f16_sdwa v3, v3 dst_sel:DWORD dst_unused:UNUSED_PAD src0_sel:WORD_1
	v_cndmask_b32_e32 v2, 0, v4, vcc
	v_cndmask_b32_e32 v4, 0, v5, vcc
	;; [unrolled: 1-line block ×3, first 2 shown]
	v_mul_f32_e32 v7, v5, v5
	v_fmac_f32_e32 v7, v4, v4
	v_cndmask_b32_e32 v3, 0, v3, vcc
	v_fmac_f32_e32 v7, v2, v2
	v_fmac_f32_e32 v7, v3, v3
	s_nop 1
	v_mov_b32_dpp v9, v7 quad_perm:[1,0,3,2] row_mask:0xf bank_mask:0xf
	v_add_f32_e32 v7, v7, v9
	s_nop 1
	v_mov_b32_dpp v9, v7 quad_perm:[2,3,0,1] row_mask:0xf bank_mask:0xf
	v_add_f32_e32 v7, v7, v9
	s_nop 1
	v_mov_b32_dpp v9, v7 row_half_mirror row_mask:0xf bank_mask:0xf
	v_add_f32_e32 v7, v7, v9
	s_nop 1
	v_mov_b32_dpp v9, v7 row_mirror row_mask:0xf bank_mask:0xf
	v_add_f32_e32 v7, v7, v9
	s_nop 1
	v_mov_b32_dpp v9, v7 row_bcast:15 row_mask:0xf bank_mask:0xf
	v_add_f32_e32 v7, v7, v9
	s_nop 1
	v_mov_b32_dpp v9, v7 row_bcast:31 row_mask:0xf bank_mask:0xf
	v_add_f32_e32 v7, v7, v9
	ds_bpermute_b32 v7, v8, v7
	s_and_saveexec_b64 s[0:1], vcc
	s_cbranch_execz .LBB259_8
; %bb.25:
	v_cvt_f32_u32_e32 v8, s16
	s_mov_b32 s11, 0x20000
	s_waitcnt lgkmcnt(0)
	v_div_scale_f32 v9, s[0:1], v8, v8, v7
	v_rcp_f32_e32 v10, v9
	v_div_scale_f32 v11, vcc, v7, v8, v7
	s_mov_b32 s0, 0x800000
	v_fma_f32 v12, -v9, v10, 1.0
	v_fmac_f32_e32 v10, v12, v10
	v_mul_f32_e32 v12, v11, v10
	v_fma_f32 v13, -v9, v12, v11
	v_fmac_f32_e32 v12, v13, v10
	v_fma_f32 v9, -v9, v12, v11
	v_div_fmas_f32 v9, v9, v10, v12
	v_div_fixup_f32 v7, v9, v8, v7
	v_add_f32_e32 v7, s13, v7
	v_mul_f32_e32 v8, 0x4b800000, v7
	v_cmp_gt_f32_e32 vcc, s0, v7
	v_cndmask_b32_e32 v7, v7, v8, vcc
	v_rsq_f32_e32 v7, v7
	s_waitcnt vmcnt(0)
	v_cvt_f32_f16_sdwa v9, v0 dst_sel:DWORD dst_unused:UNUSED_PAD src0_sel:WORD_1
	v_cvt_f32_f16_e32 v8, v0
	v_cvt_f32_f16_sdwa v11, v1 dst_sel:DWORD dst_unused:UNUSED_PAD src0_sel:WORD_1
	v_mul_f32_e32 v0, 0x45800000, v7
	v_cndmask_b32_e32 v12, v7, v0, vcc
	v_mov_b32_e32 v13, v12
	v_cvt_f32_f16_e32 v10, v1
	;;#ASMSTART
	v_pk_mul_f32 v[0:1], v[4:5], v[12:13]
	;;#ASMEND
	;;#ASMSTART
	v_pk_mul_f32 v[2:3], v[2:3], v[12:13]
	;;#ASMEND
	;; [unrolled: 3-line block ×4, first 2 shown]
	s_mul_hi_i32 s1, s7, s6
	s_mul_i32 s0, s7, s6
	v_cvt_f16_f32_e32 v0, v0
	v_cvt_f16_f32_e32 v1, v1
	;; [unrolled: 1-line block ×4, first 2 shown]
	s_lshl_b64 s[0:1], s[0:1], 1
	s_add_u32 s8, s28, s0
	s_addc_u32 s0, s29, s1
	s_and_b32 s9, s0, 0xffff
	v_pack_b32_f16 v0, v0, v1
	v_pack_b32_f16 v1, v2, v3
	buffer_store_dwordx2 v[0:1], v6, s[8:11], 0 offen
	;;#ASMSTART
	s_nop 0
	;;#ASMEND
	s_endpgm
	.section	.rodata,"a",@progbits
	.p2align	6, 0x0
	.amdhsa_kernel _ZN5aiter35fused_qk_rmsnorm_group_quant_kernelIDF16_DB8_Li64ELi4ELi32ELb0ELb1ELb0ELb0ELb0ELb0EEEvPT0_PvPT_S6_S6_PKS5_S8_S8_S8_S8_ffiiiiiiiiiiiii
		.amdhsa_group_segment_fixed_size 0
		.amdhsa_private_segment_fixed_size 0
		.amdhsa_kernarg_size 400
		.amdhsa_user_sgpr_count 6
		.amdhsa_user_sgpr_private_segment_buffer 1
		.amdhsa_user_sgpr_dispatch_ptr 0
		.amdhsa_user_sgpr_queue_ptr 0
		.amdhsa_user_sgpr_kernarg_segment_ptr 1
		.amdhsa_user_sgpr_dispatch_id 0
		.amdhsa_user_sgpr_flat_scratch_init 0
		.amdhsa_user_sgpr_kernarg_preload_length 0
		.amdhsa_user_sgpr_kernarg_preload_offset 0
		.amdhsa_user_sgpr_private_segment_size 0
		.amdhsa_uses_dynamic_stack 0
		.amdhsa_system_sgpr_private_segment_wavefront_offset 0
		.amdhsa_system_sgpr_workgroup_id_x 1
		.amdhsa_system_sgpr_workgroup_id_y 1
		.amdhsa_system_sgpr_workgroup_id_z 0
		.amdhsa_system_sgpr_workgroup_info 0
		.amdhsa_system_vgpr_workitem_id 0
		.amdhsa_next_free_vgpr 18
		.amdhsa_next_free_sgpr 32
		.amdhsa_accum_offset 20
		.amdhsa_reserve_vcc 1
		.amdhsa_reserve_flat_scratch 0
		.amdhsa_float_round_mode_32 0
		.amdhsa_float_round_mode_16_64 0
		.amdhsa_float_denorm_mode_32 3
		.amdhsa_float_denorm_mode_16_64 3
		.amdhsa_dx10_clamp 1
		.amdhsa_ieee_mode 1
		.amdhsa_fp16_overflow 0
		.amdhsa_tg_split 0
		.amdhsa_exception_fp_ieee_invalid_op 0
		.amdhsa_exception_fp_denorm_src 0
		.amdhsa_exception_fp_ieee_div_zero 0
		.amdhsa_exception_fp_ieee_overflow 0
		.amdhsa_exception_fp_ieee_underflow 0
		.amdhsa_exception_fp_ieee_inexact 0
		.amdhsa_exception_int_div_zero 0
	.end_amdhsa_kernel
	.section	.text._ZN5aiter35fused_qk_rmsnorm_group_quant_kernelIDF16_DB8_Li64ELi4ELi32ELb0ELb1ELb0ELb0ELb0ELb0EEEvPT0_PvPT_S6_S6_PKS5_S8_S8_S8_S8_ffiiiiiiiiiiiii,"axG",@progbits,_ZN5aiter35fused_qk_rmsnorm_group_quant_kernelIDF16_DB8_Li64ELi4ELi32ELb0ELb1ELb0ELb0ELb0ELb0EEEvPT0_PvPT_S6_S6_PKS5_S8_S8_S8_S8_ffiiiiiiiiiiiii,comdat
.Lfunc_end259:
	.size	_ZN5aiter35fused_qk_rmsnorm_group_quant_kernelIDF16_DB8_Li64ELi4ELi32ELb0ELb1ELb0ELb0ELb0ELb0EEEvPT0_PvPT_S6_S6_PKS5_S8_S8_S8_S8_ffiiiiiiiiiiiii, .Lfunc_end259-_ZN5aiter35fused_qk_rmsnorm_group_quant_kernelIDF16_DB8_Li64ELi4ELi32ELb0ELb1ELb0ELb0ELb0ELb0EEEvPT0_PvPT_S6_S6_PKS5_S8_S8_S8_S8_ffiiiiiiiiiiiii
                                        ; -- End function
	.section	.AMDGPU.csdata,"",@progbits
; Kernel info:
; codeLenInByte = 2020
; NumSgprs: 36
; NumVgprs: 18
; NumAgprs: 0
; TotalNumVgprs: 18
; ScratchSize: 0
; MemoryBound: 0
; FloatMode: 240
; IeeeMode: 1
; LDSByteSize: 0 bytes/workgroup (compile time only)
; SGPRBlocks: 4
; VGPRBlocks: 2
; NumSGPRsForWavesPerEU: 36
; NumVGPRsForWavesPerEU: 18
; AccumOffset: 20
; Occupancy: 8
; WaveLimiterHint : 0
; COMPUTE_PGM_RSRC2:SCRATCH_EN: 0
; COMPUTE_PGM_RSRC2:USER_SGPR: 6
; COMPUTE_PGM_RSRC2:TRAP_HANDLER: 0
; COMPUTE_PGM_RSRC2:TGID_X_EN: 1
; COMPUTE_PGM_RSRC2:TGID_Y_EN: 1
; COMPUTE_PGM_RSRC2:TGID_Z_EN: 0
; COMPUTE_PGM_RSRC2:TIDIG_COMP_CNT: 0
; COMPUTE_PGM_RSRC3_GFX90A:ACCUM_OFFSET: 4
; COMPUTE_PGM_RSRC3_GFX90A:TG_SPLIT: 0
	.section	.text._ZN5aiter35fused_qk_rmsnorm_group_quant_kernelItDB8_Li64ELi4ELi32ELb0ELb1ELb0ELb0ELb0ELb0EEEvPT0_PvPT_S6_S6_PKS5_S8_S8_S8_S8_ffiiiiiiiiiiiii,"axG",@progbits,_ZN5aiter35fused_qk_rmsnorm_group_quant_kernelItDB8_Li64ELi4ELi32ELb0ELb1ELb0ELb0ELb0ELb0EEEvPT0_PvPT_S6_S6_PKS5_S8_S8_S8_S8_ffiiiiiiiiiiiii,comdat
	.protected	_ZN5aiter35fused_qk_rmsnorm_group_quant_kernelItDB8_Li64ELi4ELi32ELb0ELb1ELb0ELb0ELb0ELb0EEEvPT0_PvPT_S6_S6_PKS5_S8_S8_S8_S8_ffiiiiiiiiiiiii ; -- Begin function _ZN5aiter35fused_qk_rmsnorm_group_quant_kernelItDB8_Li64ELi4ELi32ELb0ELb1ELb0ELb0ELb0ELb0EEEvPT0_PvPT_S6_S6_PKS5_S8_S8_S8_S8_ffiiiiiiiiiiiii
	.globl	_ZN5aiter35fused_qk_rmsnorm_group_quant_kernelItDB8_Li64ELi4ELi32ELb0ELb1ELb0ELb0ELb0ELb0EEEvPT0_PvPT_S6_S6_PKS5_S8_S8_S8_S8_ffiiiiiiiiiiiii
	.p2align	8
	.type	_ZN5aiter35fused_qk_rmsnorm_group_quant_kernelItDB8_Li64ELi4ELi32ELb0ELb1ELb0ELb0ELb0ELb0EEEvPT0_PvPT_S6_S6_PKS5_S8_S8_S8_S8_ffiiiiiiiiiiiii,@function
_ZN5aiter35fused_qk_rmsnorm_group_quant_kernelItDB8_Li64ELi4ELi32ELb0ELb1ELb0ELb0ELb0ELb0EEEvPT0_PvPT_S6_S6_PKS5_S8_S8_S8_S8_ffiiiiiiiiiiiii: ; @_ZN5aiter35fused_qk_rmsnorm_group_quant_kernelItDB8_Li64ELi4ELi32ELb0ELb1ELb0ELb0ELb0ELb0EEEvPT0_PvPT_S6_S6_PKS5_S8_S8_S8_S8_ffiiiiiiiiiiiii
; %bb.0:
	s_load_dwordx4 s[12:15], s[4:5], 0x50
	s_waitcnt lgkmcnt(0)
	s_cmp_ge_i32 s6, s14
	s_cbranch_scc1 .LBB260_8
; %bb.1:
	s_load_dwordx2 s[8:9], s[4:5], 0x48
	s_load_dwordx2 s[30:31], s[4:5], 0x30
	s_load_dwordx4 s[16:19], s[4:5], 0x60
	s_cmp_lg_u32 s7, 0
	s_cselect_b64 s[2:3], -1, 0
	s_cmp_eq_u32 s7, 0
	s_cselect_b64 vcc, -1, 0
	s_and_b64 s[0:1], vcc, exec
	s_waitcnt lgkmcnt(0)
	s_cselect_b32 s7, s15, s16
	s_add_i32 s0, s7, 1
	s_lshr_b32 s1, s0, 31
	s_add_i32 s0, s0, s1
	s_lshl_b32 s0, s0, 1
	v_lshlrev_b32_e32 v1, 2, v0
	s_and_b32 s22, s0, -4
	v_cmp_gt_i32_e64 s[0:1], s7, v1
	v_mov_b32_e32 v6, 0
	v_mov_b32_e32 v7, 0
	;; [unrolled: 1-line block ×4, first 2 shown]
	s_and_saveexec_b64 s[10:11], s[0:1]
	s_cbranch_execz .LBB260_3
; %bb.2:
	s_load_dwordx2 s[20:21], s[4:5], 0x28
	s_load_dwordx2 s[26:27], s[4:5], 0x40
	s_and_b64 s[24:25], vcc, exec
	s_cselect_b32 s14, s17, s18
	s_mov_b32 s23, 0x20000
	s_waitcnt lgkmcnt(0)
	s_cselect_b32 s17, s21, s31
	s_cselect_b32 s19, s20, s30
	s_mul_hi_i32 s21, s14, s6
	s_mul_i32 s20, s14, s6
	s_lshl_b64 s[20:21], s[20:21], 1
	s_add_u32 s24, s19, s20
	s_addc_u32 s14, s17, s21
	s_and_b64 s[20:21], vcc, exec
	s_cselect_b32 s20, s26, s8
	s_cselect_b32 s17, s27, s9
	v_lshlrev_b32_e32 v4, 3, v0
	s_and_b32 s25, s14, 0xffff
	s_mov_b32 s26, s22
	s_mov_b32 s27, s23
	s_and_b32 s21, s17, 0xffff
	buffer_load_dwordx2 v[2:3], v4, s[24:27], 0 offen glc slc
	buffer_load_dwordx2 v[6:7], v4, s[20:23], 0 offen
.LBB260_3:
	s_or_b64 exec, exec, s[10:11]
	s_waitcnt vmcnt(1)
	v_cvt_f32_u32_sdwa v5, v3 dst_sel:DWORD dst_unused:UNUSED_PAD src0_sel:WORD_0
	v_cvt_f32_u32_sdwa v8, v2 dst_sel:DWORD dst_unused:UNUSED_PAD src0_sel:WORD_1
	v_cvt_f32_u32_sdwa v4, v3 dst_sel:DWORD dst_unused:UNUSED_PAD src0_sel:WORD_1
	v_cvt_f32_u32_sdwa v9, v2 dst_sel:DWORD dst_unused:UNUSED_PAD src0_sel:WORD_0
	v_cndmask_b32_e64 v2, 0, v5, s[0:1]
	v_cndmask_b32_e64 v5, 0, v8, s[0:1]
	;; [unrolled: 1-line block ×4, first 2 shown]
	v_mul_f32_e32 v8, v5, v5
	v_fmac_f32_e32 v8, v4, v4
	v_fmac_f32_e32 v8, v2, v2
	;; [unrolled: 1-line block ×3, first 2 shown]
	s_load_dwordx2 s[28:29], s[4:5], 0x18
	s_nop 0
	v_mov_b32_dpp v9, v8 quad_perm:[1,0,3,2] row_mask:0xf bank_mask:0xf
	v_add_f32_e32 v8, v8, v9
	s_nop 1
	v_mov_b32_dpp v9, v8 quad_perm:[2,3,0,1] row_mask:0xf bank_mask:0xf
	v_add_f32_e32 v8, v8, v9
	s_nop 1
	v_mov_b32_dpp v9, v8 row_half_mirror row_mask:0xf bank_mask:0xf
	v_add_f32_e32 v8, v8, v9
	s_nop 1
	v_mov_b32_dpp v9, v8 row_mirror row_mask:0xf bank_mask:0xf
	v_add_f32_e32 v8, v8, v9
	s_nop 1
	v_mov_b32_dpp v9, v8 row_bcast:15 row_mask:0xf bank_mask:0xf
	v_add_f32_e32 v8, v8, v9
	s_nop 1
	v_mov_b32_dpp v9, v8 row_bcast:31 row_mask:0xf bank_mask:0xf
	v_add_f32_e32 v10, v8, v9
	v_mbcnt_lo_u32_b32 v8, -1, 0
	v_mbcnt_hi_u32_b32 v8, -1, v8
	v_lshlrev_b32_e32 v9, 2, v8
	v_or_b32_e32 v8, 0xfc, v9
	ds_bpermute_b32 v10, v8, v10
	s_and_saveexec_b64 s[10:11], s[0:1]
	s_cbranch_execz .LBB260_5
; %bb.4:
	v_cvt_f32_u32_e32 v11, s7
	v_mov_b32_e32 v12, s13
	v_mov_b32_e32 v13, s12
	v_cndmask_b32_e32 v12, v12, v13, vcc
	s_waitcnt lgkmcnt(0)
	v_div_scale_f32 v14, s[20:21], v11, v11, v10
	v_rcp_f32_e32 v15, v14
	v_div_scale_f32 v13, vcc, v10, v11, v10
	s_mov_b32 s7, 0x800000
	v_fma_f32 v16, -v14, v15, 1.0
	v_fmac_f32_e32 v15, v16, v15
	v_mul_f32_e32 v16, v13, v15
	v_fma_f32 v17, -v14, v16, v13
	v_fmac_f32_e32 v16, v17, v15
	v_fma_f32 v13, -v14, v16, v13
	v_div_fmas_f32 v13, v13, v15, v16
	v_div_fixup_f32 v10, v13, v11, v10
	v_add_f32_e32 v10, v12, v10
	v_mul_f32_e32 v11, 0x4b800000, v10
	v_cmp_gt_f32_e32 vcc, s7, v10
	v_cndmask_b32_e32 v10, v10, v11, vcc
	v_rsq_f32_e32 v10, v10
	s_waitcnt vmcnt(0)
	v_cvt_f32_u32_sdwa v13, v6 dst_sel:DWORD dst_unused:UNUSED_PAD src0_sel:WORD_1
	v_cvt_f32_u32_sdwa v12, v6 dst_sel:DWORD dst_unused:UNUSED_PAD src0_sel:WORD_0
	v_cvt_f32_u32_sdwa v15, v7 dst_sel:DWORD dst_unused:UNUSED_PAD src0_sel:WORD_1
	v_mul_f32_e32 v11, 0x45800000, v10
	v_cndmask_b32_e32 v10, v10, v11, vcc
	v_mov_b32_e32 v11, v10
	;;#ASMSTART
	v_pk_mul_f32 v[4:5], v[4:5], v[10:11]
	;;#ASMEND
	;;#ASMSTART
	v_pk_mul_f32 v[2:3], v[2:3], v[10:11]
	;;#ASMEND
	v_cvt_f32_u32_sdwa v14, v7 dst_sel:DWORD dst_unused:UNUSED_PAD src0_sel:WORD_0
	;;#ASMSTART
	v_pk_mul_f32 v[4:5], v[4:5], v[12:13]
	;;#ASMEND
	;;#ASMSTART
	v_pk_mul_f32 v[2:3], v[2:3], v[14:15]
	;;#ASMEND
.LBB260_5:
	s_or_b64 exec, exec, s[10:11]
	s_load_dword s7, s[4:5], 0x80
	s_mov_b64 s[10:11], -1
	s_and_b64 vcc, exec, s[2:3]
	s_cbranch_vccnz .LBB260_9
; %bb.6:
	s_andn2_b64 vcc, exec, s[10:11]
	s_cbranch_vccz .LBB260_12
.LBB260_7:
	s_cmp_lt_i32 s16, 1
	s_cbranch_scc0 .LBB260_21
.LBB260_8:
	s_endpgm
.LBB260_9:
	s_and_saveexec_b64 s[2:3], s[0:1]
	s_cbranch_execz .LBB260_11
; %bb.10:
	s_waitcnt lgkmcnt(0)
	s_mul_hi_i32 s11, s7, s6
	s_mul_i32 s10, s7, s6
	s_lshl_b64 s[10:11], s[10:11], 1
	s_add_u32 s20, s28, s10
	s_addc_u32 s10, s29, s11
	s_and_b32 s21, s10, 0xffff
	s_mov_b32 s10, 0x7060302
	s_mov_b32 s23, 0x20000
	s_waitcnt vmcnt(0)
	v_perm_b32 v6, v5, v4, s10
	v_perm_b32 v7, v3, v2, s10
	v_lshlrev_b32_e32 v10, 3, v0
	buffer_store_dwordx2 v[6:7], v10, s[20:23], 0 offen
	;;#ASMSTART
	s_nop 0
	;;#ASMEND
.LBB260_11:
	s_or_b64 exec, exec, s[2:3]
	s_cbranch_execnz .LBB260_7
.LBB260_12:
	s_load_dwordx4 s[24:27], s[4:5], 0x70
	s_waitcnt vmcnt(0)
	v_mov_b32_e32 v6, 0
	s_and_saveexec_b64 s[2:3], s[0:1]
	s_cbranch_execz .LBB260_14
; %bb.13:
	s_load_dwordx2 s[10:11], s[4:5], 0x10
	s_waitcnt lgkmcnt(0)
	s_mul_hi_i32 s21, s27, s6
	s_mul_i32 s20, s27, s6
	s_lshl_b64 s[20:21], s[20:21], 1
	s_mov_b32 s23, 0x20000
	s_add_u32 s20, s10, s20
	s_addc_u32 s10, s11, s21
	s_and_b32 s21, s10, 0xffff
	s_mov_b32 s10, 0x7060302
	v_perm_b32 v6, v5, v4, s10
	v_perm_b32 v7, v3, v2, s10
	v_lshlrev_b32_e32 v10, 3, v0
	buffer_store_dwordx2 v[6:7], v10, s[20:23], 0 offen
	v_mov_b32_e32 v6, 0x2edbe6ff
	;;#ASMSTART
	s_nop 0
	;;#ASMEND
.LBB260_14:
	s_or_b64 exec, exec, s[2:3]
	s_and_saveexec_b64 s[2:3], s[0:1]
	s_cbranch_execz .LBB260_16
; %bb.15:
	v_and_b32_e32 v7, 0x7fffffff, v4
	s_waitcnt lgkmcnt(0)
	v_and_b32_e32 v10, 0x7fffffff, v5
	;;#ASMSTART
	v_max3_f32 v6, v6, v7, v10

	;;#ASMEND
	v_and_b32_e32 v7, 0x7fffffff, v2
	v_and_b32_e32 v10, 0x7fffffff, v3
	;;#ASMSTART
	v_max3_f32 v6, v6, v7, v10

	;;#ASMEND
.LBB260_16:
	s_or_b64 exec, exec, s[2:3]
	;;#ASMSTART
	v_max_f32 v7, v6, v6 quad_perm:[1,0,3,2] row_mask:0xf bank_mask:0xf bound_ctrl:1
	;;#ASMEND
	;;#ASMSTART
	v_max_f32 v6, v7, v7 quad_perm:[2,3,0,1] row_mask:0xf bank_mask:0xf bound_ctrl:1
	;;#ASMEND
	;;#ASMSTART
	v_max_f32 v7, v6, v6 row_half_mirror row_mask:0xf bank_mask:0xf bound_ctrl:1
	;;#ASMEND
	;;#ASMSTART
	v_max_f32 v6, v7, v7 row_mirror row_mask:0xf bank_mask:0xf bound_ctrl:1
	;;#ASMEND
	;;#ASMSTART
	v_max_f32 v7, v6, v6 row_ror:4 row_mask:0xf bank_mask:0xf bound_ctrl:1
	;;#ASMEND
	;;#ASMSTART
	v_max_f32 v6, v7, v7 row_ror:8 row_mask:0xf bank_mask:0xf bound_ctrl:1
	;;#ASMEND
	;;#ASMSTART
	v_max_f32 v7, v6, v6 row_bcast:15 row_mask:0xa bank_mask:0xf bound_ctrl:1
	;;#ASMEND
	v_or_b32_e32 v6, 0x7c, v9
	ds_bpermute_b32 v6, v6, v7
	v_and_b32_e32 v7, 31, v0
	v_cmp_gt_i32_e32 vcc, s15, v1
	v_cmp_eq_u32_e64 s[2:3], 0, v7
	s_and_b64 s[10:11], s[2:3], vcc
	s_waitcnt lgkmcnt(0)
	v_mul_f32_e32 v6, 0x3b124925, v6
	s_and_saveexec_b64 s[2:3], s[10:11]
	s_cbranch_execz .LBB260_18
; %bb.17:
	s_load_dwordx2 s[10:11], s[4:5], 0x8
	s_mul_hi_i32 s21, s25, s6
	s_mul_i32 s20, s25, s6
	v_lshrrev_b32_e32 v7, 5, v0
	s_lshl_b64 s[20:21], s[20:21], 2
	v_mad_i64_i32 v[10:11], s[22:23], s26, v7, 0
	s_waitcnt lgkmcnt(0)
	s_add_u32 s10, s10, s20
	s_addc_u32 s11, s11, s21
	v_lshlrev_b64 v[10:11], 2, v[10:11]
	v_mov_b32_e32 v7, s11
	v_add_co_u32_e32 v10, vcc, s10, v10
	v_addc_co_u32_e32 v11, vcc, v7, v11, vcc
	global_store_dword v[10:11], v6, off
.LBB260_18:
	s_or_b64 exec, exec, s[2:3]
	;;#ASMSTART
	v_rcp_f32 v6, v6
	;;#ASMEND
	s_and_saveexec_b64 s[2:3], s[0:1]
	s_cbranch_execz .LBB260_20
; %bb.19:
	s_load_dwordx2 s[0:1], s[4:5], 0x0
	s_mul_i32 s11, s24, s6
	s_mul_hi_i32 s10, s24, s6
	v_mov_b32_e32 v7, v6
	;;#ASMSTART
	v_pk_mul_f32 v[4:5], v[4:5], v[6:7]
	;;#ASMEND
	s_waitcnt lgkmcnt(0)
	s_add_u32 s20, s0, s11
	s_addc_u32 s0, s1, s10
	s_add_i32 s1, s15, 3
	s_ashr_i32 s10, s1, 31
	s_and_b32 s21, s0, 0xffff
	s_lshr_b32 s0, s10, 30
	v_mov_b32_e32 v9, 0xc3e00000
	v_mov_b32_e32 v10, 0x43e00000
	;;#ASMSTART
	v_med3_f32 v4, v4, v9, v10
v_med3_f32 v5, v5, v9, v10
v_cvt_pk_fp8_f32 v11, v4, v5
	;;#ASMEND
	;;#ASMSTART
	v_pk_mul_f32 v[2:3], v[2:3], v[6:7]
	;;#ASMEND
	s_add_i32 s1, s1, s0
	;;#ASMSTART
	v_med3_f32 v2, v2, v9, v10
v_med3_f32 v3, v3, v9, v10
v_cvt_pk_fp8_f32 v4, v2, v3
	;;#ASMEND
	s_mov_b32 s0, 0x5040100
	s_and_b32 s22, s1, -4
	s_mov_b32 s23, 0x20000
	v_perm_b32 v2, v4, v11, s0
	buffer_store_dword v2, v1, s[20:23], 0 offen
	;;#ASMSTART
	s_nop 0
	;;#ASMEND
.LBB260_20:
	s_or_b64 exec, exec, s[2:3]
	s_cmp_lt_i32 s16, 1
	s_cbranch_scc1 .LBB260_8
.LBB260_21:
	s_load_dword s0, s[4:5], 0x94
	s_waitcnt lgkmcnt(0)
	s_cmp_lg_u32 s0, 1
	s_cbranch_scc1 .LBB260_8
; %bb.22:
	s_lshl_b32 s0, s16, 1
	s_add_i32 s0, s0, 2
	v_cmp_gt_u32_e32 vcc, s16, v1
	s_and_b32 s10, s0, -4
	v_mov_b32_e32 v2, 0
	s_waitcnt vmcnt(0)
	v_lshlrev_b32_e32 v6, 3, v0
	v_mov_b32_e32 v3, 0
	v_mov_b32_e32 v0, 0
	;; [unrolled: 1-line block ×3, first 2 shown]
	s_barrier
	s_and_saveexec_b64 s[0:1], vcc
	s_cbranch_execz .LBB260_24
; %bb.23:
	s_mul_hi_i32 s3, s18, s6
	s_mul_i32 s2, s18, s6
	s_and_b32 s9, s9, 0xffff
	s_lshl_b64 s[2:3], s[2:3], 1
	s_add_u32 s20, s30, s2
	s_mov_b32 s11, 0x20000
	s_addc_u32 s2, s31, s3
	s_and_b32 s21, s2, 0xffff
	s_mov_b32 s22, s10
	s_mov_b32 s23, s11
	buffer_load_dwordx2 v[2:3], v6, s[20:23], 0 offen glc slc
	buffer_load_dwordx2 v[0:1], v6, s[8:11], 0 offen
.LBB260_24:
	s_or_b64 exec, exec, s[0:1]
	s_waitcnt vmcnt(1)
	v_cvt_f32_u32_sdwa v5, v3 dst_sel:DWORD dst_unused:UNUSED_PAD src0_sel:WORD_0
	v_cvt_f32_u32_sdwa v7, v2 dst_sel:DWORD dst_unused:UNUSED_PAD src0_sel:WORD_1
	v_cvt_f32_u32_sdwa v4, v3 dst_sel:DWORD dst_unused:UNUSED_PAD src0_sel:WORD_1
	v_cvt_f32_u32_sdwa v9, v2 dst_sel:DWORD dst_unused:UNUSED_PAD src0_sel:WORD_0
	v_cndmask_b32_e32 v2, 0, v5, vcc
	v_cndmask_b32_e32 v5, 0, v7, vcc
	;; [unrolled: 1-line block ×4, first 2 shown]
	v_mul_f32_e32 v7, v5, v5
	v_fmac_f32_e32 v7, v4, v4
	v_fmac_f32_e32 v7, v2, v2
	;; [unrolled: 1-line block ×3, first 2 shown]
	s_nop 1
	v_mov_b32_dpp v9, v7 quad_perm:[1,0,3,2] row_mask:0xf bank_mask:0xf
	v_add_f32_e32 v7, v7, v9
	s_nop 1
	v_mov_b32_dpp v9, v7 quad_perm:[2,3,0,1] row_mask:0xf bank_mask:0xf
	v_add_f32_e32 v7, v7, v9
	s_nop 1
	v_mov_b32_dpp v9, v7 row_half_mirror row_mask:0xf bank_mask:0xf
	v_add_f32_e32 v7, v7, v9
	s_nop 1
	v_mov_b32_dpp v9, v7 row_mirror row_mask:0xf bank_mask:0xf
	v_add_f32_e32 v7, v7, v9
	s_nop 1
	v_mov_b32_dpp v9, v7 row_bcast:15 row_mask:0xf bank_mask:0xf
	v_add_f32_e32 v7, v7, v9
	s_nop 1
	v_mov_b32_dpp v9, v7 row_bcast:31 row_mask:0xf bank_mask:0xf
	v_add_f32_e32 v7, v7, v9
	ds_bpermute_b32 v7, v8, v7
	s_and_saveexec_b64 s[0:1], vcc
	s_cbranch_execz .LBB260_8
; %bb.25:
	v_cvt_f32_u32_e32 v8, s16
	s_mov_b32 s11, 0x20000
	s_waitcnt lgkmcnt(0)
	v_div_scale_f32 v9, s[0:1], v8, v8, v7
	v_rcp_f32_e32 v10, v9
	v_div_scale_f32 v11, vcc, v7, v8, v7
	s_mov_b32 s0, 0x800000
	v_fma_f32 v12, -v9, v10, 1.0
	v_fmac_f32_e32 v10, v12, v10
	v_mul_f32_e32 v12, v11, v10
	v_fma_f32 v13, -v9, v12, v11
	v_fmac_f32_e32 v12, v13, v10
	v_fma_f32 v9, -v9, v12, v11
	v_div_fmas_f32 v9, v9, v10, v12
	v_div_fixup_f32 v7, v9, v8, v7
	v_add_f32_e32 v7, s13, v7
	v_mul_f32_e32 v8, 0x4b800000, v7
	v_cmp_gt_f32_e32 vcc, s0, v7
	v_cndmask_b32_e32 v7, v7, v8, vcc
	v_rsq_f32_e32 v7, v7
	s_mul_hi_i32 s1, s7, s6
	s_mul_i32 s0, s7, s6
	s_waitcnt vmcnt(0)
	v_cvt_f32_u32_sdwa v9, v0 dst_sel:DWORD dst_unused:UNUSED_PAD src0_sel:WORD_1
	v_cvt_f32_u32_sdwa v8, v0 dst_sel:DWORD dst_unused:UNUSED_PAD src0_sel:WORD_0
	v_mul_f32_e32 v0, 0x45800000, v7
	s_lshl_b64 s[0:1], s[0:1], 1
	v_cndmask_b32_e32 v12, v7, v0, vcc
	s_add_u32 s8, s28, s0
	v_cvt_f32_u32_sdwa v11, v1 dst_sel:DWORD dst_unused:UNUSED_PAD src0_sel:WORD_1
	v_mov_b32_e32 v13, v12
	v_cvt_f32_u32_sdwa v10, v1 dst_sel:DWORD dst_unused:UNUSED_PAD src0_sel:WORD_0
	;;#ASMSTART
	v_pk_mul_f32 v[0:1], v[4:5], v[12:13]
	;;#ASMEND
	s_addc_u32 s0, s29, s1
	;;#ASMSTART
	v_pk_mul_f32 v[2:3], v[2:3], v[12:13]
	;;#ASMEND
	;;#ASMSTART
	v_pk_mul_f32 v[0:1], v[0:1], v[8:9]
	;;#ASMEND
	s_and_b32 s9, s0, 0xffff
	s_mov_b32 s0, 0x7060302
	;;#ASMSTART
	v_pk_mul_f32 v[2:3], v[2:3], v[10:11]
	;;#ASMEND
	v_perm_b32 v0, v1, v0, s0
	v_perm_b32 v1, v3, v2, s0
	buffer_store_dwordx2 v[0:1], v6, s[8:11], 0 offen
	;;#ASMSTART
	s_nop 0
	;;#ASMEND
	s_endpgm
	.section	.rodata,"a",@progbits
	.p2align	6, 0x0
	.amdhsa_kernel _ZN5aiter35fused_qk_rmsnorm_group_quant_kernelItDB8_Li64ELi4ELi32ELb0ELb1ELb0ELb0ELb0ELb0EEEvPT0_PvPT_S6_S6_PKS5_S8_S8_S8_S8_ffiiiiiiiiiiiii
		.amdhsa_group_segment_fixed_size 0
		.amdhsa_private_segment_fixed_size 0
		.amdhsa_kernarg_size 400
		.amdhsa_user_sgpr_count 6
		.amdhsa_user_sgpr_private_segment_buffer 1
		.amdhsa_user_sgpr_dispatch_ptr 0
		.amdhsa_user_sgpr_queue_ptr 0
		.amdhsa_user_sgpr_kernarg_segment_ptr 1
		.amdhsa_user_sgpr_dispatch_id 0
		.amdhsa_user_sgpr_flat_scratch_init 0
		.amdhsa_user_sgpr_kernarg_preload_length 0
		.amdhsa_user_sgpr_kernarg_preload_offset 0
		.amdhsa_user_sgpr_private_segment_size 0
		.amdhsa_uses_dynamic_stack 0
		.amdhsa_system_sgpr_private_segment_wavefront_offset 0
		.amdhsa_system_sgpr_workgroup_id_x 1
		.amdhsa_system_sgpr_workgroup_id_y 1
		.amdhsa_system_sgpr_workgroup_id_z 0
		.amdhsa_system_sgpr_workgroup_info 0
		.amdhsa_system_vgpr_workitem_id 0
		.amdhsa_next_free_vgpr 18
		.amdhsa_next_free_sgpr 32
		.amdhsa_accum_offset 20
		.amdhsa_reserve_vcc 1
		.amdhsa_reserve_flat_scratch 0
		.amdhsa_float_round_mode_32 0
		.amdhsa_float_round_mode_16_64 0
		.amdhsa_float_denorm_mode_32 3
		.amdhsa_float_denorm_mode_16_64 3
		.amdhsa_dx10_clamp 1
		.amdhsa_ieee_mode 1
		.amdhsa_fp16_overflow 0
		.amdhsa_tg_split 0
		.amdhsa_exception_fp_ieee_invalid_op 0
		.amdhsa_exception_fp_denorm_src 0
		.amdhsa_exception_fp_ieee_div_zero 0
		.amdhsa_exception_fp_ieee_overflow 0
		.amdhsa_exception_fp_ieee_underflow 0
		.amdhsa_exception_fp_ieee_inexact 0
		.amdhsa_exception_int_div_zero 0
	.end_amdhsa_kernel
	.section	.text._ZN5aiter35fused_qk_rmsnorm_group_quant_kernelItDB8_Li64ELi4ELi32ELb0ELb1ELb0ELb0ELb0ELb0EEEvPT0_PvPT_S6_S6_PKS5_S8_S8_S8_S8_ffiiiiiiiiiiiii,"axG",@progbits,_ZN5aiter35fused_qk_rmsnorm_group_quant_kernelItDB8_Li64ELi4ELi32ELb0ELb1ELb0ELb0ELb0ELb0EEEvPT0_PvPT_S6_S6_PKS5_S8_S8_S8_S8_ffiiiiiiiiiiiii,comdat
.Lfunc_end260:
	.size	_ZN5aiter35fused_qk_rmsnorm_group_quant_kernelItDB8_Li64ELi4ELi32ELb0ELb1ELb0ELb0ELb0ELb0EEEvPT0_PvPT_S6_S6_PKS5_S8_S8_S8_S8_ffiiiiiiiiiiiii, .Lfunc_end260-_ZN5aiter35fused_qk_rmsnorm_group_quant_kernelItDB8_Li64ELi4ELi32ELb0ELb1ELb0ELb0ELb0ELb0EEEvPT0_PvPT_S6_S6_PKS5_S8_S8_S8_S8_ffiiiiiiiiiiiii
                                        ; -- End function
	.section	.AMDGPU.csdata,"",@progbits
; Kernel info:
; codeLenInByte = 2028
; NumSgprs: 36
; NumVgprs: 18
; NumAgprs: 0
; TotalNumVgprs: 18
; ScratchSize: 0
; MemoryBound: 0
; FloatMode: 240
; IeeeMode: 1
; LDSByteSize: 0 bytes/workgroup (compile time only)
; SGPRBlocks: 4
; VGPRBlocks: 2
; NumSGPRsForWavesPerEU: 36
; NumVGPRsForWavesPerEU: 18
; AccumOffset: 20
; Occupancy: 8
; WaveLimiterHint : 0
; COMPUTE_PGM_RSRC2:SCRATCH_EN: 0
; COMPUTE_PGM_RSRC2:USER_SGPR: 6
; COMPUTE_PGM_RSRC2:TRAP_HANDLER: 0
; COMPUTE_PGM_RSRC2:TGID_X_EN: 1
; COMPUTE_PGM_RSRC2:TGID_Y_EN: 1
; COMPUTE_PGM_RSRC2:TGID_Z_EN: 0
; COMPUTE_PGM_RSRC2:TIDIG_COMP_CNT: 0
; COMPUTE_PGM_RSRC3_GFX90A:ACCUM_OFFSET: 4
; COMPUTE_PGM_RSRC3_GFX90A:TG_SPLIT: 0
	.section	.text._ZN5aiter35fused_qk_rmsnorm_group_quant_kernelIDF16_DB8_Li64ELi4ELi32ELb0ELb0ELb1ELb0ELb0ELb0EEEvPT0_PvPT_S6_S6_PKS5_S8_S8_S8_S8_ffiiiiiiiiiiiii,"axG",@progbits,_ZN5aiter35fused_qk_rmsnorm_group_quant_kernelIDF16_DB8_Li64ELi4ELi32ELb0ELb0ELb1ELb0ELb0ELb0EEEvPT0_PvPT_S6_S6_PKS5_S8_S8_S8_S8_ffiiiiiiiiiiiii,comdat
	.protected	_ZN5aiter35fused_qk_rmsnorm_group_quant_kernelIDF16_DB8_Li64ELi4ELi32ELb0ELb0ELb1ELb0ELb0ELb0EEEvPT0_PvPT_S6_S6_PKS5_S8_S8_S8_S8_ffiiiiiiiiiiiii ; -- Begin function _ZN5aiter35fused_qk_rmsnorm_group_quant_kernelIDF16_DB8_Li64ELi4ELi32ELb0ELb0ELb1ELb0ELb0ELb0EEEvPT0_PvPT_S6_S6_PKS5_S8_S8_S8_S8_ffiiiiiiiiiiiii
	.globl	_ZN5aiter35fused_qk_rmsnorm_group_quant_kernelIDF16_DB8_Li64ELi4ELi32ELb0ELb0ELb1ELb0ELb0ELb0EEEvPT0_PvPT_S6_S6_PKS5_S8_S8_S8_S8_ffiiiiiiiiiiiii
	.p2align	8
	.type	_ZN5aiter35fused_qk_rmsnorm_group_quant_kernelIDF16_DB8_Li64ELi4ELi32ELb0ELb0ELb1ELb0ELb0ELb0EEEvPT0_PvPT_S6_S6_PKS5_S8_S8_S8_S8_ffiiiiiiiiiiiii,@function
_ZN5aiter35fused_qk_rmsnorm_group_quant_kernelIDF16_DB8_Li64ELi4ELi32ELb0ELb0ELb1ELb0ELb0ELb0EEEvPT0_PvPT_S6_S6_PKS5_S8_S8_S8_S8_ffiiiiiiiiiiiii: ; @_ZN5aiter35fused_qk_rmsnorm_group_quant_kernelIDF16_DB8_Li64ELi4ELi32ELb0ELb0ELb1ELb0ELb0ELb0EEEvPT0_PvPT_S6_S6_PKS5_S8_S8_S8_S8_ffiiiiiiiiiiiii
; %bb.0:
	s_load_dwordx4 s[12:15], s[4:5], 0x50
	s_waitcnt lgkmcnt(0)
	s_cmp_ge_i32 s6, s14
	s_cbranch_scc1 .LBB261_8
; %bb.1:
	s_load_dwordx2 s[8:9], s[4:5], 0x48
	s_load_dwordx2 s[26:27], s[4:5], 0x30
	s_load_dwordx4 s[16:19], s[4:5], 0x60
	s_cmp_lg_u32 s7, 0
	s_cselect_b64 s[2:3], -1, 0
	s_cmp_eq_u32 s7, 0
	s_cselect_b64 vcc, -1, 0
	s_and_b64 s[0:1], vcc, exec
	s_waitcnt lgkmcnt(0)
	s_cselect_b32 s7, s15, s16
	s_add_i32 s0, s7, 1
	s_lshr_b32 s1, s0, 31
	s_add_i32 s0, s0, s1
	s_lshl_b32 s0, s0, 1
	v_lshlrev_b32_e32 v1, 2, v0
	s_and_b32 s22, s0, -4
	v_cmp_gt_i32_e64 s[0:1], s7, v1
	v_mov_b32_e32 v6, 0
	v_mov_b32_e32 v7, 0
	;; [unrolled: 1-line block ×4, first 2 shown]
	s_and_saveexec_b64 s[10:11], s[0:1]
	s_cbranch_execz .LBB261_3
; %bb.2:
	s_load_dwordx2 s[20:21], s[4:5], 0x28
	s_load_dwordx2 s[24:25], s[4:5], 0x40
	s_and_b64 s[28:29], vcc, exec
	s_cselect_b32 s14, s17, s18
	s_mov_b32 s23, 0x20000
	s_waitcnt lgkmcnt(0)
	s_cselect_b32 s17, s21, s27
	s_cselect_b32 s19, s20, s26
	s_mul_hi_i32 s21, s14, s6
	s_mul_i32 s20, s14, s6
	s_lshl_b64 s[20:21], s[20:21], 1
	s_add_u32 s28, s19, s20
	s_addc_u32 s14, s17, s21
	s_and_b64 s[20:21], vcc, exec
	s_cselect_b32 s20, s24, s8
	s_cselect_b32 s17, s25, s9
	v_lshlrev_b32_e32 v4, 3, v0
	s_and_b32 s29, s14, 0xffff
	s_mov_b32 s30, s22
	s_mov_b32 s31, s23
	s_and_b32 s21, s17, 0xffff
	buffer_load_dwordx2 v[2:3], v4, s[28:31], 0 offen glc slc
	buffer_load_dwordx2 v[6:7], v4, s[20:23], 0 offen
.LBB261_3:
	s_or_b64 exec, exec, s[10:11]
	s_waitcnt vmcnt(1)
	v_cvt_f32_f16_e32 v4, v3
	v_cvt_f32_f16_e32 v5, v2
	v_cvt_f32_f16_sdwa v8, v2 dst_sel:DWORD dst_unused:UNUSED_PAD src0_sel:WORD_1
	v_cvt_f32_f16_sdwa v3, v3 dst_sel:DWORD dst_unused:UNUSED_PAD src0_sel:WORD_1
	v_cndmask_b32_e64 v2, 0, v4, s[0:1]
	v_cndmask_b32_e64 v4, 0, v5, s[0:1]
	;; [unrolled: 1-line block ×3, first 2 shown]
	v_mul_f32_e32 v8, v5, v5
	v_fmac_f32_e32 v8, v4, v4
	v_cndmask_b32_e64 v3, 0, v3, s[0:1]
	v_fmac_f32_e32 v8, v2, v2
	v_fmac_f32_e32 v8, v3, v3
	s_load_dwordx2 s[24:25], s[4:5], 0x18
	s_nop 0
	v_mov_b32_dpp v9, v8 quad_perm:[1,0,3,2] row_mask:0xf bank_mask:0xf
	v_add_f32_e32 v8, v8, v9
	s_nop 1
	v_mov_b32_dpp v9, v8 quad_perm:[2,3,0,1] row_mask:0xf bank_mask:0xf
	v_add_f32_e32 v8, v8, v9
	s_nop 1
	v_mov_b32_dpp v9, v8 row_half_mirror row_mask:0xf bank_mask:0xf
	v_add_f32_e32 v8, v8, v9
	s_nop 1
	v_mov_b32_dpp v9, v8 row_mirror row_mask:0xf bank_mask:0xf
	v_add_f32_e32 v8, v8, v9
	s_nop 1
	v_mov_b32_dpp v9, v8 row_bcast:15 row_mask:0xf bank_mask:0xf
	v_add_f32_e32 v8, v8, v9
	s_nop 1
	v_mov_b32_dpp v9, v8 row_bcast:31 row_mask:0xf bank_mask:0xf
	v_add_f32_e32 v10, v8, v9
	v_mbcnt_lo_u32_b32 v8, -1, 0
	v_mbcnt_hi_u32_b32 v8, -1, v8
	v_lshlrev_b32_e32 v9, 2, v8
	v_or_b32_e32 v8, 0xfc, v9
	ds_bpermute_b32 v10, v8, v10
	s_and_saveexec_b64 s[10:11], s[0:1]
	s_cbranch_execz .LBB261_5
; %bb.4:
	v_cvt_f32_u32_e32 v11, s7
	v_mov_b32_e32 v12, s13
	v_mov_b32_e32 v13, s12
	v_cndmask_b32_e32 v12, v12, v13, vcc
	s_waitcnt lgkmcnt(0)
	v_div_scale_f32 v14, s[20:21], v11, v11, v10
	v_rcp_f32_e32 v15, v14
	v_div_scale_f32 v13, vcc, v10, v11, v10
	s_mov_b32 s7, 0x800000
	v_fma_f32 v16, -v14, v15, 1.0
	v_fmac_f32_e32 v15, v16, v15
	v_mul_f32_e32 v16, v13, v15
	v_fma_f32 v17, -v14, v16, v13
	v_fmac_f32_e32 v16, v17, v15
	v_fma_f32 v13, -v14, v16, v13
	v_div_fmas_f32 v13, v13, v15, v16
	v_div_fixup_f32 v10, v13, v11, v10
	v_add_f32_e32 v10, v12, v10
	v_mul_f32_e32 v11, 0x4b800000, v10
	v_cmp_gt_f32_e32 vcc, s7, v10
	v_cndmask_b32_e32 v10, v10, v11, vcc
	v_rsq_f32_e32 v10, v10
	s_waitcnt vmcnt(0)
	v_cvt_f32_f16_sdwa v13, v6 dst_sel:DWORD dst_unused:UNUSED_PAD src0_sel:WORD_1
	v_cvt_f32_f16_e32 v12, v6
	v_cvt_f32_f16_sdwa v15, v7 dst_sel:DWORD dst_unused:UNUSED_PAD src0_sel:WORD_1
	v_cvt_f32_f16_e32 v14, v7
	v_mul_f32_e32 v11, 0x45800000, v10
	v_cndmask_b32_e32 v10, v10, v11, vcc
	v_mov_b32_e32 v11, v10
	;;#ASMSTART
	v_pk_mul_f32 v[4:5], v[4:5], v[10:11]
	;;#ASMEND
	;;#ASMSTART
	v_pk_mul_f32 v[2:3], v[2:3], v[10:11]
	;;#ASMEND
	v_pk_add_f32 v[6:7], v[12:13], 1.0 op_sel_hi:[1,0]
	;;#ASMSTART
	v_pk_mul_f32 v[4:5], v[4:5], v[6:7]
	;;#ASMEND
	v_pk_add_f32 v[6:7], v[14:15], 1.0 op_sel_hi:[1,0]
	;;#ASMSTART
	v_pk_mul_f32 v[2:3], v[2:3], v[6:7]
	;;#ASMEND
.LBB261_5:
	s_or_b64 exec, exec, s[10:11]
	s_load_dword s7, s[4:5], 0x80
	s_mov_b64 s[10:11], -1
	s_and_b64 vcc, exec, s[2:3]
	s_cbranch_vccnz .LBB261_9
; %bb.6:
	s_andn2_b64 vcc, exec, s[10:11]
	s_cbranch_vccz .LBB261_12
.LBB261_7:
	s_cmp_lt_i32 s16, 1
	s_cbranch_scc0 .LBB261_19
.LBB261_8:
	s_endpgm
.LBB261_9:
	s_and_saveexec_b64 s[2:3], s[0:1]
	s_cbranch_execz .LBB261_11
; %bb.10:
	s_waitcnt lgkmcnt(0)
	s_mul_hi_i32 s11, s7, s6
	s_mul_i32 s10, s7, s6
	s_waitcnt vmcnt(0)
	v_cvt_f16_f32_e32 v6, v4
	v_cvt_f16_f32_e32 v7, v2
	;; [unrolled: 1-line block ×4, first 2 shown]
	s_lshl_b64 s[10:11], s[10:11], 1
	s_add_u32 s20, s24, s10
	s_addc_u32 s10, s25, s11
	s_and_b32 s21, s10, 0xffff
	s_mov_b32 s23, 0x20000
	v_pack_b32_f16 v7, v7, v10
	v_pack_b32_f16 v6, v6, v11
	v_lshlrev_b32_e32 v10, 3, v0
	buffer_store_dwordx2 v[6:7], v10, s[20:23], 0 offen
	;;#ASMSTART
	s_nop 0
	;;#ASMEND
.LBB261_11:
	s_or_b64 exec, exec, s[2:3]
	s_cbranch_execnz .LBB261_7
.LBB261_12:
	s_waitcnt vmcnt(0)
	v_mov_b32_e32 v6, 0
	s_and_saveexec_b64 s[2:3], s[0:1]
	s_cbranch_execz .LBB261_14
; %bb.13:
	v_and_b32_e32 v6, 0x7fffffff, v4
	v_and_b32_e32 v7, 0x7fffffff, v5
	s_waitcnt lgkmcnt(0)
	v_mov_b32_e32 v10, 0x2edbe6ff
	;;#ASMSTART
	v_max3_f32 v6, v10, v6, v7

	;;#ASMEND
	v_and_b32_e32 v7, 0x7fffffff, v2
	v_and_b32_e32 v10, 0x7fffffff, v3
	;;#ASMSTART
	v_max3_f32 v6, v6, v7, v10

	;;#ASMEND
.LBB261_14:
	s_or_b64 exec, exec, s[2:3]
	;;#ASMSTART
	v_max_f32 v7, v6, v6 quad_perm:[1,0,3,2] row_mask:0xf bank_mask:0xf bound_ctrl:1
	;;#ASMEND
	;;#ASMSTART
	v_max_f32 v6, v7, v7 quad_perm:[2,3,0,1] row_mask:0xf bank_mask:0xf bound_ctrl:1
	;;#ASMEND
	;;#ASMSTART
	v_max_f32 v7, v6, v6 row_half_mirror row_mask:0xf bank_mask:0xf bound_ctrl:1
	;;#ASMEND
	;;#ASMSTART
	v_max_f32 v6, v7, v7 row_mirror row_mask:0xf bank_mask:0xf bound_ctrl:1
	;;#ASMEND
	;;#ASMSTART
	v_max_f32 v7, v6, v6 row_ror:4 row_mask:0xf bank_mask:0xf bound_ctrl:1
	;;#ASMEND
	;;#ASMSTART
	v_max_f32 v6, v7, v7 row_ror:8 row_mask:0xf bank_mask:0xf bound_ctrl:1
	;;#ASMEND
	;;#ASMSTART
	v_max_f32 v7, v6, v6 row_bcast:15 row_mask:0xa bank_mask:0xf bound_ctrl:1
	;;#ASMEND
	v_or_b32_e32 v6, 0x7c, v9
	ds_bpermute_b32 v6, v6, v7
	s_load_dwordx4 s[20:23], s[4:5], 0x70
	v_and_b32_e32 v7, 31, v0
	v_cmp_eq_u32_e32 vcc, 0, v7
	v_cmp_gt_i32_e64 s[2:3], s15, v1
	s_waitcnt lgkmcnt(0)
	v_mul_f32_e32 v6, 0x3b124925, v6
	s_and_b64 s[10:11], vcc, s[2:3]
	s_and_saveexec_b64 s[2:3], s[10:11]
	s_cbranch_execz .LBB261_16
; %bb.15:
	s_load_dwordx2 s[10:11], s[4:5], 0x8
	v_lshrrev_b32_e32 v7, 5, v0
	s_mul_hi_i32 s29, s21, s6
	s_mul_i32 s28, s21, s6
	v_mad_i64_i32 v[10:11], s[22:23], s22, v7, 0
	s_lshl_b64 s[22:23], s[28:29], 2
	s_waitcnt lgkmcnt(0)
	s_add_u32 s10, s10, s22
	s_addc_u32 s11, s11, s23
	v_lshlrev_b64 v[10:11], 2, v[10:11]
	v_mov_b32_e32 v7, s11
	v_add_co_u32_e32 v10, vcc, s10, v10
	v_addc_co_u32_e32 v11, vcc, v7, v11, vcc
	global_store_dword v[10:11], v6, off
.LBB261_16:
	s_or_b64 exec, exec, s[2:3]
	;;#ASMSTART
	v_rcp_f32 v6, v6
	;;#ASMEND
	s_and_saveexec_b64 s[2:3], s[0:1]
	s_cbranch_execz .LBB261_18
; %bb.17:
	s_load_dwordx2 s[0:1], s[4:5], 0x0
	s_mul_i32 s11, s20, s6
	s_mul_hi_i32 s10, s20, s6
	v_mov_b32_e32 v7, v6
	;;#ASMSTART
	v_pk_mul_f32 v[4:5], v[4:5], v[6:7]
	;;#ASMEND
	s_waitcnt lgkmcnt(0)
	s_add_u32 s20, s0, s11
	s_addc_u32 s0, s1, s10
	s_add_i32 s1, s15, 3
	s_ashr_i32 s10, s1, 31
	s_and_b32 s21, s0, 0xffff
	s_lshr_b32 s0, s10, 30
	v_mov_b32_e32 v9, 0xc3e00000
	v_mov_b32_e32 v10, 0x43e00000
	;;#ASMSTART
	v_med3_f32 v4, v4, v9, v10
v_med3_f32 v5, v5, v9, v10
v_cvt_pk_fp8_f32 v11, v4, v5
	;;#ASMEND
	;;#ASMSTART
	v_pk_mul_f32 v[2:3], v[2:3], v[6:7]
	;;#ASMEND
	s_add_i32 s1, s1, s0
	;;#ASMSTART
	v_med3_f32 v2, v2, v9, v10
v_med3_f32 v3, v3, v9, v10
v_cvt_pk_fp8_f32 v4, v2, v3
	;;#ASMEND
	s_mov_b32 s0, 0x5040100
	s_and_b32 s22, s1, -4
	s_mov_b32 s23, 0x20000
	v_perm_b32 v2, v4, v11, s0
	buffer_store_dword v2, v1, s[20:23], 0 offen
	;;#ASMSTART
	s_nop 0
	;;#ASMEND
.LBB261_18:
	s_or_b64 exec, exec, s[2:3]
	s_cmp_lt_i32 s16, 1
	s_cbranch_scc1 .LBB261_8
.LBB261_19:
	s_load_dword s0, s[4:5], 0x94
	s_waitcnt lgkmcnt(0)
	s_cmp_lg_u32 s0, 1
	s_cbranch_scc1 .LBB261_8
; %bb.20:
	s_lshl_b32 s0, s16, 1
	s_add_i32 s0, s0, 2
	v_cmp_gt_u32_e32 vcc, s16, v1
	s_and_b32 s10, s0, -4
	v_mov_b32_e32 v2, 0
	s_waitcnt vmcnt(0)
	v_lshlrev_b32_e32 v6, 3, v0
	v_mov_b32_e32 v3, 0
	v_mov_b32_e32 v0, 0
	;; [unrolled: 1-line block ×3, first 2 shown]
	s_barrier
	s_and_saveexec_b64 s[0:1], vcc
	s_cbranch_execz .LBB261_22
; %bb.21:
	s_mul_hi_i32 s3, s18, s6
	s_mul_i32 s2, s18, s6
	s_and_b32 s9, s9, 0xffff
	s_lshl_b64 s[2:3], s[2:3], 1
	s_add_u32 s20, s26, s2
	s_mov_b32 s11, 0x20000
	s_addc_u32 s2, s27, s3
	s_and_b32 s21, s2, 0xffff
	s_mov_b32 s22, s10
	s_mov_b32 s23, s11
	buffer_load_dwordx2 v[2:3], v6, s[20:23], 0 offen glc slc
	buffer_load_dwordx2 v[0:1], v6, s[8:11], 0 offen
.LBB261_22:
	s_or_b64 exec, exec, s[0:1]
	s_waitcnt vmcnt(1)
	v_cvt_f32_f16_e32 v4, v3
	v_cvt_f32_f16_e32 v5, v2
	v_cvt_f32_f16_sdwa v7, v2 dst_sel:DWORD dst_unused:UNUSED_PAD src0_sel:WORD_1
	v_cvt_f32_f16_sdwa v3, v3 dst_sel:DWORD dst_unused:UNUSED_PAD src0_sel:WORD_1
	v_cndmask_b32_e32 v2, 0, v4, vcc
	v_cndmask_b32_e32 v4, 0, v5, vcc
	;; [unrolled: 1-line block ×3, first 2 shown]
	v_mul_f32_e32 v7, v5, v5
	v_fmac_f32_e32 v7, v4, v4
	v_cndmask_b32_e32 v3, 0, v3, vcc
	v_fmac_f32_e32 v7, v2, v2
	v_fmac_f32_e32 v7, v3, v3
	s_nop 1
	v_mov_b32_dpp v9, v7 quad_perm:[1,0,3,2] row_mask:0xf bank_mask:0xf
	v_add_f32_e32 v7, v7, v9
	s_nop 1
	v_mov_b32_dpp v9, v7 quad_perm:[2,3,0,1] row_mask:0xf bank_mask:0xf
	v_add_f32_e32 v7, v7, v9
	s_nop 1
	v_mov_b32_dpp v9, v7 row_half_mirror row_mask:0xf bank_mask:0xf
	v_add_f32_e32 v7, v7, v9
	s_nop 1
	v_mov_b32_dpp v9, v7 row_mirror row_mask:0xf bank_mask:0xf
	v_add_f32_e32 v7, v7, v9
	s_nop 1
	v_mov_b32_dpp v9, v7 row_bcast:15 row_mask:0xf bank_mask:0xf
	v_add_f32_e32 v7, v7, v9
	s_nop 1
	v_mov_b32_dpp v9, v7 row_bcast:31 row_mask:0xf bank_mask:0xf
	v_add_f32_e32 v7, v7, v9
	ds_bpermute_b32 v7, v8, v7
	s_and_saveexec_b64 s[0:1], vcc
	s_cbranch_execz .LBB261_8
; %bb.23:
	v_cvt_f32_u32_e32 v8, s16
	s_mov_b32 s11, 0x20000
	s_waitcnt lgkmcnt(0)
	v_div_scale_f32 v9, s[0:1], v8, v8, v7
	v_rcp_f32_e32 v10, v9
	v_div_scale_f32 v11, vcc, v7, v8, v7
	s_mov_b32 s0, 0x800000
	v_fma_f32 v12, -v9, v10, 1.0
	v_fmac_f32_e32 v10, v12, v10
	v_mul_f32_e32 v12, v11, v10
	v_fma_f32 v13, -v9, v12, v11
	v_fmac_f32_e32 v12, v13, v10
	v_fma_f32 v9, -v9, v12, v11
	v_div_fmas_f32 v9, v9, v10, v12
	v_div_fixup_f32 v7, v9, v8, v7
	v_add_f32_e32 v7, s13, v7
	v_mul_f32_e32 v8, 0x4b800000, v7
	v_cmp_gt_f32_e32 vcc, s0, v7
	v_cndmask_b32_e32 v7, v7, v8, vcc
	v_rsq_f32_e32 v7, v7
	s_waitcnt vmcnt(0)
	v_cvt_f32_f16_sdwa v9, v0 dst_sel:DWORD dst_unused:UNUSED_PAD src0_sel:WORD_1
	v_cvt_f32_f16_e32 v8, v0
	v_cvt_f32_f16_sdwa v11, v1 dst_sel:DWORD dst_unused:UNUSED_PAD src0_sel:WORD_1
	v_cvt_f32_f16_e32 v10, v1
	v_mul_f32_e32 v0, 0x45800000, v7
	v_cndmask_b32_e32 v12, v7, v0, vcc
	v_mov_b32_e32 v13, v12
	;;#ASMSTART
	v_pk_mul_f32 v[4:5], v[4:5], v[12:13]
	;;#ASMEND
	;;#ASMSTART
	v_pk_mul_f32 v[0:1], v[2:3], v[12:13]
	;;#ASMEND
	v_pk_add_f32 v[2:3], v[8:9], 1.0 op_sel_hi:[1,0]
	;;#ASMSTART
	v_pk_mul_f32 v[2:3], v[4:5], v[2:3]
	;;#ASMEND
	v_pk_add_f32 v[4:5], v[10:11], 1.0 op_sel_hi:[1,0]
	;;#ASMSTART
	v_pk_mul_f32 v[0:1], v[0:1], v[4:5]
	;;#ASMEND
	s_mul_hi_i32 s1, s7, s6
	s_mul_i32 s0, s7, s6
	v_cvt_f16_f32_e32 v2, v2
	v_cvt_f16_f32_e32 v3, v3
	;; [unrolled: 1-line block ×4, first 2 shown]
	s_lshl_b64 s[0:1], s[0:1], 1
	s_add_u32 s8, s24, s0
	s_addc_u32 s0, s25, s1
	s_and_b32 s9, s0, 0xffff
	v_pack_b32_f16 v0, v2, v3
	v_pack_b32_f16 v1, v4, v1
	buffer_store_dwordx2 v[0:1], v6, s[8:11], 0 offen
	;;#ASMSTART
	s_nop 0
	;;#ASMEND
	s_endpgm
	.section	.rodata,"a",@progbits
	.p2align	6, 0x0
	.amdhsa_kernel _ZN5aiter35fused_qk_rmsnorm_group_quant_kernelIDF16_DB8_Li64ELi4ELi32ELb0ELb0ELb1ELb0ELb0ELb0EEEvPT0_PvPT_S6_S6_PKS5_S8_S8_S8_S8_ffiiiiiiiiiiiii
		.amdhsa_group_segment_fixed_size 0
		.amdhsa_private_segment_fixed_size 0
		.amdhsa_kernarg_size 400
		.amdhsa_user_sgpr_count 6
		.amdhsa_user_sgpr_private_segment_buffer 1
		.amdhsa_user_sgpr_dispatch_ptr 0
		.amdhsa_user_sgpr_queue_ptr 0
		.amdhsa_user_sgpr_kernarg_segment_ptr 1
		.amdhsa_user_sgpr_dispatch_id 0
		.amdhsa_user_sgpr_flat_scratch_init 0
		.amdhsa_user_sgpr_kernarg_preload_length 0
		.amdhsa_user_sgpr_kernarg_preload_offset 0
		.amdhsa_user_sgpr_private_segment_size 0
		.amdhsa_uses_dynamic_stack 0
		.amdhsa_system_sgpr_private_segment_wavefront_offset 0
		.amdhsa_system_sgpr_workgroup_id_x 1
		.amdhsa_system_sgpr_workgroup_id_y 1
		.amdhsa_system_sgpr_workgroup_id_z 0
		.amdhsa_system_sgpr_workgroup_info 0
		.amdhsa_system_vgpr_workitem_id 0
		.amdhsa_next_free_vgpr 18
		.amdhsa_next_free_sgpr 32
		.amdhsa_accum_offset 20
		.amdhsa_reserve_vcc 1
		.amdhsa_reserve_flat_scratch 0
		.amdhsa_float_round_mode_32 0
		.amdhsa_float_round_mode_16_64 0
		.amdhsa_float_denorm_mode_32 3
		.amdhsa_float_denorm_mode_16_64 3
		.amdhsa_dx10_clamp 1
		.amdhsa_ieee_mode 1
		.amdhsa_fp16_overflow 0
		.amdhsa_tg_split 0
		.amdhsa_exception_fp_ieee_invalid_op 0
		.amdhsa_exception_fp_denorm_src 0
		.amdhsa_exception_fp_ieee_div_zero 0
		.amdhsa_exception_fp_ieee_overflow 0
		.amdhsa_exception_fp_ieee_underflow 0
		.amdhsa_exception_fp_ieee_inexact 0
		.amdhsa_exception_int_div_zero 0
	.end_amdhsa_kernel
	.section	.text._ZN5aiter35fused_qk_rmsnorm_group_quant_kernelIDF16_DB8_Li64ELi4ELi32ELb0ELb0ELb1ELb0ELb0ELb0EEEvPT0_PvPT_S6_S6_PKS5_S8_S8_S8_S8_ffiiiiiiiiiiiii,"axG",@progbits,_ZN5aiter35fused_qk_rmsnorm_group_quant_kernelIDF16_DB8_Li64ELi4ELi32ELb0ELb0ELb1ELb0ELb0ELb0EEEvPT0_PvPT_S6_S6_PKS5_S8_S8_S8_S8_ffiiiiiiiiiiiii,comdat
.Lfunc_end261:
	.size	_ZN5aiter35fused_qk_rmsnorm_group_quant_kernelIDF16_DB8_Li64ELi4ELi32ELb0ELb0ELb1ELb0ELb0ELb0EEEvPT0_PvPT_S6_S6_PKS5_S8_S8_S8_S8_ffiiiiiiiiiiiii, .Lfunc_end261-_ZN5aiter35fused_qk_rmsnorm_group_quant_kernelIDF16_DB8_Li64ELi4ELi32ELb0ELb0ELb1ELb0ELb0ELb0EEEvPT0_PvPT_S6_S6_PKS5_S8_S8_S8_S8_ffiiiiiiiiiiiii
                                        ; -- End function
	.section	.AMDGPU.csdata,"",@progbits
; Kernel info:
; codeLenInByte = 1940
; NumSgprs: 36
; NumVgprs: 18
; NumAgprs: 0
; TotalNumVgprs: 18
; ScratchSize: 0
; MemoryBound: 0
; FloatMode: 240
; IeeeMode: 1
; LDSByteSize: 0 bytes/workgroup (compile time only)
; SGPRBlocks: 4
; VGPRBlocks: 2
; NumSGPRsForWavesPerEU: 36
; NumVGPRsForWavesPerEU: 18
; AccumOffset: 20
; Occupancy: 8
; WaveLimiterHint : 0
; COMPUTE_PGM_RSRC2:SCRATCH_EN: 0
; COMPUTE_PGM_RSRC2:USER_SGPR: 6
; COMPUTE_PGM_RSRC2:TRAP_HANDLER: 0
; COMPUTE_PGM_RSRC2:TGID_X_EN: 1
; COMPUTE_PGM_RSRC2:TGID_Y_EN: 1
; COMPUTE_PGM_RSRC2:TGID_Z_EN: 0
; COMPUTE_PGM_RSRC2:TIDIG_COMP_CNT: 0
; COMPUTE_PGM_RSRC3_GFX90A:ACCUM_OFFSET: 4
; COMPUTE_PGM_RSRC3_GFX90A:TG_SPLIT: 0
	.section	.text._ZN5aiter35fused_qk_rmsnorm_group_quant_kernelItDB8_Li64ELi4ELi32ELb0ELb0ELb1ELb0ELb0ELb0EEEvPT0_PvPT_S6_S6_PKS5_S8_S8_S8_S8_ffiiiiiiiiiiiii,"axG",@progbits,_ZN5aiter35fused_qk_rmsnorm_group_quant_kernelItDB8_Li64ELi4ELi32ELb0ELb0ELb1ELb0ELb0ELb0EEEvPT0_PvPT_S6_S6_PKS5_S8_S8_S8_S8_ffiiiiiiiiiiiii,comdat
	.protected	_ZN5aiter35fused_qk_rmsnorm_group_quant_kernelItDB8_Li64ELi4ELi32ELb0ELb0ELb1ELb0ELb0ELb0EEEvPT0_PvPT_S6_S6_PKS5_S8_S8_S8_S8_ffiiiiiiiiiiiii ; -- Begin function _ZN5aiter35fused_qk_rmsnorm_group_quant_kernelItDB8_Li64ELi4ELi32ELb0ELb0ELb1ELb0ELb0ELb0EEEvPT0_PvPT_S6_S6_PKS5_S8_S8_S8_S8_ffiiiiiiiiiiiii
	.globl	_ZN5aiter35fused_qk_rmsnorm_group_quant_kernelItDB8_Li64ELi4ELi32ELb0ELb0ELb1ELb0ELb0ELb0EEEvPT0_PvPT_S6_S6_PKS5_S8_S8_S8_S8_ffiiiiiiiiiiiii
	.p2align	8
	.type	_ZN5aiter35fused_qk_rmsnorm_group_quant_kernelItDB8_Li64ELi4ELi32ELb0ELb0ELb1ELb0ELb0ELb0EEEvPT0_PvPT_S6_S6_PKS5_S8_S8_S8_S8_ffiiiiiiiiiiiii,@function
_ZN5aiter35fused_qk_rmsnorm_group_quant_kernelItDB8_Li64ELi4ELi32ELb0ELb0ELb1ELb0ELb0ELb0EEEvPT0_PvPT_S6_S6_PKS5_S8_S8_S8_S8_ffiiiiiiiiiiiii: ; @_ZN5aiter35fused_qk_rmsnorm_group_quant_kernelItDB8_Li64ELi4ELi32ELb0ELb0ELb1ELb0ELb0ELb0EEEvPT0_PvPT_S6_S6_PKS5_S8_S8_S8_S8_ffiiiiiiiiiiiii
; %bb.0:
	s_load_dwordx4 s[12:15], s[4:5], 0x50
	s_waitcnt lgkmcnt(0)
	s_cmp_ge_i32 s6, s14
	s_cbranch_scc1 .LBB262_8
; %bb.1:
	s_load_dwordx2 s[8:9], s[4:5], 0x48
	s_load_dwordx2 s[26:27], s[4:5], 0x30
	s_load_dwordx4 s[16:19], s[4:5], 0x60
	s_cmp_lg_u32 s7, 0
	s_cselect_b64 s[2:3], -1, 0
	s_cmp_eq_u32 s7, 0
	s_cselect_b64 vcc, -1, 0
	s_and_b64 s[0:1], vcc, exec
	s_waitcnt lgkmcnt(0)
	s_cselect_b32 s7, s15, s16
	s_add_i32 s0, s7, 1
	s_lshr_b32 s1, s0, 31
	s_add_i32 s0, s0, s1
	s_lshl_b32 s0, s0, 1
	v_lshlrev_b32_e32 v1, 2, v0
	s_and_b32 s22, s0, -4
	v_cmp_gt_i32_e64 s[0:1], s7, v1
	v_mov_b32_e32 v6, 0
	v_mov_b32_e32 v7, 0
	;; [unrolled: 1-line block ×4, first 2 shown]
	s_and_saveexec_b64 s[10:11], s[0:1]
	s_cbranch_execz .LBB262_3
; %bb.2:
	s_load_dwordx2 s[20:21], s[4:5], 0x28
	s_load_dwordx2 s[24:25], s[4:5], 0x40
	s_and_b64 s[28:29], vcc, exec
	s_cselect_b32 s14, s17, s18
	s_mov_b32 s23, 0x20000
	s_waitcnt lgkmcnt(0)
	s_cselect_b32 s17, s21, s27
	s_cselect_b32 s19, s20, s26
	s_mul_hi_i32 s21, s14, s6
	s_mul_i32 s20, s14, s6
	s_lshl_b64 s[20:21], s[20:21], 1
	s_add_u32 s28, s19, s20
	s_addc_u32 s14, s17, s21
	s_and_b64 s[20:21], vcc, exec
	s_cselect_b32 s20, s24, s8
	s_cselect_b32 s17, s25, s9
	v_lshlrev_b32_e32 v4, 3, v0
	s_and_b32 s29, s14, 0xffff
	s_mov_b32 s30, s22
	s_mov_b32 s31, s23
	s_and_b32 s21, s17, 0xffff
	buffer_load_dwordx2 v[2:3], v4, s[28:31], 0 offen glc slc
	buffer_load_dwordx2 v[6:7], v4, s[20:23], 0 offen
.LBB262_3:
	s_or_b64 exec, exec, s[10:11]
	s_waitcnt vmcnt(1)
	v_cvt_f32_u32_sdwa v5, v3 dst_sel:DWORD dst_unused:UNUSED_PAD src0_sel:WORD_0
	v_cvt_f32_u32_sdwa v8, v2 dst_sel:DWORD dst_unused:UNUSED_PAD src0_sel:WORD_1
	v_cvt_f32_u32_sdwa v4, v3 dst_sel:DWORD dst_unused:UNUSED_PAD src0_sel:WORD_1
	v_cvt_f32_u32_sdwa v9, v2 dst_sel:DWORD dst_unused:UNUSED_PAD src0_sel:WORD_0
	v_cndmask_b32_e64 v2, 0, v5, s[0:1]
	v_cndmask_b32_e64 v5, 0, v8, s[0:1]
	;; [unrolled: 1-line block ×4, first 2 shown]
	v_mul_f32_e32 v8, v5, v5
	v_fmac_f32_e32 v8, v4, v4
	v_fmac_f32_e32 v8, v2, v2
	;; [unrolled: 1-line block ×3, first 2 shown]
	s_load_dwordx2 s[24:25], s[4:5], 0x18
	s_nop 0
	v_mov_b32_dpp v9, v8 quad_perm:[1,0,3,2] row_mask:0xf bank_mask:0xf
	v_add_f32_e32 v8, v8, v9
	s_nop 1
	v_mov_b32_dpp v9, v8 quad_perm:[2,3,0,1] row_mask:0xf bank_mask:0xf
	v_add_f32_e32 v8, v8, v9
	s_nop 1
	v_mov_b32_dpp v9, v8 row_half_mirror row_mask:0xf bank_mask:0xf
	v_add_f32_e32 v8, v8, v9
	s_nop 1
	v_mov_b32_dpp v9, v8 row_mirror row_mask:0xf bank_mask:0xf
	v_add_f32_e32 v8, v8, v9
	s_nop 1
	v_mov_b32_dpp v9, v8 row_bcast:15 row_mask:0xf bank_mask:0xf
	v_add_f32_e32 v8, v8, v9
	s_nop 1
	v_mov_b32_dpp v9, v8 row_bcast:31 row_mask:0xf bank_mask:0xf
	v_add_f32_e32 v10, v8, v9
	v_mbcnt_lo_u32_b32 v8, -1, 0
	v_mbcnt_hi_u32_b32 v8, -1, v8
	v_lshlrev_b32_e32 v9, 2, v8
	v_or_b32_e32 v8, 0xfc, v9
	ds_bpermute_b32 v10, v8, v10
	s_and_saveexec_b64 s[10:11], s[0:1]
	s_cbranch_execz .LBB262_5
; %bb.4:
	v_cvt_f32_u32_e32 v11, s7
	v_mov_b32_e32 v12, s13
	v_mov_b32_e32 v13, s12
	v_cndmask_b32_e32 v12, v12, v13, vcc
	s_waitcnt lgkmcnt(0)
	v_div_scale_f32 v14, s[20:21], v11, v11, v10
	v_rcp_f32_e32 v15, v14
	v_div_scale_f32 v13, vcc, v10, v11, v10
	s_mov_b32 s7, 0x800000
	v_fma_f32 v16, -v14, v15, 1.0
	v_fmac_f32_e32 v15, v16, v15
	v_mul_f32_e32 v16, v13, v15
	v_fma_f32 v17, -v14, v16, v13
	v_fmac_f32_e32 v16, v17, v15
	v_fma_f32 v13, -v14, v16, v13
	v_div_fmas_f32 v13, v13, v15, v16
	v_div_fixup_f32 v10, v13, v11, v10
	v_add_f32_e32 v10, v12, v10
	v_mul_f32_e32 v11, 0x4b800000, v10
	v_cmp_gt_f32_e32 vcc, s7, v10
	v_cndmask_b32_e32 v10, v10, v11, vcc
	v_rsq_f32_e32 v10, v10
	s_waitcnt vmcnt(0)
	v_cvt_f32_u32_sdwa v13, v6 dst_sel:DWORD dst_unused:UNUSED_PAD src0_sel:WORD_1
	v_cvt_f32_u32_sdwa v12, v6 dst_sel:DWORD dst_unused:UNUSED_PAD src0_sel:WORD_0
	v_cvt_f32_u32_sdwa v15, v7 dst_sel:DWORD dst_unused:UNUSED_PAD src0_sel:WORD_1
	v_cvt_f32_u32_sdwa v14, v7 dst_sel:DWORD dst_unused:UNUSED_PAD src0_sel:WORD_0
	v_mul_f32_e32 v11, 0x45800000, v10
	v_cndmask_b32_e32 v10, v10, v11, vcc
	v_mov_b32_e32 v11, v10
	;;#ASMSTART
	v_pk_mul_f32 v[4:5], v[4:5], v[10:11]
	;;#ASMEND
	;;#ASMSTART
	v_pk_mul_f32 v[2:3], v[2:3], v[10:11]
	;;#ASMEND
	v_pk_add_f32 v[6:7], v[12:13], 1.0 op_sel_hi:[1,0]
	;;#ASMSTART
	v_pk_mul_f32 v[4:5], v[4:5], v[6:7]
	;;#ASMEND
	v_pk_add_f32 v[6:7], v[14:15], 1.0 op_sel_hi:[1,0]
	;;#ASMSTART
	v_pk_mul_f32 v[2:3], v[2:3], v[6:7]
	;;#ASMEND
.LBB262_5:
	s_or_b64 exec, exec, s[10:11]
	s_load_dword s7, s[4:5], 0x80
	s_mov_b64 s[10:11], -1
	s_and_b64 vcc, exec, s[2:3]
	s_cbranch_vccnz .LBB262_9
; %bb.6:
	s_andn2_b64 vcc, exec, s[10:11]
	s_cbranch_vccz .LBB262_12
.LBB262_7:
	s_cmp_lt_i32 s16, 1
	s_cbranch_scc0 .LBB262_19
.LBB262_8:
	s_endpgm
.LBB262_9:
	s_and_saveexec_b64 s[2:3], s[0:1]
	s_cbranch_execz .LBB262_11
; %bb.10:
	s_waitcnt lgkmcnt(0)
	s_mul_hi_i32 s11, s7, s6
	s_mul_i32 s10, s7, s6
	s_lshl_b64 s[10:11], s[10:11], 1
	s_add_u32 s20, s24, s10
	s_addc_u32 s10, s25, s11
	s_and_b32 s21, s10, 0xffff
	s_mov_b32 s10, 0x7060302
	s_mov_b32 s23, 0x20000
	s_waitcnt vmcnt(0)
	v_perm_b32 v6, v5, v4, s10
	v_perm_b32 v7, v3, v2, s10
	v_lshlrev_b32_e32 v10, 3, v0
	buffer_store_dwordx2 v[6:7], v10, s[20:23], 0 offen
	;;#ASMSTART
	s_nop 0
	;;#ASMEND
.LBB262_11:
	s_or_b64 exec, exec, s[2:3]
	s_cbranch_execnz .LBB262_7
.LBB262_12:
	s_waitcnt vmcnt(0)
	v_mov_b32_e32 v6, 0
	s_and_saveexec_b64 s[2:3], s[0:1]
	s_cbranch_execz .LBB262_14
; %bb.13:
	v_and_b32_e32 v6, 0x7fffffff, v4
	v_and_b32_e32 v7, 0x7fffffff, v5
	s_waitcnt lgkmcnt(0)
	v_mov_b32_e32 v10, 0x2edbe6ff
	;;#ASMSTART
	v_max3_f32 v6, v10, v6, v7

	;;#ASMEND
	v_and_b32_e32 v7, 0x7fffffff, v2
	v_and_b32_e32 v10, 0x7fffffff, v3
	;;#ASMSTART
	v_max3_f32 v6, v6, v7, v10

	;;#ASMEND
.LBB262_14:
	s_or_b64 exec, exec, s[2:3]
	;;#ASMSTART
	v_max_f32 v7, v6, v6 quad_perm:[1,0,3,2] row_mask:0xf bank_mask:0xf bound_ctrl:1
	;;#ASMEND
	;;#ASMSTART
	v_max_f32 v6, v7, v7 quad_perm:[2,3,0,1] row_mask:0xf bank_mask:0xf bound_ctrl:1
	;;#ASMEND
	;;#ASMSTART
	v_max_f32 v7, v6, v6 row_half_mirror row_mask:0xf bank_mask:0xf bound_ctrl:1
	;;#ASMEND
	;;#ASMSTART
	v_max_f32 v6, v7, v7 row_mirror row_mask:0xf bank_mask:0xf bound_ctrl:1
	;;#ASMEND
	;;#ASMSTART
	v_max_f32 v7, v6, v6 row_ror:4 row_mask:0xf bank_mask:0xf bound_ctrl:1
	;;#ASMEND
	;;#ASMSTART
	v_max_f32 v6, v7, v7 row_ror:8 row_mask:0xf bank_mask:0xf bound_ctrl:1
	;;#ASMEND
	;;#ASMSTART
	v_max_f32 v7, v6, v6 row_bcast:15 row_mask:0xa bank_mask:0xf bound_ctrl:1
	;;#ASMEND
	v_or_b32_e32 v6, 0x7c, v9
	ds_bpermute_b32 v6, v6, v7
	s_load_dwordx4 s[20:23], s[4:5], 0x70
	v_and_b32_e32 v7, 31, v0
	v_cmp_eq_u32_e32 vcc, 0, v7
	v_cmp_gt_i32_e64 s[2:3], s15, v1
	s_waitcnt lgkmcnt(0)
	v_mul_f32_e32 v6, 0x3b124925, v6
	s_and_b64 s[10:11], vcc, s[2:3]
	s_and_saveexec_b64 s[2:3], s[10:11]
	s_cbranch_execz .LBB262_16
; %bb.15:
	s_load_dwordx2 s[10:11], s[4:5], 0x8
	v_lshrrev_b32_e32 v7, 5, v0
	s_mul_hi_i32 s29, s21, s6
	s_mul_i32 s28, s21, s6
	v_mad_i64_i32 v[10:11], s[22:23], s22, v7, 0
	s_lshl_b64 s[22:23], s[28:29], 2
	s_waitcnt lgkmcnt(0)
	s_add_u32 s10, s10, s22
	s_addc_u32 s11, s11, s23
	v_lshlrev_b64 v[10:11], 2, v[10:11]
	v_mov_b32_e32 v7, s11
	v_add_co_u32_e32 v10, vcc, s10, v10
	v_addc_co_u32_e32 v11, vcc, v7, v11, vcc
	global_store_dword v[10:11], v6, off
.LBB262_16:
	s_or_b64 exec, exec, s[2:3]
	;;#ASMSTART
	v_rcp_f32 v6, v6
	;;#ASMEND
	s_and_saveexec_b64 s[2:3], s[0:1]
	s_cbranch_execz .LBB262_18
; %bb.17:
	s_load_dwordx2 s[0:1], s[4:5], 0x0
	s_mul_i32 s11, s20, s6
	s_mul_hi_i32 s10, s20, s6
	v_mov_b32_e32 v7, v6
	;;#ASMSTART
	v_pk_mul_f32 v[4:5], v[4:5], v[6:7]
	;;#ASMEND
	s_waitcnt lgkmcnt(0)
	s_add_u32 s20, s0, s11
	s_addc_u32 s0, s1, s10
	s_add_i32 s1, s15, 3
	s_ashr_i32 s10, s1, 31
	s_and_b32 s21, s0, 0xffff
	s_lshr_b32 s0, s10, 30
	v_mov_b32_e32 v9, 0xc3e00000
	v_mov_b32_e32 v10, 0x43e00000
	;;#ASMSTART
	v_med3_f32 v4, v4, v9, v10
v_med3_f32 v5, v5, v9, v10
v_cvt_pk_fp8_f32 v11, v4, v5
	;;#ASMEND
	;;#ASMSTART
	v_pk_mul_f32 v[2:3], v[2:3], v[6:7]
	;;#ASMEND
	s_add_i32 s1, s1, s0
	;;#ASMSTART
	v_med3_f32 v2, v2, v9, v10
v_med3_f32 v3, v3, v9, v10
v_cvt_pk_fp8_f32 v4, v2, v3
	;;#ASMEND
	s_mov_b32 s0, 0x5040100
	s_and_b32 s22, s1, -4
	s_mov_b32 s23, 0x20000
	v_perm_b32 v2, v4, v11, s0
	buffer_store_dword v2, v1, s[20:23], 0 offen
	;;#ASMSTART
	s_nop 0
	;;#ASMEND
.LBB262_18:
	s_or_b64 exec, exec, s[2:3]
	s_cmp_lt_i32 s16, 1
	s_cbranch_scc1 .LBB262_8
.LBB262_19:
	s_load_dword s0, s[4:5], 0x94
	s_waitcnt lgkmcnt(0)
	s_cmp_lg_u32 s0, 1
	s_cbranch_scc1 .LBB262_8
; %bb.20:
	s_lshl_b32 s0, s16, 1
	s_add_i32 s0, s0, 2
	v_cmp_gt_u32_e32 vcc, s16, v1
	s_and_b32 s10, s0, -4
	v_mov_b32_e32 v2, 0
	s_waitcnt vmcnt(0)
	v_lshlrev_b32_e32 v6, 3, v0
	v_mov_b32_e32 v3, 0
	v_mov_b32_e32 v0, 0
	;; [unrolled: 1-line block ×3, first 2 shown]
	s_barrier
	s_and_saveexec_b64 s[0:1], vcc
	s_cbranch_execz .LBB262_22
; %bb.21:
	s_mul_hi_i32 s3, s18, s6
	s_mul_i32 s2, s18, s6
	s_and_b32 s9, s9, 0xffff
	s_lshl_b64 s[2:3], s[2:3], 1
	s_add_u32 s20, s26, s2
	s_mov_b32 s11, 0x20000
	s_addc_u32 s2, s27, s3
	s_and_b32 s21, s2, 0xffff
	s_mov_b32 s22, s10
	s_mov_b32 s23, s11
	buffer_load_dwordx2 v[2:3], v6, s[20:23], 0 offen glc slc
	buffer_load_dwordx2 v[0:1], v6, s[8:11], 0 offen
.LBB262_22:
	s_or_b64 exec, exec, s[0:1]
	s_waitcnt vmcnt(1)
	v_cvt_f32_u32_sdwa v5, v3 dst_sel:DWORD dst_unused:UNUSED_PAD src0_sel:WORD_0
	v_cvt_f32_u32_sdwa v7, v2 dst_sel:DWORD dst_unused:UNUSED_PAD src0_sel:WORD_1
	v_cvt_f32_u32_sdwa v4, v3 dst_sel:DWORD dst_unused:UNUSED_PAD src0_sel:WORD_1
	v_cvt_f32_u32_sdwa v9, v2 dst_sel:DWORD dst_unused:UNUSED_PAD src0_sel:WORD_0
	v_cndmask_b32_e32 v2, 0, v5, vcc
	v_cndmask_b32_e32 v5, 0, v7, vcc
	;; [unrolled: 1-line block ×4, first 2 shown]
	v_mul_f32_e32 v7, v5, v5
	v_fmac_f32_e32 v7, v4, v4
	v_fmac_f32_e32 v7, v2, v2
	;; [unrolled: 1-line block ×3, first 2 shown]
	s_nop 1
	v_mov_b32_dpp v9, v7 quad_perm:[1,0,3,2] row_mask:0xf bank_mask:0xf
	v_add_f32_e32 v7, v7, v9
	s_nop 1
	v_mov_b32_dpp v9, v7 quad_perm:[2,3,0,1] row_mask:0xf bank_mask:0xf
	v_add_f32_e32 v7, v7, v9
	s_nop 1
	v_mov_b32_dpp v9, v7 row_half_mirror row_mask:0xf bank_mask:0xf
	v_add_f32_e32 v7, v7, v9
	s_nop 1
	v_mov_b32_dpp v9, v7 row_mirror row_mask:0xf bank_mask:0xf
	v_add_f32_e32 v7, v7, v9
	s_nop 1
	v_mov_b32_dpp v9, v7 row_bcast:15 row_mask:0xf bank_mask:0xf
	v_add_f32_e32 v7, v7, v9
	s_nop 1
	v_mov_b32_dpp v9, v7 row_bcast:31 row_mask:0xf bank_mask:0xf
	v_add_f32_e32 v7, v7, v9
	ds_bpermute_b32 v7, v8, v7
	s_and_saveexec_b64 s[0:1], vcc
	s_cbranch_execz .LBB262_8
; %bb.23:
	v_cvt_f32_u32_e32 v8, s16
	s_mov_b32 s11, 0x20000
	s_waitcnt lgkmcnt(0)
	v_div_scale_f32 v9, s[0:1], v8, v8, v7
	v_rcp_f32_e32 v10, v9
	v_div_scale_f32 v11, vcc, v7, v8, v7
	s_mov_b32 s0, 0x800000
	v_fma_f32 v12, -v9, v10, 1.0
	v_fmac_f32_e32 v10, v12, v10
	v_mul_f32_e32 v12, v11, v10
	v_fma_f32 v13, -v9, v12, v11
	v_fmac_f32_e32 v12, v13, v10
	v_fma_f32 v9, -v9, v12, v11
	v_div_fmas_f32 v9, v9, v10, v12
	v_div_fixup_f32 v7, v9, v8, v7
	v_add_f32_e32 v7, s13, v7
	v_mul_f32_e32 v8, 0x4b800000, v7
	v_cmp_gt_f32_e32 vcc, s0, v7
	v_cndmask_b32_e32 v7, v7, v8, vcc
	v_rsq_f32_e32 v7, v7
	s_waitcnt vmcnt(0)
	v_cvt_f32_u32_sdwa v9, v0 dst_sel:DWORD dst_unused:UNUSED_PAD src0_sel:WORD_1
	v_cvt_f32_u32_sdwa v8, v0 dst_sel:DWORD dst_unused:UNUSED_PAD src0_sel:WORD_0
	s_mul_hi_i32 s1, s7, s6
	s_mul_i32 s0, s7, s6
	v_cvt_f32_u32_sdwa v11, v1 dst_sel:DWORD dst_unused:UNUSED_PAD src0_sel:WORD_1
	v_mul_f32_e32 v0, 0x45800000, v7
	v_cvt_f32_u32_sdwa v10, v1 dst_sel:DWORD dst_unused:UNUSED_PAD src0_sel:WORD_0
	s_lshl_b64 s[0:1], s[0:1], 1
	v_cndmask_b32_e32 v12, v7, v0, vcc
	s_add_u32 s8, s24, s0
	v_mov_b32_e32 v13, v12
	;;#ASMSTART
	v_pk_mul_f32 v[4:5], v[4:5], v[12:13]
	;;#ASMEND
	;;#ASMSTART
	v_pk_mul_f32 v[0:1], v[2:3], v[12:13]
	;;#ASMEND
	v_pk_add_f32 v[2:3], v[8:9], 1.0 op_sel_hi:[1,0]
	s_addc_u32 s0, s25, s1
	;;#ASMSTART
	v_pk_mul_f32 v[2:3], v[4:5], v[2:3]
	;;#ASMEND
	s_and_b32 s9, s0, 0xffff
	s_mov_b32 s0, 0x7060302
	v_pk_add_f32 v[4:5], v[10:11], 1.0 op_sel_hi:[1,0]
	;;#ASMSTART
	v_pk_mul_f32 v[0:1], v[0:1], v[4:5]
	;;#ASMEND
	v_perm_b32 v2, v3, v2, s0
	v_perm_b32 v3, v1, v0, s0
	buffer_store_dwordx2 v[2:3], v6, s[8:11], 0 offen
	;;#ASMSTART
	s_nop 0
	;;#ASMEND
	s_endpgm
	.section	.rodata,"a",@progbits
	.p2align	6, 0x0
	.amdhsa_kernel _ZN5aiter35fused_qk_rmsnorm_group_quant_kernelItDB8_Li64ELi4ELi32ELb0ELb0ELb1ELb0ELb0ELb0EEEvPT0_PvPT_S6_S6_PKS5_S8_S8_S8_S8_ffiiiiiiiiiiiii
		.amdhsa_group_segment_fixed_size 0
		.amdhsa_private_segment_fixed_size 0
		.amdhsa_kernarg_size 400
		.amdhsa_user_sgpr_count 6
		.amdhsa_user_sgpr_private_segment_buffer 1
		.amdhsa_user_sgpr_dispatch_ptr 0
		.amdhsa_user_sgpr_queue_ptr 0
		.amdhsa_user_sgpr_kernarg_segment_ptr 1
		.amdhsa_user_sgpr_dispatch_id 0
		.amdhsa_user_sgpr_flat_scratch_init 0
		.amdhsa_user_sgpr_kernarg_preload_length 0
		.amdhsa_user_sgpr_kernarg_preload_offset 0
		.amdhsa_user_sgpr_private_segment_size 0
		.amdhsa_uses_dynamic_stack 0
		.amdhsa_system_sgpr_private_segment_wavefront_offset 0
		.amdhsa_system_sgpr_workgroup_id_x 1
		.amdhsa_system_sgpr_workgroup_id_y 1
		.amdhsa_system_sgpr_workgroup_id_z 0
		.amdhsa_system_sgpr_workgroup_info 0
		.amdhsa_system_vgpr_workitem_id 0
		.amdhsa_next_free_vgpr 18
		.amdhsa_next_free_sgpr 32
		.amdhsa_accum_offset 20
		.amdhsa_reserve_vcc 1
		.amdhsa_reserve_flat_scratch 0
		.amdhsa_float_round_mode_32 0
		.amdhsa_float_round_mode_16_64 0
		.amdhsa_float_denorm_mode_32 3
		.amdhsa_float_denorm_mode_16_64 3
		.amdhsa_dx10_clamp 1
		.amdhsa_ieee_mode 1
		.amdhsa_fp16_overflow 0
		.amdhsa_tg_split 0
		.amdhsa_exception_fp_ieee_invalid_op 0
		.amdhsa_exception_fp_denorm_src 0
		.amdhsa_exception_fp_ieee_div_zero 0
		.amdhsa_exception_fp_ieee_overflow 0
		.amdhsa_exception_fp_ieee_underflow 0
		.amdhsa_exception_fp_ieee_inexact 0
		.amdhsa_exception_int_div_zero 0
	.end_amdhsa_kernel
	.section	.text._ZN5aiter35fused_qk_rmsnorm_group_quant_kernelItDB8_Li64ELi4ELi32ELb0ELb0ELb1ELb0ELb0ELb0EEEvPT0_PvPT_S6_S6_PKS5_S8_S8_S8_S8_ffiiiiiiiiiiiii,"axG",@progbits,_ZN5aiter35fused_qk_rmsnorm_group_quant_kernelItDB8_Li64ELi4ELi32ELb0ELb0ELb1ELb0ELb0ELb0EEEvPT0_PvPT_S6_S6_PKS5_S8_S8_S8_S8_ffiiiiiiiiiiiii,comdat
.Lfunc_end262:
	.size	_ZN5aiter35fused_qk_rmsnorm_group_quant_kernelItDB8_Li64ELi4ELi32ELb0ELb0ELb1ELb0ELb0ELb0EEEvPT0_PvPT_S6_S6_PKS5_S8_S8_S8_S8_ffiiiiiiiiiiiii, .Lfunc_end262-_ZN5aiter35fused_qk_rmsnorm_group_quant_kernelItDB8_Li64ELi4ELi32ELb0ELb0ELb1ELb0ELb0ELb0EEEvPT0_PvPT_S6_S6_PKS5_S8_S8_S8_S8_ffiiiiiiiiiiiii
                                        ; -- End function
	.section	.AMDGPU.csdata,"",@progbits
; Kernel info:
; codeLenInByte = 1956
; NumSgprs: 36
; NumVgprs: 18
; NumAgprs: 0
; TotalNumVgprs: 18
; ScratchSize: 0
; MemoryBound: 0
; FloatMode: 240
; IeeeMode: 1
; LDSByteSize: 0 bytes/workgroup (compile time only)
; SGPRBlocks: 4
; VGPRBlocks: 2
; NumSGPRsForWavesPerEU: 36
; NumVGPRsForWavesPerEU: 18
; AccumOffset: 20
; Occupancy: 8
; WaveLimiterHint : 0
; COMPUTE_PGM_RSRC2:SCRATCH_EN: 0
; COMPUTE_PGM_RSRC2:USER_SGPR: 6
; COMPUTE_PGM_RSRC2:TRAP_HANDLER: 0
; COMPUTE_PGM_RSRC2:TGID_X_EN: 1
; COMPUTE_PGM_RSRC2:TGID_Y_EN: 1
; COMPUTE_PGM_RSRC2:TGID_Z_EN: 0
; COMPUTE_PGM_RSRC2:TIDIG_COMP_CNT: 0
; COMPUTE_PGM_RSRC3_GFX90A:ACCUM_OFFSET: 4
; COMPUTE_PGM_RSRC3_GFX90A:TG_SPLIT: 0
	.section	.text._ZN5aiter35fused_qk_rmsnorm_group_quant_kernelIDF16_DB8_Li64ELi4ELi32ELb0ELb0ELb0ELb0ELb0ELb0EEEvPT0_PvPT_S6_S6_PKS5_S8_S8_S8_S8_ffiiiiiiiiiiiii,"axG",@progbits,_ZN5aiter35fused_qk_rmsnorm_group_quant_kernelIDF16_DB8_Li64ELi4ELi32ELb0ELb0ELb0ELb0ELb0ELb0EEEvPT0_PvPT_S6_S6_PKS5_S8_S8_S8_S8_ffiiiiiiiiiiiii,comdat
	.protected	_ZN5aiter35fused_qk_rmsnorm_group_quant_kernelIDF16_DB8_Li64ELi4ELi32ELb0ELb0ELb0ELb0ELb0ELb0EEEvPT0_PvPT_S6_S6_PKS5_S8_S8_S8_S8_ffiiiiiiiiiiiii ; -- Begin function _ZN5aiter35fused_qk_rmsnorm_group_quant_kernelIDF16_DB8_Li64ELi4ELi32ELb0ELb0ELb0ELb0ELb0ELb0EEEvPT0_PvPT_S6_S6_PKS5_S8_S8_S8_S8_ffiiiiiiiiiiiii
	.globl	_ZN5aiter35fused_qk_rmsnorm_group_quant_kernelIDF16_DB8_Li64ELi4ELi32ELb0ELb0ELb0ELb0ELb0ELb0EEEvPT0_PvPT_S6_S6_PKS5_S8_S8_S8_S8_ffiiiiiiiiiiiii
	.p2align	8
	.type	_ZN5aiter35fused_qk_rmsnorm_group_quant_kernelIDF16_DB8_Li64ELi4ELi32ELb0ELb0ELb0ELb0ELb0ELb0EEEvPT0_PvPT_S6_S6_PKS5_S8_S8_S8_S8_ffiiiiiiiiiiiii,@function
_ZN5aiter35fused_qk_rmsnorm_group_quant_kernelIDF16_DB8_Li64ELi4ELi32ELb0ELb0ELb0ELb0ELb0ELb0EEEvPT0_PvPT_S6_S6_PKS5_S8_S8_S8_S8_ffiiiiiiiiiiiii: ; @_ZN5aiter35fused_qk_rmsnorm_group_quant_kernelIDF16_DB8_Li64ELi4ELi32ELb0ELb0ELb0ELb0ELb0ELb0EEEvPT0_PvPT_S6_S6_PKS5_S8_S8_S8_S8_ffiiiiiiiiiiiii
; %bb.0:
	s_load_dwordx4 s[12:15], s[4:5], 0x50
	s_waitcnt lgkmcnt(0)
	s_cmp_ge_i32 s6, s14
	s_cbranch_scc1 .LBB263_8
; %bb.1:
	s_load_dwordx2 s[8:9], s[4:5], 0x48
	s_load_dwordx2 s[26:27], s[4:5], 0x30
	s_load_dwordx4 s[16:19], s[4:5], 0x60
	s_cmp_lg_u32 s7, 0
	s_cselect_b64 s[2:3], -1, 0
	s_cmp_eq_u32 s7, 0
	s_cselect_b64 vcc, -1, 0
	s_and_b64 s[0:1], vcc, exec
	s_waitcnt lgkmcnt(0)
	s_cselect_b32 s7, s15, s16
	s_add_i32 s0, s7, 1
	s_lshr_b32 s1, s0, 31
	s_add_i32 s0, s0, s1
	s_lshl_b32 s0, s0, 1
	v_lshlrev_b32_e32 v1, 2, v0
	s_and_b32 s22, s0, -4
	v_cmp_gt_i32_e64 s[0:1], s7, v1
	v_mov_b32_e32 v6, 0
	v_mov_b32_e32 v7, 0
	;; [unrolled: 1-line block ×4, first 2 shown]
	s_and_saveexec_b64 s[10:11], s[0:1]
	s_cbranch_execz .LBB263_3
; %bb.2:
	s_load_dwordx2 s[20:21], s[4:5], 0x28
	s_load_dwordx2 s[24:25], s[4:5], 0x40
	s_and_b64 s[28:29], vcc, exec
	s_cselect_b32 s14, s17, s18
	s_mov_b32 s23, 0x20000
	s_waitcnt lgkmcnt(0)
	s_cselect_b32 s17, s21, s27
	s_cselect_b32 s19, s20, s26
	s_mul_hi_i32 s21, s14, s6
	s_mul_i32 s20, s14, s6
	s_lshl_b64 s[20:21], s[20:21], 1
	s_add_u32 s28, s19, s20
	s_addc_u32 s14, s17, s21
	s_and_b64 s[20:21], vcc, exec
	s_cselect_b32 s20, s24, s8
	s_cselect_b32 s17, s25, s9
	v_lshlrev_b32_e32 v4, 3, v0
	s_and_b32 s29, s14, 0xffff
	s_mov_b32 s30, s22
	s_mov_b32 s31, s23
	s_and_b32 s21, s17, 0xffff
	buffer_load_dwordx2 v[2:3], v4, s[28:31], 0 offen glc slc
	buffer_load_dwordx2 v[6:7], v4, s[20:23], 0 offen
.LBB263_3:
	s_or_b64 exec, exec, s[10:11]
	s_waitcnt vmcnt(1)
	v_cvt_f32_f16_e32 v4, v3
	v_cvt_f32_f16_e32 v5, v2
	v_cvt_f32_f16_sdwa v8, v2 dst_sel:DWORD dst_unused:UNUSED_PAD src0_sel:WORD_1
	v_cvt_f32_f16_sdwa v3, v3 dst_sel:DWORD dst_unused:UNUSED_PAD src0_sel:WORD_1
	v_cndmask_b32_e64 v2, 0, v4, s[0:1]
	v_cndmask_b32_e64 v4, 0, v5, s[0:1]
	;; [unrolled: 1-line block ×3, first 2 shown]
	v_mul_f32_e32 v8, v5, v5
	v_fmac_f32_e32 v8, v4, v4
	v_cndmask_b32_e64 v3, 0, v3, s[0:1]
	v_fmac_f32_e32 v8, v2, v2
	v_fmac_f32_e32 v8, v3, v3
	s_load_dwordx2 s[24:25], s[4:5], 0x18
	s_nop 0
	v_mov_b32_dpp v9, v8 quad_perm:[1,0,3,2] row_mask:0xf bank_mask:0xf
	v_add_f32_e32 v8, v8, v9
	s_nop 1
	v_mov_b32_dpp v9, v8 quad_perm:[2,3,0,1] row_mask:0xf bank_mask:0xf
	v_add_f32_e32 v8, v8, v9
	s_nop 1
	v_mov_b32_dpp v9, v8 row_half_mirror row_mask:0xf bank_mask:0xf
	v_add_f32_e32 v8, v8, v9
	s_nop 1
	v_mov_b32_dpp v9, v8 row_mirror row_mask:0xf bank_mask:0xf
	v_add_f32_e32 v8, v8, v9
	s_nop 1
	v_mov_b32_dpp v9, v8 row_bcast:15 row_mask:0xf bank_mask:0xf
	v_add_f32_e32 v8, v8, v9
	s_nop 1
	v_mov_b32_dpp v9, v8 row_bcast:31 row_mask:0xf bank_mask:0xf
	v_add_f32_e32 v10, v8, v9
	v_mbcnt_lo_u32_b32 v8, -1, 0
	v_mbcnt_hi_u32_b32 v8, -1, v8
	v_lshlrev_b32_e32 v9, 2, v8
	v_or_b32_e32 v8, 0xfc, v9
	ds_bpermute_b32 v10, v8, v10
	s_and_saveexec_b64 s[10:11], s[0:1]
	s_cbranch_execz .LBB263_5
; %bb.4:
	v_cvt_f32_u32_e32 v11, s7
	v_mov_b32_e32 v12, s13
	v_mov_b32_e32 v13, s12
	v_cndmask_b32_e32 v12, v12, v13, vcc
	s_waitcnt lgkmcnt(0)
	v_div_scale_f32 v14, s[20:21], v11, v11, v10
	v_rcp_f32_e32 v15, v14
	v_div_scale_f32 v13, vcc, v10, v11, v10
	s_mov_b32 s7, 0x800000
	v_fma_f32 v16, -v14, v15, 1.0
	v_fmac_f32_e32 v15, v16, v15
	v_mul_f32_e32 v16, v13, v15
	v_fma_f32 v17, -v14, v16, v13
	v_fmac_f32_e32 v16, v17, v15
	v_fma_f32 v13, -v14, v16, v13
	v_div_fmas_f32 v13, v13, v15, v16
	v_div_fixup_f32 v10, v13, v11, v10
	v_add_f32_e32 v10, v12, v10
	v_mul_f32_e32 v11, 0x4b800000, v10
	v_cmp_gt_f32_e32 vcc, s7, v10
	v_cndmask_b32_e32 v10, v10, v11, vcc
	v_rsq_f32_e32 v10, v10
	s_waitcnt vmcnt(0)
	v_cvt_f32_f16_sdwa v13, v6 dst_sel:DWORD dst_unused:UNUSED_PAD src0_sel:WORD_1
	v_cvt_f32_f16_e32 v12, v6
	v_cvt_f32_f16_sdwa v15, v7 dst_sel:DWORD dst_unused:UNUSED_PAD src0_sel:WORD_1
	v_mul_f32_e32 v11, 0x45800000, v10
	v_cndmask_b32_e32 v10, v10, v11, vcc
	v_mov_b32_e32 v11, v10
	;;#ASMSTART
	v_pk_mul_f32 v[4:5], v[4:5], v[10:11]
	;;#ASMEND
	;;#ASMSTART
	v_pk_mul_f32 v[2:3], v[2:3], v[10:11]
	;;#ASMEND
	v_cvt_f32_f16_e32 v14, v7
	;;#ASMSTART
	v_pk_mul_f32 v[4:5], v[4:5], v[12:13]
	;;#ASMEND
	;;#ASMSTART
	v_pk_mul_f32 v[2:3], v[2:3], v[14:15]
	;;#ASMEND
.LBB263_5:
	s_or_b64 exec, exec, s[10:11]
	s_load_dword s7, s[4:5], 0x80
	s_mov_b64 s[10:11], -1
	s_and_b64 vcc, exec, s[2:3]
	s_cbranch_vccnz .LBB263_9
; %bb.6:
	s_andn2_b64 vcc, exec, s[10:11]
	s_cbranch_vccz .LBB263_12
.LBB263_7:
	s_cmp_lt_i32 s16, 1
	s_cbranch_scc0 .LBB263_19
.LBB263_8:
	s_endpgm
.LBB263_9:
	s_and_saveexec_b64 s[2:3], s[0:1]
	s_cbranch_execz .LBB263_11
; %bb.10:
	s_waitcnt lgkmcnt(0)
	s_mul_hi_i32 s11, s7, s6
	s_mul_i32 s10, s7, s6
	s_waitcnt vmcnt(0)
	v_cvt_f16_f32_e32 v6, v4
	v_cvt_f16_f32_e32 v7, v2
	v_cvt_f16_f32_e32 v10, v3
	v_cvt_f16_f32_e32 v11, v5
	s_lshl_b64 s[10:11], s[10:11], 1
	s_add_u32 s20, s24, s10
	s_addc_u32 s10, s25, s11
	s_and_b32 s21, s10, 0xffff
	s_mov_b32 s23, 0x20000
	v_pack_b32_f16 v7, v7, v10
	v_pack_b32_f16 v6, v6, v11
	v_lshlrev_b32_e32 v10, 3, v0
	buffer_store_dwordx2 v[6:7], v10, s[20:23], 0 offen
	;;#ASMSTART
	s_nop 0
	;;#ASMEND
.LBB263_11:
	s_or_b64 exec, exec, s[2:3]
	s_cbranch_execnz .LBB263_7
.LBB263_12:
	s_waitcnt vmcnt(0)
	v_mov_b32_e32 v6, 0
	s_and_saveexec_b64 s[2:3], s[0:1]
	s_cbranch_execz .LBB263_14
; %bb.13:
	v_and_b32_e32 v6, 0x7fffffff, v4
	v_and_b32_e32 v7, 0x7fffffff, v5
	s_waitcnt lgkmcnt(0)
	v_mov_b32_e32 v10, 0x2edbe6ff
	;;#ASMSTART
	v_max3_f32 v6, v10, v6, v7

	;;#ASMEND
	v_and_b32_e32 v7, 0x7fffffff, v2
	v_and_b32_e32 v10, 0x7fffffff, v3
	;;#ASMSTART
	v_max3_f32 v6, v6, v7, v10

	;;#ASMEND
.LBB263_14:
	s_or_b64 exec, exec, s[2:3]
	;;#ASMSTART
	v_max_f32 v7, v6, v6 quad_perm:[1,0,3,2] row_mask:0xf bank_mask:0xf bound_ctrl:1
	;;#ASMEND
	;;#ASMSTART
	v_max_f32 v6, v7, v7 quad_perm:[2,3,0,1] row_mask:0xf bank_mask:0xf bound_ctrl:1
	;;#ASMEND
	;;#ASMSTART
	v_max_f32 v7, v6, v6 row_half_mirror row_mask:0xf bank_mask:0xf bound_ctrl:1
	;;#ASMEND
	;;#ASMSTART
	v_max_f32 v6, v7, v7 row_mirror row_mask:0xf bank_mask:0xf bound_ctrl:1
	;;#ASMEND
	;;#ASMSTART
	v_max_f32 v7, v6, v6 row_ror:4 row_mask:0xf bank_mask:0xf bound_ctrl:1
	;;#ASMEND
	;;#ASMSTART
	v_max_f32 v6, v7, v7 row_ror:8 row_mask:0xf bank_mask:0xf bound_ctrl:1
	;;#ASMEND
	;;#ASMSTART
	v_max_f32 v7, v6, v6 row_bcast:15 row_mask:0xa bank_mask:0xf bound_ctrl:1
	;;#ASMEND
	v_or_b32_e32 v6, 0x7c, v9
	ds_bpermute_b32 v6, v6, v7
	s_load_dwordx4 s[20:23], s[4:5], 0x70
	v_and_b32_e32 v7, 31, v0
	v_cmp_eq_u32_e32 vcc, 0, v7
	v_cmp_gt_i32_e64 s[2:3], s15, v1
	s_waitcnt lgkmcnt(0)
	v_mul_f32_e32 v6, 0x3b124925, v6
	s_and_b64 s[10:11], vcc, s[2:3]
	s_and_saveexec_b64 s[2:3], s[10:11]
	s_cbranch_execz .LBB263_16
; %bb.15:
	s_load_dwordx2 s[10:11], s[4:5], 0x8
	v_lshrrev_b32_e32 v7, 5, v0
	s_mul_hi_i32 s29, s21, s6
	s_mul_i32 s28, s21, s6
	v_mad_i64_i32 v[10:11], s[22:23], s22, v7, 0
	s_lshl_b64 s[22:23], s[28:29], 2
	s_waitcnt lgkmcnt(0)
	s_add_u32 s10, s10, s22
	s_addc_u32 s11, s11, s23
	v_lshlrev_b64 v[10:11], 2, v[10:11]
	v_mov_b32_e32 v7, s11
	v_add_co_u32_e32 v10, vcc, s10, v10
	v_addc_co_u32_e32 v11, vcc, v7, v11, vcc
	global_store_dword v[10:11], v6, off
.LBB263_16:
	s_or_b64 exec, exec, s[2:3]
	;;#ASMSTART
	v_rcp_f32 v6, v6
	;;#ASMEND
	s_and_saveexec_b64 s[2:3], s[0:1]
	s_cbranch_execz .LBB263_18
; %bb.17:
	s_load_dwordx2 s[0:1], s[4:5], 0x0
	s_mul_i32 s11, s20, s6
	s_mul_hi_i32 s10, s20, s6
	v_mov_b32_e32 v7, v6
	;;#ASMSTART
	v_pk_mul_f32 v[4:5], v[4:5], v[6:7]
	;;#ASMEND
	s_waitcnt lgkmcnt(0)
	s_add_u32 s20, s0, s11
	s_addc_u32 s0, s1, s10
	s_add_i32 s1, s15, 3
	s_ashr_i32 s10, s1, 31
	s_and_b32 s21, s0, 0xffff
	s_lshr_b32 s0, s10, 30
	v_mov_b32_e32 v9, 0xc3e00000
	v_mov_b32_e32 v10, 0x43e00000
	;;#ASMSTART
	v_med3_f32 v4, v4, v9, v10
v_med3_f32 v5, v5, v9, v10
v_cvt_pk_fp8_f32 v11, v4, v5
	;;#ASMEND
	;;#ASMSTART
	v_pk_mul_f32 v[2:3], v[2:3], v[6:7]
	;;#ASMEND
	s_add_i32 s1, s1, s0
	;;#ASMSTART
	v_med3_f32 v2, v2, v9, v10
v_med3_f32 v3, v3, v9, v10
v_cvt_pk_fp8_f32 v4, v2, v3
	;;#ASMEND
	s_mov_b32 s0, 0x5040100
	s_and_b32 s22, s1, -4
	s_mov_b32 s23, 0x20000
	v_perm_b32 v2, v4, v11, s0
	buffer_store_dword v2, v1, s[20:23], 0 offen
	;;#ASMSTART
	s_nop 0
	;;#ASMEND
.LBB263_18:
	s_or_b64 exec, exec, s[2:3]
	s_cmp_lt_i32 s16, 1
	s_cbranch_scc1 .LBB263_8
.LBB263_19:
	s_load_dword s0, s[4:5], 0x94
	s_waitcnt lgkmcnt(0)
	s_cmp_lg_u32 s0, 1
	s_cbranch_scc1 .LBB263_8
; %bb.20:
	s_lshl_b32 s0, s16, 1
	s_add_i32 s0, s0, 2
	v_cmp_gt_u32_e32 vcc, s16, v1
	s_and_b32 s10, s0, -4
	v_mov_b32_e32 v2, 0
	s_waitcnt vmcnt(0)
	v_lshlrev_b32_e32 v6, 3, v0
	v_mov_b32_e32 v3, 0
	v_mov_b32_e32 v0, 0
	;; [unrolled: 1-line block ×3, first 2 shown]
	s_barrier
	s_and_saveexec_b64 s[0:1], vcc
	s_cbranch_execz .LBB263_22
; %bb.21:
	s_mul_hi_i32 s3, s18, s6
	s_mul_i32 s2, s18, s6
	s_and_b32 s9, s9, 0xffff
	s_lshl_b64 s[2:3], s[2:3], 1
	s_add_u32 s20, s26, s2
	s_mov_b32 s11, 0x20000
	s_addc_u32 s2, s27, s3
	s_and_b32 s21, s2, 0xffff
	s_mov_b32 s22, s10
	s_mov_b32 s23, s11
	buffer_load_dwordx2 v[2:3], v6, s[20:23], 0 offen glc slc
	buffer_load_dwordx2 v[0:1], v6, s[8:11], 0 offen
.LBB263_22:
	s_or_b64 exec, exec, s[0:1]
	s_waitcnt vmcnt(1)
	v_cvt_f32_f16_e32 v4, v3
	v_cvt_f32_f16_e32 v5, v2
	v_cvt_f32_f16_sdwa v7, v2 dst_sel:DWORD dst_unused:UNUSED_PAD src0_sel:WORD_1
	v_cvt_f32_f16_sdwa v3, v3 dst_sel:DWORD dst_unused:UNUSED_PAD src0_sel:WORD_1
	v_cndmask_b32_e32 v2, 0, v4, vcc
	v_cndmask_b32_e32 v4, 0, v5, vcc
	;; [unrolled: 1-line block ×3, first 2 shown]
	v_mul_f32_e32 v7, v5, v5
	v_fmac_f32_e32 v7, v4, v4
	v_cndmask_b32_e32 v3, 0, v3, vcc
	v_fmac_f32_e32 v7, v2, v2
	v_fmac_f32_e32 v7, v3, v3
	s_nop 1
	v_mov_b32_dpp v9, v7 quad_perm:[1,0,3,2] row_mask:0xf bank_mask:0xf
	v_add_f32_e32 v7, v7, v9
	s_nop 1
	v_mov_b32_dpp v9, v7 quad_perm:[2,3,0,1] row_mask:0xf bank_mask:0xf
	v_add_f32_e32 v7, v7, v9
	s_nop 1
	v_mov_b32_dpp v9, v7 row_half_mirror row_mask:0xf bank_mask:0xf
	v_add_f32_e32 v7, v7, v9
	s_nop 1
	v_mov_b32_dpp v9, v7 row_mirror row_mask:0xf bank_mask:0xf
	v_add_f32_e32 v7, v7, v9
	s_nop 1
	v_mov_b32_dpp v9, v7 row_bcast:15 row_mask:0xf bank_mask:0xf
	v_add_f32_e32 v7, v7, v9
	s_nop 1
	v_mov_b32_dpp v9, v7 row_bcast:31 row_mask:0xf bank_mask:0xf
	v_add_f32_e32 v7, v7, v9
	ds_bpermute_b32 v7, v8, v7
	s_and_saveexec_b64 s[0:1], vcc
	s_cbranch_execz .LBB263_8
; %bb.23:
	v_cvt_f32_u32_e32 v8, s16
	s_mov_b32 s11, 0x20000
	s_waitcnt lgkmcnt(0)
	v_div_scale_f32 v9, s[0:1], v8, v8, v7
	v_rcp_f32_e32 v10, v9
	v_div_scale_f32 v11, vcc, v7, v8, v7
	s_mov_b32 s0, 0x800000
	v_fma_f32 v12, -v9, v10, 1.0
	v_fmac_f32_e32 v10, v12, v10
	v_mul_f32_e32 v12, v11, v10
	v_fma_f32 v13, -v9, v12, v11
	v_fmac_f32_e32 v12, v13, v10
	v_fma_f32 v9, -v9, v12, v11
	v_div_fmas_f32 v9, v9, v10, v12
	v_div_fixup_f32 v7, v9, v8, v7
	v_add_f32_e32 v7, s13, v7
	v_mul_f32_e32 v8, 0x4b800000, v7
	v_cmp_gt_f32_e32 vcc, s0, v7
	v_cndmask_b32_e32 v7, v7, v8, vcc
	v_rsq_f32_e32 v7, v7
	s_waitcnt vmcnt(0)
	v_cvt_f32_f16_sdwa v9, v0 dst_sel:DWORD dst_unused:UNUSED_PAD src0_sel:WORD_1
	v_cvt_f32_f16_e32 v8, v0
	v_cvt_f32_f16_sdwa v11, v1 dst_sel:DWORD dst_unused:UNUSED_PAD src0_sel:WORD_1
	v_mul_f32_e32 v0, 0x45800000, v7
	v_cndmask_b32_e32 v12, v7, v0, vcc
	v_mov_b32_e32 v13, v12
	v_cvt_f32_f16_e32 v10, v1
	;;#ASMSTART
	v_pk_mul_f32 v[0:1], v[4:5], v[12:13]
	;;#ASMEND
	;;#ASMSTART
	v_pk_mul_f32 v[2:3], v[2:3], v[12:13]
	;;#ASMEND
	;; [unrolled: 3-line block ×4, first 2 shown]
	s_mul_hi_i32 s1, s7, s6
	s_mul_i32 s0, s7, s6
	v_cvt_f16_f32_e32 v0, v0
	v_cvt_f16_f32_e32 v1, v1
	;; [unrolled: 1-line block ×4, first 2 shown]
	s_lshl_b64 s[0:1], s[0:1], 1
	s_add_u32 s8, s24, s0
	s_addc_u32 s0, s25, s1
	s_and_b32 s9, s0, 0xffff
	v_pack_b32_f16 v0, v0, v1
	v_pack_b32_f16 v1, v2, v3
	buffer_store_dwordx2 v[0:1], v6, s[8:11], 0 offen
	;;#ASMSTART
	s_nop 0
	;;#ASMEND
	s_endpgm
	.section	.rodata,"a",@progbits
	.p2align	6, 0x0
	.amdhsa_kernel _ZN5aiter35fused_qk_rmsnorm_group_quant_kernelIDF16_DB8_Li64ELi4ELi32ELb0ELb0ELb0ELb0ELb0ELb0EEEvPT0_PvPT_S6_S6_PKS5_S8_S8_S8_S8_ffiiiiiiiiiiiii
		.amdhsa_group_segment_fixed_size 0
		.amdhsa_private_segment_fixed_size 0
		.amdhsa_kernarg_size 400
		.amdhsa_user_sgpr_count 6
		.amdhsa_user_sgpr_private_segment_buffer 1
		.amdhsa_user_sgpr_dispatch_ptr 0
		.amdhsa_user_sgpr_queue_ptr 0
		.amdhsa_user_sgpr_kernarg_segment_ptr 1
		.amdhsa_user_sgpr_dispatch_id 0
		.amdhsa_user_sgpr_flat_scratch_init 0
		.amdhsa_user_sgpr_kernarg_preload_length 0
		.amdhsa_user_sgpr_kernarg_preload_offset 0
		.amdhsa_user_sgpr_private_segment_size 0
		.amdhsa_uses_dynamic_stack 0
		.amdhsa_system_sgpr_private_segment_wavefront_offset 0
		.amdhsa_system_sgpr_workgroup_id_x 1
		.amdhsa_system_sgpr_workgroup_id_y 1
		.amdhsa_system_sgpr_workgroup_id_z 0
		.amdhsa_system_sgpr_workgroup_info 0
		.amdhsa_system_vgpr_workitem_id 0
		.amdhsa_next_free_vgpr 18
		.amdhsa_next_free_sgpr 32
		.amdhsa_accum_offset 20
		.amdhsa_reserve_vcc 1
		.amdhsa_reserve_flat_scratch 0
		.amdhsa_float_round_mode_32 0
		.amdhsa_float_round_mode_16_64 0
		.amdhsa_float_denorm_mode_32 3
		.amdhsa_float_denorm_mode_16_64 3
		.amdhsa_dx10_clamp 1
		.amdhsa_ieee_mode 1
		.amdhsa_fp16_overflow 0
		.amdhsa_tg_split 0
		.amdhsa_exception_fp_ieee_invalid_op 0
		.amdhsa_exception_fp_denorm_src 0
		.amdhsa_exception_fp_ieee_div_zero 0
		.amdhsa_exception_fp_ieee_overflow 0
		.amdhsa_exception_fp_ieee_underflow 0
		.amdhsa_exception_fp_ieee_inexact 0
		.amdhsa_exception_int_div_zero 0
	.end_amdhsa_kernel
	.section	.text._ZN5aiter35fused_qk_rmsnorm_group_quant_kernelIDF16_DB8_Li64ELi4ELi32ELb0ELb0ELb0ELb0ELb0ELb0EEEvPT0_PvPT_S6_S6_PKS5_S8_S8_S8_S8_ffiiiiiiiiiiiii,"axG",@progbits,_ZN5aiter35fused_qk_rmsnorm_group_quant_kernelIDF16_DB8_Li64ELi4ELi32ELb0ELb0ELb0ELb0ELb0ELb0EEEvPT0_PvPT_S6_S6_PKS5_S8_S8_S8_S8_ffiiiiiiiiiiiii,comdat
.Lfunc_end263:
	.size	_ZN5aiter35fused_qk_rmsnorm_group_quant_kernelIDF16_DB8_Li64ELi4ELi32ELb0ELb0ELb0ELb0ELb0ELb0EEEvPT0_PvPT_S6_S6_PKS5_S8_S8_S8_S8_ffiiiiiiiiiiiii, .Lfunc_end263-_ZN5aiter35fused_qk_rmsnorm_group_quant_kernelIDF16_DB8_Li64ELi4ELi32ELb0ELb0ELb0ELb0ELb0ELb0EEEvPT0_PvPT_S6_S6_PKS5_S8_S8_S8_S8_ffiiiiiiiiiiiii
                                        ; -- End function
	.section	.AMDGPU.csdata,"",@progbits
; Kernel info:
; codeLenInByte = 1908
; NumSgprs: 36
; NumVgprs: 18
; NumAgprs: 0
; TotalNumVgprs: 18
; ScratchSize: 0
; MemoryBound: 0
; FloatMode: 240
; IeeeMode: 1
; LDSByteSize: 0 bytes/workgroup (compile time only)
; SGPRBlocks: 4
; VGPRBlocks: 2
; NumSGPRsForWavesPerEU: 36
; NumVGPRsForWavesPerEU: 18
; AccumOffset: 20
; Occupancy: 8
; WaveLimiterHint : 0
; COMPUTE_PGM_RSRC2:SCRATCH_EN: 0
; COMPUTE_PGM_RSRC2:USER_SGPR: 6
; COMPUTE_PGM_RSRC2:TRAP_HANDLER: 0
; COMPUTE_PGM_RSRC2:TGID_X_EN: 1
; COMPUTE_PGM_RSRC2:TGID_Y_EN: 1
; COMPUTE_PGM_RSRC2:TGID_Z_EN: 0
; COMPUTE_PGM_RSRC2:TIDIG_COMP_CNT: 0
; COMPUTE_PGM_RSRC3_GFX90A:ACCUM_OFFSET: 4
; COMPUTE_PGM_RSRC3_GFX90A:TG_SPLIT: 0
	.section	.text._ZN5aiter35fused_qk_rmsnorm_group_quant_kernelItDB8_Li64ELi4ELi32ELb0ELb0ELb0ELb0ELb0ELb0EEEvPT0_PvPT_S6_S6_PKS5_S8_S8_S8_S8_ffiiiiiiiiiiiii,"axG",@progbits,_ZN5aiter35fused_qk_rmsnorm_group_quant_kernelItDB8_Li64ELi4ELi32ELb0ELb0ELb0ELb0ELb0ELb0EEEvPT0_PvPT_S6_S6_PKS5_S8_S8_S8_S8_ffiiiiiiiiiiiii,comdat
	.protected	_ZN5aiter35fused_qk_rmsnorm_group_quant_kernelItDB8_Li64ELi4ELi32ELb0ELb0ELb0ELb0ELb0ELb0EEEvPT0_PvPT_S6_S6_PKS5_S8_S8_S8_S8_ffiiiiiiiiiiiii ; -- Begin function _ZN5aiter35fused_qk_rmsnorm_group_quant_kernelItDB8_Li64ELi4ELi32ELb0ELb0ELb0ELb0ELb0ELb0EEEvPT0_PvPT_S6_S6_PKS5_S8_S8_S8_S8_ffiiiiiiiiiiiii
	.globl	_ZN5aiter35fused_qk_rmsnorm_group_quant_kernelItDB8_Li64ELi4ELi32ELb0ELb0ELb0ELb0ELb0ELb0EEEvPT0_PvPT_S6_S6_PKS5_S8_S8_S8_S8_ffiiiiiiiiiiiii
	.p2align	8
	.type	_ZN5aiter35fused_qk_rmsnorm_group_quant_kernelItDB8_Li64ELi4ELi32ELb0ELb0ELb0ELb0ELb0ELb0EEEvPT0_PvPT_S6_S6_PKS5_S8_S8_S8_S8_ffiiiiiiiiiiiii,@function
_ZN5aiter35fused_qk_rmsnorm_group_quant_kernelItDB8_Li64ELi4ELi32ELb0ELb0ELb0ELb0ELb0ELb0EEEvPT0_PvPT_S6_S6_PKS5_S8_S8_S8_S8_ffiiiiiiiiiiiii: ; @_ZN5aiter35fused_qk_rmsnorm_group_quant_kernelItDB8_Li64ELi4ELi32ELb0ELb0ELb0ELb0ELb0ELb0EEEvPT0_PvPT_S6_S6_PKS5_S8_S8_S8_S8_ffiiiiiiiiiiiii
; %bb.0:
	s_load_dwordx4 s[12:15], s[4:5], 0x50
	s_waitcnt lgkmcnt(0)
	s_cmp_ge_i32 s6, s14
	s_cbranch_scc1 .LBB264_8
; %bb.1:
	s_load_dwordx2 s[8:9], s[4:5], 0x48
	s_load_dwordx2 s[26:27], s[4:5], 0x30
	s_load_dwordx4 s[16:19], s[4:5], 0x60
	s_cmp_lg_u32 s7, 0
	s_cselect_b64 s[2:3], -1, 0
	s_cmp_eq_u32 s7, 0
	s_cselect_b64 vcc, -1, 0
	s_and_b64 s[0:1], vcc, exec
	s_waitcnt lgkmcnt(0)
	s_cselect_b32 s7, s15, s16
	s_add_i32 s0, s7, 1
	s_lshr_b32 s1, s0, 31
	s_add_i32 s0, s0, s1
	s_lshl_b32 s0, s0, 1
	v_lshlrev_b32_e32 v1, 2, v0
	s_and_b32 s22, s0, -4
	v_cmp_gt_i32_e64 s[0:1], s7, v1
	v_mov_b32_e32 v6, 0
	v_mov_b32_e32 v7, 0
	v_mov_b32_e32 v2, 0
	v_mov_b32_e32 v3, 0
	s_and_saveexec_b64 s[10:11], s[0:1]
	s_cbranch_execz .LBB264_3
; %bb.2:
	s_load_dwordx2 s[20:21], s[4:5], 0x28
	s_load_dwordx2 s[24:25], s[4:5], 0x40
	s_and_b64 s[28:29], vcc, exec
	s_cselect_b32 s14, s17, s18
	s_mov_b32 s23, 0x20000
	s_waitcnt lgkmcnt(0)
	s_cselect_b32 s17, s21, s27
	s_cselect_b32 s19, s20, s26
	s_mul_hi_i32 s21, s14, s6
	s_mul_i32 s20, s14, s6
	s_lshl_b64 s[20:21], s[20:21], 1
	s_add_u32 s28, s19, s20
	s_addc_u32 s14, s17, s21
	s_and_b64 s[20:21], vcc, exec
	s_cselect_b32 s20, s24, s8
	s_cselect_b32 s17, s25, s9
	v_lshlrev_b32_e32 v4, 3, v0
	s_and_b32 s29, s14, 0xffff
	s_mov_b32 s30, s22
	s_mov_b32 s31, s23
	s_and_b32 s21, s17, 0xffff
	buffer_load_dwordx2 v[2:3], v4, s[28:31], 0 offen glc slc
	buffer_load_dwordx2 v[6:7], v4, s[20:23], 0 offen
.LBB264_3:
	s_or_b64 exec, exec, s[10:11]
	s_waitcnt vmcnt(1)
	v_cvt_f32_u32_sdwa v5, v3 dst_sel:DWORD dst_unused:UNUSED_PAD src0_sel:WORD_0
	v_cvt_f32_u32_sdwa v8, v2 dst_sel:DWORD dst_unused:UNUSED_PAD src0_sel:WORD_1
	v_cvt_f32_u32_sdwa v4, v3 dst_sel:DWORD dst_unused:UNUSED_PAD src0_sel:WORD_1
	v_cvt_f32_u32_sdwa v9, v2 dst_sel:DWORD dst_unused:UNUSED_PAD src0_sel:WORD_0
	v_cndmask_b32_e64 v2, 0, v5, s[0:1]
	v_cndmask_b32_e64 v5, 0, v8, s[0:1]
	;; [unrolled: 1-line block ×4, first 2 shown]
	v_mul_f32_e32 v8, v5, v5
	v_fmac_f32_e32 v8, v4, v4
	v_fmac_f32_e32 v8, v2, v2
	;; [unrolled: 1-line block ×3, first 2 shown]
	s_load_dwordx2 s[24:25], s[4:5], 0x18
	s_nop 0
	v_mov_b32_dpp v9, v8 quad_perm:[1,0,3,2] row_mask:0xf bank_mask:0xf
	v_add_f32_e32 v8, v8, v9
	s_nop 1
	v_mov_b32_dpp v9, v8 quad_perm:[2,3,0,1] row_mask:0xf bank_mask:0xf
	v_add_f32_e32 v8, v8, v9
	s_nop 1
	v_mov_b32_dpp v9, v8 row_half_mirror row_mask:0xf bank_mask:0xf
	v_add_f32_e32 v8, v8, v9
	s_nop 1
	v_mov_b32_dpp v9, v8 row_mirror row_mask:0xf bank_mask:0xf
	v_add_f32_e32 v8, v8, v9
	s_nop 1
	v_mov_b32_dpp v9, v8 row_bcast:15 row_mask:0xf bank_mask:0xf
	v_add_f32_e32 v8, v8, v9
	s_nop 1
	v_mov_b32_dpp v9, v8 row_bcast:31 row_mask:0xf bank_mask:0xf
	v_add_f32_e32 v10, v8, v9
	v_mbcnt_lo_u32_b32 v8, -1, 0
	v_mbcnt_hi_u32_b32 v8, -1, v8
	v_lshlrev_b32_e32 v9, 2, v8
	v_or_b32_e32 v8, 0xfc, v9
	ds_bpermute_b32 v10, v8, v10
	s_and_saveexec_b64 s[10:11], s[0:1]
	s_cbranch_execz .LBB264_5
; %bb.4:
	v_cvt_f32_u32_e32 v11, s7
	v_mov_b32_e32 v12, s13
	v_mov_b32_e32 v13, s12
	v_cndmask_b32_e32 v12, v12, v13, vcc
	s_waitcnt lgkmcnt(0)
	v_div_scale_f32 v14, s[20:21], v11, v11, v10
	v_rcp_f32_e32 v15, v14
	v_div_scale_f32 v13, vcc, v10, v11, v10
	s_mov_b32 s7, 0x800000
	v_fma_f32 v16, -v14, v15, 1.0
	v_fmac_f32_e32 v15, v16, v15
	v_mul_f32_e32 v16, v13, v15
	v_fma_f32 v17, -v14, v16, v13
	v_fmac_f32_e32 v16, v17, v15
	v_fma_f32 v13, -v14, v16, v13
	v_div_fmas_f32 v13, v13, v15, v16
	v_div_fixup_f32 v10, v13, v11, v10
	v_add_f32_e32 v10, v12, v10
	v_mul_f32_e32 v11, 0x4b800000, v10
	v_cmp_gt_f32_e32 vcc, s7, v10
	v_cndmask_b32_e32 v10, v10, v11, vcc
	v_rsq_f32_e32 v10, v10
	s_waitcnt vmcnt(0)
	v_cvt_f32_u32_sdwa v13, v6 dst_sel:DWORD dst_unused:UNUSED_PAD src0_sel:WORD_1
	v_cvt_f32_u32_sdwa v12, v6 dst_sel:DWORD dst_unused:UNUSED_PAD src0_sel:WORD_0
	v_cvt_f32_u32_sdwa v15, v7 dst_sel:DWORD dst_unused:UNUSED_PAD src0_sel:WORD_1
	v_mul_f32_e32 v11, 0x45800000, v10
	v_cndmask_b32_e32 v10, v10, v11, vcc
	v_mov_b32_e32 v11, v10
	;;#ASMSTART
	v_pk_mul_f32 v[4:5], v[4:5], v[10:11]
	;;#ASMEND
	;;#ASMSTART
	v_pk_mul_f32 v[2:3], v[2:3], v[10:11]
	;;#ASMEND
	v_cvt_f32_u32_sdwa v14, v7 dst_sel:DWORD dst_unused:UNUSED_PAD src0_sel:WORD_0
	;;#ASMSTART
	v_pk_mul_f32 v[4:5], v[4:5], v[12:13]
	;;#ASMEND
	;;#ASMSTART
	v_pk_mul_f32 v[2:3], v[2:3], v[14:15]
	;;#ASMEND
.LBB264_5:
	s_or_b64 exec, exec, s[10:11]
	s_load_dword s7, s[4:5], 0x80
	s_mov_b64 s[10:11], -1
	s_and_b64 vcc, exec, s[2:3]
	s_cbranch_vccnz .LBB264_9
; %bb.6:
	s_andn2_b64 vcc, exec, s[10:11]
	s_cbranch_vccz .LBB264_12
.LBB264_7:
	s_cmp_lt_i32 s16, 1
	s_cbranch_scc0 .LBB264_19
.LBB264_8:
	s_endpgm
.LBB264_9:
	s_and_saveexec_b64 s[2:3], s[0:1]
	s_cbranch_execz .LBB264_11
; %bb.10:
	s_waitcnt lgkmcnt(0)
	s_mul_hi_i32 s11, s7, s6
	s_mul_i32 s10, s7, s6
	s_lshl_b64 s[10:11], s[10:11], 1
	s_add_u32 s20, s24, s10
	s_addc_u32 s10, s25, s11
	s_and_b32 s21, s10, 0xffff
	s_mov_b32 s10, 0x7060302
	s_mov_b32 s23, 0x20000
	s_waitcnt vmcnt(0)
	v_perm_b32 v6, v5, v4, s10
	v_perm_b32 v7, v3, v2, s10
	v_lshlrev_b32_e32 v10, 3, v0
	buffer_store_dwordx2 v[6:7], v10, s[20:23], 0 offen
	;;#ASMSTART
	s_nop 0
	;;#ASMEND
.LBB264_11:
	s_or_b64 exec, exec, s[2:3]
	s_cbranch_execnz .LBB264_7
.LBB264_12:
	s_waitcnt vmcnt(0)
	v_mov_b32_e32 v6, 0
	s_and_saveexec_b64 s[2:3], s[0:1]
	s_cbranch_execz .LBB264_14
; %bb.13:
	v_and_b32_e32 v6, 0x7fffffff, v4
	v_and_b32_e32 v7, 0x7fffffff, v5
	s_waitcnt lgkmcnt(0)
	v_mov_b32_e32 v10, 0x2edbe6ff
	;;#ASMSTART
	v_max3_f32 v6, v10, v6, v7

	;;#ASMEND
	v_and_b32_e32 v7, 0x7fffffff, v2
	v_and_b32_e32 v10, 0x7fffffff, v3
	;;#ASMSTART
	v_max3_f32 v6, v6, v7, v10

	;;#ASMEND
.LBB264_14:
	s_or_b64 exec, exec, s[2:3]
	;;#ASMSTART
	v_max_f32 v7, v6, v6 quad_perm:[1,0,3,2] row_mask:0xf bank_mask:0xf bound_ctrl:1
	;;#ASMEND
	;;#ASMSTART
	v_max_f32 v6, v7, v7 quad_perm:[2,3,0,1] row_mask:0xf bank_mask:0xf bound_ctrl:1
	;;#ASMEND
	;;#ASMSTART
	v_max_f32 v7, v6, v6 row_half_mirror row_mask:0xf bank_mask:0xf bound_ctrl:1
	;;#ASMEND
	;;#ASMSTART
	v_max_f32 v6, v7, v7 row_mirror row_mask:0xf bank_mask:0xf bound_ctrl:1
	;;#ASMEND
	;;#ASMSTART
	v_max_f32 v7, v6, v6 row_ror:4 row_mask:0xf bank_mask:0xf bound_ctrl:1
	;;#ASMEND
	;;#ASMSTART
	v_max_f32 v6, v7, v7 row_ror:8 row_mask:0xf bank_mask:0xf bound_ctrl:1
	;;#ASMEND
	;;#ASMSTART
	v_max_f32 v7, v6, v6 row_bcast:15 row_mask:0xa bank_mask:0xf bound_ctrl:1
	;;#ASMEND
	v_or_b32_e32 v6, 0x7c, v9
	ds_bpermute_b32 v6, v6, v7
	s_load_dwordx4 s[20:23], s[4:5], 0x70
	v_and_b32_e32 v7, 31, v0
	v_cmp_eq_u32_e32 vcc, 0, v7
	v_cmp_gt_i32_e64 s[2:3], s15, v1
	s_waitcnt lgkmcnt(0)
	v_mul_f32_e32 v6, 0x3b124925, v6
	s_and_b64 s[10:11], vcc, s[2:3]
	s_and_saveexec_b64 s[2:3], s[10:11]
	s_cbranch_execz .LBB264_16
; %bb.15:
	s_load_dwordx2 s[10:11], s[4:5], 0x8
	v_lshrrev_b32_e32 v7, 5, v0
	s_mul_hi_i32 s29, s21, s6
	s_mul_i32 s28, s21, s6
	v_mad_i64_i32 v[10:11], s[22:23], s22, v7, 0
	s_lshl_b64 s[22:23], s[28:29], 2
	s_waitcnt lgkmcnt(0)
	s_add_u32 s10, s10, s22
	s_addc_u32 s11, s11, s23
	v_lshlrev_b64 v[10:11], 2, v[10:11]
	v_mov_b32_e32 v7, s11
	v_add_co_u32_e32 v10, vcc, s10, v10
	v_addc_co_u32_e32 v11, vcc, v7, v11, vcc
	global_store_dword v[10:11], v6, off
.LBB264_16:
	s_or_b64 exec, exec, s[2:3]
	;;#ASMSTART
	v_rcp_f32 v6, v6
	;;#ASMEND
	s_and_saveexec_b64 s[2:3], s[0:1]
	s_cbranch_execz .LBB264_18
; %bb.17:
	s_load_dwordx2 s[0:1], s[4:5], 0x0
	s_mul_i32 s11, s20, s6
	s_mul_hi_i32 s10, s20, s6
	v_mov_b32_e32 v7, v6
	;;#ASMSTART
	v_pk_mul_f32 v[4:5], v[4:5], v[6:7]
	;;#ASMEND
	s_waitcnt lgkmcnt(0)
	s_add_u32 s20, s0, s11
	s_addc_u32 s0, s1, s10
	s_add_i32 s1, s15, 3
	s_ashr_i32 s10, s1, 31
	s_and_b32 s21, s0, 0xffff
	s_lshr_b32 s0, s10, 30
	v_mov_b32_e32 v9, 0xc3e00000
	v_mov_b32_e32 v10, 0x43e00000
	;;#ASMSTART
	v_med3_f32 v4, v4, v9, v10
v_med3_f32 v5, v5, v9, v10
v_cvt_pk_fp8_f32 v11, v4, v5
	;;#ASMEND
	;;#ASMSTART
	v_pk_mul_f32 v[2:3], v[2:3], v[6:7]
	;;#ASMEND
	s_add_i32 s1, s1, s0
	;;#ASMSTART
	v_med3_f32 v2, v2, v9, v10
v_med3_f32 v3, v3, v9, v10
v_cvt_pk_fp8_f32 v4, v2, v3
	;;#ASMEND
	s_mov_b32 s0, 0x5040100
	s_and_b32 s22, s1, -4
	s_mov_b32 s23, 0x20000
	v_perm_b32 v2, v4, v11, s0
	buffer_store_dword v2, v1, s[20:23], 0 offen
	;;#ASMSTART
	s_nop 0
	;;#ASMEND
.LBB264_18:
	s_or_b64 exec, exec, s[2:3]
	s_cmp_lt_i32 s16, 1
	s_cbranch_scc1 .LBB264_8
.LBB264_19:
	s_load_dword s0, s[4:5], 0x94
	s_waitcnt lgkmcnt(0)
	s_cmp_lg_u32 s0, 1
	s_cbranch_scc1 .LBB264_8
; %bb.20:
	s_lshl_b32 s0, s16, 1
	s_add_i32 s0, s0, 2
	v_cmp_gt_u32_e32 vcc, s16, v1
	s_and_b32 s10, s0, -4
	v_mov_b32_e32 v2, 0
	s_waitcnt vmcnt(0)
	v_lshlrev_b32_e32 v6, 3, v0
	v_mov_b32_e32 v3, 0
	v_mov_b32_e32 v0, 0
	;; [unrolled: 1-line block ×3, first 2 shown]
	s_barrier
	s_and_saveexec_b64 s[0:1], vcc
	s_cbranch_execz .LBB264_22
; %bb.21:
	s_mul_hi_i32 s3, s18, s6
	s_mul_i32 s2, s18, s6
	s_and_b32 s9, s9, 0xffff
	s_lshl_b64 s[2:3], s[2:3], 1
	s_add_u32 s20, s26, s2
	s_mov_b32 s11, 0x20000
	s_addc_u32 s2, s27, s3
	s_and_b32 s21, s2, 0xffff
	s_mov_b32 s22, s10
	s_mov_b32 s23, s11
	buffer_load_dwordx2 v[2:3], v6, s[20:23], 0 offen glc slc
	buffer_load_dwordx2 v[0:1], v6, s[8:11], 0 offen
.LBB264_22:
	s_or_b64 exec, exec, s[0:1]
	s_waitcnt vmcnt(1)
	v_cvt_f32_u32_sdwa v5, v3 dst_sel:DWORD dst_unused:UNUSED_PAD src0_sel:WORD_0
	v_cvt_f32_u32_sdwa v7, v2 dst_sel:DWORD dst_unused:UNUSED_PAD src0_sel:WORD_1
	v_cvt_f32_u32_sdwa v4, v3 dst_sel:DWORD dst_unused:UNUSED_PAD src0_sel:WORD_1
	v_cvt_f32_u32_sdwa v9, v2 dst_sel:DWORD dst_unused:UNUSED_PAD src0_sel:WORD_0
	v_cndmask_b32_e32 v2, 0, v5, vcc
	v_cndmask_b32_e32 v5, 0, v7, vcc
	;; [unrolled: 1-line block ×4, first 2 shown]
	v_mul_f32_e32 v7, v5, v5
	v_fmac_f32_e32 v7, v4, v4
	v_fmac_f32_e32 v7, v2, v2
	;; [unrolled: 1-line block ×3, first 2 shown]
	s_nop 1
	v_mov_b32_dpp v9, v7 quad_perm:[1,0,3,2] row_mask:0xf bank_mask:0xf
	v_add_f32_e32 v7, v7, v9
	s_nop 1
	v_mov_b32_dpp v9, v7 quad_perm:[2,3,0,1] row_mask:0xf bank_mask:0xf
	v_add_f32_e32 v7, v7, v9
	s_nop 1
	v_mov_b32_dpp v9, v7 row_half_mirror row_mask:0xf bank_mask:0xf
	v_add_f32_e32 v7, v7, v9
	s_nop 1
	v_mov_b32_dpp v9, v7 row_mirror row_mask:0xf bank_mask:0xf
	v_add_f32_e32 v7, v7, v9
	s_nop 1
	v_mov_b32_dpp v9, v7 row_bcast:15 row_mask:0xf bank_mask:0xf
	v_add_f32_e32 v7, v7, v9
	s_nop 1
	v_mov_b32_dpp v9, v7 row_bcast:31 row_mask:0xf bank_mask:0xf
	v_add_f32_e32 v7, v7, v9
	ds_bpermute_b32 v7, v8, v7
	s_and_saveexec_b64 s[0:1], vcc
	s_cbranch_execz .LBB264_8
; %bb.23:
	v_cvt_f32_u32_e32 v8, s16
	s_mov_b32 s11, 0x20000
	s_waitcnt lgkmcnt(0)
	v_div_scale_f32 v9, s[0:1], v8, v8, v7
	v_rcp_f32_e32 v10, v9
	v_div_scale_f32 v11, vcc, v7, v8, v7
	s_mov_b32 s0, 0x800000
	v_fma_f32 v12, -v9, v10, 1.0
	v_fmac_f32_e32 v10, v12, v10
	v_mul_f32_e32 v12, v11, v10
	v_fma_f32 v13, -v9, v12, v11
	v_fmac_f32_e32 v12, v13, v10
	v_fma_f32 v9, -v9, v12, v11
	v_div_fmas_f32 v9, v9, v10, v12
	v_div_fixup_f32 v7, v9, v8, v7
	v_add_f32_e32 v7, s13, v7
	v_mul_f32_e32 v8, 0x4b800000, v7
	v_cmp_gt_f32_e32 vcc, s0, v7
	v_cndmask_b32_e32 v7, v7, v8, vcc
	v_rsq_f32_e32 v7, v7
	s_mul_hi_i32 s1, s7, s6
	s_mul_i32 s0, s7, s6
	s_waitcnt vmcnt(0)
	v_cvt_f32_u32_sdwa v9, v0 dst_sel:DWORD dst_unused:UNUSED_PAD src0_sel:WORD_1
	v_cvt_f32_u32_sdwa v8, v0 dst_sel:DWORD dst_unused:UNUSED_PAD src0_sel:WORD_0
	v_mul_f32_e32 v0, 0x45800000, v7
	s_lshl_b64 s[0:1], s[0:1], 1
	v_cndmask_b32_e32 v12, v7, v0, vcc
	s_add_u32 s8, s24, s0
	v_cvt_f32_u32_sdwa v11, v1 dst_sel:DWORD dst_unused:UNUSED_PAD src0_sel:WORD_1
	v_mov_b32_e32 v13, v12
	v_cvt_f32_u32_sdwa v10, v1 dst_sel:DWORD dst_unused:UNUSED_PAD src0_sel:WORD_0
	;;#ASMSTART
	v_pk_mul_f32 v[0:1], v[4:5], v[12:13]
	;;#ASMEND
	s_addc_u32 s0, s25, s1
	;;#ASMSTART
	v_pk_mul_f32 v[2:3], v[2:3], v[12:13]
	;;#ASMEND
	;;#ASMSTART
	v_pk_mul_f32 v[0:1], v[0:1], v[8:9]
	;;#ASMEND
	s_and_b32 s9, s0, 0xffff
	s_mov_b32 s0, 0x7060302
	;;#ASMSTART
	v_pk_mul_f32 v[2:3], v[2:3], v[10:11]
	;;#ASMEND
	v_perm_b32 v0, v1, v0, s0
	v_perm_b32 v1, v3, v2, s0
	buffer_store_dwordx2 v[0:1], v6, s[8:11], 0 offen
	;;#ASMSTART
	s_nop 0
	;;#ASMEND
	s_endpgm
	.section	.rodata,"a",@progbits
	.p2align	6, 0x0
	.amdhsa_kernel _ZN5aiter35fused_qk_rmsnorm_group_quant_kernelItDB8_Li64ELi4ELi32ELb0ELb0ELb0ELb0ELb0ELb0EEEvPT0_PvPT_S6_S6_PKS5_S8_S8_S8_S8_ffiiiiiiiiiiiii
		.amdhsa_group_segment_fixed_size 0
		.amdhsa_private_segment_fixed_size 0
		.amdhsa_kernarg_size 400
		.amdhsa_user_sgpr_count 6
		.amdhsa_user_sgpr_private_segment_buffer 1
		.amdhsa_user_sgpr_dispatch_ptr 0
		.amdhsa_user_sgpr_queue_ptr 0
		.amdhsa_user_sgpr_kernarg_segment_ptr 1
		.amdhsa_user_sgpr_dispatch_id 0
		.amdhsa_user_sgpr_flat_scratch_init 0
		.amdhsa_user_sgpr_kernarg_preload_length 0
		.amdhsa_user_sgpr_kernarg_preload_offset 0
		.amdhsa_user_sgpr_private_segment_size 0
		.amdhsa_uses_dynamic_stack 0
		.amdhsa_system_sgpr_private_segment_wavefront_offset 0
		.amdhsa_system_sgpr_workgroup_id_x 1
		.amdhsa_system_sgpr_workgroup_id_y 1
		.amdhsa_system_sgpr_workgroup_id_z 0
		.amdhsa_system_sgpr_workgroup_info 0
		.amdhsa_system_vgpr_workitem_id 0
		.amdhsa_next_free_vgpr 18
		.amdhsa_next_free_sgpr 32
		.amdhsa_accum_offset 20
		.amdhsa_reserve_vcc 1
		.amdhsa_reserve_flat_scratch 0
		.amdhsa_float_round_mode_32 0
		.amdhsa_float_round_mode_16_64 0
		.amdhsa_float_denorm_mode_32 3
		.amdhsa_float_denorm_mode_16_64 3
		.amdhsa_dx10_clamp 1
		.amdhsa_ieee_mode 1
		.amdhsa_fp16_overflow 0
		.amdhsa_tg_split 0
		.amdhsa_exception_fp_ieee_invalid_op 0
		.amdhsa_exception_fp_denorm_src 0
		.amdhsa_exception_fp_ieee_div_zero 0
		.amdhsa_exception_fp_ieee_overflow 0
		.amdhsa_exception_fp_ieee_underflow 0
		.amdhsa_exception_fp_ieee_inexact 0
		.amdhsa_exception_int_div_zero 0
	.end_amdhsa_kernel
	.section	.text._ZN5aiter35fused_qk_rmsnorm_group_quant_kernelItDB8_Li64ELi4ELi32ELb0ELb0ELb0ELb0ELb0ELb0EEEvPT0_PvPT_S6_S6_PKS5_S8_S8_S8_S8_ffiiiiiiiiiiiii,"axG",@progbits,_ZN5aiter35fused_qk_rmsnorm_group_quant_kernelItDB8_Li64ELi4ELi32ELb0ELb0ELb0ELb0ELb0ELb0EEEvPT0_PvPT_S6_S6_PKS5_S8_S8_S8_S8_ffiiiiiiiiiiiii,comdat
.Lfunc_end264:
	.size	_ZN5aiter35fused_qk_rmsnorm_group_quant_kernelItDB8_Li64ELi4ELi32ELb0ELb0ELb0ELb0ELb0ELb0EEEvPT0_PvPT_S6_S6_PKS5_S8_S8_S8_S8_ffiiiiiiiiiiiii, .Lfunc_end264-_ZN5aiter35fused_qk_rmsnorm_group_quant_kernelItDB8_Li64ELi4ELi32ELb0ELb0ELb0ELb0ELb0ELb0EEEvPT0_PvPT_S6_S6_PKS5_S8_S8_S8_S8_ffiiiiiiiiiiiii
                                        ; -- End function
	.section	.AMDGPU.csdata,"",@progbits
; Kernel info:
; codeLenInByte = 1924
; NumSgprs: 36
; NumVgprs: 18
; NumAgprs: 0
; TotalNumVgprs: 18
; ScratchSize: 0
; MemoryBound: 0
; FloatMode: 240
; IeeeMode: 1
; LDSByteSize: 0 bytes/workgroup (compile time only)
; SGPRBlocks: 4
; VGPRBlocks: 2
; NumSGPRsForWavesPerEU: 36
; NumVGPRsForWavesPerEU: 18
; AccumOffset: 20
; Occupancy: 8
; WaveLimiterHint : 0
; COMPUTE_PGM_RSRC2:SCRATCH_EN: 0
; COMPUTE_PGM_RSRC2:USER_SGPR: 6
; COMPUTE_PGM_RSRC2:TRAP_HANDLER: 0
; COMPUTE_PGM_RSRC2:TGID_X_EN: 1
; COMPUTE_PGM_RSRC2:TGID_Y_EN: 1
; COMPUTE_PGM_RSRC2:TGID_Z_EN: 0
; COMPUTE_PGM_RSRC2:TIDIG_COMP_CNT: 0
; COMPUTE_PGM_RSRC3_GFX90A:ACCUM_OFFSET: 4
; COMPUTE_PGM_RSRC3_GFX90A:TG_SPLIT: 0
	.section	.text._ZN5aiter35fused_qk_rmsnorm_group_quant_kernelIDF16_DB8_Li64ELi4ELi16ELb1ELb1ELb1ELb1ELb0ELb0EEEvPT0_PvPT_S6_S6_PKS5_S8_S8_S8_S8_ffiiiiiiiiiiiii,"axG",@progbits,_ZN5aiter35fused_qk_rmsnorm_group_quant_kernelIDF16_DB8_Li64ELi4ELi16ELb1ELb1ELb1ELb1ELb0ELb0EEEvPT0_PvPT_S6_S6_PKS5_S8_S8_S8_S8_ffiiiiiiiiiiiii,comdat
	.protected	_ZN5aiter35fused_qk_rmsnorm_group_quant_kernelIDF16_DB8_Li64ELi4ELi16ELb1ELb1ELb1ELb1ELb0ELb0EEEvPT0_PvPT_S6_S6_PKS5_S8_S8_S8_S8_ffiiiiiiiiiiiii ; -- Begin function _ZN5aiter35fused_qk_rmsnorm_group_quant_kernelIDF16_DB8_Li64ELi4ELi16ELb1ELb1ELb1ELb1ELb0ELb0EEEvPT0_PvPT_S6_S6_PKS5_S8_S8_S8_S8_ffiiiiiiiiiiiii
	.globl	_ZN5aiter35fused_qk_rmsnorm_group_quant_kernelIDF16_DB8_Li64ELi4ELi16ELb1ELb1ELb1ELb1ELb0ELb0EEEvPT0_PvPT_S6_S6_PKS5_S8_S8_S8_S8_ffiiiiiiiiiiiii
	.p2align	8
	.type	_ZN5aiter35fused_qk_rmsnorm_group_quant_kernelIDF16_DB8_Li64ELi4ELi16ELb1ELb1ELb1ELb1ELb0ELb0EEEvPT0_PvPT_S6_S6_PKS5_S8_S8_S8_S8_ffiiiiiiiiiiiii,@function
_ZN5aiter35fused_qk_rmsnorm_group_quant_kernelIDF16_DB8_Li64ELi4ELi16ELb1ELb1ELb1ELb1ELb0ELb0EEEvPT0_PvPT_S6_S6_PKS5_S8_S8_S8_S8_ffiiiiiiiiiiiii: ; @_ZN5aiter35fused_qk_rmsnorm_group_quant_kernelIDF16_DB8_Li64ELi4ELi16ELb1ELb1ELb1ELb1ELb0ELb0EEEvPT0_PvPT_S6_S6_PKS5_S8_S8_S8_S8_ffiiiiiiiiiiiii
; %bb.0:
	s_load_dwordx8 s[8:15], s[4:5], 0x50
	s_waitcnt lgkmcnt(0)
	s_cmp_ge_i32 s6, s10
	s_cbranch_scc1 .LBB265_15
; %bb.1:
	s_cmp_lg_u32 s7, 0
	s_cselect_b64 s[18:19], -1, 0
	s_cmp_eq_u32 s7, 0
	s_cselect_b64 s[20:21], -1, 0
	s_and_b64 s[0:1], s[20:21], exec
	s_cselect_b32 s7, s11, s12
	s_load_dwordx2 s[2:3], s[4:5], 0x30
	s_load_dwordx2 s[16:17], s[4:5], 0x48
	s_add_i32 s0, s7, 1
	s_lshr_b32 s1, s0, 31
	s_add_i32 s0, s0, s1
	s_lshl_b32 s0, s0, 1
	v_lshlrev_b32_e32 v1, 2, v0
	s_and_b32 s26, s0, -4
	v_cmp_gt_i32_e64 s[0:1], s7, v1
	v_mov_b32_e32 v2, 0
	v_mov_b32_e32 v3, 0
	;; [unrolled: 1-line block ×4, first 2 shown]
	s_and_saveexec_b64 s[10:11], s[0:1]
	s_cbranch_execz .LBB265_3
; %bb.2:
	s_load_dwordx2 s[22:23], s[4:5], 0x28
	s_load_dwordx2 s[24:25], s[4:5], 0x40
	s_and_b64 s[28:29], s[20:21], exec
	s_cselect_b32 s13, s13, s14
	v_lshlrev_b32_e32 v4, 3, v0
	s_waitcnt lgkmcnt(0)
	s_cselect_b32 s27, s23, s3
	s_cselect_b32 s28, s22, s2
	s_mul_hi_i32 s23, s13, s6
	s_mul_i32 s22, s13, s6
	s_lshl_b64 s[22:23], s[22:23], 1
	s_add_u32 s28, s28, s22
	s_addc_u32 s13, s27, s23
	s_and_b64 s[20:21], s[20:21], exec
	s_mov_b32 s27, 0x20000
	s_cselect_b32 s24, s24, s16
	s_cselect_b32 s20, s25, s17
	s_and_b32 s29, s13, 0xffff
	s_mov_b32 s30, s26
	s_mov_b32 s31, s27
	s_and_b32 s25, s20, 0xffff
	buffer_load_dwordx2 v[8:9], v4, s[28:31], 0 offen glc slc
	buffer_load_dwordx2 v[2:3], v4, s[24:27], 0 offen
.LBB265_3:
	s_or_b64 exec, exec, s[10:11]
	s_load_dwordx4 s[20:23], s[4:5], 0x7c
	s_and_b64 vcc, exec, s[18:19]
	s_cbranch_vccz .LBB265_7
; %bb.4:
	v_mov_b32_e32 v7, 0
	v_mov_b32_e32 v6, 0
	v_mov_b32_e32 v5, 0
	v_mov_b32_e32 v4, 0
	s_and_saveexec_b64 s[10:11], s[0:1]
	s_cbranch_execz .LBB265_6
; %bb.5:
	s_waitcnt vmcnt(1)
	v_cvt_f32_f16_sdwa v5, v8 dst_sel:DWORD dst_unused:UNUSED_PAD src0_sel:WORD_1
	v_cvt_f32_f16_e32 v4, v8
	v_cvt_f32_f16_sdwa v7, v9 dst_sel:DWORD dst_unused:UNUSED_PAD src0_sel:WORD_1
	v_cvt_f32_f16_e32 v6, v9
.LBB265_6:
	s_or_b64 exec, exec, s[10:11]
	s_mov_b32 s13, s9
	s_cbranch_execz .LBB265_8
	s_branch .LBB265_11
.LBB265_7:
                                        ; implicit-def: $vgpr7
                                        ; implicit-def: $vgpr5
	s_mov_b32 s13, s9
.LBB265_8:
	v_mov_b32_e32 v7, 0
	v_mov_b32_e32 v6, 0
	;; [unrolled: 1-line block ×4, first 2 shown]
	s_and_saveexec_b64 s[10:11], s[0:1]
	s_cbranch_execz .LBB265_10
; %bb.9:
	s_load_dwordx2 s[24:25], s[4:5], 0x38
	s_mul_hi_i32 s29, s15, s6
	s_mul_i32 s28, s15, s6
	s_lshl_b64 s[28:29], s[28:29], 1
	s_mov_b32 s27, 0x20000
	s_waitcnt lgkmcnt(0)
	s_add_u32 s24, s24, s28
	s_addc_u32 s13, s25, s29
	s_and_b32 s25, s13, 0xffff
	v_lshlrev_b32_e32 v14, 3, v0
	buffer_load_dwordx2 v[4:5], v14, s[24:27], 0 offen glc slc
	s_waitcnt vmcnt(2)
	v_cvt_f32_f16_sdwa v7, v8 dst_sel:DWORD dst_unused:UNUSED_PAD src0_sel:WORD_1
	v_cvt_f32_f16_e32 v6, v8
	v_cvt_f32_f16_sdwa v11, v9 dst_sel:DWORD dst_unused:UNUSED_PAD src0_sel:WORD_1
	v_cvt_f32_f16_e32 v10, v9
	s_load_dwordx2 s[24:25], s[4:5], 0x20
	s_mul_hi_i32 s23, s22, s6
	s_mul_i32 s22, s22, s6
	s_lshl_b64 s[22:23], s[22:23], 1
	s_waitcnt lgkmcnt(0)
	s_add_u32 s24, s24, s22
	s_addc_u32 s13, s25, s23
	s_and_b32 s25, s13, 0xffff
	s_waitcnt vmcnt(0)
	v_cvt_f32_f16_e32 v8, v4
	v_cvt_f32_f16_sdwa v9, v4 dst_sel:DWORD dst_unused:UNUSED_PAD src0_sel:WORD_1
	v_cvt_f32_f16_e32 v12, v5
	v_cvt_f32_f16_sdwa v13, v5 dst_sel:DWORD dst_unused:UNUSED_PAD src0_sel:WORD_1
	v_pk_add_f32 v[4:5], v[6:7], v[8:9]
	v_cvt_f16_f32_e32 v8, v5
	v_pk_add_f32 v[6:7], v[10:11], v[12:13]
	v_cvt_f16_f32_e32 v9, v7
	v_cvt_f16_f32_e32 v10, v6
	;; [unrolled: 1-line block ×3, first 2 shown]
	v_pack_b32_f16 v9, v10, v9
	v_pack_b32_f16 v8, v11, v8
	buffer_store_dwordx2 v[8:9], v14, s[24:27], 0 offen glc slc
	;;#ASMSTART
	s_nop 0
	;;#ASMEND
.LBB265_10:
	s_or_b64 exec, exec, s[10:11]
	s_mov_b32 s13, s8
.LBB265_11:
	s_waitcnt vmcnt(1)
	v_mul_f32_e32 v8, v5, v5
	v_fmac_f32_e32 v8, v4, v4
	v_fmac_f32_e32 v8, v6, v6
	;; [unrolled: 1-line block ×3, first 2 shown]
	v_bfrev_b32_e32 v10, 0.5
	s_load_dwordx2 s[10:11], s[4:5], 0x18
	v_mov_b32_dpp v9, v8 quad_perm:[1,0,3,2] row_mask:0xf bank_mask:0xf
	v_add_f32_e32 v8, v8, v9
	s_nop 1
	v_mov_b32_dpp v9, v8 quad_perm:[2,3,0,1] row_mask:0xf bank_mask:0xf
	v_add_f32_e32 v8, v8, v9
	s_nop 1
	v_mov_b32_dpp v9, v8 row_half_mirror row_mask:0xf bank_mask:0xf
	v_add_f32_e32 v8, v8, v9
	s_nop 1
	v_mov_b32_dpp v9, v8 row_mirror row_mask:0xf bank_mask:0xf
	v_add_f32_e32 v8, v8, v9
	s_nop 1
	v_mov_b32_dpp v9, v8 row_bcast:15 row_mask:0xf bank_mask:0xf
	v_add_f32_e32 v8, v8, v9
	s_nop 1
	v_mov_b32_dpp v9, v8 row_bcast:31 row_mask:0xf bank_mask:0xf
	v_add_f32_e32 v9, v8, v9
	v_mbcnt_lo_u32_b32 v8, -1, 0
	v_mbcnt_hi_u32_b32 v8, -1, v8
	v_lshl_or_b32 v8, v8, 2, v10
	ds_bpermute_b32 v9, v8, v9
	s_waitcnt lgkmcnt(0)
	s_and_saveexec_b64 s[22:23], s[0:1]
	s_cbranch_execnz .LBB265_16
; %bb.12:
	s_or_b64 exec, exec, s[22:23]
	s_mov_b64 s[22:23], -1
	s_and_b64 vcc, exec, s[18:19]
	s_cbranch_vccnz .LBB265_17
.LBB265_13:
	s_andn2_b64 vcc, exec, s[22:23]
	s_cbranch_vccz .LBB265_20
.LBB265_14:
	s_cmp_lt_i32 s12, 1
	s_cbranch_scc0 .LBB265_23
.LBB265_15:
	s_endpgm
.LBB265_16:
	v_cvt_f32_u32_e32 v10, s7
	s_mov_b32 s7, 0x800000
	v_div_scale_f32 v11, s[24:25], v10, v10, v9
	v_rcp_f32_e32 v12, v11
	v_div_scale_f32 v13, vcc, v9, v10, v9
	v_fma_f32 v14, -v11, v12, 1.0
	v_fmac_f32_e32 v12, v14, v12
	v_mul_f32_e32 v14, v13, v12
	v_fma_f32 v15, -v11, v14, v13
	v_fmac_f32_e32 v14, v15, v12
	v_fma_f32 v11, -v11, v14, v13
	v_div_fmas_f32 v11, v11, v12, v14
	v_div_fixup_f32 v9, v11, v10, v9
	v_add_f32_e32 v9, s13, v9
	v_mul_f32_e32 v10, 0x4b800000, v9
	v_cmp_gt_f32_e32 vcc, s7, v9
	v_cndmask_b32_e32 v9, v9, v10, vcc
	v_rsq_f32_e32 v9, v9
	s_waitcnt vmcnt(0)
	v_cvt_f32_f16_sdwa v11, v2 dst_sel:DWORD dst_unused:UNUSED_PAD src0_sel:WORD_1
	v_cvt_f32_f16_e32 v10, v2
	v_cvt_f32_f16_sdwa v13, v3 dst_sel:DWORD dst_unused:UNUSED_PAD src0_sel:WORD_1
	v_cvt_f32_f16_e32 v12, v3
	v_mul_f32_e32 v2, 0x45800000, v9
	v_cndmask_b32_e32 v14, v9, v2, vcc
	v_mov_b32_e32 v15, v14
	;;#ASMSTART
	v_pk_mul_f32 v[4:5], v[4:5], v[14:15]
	;;#ASMEND
	;;#ASMSTART
	v_pk_mul_f32 v[2:3], v[6:7], v[14:15]
	;;#ASMEND
	v_pk_add_f32 v[6:7], v[10:11], 1.0 op_sel_hi:[1,0]
	;;#ASMSTART
	v_pk_mul_f32 v[4:5], v[4:5], v[6:7]
	;;#ASMEND
	v_pk_add_f32 v[6:7], v[12:13], 1.0 op_sel_hi:[1,0]
	;;#ASMSTART
	v_pk_mul_f32 v[6:7], v[2:3], v[6:7]
	;;#ASMEND
	s_or_b64 exec, exec, s[22:23]
	s_mov_b64 s[22:23], -1
	s_and_b64 vcc, exec, s[18:19]
	s_cbranch_vccz .LBB265_13
.LBB265_17:
	s_and_saveexec_b64 s[18:19], s[0:1]
	s_cbranch_execz .LBB265_19
; %bb.18:
	s_mul_hi_i32 s23, s21, s6
	s_mul_i32 s22, s21, s6
	s_waitcnt vmcnt(0)
	v_cvt_f16_f32_e32 v2, v4
	v_cvt_f16_f32_e32 v3, v6
	;; [unrolled: 1-line block ×4, first 2 shown]
	s_lshl_b64 s[22:23], s[22:23], 1
	s_add_u32 s24, s10, s22
	s_addc_u32 s7, s11, s23
	s_and_b32 s25, s7, 0xffff
	s_mov_b32 s27, 0x20000
	v_pack_b32_f16 v3, v3, v9
	v_pack_b32_f16 v2, v2, v10
	v_lshlrev_b32_e32 v9, 3, v0
	buffer_store_dwordx2 v[2:3], v9, s[24:27], 0 offen
	;;#ASMSTART
	s_nop 0
	;;#ASMEND
.LBB265_19:
	s_or_b64 exec, exec, s[18:19]
	s_cbranch_execnz .LBB265_14
.LBB265_20:
	s_and_saveexec_b64 s[18:19], s[0:1]
	s_cbranch_execz .LBB265_22
; %bb.21:
	s_load_dwordx2 s[0:1], s[4:5], 0x10
	s_mul_hi_i32 s23, s20, s6
	s_mul_i32 s22, s20, s6
	s_waitcnt vmcnt(0)
	v_cvt_f16_f32_e32 v2, v4
	v_cvt_f16_f32_e32 v3, v6
	;; [unrolled: 1-line block ×4, first 2 shown]
	s_lshl_b64 s[22:23], s[22:23], 1
	s_waitcnt lgkmcnt(0)
	s_add_u32 s24, s0, s22
	s_addc_u32 s0, s1, s23
	s_and_b32 s25, s0, 0xffff
	s_mov_b32 s27, 0x20000
	v_pack_b32_f16 v3, v3, v4
	v_pack_b32_f16 v2, v2, v5
	v_lshlrev_b32_e32 v4, 3, v0
	buffer_store_dwordx2 v[2:3], v4, s[24:27], 0 offen
	;;#ASMSTART
	s_nop 0
	;;#ASMEND
.LBB265_22:
	s_or_b64 exec, exec, s[18:19]
	s_cmp_lt_i32 s12, 1
	s_cbranch_scc1 .LBB265_15
.LBB265_23:
	s_load_dword s0, s[4:5], 0x94
	s_waitcnt lgkmcnt(0)
	s_cmp_lg_u32 s0, 1
	s_cbranch_scc1 .LBB265_15
; %bb.24:
	s_lshl_b32 s0, s12, 1
	s_add_i32 s0, s0, 2
	v_cmp_gt_u32_e32 vcc, s12, v1
	s_and_b32 s18, s0, -4
	s_waitcnt vmcnt(0)
	v_mov_b32_e32 v2, 0
	v_lshlrev_b32_e32 v6, 3, v0
	v_mov_b32_e32 v3, 0
	v_mov_b32_e32 v0, 0
	;; [unrolled: 1-line block ×3, first 2 shown]
	s_barrier
	s_and_saveexec_b64 s[0:1], vcc
	s_cbranch_execz .LBB265_26
; %bb.25:
	s_mul_hi_i32 s5, s14, s6
	s_mul_i32 s4, s14, s6
	s_and_b32 s17, s17, 0xffff
	s_lshl_b64 s[4:5], s[4:5], 1
	s_add_u32 s24, s2, s4
	s_mov_b32 s19, 0x20000
	s_addc_u32 s2, s3, s5
	s_and_b32 s25, s2, 0xffff
	s_mov_b32 s26, s18
	s_mov_b32 s27, s19
	buffer_load_dwordx2 v[2:3], v6, s[24:27], 0 offen glc slc
	buffer_load_dwordx2 v[0:1], v6, s[16:19], 0 offen
.LBB265_26:
	s_or_b64 exec, exec, s[0:1]
	s_waitcnt vmcnt(1)
	v_cvt_f32_f16_e32 v4, v3
	v_cvt_f32_f16_e32 v5, v2
	v_cvt_f32_f16_sdwa v7, v2 dst_sel:DWORD dst_unused:UNUSED_PAD src0_sel:WORD_1
	v_cvt_f32_f16_sdwa v3, v3 dst_sel:DWORD dst_unused:UNUSED_PAD src0_sel:WORD_1
	v_cndmask_b32_e32 v2, 0, v4, vcc
	v_cndmask_b32_e32 v4, 0, v5, vcc
	;; [unrolled: 1-line block ×3, first 2 shown]
	v_mul_f32_e32 v7, v5, v5
	v_fmac_f32_e32 v7, v4, v4
	v_cndmask_b32_e32 v3, 0, v3, vcc
	v_fmac_f32_e32 v7, v2, v2
	v_fmac_f32_e32 v7, v3, v3
	s_nop 1
	v_mov_b32_dpp v9, v7 quad_perm:[1,0,3,2] row_mask:0xf bank_mask:0xf
	v_add_f32_e32 v7, v7, v9
	s_nop 1
	v_mov_b32_dpp v9, v7 quad_perm:[2,3,0,1] row_mask:0xf bank_mask:0xf
	v_add_f32_e32 v7, v7, v9
	s_nop 1
	v_mov_b32_dpp v9, v7 row_half_mirror row_mask:0xf bank_mask:0xf
	v_add_f32_e32 v7, v7, v9
	s_nop 1
	v_mov_b32_dpp v9, v7 row_mirror row_mask:0xf bank_mask:0xf
	v_add_f32_e32 v7, v7, v9
	s_nop 1
	v_mov_b32_dpp v9, v7 row_bcast:15 row_mask:0xf bank_mask:0xf
	v_add_f32_e32 v7, v7, v9
	s_nop 1
	v_mov_b32_dpp v9, v7 row_bcast:31 row_mask:0xf bank_mask:0xf
	v_add_f32_e32 v7, v7, v9
	ds_bpermute_b32 v7, v8, v7
	s_and_saveexec_b64 s[0:1], vcc
	s_cbranch_execz .LBB265_15
; %bb.27:
	v_cvt_f32_u32_e32 v8, s12
	s_mov_b32 s19, 0x20000
	s_waitcnt lgkmcnt(0)
	v_div_scale_f32 v9, s[0:1], v8, v8, v7
	v_rcp_f32_e32 v10, v9
	v_div_scale_f32 v11, vcc, v7, v8, v7
	s_mov_b32 s0, 0x800000
	v_fma_f32 v12, -v9, v10, 1.0
	v_fmac_f32_e32 v10, v12, v10
	v_mul_f32_e32 v12, v11, v10
	v_fma_f32 v13, -v9, v12, v11
	v_fmac_f32_e32 v12, v13, v10
	v_fma_f32 v9, -v9, v12, v11
	v_div_fmas_f32 v9, v9, v10, v12
	v_div_fixup_f32 v7, v9, v8, v7
	v_add_f32_e32 v7, s9, v7
	v_mul_f32_e32 v8, 0x4b800000, v7
	v_cmp_gt_f32_e32 vcc, s0, v7
	v_cndmask_b32_e32 v7, v7, v8, vcc
	v_rsq_f32_e32 v7, v7
	s_waitcnt vmcnt(0)
	v_cvt_f32_f16_sdwa v9, v0 dst_sel:DWORD dst_unused:UNUSED_PAD src0_sel:WORD_1
	v_cvt_f32_f16_e32 v8, v0
	v_cvt_f32_f16_sdwa v11, v1 dst_sel:DWORD dst_unused:UNUSED_PAD src0_sel:WORD_1
	v_cvt_f32_f16_e32 v10, v1
	v_mul_f32_e32 v0, 0x45800000, v7
	v_cndmask_b32_e32 v12, v7, v0, vcc
	v_mov_b32_e32 v13, v12
	;;#ASMSTART
	v_pk_mul_f32 v[4:5], v[4:5], v[12:13]
	;;#ASMEND
	;;#ASMSTART
	v_pk_mul_f32 v[0:1], v[2:3], v[12:13]
	;;#ASMEND
	v_pk_add_f32 v[2:3], v[8:9], 1.0 op_sel_hi:[1,0]
	;;#ASMSTART
	v_pk_mul_f32 v[2:3], v[4:5], v[2:3]
	;;#ASMEND
	v_pk_add_f32 v[4:5], v[10:11], 1.0 op_sel_hi:[1,0]
	;;#ASMSTART
	v_pk_mul_f32 v[0:1], v[0:1], v[4:5]
	;;#ASMEND
	s_mul_hi_i32 s1, s21, s6
	s_mul_i32 s0, s21, s6
	v_cvt_f16_f32_e32 v2, v2
	v_cvt_f16_f32_e32 v3, v3
	;; [unrolled: 1-line block ×4, first 2 shown]
	s_lshl_b64 s[0:1], s[0:1], 1
	s_add_u32 s16, s10, s0
	s_addc_u32 s0, s11, s1
	s_and_b32 s17, s0, 0xffff
	v_pack_b32_f16 v0, v2, v3
	v_pack_b32_f16 v1, v4, v1
	buffer_store_dwordx2 v[0:1], v6, s[16:19], 0 offen
	;;#ASMSTART
	s_nop 0
	;;#ASMEND
	s_endpgm
	.section	.rodata,"a",@progbits
	.p2align	6, 0x0
	.amdhsa_kernel _ZN5aiter35fused_qk_rmsnorm_group_quant_kernelIDF16_DB8_Li64ELi4ELi16ELb1ELb1ELb1ELb1ELb0ELb0EEEvPT0_PvPT_S6_S6_PKS5_S8_S8_S8_S8_ffiiiiiiiiiiiii
		.amdhsa_group_segment_fixed_size 0
		.amdhsa_private_segment_fixed_size 0
		.amdhsa_kernarg_size 400
		.amdhsa_user_sgpr_count 6
		.amdhsa_user_sgpr_private_segment_buffer 1
		.amdhsa_user_sgpr_dispatch_ptr 0
		.amdhsa_user_sgpr_queue_ptr 0
		.amdhsa_user_sgpr_kernarg_segment_ptr 1
		.amdhsa_user_sgpr_dispatch_id 0
		.amdhsa_user_sgpr_flat_scratch_init 0
		.amdhsa_user_sgpr_kernarg_preload_length 0
		.amdhsa_user_sgpr_kernarg_preload_offset 0
		.amdhsa_user_sgpr_private_segment_size 0
		.amdhsa_uses_dynamic_stack 0
		.amdhsa_system_sgpr_private_segment_wavefront_offset 0
		.amdhsa_system_sgpr_workgroup_id_x 1
		.amdhsa_system_sgpr_workgroup_id_y 1
		.amdhsa_system_sgpr_workgroup_id_z 0
		.amdhsa_system_sgpr_workgroup_info 0
		.amdhsa_system_vgpr_workitem_id 0
		.amdhsa_next_free_vgpr 16
		.amdhsa_next_free_sgpr 32
		.amdhsa_accum_offset 16
		.amdhsa_reserve_vcc 1
		.amdhsa_reserve_flat_scratch 0
		.amdhsa_float_round_mode_32 0
		.amdhsa_float_round_mode_16_64 0
		.amdhsa_float_denorm_mode_32 3
		.amdhsa_float_denorm_mode_16_64 3
		.amdhsa_dx10_clamp 1
		.amdhsa_ieee_mode 1
		.amdhsa_fp16_overflow 0
		.amdhsa_tg_split 0
		.amdhsa_exception_fp_ieee_invalid_op 0
		.amdhsa_exception_fp_denorm_src 0
		.amdhsa_exception_fp_ieee_div_zero 0
		.amdhsa_exception_fp_ieee_overflow 0
		.amdhsa_exception_fp_ieee_underflow 0
		.amdhsa_exception_fp_ieee_inexact 0
		.amdhsa_exception_int_div_zero 0
	.end_amdhsa_kernel
	.section	.text._ZN5aiter35fused_qk_rmsnorm_group_quant_kernelIDF16_DB8_Li64ELi4ELi16ELb1ELb1ELb1ELb1ELb0ELb0EEEvPT0_PvPT_S6_S6_PKS5_S8_S8_S8_S8_ffiiiiiiiiiiiii,"axG",@progbits,_ZN5aiter35fused_qk_rmsnorm_group_quant_kernelIDF16_DB8_Li64ELi4ELi16ELb1ELb1ELb1ELb1ELb0ELb0EEEvPT0_PvPT_S6_S6_PKS5_S8_S8_S8_S8_ffiiiiiiiiiiiii,comdat
.Lfunc_end265:
	.size	_ZN5aiter35fused_qk_rmsnorm_group_quant_kernelIDF16_DB8_Li64ELi4ELi16ELb1ELb1ELb1ELb1ELb0ELb0EEEvPT0_PvPT_S6_S6_PKS5_S8_S8_S8_S8_ffiiiiiiiiiiiii, .Lfunc_end265-_ZN5aiter35fused_qk_rmsnorm_group_quant_kernelIDF16_DB8_Li64ELi4ELi16ELb1ELb1ELb1ELb1ELb0ELb0EEEvPT0_PvPT_S6_S6_PKS5_S8_S8_S8_S8_ffiiiiiiiiiiiii
                                        ; -- End function
	.section	.AMDGPU.csdata,"",@progbits
; Kernel info:
; codeLenInByte = 1840
; NumSgprs: 36
; NumVgprs: 16
; NumAgprs: 0
; TotalNumVgprs: 16
; ScratchSize: 0
; MemoryBound: 0
; FloatMode: 240
; IeeeMode: 1
; LDSByteSize: 0 bytes/workgroup (compile time only)
; SGPRBlocks: 4
; VGPRBlocks: 1
; NumSGPRsForWavesPerEU: 36
; NumVGPRsForWavesPerEU: 16
; AccumOffset: 16
; Occupancy: 8
; WaveLimiterHint : 0
; COMPUTE_PGM_RSRC2:SCRATCH_EN: 0
; COMPUTE_PGM_RSRC2:USER_SGPR: 6
; COMPUTE_PGM_RSRC2:TRAP_HANDLER: 0
; COMPUTE_PGM_RSRC2:TGID_X_EN: 1
; COMPUTE_PGM_RSRC2:TGID_Y_EN: 1
; COMPUTE_PGM_RSRC2:TGID_Z_EN: 0
; COMPUTE_PGM_RSRC2:TIDIG_COMP_CNT: 0
; COMPUTE_PGM_RSRC3_GFX90A:ACCUM_OFFSET: 3
; COMPUTE_PGM_RSRC3_GFX90A:TG_SPLIT: 0
	.section	.text._ZN5aiter35fused_qk_rmsnorm_group_quant_kernelItDB8_Li64ELi4ELi16ELb1ELb1ELb1ELb1ELb0ELb0EEEvPT0_PvPT_S6_S6_PKS5_S8_S8_S8_S8_ffiiiiiiiiiiiii,"axG",@progbits,_ZN5aiter35fused_qk_rmsnorm_group_quant_kernelItDB8_Li64ELi4ELi16ELb1ELb1ELb1ELb1ELb0ELb0EEEvPT0_PvPT_S6_S6_PKS5_S8_S8_S8_S8_ffiiiiiiiiiiiii,comdat
	.protected	_ZN5aiter35fused_qk_rmsnorm_group_quant_kernelItDB8_Li64ELi4ELi16ELb1ELb1ELb1ELb1ELb0ELb0EEEvPT0_PvPT_S6_S6_PKS5_S8_S8_S8_S8_ffiiiiiiiiiiiii ; -- Begin function _ZN5aiter35fused_qk_rmsnorm_group_quant_kernelItDB8_Li64ELi4ELi16ELb1ELb1ELb1ELb1ELb0ELb0EEEvPT0_PvPT_S6_S6_PKS5_S8_S8_S8_S8_ffiiiiiiiiiiiii
	.globl	_ZN5aiter35fused_qk_rmsnorm_group_quant_kernelItDB8_Li64ELi4ELi16ELb1ELb1ELb1ELb1ELb0ELb0EEEvPT0_PvPT_S6_S6_PKS5_S8_S8_S8_S8_ffiiiiiiiiiiiii
	.p2align	8
	.type	_ZN5aiter35fused_qk_rmsnorm_group_quant_kernelItDB8_Li64ELi4ELi16ELb1ELb1ELb1ELb1ELb0ELb0EEEvPT0_PvPT_S6_S6_PKS5_S8_S8_S8_S8_ffiiiiiiiiiiiii,@function
_ZN5aiter35fused_qk_rmsnorm_group_quant_kernelItDB8_Li64ELi4ELi16ELb1ELb1ELb1ELb1ELb0ELb0EEEvPT0_PvPT_S6_S6_PKS5_S8_S8_S8_S8_ffiiiiiiiiiiiii: ; @_ZN5aiter35fused_qk_rmsnorm_group_quant_kernelItDB8_Li64ELi4ELi16ELb1ELb1ELb1ELb1ELb0ELb0EEEvPT0_PvPT_S6_S6_PKS5_S8_S8_S8_S8_ffiiiiiiiiiiiii
; %bb.0:
	s_load_dwordx8 s[8:15], s[4:5], 0x50
	s_waitcnt lgkmcnt(0)
	s_cmp_ge_i32 s6, s10
	s_cbranch_scc1 .LBB266_15
; %bb.1:
	s_cmp_lg_u32 s7, 0
	s_cselect_b64 s[18:19], -1, 0
	s_cmp_eq_u32 s7, 0
	s_cselect_b64 s[20:21], -1, 0
	s_and_b64 s[0:1], s[20:21], exec
	s_cselect_b32 s7, s11, s12
	s_load_dwordx2 s[2:3], s[4:5], 0x30
	s_load_dwordx2 s[16:17], s[4:5], 0x48
	s_add_i32 s0, s7, 1
	s_lshr_b32 s1, s0, 31
	s_add_i32 s0, s0, s1
	s_lshl_b32 s0, s0, 1
	v_lshlrev_b32_e32 v1, 2, v0
	s_and_b32 s26, s0, -4
	v_cmp_gt_i32_e64 s[0:1], s7, v1
	v_mov_b32_e32 v6, 0
	v_mov_b32_e32 v7, 0
	;; [unrolled: 1-line block ×4, first 2 shown]
	s_and_saveexec_b64 s[10:11], s[0:1]
	s_cbranch_execz .LBB266_3
; %bb.2:
	s_load_dwordx2 s[22:23], s[4:5], 0x28
	s_load_dwordx2 s[24:25], s[4:5], 0x40
	s_and_b64 s[28:29], s[20:21], exec
	s_cselect_b32 s13, s13, s14
	v_lshlrev_b32_e32 v2, 3, v0
	s_waitcnt lgkmcnt(0)
	s_cselect_b32 s27, s23, s3
	s_cselect_b32 s28, s22, s2
	s_mul_hi_i32 s23, s13, s6
	s_mul_i32 s22, s13, s6
	s_lshl_b64 s[22:23], s[22:23], 1
	s_add_u32 s28, s28, s22
	s_addc_u32 s13, s27, s23
	s_and_b64 s[20:21], s[20:21], exec
	s_mov_b32 s27, 0x20000
	s_cselect_b32 s24, s24, s16
	s_cselect_b32 s20, s25, s17
	s_and_b32 s29, s13, 0xffff
	s_mov_b32 s30, s26
	s_mov_b32 s31, s27
	s_and_b32 s25, s20, 0xffff
	buffer_load_dwordx2 v[8:9], v2, s[28:31], 0 offen glc slc
	buffer_load_dwordx2 v[6:7], v2, s[24:27], 0 offen
.LBB266_3:
	s_or_b64 exec, exec, s[10:11]
	s_load_dwordx4 s[20:23], s[4:5], 0x7c
	s_and_b64 vcc, exec, s[18:19]
	s_cbranch_vccz .LBB266_7
; %bb.4:
	s_mov_b32 s28, 0
	s_mov_b32 s29, s28
	;; [unrolled: 1-line block ×4, first 2 shown]
	v_pk_mov_b32 v[2:3], s[28:29], s[28:29] op_sel:[0,1]
	v_pk_mov_b32 v[4:5], s[30:31], s[30:31] op_sel:[0,1]
	s_and_saveexec_b64 s[10:11], s[0:1]
	s_cbranch_execz .LBB266_6
; %bb.5:
	s_waitcnt vmcnt(1)
	v_cvt_f32_u32_sdwa v3, v8 dst_sel:DWORD dst_unused:UNUSED_PAD src0_sel:WORD_1
	v_cvt_f32_u32_sdwa v2, v8 dst_sel:DWORD dst_unused:UNUSED_PAD src0_sel:WORD_0
	v_cvt_f32_u32_sdwa v5, v9 dst_sel:DWORD dst_unused:UNUSED_PAD src0_sel:WORD_1
	v_cvt_f32_u32_sdwa v4, v9 dst_sel:DWORD dst_unused:UNUSED_PAD src0_sel:WORD_0
.LBB266_6:
	s_or_b64 exec, exec, s[10:11]
	s_mov_b32 s13, s9
	s_cbranch_execz .LBB266_8
	s_branch .LBB266_11
.LBB266_7:
                                        ; implicit-def: $vgpr2_vgpr3_vgpr4_vgpr5
	s_mov_b32 s13, s9
.LBB266_8:
	s_mov_b32 s28, 0
	s_mov_b32 s29, s28
	;; [unrolled: 1-line block ×4, first 2 shown]
	v_pk_mov_b32 v[2:3], s[28:29], s[28:29] op_sel:[0,1]
	v_pk_mov_b32 v[4:5], s[30:31], s[30:31] op_sel:[0,1]
	s_and_saveexec_b64 s[10:11], s[0:1]
	s_cbranch_execz .LBB266_10
; %bb.9:
	s_load_dwordx2 s[24:25], s[4:5], 0x38
	s_mul_hi_i32 s29, s15, s6
	s_mul_i32 s28, s15, s6
	s_lshl_b64 s[28:29], s[28:29], 1
	s_mov_b32 s27, 0x20000
	s_waitcnt lgkmcnt(0)
	s_add_u32 s24, s24, s28
	s_addc_u32 s13, s25, s29
	s_and_b32 s25, s13, 0xffff
	v_lshlrev_b32_e32 v14, 3, v0
	buffer_load_dwordx2 v[2:3], v14, s[24:27], 0 offen glc slc
	s_load_dwordx2 s[24:25], s[4:5], 0x20
	s_waitcnt vmcnt(2)
	v_cvt_f32_u32_sdwa v5, v8 dst_sel:DWORD dst_unused:UNUSED_PAD src0_sel:WORD_1
	v_cvt_f32_u32_sdwa v4, v8 dst_sel:DWORD dst_unused:UNUSED_PAD src0_sel:WORD_0
	v_cvt_f32_u32_sdwa v11, v9 dst_sel:DWORD dst_unused:UNUSED_PAD src0_sel:WORD_1
	v_cvt_f32_u32_sdwa v10, v9 dst_sel:DWORD dst_unused:UNUSED_PAD src0_sel:WORD_0
	s_mul_hi_i32 s23, s22, s6
	s_mul_i32 s22, s22, s6
	s_lshl_b64 s[22:23], s[22:23], 1
	s_waitcnt lgkmcnt(0)
	s_add_u32 s24, s24, s22
	s_mov_b32 s13, 0x7060302
	s_addc_u32 s15, s25, s23
	s_and_b32 s25, s15, 0xffff
	s_waitcnt vmcnt(0)
	v_cvt_f32_u32_sdwa v9, v2 dst_sel:DWORD dst_unused:UNUSED_PAD src0_sel:WORD_1
	v_cvt_f32_u32_sdwa v8, v2 dst_sel:DWORD dst_unused:UNUSED_PAD src0_sel:WORD_0
	v_cvt_f32_u32_sdwa v13, v3 dst_sel:DWORD dst_unused:UNUSED_PAD src0_sel:WORD_1
	v_cvt_f32_u32_sdwa v12, v3 dst_sel:DWORD dst_unused:UNUSED_PAD src0_sel:WORD_0
	v_pk_add_f32 v[2:3], v[4:5], v[8:9]
	v_perm_b32 v8, v3, v2, s13
	v_pk_add_f32 v[4:5], v[10:11], v[12:13]
	v_perm_b32 v9, v5, v4, s13
	buffer_store_dwordx2 v[8:9], v14, s[24:27], 0 offen glc slc
	;;#ASMSTART
	s_nop 0
	;;#ASMEND
.LBB266_10:
	s_or_b64 exec, exec, s[10:11]
	s_mov_b32 s13, s8
.LBB266_11:
	s_waitcnt vmcnt(1)
	v_mul_f32_e32 v8, v3, v3
	v_fmac_f32_e32 v8, v2, v2
	v_fmac_f32_e32 v8, v4, v4
	;; [unrolled: 1-line block ×3, first 2 shown]
	v_bfrev_b32_e32 v10, 0.5
	s_load_dwordx2 s[10:11], s[4:5], 0x18
	v_mov_b32_dpp v9, v8 quad_perm:[1,0,3,2] row_mask:0xf bank_mask:0xf
	v_add_f32_e32 v8, v8, v9
	s_nop 1
	v_mov_b32_dpp v9, v8 quad_perm:[2,3,0,1] row_mask:0xf bank_mask:0xf
	v_add_f32_e32 v8, v8, v9
	s_nop 1
	v_mov_b32_dpp v9, v8 row_half_mirror row_mask:0xf bank_mask:0xf
	v_add_f32_e32 v8, v8, v9
	s_nop 1
	v_mov_b32_dpp v9, v8 row_mirror row_mask:0xf bank_mask:0xf
	v_add_f32_e32 v8, v8, v9
	s_nop 1
	v_mov_b32_dpp v9, v8 row_bcast:15 row_mask:0xf bank_mask:0xf
	v_add_f32_e32 v8, v8, v9
	s_nop 1
	v_mov_b32_dpp v9, v8 row_bcast:31 row_mask:0xf bank_mask:0xf
	v_add_f32_e32 v9, v8, v9
	v_mbcnt_lo_u32_b32 v8, -1, 0
	v_mbcnt_hi_u32_b32 v8, -1, v8
	v_lshl_or_b32 v8, v8, 2, v10
	ds_bpermute_b32 v9, v8, v9
	s_waitcnt lgkmcnt(0)
	s_and_saveexec_b64 s[22:23], s[0:1]
	s_cbranch_execnz .LBB266_16
; %bb.12:
	s_or_b64 exec, exec, s[22:23]
	s_mov_b64 s[22:23], -1
	s_and_b64 vcc, exec, s[18:19]
	s_cbranch_vccnz .LBB266_17
.LBB266_13:
	s_andn2_b64 vcc, exec, s[22:23]
	s_cbranch_vccz .LBB266_20
.LBB266_14:
	s_cmp_lt_i32 s12, 1
	s_cbranch_scc0 .LBB266_23
.LBB266_15:
	s_endpgm
.LBB266_16:
	v_cvt_f32_u32_e32 v10, s7
	s_mov_b32 s7, 0x800000
	v_div_scale_f32 v11, s[24:25], v10, v10, v9
	v_rcp_f32_e32 v12, v11
	v_div_scale_f32 v13, vcc, v9, v10, v9
	v_fma_f32 v14, -v11, v12, 1.0
	v_fmac_f32_e32 v12, v14, v12
	v_mul_f32_e32 v14, v13, v12
	v_fma_f32 v15, -v11, v14, v13
	v_fmac_f32_e32 v14, v15, v12
	v_fma_f32 v11, -v11, v14, v13
	v_div_fmas_f32 v11, v11, v12, v14
	v_div_fixup_f32 v9, v11, v10, v9
	v_add_f32_e32 v9, s13, v9
	v_mul_f32_e32 v10, 0x4b800000, v9
	v_cmp_gt_f32_e32 vcc, s7, v9
	v_cndmask_b32_e32 v9, v9, v10, vcc
	v_rsq_f32_e32 v9, v9
	s_waitcnt vmcnt(0)
	v_cvt_f32_u32_sdwa v11, v6 dst_sel:DWORD dst_unused:UNUSED_PAD src0_sel:WORD_1
	v_cvt_f32_u32_sdwa v10, v6 dst_sel:DWORD dst_unused:UNUSED_PAD src0_sel:WORD_0
	v_cvt_f32_u32_sdwa v13, v7 dst_sel:DWORD dst_unused:UNUSED_PAD src0_sel:WORD_1
	v_cvt_f32_u32_sdwa v12, v7 dst_sel:DWORD dst_unused:UNUSED_PAD src0_sel:WORD_0
	v_mul_f32_e32 v6, 0x45800000, v9
	v_cndmask_b32_e32 v14, v9, v6, vcc
	v_mov_b32_e32 v15, v14
	;;#ASMSTART
	v_pk_mul_f32 v[2:3], v[2:3], v[14:15]
	;;#ASMEND
	;;#ASMSTART
	v_pk_mul_f32 v[4:5], v[4:5], v[14:15]
	;;#ASMEND
	v_pk_add_f32 v[6:7], v[10:11], 1.0 op_sel_hi:[1,0]
	;;#ASMSTART
	v_pk_mul_f32 v[2:3], v[2:3], v[6:7]
	;;#ASMEND
	v_pk_add_f32 v[6:7], v[12:13], 1.0 op_sel_hi:[1,0]
	;;#ASMSTART
	v_pk_mul_f32 v[4:5], v[4:5], v[6:7]
	;;#ASMEND
	s_or_b64 exec, exec, s[22:23]
	s_mov_b64 s[22:23], -1
	s_and_b64 vcc, exec, s[18:19]
	s_cbranch_vccz .LBB266_13
.LBB266_17:
	s_and_saveexec_b64 s[18:19], s[0:1]
	s_cbranch_execz .LBB266_19
; %bb.18:
	s_mul_hi_i32 s23, s21, s6
	s_mul_i32 s22, s21, s6
	s_lshl_b64 s[22:23], s[22:23], 1
	s_add_u32 s24, s10, s22
	s_addc_u32 s7, s11, s23
	s_and_b32 s25, s7, 0xffff
	s_mov_b32 s7, 0x7060302
	s_mov_b32 s27, 0x20000
	s_waitcnt vmcnt(0)
	v_perm_b32 v6, v3, v2, s7
	v_perm_b32 v7, v5, v4, s7
	v_lshlrev_b32_e32 v9, 3, v0
	buffer_store_dwordx2 v[6:7], v9, s[24:27], 0 offen
	;;#ASMSTART
	s_nop 0
	;;#ASMEND
.LBB266_19:
	s_or_b64 exec, exec, s[18:19]
	s_cbranch_execnz .LBB266_14
.LBB266_20:
	s_and_saveexec_b64 s[18:19], s[0:1]
	s_cbranch_execz .LBB266_22
; %bb.21:
	s_load_dwordx2 s[0:1], s[4:5], 0x10
	s_mul_hi_i32 s23, s20, s6
	s_mul_i32 s22, s20, s6
	s_lshl_b64 s[22:23], s[22:23], 1
	s_mov_b32 s27, 0x20000
	s_waitcnt lgkmcnt(0)
	s_add_u32 s24, s0, s22
	s_addc_u32 s0, s1, s23
	s_and_b32 s25, s0, 0xffff
	s_mov_b32 s0, 0x7060302
	v_perm_b32 v2, v3, v2, s0
	v_perm_b32 v3, v5, v4, s0
	v_lshlrev_b32_e32 v4, 3, v0
	buffer_store_dwordx2 v[2:3], v4, s[24:27], 0 offen
	;;#ASMSTART
	s_nop 0
	;;#ASMEND
.LBB266_22:
	s_or_b64 exec, exec, s[18:19]
	s_cmp_lt_i32 s12, 1
	s_cbranch_scc1 .LBB266_15
.LBB266_23:
	s_load_dword s0, s[4:5], 0x94
	s_waitcnt lgkmcnt(0)
	s_cmp_lg_u32 s0, 1
	s_cbranch_scc1 .LBB266_15
; %bb.24:
	s_lshl_b32 s0, s12, 1
	s_add_i32 s0, s0, 2
	v_cmp_gt_u32_e32 vcc, s12, v1
	s_and_b32 s18, s0, -4
	v_mov_b32_e32 v2, 0
	s_waitcnt vmcnt(0)
	v_lshlrev_b32_e32 v6, 3, v0
	v_mov_b32_e32 v3, 0
	v_mov_b32_e32 v0, 0
	;; [unrolled: 1-line block ×3, first 2 shown]
	s_barrier
	s_and_saveexec_b64 s[0:1], vcc
	s_cbranch_execz .LBB266_26
; %bb.25:
	s_mul_hi_i32 s5, s14, s6
	s_mul_i32 s4, s14, s6
	s_and_b32 s17, s17, 0xffff
	s_lshl_b64 s[4:5], s[4:5], 1
	s_add_u32 s24, s2, s4
	s_mov_b32 s19, 0x20000
	s_addc_u32 s2, s3, s5
	s_and_b32 s25, s2, 0xffff
	s_mov_b32 s26, s18
	s_mov_b32 s27, s19
	buffer_load_dwordx2 v[2:3], v6, s[24:27], 0 offen glc slc
	buffer_load_dwordx2 v[0:1], v6, s[16:19], 0 offen
.LBB266_26:
	s_or_b64 exec, exec, s[0:1]
	s_waitcnt vmcnt(1)
	v_cvt_f32_u32_sdwa v5, v3 dst_sel:DWORD dst_unused:UNUSED_PAD src0_sel:WORD_0
	v_cvt_f32_u32_sdwa v7, v2 dst_sel:DWORD dst_unused:UNUSED_PAD src0_sel:WORD_1
	v_cvt_f32_u32_sdwa v4, v3 dst_sel:DWORD dst_unused:UNUSED_PAD src0_sel:WORD_1
	v_cvt_f32_u32_sdwa v9, v2 dst_sel:DWORD dst_unused:UNUSED_PAD src0_sel:WORD_0
	v_cndmask_b32_e32 v2, 0, v5, vcc
	v_cndmask_b32_e32 v5, 0, v7, vcc
	;; [unrolled: 1-line block ×4, first 2 shown]
	v_mul_f32_e32 v7, v5, v5
	v_fmac_f32_e32 v7, v4, v4
	v_fmac_f32_e32 v7, v2, v2
	;; [unrolled: 1-line block ×3, first 2 shown]
	s_nop 1
	v_mov_b32_dpp v9, v7 quad_perm:[1,0,3,2] row_mask:0xf bank_mask:0xf
	v_add_f32_e32 v7, v7, v9
	s_nop 1
	v_mov_b32_dpp v9, v7 quad_perm:[2,3,0,1] row_mask:0xf bank_mask:0xf
	v_add_f32_e32 v7, v7, v9
	s_nop 1
	v_mov_b32_dpp v9, v7 row_half_mirror row_mask:0xf bank_mask:0xf
	v_add_f32_e32 v7, v7, v9
	s_nop 1
	v_mov_b32_dpp v9, v7 row_mirror row_mask:0xf bank_mask:0xf
	v_add_f32_e32 v7, v7, v9
	s_nop 1
	v_mov_b32_dpp v9, v7 row_bcast:15 row_mask:0xf bank_mask:0xf
	v_add_f32_e32 v7, v7, v9
	s_nop 1
	v_mov_b32_dpp v9, v7 row_bcast:31 row_mask:0xf bank_mask:0xf
	v_add_f32_e32 v7, v7, v9
	ds_bpermute_b32 v7, v8, v7
	s_and_saveexec_b64 s[0:1], vcc
	s_cbranch_execz .LBB266_15
; %bb.27:
	v_cvt_f32_u32_e32 v8, s12
	s_mov_b32 s19, 0x20000
	s_waitcnt lgkmcnt(0)
	v_div_scale_f32 v9, s[0:1], v8, v8, v7
	v_rcp_f32_e32 v10, v9
	v_div_scale_f32 v11, vcc, v7, v8, v7
	s_mov_b32 s0, 0x800000
	v_fma_f32 v12, -v9, v10, 1.0
	v_fmac_f32_e32 v10, v12, v10
	v_mul_f32_e32 v12, v11, v10
	v_fma_f32 v13, -v9, v12, v11
	v_fmac_f32_e32 v12, v13, v10
	v_fma_f32 v9, -v9, v12, v11
	v_div_fmas_f32 v9, v9, v10, v12
	v_div_fixup_f32 v7, v9, v8, v7
	v_add_f32_e32 v7, s9, v7
	v_mul_f32_e32 v8, 0x4b800000, v7
	v_cmp_gt_f32_e32 vcc, s0, v7
	v_cndmask_b32_e32 v7, v7, v8, vcc
	v_rsq_f32_e32 v7, v7
	s_waitcnt vmcnt(0)
	v_cvt_f32_u32_sdwa v9, v0 dst_sel:DWORD dst_unused:UNUSED_PAD src0_sel:WORD_1
	v_cvt_f32_u32_sdwa v8, v0 dst_sel:DWORD dst_unused:UNUSED_PAD src0_sel:WORD_0
	s_mul_hi_i32 s1, s21, s6
	s_mul_i32 s0, s21, s6
	v_cvt_f32_u32_sdwa v11, v1 dst_sel:DWORD dst_unused:UNUSED_PAD src0_sel:WORD_1
	v_mul_f32_e32 v0, 0x45800000, v7
	v_cvt_f32_u32_sdwa v10, v1 dst_sel:DWORD dst_unused:UNUSED_PAD src0_sel:WORD_0
	s_lshl_b64 s[0:1], s[0:1], 1
	v_cndmask_b32_e32 v12, v7, v0, vcc
	s_add_u32 s16, s10, s0
	v_mov_b32_e32 v13, v12
	;;#ASMSTART
	v_pk_mul_f32 v[4:5], v[4:5], v[12:13]
	;;#ASMEND
	;;#ASMSTART
	v_pk_mul_f32 v[0:1], v[2:3], v[12:13]
	;;#ASMEND
	v_pk_add_f32 v[2:3], v[8:9], 1.0 op_sel_hi:[1,0]
	s_addc_u32 s0, s11, s1
	;;#ASMSTART
	v_pk_mul_f32 v[2:3], v[4:5], v[2:3]
	;;#ASMEND
	s_and_b32 s17, s0, 0xffff
	s_mov_b32 s0, 0x7060302
	v_pk_add_f32 v[4:5], v[10:11], 1.0 op_sel_hi:[1,0]
	;;#ASMSTART
	v_pk_mul_f32 v[0:1], v[0:1], v[4:5]
	;;#ASMEND
	v_perm_b32 v2, v3, v2, s0
	v_perm_b32 v3, v1, v0, s0
	buffer_store_dwordx2 v[2:3], v6, s[16:19], 0 offen
	;;#ASMSTART
	s_nop 0
	;;#ASMEND
	s_endpgm
	.section	.rodata,"a",@progbits
	.p2align	6, 0x0
	.amdhsa_kernel _ZN5aiter35fused_qk_rmsnorm_group_quant_kernelItDB8_Li64ELi4ELi16ELb1ELb1ELb1ELb1ELb0ELb0EEEvPT0_PvPT_S6_S6_PKS5_S8_S8_S8_S8_ffiiiiiiiiiiiii
		.amdhsa_group_segment_fixed_size 0
		.amdhsa_private_segment_fixed_size 0
		.amdhsa_kernarg_size 400
		.amdhsa_user_sgpr_count 6
		.amdhsa_user_sgpr_private_segment_buffer 1
		.amdhsa_user_sgpr_dispatch_ptr 0
		.amdhsa_user_sgpr_queue_ptr 0
		.amdhsa_user_sgpr_kernarg_segment_ptr 1
		.amdhsa_user_sgpr_dispatch_id 0
		.amdhsa_user_sgpr_flat_scratch_init 0
		.amdhsa_user_sgpr_kernarg_preload_length 0
		.amdhsa_user_sgpr_kernarg_preload_offset 0
		.amdhsa_user_sgpr_private_segment_size 0
		.amdhsa_uses_dynamic_stack 0
		.amdhsa_system_sgpr_private_segment_wavefront_offset 0
		.amdhsa_system_sgpr_workgroup_id_x 1
		.amdhsa_system_sgpr_workgroup_id_y 1
		.amdhsa_system_sgpr_workgroup_id_z 0
		.amdhsa_system_sgpr_workgroup_info 0
		.amdhsa_system_vgpr_workitem_id 0
		.amdhsa_next_free_vgpr 16
		.amdhsa_next_free_sgpr 32
		.amdhsa_accum_offset 16
		.amdhsa_reserve_vcc 1
		.amdhsa_reserve_flat_scratch 0
		.amdhsa_float_round_mode_32 0
		.amdhsa_float_round_mode_16_64 0
		.amdhsa_float_denorm_mode_32 3
		.amdhsa_float_denorm_mode_16_64 3
		.amdhsa_dx10_clamp 1
		.amdhsa_ieee_mode 1
		.amdhsa_fp16_overflow 0
		.amdhsa_tg_split 0
		.amdhsa_exception_fp_ieee_invalid_op 0
		.amdhsa_exception_fp_denorm_src 0
		.amdhsa_exception_fp_ieee_div_zero 0
		.amdhsa_exception_fp_ieee_overflow 0
		.amdhsa_exception_fp_ieee_underflow 0
		.amdhsa_exception_fp_ieee_inexact 0
		.amdhsa_exception_int_div_zero 0
	.end_amdhsa_kernel
	.section	.text._ZN5aiter35fused_qk_rmsnorm_group_quant_kernelItDB8_Li64ELi4ELi16ELb1ELb1ELb1ELb1ELb0ELb0EEEvPT0_PvPT_S6_S6_PKS5_S8_S8_S8_S8_ffiiiiiiiiiiiii,"axG",@progbits,_ZN5aiter35fused_qk_rmsnorm_group_quant_kernelItDB8_Li64ELi4ELi16ELb1ELb1ELb1ELb1ELb0ELb0EEEvPT0_PvPT_S6_S6_PKS5_S8_S8_S8_S8_ffiiiiiiiiiiiii,comdat
.Lfunc_end266:
	.size	_ZN5aiter35fused_qk_rmsnorm_group_quant_kernelItDB8_Li64ELi4ELi16ELb1ELb1ELb1ELb1ELb0ELb0EEEvPT0_PvPT_S6_S6_PKS5_S8_S8_S8_S8_ffiiiiiiiiiiiii, .Lfunc_end266-_ZN5aiter35fused_qk_rmsnorm_group_quant_kernelItDB8_Li64ELi4ELi16ELb1ELb1ELb1ELb1ELb0ELb0EEEvPT0_PvPT_S6_S6_PKS5_S8_S8_S8_S8_ffiiiiiiiiiiiii
                                        ; -- End function
	.section	.AMDGPU.csdata,"",@progbits
; Kernel info:
; codeLenInByte = 1884
; NumSgprs: 36
; NumVgprs: 16
; NumAgprs: 0
; TotalNumVgprs: 16
; ScratchSize: 0
; MemoryBound: 0
; FloatMode: 240
; IeeeMode: 1
; LDSByteSize: 0 bytes/workgroup (compile time only)
; SGPRBlocks: 4
; VGPRBlocks: 1
; NumSGPRsForWavesPerEU: 36
; NumVGPRsForWavesPerEU: 16
; AccumOffset: 16
; Occupancy: 8
; WaveLimiterHint : 0
; COMPUTE_PGM_RSRC2:SCRATCH_EN: 0
; COMPUTE_PGM_RSRC2:USER_SGPR: 6
; COMPUTE_PGM_RSRC2:TRAP_HANDLER: 0
; COMPUTE_PGM_RSRC2:TGID_X_EN: 1
; COMPUTE_PGM_RSRC2:TGID_Y_EN: 1
; COMPUTE_PGM_RSRC2:TGID_Z_EN: 0
; COMPUTE_PGM_RSRC2:TIDIG_COMP_CNT: 0
; COMPUTE_PGM_RSRC3_GFX90A:ACCUM_OFFSET: 3
; COMPUTE_PGM_RSRC3_GFX90A:TG_SPLIT: 0
	.section	.text._ZN5aiter35fused_qk_rmsnorm_group_quant_kernelIDF16_DB8_Li64ELi4ELi16ELb1ELb1ELb0ELb1ELb0ELb0EEEvPT0_PvPT_S6_S6_PKS5_S8_S8_S8_S8_ffiiiiiiiiiiiii,"axG",@progbits,_ZN5aiter35fused_qk_rmsnorm_group_quant_kernelIDF16_DB8_Li64ELi4ELi16ELb1ELb1ELb0ELb1ELb0ELb0EEEvPT0_PvPT_S6_S6_PKS5_S8_S8_S8_S8_ffiiiiiiiiiiiii,comdat
	.protected	_ZN5aiter35fused_qk_rmsnorm_group_quant_kernelIDF16_DB8_Li64ELi4ELi16ELb1ELb1ELb0ELb1ELb0ELb0EEEvPT0_PvPT_S6_S6_PKS5_S8_S8_S8_S8_ffiiiiiiiiiiiii ; -- Begin function _ZN5aiter35fused_qk_rmsnorm_group_quant_kernelIDF16_DB8_Li64ELi4ELi16ELb1ELb1ELb0ELb1ELb0ELb0EEEvPT0_PvPT_S6_S6_PKS5_S8_S8_S8_S8_ffiiiiiiiiiiiii
	.globl	_ZN5aiter35fused_qk_rmsnorm_group_quant_kernelIDF16_DB8_Li64ELi4ELi16ELb1ELb1ELb0ELb1ELb0ELb0EEEvPT0_PvPT_S6_S6_PKS5_S8_S8_S8_S8_ffiiiiiiiiiiiii
	.p2align	8
	.type	_ZN5aiter35fused_qk_rmsnorm_group_quant_kernelIDF16_DB8_Li64ELi4ELi16ELb1ELb1ELb0ELb1ELb0ELb0EEEvPT0_PvPT_S6_S6_PKS5_S8_S8_S8_S8_ffiiiiiiiiiiiii,@function
_ZN5aiter35fused_qk_rmsnorm_group_quant_kernelIDF16_DB8_Li64ELi4ELi16ELb1ELb1ELb0ELb1ELb0ELb0EEEvPT0_PvPT_S6_S6_PKS5_S8_S8_S8_S8_ffiiiiiiiiiiiii: ; @_ZN5aiter35fused_qk_rmsnorm_group_quant_kernelIDF16_DB8_Li64ELi4ELi16ELb1ELb1ELb0ELb1ELb0ELb0EEEvPT0_PvPT_S6_S6_PKS5_S8_S8_S8_S8_ffiiiiiiiiiiiii
; %bb.0:
	s_load_dwordx8 s[8:15], s[4:5], 0x50
	s_waitcnt lgkmcnt(0)
	s_cmp_ge_i32 s6, s10
	s_cbranch_scc1 .LBB267_15
; %bb.1:
	s_cmp_lg_u32 s7, 0
	s_cselect_b64 s[18:19], -1, 0
	s_cmp_eq_u32 s7, 0
	s_cselect_b64 s[20:21], -1, 0
	s_and_b64 s[0:1], s[20:21], exec
	s_cselect_b32 s7, s11, s12
	s_load_dwordx2 s[2:3], s[4:5], 0x30
	s_load_dwordx2 s[16:17], s[4:5], 0x48
	s_add_i32 s0, s7, 1
	s_lshr_b32 s1, s0, 31
	s_add_i32 s0, s0, s1
	s_lshl_b32 s0, s0, 1
	v_lshlrev_b32_e32 v1, 2, v0
	s_and_b32 s26, s0, -4
	v_cmp_gt_i32_e64 s[0:1], s7, v1
	v_mov_b32_e32 v2, 0
	v_mov_b32_e32 v3, 0
	;; [unrolled: 1-line block ×4, first 2 shown]
	s_and_saveexec_b64 s[10:11], s[0:1]
	s_cbranch_execz .LBB267_3
; %bb.2:
	s_load_dwordx2 s[22:23], s[4:5], 0x28
	s_load_dwordx2 s[24:25], s[4:5], 0x40
	s_and_b64 s[28:29], s[20:21], exec
	s_cselect_b32 s13, s13, s14
	v_lshlrev_b32_e32 v4, 3, v0
	s_waitcnt lgkmcnt(0)
	s_cselect_b32 s27, s23, s3
	s_cselect_b32 s28, s22, s2
	s_mul_hi_i32 s23, s13, s6
	s_mul_i32 s22, s13, s6
	s_lshl_b64 s[22:23], s[22:23], 1
	s_add_u32 s28, s28, s22
	s_addc_u32 s13, s27, s23
	s_and_b64 s[20:21], s[20:21], exec
	s_mov_b32 s27, 0x20000
	s_cselect_b32 s24, s24, s16
	s_cselect_b32 s20, s25, s17
	s_and_b32 s29, s13, 0xffff
	s_mov_b32 s30, s26
	s_mov_b32 s31, s27
	s_and_b32 s25, s20, 0xffff
	buffer_load_dwordx2 v[8:9], v4, s[28:31], 0 offen glc slc
	buffer_load_dwordx2 v[2:3], v4, s[24:27], 0 offen
.LBB267_3:
	s_or_b64 exec, exec, s[10:11]
	s_load_dwordx4 s[20:23], s[4:5], 0x7c
	s_and_b64 vcc, exec, s[18:19]
	s_cbranch_vccz .LBB267_7
; %bb.4:
	v_mov_b32_e32 v7, 0
	v_mov_b32_e32 v6, 0
	;; [unrolled: 1-line block ×4, first 2 shown]
	s_and_saveexec_b64 s[10:11], s[0:1]
	s_cbranch_execz .LBB267_6
; %bb.5:
	s_waitcnt vmcnt(1)
	v_cvt_f32_f16_sdwa v5, v8 dst_sel:DWORD dst_unused:UNUSED_PAD src0_sel:WORD_1
	v_cvt_f32_f16_e32 v4, v8
	v_cvt_f32_f16_sdwa v7, v9 dst_sel:DWORD dst_unused:UNUSED_PAD src0_sel:WORD_1
	v_cvt_f32_f16_e32 v6, v9
.LBB267_6:
	s_or_b64 exec, exec, s[10:11]
	s_mov_b32 s13, s9
	s_cbranch_execz .LBB267_8
	s_branch .LBB267_11
.LBB267_7:
                                        ; implicit-def: $vgpr7
                                        ; implicit-def: $vgpr5
	s_mov_b32 s13, s9
.LBB267_8:
	v_mov_b32_e32 v7, 0
	v_mov_b32_e32 v6, 0
	;; [unrolled: 1-line block ×4, first 2 shown]
	s_and_saveexec_b64 s[10:11], s[0:1]
	s_cbranch_execz .LBB267_10
; %bb.9:
	s_load_dwordx2 s[24:25], s[4:5], 0x38
	s_mul_hi_i32 s29, s15, s6
	s_mul_i32 s28, s15, s6
	s_lshl_b64 s[28:29], s[28:29], 1
	s_mov_b32 s27, 0x20000
	s_waitcnt lgkmcnt(0)
	s_add_u32 s24, s24, s28
	s_addc_u32 s13, s25, s29
	s_and_b32 s25, s13, 0xffff
	v_lshlrev_b32_e32 v14, 3, v0
	buffer_load_dwordx2 v[4:5], v14, s[24:27], 0 offen glc slc
	s_waitcnt vmcnt(2)
	v_cvt_f32_f16_sdwa v7, v8 dst_sel:DWORD dst_unused:UNUSED_PAD src0_sel:WORD_1
	v_cvt_f32_f16_e32 v6, v8
	v_cvt_f32_f16_sdwa v11, v9 dst_sel:DWORD dst_unused:UNUSED_PAD src0_sel:WORD_1
	v_cvt_f32_f16_e32 v10, v9
	s_load_dwordx2 s[24:25], s[4:5], 0x20
	s_mul_hi_i32 s23, s22, s6
	s_mul_i32 s22, s22, s6
	s_lshl_b64 s[22:23], s[22:23], 1
	s_waitcnt lgkmcnt(0)
	s_add_u32 s24, s24, s22
	s_addc_u32 s13, s25, s23
	s_and_b32 s25, s13, 0xffff
	s_waitcnt vmcnt(0)
	v_cvt_f32_f16_e32 v8, v4
	v_cvt_f32_f16_sdwa v9, v4 dst_sel:DWORD dst_unused:UNUSED_PAD src0_sel:WORD_1
	v_cvt_f32_f16_e32 v12, v5
	v_cvt_f32_f16_sdwa v13, v5 dst_sel:DWORD dst_unused:UNUSED_PAD src0_sel:WORD_1
	v_pk_add_f32 v[4:5], v[6:7], v[8:9]
	v_cvt_f16_f32_e32 v8, v5
	v_pk_add_f32 v[6:7], v[10:11], v[12:13]
	v_cvt_f16_f32_e32 v9, v7
	v_cvt_f16_f32_e32 v10, v6
	;; [unrolled: 1-line block ×3, first 2 shown]
	v_pack_b32_f16 v9, v10, v9
	v_pack_b32_f16 v8, v11, v8
	buffer_store_dwordx2 v[8:9], v14, s[24:27], 0 offen glc slc
	;;#ASMSTART
	s_nop 0
	;;#ASMEND
.LBB267_10:
	s_or_b64 exec, exec, s[10:11]
	s_mov_b32 s13, s8
.LBB267_11:
	s_waitcnt vmcnt(1)
	v_mul_f32_e32 v8, v5, v5
	v_fmac_f32_e32 v8, v4, v4
	v_fmac_f32_e32 v8, v6, v6
	;; [unrolled: 1-line block ×3, first 2 shown]
	v_bfrev_b32_e32 v10, 0.5
	s_load_dwordx2 s[10:11], s[4:5], 0x18
	v_mov_b32_dpp v9, v8 quad_perm:[1,0,3,2] row_mask:0xf bank_mask:0xf
	v_add_f32_e32 v8, v8, v9
	s_nop 1
	v_mov_b32_dpp v9, v8 quad_perm:[2,3,0,1] row_mask:0xf bank_mask:0xf
	v_add_f32_e32 v8, v8, v9
	s_nop 1
	v_mov_b32_dpp v9, v8 row_half_mirror row_mask:0xf bank_mask:0xf
	v_add_f32_e32 v8, v8, v9
	s_nop 1
	v_mov_b32_dpp v9, v8 row_mirror row_mask:0xf bank_mask:0xf
	v_add_f32_e32 v8, v8, v9
	s_nop 1
	v_mov_b32_dpp v9, v8 row_bcast:15 row_mask:0xf bank_mask:0xf
	v_add_f32_e32 v8, v8, v9
	s_nop 1
	v_mov_b32_dpp v9, v8 row_bcast:31 row_mask:0xf bank_mask:0xf
	v_add_f32_e32 v9, v8, v9
	v_mbcnt_lo_u32_b32 v8, -1, 0
	v_mbcnt_hi_u32_b32 v8, -1, v8
	v_lshl_or_b32 v8, v8, 2, v10
	ds_bpermute_b32 v9, v8, v9
	s_waitcnt lgkmcnt(0)
	s_and_saveexec_b64 s[22:23], s[0:1]
	s_cbranch_execnz .LBB267_16
; %bb.12:
	s_or_b64 exec, exec, s[22:23]
	s_mov_b64 s[22:23], -1
	s_and_b64 vcc, exec, s[18:19]
	s_cbranch_vccnz .LBB267_17
.LBB267_13:
	s_andn2_b64 vcc, exec, s[22:23]
	s_cbranch_vccz .LBB267_20
.LBB267_14:
	s_cmp_lt_i32 s12, 1
	s_cbranch_scc0 .LBB267_23
.LBB267_15:
	s_endpgm
.LBB267_16:
	v_cvt_f32_u32_e32 v10, s7
	s_mov_b32 s7, 0x800000
	v_div_scale_f32 v11, s[24:25], v10, v10, v9
	v_rcp_f32_e32 v12, v11
	v_div_scale_f32 v13, vcc, v9, v10, v9
	v_fma_f32 v14, -v11, v12, 1.0
	v_fmac_f32_e32 v12, v14, v12
	v_mul_f32_e32 v14, v13, v12
	v_fma_f32 v15, -v11, v14, v13
	v_fmac_f32_e32 v14, v15, v12
	v_fma_f32 v11, -v11, v14, v13
	v_div_fmas_f32 v11, v11, v12, v14
	v_div_fixup_f32 v9, v11, v10, v9
	v_add_f32_e32 v9, s13, v9
	v_mul_f32_e32 v10, 0x4b800000, v9
	v_cmp_gt_f32_e32 vcc, s7, v9
	v_cndmask_b32_e32 v9, v9, v10, vcc
	v_rsq_f32_e32 v9, v9
	s_waitcnt vmcnt(0)
	v_cvt_f32_f16_sdwa v11, v2 dst_sel:DWORD dst_unused:UNUSED_PAD src0_sel:WORD_1
	v_cvt_f32_f16_e32 v10, v2
	v_cvt_f32_f16_sdwa v13, v3 dst_sel:DWORD dst_unused:UNUSED_PAD src0_sel:WORD_1
	v_mul_f32_e32 v2, 0x45800000, v9
	v_cndmask_b32_e32 v14, v9, v2, vcc
	v_mov_b32_e32 v15, v14
	v_cvt_f32_f16_e32 v12, v3
	;;#ASMSTART
	v_pk_mul_f32 v[2:3], v[4:5], v[14:15]
	;;#ASMEND
	;;#ASMSTART
	v_pk_mul_f32 v[6:7], v[6:7], v[14:15]
	;;#ASMEND
	;; [unrolled: 3-line block ×4, first 2 shown]
	s_or_b64 exec, exec, s[22:23]
	s_mov_b64 s[22:23], -1
	s_and_b64 vcc, exec, s[18:19]
	s_cbranch_vccz .LBB267_13
.LBB267_17:
	s_and_saveexec_b64 s[18:19], s[0:1]
	s_cbranch_execz .LBB267_19
; %bb.18:
	s_mul_hi_i32 s23, s21, s6
	s_mul_i32 s22, s21, s6
	s_waitcnt vmcnt(0)
	v_cvt_f16_f32_e32 v2, v4
	v_cvt_f16_f32_e32 v3, v6
	;; [unrolled: 1-line block ×4, first 2 shown]
	s_lshl_b64 s[22:23], s[22:23], 1
	s_add_u32 s24, s10, s22
	s_addc_u32 s7, s11, s23
	s_and_b32 s25, s7, 0xffff
	s_mov_b32 s27, 0x20000
	v_pack_b32_f16 v3, v3, v9
	v_pack_b32_f16 v2, v2, v10
	v_lshlrev_b32_e32 v9, 3, v0
	buffer_store_dwordx2 v[2:3], v9, s[24:27], 0 offen
	;;#ASMSTART
	s_nop 0
	;;#ASMEND
.LBB267_19:
	s_or_b64 exec, exec, s[18:19]
	s_cbranch_execnz .LBB267_14
.LBB267_20:
	s_and_saveexec_b64 s[18:19], s[0:1]
	s_cbranch_execz .LBB267_22
; %bb.21:
	s_load_dwordx2 s[0:1], s[4:5], 0x10
	s_mul_hi_i32 s23, s20, s6
	s_mul_i32 s22, s20, s6
	s_waitcnt vmcnt(0)
	v_cvt_f16_f32_e32 v2, v4
	v_cvt_f16_f32_e32 v3, v6
	;; [unrolled: 1-line block ×4, first 2 shown]
	s_lshl_b64 s[22:23], s[22:23], 1
	s_waitcnt lgkmcnt(0)
	s_add_u32 s24, s0, s22
	s_addc_u32 s0, s1, s23
	s_and_b32 s25, s0, 0xffff
	s_mov_b32 s27, 0x20000
	v_pack_b32_f16 v3, v3, v4
	v_pack_b32_f16 v2, v2, v5
	v_lshlrev_b32_e32 v4, 3, v0
	buffer_store_dwordx2 v[2:3], v4, s[24:27], 0 offen
	;;#ASMSTART
	s_nop 0
	;;#ASMEND
.LBB267_22:
	s_or_b64 exec, exec, s[18:19]
	s_cmp_lt_i32 s12, 1
	s_cbranch_scc1 .LBB267_15
.LBB267_23:
	s_load_dword s0, s[4:5], 0x94
	s_waitcnt lgkmcnt(0)
	s_cmp_lg_u32 s0, 1
	s_cbranch_scc1 .LBB267_15
; %bb.24:
	s_lshl_b32 s0, s12, 1
	s_add_i32 s0, s0, 2
	v_cmp_gt_u32_e32 vcc, s12, v1
	s_and_b32 s18, s0, -4
	s_waitcnt vmcnt(0)
	v_mov_b32_e32 v2, 0
	v_lshlrev_b32_e32 v6, 3, v0
	v_mov_b32_e32 v3, 0
	v_mov_b32_e32 v0, 0
	;; [unrolled: 1-line block ×3, first 2 shown]
	s_barrier
	s_and_saveexec_b64 s[0:1], vcc
	s_cbranch_execz .LBB267_26
; %bb.25:
	s_mul_hi_i32 s5, s14, s6
	s_mul_i32 s4, s14, s6
	s_and_b32 s17, s17, 0xffff
	s_lshl_b64 s[4:5], s[4:5], 1
	s_add_u32 s24, s2, s4
	s_mov_b32 s19, 0x20000
	s_addc_u32 s2, s3, s5
	s_and_b32 s25, s2, 0xffff
	s_mov_b32 s26, s18
	s_mov_b32 s27, s19
	buffer_load_dwordx2 v[2:3], v6, s[24:27], 0 offen glc slc
	buffer_load_dwordx2 v[0:1], v6, s[16:19], 0 offen
.LBB267_26:
	s_or_b64 exec, exec, s[0:1]
	s_waitcnt vmcnt(1)
	v_cvt_f32_f16_e32 v4, v3
	v_cvt_f32_f16_e32 v5, v2
	v_cvt_f32_f16_sdwa v7, v2 dst_sel:DWORD dst_unused:UNUSED_PAD src0_sel:WORD_1
	v_cvt_f32_f16_sdwa v3, v3 dst_sel:DWORD dst_unused:UNUSED_PAD src0_sel:WORD_1
	v_cndmask_b32_e32 v2, 0, v4, vcc
	v_cndmask_b32_e32 v4, 0, v5, vcc
	;; [unrolled: 1-line block ×3, first 2 shown]
	v_mul_f32_e32 v7, v5, v5
	v_fmac_f32_e32 v7, v4, v4
	v_cndmask_b32_e32 v3, 0, v3, vcc
	v_fmac_f32_e32 v7, v2, v2
	v_fmac_f32_e32 v7, v3, v3
	s_nop 1
	v_mov_b32_dpp v9, v7 quad_perm:[1,0,3,2] row_mask:0xf bank_mask:0xf
	v_add_f32_e32 v7, v7, v9
	s_nop 1
	v_mov_b32_dpp v9, v7 quad_perm:[2,3,0,1] row_mask:0xf bank_mask:0xf
	v_add_f32_e32 v7, v7, v9
	s_nop 1
	v_mov_b32_dpp v9, v7 row_half_mirror row_mask:0xf bank_mask:0xf
	v_add_f32_e32 v7, v7, v9
	s_nop 1
	v_mov_b32_dpp v9, v7 row_mirror row_mask:0xf bank_mask:0xf
	v_add_f32_e32 v7, v7, v9
	s_nop 1
	v_mov_b32_dpp v9, v7 row_bcast:15 row_mask:0xf bank_mask:0xf
	v_add_f32_e32 v7, v7, v9
	s_nop 1
	v_mov_b32_dpp v9, v7 row_bcast:31 row_mask:0xf bank_mask:0xf
	v_add_f32_e32 v7, v7, v9
	ds_bpermute_b32 v7, v8, v7
	s_and_saveexec_b64 s[0:1], vcc
	s_cbranch_execz .LBB267_15
; %bb.27:
	v_cvt_f32_u32_e32 v8, s12
	s_mov_b32 s19, 0x20000
	s_waitcnt lgkmcnt(0)
	v_div_scale_f32 v9, s[0:1], v8, v8, v7
	v_rcp_f32_e32 v10, v9
	v_div_scale_f32 v11, vcc, v7, v8, v7
	s_mov_b32 s0, 0x800000
	v_fma_f32 v12, -v9, v10, 1.0
	v_fmac_f32_e32 v10, v12, v10
	v_mul_f32_e32 v12, v11, v10
	v_fma_f32 v13, -v9, v12, v11
	v_fmac_f32_e32 v12, v13, v10
	v_fma_f32 v9, -v9, v12, v11
	v_div_fmas_f32 v9, v9, v10, v12
	v_div_fixup_f32 v7, v9, v8, v7
	v_add_f32_e32 v7, s9, v7
	v_mul_f32_e32 v8, 0x4b800000, v7
	v_cmp_gt_f32_e32 vcc, s0, v7
	v_cndmask_b32_e32 v7, v7, v8, vcc
	v_rsq_f32_e32 v7, v7
	s_waitcnt vmcnt(0)
	v_cvt_f32_f16_sdwa v9, v0 dst_sel:DWORD dst_unused:UNUSED_PAD src0_sel:WORD_1
	v_cvt_f32_f16_e32 v8, v0
	v_cvt_f32_f16_sdwa v11, v1 dst_sel:DWORD dst_unused:UNUSED_PAD src0_sel:WORD_1
	v_mul_f32_e32 v0, 0x45800000, v7
	v_cndmask_b32_e32 v12, v7, v0, vcc
	v_mov_b32_e32 v13, v12
	v_cvt_f32_f16_e32 v10, v1
	;;#ASMSTART
	v_pk_mul_f32 v[0:1], v[4:5], v[12:13]
	;;#ASMEND
	;;#ASMSTART
	v_pk_mul_f32 v[2:3], v[2:3], v[12:13]
	;;#ASMEND
	;; [unrolled: 3-line block ×4, first 2 shown]
	s_mul_hi_i32 s1, s21, s6
	s_mul_i32 s0, s21, s6
	v_cvt_f16_f32_e32 v0, v0
	v_cvt_f16_f32_e32 v1, v1
	;; [unrolled: 1-line block ×4, first 2 shown]
	s_lshl_b64 s[0:1], s[0:1], 1
	s_add_u32 s16, s10, s0
	s_addc_u32 s0, s11, s1
	s_and_b32 s17, s0, 0xffff
	v_pack_b32_f16 v0, v0, v1
	v_pack_b32_f16 v1, v2, v3
	buffer_store_dwordx2 v[0:1], v6, s[16:19], 0 offen
	;;#ASMSTART
	s_nop 0
	;;#ASMEND
	s_endpgm
	.section	.rodata,"a",@progbits
	.p2align	6, 0x0
	.amdhsa_kernel _ZN5aiter35fused_qk_rmsnorm_group_quant_kernelIDF16_DB8_Li64ELi4ELi16ELb1ELb1ELb0ELb1ELb0ELb0EEEvPT0_PvPT_S6_S6_PKS5_S8_S8_S8_S8_ffiiiiiiiiiiiii
		.amdhsa_group_segment_fixed_size 0
		.amdhsa_private_segment_fixed_size 0
		.amdhsa_kernarg_size 400
		.amdhsa_user_sgpr_count 6
		.amdhsa_user_sgpr_private_segment_buffer 1
		.amdhsa_user_sgpr_dispatch_ptr 0
		.amdhsa_user_sgpr_queue_ptr 0
		.amdhsa_user_sgpr_kernarg_segment_ptr 1
		.amdhsa_user_sgpr_dispatch_id 0
		.amdhsa_user_sgpr_flat_scratch_init 0
		.amdhsa_user_sgpr_kernarg_preload_length 0
		.amdhsa_user_sgpr_kernarg_preload_offset 0
		.amdhsa_user_sgpr_private_segment_size 0
		.amdhsa_uses_dynamic_stack 0
		.amdhsa_system_sgpr_private_segment_wavefront_offset 0
		.amdhsa_system_sgpr_workgroup_id_x 1
		.amdhsa_system_sgpr_workgroup_id_y 1
		.amdhsa_system_sgpr_workgroup_id_z 0
		.amdhsa_system_sgpr_workgroup_info 0
		.amdhsa_system_vgpr_workitem_id 0
		.amdhsa_next_free_vgpr 16
		.amdhsa_next_free_sgpr 32
		.amdhsa_accum_offset 16
		.amdhsa_reserve_vcc 1
		.amdhsa_reserve_flat_scratch 0
		.amdhsa_float_round_mode_32 0
		.amdhsa_float_round_mode_16_64 0
		.amdhsa_float_denorm_mode_32 3
		.amdhsa_float_denorm_mode_16_64 3
		.amdhsa_dx10_clamp 1
		.amdhsa_ieee_mode 1
		.amdhsa_fp16_overflow 0
		.amdhsa_tg_split 0
		.amdhsa_exception_fp_ieee_invalid_op 0
		.amdhsa_exception_fp_denorm_src 0
		.amdhsa_exception_fp_ieee_div_zero 0
		.amdhsa_exception_fp_ieee_overflow 0
		.amdhsa_exception_fp_ieee_underflow 0
		.amdhsa_exception_fp_ieee_inexact 0
		.amdhsa_exception_int_div_zero 0
	.end_amdhsa_kernel
	.section	.text._ZN5aiter35fused_qk_rmsnorm_group_quant_kernelIDF16_DB8_Li64ELi4ELi16ELb1ELb1ELb0ELb1ELb0ELb0EEEvPT0_PvPT_S6_S6_PKS5_S8_S8_S8_S8_ffiiiiiiiiiiiii,"axG",@progbits,_ZN5aiter35fused_qk_rmsnorm_group_quant_kernelIDF16_DB8_Li64ELi4ELi16ELb1ELb1ELb0ELb1ELb0ELb0EEEvPT0_PvPT_S6_S6_PKS5_S8_S8_S8_S8_ffiiiiiiiiiiiii,comdat
.Lfunc_end267:
	.size	_ZN5aiter35fused_qk_rmsnorm_group_quant_kernelIDF16_DB8_Li64ELi4ELi16ELb1ELb1ELb0ELb1ELb0ELb0EEEvPT0_PvPT_S6_S6_PKS5_S8_S8_S8_S8_ffiiiiiiiiiiiii, .Lfunc_end267-_ZN5aiter35fused_qk_rmsnorm_group_quant_kernelIDF16_DB8_Li64ELi4ELi16ELb1ELb1ELb0ELb1ELb0ELb0EEEvPT0_PvPT_S6_S6_PKS5_S8_S8_S8_S8_ffiiiiiiiiiiiii
                                        ; -- End function
	.section	.AMDGPU.csdata,"",@progbits
; Kernel info:
; codeLenInByte = 1808
; NumSgprs: 36
; NumVgprs: 16
; NumAgprs: 0
; TotalNumVgprs: 16
; ScratchSize: 0
; MemoryBound: 0
; FloatMode: 240
; IeeeMode: 1
; LDSByteSize: 0 bytes/workgroup (compile time only)
; SGPRBlocks: 4
; VGPRBlocks: 1
; NumSGPRsForWavesPerEU: 36
; NumVGPRsForWavesPerEU: 16
; AccumOffset: 16
; Occupancy: 8
; WaveLimiterHint : 0
; COMPUTE_PGM_RSRC2:SCRATCH_EN: 0
; COMPUTE_PGM_RSRC2:USER_SGPR: 6
; COMPUTE_PGM_RSRC2:TRAP_HANDLER: 0
; COMPUTE_PGM_RSRC2:TGID_X_EN: 1
; COMPUTE_PGM_RSRC2:TGID_Y_EN: 1
; COMPUTE_PGM_RSRC2:TGID_Z_EN: 0
; COMPUTE_PGM_RSRC2:TIDIG_COMP_CNT: 0
; COMPUTE_PGM_RSRC3_GFX90A:ACCUM_OFFSET: 3
; COMPUTE_PGM_RSRC3_GFX90A:TG_SPLIT: 0
	.section	.text._ZN5aiter35fused_qk_rmsnorm_group_quant_kernelItDB8_Li64ELi4ELi16ELb1ELb1ELb0ELb1ELb0ELb0EEEvPT0_PvPT_S6_S6_PKS5_S8_S8_S8_S8_ffiiiiiiiiiiiii,"axG",@progbits,_ZN5aiter35fused_qk_rmsnorm_group_quant_kernelItDB8_Li64ELi4ELi16ELb1ELb1ELb0ELb1ELb0ELb0EEEvPT0_PvPT_S6_S6_PKS5_S8_S8_S8_S8_ffiiiiiiiiiiiii,comdat
	.protected	_ZN5aiter35fused_qk_rmsnorm_group_quant_kernelItDB8_Li64ELi4ELi16ELb1ELb1ELb0ELb1ELb0ELb0EEEvPT0_PvPT_S6_S6_PKS5_S8_S8_S8_S8_ffiiiiiiiiiiiii ; -- Begin function _ZN5aiter35fused_qk_rmsnorm_group_quant_kernelItDB8_Li64ELi4ELi16ELb1ELb1ELb0ELb1ELb0ELb0EEEvPT0_PvPT_S6_S6_PKS5_S8_S8_S8_S8_ffiiiiiiiiiiiii
	.globl	_ZN5aiter35fused_qk_rmsnorm_group_quant_kernelItDB8_Li64ELi4ELi16ELb1ELb1ELb0ELb1ELb0ELb0EEEvPT0_PvPT_S6_S6_PKS5_S8_S8_S8_S8_ffiiiiiiiiiiiii
	.p2align	8
	.type	_ZN5aiter35fused_qk_rmsnorm_group_quant_kernelItDB8_Li64ELi4ELi16ELb1ELb1ELb0ELb1ELb0ELb0EEEvPT0_PvPT_S6_S6_PKS5_S8_S8_S8_S8_ffiiiiiiiiiiiii,@function
_ZN5aiter35fused_qk_rmsnorm_group_quant_kernelItDB8_Li64ELi4ELi16ELb1ELb1ELb0ELb1ELb0ELb0EEEvPT0_PvPT_S6_S6_PKS5_S8_S8_S8_S8_ffiiiiiiiiiiiii: ; @_ZN5aiter35fused_qk_rmsnorm_group_quant_kernelItDB8_Li64ELi4ELi16ELb1ELb1ELb0ELb1ELb0ELb0EEEvPT0_PvPT_S6_S6_PKS5_S8_S8_S8_S8_ffiiiiiiiiiiiii
; %bb.0:
	s_load_dwordx8 s[8:15], s[4:5], 0x50
	s_waitcnt lgkmcnt(0)
	s_cmp_ge_i32 s6, s10
	s_cbranch_scc1 .LBB268_15
; %bb.1:
	s_cmp_lg_u32 s7, 0
	s_cselect_b64 s[18:19], -1, 0
	s_cmp_eq_u32 s7, 0
	s_cselect_b64 s[20:21], -1, 0
	s_and_b64 s[0:1], s[20:21], exec
	s_cselect_b32 s7, s11, s12
	s_load_dwordx2 s[2:3], s[4:5], 0x30
	s_load_dwordx2 s[16:17], s[4:5], 0x48
	s_add_i32 s0, s7, 1
	s_lshr_b32 s1, s0, 31
	s_add_i32 s0, s0, s1
	s_lshl_b32 s0, s0, 1
	v_lshlrev_b32_e32 v1, 2, v0
	s_and_b32 s26, s0, -4
	v_cmp_gt_i32_e64 s[0:1], s7, v1
	v_mov_b32_e32 v6, 0
	v_mov_b32_e32 v7, 0
	;; [unrolled: 1-line block ×4, first 2 shown]
	s_and_saveexec_b64 s[10:11], s[0:1]
	s_cbranch_execz .LBB268_3
; %bb.2:
	s_load_dwordx2 s[22:23], s[4:5], 0x28
	s_load_dwordx2 s[24:25], s[4:5], 0x40
	s_and_b64 s[28:29], s[20:21], exec
	s_cselect_b32 s13, s13, s14
	v_lshlrev_b32_e32 v2, 3, v0
	s_waitcnt lgkmcnt(0)
	s_cselect_b32 s27, s23, s3
	s_cselect_b32 s28, s22, s2
	s_mul_hi_i32 s23, s13, s6
	s_mul_i32 s22, s13, s6
	s_lshl_b64 s[22:23], s[22:23], 1
	s_add_u32 s28, s28, s22
	s_addc_u32 s13, s27, s23
	s_and_b64 s[20:21], s[20:21], exec
	s_mov_b32 s27, 0x20000
	s_cselect_b32 s24, s24, s16
	s_cselect_b32 s20, s25, s17
	s_and_b32 s29, s13, 0xffff
	s_mov_b32 s30, s26
	s_mov_b32 s31, s27
	s_and_b32 s25, s20, 0xffff
	buffer_load_dwordx2 v[8:9], v2, s[28:31], 0 offen glc slc
	buffer_load_dwordx2 v[6:7], v2, s[24:27], 0 offen
.LBB268_3:
	s_or_b64 exec, exec, s[10:11]
	s_load_dwordx4 s[20:23], s[4:5], 0x7c
	s_and_b64 vcc, exec, s[18:19]
	s_cbranch_vccz .LBB268_7
; %bb.4:
	s_mov_b32 s28, 0
	s_mov_b32 s29, s28
	s_mov_b32 s30, s28
	s_mov_b32 s31, s28
	v_pk_mov_b32 v[2:3], s[28:29], s[28:29] op_sel:[0,1]
	v_pk_mov_b32 v[4:5], s[30:31], s[30:31] op_sel:[0,1]
	s_and_saveexec_b64 s[10:11], s[0:1]
	s_cbranch_execz .LBB268_6
; %bb.5:
	s_waitcnt vmcnt(1)
	v_cvt_f32_u32_sdwa v3, v8 dst_sel:DWORD dst_unused:UNUSED_PAD src0_sel:WORD_1
	v_cvt_f32_u32_sdwa v2, v8 dst_sel:DWORD dst_unused:UNUSED_PAD src0_sel:WORD_0
	v_cvt_f32_u32_sdwa v5, v9 dst_sel:DWORD dst_unused:UNUSED_PAD src0_sel:WORD_1
	v_cvt_f32_u32_sdwa v4, v9 dst_sel:DWORD dst_unused:UNUSED_PAD src0_sel:WORD_0
.LBB268_6:
	s_or_b64 exec, exec, s[10:11]
	s_mov_b32 s13, s9
	s_cbranch_execz .LBB268_8
	s_branch .LBB268_11
.LBB268_7:
                                        ; implicit-def: $vgpr2_vgpr3_vgpr4_vgpr5
	s_mov_b32 s13, s9
.LBB268_8:
	s_mov_b32 s28, 0
	s_mov_b32 s29, s28
	;; [unrolled: 1-line block ×4, first 2 shown]
	v_pk_mov_b32 v[2:3], s[28:29], s[28:29] op_sel:[0,1]
	v_pk_mov_b32 v[4:5], s[30:31], s[30:31] op_sel:[0,1]
	s_and_saveexec_b64 s[10:11], s[0:1]
	s_cbranch_execz .LBB268_10
; %bb.9:
	s_load_dwordx2 s[24:25], s[4:5], 0x38
	s_mul_hi_i32 s29, s15, s6
	s_mul_i32 s28, s15, s6
	s_lshl_b64 s[28:29], s[28:29], 1
	s_mov_b32 s27, 0x20000
	s_waitcnt lgkmcnt(0)
	s_add_u32 s24, s24, s28
	s_addc_u32 s13, s25, s29
	s_and_b32 s25, s13, 0xffff
	v_lshlrev_b32_e32 v14, 3, v0
	buffer_load_dwordx2 v[2:3], v14, s[24:27], 0 offen glc slc
	s_load_dwordx2 s[24:25], s[4:5], 0x20
	s_waitcnt vmcnt(2)
	v_cvt_f32_u32_sdwa v5, v8 dst_sel:DWORD dst_unused:UNUSED_PAD src0_sel:WORD_1
	v_cvt_f32_u32_sdwa v4, v8 dst_sel:DWORD dst_unused:UNUSED_PAD src0_sel:WORD_0
	v_cvt_f32_u32_sdwa v11, v9 dst_sel:DWORD dst_unused:UNUSED_PAD src0_sel:WORD_1
	v_cvt_f32_u32_sdwa v10, v9 dst_sel:DWORD dst_unused:UNUSED_PAD src0_sel:WORD_0
	s_mul_hi_i32 s23, s22, s6
	s_mul_i32 s22, s22, s6
	s_lshl_b64 s[22:23], s[22:23], 1
	s_waitcnt lgkmcnt(0)
	s_add_u32 s24, s24, s22
	s_mov_b32 s13, 0x7060302
	s_addc_u32 s15, s25, s23
	s_and_b32 s25, s15, 0xffff
	s_waitcnt vmcnt(0)
	v_cvt_f32_u32_sdwa v9, v2 dst_sel:DWORD dst_unused:UNUSED_PAD src0_sel:WORD_1
	v_cvt_f32_u32_sdwa v8, v2 dst_sel:DWORD dst_unused:UNUSED_PAD src0_sel:WORD_0
	v_cvt_f32_u32_sdwa v13, v3 dst_sel:DWORD dst_unused:UNUSED_PAD src0_sel:WORD_1
	v_cvt_f32_u32_sdwa v12, v3 dst_sel:DWORD dst_unused:UNUSED_PAD src0_sel:WORD_0
	v_pk_add_f32 v[2:3], v[4:5], v[8:9]
	v_perm_b32 v8, v3, v2, s13
	v_pk_add_f32 v[4:5], v[10:11], v[12:13]
	v_perm_b32 v9, v5, v4, s13
	buffer_store_dwordx2 v[8:9], v14, s[24:27], 0 offen glc slc
	;;#ASMSTART
	s_nop 0
	;;#ASMEND
.LBB268_10:
	s_or_b64 exec, exec, s[10:11]
	s_mov_b32 s13, s8
.LBB268_11:
	s_waitcnt vmcnt(1)
	v_mul_f32_e32 v8, v3, v3
	v_fmac_f32_e32 v8, v2, v2
	v_fmac_f32_e32 v8, v4, v4
	;; [unrolled: 1-line block ×3, first 2 shown]
	v_bfrev_b32_e32 v10, 0.5
	s_load_dwordx2 s[10:11], s[4:5], 0x18
	v_mov_b32_dpp v9, v8 quad_perm:[1,0,3,2] row_mask:0xf bank_mask:0xf
	v_add_f32_e32 v8, v8, v9
	s_nop 1
	v_mov_b32_dpp v9, v8 quad_perm:[2,3,0,1] row_mask:0xf bank_mask:0xf
	v_add_f32_e32 v8, v8, v9
	s_nop 1
	v_mov_b32_dpp v9, v8 row_half_mirror row_mask:0xf bank_mask:0xf
	v_add_f32_e32 v8, v8, v9
	s_nop 1
	v_mov_b32_dpp v9, v8 row_mirror row_mask:0xf bank_mask:0xf
	v_add_f32_e32 v8, v8, v9
	s_nop 1
	v_mov_b32_dpp v9, v8 row_bcast:15 row_mask:0xf bank_mask:0xf
	v_add_f32_e32 v8, v8, v9
	s_nop 1
	v_mov_b32_dpp v9, v8 row_bcast:31 row_mask:0xf bank_mask:0xf
	v_add_f32_e32 v9, v8, v9
	v_mbcnt_lo_u32_b32 v8, -1, 0
	v_mbcnt_hi_u32_b32 v8, -1, v8
	v_lshl_or_b32 v8, v8, 2, v10
	ds_bpermute_b32 v9, v8, v9
	s_waitcnt lgkmcnt(0)
	s_and_saveexec_b64 s[22:23], s[0:1]
	s_cbranch_execnz .LBB268_16
; %bb.12:
	s_or_b64 exec, exec, s[22:23]
	s_mov_b64 s[22:23], -1
	s_and_b64 vcc, exec, s[18:19]
	s_cbranch_vccnz .LBB268_17
.LBB268_13:
	s_andn2_b64 vcc, exec, s[22:23]
	s_cbranch_vccz .LBB268_20
.LBB268_14:
	s_cmp_lt_i32 s12, 1
	s_cbranch_scc0 .LBB268_23
.LBB268_15:
	s_endpgm
.LBB268_16:
	v_cvt_f32_u32_e32 v10, s7
	s_mov_b32 s7, 0x800000
	v_div_scale_f32 v11, s[24:25], v10, v10, v9
	v_rcp_f32_e32 v12, v11
	v_div_scale_f32 v13, vcc, v9, v10, v9
	v_fma_f32 v14, -v11, v12, 1.0
	v_fmac_f32_e32 v12, v14, v12
	v_mul_f32_e32 v14, v13, v12
	v_fma_f32 v15, -v11, v14, v13
	v_fmac_f32_e32 v14, v15, v12
	v_fma_f32 v11, -v11, v14, v13
	v_div_fmas_f32 v11, v11, v12, v14
	v_div_fixup_f32 v9, v11, v10, v9
	v_add_f32_e32 v9, s13, v9
	v_mul_f32_e32 v10, 0x4b800000, v9
	v_cmp_gt_f32_e32 vcc, s7, v9
	v_cndmask_b32_e32 v9, v9, v10, vcc
	v_rsq_f32_e32 v9, v9
	s_waitcnt vmcnt(0)
	v_cvt_f32_u32_sdwa v11, v6 dst_sel:DWORD dst_unused:UNUSED_PAD src0_sel:WORD_1
	v_cvt_f32_u32_sdwa v10, v6 dst_sel:DWORD dst_unused:UNUSED_PAD src0_sel:WORD_0
	v_cvt_f32_u32_sdwa v13, v7 dst_sel:DWORD dst_unused:UNUSED_PAD src0_sel:WORD_1
	v_mul_f32_e32 v6, 0x45800000, v9
	v_cndmask_b32_e32 v14, v9, v6, vcc
	v_mov_b32_e32 v15, v14
	;;#ASMSTART
	v_pk_mul_f32 v[2:3], v[2:3], v[14:15]
	;;#ASMEND
	;;#ASMSTART
	v_pk_mul_f32 v[4:5], v[4:5], v[14:15]
	;;#ASMEND
	v_cvt_f32_u32_sdwa v12, v7 dst_sel:DWORD dst_unused:UNUSED_PAD src0_sel:WORD_0
	;;#ASMSTART
	v_pk_mul_f32 v[2:3], v[2:3], v[10:11]
	;;#ASMEND
	;;#ASMSTART
	v_pk_mul_f32 v[4:5], v[4:5], v[12:13]
	;;#ASMEND
	s_or_b64 exec, exec, s[22:23]
	s_mov_b64 s[22:23], -1
	s_and_b64 vcc, exec, s[18:19]
	s_cbranch_vccz .LBB268_13
.LBB268_17:
	s_and_saveexec_b64 s[18:19], s[0:1]
	s_cbranch_execz .LBB268_19
; %bb.18:
	s_mul_hi_i32 s23, s21, s6
	s_mul_i32 s22, s21, s6
	s_lshl_b64 s[22:23], s[22:23], 1
	s_add_u32 s24, s10, s22
	s_addc_u32 s7, s11, s23
	s_and_b32 s25, s7, 0xffff
	s_mov_b32 s7, 0x7060302
	s_mov_b32 s27, 0x20000
	s_waitcnt vmcnt(0)
	v_perm_b32 v6, v3, v2, s7
	v_perm_b32 v7, v5, v4, s7
	v_lshlrev_b32_e32 v9, 3, v0
	buffer_store_dwordx2 v[6:7], v9, s[24:27], 0 offen
	;;#ASMSTART
	s_nop 0
	;;#ASMEND
.LBB268_19:
	s_or_b64 exec, exec, s[18:19]
	s_cbranch_execnz .LBB268_14
.LBB268_20:
	s_and_saveexec_b64 s[18:19], s[0:1]
	s_cbranch_execz .LBB268_22
; %bb.21:
	s_load_dwordx2 s[0:1], s[4:5], 0x10
	s_mul_hi_i32 s23, s20, s6
	s_mul_i32 s22, s20, s6
	s_lshl_b64 s[22:23], s[22:23], 1
	s_mov_b32 s27, 0x20000
	s_waitcnt lgkmcnt(0)
	s_add_u32 s24, s0, s22
	s_addc_u32 s0, s1, s23
	s_and_b32 s25, s0, 0xffff
	s_mov_b32 s0, 0x7060302
	v_perm_b32 v2, v3, v2, s0
	v_perm_b32 v3, v5, v4, s0
	v_lshlrev_b32_e32 v4, 3, v0
	buffer_store_dwordx2 v[2:3], v4, s[24:27], 0 offen
	;;#ASMSTART
	s_nop 0
	;;#ASMEND
.LBB268_22:
	s_or_b64 exec, exec, s[18:19]
	s_cmp_lt_i32 s12, 1
	s_cbranch_scc1 .LBB268_15
.LBB268_23:
	s_load_dword s0, s[4:5], 0x94
	s_waitcnt lgkmcnt(0)
	s_cmp_lg_u32 s0, 1
	s_cbranch_scc1 .LBB268_15
; %bb.24:
	s_lshl_b32 s0, s12, 1
	s_add_i32 s0, s0, 2
	v_cmp_gt_u32_e32 vcc, s12, v1
	s_and_b32 s18, s0, -4
	v_mov_b32_e32 v2, 0
	s_waitcnt vmcnt(0)
	v_lshlrev_b32_e32 v6, 3, v0
	v_mov_b32_e32 v3, 0
	v_mov_b32_e32 v0, 0
	;; [unrolled: 1-line block ×3, first 2 shown]
	s_barrier
	s_and_saveexec_b64 s[0:1], vcc
	s_cbranch_execz .LBB268_26
; %bb.25:
	s_mul_hi_i32 s5, s14, s6
	s_mul_i32 s4, s14, s6
	s_and_b32 s17, s17, 0xffff
	s_lshl_b64 s[4:5], s[4:5], 1
	s_add_u32 s24, s2, s4
	s_mov_b32 s19, 0x20000
	s_addc_u32 s2, s3, s5
	s_and_b32 s25, s2, 0xffff
	s_mov_b32 s26, s18
	s_mov_b32 s27, s19
	buffer_load_dwordx2 v[2:3], v6, s[24:27], 0 offen glc slc
	buffer_load_dwordx2 v[0:1], v6, s[16:19], 0 offen
.LBB268_26:
	s_or_b64 exec, exec, s[0:1]
	s_waitcnt vmcnt(1)
	v_cvt_f32_u32_sdwa v5, v3 dst_sel:DWORD dst_unused:UNUSED_PAD src0_sel:WORD_0
	v_cvt_f32_u32_sdwa v7, v2 dst_sel:DWORD dst_unused:UNUSED_PAD src0_sel:WORD_1
	v_cvt_f32_u32_sdwa v4, v3 dst_sel:DWORD dst_unused:UNUSED_PAD src0_sel:WORD_1
	v_cvt_f32_u32_sdwa v9, v2 dst_sel:DWORD dst_unused:UNUSED_PAD src0_sel:WORD_0
	v_cndmask_b32_e32 v2, 0, v5, vcc
	v_cndmask_b32_e32 v5, 0, v7, vcc
	;; [unrolled: 1-line block ×4, first 2 shown]
	v_mul_f32_e32 v7, v5, v5
	v_fmac_f32_e32 v7, v4, v4
	v_fmac_f32_e32 v7, v2, v2
	;; [unrolled: 1-line block ×3, first 2 shown]
	s_nop 1
	v_mov_b32_dpp v9, v7 quad_perm:[1,0,3,2] row_mask:0xf bank_mask:0xf
	v_add_f32_e32 v7, v7, v9
	s_nop 1
	v_mov_b32_dpp v9, v7 quad_perm:[2,3,0,1] row_mask:0xf bank_mask:0xf
	v_add_f32_e32 v7, v7, v9
	s_nop 1
	v_mov_b32_dpp v9, v7 row_half_mirror row_mask:0xf bank_mask:0xf
	v_add_f32_e32 v7, v7, v9
	s_nop 1
	v_mov_b32_dpp v9, v7 row_mirror row_mask:0xf bank_mask:0xf
	v_add_f32_e32 v7, v7, v9
	s_nop 1
	v_mov_b32_dpp v9, v7 row_bcast:15 row_mask:0xf bank_mask:0xf
	v_add_f32_e32 v7, v7, v9
	s_nop 1
	v_mov_b32_dpp v9, v7 row_bcast:31 row_mask:0xf bank_mask:0xf
	v_add_f32_e32 v7, v7, v9
	ds_bpermute_b32 v7, v8, v7
	s_and_saveexec_b64 s[0:1], vcc
	s_cbranch_execz .LBB268_15
; %bb.27:
	v_cvt_f32_u32_e32 v8, s12
	s_mov_b32 s19, 0x20000
	s_waitcnt lgkmcnt(0)
	v_div_scale_f32 v9, s[0:1], v8, v8, v7
	v_rcp_f32_e32 v10, v9
	v_div_scale_f32 v11, vcc, v7, v8, v7
	s_mov_b32 s0, 0x800000
	v_fma_f32 v12, -v9, v10, 1.0
	v_fmac_f32_e32 v10, v12, v10
	v_mul_f32_e32 v12, v11, v10
	v_fma_f32 v13, -v9, v12, v11
	v_fmac_f32_e32 v12, v13, v10
	v_fma_f32 v9, -v9, v12, v11
	v_div_fmas_f32 v9, v9, v10, v12
	v_div_fixup_f32 v7, v9, v8, v7
	v_add_f32_e32 v7, s9, v7
	v_mul_f32_e32 v8, 0x4b800000, v7
	v_cmp_gt_f32_e32 vcc, s0, v7
	v_cndmask_b32_e32 v7, v7, v8, vcc
	v_rsq_f32_e32 v7, v7
	s_mul_hi_i32 s1, s21, s6
	s_mul_i32 s0, s21, s6
	s_waitcnt vmcnt(0)
	v_cvt_f32_u32_sdwa v9, v0 dst_sel:DWORD dst_unused:UNUSED_PAD src0_sel:WORD_1
	v_cvt_f32_u32_sdwa v8, v0 dst_sel:DWORD dst_unused:UNUSED_PAD src0_sel:WORD_0
	v_mul_f32_e32 v0, 0x45800000, v7
	s_lshl_b64 s[0:1], s[0:1], 1
	v_cndmask_b32_e32 v12, v7, v0, vcc
	s_add_u32 s16, s10, s0
	v_cvt_f32_u32_sdwa v11, v1 dst_sel:DWORD dst_unused:UNUSED_PAD src0_sel:WORD_1
	v_mov_b32_e32 v13, v12
	v_cvt_f32_u32_sdwa v10, v1 dst_sel:DWORD dst_unused:UNUSED_PAD src0_sel:WORD_0
	;;#ASMSTART
	v_pk_mul_f32 v[0:1], v[4:5], v[12:13]
	;;#ASMEND
	s_addc_u32 s0, s11, s1
	;;#ASMSTART
	v_pk_mul_f32 v[2:3], v[2:3], v[12:13]
	;;#ASMEND
	;;#ASMSTART
	v_pk_mul_f32 v[0:1], v[0:1], v[8:9]
	;;#ASMEND
	s_and_b32 s17, s0, 0xffff
	s_mov_b32 s0, 0x7060302
	;;#ASMSTART
	v_pk_mul_f32 v[2:3], v[2:3], v[10:11]
	;;#ASMEND
	v_perm_b32 v0, v1, v0, s0
	v_perm_b32 v1, v3, v2, s0
	buffer_store_dwordx2 v[0:1], v6, s[16:19], 0 offen
	;;#ASMSTART
	s_nop 0
	;;#ASMEND
	s_endpgm
	.section	.rodata,"a",@progbits
	.p2align	6, 0x0
	.amdhsa_kernel _ZN5aiter35fused_qk_rmsnorm_group_quant_kernelItDB8_Li64ELi4ELi16ELb1ELb1ELb0ELb1ELb0ELb0EEEvPT0_PvPT_S6_S6_PKS5_S8_S8_S8_S8_ffiiiiiiiiiiiii
		.amdhsa_group_segment_fixed_size 0
		.amdhsa_private_segment_fixed_size 0
		.amdhsa_kernarg_size 400
		.amdhsa_user_sgpr_count 6
		.amdhsa_user_sgpr_private_segment_buffer 1
		.amdhsa_user_sgpr_dispatch_ptr 0
		.amdhsa_user_sgpr_queue_ptr 0
		.amdhsa_user_sgpr_kernarg_segment_ptr 1
		.amdhsa_user_sgpr_dispatch_id 0
		.amdhsa_user_sgpr_flat_scratch_init 0
		.amdhsa_user_sgpr_kernarg_preload_length 0
		.amdhsa_user_sgpr_kernarg_preload_offset 0
		.amdhsa_user_sgpr_private_segment_size 0
		.amdhsa_uses_dynamic_stack 0
		.amdhsa_system_sgpr_private_segment_wavefront_offset 0
		.amdhsa_system_sgpr_workgroup_id_x 1
		.amdhsa_system_sgpr_workgroup_id_y 1
		.amdhsa_system_sgpr_workgroup_id_z 0
		.amdhsa_system_sgpr_workgroup_info 0
		.amdhsa_system_vgpr_workitem_id 0
		.amdhsa_next_free_vgpr 16
		.amdhsa_next_free_sgpr 32
		.amdhsa_accum_offset 16
		.amdhsa_reserve_vcc 1
		.amdhsa_reserve_flat_scratch 0
		.amdhsa_float_round_mode_32 0
		.amdhsa_float_round_mode_16_64 0
		.amdhsa_float_denorm_mode_32 3
		.amdhsa_float_denorm_mode_16_64 3
		.amdhsa_dx10_clamp 1
		.amdhsa_ieee_mode 1
		.amdhsa_fp16_overflow 0
		.amdhsa_tg_split 0
		.amdhsa_exception_fp_ieee_invalid_op 0
		.amdhsa_exception_fp_denorm_src 0
		.amdhsa_exception_fp_ieee_div_zero 0
		.amdhsa_exception_fp_ieee_overflow 0
		.amdhsa_exception_fp_ieee_underflow 0
		.amdhsa_exception_fp_ieee_inexact 0
		.amdhsa_exception_int_div_zero 0
	.end_amdhsa_kernel
	.section	.text._ZN5aiter35fused_qk_rmsnorm_group_quant_kernelItDB8_Li64ELi4ELi16ELb1ELb1ELb0ELb1ELb0ELb0EEEvPT0_PvPT_S6_S6_PKS5_S8_S8_S8_S8_ffiiiiiiiiiiiii,"axG",@progbits,_ZN5aiter35fused_qk_rmsnorm_group_quant_kernelItDB8_Li64ELi4ELi16ELb1ELb1ELb0ELb1ELb0ELb0EEEvPT0_PvPT_S6_S6_PKS5_S8_S8_S8_S8_ffiiiiiiiiiiiii,comdat
.Lfunc_end268:
	.size	_ZN5aiter35fused_qk_rmsnorm_group_quant_kernelItDB8_Li64ELi4ELi16ELb1ELb1ELb0ELb1ELb0ELb0EEEvPT0_PvPT_S6_S6_PKS5_S8_S8_S8_S8_ffiiiiiiiiiiiii, .Lfunc_end268-_ZN5aiter35fused_qk_rmsnorm_group_quant_kernelItDB8_Li64ELi4ELi16ELb1ELb1ELb0ELb1ELb0ELb0EEEvPT0_PvPT_S6_S6_PKS5_S8_S8_S8_S8_ffiiiiiiiiiiiii
                                        ; -- End function
	.section	.AMDGPU.csdata,"",@progbits
; Kernel info:
; codeLenInByte = 1852
; NumSgprs: 36
; NumVgprs: 16
; NumAgprs: 0
; TotalNumVgprs: 16
; ScratchSize: 0
; MemoryBound: 0
; FloatMode: 240
; IeeeMode: 1
; LDSByteSize: 0 bytes/workgroup (compile time only)
; SGPRBlocks: 4
; VGPRBlocks: 1
; NumSGPRsForWavesPerEU: 36
; NumVGPRsForWavesPerEU: 16
; AccumOffset: 16
; Occupancy: 8
; WaveLimiterHint : 0
; COMPUTE_PGM_RSRC2:SCRATCH_EN: 0
; COMPUTE_PGM_RSRC2:USER_SGPR: 6
; COMPUTE_PGM_RSRC2:TRAP_HANDLER: 0
; COMPUTE_PGM_RSRC2:TGID_X_EN: 1
; COMPUTE_PGM_RSRC2:TGID_Y_EN: 1
; COMPUTE_PGM_RSRC2:TGID_Z_EN: 0
; COMPUTE_PGM_RSRC2:TIDIG_COMP_CNT: 0
; COMPUTE_PGM_RSRC3_GFX90A:ACCUM_OFFSET: 3
; COMPUTE_PGM_RSRC3_GFX90A:TG_SPLIT: 0
	.section	.text._ZN5aiter35fused_qk_rmsnorm_group_quant_kernelIDF16_DB8_Li64ELi4ELi16ELb0ELb1ELb1ELb1ELb0ELb0EEEvPT0_PvPT_S6_S6_PKS5_S8_S8_S8_S8_ffiiiiiiiiiiiii,"axG",@progbits,_ZN5aiter35fused_qk_rmsnorm_group_quant_kernelIDF16_DB8_Li64ELi4ELi16ELb0ELb1ELb1ELb1ELb0ELb0EEEvPT0_PvPT_S6_S6_PKS5_S8_S8_S8_S8_ffiiiiiiiiiiiii,comdat
	.protected	_ZN5aiter35fused_qk_rmsnorm_group_quant_kernelIDF16_DB8_Li64ELi4ELi16ELb0ELb1ELb1ELb1ELb0ELb0EEEvPT0_PvPT_S6_S6_PKS5_S8_S8_S8_S8_ffiiiiiiiiiiiii ; -- Begin function _ZN5aiter35fused_qk_rmsnorm_group_quant_kernelIDF16_DB8_Li64ELi4ELi16ELb0ELb1ELb1ELb1ELb0ELb0EEEvPT0_PvPT_S6_S6_PKS5_S8_S8_S8_S8_ffiiiiiiiiiiiii
	.globl	_ZN5aiter35fused_qk_rmsnorm_group_quant_kernelIDF16_DB8_Li64ELi4ELi16ELb0ELb1ELb1ELb1ELb0ELb0EEEvPT0_PvPT_S6_S6_PKS5_S8_S8_S8_S8_ffiiiiiiiiiiiii
	.p2align	8
	.type	_ZN5aiter35fused_qk_rmsnorm_group_quant_kernelIDF16_DB8_Li64ELi4ELi16ELb0ELb1ELb1ELb1ELb0ELb0EEEvPT0_PvPT_S6_S6_PKS5_S8_S8_S8_S8_ffiiiiiiiiiiiii,@function
_ZN5aiter35fused_qk_rmsnorm_group_quant_kernelIDF16_DB8_Li64ELi4ELi16ELb0ELb1ELb1ELb1ELb0ELb0EEEvPT0_PvPT_S6_S6_PKS5_S8_S8_S8_S8_ffiiiiiiiiiiiii: ; @_ZN5aiter35fused_qk_rmsnorm_group_quant_kernelIDF16_DB8_Li64ELi4ELi16ELb0ELb1ELb1ELb1ELb0ELb0EEEvPT0_PvPT_S6_S6_PKS5_S8_S8_S8_S8_ffiiiiiiiiiiiii
; %bb.0:
	s_load_dwordx4 s[12:15], s[4:5], 0x50
	s_waitcnt lgkmcnt(0)
	s_cmp_ge_i32 s6, s14
	s_cbranch_scc1 .LBB269_8
; %bb.1:
	s_load_dwordx2 s[24:25], s[4:5], 0x30
	s_load_dwordx2 s[8:9], s[4:5], 0x48
	s_load_dwordx4 s[16:19], s[4:5], 0x60
	s_cmp_lg_u32 s7, 0
	s_cselect_b64 s[10:11], -1, 0
	s_cmp_eq_u32 s7, 0
	s_cselect_b64 vcc, -1, 0
	s_and_b64 s[0:1], vcc, exec
	s_waitcnt lgkmcnt(0)
	s_cselect_b32 s7, s15, s16
	s_add_i32 s0, s7, 1
	s_lshr_b32 s1, s0, 31
	s_add_i32 s0, s0, s1
	s_lshl_b32 s0, s0, 1
	v_lshlrev_b32_e32 v1, 2, v0
	s_and_b32 s22, s0, -4
	v_cmp_gt_i32_e64 s[0:1], s7, v1
	v_mov_b32_e32 v6, 0
	v_mov_b32_e32 v7, 0
	;; [unrolled: 1-line block ×4, first 2 shown]
	s_and_saveexec_b64 s[2:3], s[0:1]
	s_cbranch_execz .LBB269_3
; %bb.2:
	s_load_dwordx2 s[14:15], s[4:5], 0x28
	s_load_dwordx2 s[20:21], s[4:5], 0x40
	s_and_b64 s[26:27], vcc, exec
	s_cselect_b32 s17, s17, s18
	v_lshlrev_b32_e32 v4, 3, v0
	s_waitcnt lgkmcnt(0)
	s_cselect_b32 s19, s15, s25
	s_cselect_b32 s23, s14, s24
	s_mul_hi_i32 s15, s17, s6
	s_mul_i32 s14, s17, s6
	s_lshl_b64 s[14:15], s[14:15], 1
	s_add_u32 s28, s23, s14
	s_addc_u32 s17, s19, s15
	s_and_b64 s[14:15], vcc, exec
	s_mov_b32 s23, 0x20000
	s_cselect_b32 s20, s20, s8
	s_cselect_b32 s14, s21, s9
	s_and_b32 s29, s17, 0xffff
	s_mov_b32 s30, s22
	s_mov_b32 s31, s23
	s_and_b32 s21, s14, 0xffff
	buffer_load_dwordx2 v[2:3], v4, s[28:31], 0 offen glc slc
	buffer_load_dwordx2 v[6:7], v4, s[20:23], 0 offen
.LBB269_3:
	s_or_b64 exec, exec, s[2:3]
	s_waitcnt vmcnt(1)
	v_cvt_f32_f16_e32 v4, v3
	v_cvt_f32_f16_e32 v5, v2
	v_cvt_f32_f16_sdwa v8, v2 dst_sel:DWORD dst_unused:UNUSED_PAD src0_sel:WORD_1
	v_cvt_f32_f16_sdwa v3, v3 dst_sel:DWORD dst_unused:UNUSED_PAD src0_sel:WORD_1
	v_cndmask_b32_e64 v2, 0, v4, s[0:1]
	v_cndmask_b32_e64 v4, 0, v5, s[0:1]
	;; [unrolled: 1-line block ×3, first 2 shown]
	v_mul_f32_e32 v8, v5, v5
	v_fmac_f32_e32 v8, v4, v4
	v_cndmask_b32_e64 v3, 0, v3, s[0:1]
	v_fmac_f32_e32 v8, v2, v2
	v_fmac_f32_e32 v8, v3, v3
	v_bfrev_b32_e32 v10, 0.5
	s_load_dwordx2 s[2:3], s[4:5], 0x18
	v_mov_b32_dpp v9, v8 quad_perm:[1,0,3,2] row_mask:0xf bank_mask:0xf
	v_add_f32_e32 v8, v8, v9
	s_nop 1
	v_mov_b32_dpp v9, v8 quad_perm:[2,3,0,1] row_mask:0xf bank_mask:0xf
	v_add_f32_e32 v8, v8, v9
	s_nop 1
	v_mov_b32_dpp v9, v8 row_half_mirror row_mask:0xf bank_mask:0xf
	v_add_f32_e32 v8, v8, v9
	s_nop 1
	v_mov_b32_dpp v9, v8 row_mirror row_mask:0xf bank_mask:0xf
	v_add_f32_e32 v8, v8, v9
	s_nop 1
	v_mov_b32_dpp v9, v8 row_bcast:15 row_mask:0xf bank_mask:0xf
	v_add_f32_e32 v8, v8, v9
	s_nop 1
	v_mov_b32_dpp v9, v8 row_bcast:31 row_mask:0xf bank_mask:0xf
	v_add_f32_e32 v9, v8, v9
	v_mbcnt_lo_u32_b32 v8, -1, 0
	v_mbcnt_hi_u32_b32 v8, -1, v8
	v_lshl_or_b32 v8, v8, 2, v10
	ds_bpermute_b32 v9, v8, v9
	s_and_saveexec_b64 s[14:15], s[0:1]
	s_cbranch_execz .LBB269_5
; %bb.4:
	v_cvt_f32_u32_e32 v10, s7
	v_mov_b32_e32 v11, s13
	v_mov_b32_e32 v12, s12
	v_cndmask_b32_e32 v11, v11, v12, vcc
	s_waitcnt lgkmcnt(0)
	v_div_scale_f32 v13, s[20:21], v10, v10, v9
	v_rcp_f32_e32 v14, v13
	v_div_scale_f32 v12, vcc, v9, v10, v9
	s_mov_b32 s7, 0x800000
	v_fma_f32 v15, -v13, v14, 1.0
	v_fmac_f32_e32 v14, v15, v14
	v_mul_f32_e32 v15, v12, v14
	v_fma_f32 v16, -v13, v15, v12
	v_fmac_f32_e32 v15, v16, v14
	v_fma_f32 v12, -v13, v15, v12
	v_div_fmas_f32 v12, v12, v14, v15
	v_div_fixup_f32 v9, v12, v10, v9
	v_add_f32_e32 v9, v11, v9
	v_mul_f32_e32 v10, 0x4b800000, v9
	v_cmp_gt_f32_e32 vcc, s7, v9
	v_cndmask_b32_e32 v9, v9, v10, vcc
	v_rsq_f32_e32 v9, v9
	s_waitcnt vmcnt(0)
	v_cvt_f32_f16_sdwa v13, v6 dst_sel:DWORD dst_unused:UNUSED_PAD src0_sel:WORD_1
	v_cvt_f32_f16_e32 v12, v6
	v_cvt_f32_f16_sdwa v15, v7 dst_sel:DWORD dst_unused:UNUSED_PAD src0_sel:WORD_1
	v_cvt_f32_f16_e32 v14, v7
	v_mul_f32_e32 v10, 0x45800000, v9
	v_cndmask_b32_e32 v10, v9, v10, vcc
	v_mov_b32_e32 v11, v10
	;;#ASMSTART
	v_pk_mul_f32 v[4:5], v[4:5], v[10:11]
	;;#ASMEND
	;;#ASMSTART
	v_pk_mul_f32 v[2:3], v[2:3], v[10:11]
	;;#ASMEND
	v_pk_add_f32 v[6:7], v[12:13], 1.0 op_sel_hi:[1,0]
	;;#ASMSTART
	v_pk_mul_f32 v[4:5], v[4:5], v[6:7]
	;;#ASMEND
	v_pk_add_f32 v[6:7], v[14:15], 1.0 op_sel_hi:[1,0]
	;;#ASMSTART
	v_pk_mul_f32 v[2:3], v[2:3], v[6:7]
	;;#ASMEND
.LBB269_5:
	s_or_b64 exec, exec, s[14:15]
	s_load_dwordx2 s[14:15], s[4:5], 0x7c
	s_mov_b64 s[20:21], -1
	s_and_b64 vcc, exec, s[10:11]
	s_cbranch_vccnz .LBB269_9
; %bb.6:
	s_andn2_b64 vcc, exec, s[20:21]
	s_cbranch_vccz .LBB269_12
.LBB269_7:
	s_cmp_lt_i32 s16, 1
	s_cbranch_scc0 .LBB269_15
.LBB269_8:
	s_endpgm
.LBB269_9:
	s_and_saveexec_b64 s[10:11], s[0:1]
	s_cbranch_execz .LBB269_11
; %bb.10:
	s_waitcnt lgkmcnt(0)
	s_mul_hi_i32 s21, s15, s6
	s_mul_i32 s20, s15, s6
	s_waitcnt vmcnt(0)
	v_cvt_f16_f32_e32 v6, v4
	v_cvt_f16_f32_e32 v7, v2
	;; [unrolled: 1-line block ×4, first 2 shown]
	s_lshl_b64 s[20:21], s[20:21], 1
	s_add_u32 s20, s2, s20
	s_addc_u32 s7, s3, s21
	s_and_b32 s21, s7, 0xffff
	s_mov_b32 s23, 0x20000
	v_pack_b32_f16 v7, v7, v9
	v_pack_b32_f16 v6, v6, v10
	v_lshlrev_b32_e32 v9, 3, v0
	buffer_store_dwordx2 v[6:7], v9, s[20:23], 0 offen
	;;#ASMSTART
	s_nop 0
	;;#ASMEND
.LBB269_11:
	s_or_b64 exec, exec, s[10:11]
	s_cbranch_execnz .LBB269_7
.LBB269_12:
	s_and_saveexec_b64 s[10:11], s[0:1]
	s_cbranch_execz .LBB269_14
; %bb.13:
	s_load_dwordx2 s[0:1], s[4:5], 0x10
	s_waitcnt lgkmcnt(0)
	s_mul_hi_i32 s21, s14, s6
	s_mul_i32 s20, s14, s6
	v_cvt_f16_f32_e32 v4, v4
	v_cvt_f16_f32_e32 v2, v2
	;; [unrolled: 1-line block ×4, first 2 shown]
	s_lshl_b64 s[20:21], s[20:21], 1
	s_add_u32 s20, s0, s20
	s_addc_u32 s0, s1, s21
	s_and_b32 s21, s0, 0xffff
	s_mov_b32 s23, 0x20000
	v_pack_b32_f16 v3, v2, v3
	v_pack_b32_f16 v2, v4, v5
	v_lshlrev_b32_e32 v4, 3, v0
	buffer_store_dwordx2 v[2:3], v4, s[20:23], 0 offen
	;;#ASMSTART
	s_nop 0
	;;#ASMEND
.LBB269_14:
	s_or_b64 exec, exec, s[10:11]
	s_cmp_lt_i32 s16, 1
	s_cbranch_scc1 .LBB269_8
.LBB269_15:
	s_load_dword s0, s[4:5], 0x94
	s_waitcnt lgkmcnt(0)
	s_cmp_lg_u32 s0, 1
	s_cbranch_scc1 .LBB269_8
; %bb.16:
	s_lshl_b32 s0, s16, 1
	s_add_i32 s0, s0, 2
	v_cmp_gt_u32_e32 vcc, s16, v1
	s_and_b32 s10, s0, -4
	v_mov_b32_e32 v2, 0
	s_waitcnt vmcnt(0)
	v_lshlrev_b32_e32 v6, 3, v0
	v_mov_b32_e32 v3, 0
	v_mov_b32_e32 v0, 0
	v_mov_b32_e32 v1, 0
	s_barrier
	s_and_saveexec_b64 s[0:1], vcc
	s_cbranch_execz .LBB269_18
; %bb.17:
	s_mul_hi_i32 s5, s18, s6
	s_mul_i32 s4, s18, s6
	s_and_b32 s9, s9, 0xffff
	s_lshl_b64 s[4:5], s[4:5], 1
	s_add_u32 s20, s24, s4
	s_mov_b32 s11, 0x20000
	s_addc_u32 s4, s25, s5
	s_and_b32 s21, s4, 0xffff
	s_mov_b32 s22, s10
	s_mov_b32 s23, s11
	buffer_load_dwordx2 v[2:3], v6, s[20:23], 0 offen glc slc
	buffer_load_dwordx2 v[0:1], v6, s[8:11], 0 offen
.LBB269_18:
	s_or_b64 exec, exec, s[0:1]
	s_waitcnt vmcnt(1)
	v_cvt_f32_f16_e32 v4, v3
	v_cvt_f32_f16_e32 v5, v2
	v_cvt_f32_f16_sdwa v7, v2 dst_sel:DWORD dst_unused:UNUSED_PAD src0_sel:WORD_1
	v_cvt_f32_f16_sdwa v3, v3 dst_sel:DWORD dst_unused:UNUSED_PAD src0_sel:WORD_1
	v_cndmask_b32_e32 v2, 0, v4, vcc
	v_cndmask_b32_e32 v4, 0, v5, vcc
	;; [unrolled: 1-line block ×3, first 2 shown]
	v_mul_f32_e32 v7, v5, v5
	v_fmac_f32_e32 v7, v4, v4
	v_cndmask_b32_e32 v3, 0, v3, vcc
	v_fmac_f32_e32 v7, v2, v2
	v_fmac_f32_e32 v7, v3, v3
	s_nop 1
	v_mov_b32_dpp v9, v7 quad_perm:[1,0,3,2] row_mask:0xf bank_mask:0xf
	v_add_f32_e32 v7, v7, v9
	s_nop 1
	v_mov_b32_dpp v9, v7 quad_perm:[2,3,0,1] row_mask:0xf bank_mask:0xf
	v_add_f32_e32 v7, v7, v9
	s_nop 1
	v_mov_b32_dpp v9, v7 row_half_mirror row_mask:0xf bank_mask:0xf
	v_add_f32_e32 v7, v7, v9
	s_nop 1
	v_mov_b32_dpp v9, v7 row_mirror row_mask:0xf bank_mask:0xf
	v_add_f32_e32 v7, v7, v9
	s_nop 1
	v_mov_b32_dpp v9, v7 row_bcast:15 row_mask:0xf bank_mask:0xf
	v_add_f32_e32 v7, v7, v9
	s_nop 1
	v_mov_b32_dpp v9, v7 row_bcast:31 row_mask:0xf bank_mask:0xf
	v_add_f32_e32 v7, v7, v9
	ds_bpermute_b32 v7, v8, v7
	s_and_saveexec_b64 s[0:1], vcc
	s_cbranch_execz .LBB269_8
; %bb.19:
	v_cvt_f32_u32_e32 v8, s16
	s_mov_b32 s11, 0x20000
	s_waitcnt lgkmcnt(0)
	v_div_scale_f32 v9, s[0:1], v8, v8, v7
	v_rcp_f32_e32 v10, v9
	v_div_scale_f32 v11, vcc, v7, v8, v7
	s_mov_b32 s0, 0x800000
	v_fma_f32 v12, -v9, v10, 1.0
	v_fmac_f32_e32 v10, v12, v10
	v_mul_f32_e32 v12, v11, v10
	v_fma_f32 v13, -v9, v12, v11
	v_fmac_f32_e32 v12, v13, v10
	v_fma_f32 v9, -v9, v12, v11
	v_div_fmas_f32 v9, v9, v10, v12
	v_div_fixup_f32 v7, v9, v8, v7
	v_add_f32_e32 v7, s13, v7
	v_mul_f32_e32 v8, 0x4b800000, v7
	v_cmp_gt_f32_e32 vcc, s0, v7
	v_cndmask_b32_e32 v7, v7, v8, vcc
	v_rsq_f32_e32 v7, v7
	s_waitcnt vmcnt(0)
	v_cvt_f32_f16_sdwa v9, v0 dst_sel:DWORD dst_unused:UNUSED_PAD src0_sel:WORD_1
	v_cvt_f32_f16_e32 v8, v0
	v_cvt_f32_f16_sdwa v11, v1 dst_sel:DWORD dst_unused:UNUSED_PAD src0_sel:WORD_1
	v_cvt_f32_f16_e32 v10, v1
	v_mul_f32_e32 v0, 0x45800000, v7
	v_cndmask_b32_e32 v12, v7, v0, vcc
	v_mov_b32_e32 v13, v12
	;;#ASMSTART
	v_pk_mul_f32 v[4:5], v[4:5], v[12:13]
	;;#ASMEND
	;;#ASMSTART
	v_pk_mul_f32 v[0:1], v[2:3], v[12:13]
	;;#ASMEND
	v_pk_add_f32 v[2:3], v[8:9], 1.0 op_sel_hi:[1,0]
	;;#ASMSTART
	v_pk_mul_f32 v[2:3], v[4:5], v[2:3]
	;;#ASMEND
	v_pk_add_f32 v[4:5], v[10:11], 1.0 op_sel_hi:[1,0]
	;;#ASMSTART
	v_pk_mul_f32 v[0:1], v[0:1], v[4:5]
	;;#ASMEND
	s_mul_hi_i32 s1, s15, s6
	s_mul_i32 s0, s15, s6
	v_cvt_f16_f32_e32 v2, v2
	v_cvt_f16_f32_e32 v3, v3
	;; [unrolled: 1-line block ×4, first 2 shown]
	s_lshl_b64 s[0:1], s[0:1], 1
	s_add_u32 s8, s2, s0
	s_addc_u32 s0, s3, s1
	s_and_b32 s9, s0, 0xffff
	v_pack_b32_f16 v0, v2, v3
	v_pack_b32_f16 v1, v4, v1
	buffer_store_dwordx2 v[0:1], v6, s[8:11], 0 offen
	;;#ASMSTART
	s_nop 0
	;;#ASMEND
	s_endpgm
	.section	.rodata,"a",@progbits
	.p2align	6, 0x0
	.amdhsa_kernel _ZN5aiter35fused_qk_rmsnorm_group_quant_kernelIDF16_DB8_Li64ELi4ELi16ELb0ELb1ELb1ELb1ELb0ELb0EEEvPT0_PvPT_S6_S6_PKS5_S8_S8_S8_S8_ffiiiiiiiiiiiii
		.amdhsa_group_segment_fixed_size 0
		.amdhsa_private_segment_fixed_size 0
		.amdhsa_kernarg_size 400
		.amdhsa_user_sgpr_count 6
		.amdhsa_user_sgpr_private_segment_buffer 1
		.amdhsa_user_sgpr_dispatch_ptr 0
		.amdhsa_user_sgpr_queue_ptr 0
		.amdhsa_user_sgpr_kernarg_segment_ptr 1
		.amdhsa_user_sgpr_dispatch_id 0
		.amdhsa_user_sgpr_flat_scratch_init 0
		.amdhsa_user_sgpr_kernarg_preload_length 0
		.amdhsa_user_sgpr_kernarg_preload_offset 0
		.amdhsa_user_sgpr_private_segment_size 0
		.amdhsa_uses_dynamic_stack 0
		.amdhsa_system_sgpr_private_segment_wavefront_offset 0
		.amdhsa_system_sgpr_workgroup_id_x 1
		.amdhsa_system_sgpr_workgroup_id_y 1
		.amdhsa_system_sgpr_workgroup_id_z 0
		.amdhsa_system_sgpr_workgroup_info 0
		.amdhsa_system_vgpr_workitem_id 0
		.amdhsa_next_free_vgpr 17
		.amdhsa_next_free_sgpr 32
		.amdhsa_accum_offset 20
		.amdhsa_reserve_vcc 1
		.amdhsa_reserve_flat_scratch 0
		.amdhsa_float_round_mode_32 0
		.amdhsa_float_round_mode_16_64 0
		.amdhsa_float_denorm_mode_32 3
		.amdhsa_float_denorm_mode_16_64 3
		.amdhsa_dx10_clamp 1
		.amdhsa_ieee_mode 1
		.amdhsa_fp16_overflow 0
		.amdhsa_tg_split 0
		.amdhsa_exception_fp_ieee_invalid_op 0
		.amdhsa_exception_fp_denorm_src 0
		.amdhsa_exception_fp_ieee_div_zero 0
		.amdhsa_exception_fp_ieee_overflow 0
		.amdhsa_exception_fp_ieee_underflow 0
		.amdhsa_exception_fp_ieee_inexact 0
		.amdhsa_exception_int_div_zero 0
	.end_amdhsa_kernel
	.section	.text._ZN5aiter35fused_qk_rmsnorm_group_quant_kernelIDF16_DB8_Li64ELi4ELi16ELb0ELb1ELb1ELb1ELb0ELb0EEEvPT0_PvPT_S6_S6_PKS5_S8_S8_S8_S8_ffiiiiiiiiiiiii,"axG",@progbits,_ZN5aiter35fused_qk_rmsnorm_group_quant_kernelIDF16_DB8_Li64ELi4ELi16ELb0ELb1ELb1ELb1ELb0ELb0EEEvPT0_PvPT_S6_S6_PKS5_S8_S8_S8_S8_ffiiiiiiiiiiiii,comdat
.Lfunc_end269:
	.size	_ZN5aiter35fused_qk_rmsnorm_group_quant_kernelIDF16_DB8_Li64ELi4ELi16ELb0ELb1ELb1ELb1ELb0ELb0EEEvPT0_PvPT_S6_S6_PKS5_S8_S8_S8_S8_ffiiiiiiiiiiiii, .Lfunc_end269-_ZN5aiter35fused_qk_rmsnorm_group_quant_kernelIDF16_DB8_Li64ELi4ELi16ELb0ELb1ELb1ELb1ELb0ELb0EEEvPT0_PvPT_S6_S6_PKS5_S8_S8_S8_S8_ffiiiiiiiiiiiii
                                        ; -- End function
	.section	.AMDGPU.csdata,"",@progbits
; Kernel info:
; codeLenInByte = 1572
; NumSgprs: 36
; NumVgprs: 17
; NumAgprs: 0
; TotalNumVgprs: 17
; ScratchSize: 0
; MemoryBound: 0
; FloatMode: 240
; IeeeMode: 1
; LDSByteSize: 0 bytes/workgroup (compile time only)
; SGPRBlocks: 4
; VGPRBlocks: 2
; NumSGPRsForWavesPerEU: 36
; NumVGPRsForWavesPerEU: 17
; AccumOffset: 20
; Occupancy: 8
; WaveLimiterHint : 0
; COMPUTE_PGM_RSRC2:SCRATCH_EN: 0
; COMPUTE_PGM_RSRC2:USER_SGPR: 6
; COMPUTE_PGM_RSRC2:TRAP_HANDLER: 0
; COMPUTE_PGM_RSRC2:TGID_X_EN: 1
; COMPUTE_PGM_RSRC2:TGID_Y_EN: 1
; COMPUTE_PGM_RSRC2:TGID_Z_EN: 0
; COMPUTE_PGM_RSRC2:TIDIG_COMP_CNT: 0
; COMPUTE_PGM_RSRC3_GFX90A:ACCUM_OFFSET: 4
; COMPUTE_PGM_RSRC3_GFX90A:TG_SPLIT: 0
	.section	.text._ZN5aiter35fused_qk_rmsnorm_group_quant_kernelItDB8_Li64ELi4ELi16ELb0ELb1ELb1ELb1ELb0ELb0EEEvPT0_PvPT_S6_S6_PKS5_S8_S8_S8_S8_ffiiiiiiiiiiiii,"axG",@progbits,_ZN5aiter35fused_qk_rmsnorm_group_quant_kernelItDB8_Li64ELi4ELi16ELb0ELb1ELb1ELb1ELb0ELb0EEEvPT0_PvPT_S6_S6_PKS5_S8_S8_S8_S8_ffiiiiiiiiiiiii,comdat
	.protected	_ZN5aiter35fused_qk_rmsnorm_group_quant_kernelItDB8_Li64ELi4ELi16ELb0ELb1ELb1ELb1ELb0ELb0EEEvPT0_PvPT_S6_S6_PKS5_S8_S8_S8_S8_ffiiiiiiiiiiiii ; -- Begin function _ZN5aiter35fused_qk_rmsnorm_group_quant_kernelItDB8_Li64ELi4ELi16ELb0ELb1ELb1ELb1ELb0ELb0EEEvPT0_PvPT_S6_S6_PKS5_S8_S8_S8_S8_ffiiiiiiiiiiiii
	.globl	_ZN5aiter35fused_qk_rmsnorm_group_quant_kernelItDB8_Li64ELi4ELi16ELb0ELb1ELb1ELb1ELb0ELb0EEEvPT0_PvPT_S6_S6_PKS5_S8_S8_S8_S8_ffiiiiiiiiiiiii
	.p2align	8
	.type	_ZN5aiter35fused_qk_rmsnorm_group_quant_kernelItDB8_Li64ELi4ELi16ELb0ELb1ELb1ELb1ELb0ELb0EEEvPT0_PvPT_S6_S6_PKS5_S8_S8_S8_S8_ffiiiiiiiiiiiii,@function
_ZN5aiter35fused_qk_rmsnorm_group_quant_kernelItDB8_Li64ELi4ELi16ELb0ELb1ELb1ELb1ELb0ELb0EEEvPT0_PvPT_S6_S6_PKS5_S8_S8_S8_S8_ffiiiiiiiiiiiii: ; @_ZN5aiter35fused_qk_rmsnorm_group_quant_kernelItDB8_Li64ELi4ELi16ELb0ELb1ELb1ELb1ELb0ELb0EEEvPT0_PvPT_S6_S6_PKS5_S8_S8_S8_S8_ffiiiiiiiiiiiii
; %bb.0:
	s_load_dwordx4 s[12:15], s[4:5], 0x50
	s_waitcnt lgkmcnt(0)
	s_cmp_ge_i32 s6, s14
	s_cbranch_scc1 .LBB270_8
; %bb.1:
	s_load_dwordx2 s[24:25], s[4:5], 0x30
	s_load_dwordx2 s[8:9], s[4:5], 0x48
	s_load_dwordx4 s[16:19], s[4:5], 0x60
	s_cmp_lg_u32 s7, 0
	s_cselect_b64 s[10:11], -1, 0
	s_cmp_eq_u32 s7, 0
	s_cselect_b64 vcc, -1, 0
	s_and_b64 s[0:1], vcc, exec
	s_waitcnt lgkmcnt(0)
	s_cselect_b32 s7, s15, s16
	s_add_i32 s0, s7, 1
	s_lshr_b32 s1, s0, 31
	s_add_i32 s0, s0, s1
	s_lshl_b32 s0, s0, 1
	v_lshlrev_b32_e32 v1, 2, v0
	s_and_b32 s22, s0, -4
	v_cmp_gt_i32_e64 s[0:1], s7, v1
	v_mov_b32_e32 v6, 0
	v_mov_b32_e32 v7, 0
	;; [unrolled: 1-line block ×4, first 2 shown]
	s_and_saveexec_b64 s[2:3], s[0:1]
	s_cbranch_execz .LBB270_3
; %bb.2:
	s_load_dwordx2 s[14:15], s[4:5], 0x28
	s_load_dwordx2 s[20:21], s[4:5], 0x40
	s_and_b64 s[26:27], vcc, exec
	s_cselect_b32 s17, s17, s18
	v_lshlrev_b32_e32 v4, 3, v0
	s_waitcnt lgkmcnt(0)
	s_cselect_b32 s19, s15, s25
	s_cselect_b32 s23, s14, s24
	s_mul_hi_i32 s15, s17, s6
	s_mul_i32 s14, s17, s6
	s_lshl_b64 s[14:15], s[14:15], 1
	s_add_u32 s28, s23, s14
	s_addc_u32 s17, s19, s15
	s_and_b64 s[14:15], vcc, exec
	s_mov_b32 s23, 0x20000
	s_cselect_b32 s20, s20, s8
	s_cselect_b32 s14, s21, s9
	s_and_b32 s29, s17, 0xffff
	s_mov_b32 s30, s22
	s_mov_b32 s31, s23
	s_and_b32 s21, s14, 0xffff
	buffer_load_dwordx2 v[2:3], v4, s[28:31], 0 offen glc slc
	buffer_load_dwordx2 v[6:7], v4, s[20:23], 0 offen
.LBB270_3:
	s_or_b64 exec, exec, s[2:3]
	s_waitcnt vmcnt(1)
	v_cvt_f32_u32_sdwa v5, v3 dst_sel:DWORD dst_unused:UNUSED_PAD src0_sel:WORD_0
	v_cvt_f32_u32_sdwa v8, v2 dst_sel:DWORD dst_unused:UNUSED_PAD src0_sel:WORD_1
	v_cvt_f32_u32_sdwa v4, v3 dst_sel:DWORD dst_unused:UNUSED_PAD src0_sel:WORD_1
	v_cvt_f32_u32_sdwa v9, v2 dst_sel:DWORD dst_unused:UNUSED_PAD src0_sel:WORD_0
	v_cndmask_b32_e64 v2, 0, v5, s[0:1]
	v_cndmask_b32_e64 v5, 0, v8, s[0:1]
	;; [unrolled: 1-line block ×4, first 2 shown]
	v_mul_f32_e32 v8, v5, v5
	v_fmac_f32_e32 v8, v4, v4
	v_fmac_f32_e32 v8, v2, v2
	;; [unrolled: 1-line block ×3, first 2 shown]
	v_bfrev_b32_e32 v10, 0.5
	s_load_dwordx2 s[2:3], s[4:5], 0x18
	v_mov_b32_dpp v9, v8 quad_perm:[1,0,3,2] row_mask:0xf bank_mask:0xf
	v_add_f32_e32 v8, v8, v9
	s_nop 1
	v_mov_b32_dpp v9, v8 quad_perm:[2,3,0,1] row_mask:0xf bank_mask:0xf
	v_add_f32_e32 v8, v8, v9
	s_nop 1
	v_mov_b32_dpp v9, v8 row_half_mirror row_mask:0xf bank_mask:0xf
	v_add_f32_e32 v8, v8, v9
	s_nop 1
	v_mov_b32_dpp v9, v8 row_mirror row_mask:0xf bank_mask:0xf
	v_add_f32_e32 v8, v8, v9
	s_nop 1
	v_mov_b32_dpp v9, v8 row_bcast:15 row_mask:0xf bank_mask:0xf
	v_add_f32_e32 v8, v8, v9
	s_nop 1
	v_mov_b32_dpp v9, v8 row_bcast:31 row_mask:0xf bank_mask:0xf
	v_add_f32_e32 v9, v8, v9
	v_mbcnt_lo_u32_b32 v8, -1, 0
	v_mbcnt_hi_u32_b32 v8, -1, v8
	v_lshl_or_b32 v8, v8, 2, v10
	ds_bpermute_b32 v9, v8, v9
	s_and_saveexec_b64 s[14:15], s[0:1]
	s_cbranch_execz .LBB270_5
; %bb.4:
	v_cvt_f32_u32_e32 v10, s7
	v_mov_b32_e32 v11, s13
	v_mov_b32_e32 v12, s12
	v_cndmask_b32_e32 v11, v11, v12, vcc
	s_waitcnt lgkmcnt(0)
	v_div_scale_f32 v13, s[20:21], v10, v10, v9
	v_rcp_f32_e32 v14, v13
	v_div_scale_f32 v12, vcc, v9, v10, v9
	s_mov_b32 s7, 0x800000
	v_fma_f32 v15, -v13, v14, 1.0
	v_fmac_f32_e32 v14, v15, v14
	v_mul_f32_e32 v15, v12, v14
	v_fma_f32 v16, -v13, v15, v12
	v_fmac_f32_e32 v15, v16, v14
	v_fma_f32 v12, -v13, v15, v12
	v_div_fmas_f32 v12, v12, v14, v15
	v_div_fixup_f32 v9, v12, v10, v9
	v_add_f32_e32 v9, v11, v9
	v_mul_f32_e32 v10, 0x4b800000, v9
	v_cmp_gt_f32_e32 vcc, s7, v9
	v_cndmask_b32_e32 v9, v9, v10, vcc
	v_rsq_f32_e32 v9, v9
	s_waitcnt vmcnt(0)
	v_cvt_f32_u32_sdwa v13, v6 dst_sel:DWORD dst_unused:UNUSED_PAD src0_sel:WORD_1
	v_cvt_f32_u32_sdwa v12, v6 dst_sel:DWORD dst_unused:UNUSED_PAD src0_sel:WORD_0
	v_cvt_f32_u32_sdwa v15, v7 dst_sel:DWORD dst_unused:UNUSED_PAD src0_sel:WORD_1
	v_cvt_f32_u32_sdwa v14, v7 dst_sel:DWORD dst_unused:UNUSED_PAD src0_sel:WORD_0
	v_mul_f32_e32 v10, 0x45800000, v9
	v_cndmask_b32_e32 v10, v9, v10, vcc
	v_mov_b32_e32 v11, v10
	;;#ASMSTART
	v_pk_mul_f32 v[4:5], v[4:5], v[10:11]
	;;#ASMEND
	;;#ASMSTART
	v_pk_mul_f32 v[2:3], v[2:3], v[10:11]
	;;#ASMEND
	v_pk_add_f32 v[6:7], v[12:13], 1.0 op_sel_hi:[1,0]
	;;#ASMSTART
	v_pk_mul_f32 v[4:5], v[4:5], v[6:7]
	;;#ASMEND
	v_pk_add_f32 v[6:7], v[14:15], 1.0 op_sel_hi:[1,0]
	;;#ASMSTART
	v_pk_mul_f32 v[2:3], v[2:3], v[6:7]
	;;#ASMEND
.LBB270_5:
	s_or_b64 exec, exec, s[14:15]
	s_load_dwordx2 s[14:15], s[4:5], 0x7c
	s_mov_b64 s[20:21], -1
	s_and_b64 vcc, exec, s[10:11]
	s_cbranch_vccnz .LBB270_9
; %bb.6:
	s_andn2_b64 vcc, exec, s[20:21]
	s_cbranch_vccz .LBB270_12
.LBB270_7:
	s_cmp_lt_i32 s16, 1
	s_cbranch_scc0 .LBB270_15
.LBB270_8:
	s_endpgm
.LBB270_9:
	s_and_saveexec_b64 s[10:11], s[0:1]
	s_cbranch_execz .LBB270_11
; %bb.10:
	s_waitcnt lgkmcnt(0)
	s_mul_hi_i32 s21, s15, s6
	s_mul_i32 s20, s15, s6
	s_lshl_b64 s[20:21], s[20:21], 1
	s_add_u32 s20, s2, s20
	s_addc_u32 s7, s3, s21
	s_and_b32 s21, s7, 0xffff
	s_mov_b32 s7, 0x7060302
	s_mov_b32 s23, 0x20000
	s_waitcnt vmcnt(0)
	v_perm_b32 v6, v5, v4, s7
	v_perm_b32 v7, v3, v2, s7
	v_lshlrev_b32_e32 v9, 3, v0
	buffer_store_dwordx2 v[6:7], v9, s[20:23], 0 offen
	;;#ASMSTART
	s_nop 0
	;;#ASMEND
.LBB270_11:
	s_or_b64 exec, exec, s[10:11]
	s_cbranch_execnz .LBB270_7
.LBB270_12:
	s_and_saveexec_b64 s[10:11], s[0:1]
	s_cbranch_execz .LBB270_14
; %bb.13:
	s_load_dwordx2 s[0:1], s[4:5], 0x10
	s_waitcnt lgkmcnt(0)
	s_mul_hi_i32 s21, s14, s6
	s_mul_i32 s20, s14, s6
	s_lshl_b64 s[20:21], s[20:21], 1
	s_mov_b32 s23, 0x20000
	s_add_u32 s20, s0, s20
	s_addc_u32 s0, s1, s21
	s_and_b32 s21, s0, 0xffff
	s_mov_b32 s0, 0x7060302
	v_perm_b32 v4, v5, v4, s0
	v_perm_b32 v5, v3, v2, s0
	v_lshlrev_b32_e32 v2, 3, v0
	buffer_store_dwordx2 v[4:5], v2, s[20:23], 0 offen
	;;#ASMSTART
	s_nop 0
	;;#ASMEND
.LBB270_14:
	s_or_b64 exec, exec, s[10:11]
	s_cmp_lt_i32 s16, 1
	s_cbranch_scc1 .LBB270_8
.LBB270_15:
	s_load_dword s0, s[4:5], 0x94
	s_waitcnt lgkmcnt(0)
	s_cmp_lg_u32 s0, 1
	s_cbranch_scc1 .LBB270_8
; %bb.16:
	s_lshl_b32 s0, s16, 1
	s_add_i32 s0, s0, 2
	v_cmp_gt_u32_e32 vcc, s16, v1
	s_and_b32 s10, s0, -4
	v_mov_b32_e32 v2, 0
	s_waitcnt vmcnt(0)
	v_lshlrev_b32_e32 v6, 3, v0
	v_mov_b32_e32 v3, 0
	v_mov_b32_e32 v0, 0
	;; [unrolled: 1-line block ×3, first 2 shown]
	s_barrier
	s_and_saveexec_b64 s[0:1], vcc
	s_cbranch_execz .LBB270_18
; %bb.17:
	s_mul_hi_i32 s5, s18, s6
	s_mul_i32 s4, s18, s6
	s_and_b32 s9, s9, 0xffff
	s_lshl_b64 s[4:5], s[4:5], 1
	s_add_u32 s20, s24, s4
	s_mov_b32 s11, 0x20000
	s_addc_u32 s4, s25, s5
	s_and_b32 s21, s4, 0xffff
	s_mov_b32 s22, s10
	s_mov_b32 s23, s11
	buffer_load_dwordx2 v[2:3], v6, s[20:23], 0 offen glc slc
	buffer_load_dwordx2 v[0:1], v6, s[8:11], 0 offen
.LBB270_18:
	s_or_b64 exec, exec, s[0:1]
	s_waitcnt vmcnt(1)
	v_cvt_f32_u32_sdwa v5, v3 dst_sel:DWORD dst_unused:UNUSED_PAD src0_sel:WORD_0
	v_cvt_f32_u32_sdwa v7, v2 dst_sel:DWORD dst_unused:UNUSED_PAD src0_sel:WORD_1
	v_cvt_f32_u32_sdwa v4, v3 dst_sel:DWORD dst_unused:UNUSED_PAD src0_sel:WORD_1
	v_cvt_f32_u32_sdwa v9, v2 dst_sel:DWORD dst_unused:UNUSED_PAD src0_sel:WORD_0
	v_cndmask_b32_e32 v2, 0, v5, vcc
	v_cndmask_b32_e32 v5, 0, v7, vcc
	v_cndmask_b32_e32 v3, 0, v4, vcc
	v_cndmask_b32_e32 v4, 0, v9, vcc
	v_mul_f32_e32 v7, v5, v5
	v_fmac_f32_e32 v7, v4, v4
	v_fmac_f32_e32 v7, v2, v2
	;; [unrolled: 1-line block ×3, first 2 shown]
	s_nop 1
	v_mov_b32_dpp v9, v7 quad_perm:[1,0,3,2] row_mask:0xf bank_mask:0xf
	v_add_f32_e32 v7, v7, v9
	s_nop 1
	v_mov_b32_dpp v9, v7 quad_perm:[2,3,0,1] row_mask:0xf bank_mask:0xf
	v_add_f32_e32 v7, v7, v9
	s_nop 1
	v_mov_b32_dpp v9, v7 row_half_mirror row_mask:0xf bank_mask:0xf
	v_add_f32_e32 v7, v7, v9
	s_nop 1
	v_mov_b32_dpp v9, v7 row_mirror row_mask:0xf bank_mask:0xf
	v_add_f32_e32 v7, v7, v9
	s_nop 1
	v_mov_b32_dpp v9, v7 row_bcast:15 row_mask:0xf bank_mask:0xf
	v_add_f32_e32 v7, v7, v9
	s_nop 1
	v_mov_b32_dpp v9, v7 row_bcast:31 row_mask:0xf bank_mask:0xf
	v_add_f32_e32 v7, v7, v9
	ds_bpermute_b32 v7, v8, v7
	s_and_saveexec_b64 s[0:1], vcc
	s_cbranch_execz .LBB270_8
; %bb.19:
	v_cvt_f32_u32_e32 v8, s16
	s_mov_b32 s11, 0x20000
	s_waitcnt lgkmcnt(0)
	v_div_scale_f32 v9, s[0:1], v8, v8, v7
	v_rcp_f32_e32 v10, v9
	v_div_scale_f32 v11, vcc, v7, v8, v7
	s_mov_b32 s0, 0x800000
	v_fma_f32 v12, -v9, v10, 1.0
	v_fmac_f32_e32 v10, v12, v10
	v_mul_f32_e32 v12, v11, v10
	v_fma_f32 v13, -v9, v12, v11
	v_fmac_f32_e32 v12, v13, v10
	v_fma_f32 v9, -v9, v12, v11
	v_div_fmas_f32 v9, v9, v10, v12
	v_div_fixup_f32 v7, v9, v8, v7
	v_add_f32_e32 v7, s13, v7
	v_mul_f32_e32 v8, 0x4b800000, v7
	v_cmp_gt_f32_e32 vcc, s0, v7
	v_cndmask_b32_e32 v7, v7, v8, vcc
	v_rsq_f32_e32 v7, v7
	s_waitcnt vmcnt(0)
	v_cvt_f32_u32_sdwa v9, v0 dst_sel:DWORD dst_unused:UNUSED_PAD src0_sel:WORD_1
	v_cvt_f32_u32_sdwa v8, v0 dst_sel:DWORD dst_unused:UNUSED_PAD src0_sel:WORD_0
	s_mul_hi_i32 s1, s15, s6
	s_mul_i32 s0, s15, s6
	v_cvt_f32_u32_sdwa v11, v1 dst_sel:DWORD dst_unused:UNUSED_PAD src0_sel:WORD_1
	v_mul_f32_e32 v0, 0x45800000, v7
	v_cvt_f32_u32_sdwa v10, v1 dst_sel:DWORD dst_unused:UNUSED_PAD src0_sel:WORD_0
	s_lshl_b64 s[0:1], s[0:1], 1
	v_cndmask_b32_e32 v12, v7, v0, vcc
	s_add_u32 s8, s2, s0
	v_mov_b32_e32 v13, v12
	;;#ASMSTART
	v_pk_mul_f32 v[4:5], v[4:5], v[12:13]
	;;#ASMEND
	;;#ASMSTART
	v_pk_mul_f32 v[0:1], v[2:3], v[12:13]
	;;#ASMEND
	v_pk_add_f32 v[2:3], v[8:9], 1.0 op_sel_hi:[1,0]
	s_addc_u32 s0, s3, s1
	;;#ASMSTART
	v_pk_mul_f32 v[2:3], v[4:5], v[2:3]
	;;#ASMEND
	s_and_b32 s9, s0, 0xffff
	s_mov_b32 s0, 0x7060302
	v_pk_add_f32 v[4:5], v[10:11], 1.0 op_sel_hi:[1,0]
	;;#ASMSTART
	v_pk_mul_f32 v[0:1], v[0:1], v[4:5]
	;;#ASMEND
	v_perm_b32 v2, v3, v2, s0
	v_perm_b32 v3, v1, v0, s0
	buffer_store_dwordx2 v[2:3], v6, s[8:11], 0 offen
	;;#ASMSTART
	s_nop 0
	;;#ASMEND
	s_endpgm
	.section	.rodata,"a",@progbits
	.p2align	6, 0x0
	.amdhsa_kernel _ZN5aiter35fused_qk_rmsnorm_group_quant_kernelItDB8_Li64ELi4ELi16ELb0ELb1ELb1ELb1ELb0ELb0EEEvPT0_PvPT_S6_S6_PKS5_S8_S8_S8_S8_ffiiiiiiiiiiiii
		.amdhsa_group_segment_fixed_size 0
		.amdhsa_private_segment_fixed_size 0
		.amdhsa_kernarg_size 400
		.amdhsa_user_sgpr_count 6
		.amdhsa_user_sgpr_private_segment_buffer 1
		.amdhsa_user_sgpr_dispatch_ptr 0
		.amdhsa_user_sgpr_queue_ptr 0
		.amdhsa_user_sgpr_kernarg_segment_ptr 1
		.amdhsa_user_sgpr_dispatch_id 0
		.amdhsa_user_sgpr_flat_scratch_init 0
		.amdhsa_user_sgpr_kernarg_preload_length 0
		.amdhsa_user_sgpr_kernarg_preload_offset 0
		.amdhsa_user_sgpr_private_segment_size 0
		.amdhsa_uses_dynamic_stack 0
		.amdhsa_system_sgpr_private_segment_wavefront_offset 0
		.amdhsa_system_sgpr_workgroup_id_x 1
		.amdhsa_system_sgpr_workgroup_id_y 1
		.amdhsa_system_sgpr_workgroup_id_z 0
		.amdhsa_system_sgpr_workgroup_info 0
		.amdhsa_system_vgpr_workitem_id 0
		.amdhsa_next_free_vgpr 17
		.amdhsa_next_free_sgpr 32
		.amdhsa_accum_offset 20
		.amdhsa_reserve_vcc 1
		.amdhsa_reserve_flat_scratch 0
		.amdhsa_float_round_mode_32 0
		.amdhsa_float_round_mode_16_64 0
		.amdhsa_float_denorm_mode_32 3
		.amdhsa_float_denorm_mode_16_64 3
		.amdhsa_dx10_clamp 1
		.amdhsa_ieee_mode 1
		.amdhsa_fp16_overflow 0
		.amdhsa_tg_split 0
		.amdhsa_exception_fp_ieee_invalid_op 0
		.amdhsa_exception_fp_denorm_src 0
		.amdhsa_exception_fp_ieee_div_zero 0
		.amdhsa_exception_fp_ieee_overflow 0
		.amdhsa_exception_fp_ieee_underflow 0
		.amdhsa_exception_fp_ieee_inexact 0
		.amdhsa_exception_int_div_zero 0
	.end_amdhsa_kernel
	.section	.text._ZN5aiter35fused_qk_rmsnorm_group_quant_kernelItDB8_Li64ELi4ELi16ELb0ELb1ELb1ELb1ELb0ELb0EEEvPT0_PvPT_S6_S6_PKS5_S8_S8_S8_S8_ffiiiiiiiiiiiii,"axG",@progbits,_ZN5aiter35fused_qk_rmsnorm_group_quant_kernelItDB8_Li64ELi4ELi16ELb0ELb1ELb1ELb1ELb0ELb0EEEvPT0_PvPT_S6_S6_PKS5_S8_S8_S8_S8_ffiiiiiiiiiiiii,comdat
.Lfunc_end270:
	.size	_ZN5aiter35fused_qk_rmsnorm_group_quant_kernelItDB8_Li64ELi4ELi16ELb0ELb1ELb1ELb1ELb0ELb0EEEvPT0_PvPT_S6_S6_PKS5_S8_S8_S8_S8_ffiiiiiiiiiiiii, .Lfunc_end270-_ZN5aiter35fused_qk_rmsnorm_group_quant_kernelItDB8_Li64ELi4ELi16ELb0ELb1ELb1ELb1ELb0ELb0EEEvPT0_PvPT_S6_S6_PKS5_S8_S8_S8_S8_ffiiiiiiiiiiiii
                                        ; -- End function
	.section	.AMDGPU.csdata,"",@progbits
; Kernel info:
; codeLenInByte = 1580
; NumSgprs: 36
; NumVgprs: 17
; NumAgprs: 0
; TotalNumVgprs: 17
; ScratchSize: 0
; MemoryBound: 0
; FloatMode: 240
; IeeeMode: 1
; LDSByteSize: 0 bytes/workgroup (compile time only)
; SGPRBlocks: 4
; VGPRBlocks: 2
; NumSGPRsForWavesPerEU: 36
; NumVGPRsForWavesPerEU: 17
; AccumOffset: 20
; Occupancy: 8
; WaveLimiterHint : 0
; COMPUTE_PGM_RSRC2:SCRATCH_EN: 0
; COMPUTE_PGM_RSRC2:USER_SGPR: 6
; COMPUTE_PGM_RSRC2:TRAP_HANDLER: 0
; COMPUTE_PGM_RSRC2:TGID_X_EN: 1
; COMPUTE_PGM_RSRC2:TGID_Y_EN: 1
; COMPUTE_PGM_RSRC2:TGID_Z_EN: 0
; COMPUTE_PGM_RSRC2:TIDIG_COMP_CNT: 0
; COMPUTE_PGM_RSRC3_GFX90A:ACCUM_OFFSET: 4
; COMPUTE_PGM_RSRC3_GFX90A:TG_SPLIT: 0
	.section	.text._ZN5aiter35fused_qk_rmsnorm_group_quant_kernelIDF16_DB8_Li64ELi4ELi16ELb0ELb1ELb0ELb1ELb0ELb0EEEvPT0_PvPT_S6_S6_PKS5_S8_S8_S8_S8_ffiiiiiiiiiiiii,"axG",@progbits,_ZN5aiter35fused_qk_rmsnorm_group_quant_kernelIDF16_DB8_Li64ELi4ELi16ELb0ELb1ELb0ELb1ELb0ELb0EEEvPT0_PvPT_S6_S6_PKS5_S8_S8_S8_S8_ffiiiiiiiiiiiii,comdat
	.protected	_ZN5aiter35fused_qk_rmsnorm_group_quant_kernelIDF16_DB8_Li64ELi4ELi16ELb0ELb1ELb0ELb1ELb0ELb0EEEvPT0_PvPT_S6_S6_PKS5_S8_S8_S8_S8_ffiiiiiiiiiiiii ; -- Begin function _ZN5aiter35fused_qk_rmsnorm_group_quant_kernelIDF16_DB8_Li64ELi4ELi16ELb0ELb1ELb0ELb1ELb0ELb0EEEvPT0_PvPT_S6_S6_PKS5_S8_S8_S8_S8_ffiiiiiiiiiiiii
	.globl	_ZN5aiter35fused_qk_rmsnorm_group_quant_kernelIDF16_DB8_Li64ELi4ELi16ELb0ELb1ELb0ELb1ELb0ELb0EEEvPT0_PvPT_S6_S6_PKS5_S8_S8_S8_S8_ffiiiiiiiiiiiii
	.p2align	8
	.type	_ZN5aiter35fused_qk_rmsnorm_group_quant_kernelIDF16_DB8_Li64ELi4ELi16ELb0ELb1ELb0ELb1ELb0ELb0EEEvPT0_PvPT_S6_S6_PKS5_S8_S8_S8_S8_ffiiiiiiiiiiiii,@function
_ZN5aiter35fused_qk_rmsnorm_group_quant_kernelIDF16_DB8_Li64ELi4ELi16ELb0ELb1ELb0ELb1ELb0ELb0EEEvPT0_PvPT_S6_S6_PKS5_S8_S8_S8_S8_ffiiiiiiiiiiiii: ; @_ZN5aiter35fused_qk_rmsnorm_group_quant_kernelIDF16_DB8_Li64ELi4ELi16ELb0ELb1ELb0ELb1ELb0ELb0EEEvPT0_PvPT_S6_S6_PKS5_S8_S8_S8_S8_ffiiiiiiiiiiiii
; %bb.0:
	s_load_dwordx4 s[12:15], s[4:5], 0x50
	s_waitcnt lgkmcnt(0)
	s_cmp_ge_i32 s6, s14
	s_cbranch_scc1 .LBB271_8
; %bb.1:
	s_load_dwordx2 s[24:25], s[4:5], 0x30
	s_load_dwordx2 s[8:9], s[4:5], 0x48
	s_load_dwordx4 s[16:19], s[4:5], 0x60
	s_cmp_lg_u32 s7, 0
	s_cselect_b64 s[10:11], -1, 0
	s_cmp_eq_u32 s7, 0
	s_cselect_b64 vcc, -1, 0
	s_and_b64 s[0:1], vcc, exec
	s_waitcnt lgkmcnt(0)
	s_cselect_b32 s7, s15, s16
	s_add_i32 s0, s7, 1
	s_lshr_b32 s1, s0, 31
	s_add_i32 s0, s0, s1
	s_lshl_b32 s0, s0, 1
	v_lshlrev_b32_e32 v1, 2, v0
	s_and_b32 s22, s0, -4
	v_cmp_gt_i32_e64 s[0:1], s7, v1
	v_mov_b32_e32 v6, 0
	v_mov_b32_e32 v7, 0
	;; [unrolled: 1-line block ×4, first 2 shown]
	s_and_saveexec_b64 s[2:3], s[0:1]
	s_cbranch_execz .LBB271_3
; %bb.2:
	s_load_dwordx2 s[14:15], s[4:5], 0x28
	s_load_dwordx2 s[20:21], s[4:5], 0x40
	s_and_b64 s[26:27], vcc, exec
	s_cselect_b32 s17, s17, s18
	v_lshlrev_b32_e32 v4, 3, v0
	s_waitcnt lgkmcnt(0)
	s_cselect_b32 s19, s15, s25
	s_cselect_b32 s23, s14, s24
	s_mul_hi_i32 s15, s17, s6
	s_mul_i32 s14, s17, s6
	s_lshl_b64 s[14:15], s[14:15], 1
	s_add_u32 s28, s23, s14
	s_addc_u32 s17, s19, s15
	s_and_b64 s[14:15], vcc, exec
	s_mov_b32 s23, 0x20000
	s_cselect_b32 s20, s20, s8
	s_cselect_b32 s14, s21, s9
	s_and_b32 s29, s17, 0xffff
	s_mov_b32 s30, s22
	s_mov_b32 s31, s23
	s_and_b32 s21, s14, 0xffff
	buffer_load_dwordx2 v[2:3], v4, s[28:31], 0 offen glc slc
	buffer_load_dwordx2 v[6:7], v4, s[20:23], 0 offen
.LBB271_3:
	s_or_b64 exec, exec, s[2:3]
	s_waitcnt vmcnt(1)
	v_cvt_f32_f16_e32 v4, v3
	v_cvt_f32_f16_e32 v5, v2
	v_cvt_f32_f16_sdwa v3, v3 dst_sel:DWORD dst_unused:UNUSED_PAD src0_sel:WORD_1
	v_cvt_f32_f16_sdwa v8, v2 dst_sel:DWORD dst_unused:UNUSED_PAD src0_sel:WORD_1
	v_cndmask_b32_e64 v4, 0, v4, s[0:1]
	v_cndmask_b32_e64 v2, 0, v5, s[0:1]
	;; [unrolled: 1-line block ×4, first 2 shown]
	v_mul_f32_e32 v8, v3, v3
	v_fmac_f32_e32 v8, v2, v2
	v_fmac_f32_e32 v8, v4, v4
	v_fmac_f32_e32 v8, v5, v5
	v_bfrev_b32_e32 v10, 0.5
	s_load_dwordx2 s[2:3], s[4:5], 0x18
	v_mov_b32_dpp v9, v8 quad_perm:[1,0,3,2] row_mask:0xf bank_mask:0xf
	v_add_f32_e32 v8, v8, v9
	s_nop 1
	v_mov_b32_dpp v9, v8 quad_perm:[2,3,0,1] row_mask:0xf bank_mask:0xf
	v_add_f32_e32 v8, v8, v9
	s_nop 1
	v_mov_b32_dpp v9, v8 row_half_mirror row_mask:0xf bank_mask:0xf
	v_add_f32_e32 v8, v8, v9
	s_nop 1
	v_mov_b32_dpp v9, v8 row_mirror row_mask:0xf bank_mask:0xf
	v_add_f32_e32 v8, v8, v9
	s_nop 1
	v_mov_b32_dpp v9, v8 row_bcast:15 row_mask:0xf bank_mask:0xf
	v_add_f32_e32 v8, v8, v9
	s_nop 1
	v_mov_b32_dpp v9, v8 row_bcast:31 row_mask:0xf bank_mask:0xf
	v_add_f32_e32 v9, v8, v9
	v_mbcnt_lo_u32_b32 v8, -1, 0
	v_mbcnt_hi_u32_b32 v8, -1, v8
	v_lshl_or_b32 v8, v8, 2, v10
	ds_bpermute_b32 v9, v8, v9
	s_and_saveexec_b64 s[14:15], s[0:1]
	s_cbranch_execz .LBB271_5
; %bb.4:
	v_cvt_f32_u32_e32 v10, s7
	v_mov_b32_e32 v11, s13
	v_mov_b32_e32 v12, s12
	v_cndmask_b32_e32 v11, v11, v12, vcc
	s_waitcnt lgkmcnt(0)
	v_div_scale_f32 v13, s[20:21], v10, v10, v9
	v_rcp_f32_e32 v14, v13
	v_div_scale_f32 v12, vcc, v9, v10, v9
	s_mov_b32 s7, 0x800000
	v_fma_f32 v15, -v13, v14, 1.0
	v_fmac_f32_e32 v14, v15, v14
	v_mul_f32_e32 v15, v12, v14
	v_fma_f32 v16, -v13, v15, v12
	v_fmac_f32_e32 v15, v16, v14
	v_fma_f32 v12, -v13, v15, v12
	v_div_fmas_f32 v12, v12, v14, v15
	v_div_fixup_f32 v9, v12, v10, v9
	v_add_f32_e32 v9, v11, v9
	v_mul_f32_e32 v10, 0x4b800000, v9
	v_cmp_gt_f32_e32 vcc, s7, v9
	v_cndmask_b32_e32 v9, v9, v10, vcc
	v_rsq_f32_e32 v9, v9
	s_waitcnt vmcnt(0)
	v_cvt_f32_f16_sdwa v13, v6 dst_sel:DWORD dst_unused:UNUSED_PAD src0_sel:WORD_1
	v_cvt_f32_f16_e32 v12, v6
	v_cvt_f32_f16_sdwa v15, v7 dst_sel:DWORD dst_unused:UNUSED_PAD src0_sel:WORD_1
	v_mul_f32_e32 v10, 0x45800000, v9
	v_cndmask_b32_e32 v10, v9, v10, vcc
	v_mov_b32_e32 v11, v10
	;;#ASMSTART
	v_pk_mul_f32 v[2:3], v[2:3], v[10:11]
	;;#ASMEND
	;;#ASMSTART
	v_pk_mul_f32 v[4:5], v[4:5], v[10:11]
	;;#ASMEND
	v_cvt_f32_f16_e32 v14, v7
	;;#ASMSTART
	v_pk_mul_f32 v[2:3], v[2:3], v[12:13]
	;;#ASMEND
	;;#ASMSTART
	v_pk_mul_f32 v[4:5], v[4:5], v[14:15]
	;;#ASMEND
.LBB271_5:
	s_or_b64 exec, exec, s[14:15]
	s_load_dwordx2 s[14:15], s[4:5], 0x7c
	s_mov_b64 s[20:21], -1
	s_and_b64 vcc, exec, s[10:11]
	s_cbranch_vccnz .LBB271_9
; %bb.6:
	s_andn2_b64 vcc, exec, s[20:21]
	s_cbranch_vccz .LBB271_12
.LBB271_7:
	s_cmp_lt_i32 s16, 1
	s_cbranch_scc0 .LBB271_15
.LBB271_8:
	s_endpgm
.LBB271_9:
	s_and_saveexec_b64 s[10:11], s[0:1]
	s_cbranch_execz .LBB271_11
; %bb.10:
	s_waitcnt lgkmcnt(0)
	s_mul_hi_i32 s21, s15, s6
	s_mul_i32 s20, s15, s6
	s_waitcnt vmcnt(0)
	v_cvt_f16_f32_e32 v6, v2
	v_cvt_f16_f32_e32 v7, v4
	;; [unrolled: 1-line block ×4, first 2 shown]
	s_lshl_b64 s[20:21], s[20:21], 1
	s_add_u32 s20, s2, s20
	s_addc_u32 s7, s3, s21
	s_and_b32 s21, s7, 0xffff
	s_mov_b32 s23, 0x20000
	v_pack_b32_f16 v7, v7, v9
	v_pack_b32_f16 v6, v6, v10
	v_lshlrev_b32_e32 v9, 3, v0
	buffer_store_dwordx2 v[6:7], v9, s[20:23], 0 offen
	;;#ASMSTART
	s_nop 0
	;;#ASMEND
.LBB271_11:
	s_or_b64 exec, exec, s[10:11]
	s_cbranch_execnz .LBB271_7
.LBB271_12:
	s_and_saveexec_b64 s[10:11], s[0:1]
	s_cbranch_execz .LBB271_14
; %bb.13:
	s_load_dwordx2 s[0:1], s[4:5], 0x10
	s_waitcnt lgkmcnt(0)
	s_mul_hi_i32 s21, s14, s6
	s_mul_i32 s20, s14, s6
	v_cvt_f16_f32_e32 v2, v2
	v_cvt_f16_f32_e32 v4, v4
	;; [unrolled: 1-line block ×3, first 2 shown]
	s_waitcnt vmcnt(0)
	v_cvt_f16_f32_e32 v6, v3
	s_lshl_b64 s[20:21], s[20:21], 1
	s_add_u32 s20, s0, s20
	s_addc_u32 s0, s1, s21
	s_and_b32 s21, s0, 0xffff
	s_mov_b32 s23, 0x20000
	v_pack_b32_f16 v3, v4, v5
	v_pack_b32_f16 v2, v2, v6
	v_lshlrev_b32_e32 v4, 3, v0
	buffer_store_dwordx2 v[2:3], v4, s[20:23], 0 offen
	;;#ASMSTART
	s_nop 0
	;;#ASMEND
.LBB271_14:
	s_or_b64 exec, exec, s[10:11]
	s_cmp_lt_i32 s16, 1
	s_cbranch_scc1 .LBB271_8
.LBB271_15:
	s_load_dword s0, s[4:5], 0x94
	s_waitcnt lgkmcnt(0)
	s_cmp_lg_u32 s0, 1
	s_cbranch_scc1 .LBB271_8
; %bb.16:
	s_lshl_b32 s0, s16, 1
	s_add_i32 s0, s0, 2
	v_cmp_gt_u32_e32 vcc, s16, v1
	s_and_b32 s10, s0, -4
	v_mov_b32_e32 v2, 0
	s_waitcnt vmcnt(0)
	v_lshlrev_b32_e32 v6, 3, v0
	v_mov_b32_e32 v3, 0
	v_mov_b32_e32 v0, 0
	;; [unrolled: 1-line block ×3, first 2 shown]
	s_barrier
	s_and_saveexec_b64 s[0:1], vcc
	s_cbranch_execz .LBB271_18
; %bb.17:
	s_mul_hi_i32 s5, s18, s6
	s_mul_i32 s4, s18, s6
	s_and_b32 s9, s9, 0xffff
	s_lshl_b64 s[4:5], s[4:5], 1
	s_add_u32 s20, s24, s4
	s_mov_b32 s11, 0x20000
	s_addc_u32 s4, s25, s5
	s_and_b32 s21, s4, 0xffff
	s_mov_b32 s22, s10
	s_mov_b32 s23, s11
	buffer_load_dwordx2 v[2:3], v6, s[20:23], 0 offen glc slc
	buffer_load_dwordx2 v[0:1], v6, s[8:11], 0 offen
.LBB271_18:
	s_or_b64 exec, exec, s[0:1]
	s_waitcnt vmcnt(1)
	v_cvt_f32_f16_e32 v4, v3
	v_cvt_f32_f16_e32 v5, v2
	v_cvt_f32_f16_sdwa v7, v2 dst_sel:DWORD dst_unused:UNUSED_PAD src0_sel:WORD_1
	v_cvt_f32_f16_sdwa v3, v3 dst_sel:DWORD dst_unused:UNUSED_PAD src0_sel:WORD_1
	v_cndmask_b32_e32 v2, 0, v4, vcc
	v_cndmask_b32_e32 v4, 0, v5, vcc
	;; [unrolled: 1-line block ×3, first 2 shown]
	v_mul_f32_e32 v7, v5, v5
	v_fmac_f32_e32 v7, v4, v4
	v_cndmask_b32_e32 v3, 0, v3, vcc
	v_fmac_f32_e32 v7, v2, v2
	v_fmac_f32_e32 v7, v3, v3
	s_nop 1
	v_mov_b32_dpp v9, v7 quad_perm:[1,0,3,2] row_mask:0xf bank_mask:0xf
	v_add_f32_e32 v7, v7, v9
	s_nop 1
	v_mov_b32_dpp v9, v7 quad_perm:[2,3,0,1] row_mask:0xf bank_mask:0xf
	v_add_f32_e32 v7, v7, v9
	s_nop 1
	v_mov_b32_dpp v9, v7 row_half_mirror row_mask:0xf bank_mask:0xf
	v_add_f32_e32 v7, v7, v9
	s_nop 1
	v_mov_b32_dpp v9, v7 row_mirror row_mask:0xf bank_mask:0xf
	v_add_f32_e32 v7, v7, v9
	s_nop 1
	v_mov_b32_dpp v9, v7 row_bcast:15 row_mask:0xf bank_mask:0xf
	v_add_f32_e32 v7, v7, v9
	s_nop 1
	v_mov_b32_dpp v9, v7 row_bcast:31 row_mask:0xf bank_mask:0xf
	v_add_f32_e32 v7, v7, v9
	ds_bpermute_b32 v7, v8, v7
	s_and_saveexec_b64 s[0:1], vcc
	s_cbranch_execz .LBB271_8
; %bb.19:
	v_cvt_f32_u32_e32 v8, s16
	s_mov_b32 s11, 0x20000
	s_waitcnt lgkmcnt(0)
	v_div_scale_f32 v9, s[0:1], v8, v8, v7
	v_rcp_f32_e32 v10, v9
	v_div_scale_f32 v11, vcc, v7, v8, v7
	s_mov_b32 s0, 0x800000
	v_fma_f32 v12, -v9, v10, 1.0
	v_fmac_f32_e32 v10, v12, v10
	v_mul_f32_e32 v12, v11, v10
	v_fma_f32 v13, -v9, v12, v11
	v_fmac_f32_e32 v12, v13, v10
	v_fma_f32 v9, -v9, v12, v11
	v_div_fmas_f32 v9, v9, v10, v12
	v_div_fixup_f32 v7, v9, v8, v7
	v_add_f32_e32 v7, s13, v7
	v_mul_f32_e32 v8, 0x4b800000, v7
	v_cmp_gt_f32_e32 vcc, s0, v7
	v_cndmask_b32_e32 v7, v7, v8, vcc
	v_rsq_f32_e32 v7, v7
	s_waitcnt vmcnt(0)
	v_cvt_f32_f16_sdwa v9, v0 dst_sel:DWORD dst_unused:UNUSED_PAD src0_sel:WORD_1
	v_cvt_f32_f16_e32 v8, v0
	v_cvt_f32_f16_sdwa v11, v1 dst_sel:DWORD dst_unused:UNUSED_PAD src0_sel:WORD_1
	v_mul_f32_e32 v0, 0x45800000, v7
	v_cndmask_b32_e32 v12, v7, v0, vcc
	v_mov_b32_e32 v13, v12
	v_cvt_f32_f16_e32 v10, v1
	;;#ASMSTART
	v_pk_mul_f32 v[0:1], v[4:5], v[12:13]
	;;#ASMEND
	;;#ASMSTART
	v_pk_mul_f32 v[2:3], v[2:3], v[12:13]
	;;#ASMEND
	;; [unrolled: 3-line block ×4, first 2 shown]
	s_mul_hi_i32 s1, s15, s6
	s_mul_i32 s0, s15, s6
	v_cvt_f16_f32_e32 v0, v0
	v_cvt_f16_f32_e32 v1, v1
	;; [unrolled: 1-line block ×4, first 2 shown]
	s_lshl_b64 s[0:1], s[0:1], 1
	s_add_u32 s8, s2, s0
	s_addc_u32 s0, s3, s1
	s_and_b32 s9, s0, 0xffff
	v_pack_b32_f16 v0, v0, v1
	v_pack_b32_f16 v1, v2, v3
	buffer_store_dwordx2 v[0:1], v6, s[8:11], 0 offen
	;;#ASMSTART
	s_nop 0
	;;#ASMEND
	s_endpgm
	.section	.rodata,"a",@progbits
	.p2align	6, 0x0
	.amdhsa_kernel _ZN5aiter35fused_qk_rmsnorm_group_quant_kernelIDF16_DB8_Li64ELi4ELi16ELb0ELb1ELb0ELb1ELb0ELb0EEEvPT0_PvPT_S6_S6_PKS5_S8_S8_S8_S8_ffiiiiiiiiiiiii
		.amdhsa_group_segment_fixed_size 0
		.amdhsa_private_segment_fixed_size 0
		.amdhsa_kernarg_size 400
		.amdhsa_user_sgpr_count 6
		.amdhsa_user_sgpr_private_segment_buffer 1
		.amdhsa_user_sgpr_dispatch_ptr 0
		.amdhsa_user_sgpr_queue_ptr 0
		.amdhsa_user_sgpr_kernarg_segment_ptr 1
		.amdhsa_user_sgpr_dispatch_id 0
		.amdhsa_user_sgpr_flat_scratch_init 0
		.amdhsa_user_sgpr_kernarg_preload_length 0
		.amdhsa_user_sgpr_kernarg_preload_offset 0
		.amdhsa_user_sgpr_private_segment_size 0
		.amdhsa_uses_dynamic_stack 0
		.amdhsa_system_sgpr_private_segment_wavefront_offset 0
		.amdhsa_system_sgpr_workgroup_id_x 1
		.amdhsa_system_sgpr_workgroup_id_y 1
		.amdhsa_system_sgpr_workgroup_id_z 0
		.amdhsa_system_sgpr_workgroup_info 0
		.amdhsa_system_vgpr_workitem_id 0
		.amdhsa_next_free_vgpr 17
		.amdhsa_next_free_sgpr 32
		.amdhsa_accum_offset 20
		.amdhsa_reserve_vcc 1
		.amdhsa_reserve_flat_scratch 0
		.amdhsa_float_round_mode_32 0
		.amdhsa_float_round_mode_16_64 0
		.amdhsa_float_denorm_mode_32 3
		.amdhsa_float_denorm_mode_16_64 3
		.amdhsa_dx10_clamp 1
		.amdhsa_ieee_mode 1
		.amdhsa_fp16_overflow 0
		.amdhsa_tg_split 0
		.amdhsa_exception_fp_ieee_invalid_op 0
		.amdhsa_exception_fp_denorm_src 0
		.amdhsa_exception_fp_ieee_div_zero 0
		.amdhsa_exception_fp_ieee_overflow 0
		.amdhsa_exception_fp_ieee_underflow 0
		.amdhsa_exception_fp_ieee_inexact 0
		.amdhsa_exception_int_div_zero 0
	.end_amdhsa_kernel
	.section	.text._ZN5aiter35fused_qk_rmsnorm_group_quant_kernelIDF16_DB8_Li64ELi4ELi16ELb0ELb1ELb0ELb1ELb0ELb0EEEvPT0_PvPT_S6_S6_PKS5_S8_S8_S8_S8_ffiiiiiiiiiiiii,"axG",@progbits,_ZN5aiter35fused_qk_rmsnorm_group_quant_kernelIDF16_DB8_Li64ELi4ELi16ELb0ELb1ELb0ELb1ELb0ELb0EEEvPT0_PvPT_S6_S6_PKS5_S8_S8_S8_S8_ffiiiiiiiiiiiii,comdat
.Lfunc_end271:
	.size	_ZN5aiter35fused_qk_rmsnorm_group_quant_kernelIDF16_DB8_Li64ELi4ELi16ELb0ELb1ELb0ELb1ELb0ELb0EEEvPT0_PvPT_S6_S6_PKS5_S8_S8_S8_S8_ffiiiiiiiiiiiii, .Lfunc_end271-_ZN5aiter35fused_qk_rmsnorm_group_quant_kernelIDF16_DB8_Li64ELi4ELi16ELb0ELb1ELb0ELb1ELb0ELb0EEEvPT0_PvPT_S6_S6_PKS5_S8_S8_S8_S8_ffiiiiiiiiiiiii
                                        ; -- End function
	.section	.AMDGPU.csdata,"",@progbits
; Kernel info:
; codeLenInByte = 1544
; NumSgprs: 36
; NumVgprs: 17
; NumAgprs: 0
; TotalNumVgprs: 17
; ScratchSize: 0
; MemoryBound: 0
; FloatMode: 240
; IeeeMode: 1
; LDSByteSize: 0 bytes/workgroup (compile time only)
; SGPRBlocks: 4
; VGPRBlocks: 2
; NumSGPRsForWavesPerEU: 36
; NumVGPRsForWavesPerEU: 17
; AccumOffset: 20
; Occupancy: 8
; WaveLimiterHint : 0
; COMPUTE_PGM_RSRC2:SCRATCH_EN: 0
; COMPUTE_PGM_RSRC2:USER_SGPR: 6
; COMPUTE_PGM_RSRC2:TRAP_HANDLER: 0
; COMPUTE_PGM_RSRC2:TGID_X_EN: 1
; COMPUTE_PGM_RSRC2:TGID_Y_EN: 1
; COMPUTE_PGM_RSRC2:TGID_Z_EN: 0
; COMPUTE_PGM_RSRC2:TIDIG_COMP_CNT: 0
; COMPUTE_PGM_RSRC3_GFX90A:ACCUM_OFFSET: 4
; COMPUTE_PGM_RSRC3_GFX90A:TG_SPLIT: 0
	.section	.text._ZN5aiter35fused_qk_rmsnorm_group_quant_kernelItDB8_Li64ELi4ELi16ELb0ELb1ELb0ELb1ELb0ELb0EEEvPT0_PvPT_S6_S6_PKS5_S8_S8_S8_S8_ffiiiiiiiiiiiii,"axG",@progbits,_ZN5aiter35fused_qk_rmsnorm_group_quant_kernelItDB8_Li64ELi4ELi16ELb0ELb1ELb0ELb1ELb0ELb0EEEvPT0_PvPT_S6_S6_PKS5_S8_S8_S8_S8_ffiiiiiiiiiiiii,comdat
	.protected	_ZN5aiter35fused_qk_rmsnorm_group_quant_kernelItDB8_Li64ELi4ELi16ELb0ELb1ELb0ELb1ELb0ELb0EEEvPT0_PvPT_S6_S6_PKS5_S8_S8_S8_S8_ffiiiiiiiiiiiii ; -- Begin function _ZN5aiter35fused_qk_rmsnorm_group_quant_kernelItDB8_Li64ELi4ELi16ELb0ELb1ELb0ELb1ELb0ELb0EEEvPT0_PvPT_S6_S6_PKS5_S8_S8_S8_S8_ffiiiiiiiiiiiii
	.globl	_ZN5aiter35fused_qk_rmsnorm_group_quant_kernelItDB8_Li64ELi4ELi16ELb0ELb1ELb0ELb1ELb0ELb0EEEvPT0_PvPT_S6_S6_PKS5_S8_S8_S8_S8_ffiiiiiiiiiiiii
	.p2align	8
	.type	_ZN5aiter35fused_qk_rmsnorm_group_quant_kernelItDB8_Li64ELi4ELi16ELb0ELb1ELb0ELb1ELb0ELb0EEEvPT0_PvPT_S6_S6_PKS5_S8_S8_S8_S8_ffiiiiiiiiiiiii,@function
_ZN5aiter35fused_qk_rmsnorm_group_quant_kernelItDB8_Li64ELi4ELi16ELb0ELb1ELb0ELb1ELb0ELb0EEEvPT0_PvPT_S6_S6_PKS5_S8_S8_S8_S8_ffiiiiiiiiiiiii: ; @_ZN5aiter35fused_qk_rmsnorm_group_quant_kernelItDB8_Li64ELi4ELi16ELb0ELb1ELb0ELb1ELb0ELb0EEEvPT0_PvPT_S6_S6_PKS5_S8_S8_S8_S8_ffiiiiiiiiiiiii
; %bb.0:
	s_load_dwordx4 s[12:15], s[4:5], 0x50
	s_waitcnt lgkmcnt(0)
	s_cmp_ge_i32 s6, s14
	s_cbranch_scc1 .LBB272_8
; %bb.1:
	s_load_dwordx2 s[24:25], s[4:5], 0x30
	s_load_dwordx2 s[8:9], s[4:5], 0x48
	s_load_dwordx4 s[16:19], s[4:5], 0x60
	s_cmp_lg_u32 s7, 0
	s_cselect_b64 s[10:11], -1, 0
	s_cmp_eq_u32 s7, 0
	s_cselect_b64 vcc, -1, 0
	s_and_b64 s[0:1], vcc, exec
	s_waitcnt lgkmcnt(0)
	s_cselect_b32 s7, s15, s16
	s_add_i32 s0, s7, 1
	s_lshr_b32 s1, s0, 31
	s_add_i32 s0, s0, s1
	s_lshl_b32 s0, s0, 1
	v_lshlrev_b32_e32 v1, 2, v0
	s_and_b32 s22, s0, -4
	v_cmp_gt_i32_e64 s[0:1], s7, v1
	v_mov_b32_e32 v6, 0
	v_mov_b32_e32 v7, 0
	;; [unrolled: 1-line block ×4, first 2 shown]
	s_and_saveexec_b64 s[2:3], s[0:1]
	s_cbranch_execz .LBB272_3
; %bb.2:
	s_load_dwordx2 s[14:15], s[4:5], 0x28
	s_load_dwordx2 s[20:21], s[4:5], 0x40
	s_and_b64 s[26:27], vcc, exec
	s_cselect_b32 s17, s17, s18
	v_lshlrev_b32_e32 v4, 3, v0
	s_waitcnt lgkmcnt(0)
	s_cselect_b32 s19, s15, s25
	s_cselect_b32 s23, s14, s24
	s_mul_hi_i32 s15, s17, s6
	s_mul_i32 s14, s17, s6
	s_lshl_b64 s[14:15], s[14:15], 1
	s_add_u32 s28, s23, s14
	s_addc_u32 s17, s19, s15
	s_and_b64 s[14:15], vcc, exec
	s_mov_b32 s23, 0x20000
	s_cselect_b32 s20, s20, s8
	s_cselect_b32 s14, s21, s9
	s_and_b32 s29, s17, 0xffff
	s_mov_b32 s30, s22
	s_mov_b32 s31, s23
	s_and_b32 s21, s14, 0xffff
	buffer_load_dwordx2 v[2:3], v4, s[28:31], 0 offen glc slc
	buffer_load_dwordx2 v[6:7], v4, s[20:23], 0 offen
.LBB272_3:
	s_or_b64 exec, exec, s[2:3]
	s_waitcnt vmcnt(1)
	v_cvt_f32_u32_sdwa v4, v3 dst_sel:DWORD dst_unused:UNUSED_PAD src0_sel:WORD_1
	v_cvt_f32_u32_sdwa v3, v3 dst_sel:DWORD dst_unused:UNUSED_PAD src0_sel:WORD_0
	v_cvt_f32_u32_sdwa v8, v2 dst_sel:DWORD dst_unused:UNUSED_PAD src0_sel:WORD_1
	v_cvt_f32_u32_sdwa v2, v2 dst_sel:DWORD dst_unused:UNUSED_PAD src0_sel:WORD_0
	v_cndmask_b32_e64 v5, 0, v4, s[0:1]
	v_cndmask_b32_e64 v4, 0, v3, s[0:1]
	;; [unrolled: 1-line block ×4, first 2 shown]
	v_mul_f32_e32 v8, v3, v3
	v_fmac_f32_e32 v8, v2, v2
	v_fmac_f32_e32 v8, v4, v4
	;; [unrolled: 1-line block ×3, first 2 shown]
	v_bfrev_b32_e32 v10, 0.5
	s_load_dwordx2 s[2:3], s[4:5], 0x18
	v_mov_b32_dpp v9, v8 quad_perm:[1,0,3,2] row_mask:0xf bank_mask:0xf
	v_add_f32_e32 v8, v8, v9
	s_nop 1
	v_mov_b32_dpp v9, v8 quad_perm:[2,3,0,1] row_mask:0xf bank_mask:0xf
	v_add_f32_e32 v8, v8, v9
	s_nop 1
	v_mov_b32_dpp v9, v8 row_half_mirror row_mask:0xf bank_mask:0xf
	v_add_f32_e32 v8, v8, v9
	s_nop 1
	v_mov_b32_dpp v9, v8 row_mirror row_mask:0xf bank_mask:0xf
	v_add_f32_e32 v8, v8, v9
	s_nop 1
	v_mov_b32_dpp v9, v8 row_bcast:15 row_mask:0xf bank_mask:0xf
	v_add_f32_e32 v8, v8, v9
	s_nop 1
	v_mov_b32_dpp v9, v8 row_bcast:31 row_mask:0xf bank_mask:0xf
	v_add_f32_e32 v9, v8, v9
	v_mbcnt_lo_u32_b32 v8, -1, 0
	v_mbcnt_hi_u32_b32 v8, -1, v8
	v_lshl_or_b32 v8, v8, 2, v10
	ds_bpermute_b32 v9, v8, v9
	s_and_saveexec_b64 s[14:15], s[0:1]
	s_cbranch_execz .LBB272_5
; %bb.4:
	v_cvt_f32_u32_e32 v10, s7
	v_mov_b32_e32 v11, s13
	v_mov_b32_e32 v12, s12
	v_cndmask_b32_e32 v11, v11, v12, vcc
	s_waitcnt lgkmcnt(0)
	v_div_scale_f32 v13, s[20:21], v10, v10, v9
	v_rcp_f32_e32 v14, v13
	v_div_scale_f32 v12, vcc, v9, v10, v9
	s_mov_b32 s7, 0x800000
	v_fma_f32 v15, -v13, v14, 1.0
	v_fmac_f32_e32 v14, v15, v14
	v_mul_f32_e32 v15, v12, v14
	v_fma_f32 v16, -v13, v15, v12
	v_fmac_f32_e32 v15, v16, v14
	v_fma_f32 v12, -v13, v15, v12
	v_div_fmas_f32 v12, v12, v14, v15
	v_div_fixup_f32 v9, v12, v10, v9
	v_add_f32_e32 v9, v11, v9
	v_mul_f32_e32 v10, 0x4b800000, v9
	v_cmp_gt_f32_e32 vcc, s7, v9
	v_cndmask_b32_e32 v9, v9, v10, vcc
	v_rsq_f32_e32 v9, v9
	s_waitcnt vmcnt(0)
	v_cvt_f32_u32_sdwa v13, v6 dst_sel:DWORD dst_unused:UNUSED_PAD src0_sel:WORD_1
	v_cvt_f32_u32_sdwa v12, v6 dst_sel:DWORD dst_unused:UNUSED_PAD src0_sel:WORD_0
	v_cvt_f32_u32_sdwa v15, v7 dst_sel:DWORD dst_unused:UNUSED_PAD src0_sel:WORD_1
	v_mul_f32_e32 v10, 0x45800000, v9
	v_cndmask_b32_e32 v10, v9, v10, vcc
	v_mov_b32_e32 v11, v10
	;;#ASMSTART
	v_pk_mul_f32 v[2:3], v[2:3], v[10:11]
	;;#ASMEND
	;;#ASMSTART
	v_pk_mul_f32 v[4:5], v[4:5], v[10:11]
	;;#ASMEND
	v_cvt_f32_u32_sdwa v14, v7 dst_sel:DWORD dst_unused:UNUSED_PAD src0_sel:WORD_0
	;;#ASMSTART
	v_pk_mul_f32 v[2:3], v[2:3], v[12:13]
	;;#ASMEND
	;;#ASMSTART
	v_pk_mul_f32 v[4:5], v[4:5], v[14:15]
	;;#ASMEND
.LBB272_5:
	s_or_b64 exec, exec, s[14:15]
	s_load_dwordx2 s[14:15], s[4:5], 0x7c
	s_mov_b64 s[20:21], -1
	s_and_b64 vcc, exec, s[10:11]
	s_cbranch_vccnz .LBB272_9
; %bb.6:
	s_andn2_b64 vcc, exec, s[20:21]
	s_cbranch_vccz .LBB272_12
.LBB272_7:
	s_cmp_lt_i32 s16, 1
	s_cbranch_scc0 .LBB272_15
.LBB272_8:
	s_endpgm
.LBB272_9:
	s_and_saveexec_b64 s[10:11], s[0:1]
	s_cbranch_execz .LBB272_11
; %bb.10:
	s_waitcnt lgkmcnt(0)
	s_mul_hi_i32 s21, s15, s6
	s_mul_i32 s20, s15, s6
	s_lshl_b64 s[20:21], s[20:21], 1
	s_add_u32 s20, s2, s20
	s_addc_u32 s7, s3, s21
	s_and_b32 s21, s7, 0xffff
	s_mov_b32 s7, 0x7060302
	s_mov_b32 s23, 0x20000
	s_waitcnt vmcnt(0)
	v_perm_b32 v6, v3, v2, s7
	v_perm_b32 v7, v5, v4, s7
	v_lshlrev_b32_e32 v9, 3, v0
	buffer_store_dwordx2 v[6:7], v9, s[20:23], 0 offen
	;;#ASMSTART
	s_nop 0
	;;#ASMEND
.LBB272_11:
	s_or_b64 exec, exec, s[10:11]
	s_cbranch_execnz .LBB272_7
.LBB272_12:
	s_and_saveexec_b64 s[10:11], s[0:1]
	s_cbranch_execz .LBB272_14
; %bb.13:
	s_load_dwordx2 s[0:1], s[4:5], 0x10
	s_waitcnt lgkmcnt(0)
	s_mul_hi_i32 s21, s14, s6
	s_mul_i32 s20, s14, s6
	s_lshl_b64 s[20:21], s[20:21], 1
	s_mov_b32 s23, 0x20000
	s_add_u32 s20, s0, s20
	s_addc_u32 s0, s1, s21
	s_and_b32 s21, s0, 0xffff
	s_mov_b32 s0, 0x7060302
	v_perm_b32 v2, v3, v2, s0
	v_perm_b32 v3, v5, v4, s0
	v_lshlrev_b32_e32 v4, 3, v0
	buffer_store_dwordx2 v[2:3], v4, s[20:23], 0 offen
	;;#ASMSTART
	s_nop 0
	;;#ASMEND
.LBB272_14:
	s_or_b64 exec, exec, s[10:11]
	s_cmp_lt_i32 s16, 1
	s_cbranch_scc1 .LBB272_8
.LBB272_15:
	s_load_dword s0, s[4:5], 0x94
	s_waitcnt lgkmcnt(0)
	s_cmp_lg_u32 s0, 1
	s_cbranch_scc1 .LBB272_8
; %bb.16:
	s_lshl_b32 s0, s16, 1
	s_add_i32 s0, s0, 2
	v_cmp_gt_u32_e32 vcc, s16, v1
	s_and_b32 s10, s0, -4
	v_mov_b32_e32 v2, 0
	s_waitcnt vmcnt(0)
	v_lshlrev_b32_e32 v6, 3, v0
	v_mov_b32_e32 v3, 0
	v_mov_b32_e32 v0, 0
	;; [unrolled: 1-line block ×3, first 2 shown]
	s_barrier
	s_and_saveexec_b64 s[0:1], vcc
	s_cbranch_execz .LBB272_18
; %bb.17:
	s_mul_hi_i32 s5, s18, s6
	s_mul_i32 s4, s18, s6
	s_and_b32 s9, s9, 0xffff
	s_lshl_b64 s[4:5], s[4:5], 1
	s_add_u32 s20, s24, s4
	s_mov_b32 s11, 0x20000
	s_addc_u32 s4, s25, s5
	s_and_b32 s21, s4, 0xffff
	s_mov_b32 s22, s10
	s_mov_b32 s23, s11
	buffer_load_dwordx2 v[2:3], v6, s[20:23], 0 offen glc slc
	buffer_load_dwordx2 v[0:1], v6, s[8:11], 0 offen
.LBB272_18:
	s_or_b64 exec, exec, s[0:1]
	s_waitcnt vmcnt(1)
	v_cvt_f32_u32_sdwa v5, v3 dst_sel:DWORD dst_unused:UNUSED_PAD src0_sel:WORD_0
	v_cvt_f32_u32_sdwa v7, v2 dst_sel:DWORD dst_unused:UNUSED_PAD src0_sel:WORD_1
	v_cvt_f32_u32_sdwa v4, v3 dst_sel:DWORD dst_unused:UNUSED_PAD src0_sel:WORD_1
	v_cvt_f32_u32_sdwa v9, v2 dst_sel:DWORD dst_unused:UNUSED_PAD src0_sel:WORD_0
	v_cndmask_b32_e32 v2, 0, v5, vcc
	v_cndmask_b32_e32 v5, 0, v7, vcc
	;; [unrolled: 1-line block ×4, first 2 shown]
	v_mul_f32_e32 v7, v5, v5
	v_fmac_f32_e32 v7, v4, v4
	v_fmac_f32_e32 v7, v2, v2
	;; [unrolled: 1-line block ×3, first 2 shown]
	s_nop 1
	v_mov_b32_dpp v9, v7 quad_perm:[1,0,3,2] row_mask:0xf bank_mask:0xf
	v_add_f32_e32 v7, v7, v9
	s_nop 1
	v_mov_b32_dpp v9, v7 quad_perm:[2,3,0,1] row_mask:0xf bank_mask:0xf
	v_add_f32_e32 v7, v7, v9
	s_nop 1
	v_mov_b32_dpp v9, v7 row_half_mirror row_mask:0xf bank_mask:0xf
	v_add_f32_e32 v7, v7, v9
	s_nop 1
	v_mov_b32_dpp v9, v7 row_mirror row_mask:0xf bank_mask:0xf
	v_add_f32_e32 v7, v7, v9
	s_nop 1
	v_mov_b32_dpp v9, v7 row_bcast:15 row_mask:0xf bank_mask:0xf
	v_add_f32_e32 v7, v7, v9
	s_nop 1
	v_mov_b32_dpp v9, v7 row_bcast:31 row_mask:0xf bank_mask:0xf
	v_add_f32_e32 v7, v7, v9
	ds_bpermute_b32 v7, v8, v7
	s_and_saveexec_b64 s[0:1], vcc
	s_cbranch_execz .LBB272_8
; %bb.19:
	v_cvt_f32_u32_e32 v8, s16
	s_mov_b32 s11, 0x20000
	s_waitcnt lgkmcnt(0)
	v_div_scale_f32 v9, s[0:1], v8, v8, v7
	v_rcp_f32_e32 v10, v9
	v_div_scale_f32 v11, vcc, v7, v8, v7
	s_mov_b32 s0, 0x800000
	v_fma_f32 v12, -v9, v10, 1.0
	v_fmac_f32_e32 v10, v12, v10
	v_mul_f32_e32 v12, v11, v10
	v_fma_f32 v13, -v9, v12, v11
	v_fmac_f32_e32 v12, v13, v10
	v_fma_f32 v9, -v9, v12, v11
	v_div_fmas_f32 v9, v9, v10, v12
	v_div_fixup_f32 v7, v9, v8, v7
	v_add_f32_e32 v7, s13, v7
	v_mul_f32_e32 v8, 0x4b800000, v7
	v_cmp_gt_f32_e32 vcc, s0, v7
	v_cndmask_b32_e32 v7, v7, v8, vcc
	v_rsq_f32_e32 v7, v7
	s_mul_hi_i32 s1, s15, s6
	s_mul_i32 s0, s15, s6
	s_waitcnt vmcnt(0)
	v_cvt_f32_u32_sdwa v9, v0 dst_sel:DWORD dst_unused:UNUSED_PAD src0_sel:WORD_1
	v_cvt_f32_u32_sdwa v8, v0 dst_sel:DWORD dst_unused:UNUSED_PAD src0_sel:WORD_0
	v_mul_f32_e32 v0, 0x45800000, v7
	s_lshl_b64 s[0:1], s[0:1], 1
	v_cndmask_b32_e32 v12, v7, v0, vcc
	s_add_u32 s8, s2, s0
	v_cvt_f32_u32_sdwa v11, v1 dst_sel:DWORD dst_unused:UNUSED_PAD src0_sel:WORD_1
	v_mov_b32_e32 v13, v12
	v_cvt_f32_u32_sdwa v10, v1 dst_sel:DWORD dst_unused:UNUSED_PAD src0_sel:WORD_0
	;;#ASMSTART
	v_pk_mul_f32 v[0:1], v[4:5], v[12:13]
	;;#ASMEND
	s_addc_u32 s0, s3, s1
	;;#ASMSTART
	v_pk_mul_f32 v[2:3], v[2:3], v[12:13]
	;;#ASMEND
	;;#ASMSTART
	v_pk_mul_f32 v[0:1], v[0:1], v[8:9]
	;;#ASMEND
	s_and_b32 s9, s0, 0xffff
	s_mov_b32 s0, 0x7060302
	;;#ASMSTART
	v_pk_mul_f32 v[2:3], v[2:3], v[10:11]
	;;#ASMEND
	v_perm_b32 v0, v1, v0, s0
	v_perm_b32 v1, v3, v2, s0
	buffer_store_dwordx2 v[0:1], v6, s[8:11], 0 offen
	;;#ASMSTART
	s_nop 0
	;;#ASMEND
	s_endpgm
	.section	.rodata,"a",@progbits
	.p2align	6, 0x0
	.amdhsa_kernel _ZN5aiter35fused_qk_rmsnorm_group_quant_kernelItDB8_Li64ELi4ELi16ELb0ELb1ELb0ELb1ELb0ELb0EEEvPT0_PvPT_S6_S6_PKS5_S8_S8_S8_S8_ffiiiiiiiiiiiii
		.amdhsa_group_segment_fixed_size 0
		.amdhsa_private_segment_fixed_size 0
		.amdhsa_kernarg_size 400
		.amdhsa_user_sgpr_count 6
		.amdhsa_user_sgpr_private_segment_buffer 1
		.amdhsa_user_sgpr_dispatch_ptr 0
		.amdhsa_user_sgpr_queue_ptr 0
		.amdhsa_user_sgpr_kernarg_segment_ptr 1
		.amdhsa_user_sgpr_dispatch_id 0
		.amdhsa_user_sgpr_flat_scratch_init 0
		.amdhsa_user_sgpr_kernarg_preload_length 0
		.amdhsa_user_sgpr_kernarg_preload_offset 0
		.amdhsa_user_sgpr_private_segment_size 0
		.amdhsa_uses_dynamic_stack 0
		.amdhsa_system_sgpr_private_segment_wavefront_offset 0
		.amdhsa_system_sgpr_workgroup_id_x 1
		.amdhsa_system_sgpr_workgroup_id_y 1
		.amdhsa_system_sgpr_workgroup_id_z 0
		.amdhsa_system_sgpr_workgroup_info 0
		.amdhsa_system_vgpr_workitem_id 0
		.amdhsa_next_free_vgpr 17
		.amdhsa_next_free_sgpr 32
		.amdhsa_accum_offset 20
		.amdhsa_reserve_vcc 1
		.amdhsa_reserve_flat_scratch 0
		.amdhsa_float_round_mode_32 0
		.amdhsa_float_round_mode_16_64 0
		.amdhsa_float_denorm_mode_32 3
		.amdhsa_float_denorm_mode_16_64 3
		.amdhsa_dx10_clamp 1
		.amdhsa_ieee_mode 1
		.amdhsa_fp16_overflow 0
		.amdhsa_tg_split 0
		.amdhsa_exception_fp_ieee_invalid_op 0
		.amdhsa_exception_fp_denorm_src 0
		.amdhsa_exception_fp_ieee_div_zero 0
		.amdhsa_exception_fp_ieee_overflow 0
		.amdhsa_exception_fp_ieee_underflow 0
		.amdhsa_exception_fp_ieee_inexact 0
		.amdhsa_exception_int_div_zero 0
	.end_amdhsa_kernel
	.section	.text._ZN5aiter35fused_qk_rmsnorm_group_quant_kernelItDB8_Li64ELi4ELi16ELb0ELb1ELb0ELb1ELb0ELb0EEEvPT0_PvPT_S6_S6_PKS5_S8_S8_S8_S8_ffiiiiiiiiiiiii,"axG",@progbits,_ZN5aiter35fused_qk_rmsnorm_group_quant_kernelItDB8_Li64ELi4ELi16ELb0ELb1ELb0ELb1ELb0ELb0EEEvPT0_PvPT_S6_S6_PKS5_S8_S8_S8_S8_ffiiiiiiiiiiiii,comdat
.Lfunc_end272:
	.size	_ZN5aiter35fused_qk_rmsnorm_group_quant_kernelItDB8_Li64ELi4ELi16ELb0ELb1ELb0ELb1ELb0ELb0EEEvPT0_PvPT_S6_S6_PKS5_S8_S8_S8_S8_ffiiiiiiiiiiiii, .Lfunc_end272-_ZN5aiter35fused_qk_rmsnorm_group_quant_kernelItDB8_Li64ELi4ELi16ELb0ELb1ELb0ELb1ELb0ELb0EEEvPT0_PvPT_S6_S6_PKS5_S8_S8_S8_S8_ffiiiiiiiiiiiii
                                        ; -- End function
	.section	.AMDGPU.csdata,"",@progbits
; Kernel info:
; codeLenInByte = 1548
; NumSgprs: 36
; NumVgprs: 17
; NumAgprs: 0
; TotalNumVgprs: 17
; ScratchSize: 0
; MemoryBound: 0
; FloatMode: 240
; IeeeMode: 1
; LDSByteSize: 0 bytes/workgroup (compile time only)
; SGPRBlocks: 4
; VGPRBlocks: 2
; NumSGPRsForWavesPerEU: 36
; NumVGPRsForWavesPerEU: 17
; AccumOffset: 20
; Occupancy: 8
; WaveLimiterHint : 0
; COMPUTE_PGM_RSRC2:SCRATCH_EN: 0
; COMPUTE_PGM_RSRC2:USER_SGPR: 6
; COMPUTE_PGM_RSRC2:TRAP_HANDLER: 0
; COMPUTE_PGM_RSRC2:TGID_X_EN: 1
; COMPUTE_PGM_RSRC2:TGID_Y_EN: 1
; COMPUTE_PGM_RSRC2:TGID_Z_EN: 0
; COMPUTE_PGM_RSRC2:TIDIG_COMP_CNT: 0
; COMPUTE_PGM_RSRC3_GFX90A:ACCUM_OFFSET: 4
; COMPUTE_PGM_RSRC3_GFX90A:TG_SPLIT: 0
	.section	.text._ZN5aiter35fused_qk_rmsnorm_group_quant_kernelIDF16_DB8_Li64ELi4ELi16ELb1ELb1ELb1ELb0ELb0ELb0EEEvPT0_PvPT_S6_S6_PKS5_S8_S8_S8_S8_ffiiiiiiiiiiiii,"axG",@progbits,_ZN5aiter35fused_qk_rmsnorm_group_quant_kernelIDF16_DB8_Li64ELi4ELi16ELb1ELb1ELb1ELb0ELb0ELb0EEEvPT0_PvPT_S6_S6_PKS5_S8_S8_S8_S8_ffiiiiiiiiiiiii,comdat
	.protected	_ZN5aiter35fused_qk_rmsnorm_group_quant_kernelIDF16_DB8_Li64ELi4ELi16ELb1ELb1ELb1ELb0ELb0ELb0EEEvPT0_PvPT_S6_S6_PKS5_S8_S8_S8_S8_ffiiiiiiiiiiiii ; -- Begin function _ZN5aiter35fused_qk_rmsnorm_group_quant_kernelIDF16_DB8_Li64ELi4ELi16ELb1ELb1ELb1ELb0ELb0ELb0EEEvPT0_PvPT_S6_S6_PKS5_S8_S8_S8_S8_ffiiiiiiiiiiiii
	.globl	_ZN5aiter35fused_qk_rmsnorm_group_quant_kernelIDF16_DB8_Li64ELi4ELi16ELb1ELb1ELb1ELb0ELb0ELb0EEEvPT0_PvPT_S6_S6_PKS5_S8_S8_S8_S8_ffiiiiiiiiiiiii
	.p2align	8
	.type	_ZN5aiter35fused_qk_rmsnorm_group_quant_kernelIDF16_DB8_Li64ELi4ELi16ELb1ELb1ELb1ELb0ELb0ELb0EEEvPT0_PvPT_S6_S6_PKS5_S8_S8_S8_S8_ffiiiiiiiiiiiii,@function
_ZN5aiter35fused_qk_rmsnorm_group_quant_kernelIDF16_DB8_Li64ELi4ELi16ELb1ELb1ELb1ELb0ELb0ELb0EEEvPT0_PvPT_S6_S6_PKS5_S8_S8_S8_S8_ffiiiiiiiiiiiii: ; @_ZN5aiter35fused_qk_rmsnorm_group_quant_kernelIDF16_DB8_Li64ELi4ELi16ELb1ELb1ELb1ELb0ELb0ELb0EEEvPT0_PvPT_S6_S6_PKS5_S8_S8_S8_S8_ffiiiiiiiiiiiii
; %bb.0:
	s_load_dwordx8 s[16:23], s[4:5], 0x50
	s_waitcnt lgkmcnt(0)
	s_cmp_ge_i32 s6, s18
	s_cbranch_scc1 .LBB273_15
; %bb.1:
	s_cmp_lg_u32 s7, 0
	s_cselect_b64 s[2:3], -1, 0
	s_cmp_eq_u32 s7, 0
	s_cselect_b64 s[26:27], -1, 0
	s_and_b64 s[0:1], s[26:27], exec
	s_load_dwordx2 s[24:25], s[4:5], 0x48
	s_load_dwordx2 s[34:35], s[4:5], 0x30
	s_load_dwordx8 s[8:15], s[4:5], 0x70
	s_cselect_b32 s7, s19, s20
	s_add_i32 s0, s7, 1
	s_lshr_b32 s1, s0, 31
	s_add_i32 s0, s0, s1
	s_lshl_b32 s0, s0, 1
	v_lshlrev_b32_e32 v1, 2, v0
	s_and_b32 s30, s0, -4
	v_cmp_gt_i32_e64 s[0:1], s7, v1
	v_mov_b32_e32 v8, 0
	v_mov_b32_e32 v9, 0
	;; [unrolled: 1-line block ×4, first 2 shown]
	s_waitcnt lgkmcnt(0)
	s_and_saveexec_b64 s[14:15], s[0:1]
	s_cbranch_execz .LBB273_3
; %bb.2:
	s_load_dwordx2 s[28:29], s[4:5], 0x28
	s_load_dwordx2 s[38:39], s[4:5], 0x40
	s_and_b64 s[36:37], s[26:27], exec
	s_cselect_b32 s18, s21, s22
	v_lshlrev_b32_e32 v2, 3, v0
	s_waitcnt lgkmcnt(0)
	s_cselect_b32 s21, s29, s35
	s_cselect_b32 s31, s28, s34
	s_mul_hi_i32 s29, s18, s6
	s_mul_i32 s28, s18, s6
	s_lshl_b64 s[28:29], s[28:29], 1
	s_add_u32 s36, s31, s28
	s_addc_u32 s18, s21, s29
	s_and_b64 s[26:27], s[26:27], exec
	s_mov_b32 s31, 0x20000
	s_cselect_b32 s28, s38, s24
	s_cselect_b32 s21, s39, s25
	s_and_b32 s37, s18, 0xffff
	s_mov_b32 s38, s30
	s_mov_b32 s39, s31
	s_and_b32 s29, s21, 0xffff
	buffer_load_dwordx2 v[10:11], v2, s[36:39], 0 offen glc slc
	buffer_load_dwordx2 v[8:9], v2, s[28:31], 0 offen
.LBB273_3:
	s_or_b64 exec, exec, s[14:15]
	s_and_b64 vcc, exec, s[2:3]
	s_cbranch_vccz .LBB273_7
; %bb.4:
	v_mov_b32_e32 v7, 0
	v_mov_b32_e32 v6, 0
	;; [unrolled: 1-line block ×4, first 2 shown]
	s_and_saveexec_b64 s[14:15], s[0:1]
	s_cbranch_execz .LBB273_6
; %bb.5:
	s_waitcnt vmcnt(1)
	v_cvt_f32_f16_sdwa v3, v10 dst_sel:DWORD dst_unused:UNUSED_PAD src0_sel:WORD_1
	v_cvt_f32_f16_e32 v2, v10
	v_cvt_f32_f16_sdwa v7, v11 dst_sel:DWORD dst_unused:UNUSED_PAD src0_sel:WORD_1
	v_cvt_f32_f16_e32 v6, v11
.LBB273_6:
	s_or_b64 exec, exec, s[14:15]
	s_mov_b32 s18, s17
	s_cbranch_execz .LBB273_8
	s_branch .LBB273_11
.LBB273_7:
                                        ; implicit-def: $vgpr7
                                        ; implicit-def: $vgpr2_vgpr3_vgpr4_vgpr5
	s_mov_b32 s18, s17
.LBB273_8:
	v_mov_b32_e32 v7, 0
	v_mov_b32_e32 v6, 0
	;; [unrolled: 1-line block ×4, first 2 shown]
	s_and_saveexec_b64 s[14:15], s[0:1]
	s_cbranch_execz .LBB273_10
; %bb.9:
	s_load_dwordx2 s[26:27], s[4:5], 0x38
	s_mul_hi_i32 s29, s23, s6
	s_mul_i32 s28, s23, s6
	s_lshl_b64 s[28:29], s[28:29], 1
	s_mov_b32 s31, 0x20000
	s_waitcnt lgkmcnt(0)
	s_add_u32 s28, s26, s28
	s_addc_u32 s18, s27, s29
	s_and_b32 s29, s18, 0xffff
	v_lshlrev_b32_e32 v14, 3, v0
	buffer_load_dwordx2 v[2:3], v14, s[28:31], 0 offen glc slc
	s_waitcnt vmcnt(2)
	v_cvt_f32_f16_sdwa v5, v10 dst_sel:DWORD dst_unused:UNUSED_PAD src0_sel:WORD_1
	v_cvt_f32_f16_e32 v4, v10
	v_cvt_f32_f16_sdwa v7, v11 dst_sel:DWORD dst_unused:UNUSED_PAD src0_sel:WORD_1
	v_cvt_f32_f16_e32 v6, v11
	s_load_dwordx2 s[26:27], s[4:5], 0x20
	s_mul_hi_i32 s29, s13, s6
	s_mul_i32 s28, s13, s6
	s_lshl_b64 s[28:29], s[28:29], 1
	s_waitcnt lgkmcnt(0)
	s_add_u32 s28, s26, s28
	s_addc_u32 s13, s27, s29
	s_and_b32 s29, s13, 0xffff
	s_waitcnt vmcnt(0)
	v_cvt_f32_f16_e32 v10, v2
	v_cvt_f32_f16_sdwa v11, v2 dst_sel:DWORD dst_unused:UNUSED_PAD src0_sel:WORD_1
	v_cvt_f32_f16_e32 v12, v3
	v_cvt_f32_f16_sdwa v13, v3 dst_sel:DWORD dst_unused:UNUSED_PAD src0_sel:WORD_1
	v_pk_add_f32 v[2:3], v[4:5], v[10:11]
	v_cvt_f16_f32_e32 v4, v3
	v_pk_add_f32 v[6:7], v[6:7], v[12:13]
	v_cvt_f16_f32_e32 v5, v7
	v_cvt_f16_f32_e32 v10, v6
	;; [unrolled: 1-line block ×3, first 2 shown]
	v_pack_b32_f16 v5, v10, v5
	v_pack_b32_f16 v4, v11, v4
	buffer_store_dwordx2 v[4:5], v14, s[28:31], 0 offen glc slc
	;;#ASMSTART
	s_nop 0
	;;#ASMEND
.LBB273_10:
	s_or_b64 exec, exec, s[14:15]
	s_mov_b32 s18, s16
.LBB273_11:
	v_mul_f32_e32 v4, v3, v3
	v_fmac_f32_e32 v4, v2, v2
	v_fmac_f32_e32 v4, v6, v6
	;; [unrolled: 1-line block ×3, first 2 shown]
	s_waitcnt vmcnt(1)
	v_bfrev_b32_e32 v10, 0.5
	s_load_dwordx2 s[14:15], s[4:5], 0x18
	v_mov_b32_dpp v5, v4 quad_perm:[1,0,3,2] row_mask:0xf bank_mask:0xf
	v_add_f32_e32 v4, v4, v5
	s_nop 1
	v_mov_b32_dpp v5, v4 quad_perm:[2,3,0,1] row_mask:0xf bank_mask:0xf
	v_add_f32_e32 v4, v4, v5
	s_nop 1
	v_mov_b32_dpp v5, v4 row_half_mirror row_mask:0xf bank_mask:0xf
	v_add_f32_e32 v4, v4, v5
	s_nop 1
	v_mov_b32_dpp v5, v4 row_mirror row_mask:0xf bank_mask:0xf
	v_add_f32_e32 v4, v4, v5
	s_nop 1
	v_mov_b32_dpp v5, v4 row_bcast:15 row_mask:0xf bank_mask:0xf
	v_add_f32_e32 v4, v4, v5
	s_nop 1
	v_mov_b32_dpp v5, v4 row_bcast:31 row_mask:0xf bank_mask:0xf
	v_add_f32_e32 v4, v4, v5
	v_mbcnt_lo_u32_b32 v5, -1, 0
	v_mbcnt_hi_u32_b32 v5, -1, v5
	v_lshl_or_b32 v10, v5, 2, v10
	ds_bpermute_b32 v4, v10, v4
	s_and_saveexec_b64 s[26:27], s[0:1]
	s_cbranch_execnz .LBB273_16
; %bb.12:
	s_or_b64 exec, exec, s[26:27]
	s_mov_b64 s[26:27], -1
	s_and_b64 vcc, exec, s[2:3]
	s_cbranch_vccnz .LBB273_17
.LBB273_13:
	s_andn2_b64 vcc, exec, s[26:27]
	s_cbranch_vccz .LBB273_20
.LBB273_14:
	s_cmp_lt_i32 s20, 1
	s_cbranch_scc0 .LBB273_29
.LBB273_15:
	s_endpgm
.LBB273_16:
	v_cvt_f32_u32_e32 v5, s7
	s_mov_b32 s7, 0x800000
	s_waitcnt lgkmcnt(0)
	v_div_scale_f32 v11, s[28:29], v5, v5, v4
	v_rcp_f32_e32 v12, v11
	v_div_scale_f32 v13, vcc, v4, v5, v4
	v_fma_f32 v14, -v11, v12, 1.0
	v_fmac_f32_e32 v12, v14, v12
	v_mul_f32_e32 v14, v13, v12
	v_fma_f32 v15, -v11, v14, v13
	v_fmac_f32_e32 v14, v15, v12
	v_fma_f32 v11, -v11, v14, v13
	v_div_fmas_f32 v11, v11, v12, v14
	v_div_fixup_f32 v4, v11, v5, v4
	v_add_f32_e32 v4, s18, v4
	v_mul_f32_e32 v5, 0x4b800000, v4
	v_cmp_gt_f32_e32 vcc, s7, v4
	v_cndmask_b32_e32 v4, v4, v5, vcc
	v_rsq_f32_e32 v11, v4
	s_waitcnt vmcnt(0)
	v_cvt_f32_f16_sdwa v5, v8 dst_sel:DWORD dst_unused:UNUSED_PAD src0_sel:WORD_1
	v_cvt_f32_f16_e32 v4, v8
	v_cvt_f32_f16_sdwa v13, v9 dst_sel:DWORD dst_unused:UNUSED_PAD src0_sel:WORD_1
	v_cvt_f32_f16_e32 v12, v9
	v_mul_f32_e32 v8, 0x45800000, v11
	v_cndmask_b32_e32 v14, v11, v8, vcc
	v_mov_b32_e32 v15, v14
	;;#ASMSTART
	v_pk_mul_f32 v[2:3], v[2:3], v[14:15]
	;;#ASMEND
	;;#ASMSTART
	v_pk_mul_f32 v[6:7], v[6:7], v[14:15]
	;;#ASMEND
	v_pk_add_f32 v[4:5], v[4:5], 1.0 op_sel_hi:[1,0]
	;;#ASMSTART
	v_pk_mul_f32 v[2:3], v[2:3], v[4:5]
	;;#ASMEND
	v_pk_add_f32 v[4:5], v[12:13], 1.0 op_sel_hi:[1,0]
	;;#ASMSTART
	v_pk_mul_f32 v[6:7], v[6:7], v[4:5]
	;;#ASMEND
	s_or_b64 exec, exec, s[26:27]
	s_mov_b64 s[26:27], -1
	s_and_b64 vcc, exec, s[2:3]
	s_cbranch_vccz .LBB273_13
.LBB273_17:
	s_and_saveexec_b64 s[2:3], s[0:1]
	s_cbranch_execz .LBB273_19
; %bb.18:
	s_mul_hi_i32 s27, s12, s6
	s_mul_i32 s26, s12, s6
	s_waitcnt lgkmcnt(0)
	v_cvt_f16_f32_e32 v4, v2
	v_cvt_f16_f32_e32 v5, v6
	s_waitcnt vmcnt(0)
	v_cvt_f16_f32_e32 v8, v7
	v_cvt_f16_f32_e32 v9, v3
	s_lshl_b64 s[26:27], s[26:27], 1
	s_add_u32 s28, s14, s26
	s_addc_u32 s7, s15, s27
	s_and_b32 s29, s7, 0xffff
	s_mov_b32 s31, 0x20000
	v_pack_b32_f16 v5, v5, v8
	v_pack_b32_f16 v4, v4, v9
	v_lshlrev_b32_e32 v8, 3, v0
	buffer_store_dwordx2 v[4:5], v8, s[28:31], 0 offen
	;;#ASMSTART
	s_nop 0
	;;#ASMEND
.LBB273_19:
	s_or_b64 exec, exec, s[2:3]
	s_cbranch_execnz .LBB273_14
.LBB273_20:
	s_waitcnt lgkmcnt(0)
	v_mov_b32_e32 v4, 0
	s_and_saveexec_b64 s[2:3], s[0:1]
	s_cbranch_execz .LBB273_22
; %bb.21:
	s_load_dwordx2 s[26:27], s[4:5], 0x10
	s_mul_hi_i32 s29, s11, s6
	s_mul_i32 s28, s11, s6
	v_cvt_f16_f32_e32 v4, v2
	v_cvt_f16_f32_e32 v5, v6
	s_waitcnt vmcnt(0)
	v_cvt_f16_f32_e32 v8, v7
	v_cvt_f16_f32_e32 v9, v3
	s_lshl_b64 s[28:29], s[28:29], 1
	s_waitcnt lgkmcnt(0)
	s_add_u32 s28, s26, s28
	s_addc_u32 s7, s27, s29
	s_and_b32 s29, s7, 0xffff
	s_mov_b32 s31, 0x20000
	v_pack_b32_f16 v5, v5, v8
	v_pack_b32_f16 v4, v4, v9
	v_lshlrev_b32_e32 v8, 3, v0
	buffer_store_dwordx2 v[4:5], v8, s[28:31], 0 offen
	v_mov_b32_e32 v4, 0x2edbe6ff
	;;#ASMSTART
	s_nop 0
	;;#ASMEND
.LBB273_22:
	s_or_b64 exec, exec, s[2:3]
	s_and_saveexec_b64 s[2:3], s[0:1]
	s_cbranch_execz .LBB273_24
; %bb.23:
	v_and_b32_e32 v5, 0x7fffffff, v2
	s_waitcnt vmcnt(0)
	v_and_b32_e32 v8, 0x7fffffff, v3
	;;#ASMSTART
	v_max3_f32 v4, v4, v5, v8

	;;#ASMEND
	v_and_b32_e32 v5, 0x7fffffff, v6
	v_and_b32_e32 v8, 0x7fffffff, v7
	;;#ASMSTART
	v_max3_f32 v4, v4, v5, v8

	;;#ASMEND
.LBB273_24:
	s_or_b64 exec, exec, s[2:3]
	;;#ASMSTART
	v_max_f32 v5, v4, v4 quad_perm:[1,0,3,2] row_mask:0xf bank_mask:0xf bound_ctrl:1
	;;#ASMEND
	;;#ASMSTART
	v_max_f32 v4, v5, v5 quad_perm:[2,3,0,1] row_mask:0xf bank_mask:0xf bound_ctrl:1
	;;#ASMEND
	;;#ASMSTART
	v_max_f32 v5, v4, v4 row_half_mirror row_mask:0xf bank_mask:0xf bound_ctrl:1
	;;#ASMEND
	;;#ASMSTART
	v_max_f32 v4, v5, v5 row_mirror row_mask:0xf bank_mask:0xf bound_ctrl:1
	;;#ASMEND
	v_and_b32_e32 v5, 15, v0
	v_cmp_eq_u32_e32 vcc, 0, v5
	v_cmp_gt_i32_e64 s[2:3], s19, v1
	v_mul_f32_e32 v4, 0x3b124925, v4
	s_and_b64 s[26:27], vcc, s[2:3]
	s_and_saveexec_b64 s[2:3], s[26:27]
	s_cbranch_execz .LBB273_26
; %bb.25:
	s_load_dwordx2 s[26:27], s[4:5], 0x8
	v_lshrrev_b32_e32 v5, 4, v0
	s_mul_hi_i32 s29, s9, s6
	s_mul_i32 s28, s9, s6
	s_waitcnt vmcnt(0)
	v_mad_i64_i32 v[8:9], s[10:11], s10, v5, 0
	s_lshl_b64 s[10:11], s[28:29], 2
	s_waitcnt lgkmcnt(0)
	s_add_u32 s7, s26, s10
	s_addc_u32 s9, s27, s11
	v_lshlrev_b64 v[8:9], 2, v[8:9]
	v_mov_b32_e32 v5, s9
	v_add_co_u32_e32 v8, vcc, s7, v8
	v_addc_co_u32_e32 v9, vcc, v5, v9, vcc
	global_store_dword v[8:9], v4, off
.LBB273_26:
	s_or_b64 exec, exec, s[2:3]
	;;#ASMSTART
	v_rcp_f32 v4, v4
	;;#ASMEND
	s_and_saveexec_b64 s[2:3], s[0:1]
	s_cbranch_execz .LBB273_28
; %bb.27:
	s_load_dwordx2 s[0:1], s[4:5], 0x0
	s_mul_hi_i32 s7, s8, s6
	s_mul_i32 s8, s8, s6
	v_mov_b32_e32 v5, v4
	;;#ASMSTART
	v_pk_mul_f32 v[2:3], v[2:3], v[4:5]
	;;#ASMEND
	s_waitcnt lgkmcnt(0)
	s_add_u32 s8, s0, s8
	s_addc_u32 s0, s1, s7
	s_add_i32 s1, s19, 3
	s_ashr_i32 s7, s1, 31
	s_waitcnt vmcnt(0)
	v_mov_b32_e32 v8, 0xc3e00000
	v_mov_b32_e32 v9, 0x43e00000
	;;#ASMSTART
	v_med3_f32 v2, v2, v8, v9
v_med3_f32 v3, v3, v8, v9
v_cvt_pk_fp8_f32 v11, v2, v3
	;;#ASMEND
	s_and_b32 s9, s0, 0xffff
	s_lshr_b32 s0, s7, 30
	;;#ASMSTART
	v_pk_mul_f32 v[2:3], v[6:7], v[4:5]
	;;#ASMEND
	s_add_i32 s1, s1, s0
	;;#ASMSTART
	v_med3_f32 v2, v2, v8, v9
v_med3_f32 v3, v3, v8, v9
v_cvt_pk_fp8_f32 v4, v2, v3
	;;#ASMEND
	s_mov_b32 s0, 0x5040100
	s_and_b32 s10, s1, -4
	s_mov_b32 s11, 0x20000
	v_perm_b32 v2, v4, v11, s0
	buffer_store_dword v2, v1, s[8:11], 0 offen
	;;#ASMSTART
	s_nop 0
	;;#ASMEND
.LBB273_28:
	s_or_b64 exec, exec, s[2:3]
	s_cmp_lt_i32 s20, 1
	s_cbranch_scc1 .LBB273_15
.LBB273_29:
	s_load_dword s0, s[4:5], 0x94
	s_waitcnt lgkmcnt(0)
	s_cmp_lg_u32 s0, 1
	s_cbranch_scc1 .LBB273_15
; %bb.30:
	s_lshl_b32 s0, s20, 1
	s_add_i32 s0, s0, 2
	v_cmp_gt_u32_e32 vcc, s20, v1
	s_and_b32 s26, s0, -4
	v_mov_b32_e32 v2, 0
	v_lshlrev_b32_e32 v6, 3, v0
	v_mov_b32_e32 v3, 0
	v_mov_b32_e32 v0, 0
	;; [unrolled: 1-line block ×3, first 2 shown]
	s_barrier
	s_and_saveexec_b64 s[0:1], vcc
	s_cbranch_execz .LBB273_32
; %bb.31:
	s_mul_hi_i32 s3, s22, s6
	s_mul_i32 s2, s22, s6
	s_and_b32 s25, s25, 0xffff
	s_lshl_b64 s[2:3], s[2:3], 1
	s_add_u32 s8, s34, s2
	s_mov_b32 s27, 0x20000
	s_addc_u32 s2, s35, s3
	s_and_b32 s9, s2, 0xffff
	s_mov_b32 s10, s26
	s_mov_b32 s11, s27
	buffer_load_dwordx2 v[2:3], v6, s[8:11], 0 offen glc slc
	buffer_load_dwordx2 v[0:1], v6, s[24:27], 0 offen
.LBB273_32:
	s_or_b64 exec, exec, s[0:1]
	s_waitcnt vmcnt(1)
	v_cvt_f32_f16_e32 v4, v3
	v_cvt_f32_f16_e32 v5, v2
	v_cvt_f32_f16_sdwa v7, v2 dst_sel:DWORD dst_unused:UNUSED_PAD src0_sel:WORD_1
	v_cvt_f32_f16_sdwa v3, v3 dst_sel:DWORD dst_unused:UNUSED_PAD src0_sel:WORD_1
	v_cndmask_b32_e32 v2, 0, v4, vcc
	v_cndmask_b32_e32 v4, 0, v5, vcc
	;; [unrolled: 1-line block ×3, first 2 shown]
	v_mul_f32_e32 v7, v5, v5
	v_fmac_f32_e32 v7, v4, v4
	v_cndmask_b32_e32 v3, 0, v3, vcc
	v_fmac_f32_e32 v7, v2, v2
	v_fmac_f32_e32 v7, v3, v3
	s_waitcnt vmcnt(0)
	s_nop 0
	v_mov_b32_dpp v8, v7 quad_perm:[1,0,3,2] row_mask:0xf bank_mask:0xf
	v_add_f32_e32 v7, v7, v8
	s_nop 1
	v_mov_b32_dpp v8, v7 quad_perm:[2,3,0,1] row_mask:0xf bank_mask:0xf
	v_add_f32_e32 v7, v7, v8
	s_nop 1
	v_mov_b32_dpp v8, v7 row_half_mirror row_mask:0xf bank_mask:0xf
	v_add_f32_e32 v7, v7, v8
	s_nop 1
	v_mov_b32_dpp v8, v7 row_mirror row_mask:0xf bank_mask:0xf
	v_add_f32_e32 v7, v7, v8
	s_nop 1
	v_mov_b32_dpp v8, v7 row_bcast:15 row_mask:0xf bank_mask:0xf
	v_add_f32_e32 v7, v7, v8
	s_nop 1
	v_mov_b32_dpp v8, v7 row_bcast:31 row_mask:0xf bank_mask:0xf
	v_add_f32_e32 v7, v7, v8
	ds_bpermute_b32 v7, v10, v7
	s_and_saveexec_b64 s[0:1], vcc
	s_cbranch_execz .LBB273_15
; %bb.33:
	v_cvt_f32_u32_e32 v8, s20
	s_mov_b32 s27, 0x20000
	s_waitcnt lgkmcnt(0)
	v_div_scale_f32 v9, s[0:1], v8, v8, v7
	v_rcp_f32_e32 v10, v9
	v_div_scale_f32 v11, vcc, v7, v8, v7
	s_mov_b32 s0, 0x800000
	v_fma_f32 v12, -v9, v10, 1.0
	v_fmac_f32_e32 v10, v12, v10
	v_mul_f32_e32 v12, v11, v10
	v_fma_f32 v13, -v9, v12, v11
	v_fmac_f32_e32 v12, v13, v10
	v_fma_f32 v9, -v9, v12, v11
	v_div_fmas_f32 v9, v9, v10, v12
	v_div_fixup_f32 v7, v9, v8, v7
	v_add_f32_e32 v7, s17, v7
	v_mul_f32_e32 v8, 0x4b800000, v7
	v_cmp_gt_f32_e32 vcc, s0, v7
	v_cndmask_b32_e32 v7, v7, v8, vcc
	v_rsq_f32_e32 v7, v7
	v_cvt_f32_f16_sdwa v9, v0 dst_sel:DWORD dst_unused:UNUSED_PAD src0_sel:WORD_1
	v_cvt_f32_f16_e32 v8, v0
	v_cvt_f32_f16_sdwa v11, v1 dst_sel:DWORD dst_unused:UNUSED_PAD src0_sel:WORD_1
	v_cvt_f32_f16_e32 v10, v1
	v_mul_f32_e32 v0, 0x45800000, v7
	v_cndmask_b32_e32 v12, v7, v0, vcc
	v_mov_b32_e32 v13, v12
	;;#ASMSTART
	v_pk_mul_f32 v[4:5], v[4:5], v[12:13]
	;;#ASMEND
	;;#ASMSTART
	v_pk_mul_f32 v[0:1], v[2:3], v[12:13]
	;;#ASMEND
	v_pk_add_f32 v[2:3], v[8:9], 1.0 op_sel_hi:[1,0]
	;;#ASMSTART
	v_pk_mul_f32 v[2:3], v[4:5], v[2:3]
	;;#ASMEND
	v_pk_add_f32 v[4:5], v[10:11], 1.0 op_sel_hi:[1,0]
	;;#ASMSTART
	v_pk_mul_f32 v[0:1], v[0:1], v[4:5]
	;;#ASMEND
	s_mul_hi_i32 s1, s12, s6
	s_mul_i32 s0, s12, s6
	v_cvt_f16_f32_e32 v2, v2
	v_cvt_f16_f32_e32 v3, v3
	;; [unrolled: 1-line block ×4, first 2 shown]
	s_lshl_b64 s[0:1], s[0:1], 1
	s_add_u32 s24, s14, s0
	s_addc_u32 s0, s15, s1
	s_and_b32 s25, s0, 0xffff
	v_pack_b32_f16 v0, v2, v3
	v_pack_b32_f16 v1, v4, v1
	buffer_store_dwordx2 v[0:1], v6, s[24:27], 0 offen
	;;#ASMSTART
	s_nop 0
	;;#ASMEND
	s_endpgm
	.section	.rodata,"a",@progbits
	.p2align	6, 0x0
	.amdhsa_kernel _ZN5aiter35fused_qk_rmsnorm_group_quant_kernelIDF16_DB8_Li64ELi4ELi16ELb1ELb1ELb1ELb0ELb0ELb0EEEvPT0_PvPT_S6_S6_PKS5_S8_S8_S8_S8_ffiiiiiiiiiiiii
		.amdhsa_group_segment_fixed_size 0
		.amdhsa_private_segment_fixed_size 0
		.amdhsa_kernarg_size 400
		.amdhsa_user_sgpr_count 6
		.amdhsa_user_sgpr_private_segment_buffer 1
		.amdhsa_user_sgpr_dispatch_ptr 0
		.amdhsa_user_sgpr_queue_ptr 0
		.amdhsa_user_sgpr_kernarg_segment_ptr 1
		.amdhsa_user_sgpr_dispatch_id 0
		.amdhsa_user_sgpr_flat_scratch_init 0
		.amdhsa_user_sgpr_kernarg_preload_length 0
		.amdhsa_user_sgpr_kernarg_preload_offset 0
		.amdhsa_user_sgpr_private_segment_size 0
		.amdhsa_uses_dynamic_stack 0
		.amdhsa_system_sgpr_private_segment_wavefront_offset 0
		.amdhsa_system_sgpr_workgroup_id_x 1
		.amdhsa_system_sgpr_workgroup_id_y 1
		.amdhsa_system_sgpr_workgroup_id_z 0
		.amdhsa_system_sgpr_workgroup_info 0
		.amdhsa_system_vgpr_workitem_id 0
		.amdhsa_next_free_vgpr 16
		.amdhsa_next_free_sgpr 40
		.amdhsa_accum_offset 16
		.amdhsa_reserve_vcc 1
		.amdhsa_reserve_flat_scratch 0
		.amdhsa_float_round_mode_32 0
		.amdhsa_float_round_mode_16_64 0
		.amdhsa_float_denorm_mode_32 3
		.amdhsa_float_denorm_mode_16_64 3
		.amdhsa_dx10_clamp 1
		.amdhsa_ieee_mode 1
		.amdhsa_fp16_overflow 0
		.amdhsa_tg_split 0
		.amdhsa_exception_fp_ieee_invalid_op 0
		.amdhsa_exception_fp_denorm_src 0
		.amdhsa_exception_fp_ieee_div_zero 0
		.amdhsa_exception_fp_ieee_overflow 0
		.amdhsa_exception_fp_ieee_underflow 0
		.amdhsa_exception_fp_ieee_inexact 0
		.amdhsa_exception_int_div_zero 0
	.end_amdhsa_kernel
	.section	.text._ZN5aiter35fused_qk_rmsnorm_group_quant_kernelIDF16_DB8_Li64ELi4ELi16ELb1ELb1ELb1ELb0ELb0ELb0EEEvPT0_PvPT_S6_S6_PKS5_S8_S8_S8_S8_ffiiiiiiiiiiiii,"axG",@progbits,_ZN5aiter35fused_qk_rmsnorm_group_quant_kernelIDF16_DB8_Li64ELi4ELi16ELb1ELb1ELb1ELb0ELb0ELb0EEEvPT0_PvPT_S6_S6_PKS5_S8_S8_S8_S8_ffiiiiiiiiiiiii,comdat
.Lfunc_end273:
	.size	_ZN5aiter35fused_qk_rmsnorm_group_quant_kernelIDF16_DB8_Li64ELi4ELi16ELb1ELb1ELb1ELb0ELb0ELb0EEEvPT0_PvPT_S6_S6_PKS5_S8_S8_S8_S8_ffiiiiiiiiiiiii, .Lfunc_end273-_ZN5aiter35fused_qk_rmsnorm_group_quant_kernelIDF16_DB8_Li64ELi4ELi16ELb1ELb1ELb1ELb0ELb0ELb0EEEvPT0_PvPT_S6_S6_PKS5_S8_S8_S8_S8_ffiiiiiiiiiiiii
                                        ; -- End function
	.section	.AMDGPU.csdata,"",@progbits
; Kernel info:
; codeLenInByte = 2276
; NumSgprs: 44
; NumVgprs: 16
; NumAgprs: 0
; TotalNumVgprs: 16
; ScratchSize: 0
; MemoryBound: 0
; FloatMode: 240
; IeeeMode: 1
; LDSByteSize: 0 bytes/workgroup (compile time only)
; SGPRBlocks: 5
; VGPRBlocks: 1
; NumSGPRsForWavesPerEU: 44
; NumVGPRsForWavesPerEU: 16
; AccumOffset: 16
; Occupancy: 8
; WaveLimiterHint : 0
; COMPUTE_PGM_RSRC2:SCRATCH_EN: 0
; COMPUTE_PGM_RSRC2:USER_SGPR: 6
; COMPUTE_PGM_RSRC2:TRAP_HANDLER: 0
; COMPUTE_PGM_RSRC2:TGID_X_EN: 1
; COMPUTE_PGM_RSRC2:TGID_Y_EN: 1
; COMPUTE_PGM_RSRC2:TGID_Z_EN: 0
; COMPUTE_PGM_RSRC2:TIDIG_COMP_CNT: 0
; COMPUTE_PGM_RSRC3_GFX90A:ACCUM_OFFSET: 3
; COMPUTE_PGM_RSRC3_GFX90A:TG_SPLIT: 0
	.section	.text._ZN5aiter35fused_qk_rmsnorm_group_quant_kernelItDB8_Li64ELi4ELi16ELb1ELb1ELb1ELb0ELb0ELb0EEEvPT0_PvPT_S6_S6_PKS5_S8_S8_S8_S8_ffiiiiiiiiiiiii,"axG",@progbits,_ZN5aiter35fused_qk_rmsnorm_group_quant_kernelItDB8_Li64ELi4ELi16ELb1ELb1ELb1ELb0ELb0ELb0EEEvPT0_PvPT_S6_S6_PKS5_S8_S8_S8_S8_ffiiiiiiiiiiiii,comdat
	.protected	_ZN5aiter35fused_qk_rmsnorm_group_quant_kernelItDB8_Li64ELi4ELi16ELb1ELb1ELb1ELb0ELb0ELb0EEEvPT0_PvPT_S6_S6_PKS5_S8_S8_S8_S8_ffiiiiiiiiiiiii ; -- Begin function _ZN5aiter35fused_qk_rmsnorm_group_quant_kernelItDB8_Li64ELi4ELi16ELb1ELb1ELb1ELb0ELb0ELb0EEEvPT0_PvPT_S6_S6_PKS5_S8_S8_S8_S8_ffiiiiiiiiiiiii
	.globl	_ZN5aiter35fused_qk_rmsnorm_group_quant_kernelItDB8_Li64ELi4ELi16ELb1ELb1ELb1ELb0ELb0ELb0EEEvPT0_PvPT_S6_S6_PKS5_S8_S8_S8_S8_ffiiiiiiiiiiiii
	.p2align	8
	.type	_ZN5aiter35fused_qk_rmsnorm_group_quant_kernelItDB8_Li64ELi4ELi16ELb1ELb1ELb1ELb0ELb0ELb0EEEvPT0_PvPT_S6_S6_PKS5_S8_S8_S8_S8_ffiiiiiiiiiiiii,@function
_ZN5aiter35fused_qk_rmsnorm_group_quant_kernelItDB8_Li64ELi4ELi16ELb1ELb1ELb1ELb0ELb0ELb0EEEvPT0_PvPT_S6_S6_PKS5_S8_S8_S8_S8_ffiiiiiiiiiiiii: ; @_ZN5aiter35fused_qk_rmsnorm_group_quant_kernelItDB8_Li64ELi4ELi16ELb1ELb1ELb1ELb0ELb0ELb0EEEvPT0_PvPT_S6_S6_PKS5_S8_S8_S8_S8_ffiiiiiiiiiiiii
; %bb.0:
	s_load_dwordx8 s[16:23], s[4:5], 0x50
	s_waitcnt lgkmcnt(0)
	s_cmp_ge_i32 s6, s18
	s_cbranch_scc1 .LBB274_15
; %bb.1:
	s_cmp_lg_u32 s7, 0
	s_cselect_b64 s[2:3], -1, 0
	s_cmp_eq_u32 s7, 0
	s_cselect_b64 s[26:27], -1, 0
	s_and_b64 s[0:1], s[26:27], exec
	s_load_dwordx2 s[24:25], s[4:5], 0x48
	s_load_dwordx2 s[34:35], s[4:5], 0x30
	s_load_dwordx8 s[8:15], s[4:5], 0x70
	s_cselect_b32 s7, s19, s20
	s_add_i32 s0, s7, 1
	s_lshr_b32 s1, s0, 31
	s_add_i32 s0, s0, s1
	s_lshl_b32 s0, s0, 1
	v_lshlrev_b32_e32 v1, 2, v0
	s_and_b32 s30, s0, -4
	v_cmp_gt_i32_e64 s[0:1], s7, v1
	v_mov_b32_e32 v6, 0
	v_mov_b32_e32 v7, 0
	;; [unrolled: 1-line block ×4, first 2 shown]
	s_waitcnt lgkmcnt(0)
	s_and_saveexec_b64 s[14:15], s[0:1]
	s_cbranch_execz .LBB274_3
; %bb.2:
	s_load_dwordx2 s[28:29], s[4:5], 0x28
	s_load_dwordx2 s[38:39], s[4:5], 0x40
	s_and_b64 s[36:37], s[26:27], exec
	s_cselect_b32 s18, s21, s22
	v_lshlrev_b32_e32 v2, 3, v0
	s_waitcnt lgkmcnt(0)
	s_cselect_b32 s21, s29, s35
	s_cselect_b32 s31, s28, s34
	s_mul_hi_i32 s29, s18, s6
	s_mul_i32 s28, s18, s6
	s_lshl_b64 s[28:29], s[28:29], 1
	s_add_u32 s36, s31, s28
	s_addc_u32 s18, s21, s29
	s_and_b64 s[26:27], s[26:27], exec
	s_mov_b32 s31, 0x20000
	s_cselect_b32 s28, s38, s24
	s_cselect_b32 s21, s39, s25
	s_and_b32 s37, s18, 0xffff
	s_mov_b32 s38, s30
	s_mov_b32 s39, s31
	s_and_b32 s29, s21, 0xffff
	buffer_load_dwordx2 v[8:9], v2, s[36:39], 0 offen glc slc
	buffer_load_dwordx2 v[6:7], v2, s[28:31], 0 offen
.LBB274_3:
	s_or_b64 exec, exec, s[14:15]
	s_and_b64 vcc, exec, s[2:3]
	s_cbranch_vccz .LBB274_7
; %bb.4:
	s_mov_b32 s36, 0
	s_mov_b32 s37, s36
	;; [unrolled: 1-line block ×4, first 2 shown]
	v_pk_mov_b32 v[2:3], s[36:37], s[36:37] op_sel:[0,1]
	v_pk_mov_b32 v[4:5], s[38:39], s[38:39] op_sel:[0,1]
	s_and_saveexec_b64 s[14:15], s[0:1]
	s_cbranch_execz .LBB274_6
; %bb.5:
	s_waitcnt vmcnt(1)
	v_cvt_f32_u32_sdwa v3, v8 dst_sel:DWORD dst_unused:UNUSED_PAD src0_sel:WORD_1
	v_cvt_f32_u32_sdwa v2, v8 dst_sel:DWORD dst_unused:UNUSED_PAD src0_sel:WORD_0
	v_cvt_f32_u32_sdwa v5, v9 dst_sel:DWORD dst_unused:UNUSED_PAD src0_sel:WORD_1
	v_cvt_f32_u32_sdwa v4, v9 dst_sel:DWORD dst_unused:UNUSED_PAD src0_sel:WORD_0
.LBB274_6:
	s_or_b64 exec, exec, s[14:15]
	s_mov_b32 s18, s17
	s_cbranch_execz .LBB274_8
	s_branch .LBB274_11
.LBB274_7:
                                        ; implicit-def: $vgpr2_vgpr3_vgpr4_vgpr5
	s_mov_b32 s18, s17
.LBB274_8:
	s_mov_b32 s36, 0
	s_mov_b32 s37, s36
	;; [unrolled: 1-line block ×4, first 2 shown]
	v_pk_mov_b32 v[2:3], s[36:37], s[36:37] op_sel:[0,1]
	v_pk_mov_b32 v[4:5], s[38:39], s[38:39] op_sel:[0,1]
	s_and_saveexec_b64 s[14:15], s[0:1]
	s_cbranch_execz .LBB274_10
; %bb.9:
	s_load_dwordx2 s[26:27], s[4:5], 0x38
	s_mul_hi_i32 s29, s23, s6
	s_mul_i32 s28, s23, s6
	s_lshl_b64 s[28:29], s[28:29], 1
	s_mov_b32 s31, 0x20000
	s_waitcnt lgkmcnt(0)
	s_add_u32 s28, s26, s28
	s_addc_u32 s18, s27, s29
	s_and_b32 s29, s18, 0xffff
	v_lshlrev_b32_e32 v14, 3, v0
	buffer_load_dwordx2 v[2:3], v14, s[28:31], 0 offen glc slc
	s_load_dwordx2 s[26:27], s[4:5], 0x20
	s_waitcnt vmcnt(2)
	v_cvt_f32_u32_sdwa v5, v8 dst_sel:DWORD dst_unused:UNUSED_PAD src0_sel:WORD_1
	v_cvt_f32_u32_sdwa v4, v8 dst_sel:DWORD dst_unused:UNUSED_PAD src0_sel:WORD_0
	v_cvt_f32_u32_sdwa v11, v9 dst_sel:DWORD dst_unused:UNUSED_PAD src0_sel:WORD_1
	v_cvt_f32_u32_sdwa v10, v9 dst_sel:DWORD dst_unused:UNUSED_PAD src0_sel:WORD_0
	s_mul_hi_i32 s29, s13, s6
	s_mul_i32 s28, s13, s6
	s_lshl_b64 s[28:29], s[28:29], 1
	s_waitcnt lgkmcnt(0)
	s_add_u32 s28, s26, s28
	s_mov_b32 s13, 0x7060302
	s_addc_u32 s18, s27, s29
	s_and_b32 s29, s18, 0xffff
	s_waitcnt vmcnt(0)
	v_cvt_f32_u32_sdwa v9, v2 dst_sel:DWORD dst_unused:UNUSED_PAD src0_sel:WORD_1
	v_cvt_f32_u32_sdwa v8, v2 dst_sel:DWORD dst_unused:UNUSED_PAD src0_sel:WORD_0
	v_cvt_f32_u32_sdwa v13, v3 dst_sel:DWORD dst_unused:UNUSED_PAD src0_sel:WORD_1
	v_cvt_f32_u32_sdwa v12, v3 dst_sel:DWORD dst_unused:UNUSED_PAD src0_sel:WORD_0
	v_pk_add_f32 v[2:3], v[4:5], v[8:9]
	v_perm_b32 v8, v3, v2, s13
	v_pk_add_f32 v[4:5], v[10:11], v[12:13]
	v_perm_b32 v9, v5, v4, s13
	buffer_store_dwordx2 v[8:9], v14, s[28:31], 0 offen glc slc
	;;#ASMSTART
	s_nop 0
	;;#ASMEND
.LBB274_10:
	s_or_b64 exec, exec, s[14:15]
	s_mov_b32 s18, s16
.LBB274_11:
	s_waitcnt vmcnt(1)
	v_mul_f32_e32 v8, v3, v3
	v_fmac_f32_e32 v8, v2, v2
	v_fmac_f32_e32 v8, v4, v4
	;; [unrolled: 1-line block ×3, first 2 shown]
	v_bfrev_b32_e32 v10, 0.5
	s_load_dwordx2 s[14:15], s[4:5], 0x18
	v_mov_b32_dpp v9, v8 quad_perm:[1,0,3,2] row_mask:0xf bank_mask:0xf
	v_add_f32_e32 v8, v8, v9
	s_nop 1
	v_mov_b32_dpp v9, v8 quad_perm:[2,3,0,1] row_mask:0xf bank_mask:0xf
	v_add_f32_e32 v8, v8, v9
	s_nop 1
	v_mov_b32_dpp v9, v8 row_half_mirror row_mask:0xf bank_mask:0xf
	v_add_f32_e32 v8, v8, v9
	s_nop 1
	v_mov_b32_dpp v9, v8 row_mirror row_mask:0xf bank_mask:0xf
	v_add_f32_e32 v8, v8, v9
	s_nop 1
	v_mov_b32_dpp v9, v8 row_bcast:15 row_mask:0xf bank_mask:0xf
	v_add_f32_e32 v8, v8, v9
	s_nop 1
	v_mov_b32_dpp v9, v8 row_bcast:31 row_mask:0xf bank_mask:0xf
	v_add_f32_e32 v9, v8, v9
	v_mbcnt_lo_u32_b32 v8, -1, 0
	v_mbcnt_hi_u32_b32 v8, -1, v8
	v_lshl_or_b32 v8, v8, 2, v10
	ds_bpermute_b32 v9, v8, v9
	s_and_saveexec_b64 s[26:27], s[0:1]
	s_cbranch_execnz .LBB274_16
; %bb.12:
	s_or_b64 exec, exec, s[26:27]
	s_mov_b64 s[26:27], -1
	s_and_b64 vcc, exec, s[2:3]
	s_cbranch_vccnz .LBB274_17
.LBB274_13:
	s_andn2_b64 vcc, exec, s[26:27]
	s_cbranch_vccz .LBB274_20
.LBB274_14:
	s_cmp_lt_i32 s20, 1
	s_cbranch_scc0 .LBB274_29
.LBB274_15:
	s_endpgm
.LBB274_16:
	v_cvt_f32_u32_e32 v10, s7
	s_mov_b32 s7, 0x800000
	s_waitcnt lgkmcnt(0)
	v_div_scale_f32 v11, s[28:29], v10, v10, v9
	v_rcp_f32_e32 v12, v11
	v_div_scale_f32 v13, vcc, v9, v10, v9
	v_fma_f32 v14, -v11, v12, 1.0
	v_fmac_f32_e32 v12, v14, v12
	v_mul_f32_e32 v14, v13, v12
	v_fma_f32 v15, -v11, v14, v13
	v_fmac_f32_e32 v14, v15, v12
	v_fma_f32 v11, -v11, v14, v13
	v_div_fmas_f32 v11, v11, v12, v14
	v_div_fixup_f32 v9, v11, v10, v9
	v_add_f32_e32 v9, s18, v9
	v_mul_f32_e32 v10, 0x4b800000, v9
	v_cmp_gt_f32_e32 vcc, s7, v9
	v_cndmask_b32_e32 v9, v9, v10, vcc
	v_rsq_f32_e32 v9, v9
	s_waitcnt vmcnt(0)
	v_cvt_f32_u32_sdwa v11, v6 dst_sel:DWORD dst_unused:UNUSED_PAD src0_sel:WORD_1
	v_cvt_f32_u32_sdwa v10, v6 dst_sel:DWORD dst_unused:UNUSED_PAD src0_sel:WORD_0
	v_cvt_f32_u32_sdwa v13, v7 dst_sel:DWORD dst_unused:UNUSED_PAD src0_sel:WORD_1
	v_cvt_f32_u32_sdwa v12, v7 dst_sel:DWORD dst_unused:UNUSED_PAD src0_sel:WORD_0
	v_mul_f32_e32 v6, 0x45800000, v9
	v_cndmask_b32_e32 v14, v9, v6, vcc
	v_mov_b32_e32 v15, v14
	;;#ASMSTART
	v_pk_mul_f32 v[2:3], v[2:3], v[14:15]
	;;#ASMEND
	;;#ASMSTART
	v_pk_mul_f32 v[4:5], v[4:5], v[14:15]
	;;#ASMEND
	v_pk_add_f32 v[6:7], v[10:11], 1.0 op_sel_hi:[1,0]
	;;#ASMSTART
	v_pk_mul_f32 v[2:3], v[2:3], v[6:7]
	;;#ASMEND
	v_pk_add_f32 v[6:7], v[12:13], 1.0 op_sel_hi:[1,0]
	;;#ASMSTART
	v_pk_mul_f32 v[4:5], v[4:5], v[6:7]
	;;#ASMEND
	s_or_b64 exec, exec, s[26:27]
	s_mov_b64 s[26:27], -1
	s_and_b64 vcc, exec, s[2:3]
	s_cbranch_vccz .LBB274_13
.LBB274_17:
	s_and_saveexec_b64 s[2:3], s[0:1]
	s_cbranch_execz .LBB274_19
; %bb.18:
	s_mul_hi_i32 s27, s12, s6
	s_mul_i32 s26, s12, s6
	s_lshl_b64 s[26:27], s[26:27], 1
	s_waitcnt lgkmcnt(0)
	s_add_u32 s28, s14, s26
	s_addc_u32 s7, s15, s27
	s_and_b32 s29, s7, 0xffff
	s_mov_b32 s7, 0x7060302
	s_mov_b32 s31, 0x20000
	s_waitcnt vmcnt(0)
	v_perm_b32 v6, v3, v2, s7
	v_perm_b32 v7, v5, v4, s7
	v_lshlrev_b32_e32 v9, 3, v0
	buffer_store_dwordx2 v[6:7], v9, s[28:31], 0 offen
	;;#ASMSTART
	s_nop 0
	;;#ASMEND
.LBB274_19:
	s_or_b64 exec, exec, s[2:3]
	s_cbranch_execnz .LBB274_14
.LBB274_20:
	s_waitcnt vmcnt(0)
	v_mov_b32_e32 v6, 0
	s_and_saveexec_b64 s[2:3], s[0:1]
	s_cbranch_execz .LBB274_22
; %bb.21:
	s_load_dwordx2 s[26:27], s[4:5], 0x10
	s_mul_hi_i32 s29, s11, s6
	s_mul_i32 s28, s11, s6
	s_lshl_b64 s[28:29], s[28:29], 1
	s_mov_b32 s31, 0x20000
	s_waitcnt lgkmcnt(0)
	s_add_u32 s28, s26, s28
	s_addc_u32 s7, s27, s29
	s_and_b32 s29, s7, 0xffff
	s_mov_b32 s7, 0x7060302
	v_perm_b32 v6, v3, v2, s7
	v_perm_b32 v7, v5, v4, s7
	v_lshlrev_b32_e32 v9, 3, v0
	buffer_store_dwordx2 v[6:7], v9, s[28:31], 0 offen
	v_mov_b32_e32 v6, 0x2edbe6ff
	;;#ASMSTART
	s_nop 0
	;;#ASMEND
.LBB274_22:
	s_or_b64 exec, exec, s[2:3]
	s_and_saveexec_b64 s[2:3], s[0:1]
	s_cbranch_execz .LBB274_24
; %bb.23:
	v_and_b32_e32 v7, 0x7fffffff, v2
	s_waitcnt lgkmcnt(0)
	v_and_b32_e32 v9, 0x7fffffff, v3
	;;#ASMSTART
	v_max3_f32 v6, v6, v7, v9

	;;#ASMEND
	v_and_b32_e32 v7, 0x7fffffff, v4
	v_and_b32_e32 v9, 0x7fffffff, v5
	;;#ASMSTART
	v_max3_f32 v6, v6, v7, v9

	;;#ASMEND
.LBB274_24:
	s_or_b64 exec, exec, s[2:3]
	;;#ASMSTART
	v_max_f32 v7, v6, v6 quad_perm:[1,0,3,2] row_mask:0xf bank_mask:0xf bound_ctrl:1
	;;#ASMEND
	;;#ASMSTART
	v_max_f32 v6, v7, v7 quad_perm:[2,3,0,1] row_mask:0xf bank_mask:0xf bound_ctrl:1
	;;#ASMEND
	;;#ASMSTART
	v_max_f32 v7, v6, v6 row_half_mirror row_mask:0xf bank_mask:0xf bound_ctrl:1
	;;#ASMEND
	;;#ASMSTART
	v_max_f32 v6, v7, v7 row_mirror row_mask:0xf bank_mask:0xf bound_ctrl:1
	;;#ASMEND
	v_and_b32_e32 v7, 15, v0
	v_cmp_eq_u32_e32 vcc, 0, v7
	v_cmp_gt_i32_e64 s[2:3], s19, v1
	v_mul_f32_e32 v6, 0x3b124925, v6
	s_and_b64 s[26:27], vcc, s[2:3]
	s_and_saveexec_b64 s[2:3], s[26:27]
	s_cbranch_execz .LBB274_26
; %bb.25:
	s_load_dwordx2 s[26:27], s[4:5], 0x8
	v_lshrrev_b32_e32 v7, 4, v0
	s_mul_hi_i32 s29, s9, s6
	s_mul_i32 s28, s9, s6
	v_mad_i64_i32 v[10:11], s[10:11], s10, v7, 0
	s_lshl_b64 s[10:11], s[28:29], 2
	s_waitcnt lgkmcnt(0)
	s_add_u32 s7, s26, s10
	s_addc_u32 s9, s27, s11
	v_lshlrev_b64 v[10:11], 2, v[10:11]
	v_mov_b32_e32 v7, s9
	v_add_co_u32_e32 v10, vcc, s7, v10
	v_addc_co_u32_e32 v11, vcc, v7, v11, vcc
	global_store_dword v[10:11], v6, off
.LBB274_26:
	s_or_b64 exec, exec, s[2:3]
	;;#ASMSTART
	v_rcp_f32 v6, v6
	;;#ASMEND
	s_and_saveexec_b64 s[2:3], s[0:1]
	s_cbranch_execz .LBB274_28
; %bb.27:
	s_load_dwordx2 s[0:1], s[4:5], 0x0
	s_mul_hi_i32 s7, s8, s6
	s_mul_i32 s8, s8, s6
	v_mov_b32_e32 v7, v6
	;;#ASMSTART
	v_pk_mul_f32 v[2:3], v[2:3], v[6:7]
	;;#ASMEND
	s_waitcnt lgkmcnt(0)
	s_add_u32 s8, s0, s8
	s_addc_u32 s0, s1, s7
	s_add_i32 s1, s19, 3
	s_ashr_i32 s7, s1, 31
	v_mov_b32_e32 v9, 0xc3e00000
	v_mov_b32_e32 v10, 0x43e00000
	;;#ASMSTART
	v_med3_f32 v2, v2, v9, v10
v_med3_f32 v3, v3, v9, v10
v_cvt_pk_fp8_f32 v11, v2, v3
	;;#ASMEND
	s_and_b32 s9, s0, 0xffff
	s_lshr_b32 s0, s7, 30
	;;#ASMSTART
	v_pk_mul_f32 v[2:3], v[4:5], v[6:7]
	;;#ASMEND
	s_add_i32 s1, s1, s0
	;;#ASMSTART
	v_med3_f32 v2, v2, v9, v10
v_med3_f32 v3, v3, v9, v10
v_cvt_pk_fp8_f32 v4, v2, v3
	;;#ASMEND
	s_mov_b32 s0, 0x5040100
	s_and_b32 s10, s1, -4
	s_mov_b32 s11, 0x20000
	v_perm_b32 v2, v4, v11, s0
	buffer_store_dword v2, v1, s[8:11], 0 offen
	;;#ASMSTART
	s_nop 0
	;;#ASMEND
.LBB274_28:
	s_or_b64 exec, exec, s[2:3]
	s_cmp_lt_i32 s20, 1
	s_cbranch_scc1 .LBB274_15
.LBB274_29:
	s_load_dword s0, s[4:5], 0x94
	s_waitcnt lgkmcnt(0)
	s_cmp_lg_u32 s0, 1
	s_cbranch_scc1 .LBB274_15
; %bb.30:
	s_lshl_b32 s0, s20, 1
	s_add_i32 s0, s0, 2
	v_cmp_gt_u32_e32 vcc, s20, v1
	s_and_b32 s26, s0, -4
	v_mov_b32_e32 v2, 0
	s_waitcnt vmcnt(0)
	v_lshlrev_b32_e32 v6, 3, v0
	v_mov_b32_e32 v3, 0
	v_mov_b32_e32 v0, 0
	;; [unrolled: 1-line block ×3, first 2 shown]
	s_barrier
	s_and_saveexec_b64 s[0:1], vcc
	s_cbranch_execz .LBB274_32
; %bb.31:
	s_mul_hi_i32 s3, s22, s6
	s_mul_i32 s2, s22, s6
	s_and_b32 s25, s25, 0xffff
	s_lshl_b64 s[2:3], s[2:3], 1
	s_add_u32 s8, s34, s2
	s_mov_b32 s27, 0x20000
	s_addc_u32 s2, s35, s3
	s_and_b32 s9, s2, 0xffff
	s_mov_b32 s10, s26
	s_mov_b32 s11, s27
	buffer_load_dwordx2 v[2:3], v6, s[8:11], 0 offen glc slc
	buffer_load_dwordx2 v[0:1], v6, s[24:27], 0 offen
.LBB274_32:
	s_or_b64 exec, exec, s[0:1]
	s_waitcnt vmcnt(1)
	v_cvt_f32_u32_sdwa v5, v3 dst_sel:DWORD dst_unused:UNUSED_PAD src0_sel:WORD_0
	v_cvt_f32_u32_sdwa v7, v2 dst_sel:DWORD dst_unused:UNUSED_PAD src0_sel:WORD_1
	v_cvt_f32_u32_sdwa v4, v3 dst_sel:DWORD dst_unused:UNUSED_PAD src0_sel:WORD_1
	v_cvt_f32_u32_sdwa v9, v2 dst_sel:DWORD dst_unused:UNUSED_PAD src0_sel:WORD_0
	v_cndmask_b32_e32 v2, 0, v5, vcc
	v_cndmask_b32_e32 v5, 0, v7, vcc
	;; [unrolled: 1-line block ×4, first 2 shown]
	v_mul_f32_e32 v7, v5, v5
	v_fmac_f32_e32 v7, v4, v4
	v_fmac_f32_e32 v7, v2, v2
	;; [unrolled: 1-line block ×3, first 2 shown]
	s_nop 1
	v_mov_b32_dpp v9, v7 quad_perm:[1,0,3,2] row_mask:0xf bank_mask:0xf
	v_add_f32_e32 v7, v7, v9
	s_nop 1
	v_mov_b32_dpp v9, v7 quad_perm:[2,3,0,1] row_mask:0xf bank_mask:0xf
	v_add_f32_e32 v7, v7, v9
	s_nop 1
	v_mov_b32_dpp v9, v7 row_half_mirror row_mask:0xf bank_mask:0xf
	v_add_f32_e32 v7, v7, v9
	s_nop 1
	v_mov_b32_dpp v9, v7 row_mirror row_mask:0xf bank_mask:0xf
	v_add_f32_e32 v7, v7, v9
	s_nop 1
	v_mov_b32_dpp v9, v7 row_bcast:15 row_mask:0xf bank_mask:0xf
	v_add_f32_e32 v7, v7, v9
	s_nop 1
	v_mov_b32_dpp v9, v7 row_bcast:31 row_mask:0xf bank_mask:0xf
	v_add_f32_e32 v7, v7, v9
	ds_bpermute_b32 v7, v8, v7
	s_and_saveexec_b64 s[0:1], vcc
	s_cbranch_execz .LBB274_15
; %bb.33:
	v_cvt_f32_u32_e32 v8, s20
	s_mov_b32 s27, 0x20000
	s_waitcnt lgkmcnt(0)
	v_div_scale_f32 v9, s[0:1], v8, v8, v7
	v_rcp_f32_e32 v10, v9
	v_div_scale_f32 v11, vcc, v7, v8, v7
	s_mov_b32 s0, 0x800000
	v_fma_f32 v12, -v9, v10, 1.0
	v_fmac_f32_e32 v10, v12, v10
	v_mul_f32_e32 v12, v11, v10
	v_fma_f32 v13, -v9, v12, v11
	v_fmac_f32_e32 v12, v13, v10
	v_fma_f32 v9, -v9, v12, v11
	v_div_fmas_f32 v9, v9, v10, v12
	v_div_fixup_f32 v7, v9, v8, v7
	v_add_f32_e32 v7, s17, v7
	v_mul_f32_e32 v8, 0x4b800000, v7
	v_cmp_gt_f32_e32 vcc, s0, v7
	v_cndmask_b32_e32 v7, v7, v8, vcc
	v_rsq_f32_e32 v7, v7
	s_waitcnt vmcnt(0)
	v_cvt_f32_u32_sdwa v9, v0 dst_sel:DWORD dst_unused:UNUSED_PAD src0_sel:WORD_1
	v_cvt_f32_u32_sdwa v8, v0 dst_sel:DWORD dst_unused:UNUSED_PAD src0_sel:WORD_0
	s_mul_hi_i32 s1, s12, s6
	s_mul_i32 s0, s12, s6
	v_cvt_f32_u32_sdwa v11, v1 dst_sel:DWORD dst_unused:UNUSED_PAD src0_sel:WORD_1
	v_mul_f32_e32 v0, 0x45800000, v7
	v_cvt_f32_u32_sdwa v10, v1 dst_sel:DWORD dst_unused:UNUSED_PAD src0_sel:WORD_0
	s_lshl_b64 s[0:1], s[0:1], 1
	v_cndmask_b32_e32 v12, v7, v0, vcc
	s_add_u32 s24, s14, s0
	v_mov_b32_e32 v13, v12
	;;#ASMSTART
	v_pk_mul_f32 v[4:5], v[4:5], v[12:13]
	;;#ASMEND
	;;#ASMSTART
	v_pk_mul_f32 v[0:1], v[2:3], v[12:13]
	;;#ASMEND
	v_pk_add_f32 v[2:3], v[8:9], 1.0 op_sel_hi:[1,0]
	s_addc_u32 s0, s15, s1
	;;#ASMSTART
	v_pk_mul_f32 v[2:3], v[4:5], v[2:3]
	;;#ASMEND
	s_and_b32 s25, s0, 0xffff
	s_mov_b32 s0, 0x7060302
	v_pk_add_f32 v[4:5], v[10:11], 1.0 op_sel_hi:[1,0]
	;;#ASMSTART
	v_pk_mul_f32 v[0:1], v[0:1], v[4:5]
	;;#ASMEND
	v_perm_b32 v2, v3, v2, s0
	v_perm_b32 v3, v1, v0, s0
	buffer_store_dwordx2 v[2:3], v6, s[24:27], 0 offen
	;;#ASMSTART
	s_nop 0
	;;#ASMEND
	s_endpgm
	.section	.rodata,"a",@progbits
	.p2align	6, 0x0
	.amdhsa_kernel _ZN5aiter35fused_qk_rmsnorm_group_quant_kernelItDB8_Li64ELi4ELi16ELb1ELb1ELb1ELb0ELb0ELb0EEEvPT0_PvPT_S6_S6_PKS5_S8_S8_S8_S8_ffiiiiiiiiiiiii
		.amdhsa_group_segment_fixed_size 0
		.amdhsa_private_segment_fixed_size 0
		.amdhsa_kernarg_size 400
		.amdhsa_user_sgpr_count 6
		.amdhsa_user_sgpr_private_segment_buffer 1
		.amdhsa_user_sgpr_dispatch_ptr 0
		.amdhsa_user_sgpr_queue_ptr 0
		.amdhsa_user_sgpr_kernarg_segment_ptr 1
		.amdhsa_user_sgpr_dispatch_id 0
		.amdhsa_user_sgpr_flat_scratch_init 0
		.amdhsa_user_sgpr_kernarg_preload_length 0
		.amdhsa_user_sgpr_kernarg_preload_offset 0
		.amdhsa_user_sgpr_private_segment_size 0
		.amdhsa_uses_dynamic_stack 0
		.amdhsa_system_sgpr_private_segment_wavefront_offset 0
		.amdhsa_system_sgpr_workgroup_id_x 1
		.amdhsa_system_sgpr_workgroup_id_y 1
		.amdhsa_system_sgpr_workgroup_id_z 0
		.amdhsa_system_sgpr_workgroup_info 0
		.amdhsa_system_vgpr_workitem_id 0
		.amdhsa_next_free_vgpr 16
		.amdhsa_next_free_sgpr 40
		.amdhsa_accum_offset 16
		.amdhsa_reserve_vcc 1
		.amdhsa_reserve_flat_scratch 0
		.amdhsa_float_round_mode_32 0
		.amdhsa_float_round_mode_16_64 0
		.amdhsa_float_denorm_mode_32 3
		.amdhsa_float_denorm_mode_16_64 3
		.amdhsa_dx10_clamp 1
		.amdhsa_ieee_mode 1
		.amdhsa_fp16_overflow 0
		.amdhsa_tg_split 0
		.amdhsa_exception_fp_ieee_invalid_op 0
		.amdhsa_exception_fp_denorm_src 0
		.amdhsa_exception_fp_ieee_div_zero 0
		.amdhsa_exception_fp_ieee_overflow 0
		.amdhsa_exception_fp_ieee_underflow 0
		.amdhsa_exception_fp_ieee_inexact 0
		.amdhsa_exception_int_div_zero 0
	.end_amdhsa_kernel
	.section	.text._ZN5aiter35fused_qk_rmsnorm_group_quant_kernelItDB8_Li64ELi4ELi16ELb1ELb1ELb1ELb0ELb0ELb0EEEvPT0_PvPT_S6_S6_PKS5_S8_S8_S8_S8_ffiiiiiiiiiiiii,"axG",@progbits,_ZN5aiter35fused_qk_rmsnorm_group_quant_kernelItDB8_Li64ELi4ELi16ELb1ELb1ELb1ELb0ELb0ELb0EEEvPT0_PvPT_S6_S6_PKS5_S8_S8_S8_S8_ffiiiiiiiiiiiii,comdat
.Lfunc_end274:
	.size	_ZN5aiter35fused_qk_rmsnorm_group_quant_kernelItDB8_Li64ELi4ELi16ELb1ELb1ELb1ELb0ELb0ELb0EEEvPT0_PvPT_S6_S6_PKS5_S8_S8_S8_S8_ffiiiiiiiiiiiii, .Lfunc_end274-_ZN5aiter35fused_qk_rmsnorm_group_quant_kernelItDB8_Li64ELi4ELi16ELb1ELb1ELb1ELb0ELb0ELb0EEEvPT0_PvPT_S6_S6_PKS5_S8_S8_S8_S8_ffiiiiiiiiiiiii
                                        ; -- End function
	.section	.AMDGPU.csdata,"",@progbits
; Kernel info:
; codeLenInByte = 2316
; NumSgprs: 44
; NumVgprs: 16
; NumAgprs: 0
; TotalNumVgprs: 16
; ScratchSize: 0
; MemoryBound: 0
; FloatMode: 240
; IeeeMode: 1
; LDSByteSize: 0 bytes/workgroup (compile time only)
; SGPRBlocks: 5
; VGPRBlocks: 1
; NumSGPRsForWavesPerEU: 44
; NumVGPRsForWavesPerEU: 16
; AccumOffset: 16
; Occupancy: 8
; WaveLimiterHint : 0
; COMPUTE_PGM_RSRC2:SCRATCH_EN: 0
; COMPUTE_PGM_RSRC2:USER_SGPR: 6
; COMPUTE_PGM_RSRC2:TRAP_HANDLER: 0
; COMPUTE_PGM_RSRC2:TGID_X_EN: 1
; COMPUTE_PGM_RSRC2:TGID_Y_EN: 1
; COMPUTE_PGM_RSRC2:TGID_Z_EN: 0
; COMPUTE_PGM_RSRC2:TIDIG_COMP_CNT: 0
; COMPUTE_PGM_RSRC3_GFX90A:ACCUM_OFFSET: 3
; COMPUTE_PGM_RSRC3_GFX90A:TG_SPLIT: 0
	.section	.text._ZN5aiter35fused_qk_rmsnorm_group_quant_kernelIDF16_DB8_Li64ELi4ELi16ELb1ELb1ELb0ELb0ELb0ELb0EEEvPT0_PvPT_S6_S6_PKS5_S8_S8_S8_S8_ffiiiiiiiiiiiii,"axG",@progbits,_ZN5aiter35fused_qk_rmsnorm_group_quant_kernelIDF16_DB8_Li64ELi4ELi16ELb1ELb1ELb0ELb0ELb0ELb0EEEvPT0_PvPT_S6_S6_PKS5_S8_S8_S8_S8_ffiiiiiiiiiiiii,comdat
	.protected	_ZN5aiter35fused_qk_rmsnorm_group_quant_kernelIDF16_DB8_Li64ELi4ELi16ELb1ELb1ELb0ELb0ELb0ELb0EEEvPT0_PvPT_S6_S6_PKS5_S8_S8_S8_S8_ffiiiiiiiiiiiii ; -- Begin function _ZN5aiter35fused_qk_rmsnorm_group_quant_kernelIDF16_DB8_Li64ELi4ELi16ELb1ELb1ELb0ELb0ELb0ELb0EEEvPT0_PvPT_S6_S6_PKS5_S8_S8_S8_S8_ffiiiiiiiiiiiii
	.globl	_ZN5aiter35fused_qk_rmsnorm_group_quant_kernelIDF16_DB8_Li64ELi4ELi16ELb1ELb1ELb0ELb0ELb0ELb0EEEvPT0_PvPT_S6_S6_PKS5_S8_S8_S8_S8_ffiiiiiiiiiiiii
	.p2align	8
	.type	_ZN5aiter35fused_qk_rmsnorm_group_quant_kernelIDF16_DB8_Li64ELi4ELi16ELb1ELb1ELb0ELb0ELb0ELb0EEEvPT0_PvPT_S6_S6_PKS5_S8_S8_S8_S8_ffiiiiiiiiiiiii,@function
_ZN5aiter35fused_qk_rmsnorm_group_quant_kernelIDF16_DB8_Li64ELi4ELi16ELb1ELb1ELb0ELb0ELb0ELb0EEEvPT0_PvPT_S6_S6_PKS5_S8_S8_S8_S8_ffiiiiiiiiiiiii: ; @_ZN5aiter35fused_qk_rmsnorm_group_quant_kernelIDF16_DB8_Li64ELi4ELi16ELb1ELb1ELb0ELb0ELb0ELb0EEEvPT0_PvPT_S6_S6_PKS5_S8_S8_S8_S8_ffiiiiiiiiiiiii
; %bb.0:
	s_load_dwordx8 s[16:23], s[4:5], 0x50
	s_waitcnt lgkmcnt(0)
	s_cmp_ge_i32 s6, s18
	s_cbranch_scc1 .LBB275_15
; %bb.1:
	s_cmp_lg_u32 s7, 0
	s_cselect_b64 s[2:3], -1, 0
	s_cmp_eq_u32 s7, 0
	s_cselect_b64 s[26:27], -1, 0
	s_and_b64 s[0:1], s[26:27], exec
	s_load_dwordx2 s[24:25], s[4:5], 0x48
	s_load_dwordx2 s[34:35], s[4:5], 0x30
	s_load_dwordx8 s[8:15], s[4:5], 0x70
	s_cselect_b32 s7, s19, s20
	s_add_i32 s0, s7, 1
	s_lshr_b32 s1, s0, 31
	s_add_i32 s0, s0, s1
	s_lshl_b32 s0, s0, 1
	v_lshlrev_b32_e32 v1, 2, v0
	s_and_b32 s30, s0, -4
	v_cmp_gt_i32_e64 s[0:1], s7, v1
	v_mov_b32_e32 v8, 0
	v_mov_b32_e32 v9, 0
	;; [unrolled: 1-line block ×4, first 2 shown]
	s_waitcnt lgkmcnt(0)
	s_and_saveexec_b64 s[14:15], s[0:1]
	s_cbranch_execz .LBB275_3
; %bb.2:
	s_load_dwordx2 s[28:29], s[4:5], 0x28
	s_load_dwordx2 s[38:39], s[4:5], 0x40
	s_and_b64 s[36:37], s[26:27], exec
	s_cselect_b32 s18, s21, s22
	v_lshlrev_b32_e32 v2, 3, v0
	s_waitcnt lgkmcnt(0)
	s_cselect_b32 s21, s29, s35
	s_cselect_b32 s31, s28, s34
	s_mul_hi_i32 s29, s18, s6
	s_mul_i32 s28, s18, s6
	s_lshl_b64 s[28:29], s[28:29], 1
	s_add_u32 s36, s31, s28
	s_addc_u32 s18, s21, s29
	s_and_b64 s[26:27], s[26:27], exec
	s_mov_b32 s31, 0x20000
	s_cselect_b32 s28, s38, s24
	s_cselect_b32 s21, s39, s25
	s_and_b32 s37, s18, 0xffff
	s_mov_b32 s38, s30
	s_mov_b32 s39, s31
	s_and_b32 s29, s21, 0xffff
	buffer_load_dwordx2 v[10:11], v2, s[36:39], 0 offen glc slc
	buffer_load_dwordx2 v[8:9], v2, s[28:31], 0 offen
.LBB275_3:
	s_or_b64 exec, exec, s[14:15]
	s_and_b64 vcc, exec, s[2:3]
	s_cbranch_vccz .LBB275_7
; %bb.4:
	v_mov_b32_e32 v7, 0
	v_mov_b32_e32 v6, 0
	;; [unrolled: 1-line block ×4, first 2 shown]
	s_and_saveexec_b64 s[14:15], s[0:1]
	s_cbranch_execz .LBB275_6
; %bb.5:
	s_waitcnt vmcnt(1)
	v_cvt_f32_f16_sdwa v3, v10 dst_sel:DWORD dst_unused:UNUSED_PAD src0_sel:WORD_1
	v_cvt_f32_f16_e32 v2, v10
	v_cvt_f32_f16_sdwa v7, v11 dst_sel:DWORD dst_unused:UNUSED_PAD src0_sel:WORD_1
	v_cvt_f32_f16_e32 v6, v11
.LBB275_6:
	s_or_b64 exec, exec, s[14:15]
	s_mov_b32 s18, s17
	s_cbranch_execz .LBB275_8
	s_branch .LBB275_11
.LBB275_7:
                                        ; implicit-def: $vgpr7
                                        ; implicit-def: $vgpr2_vgpr3_vgpr4_vgpr5
	s_mov_b32 s18, s17
.LBB275_8:
	v_mov_b32_e32 v7, 0
	v_mov_b32_e32 v6, 0
	;; [unrolled: 1-line block ×4, first 2 shown]
	s_and_saveexec_b64 s[14:15], s[0:1]
	s_cbranch_execz .LBB275_10
; %bb.9:
	s_load_dwordx2 s[26:27], s[4:5], 0x38
	s_mul_hi_i32 s29, s23, s6
	s_mul_i32 s28, s23, s6
	s_lshl_b64 s[28:29], s[28:29], 1
	s_mov_b32 s31, 0x20000
	s_waitcnt lgkmcnt(0)
	s_add_u32 s28, s26, s28
	s_addc_u32 s18, s27, s29
	s_and_b32 s29, s18, 0xffff
	v_lshlrev_b32_e32 v14, 3, v0
	buffer_load_dwordx2 v[2:3], v14, s[28:31], 0 offen glc slc
	s_waitcnt vmcnt(2)
	v_cvt_f32_f16_sdwa v5, v10 dst_sel:DWORD dst_unused:UNUSED_PAD src0_sel:WORD_1
	v_cvt_f32_f16_e32 v4, v10
	v_cvt_f32_f16_sdwa v7, v11 dst_sel:DWORD dst_unused:UNUSED_PAD src0_sel:WORD_1
	v_cvt_f32_f16_e32 v6, v11
	s_load_dwordx2 s[26:27], s[4:5], 0x20
	s_mul_hi_i32 s29, s13, s6
	s_mul_i32 s28, s13, s6
	s_lshl_b64 s[28:29], s[28:29], 1
	s_waitcnt lgkmcnt(0)
	s_add_u32 s28, s26, s28
	s_addc_u32 s13, s27, s29
	s_and_b32 s29, s13, 0xffff
	s_waitcnt vmcnt(0)
	v_cvt_f32_f16_e32 v10, v2
	v_cvt_f32_f16_sdwa v11, v2 dst_sel:DWORD dst_unused:UNUSED_PAD src0_sel:WORD_1
	v_cvt_f32_f16_e32 v12, v3
	v_cvt_f32_f16_sdwa v13, v3 dst_sel:DWORD dst_unused:UNUSED_PAD src0_sel:WORD_1
	v_pk_add_f32 v[2:3], v[4:5], v[10:11]
	v_cvt_f16_f32_e32 v4, v3
	v_pk_add_f32 v[6:7], v[6:7], v[12:13]
	v_cvt_f16_f32_e32 v5, v7
	v_cvt_f16_f32_e32 v10, v6
	v_cvt_f16_f32_e32 v11, v2
	v_pack_b32_f16 v5, v10, v5
	v_pack_b32_f16 v4, v11, v4
	buffer_store_dwordx2 v[4:5], v14, s[28:31], 0 offen glc slc
	;;#ASMSTART
	s_nop 0
	;;#ASMEND
.LBB275_10:
	s_or_b64 exec, exec, s[14:15]
	s_mov_b32 s18, s16
.LBB275_11:
	v_mul_f32_e32 v4, v3, v3
	v_fmac_f32_e32 v4, v2, v2
	v_fmac_f32_e32 v4, v6, v6
	;; [unrolled: 1-line block ×3, first 2 shown]
	s_waitcnt vmcnt(1)
	v_bfrev_b32_e32 v10, 0.5
	s_load_dwordx2 s[14:15], s[4:5], 0x18
	v_mov_b32_dpp v5, v4 quad_perm:[1,0,3,2] row_mask:0xf bank_mask:0xf
	v_add_f32_e32 v4, v4, v5
	s_nop 1
	v_mov_b32_dpp v5, v4 quad_perm:[2,3,0,1] row_mask:0xf bank_mask:0xf
	v_add_f32_e32 v4, v4, v5
	s_nop 1
	v_mov_b32_dpp v5, v4 row_half_mirror row_mask:0xf bank_mask:0xf
	v_add_f32_e32 v4, v4, v5
	s_nop 1
	v_mov_b32_dpp v5, v4 row_mirror row_mask:0xf bank_mask:0xf
	v_add_f32_e32 v4, v4, v5
	s_nop 1
	v_mov_b32_dpp v5, v4 row_bcast:15 row_mask:0xf bank_mask:0xf
	v_add_f32_e32 v4, v4, v5
	s_nop 1
	v_mov_b32_dpp v5, v4 row_bcast:31 row_mask:0xf bank_mask:0xf
	v_add_f32_e32 v4, v4, v5
	v_mbcnt_lo_u32_b32 v5, -1, 0
	v_mbcnt_hi_u32_b32 v5, -1, v5
	v_lshl_or_b32 v10, v5, 2, v10
	ds_bpermute_b32 v4, v10, v4
	s_and_saveexec_b64 s[26:27], s[0:1]
	s_cbranch_execnz .LBB275_16
; %bb.12:
	s_or_b64 exec, exec, s[26:27]
	s_mov_b64 s[26:27], -1
	s_and_b64 vcc, exec, s[2:3]
	s_cbranch_vccnz .LBB275_17
.LBB275_13:
	s_andn2_b64 vcc, exec, s[26:27]
	s_cbranch_vccz .LBB275_20
.LBB275_14:
	s_cmp_lt_i32 s20, 1
	s_cbranch_scc0 .LBB275_29
.LBB275_15:
	s_endpgm
.LBB275_16:
	v_cvt_f32_u32_e32 v5, s7
	s_mov_b32 s7, 0x800000
	s_waitcnt lgkmcnt(0)
	v_div_scale_f32 v11, s[28:29], v5, v5, v4
	v_rcp_f32_e32 v12, v11
	v_div_scale_f32 v13, vcc, v4, v5, v4
	v_fma_f32 v14, -v11, v12, 1.0
	v_fmac_f32_e32 v12, v14, v12
	v_mul_f32_e32 v14, v13, v12
	v_fma_f32 v15, -v11, v14, v13
	v_fmac_f32_e32 v14, v15, v12
	v_fma_f32 v11, -v11, v14, v13
	v_div_fmas_f32 v11, v11, v12, v14
	v_div_fixup_f32 v4, v11, v5, v4
	v_add_f32_e32 v4, s18, v4
	v_mul_f32_e32 v5, 0x4b800000, v4
	v_cmp_gt_f32_e32 vcc, s7, v4
	v_cndmask_b32_e32 v4, v4, v5, vcc
	v_rsq_f32_e32 v11, v4
	s_waitcnt vmcnt(0)
	v_cvt_f32_f16_sdwa v5, v8 dst_sel:DWORD dst_unused:UNUSED_PAD src0_sel:WORD_1
	v_cvt_f32_f16_e32 v4, v8
	v_cvt_f32_f16_sdwa v13, v9 dst_sel:DWORD dst_unused:UNUSED_PAD src0_sel:WORD_1
	v_mul_f32_e32 v8, 0x45800000, v11
	v_cndmask_b32_e32 v14, v11, v8, vcc
	v_mov_b32_e32 v15, v14
	;;#ASMSTART
	v_pk_mul_f32 v[2:3], v[2:3], v[14:15]
	;;#ASMEND
	;;#ASMSTART
	v_pk_mul_f32 v[6:7], v[6:7], v[14:15]
	;;#ASMEND
	v_cvt_f32_f16_e32 v12, v9
	;;#ASMSTART
	v_pk_mul_f32 v[2:3], v[2:3], v[4:5]
	;;#ASMEND
	;;#ASMSTART
	v_pk_mul_f32 v[6:7], v[6:7], v[12:13]
	;;#ASMEND
	s_or_b64 exec, exec, s[26:27]
	s_mov_b64 s[26:27], -1
	s_and_b64 vcc, exec, s[2:3]
	s_cbranch_vccz .LBB275_13
.LBB275_17:
	s_and_saveexec_b64 s[2:3], s[0:1]
	s_cbranch_execz .LBB275_19
; %bb.18:
	s_mul_hi_i32 s27, s12, s6
	s_mul_i32 s26, s12, s6
	s_waitcnt lgkmcnt(0)
	v_cvt_f16_f32_e32 v4, v2
	v_cvt_f16_f32_e32 v5, v6
	s_waitcnt vmcnt(0)
	v_cvt_f16_f32_e32 v8, v7
	v_cvt_f16_f32_e32 v9, v3
	s_lshl_b64 s[26:27], s[26:27], 1
	s_add_u32 s28, s14, s26
	s_addc_u32 s7, s15, s27
	s_and_b32 s29, s7, 0xffff
	s_mov_b32 s31, 0x20000
	v_pack_b32_f16 v5, v5, v8
	v_pack_b32_f16 v4, v4, v9
	v_lshlrev_b32_e32 v8, 3, v0
	buffer_store_dwordx2 v[4:5], v8, s[28:31], 0 offen
	;;#ASMSTART
	s_nop 0
	;;#ASMEND
.LBB275_19:
	s_or_b64 exec, exec, s[2:3]
	s_cbranch_execnz .LBB275_14
.LBB275_20:
	s_waitcnt lgkmcnt(0)
	v_mov_b32_e32 v4, 0
	s_and_saveexec_b64 s[2:3], s[0:1]
	s_cbranch_execz .LBB275_22
; %bb.21:
	s_load_dwordx2 s[26:27], s[4:5], 0x10
	s_mul_hi_i32 s29, s11, s6
	s_mul_i32 s28, s11, s6
	v_cvt_f16_f32_e32 v4, v2
	v_cvt_f16_f32_e32 v5, v6
	s_waitcnt vmcnt(0)
	v_cvt_f16_f32_e32 v8, v7
	v_cvt_f16_f32_e32 v9, v3
	s_lshl_b64 s[28:29], s[28:29], 1
	s_waitcnt lgkmcnt(0)
	s_add_u32 s28, s26, s28
	s_addc_u32 s7, s27, s29
	s_and_b32 s29, s7, 0xffff
	s_mov_b32 s31, 0x20000
	v_pack_b32_f16 v5, v5, v8
	v_pack_b32_f16 v4, v4, v9
	v_lshlrev_b32_e32 v8, 3, v0
	buffer_store_dwordx2 v[4:5], v8, s[28:31], 0 offen
	v_mov_b32_e32 v4, 0x2edbe6ff
	;;#ASMSTART
	s_nop 0
	;;#ASMEND
.LBB275_22:
	s_or_b64 exec, exec, s[2:3]
	s_and_saveexec_b64 s[2:3], s[0:1]
	s_cbranch_execz .LBB275_24
; %bb.23:
	v_and_b32_e32 v5, 0x7fffffff, v2
	s_waitcnt vmcnt(0)
	v_and_b32_e32 v8, 0x7fffffff, v3
	;;#ASMSTART
	v_max3_f32 v4, v4, v5, v8

	;;#ASMEND
	v_and_b32_e32 v5, 0x7fffffff, v6
	v_and_b32_e32 v8, 0x7fffffff, v7
	;;#ASMSTART
	v_max3_f32 v4, v4, v5, v8

	;;#ASMEND
.LBB275_24:
	s_or_b64 exec, exec, s[2:3]
	;;#ASMSTART
	v_max_f32 v5, v4, v4 quad_perm:[1,0,3,2] row_mask:0xf bank_mask:0xf bound_ctrl:1
	;;#ASMEND
	;;#ASMSTART
	v_max_f32 v4, v5, v5 quad_perm:[2,3,0,1] row_mask:0xf bank_mask:0xf bound_ctrl:1
	;;#ASMEND
	;;#ASMSTART
	v_max_f32 v5, v4, v4 row_half_mirror row_mask:0xf bank_mask:0xf bound_ctrl:1
	;;#ASMEND
	;;#ASMSTART
	v_max_f32 v4, v5, v5 row_mirror row_mask:0xf bank_mask:0xf bound_ctrl:1
	;;#ASMEND
	v_and_b32_e32 v5, 15, v0
	v_cmp_eq_u32_e32 vcc, 0, v5
	v_cmp_gt_i32_e64 s[2:3], s19, v1
	v_mul_f32_e32 v4, 0x3b124925, v4
	s_and_b64 s[26:27], vcc, s[2:3]
	s_and_saveexec_b64 s[2:3], s[26:27]
	s_cbranch_execz .LBB275_26
; %bb.25:
	s_load_dwordx2 s[26:27], s[4:5], 0x8
	v_lshrrev_b32_e32 v5, 4, v0
	s_mul_hi_i32 s29, s9, s6
	s_mul_i32 s28, s9, s6
	s_waitcnt vmcnt(0)
	v_mad_i64_i32 v[8:9], s[10:11], s10, v5, 0
	s_lshl_b64 s[10:11], s[28:29], 2
	s_waitcnt lgkmcnt(0)
	s_add_u32 s7, s26, s10
	s_addc_u32 s9, s27, s11
	v_lshlrev_b64 v[8:9], 2, v[8:9]
	v_mov_b32_e32 v5, s9
	v_add_co_u32_e32 v8, vcc, s7, v8
	v_addc_co_u32_e32 v9, vcc, v5, v9, vcc
	global_store_dword v[8:9], v4, off
.LBB275_26:
	s_or_b64 exec, exec, s[2:3]
	;;#ASMSTART
	v_rcp_f32 v4, v4
	;;#ASMEND
	s_and_saveexec_b64 s[2:3], s[0:1]
	s_cbranch_execz .LBB275_28
; %bb.27:
	s_load_dwordx2 s[0:1], s[4:5], 0x0
	s_mul_hi_i32 s7, s8, s6
	s_mul_i32 s8, s8, s6
	v_mov_b32_e32 v5, v4
	;;#ASMSTART
	v_pk_mul_f32 v[2:3], v[2:3], v[4:5]
	;;#ASMEND
	s_waitcnt lgkmcnt(0)
	s_add_u32 s8, s0, s8
	s_addc_u32 s0, s1, s7
	s_add_i32 s1, s19, 3
	s_ashr_i32 s7, s1, 31
	s_waitcnt vmcnt(0)
	v_mov_b32_e32 v8, 0xc3e00000
	v_mov_b32_e32 v9, 0x43e00000
	;;#ASMSTART
	v_med3_f32 v2, v2, v8, v9
v_med3_f32 v3, v3, v8, v9
v_cvt_pk_fp8_f32 v11, v2, v3
	;;#ASMEND
	s_and_b32 s9, s0, 0xffff
	s_lshr_b32 s0, s7, 30
	;;#ASMSTART
	v_pk_mul_f32 v[2:3], v[6:7], v[4:5]
	;;#ASMEND
	s_add_i32 s1, s1, s0
	;;#ASMSTART
	v_med3_f32 v2, v2, v8, v9
v_med3_f32 v3, v3, v8, v9
v_cvt_pk_fp8_f32 v4, v2, v3
	;;#ASMEND
	s_mov_b32 s0, 0x5040100
	s_and_b32 s10, s1, -4
	s_mov_b32 s11, 0x20000
	v_perm_b32 v2, v4, v11, s0
	buffer_store_dword v2, v1, s[8:11], 0 offen
	;;#ASMSTART
	s_nop 0
	;;#ASMEND
.LBB275_28:
	s_or_b64 exec, exec, s[2:3]
	s_cmp_lt_i32 s20, 1
	s_cbranch_scc1 .LBB275_15
.LBB275_29:
	s_load_dword s0, s[4:5], 0x94
	s_waitcnt lgkmcnt(0)
	s_cmp_lg_u32 s0, 1
	s_cbranch_scc1 .LBB275_15
; %bb.30:
	s_lshl_b32 s0, s20, 1
	s_add_i32 s0, s0, 2
	v_cmp_gt_u32_e32 vcc, s20, v1
	s_and_b32 s26, s0, -4
	v_mov_b32_e32 v2, 0
	v_lshlrev_b32_e32 v6, 3, v0
	v_mov_b32_e32 v3, 0
	v_mov_b32_e32 v0, 0
	;; [unrolled: 1-line block ×3, first 2 shown]
	s_barrier
	s_and_saveexec_b64 s[0:1], vcc
	s_cbranch_execz .LBB275_32
; %bb.31:
	s_mul_hi_i32 s3, s22, s6
	s_mul_i32 s2, s22, s6
	s_and_b32 s25, s25, 0xffff
	s_lshl_b64 s[2:3], s[2:3], 1
	s_add_u32 s8, s34, s2
	s_mov_b32 s27, 0x20000
	s_addc_u32 s2, s35, s3
	s_and_b32 s9, s2, 0xffff
	s_mov_b32 s10, s26
	s_mov_b32 s11, s27
	buffer_load_dwordx2 v[2:3], v6, s[8:11], 0 offen glc slc
	buffer_load_dwordx2 v[0:1], v6, s[24:27], 0 offen
.LBB275_32:
	s_or_b64 exec, exec, s[0:1]
	s_waitcnt vmcnt(1)
	v_cvt_f32_f16_e32 v4, v3
	v_cvt_f32_f16_e32 v5, v2
	v_cvt_f32_f16_sdwa v7, v2 dst_sel:DWORD dst_unused:UNUSED_PAD src0_sel:WORD_1
	v_cvt_f32_f16_sdwa v3, v3 dst_sel:DWORD dst_unused:UNUSED_PAD src0_sel:WORD_1
	v_cndmask_b32_e32 v2, 0, v4, vcc
	v_cndmask_b32_e32 v4, 0, v5, vcc
	;; [unrolled: 1-line block ×3, first 2 shown]
	v_mul_f32_e32 v7, v5, v5
	v_fmac_f32_e32 v7, v4, v4
	v_cndmask_b32_e32 v3, 0, v3, vcc
	v_fmac_f32_e32 v7, v2, v2
	v_fmac_f32_e32 v7, v3, v3
	s_waitcnt vmcnt(0)
	s_nop 0
	v_mov_b32_dpp v8, v7 quad_perm:[1,0,3,2] row_mask:0xf bank_mask:0xf
	v_add_f32_e32 v7, v7, v8
	s_nop 1
	v_mov_b32_dpp v8, v7 quad_perm:[2,3,0,1] row_mask:0xf bank_mask:0xf
	v_add_f32_e32 v7, v7, v8
	s_nop 1
	v_mov_b32_dpp v8, v7 row_half_mirror row_mask:0xf bank_mask:0xf
	v_add_f32_e32 v7, v7, v8
	s_nop 1
	v_mov_b32_dpp v8, v7 row_mirror row_mask:0xf bank_mask:0xf
	v_add_f32_e32 v7, v7, v8
	s_nop 1
	v_mov_b32_dpp v8, v7 row_bcast:15 row_mask:0xf bank_mask:0xf
	v_add_f32_e32 v7, v7, v8
	s_nop 1
	v_mov_b32_dpp v8, v7 row_bcast:31 row_mask:0xf bank_mask:0xf
	v_add_f32_e32 v7, v7, v8
	ds_bpermute_b32 v7, v10, v7
	s_and_saveexec_b64 s[0:1], vcc
	s_cbranch_execz .LBB275_15
; %bb.33:
	v_cvt_f32_u32_e32 v8, s20
	s_mov_b32 s27, 0x20000
	s_waitcnt lgkmcnt(0)
	v_div_scale_f32 v9, s[0:1], v8, v8, v7
	v_rcp_f32_e32 v10, v9
	v_div_scale_f32 v11, vcc, v7, v8, v7
	s_mov_b32 s0, 0x800000
	v_fma_f32 v12, -v9, v10, 1.0
	v_fmac_f32_e32 v10, v12, v10
	v_mul_f32_e32 v12, v11, v10
	v_fma_f32 v13, -v9, v12, v11
	v_fmac_f32_e32 v12, v13, v10
	v_fma_f32 v9, -v9, v12, v11
	v_div_fmas_f32 v9, v9, v10, v12
	v_div_fixup_f32 v7, v9, v8, v7
	v_add_f32_e32 v7, s17, v7
	v_mul_f32_e32 v8, 0x4b800000, v7
	v_cmp_gt_f32_e32 vcc, s0, v7
	v_cndmask_b32_e32 v7, v7, v8, vcc
	v_rsq_f32_e32 v7, v7
	v_cvt_f32_f16_sdwa v9, v0 dst_sel:DWORD dst_unused:UNUSED_PAD src0_sel:WORD_1
	v_cvt_f32_f16_e32 v8, v0
	v_cvt_f32_f16_sdwa v11, v1 dst_sel:DWORD dst_unused:UNUSED_PAD src0_sel:WORD_1
	v_mul_f32_e32 v0, 0x45800000, v7
	v_cndmask_b32_e32 v12, v7, v0, vcc
	v_mov_b32_e32 v13, v12
	v_cvt_f32_f16_e32 v10, v1
	;;#ASMSTART
	v_pk_mul_f32 v[0:1], v[4:5], v[12:13]
	;;#ASMEND
	;;#ASMSTART
	v_pk_mul_f32 v[2:3], v[2:3], v[12:13]
	;;#ASMEND
	;; [unrolled: 3-line block ×4, first 2 shown]
	s_mul_hi_i32 s1, s12, s6
	s_mul_i32 s0, s12, s6
	v_cvt_f16_f32_e32 v0, v0
	v_cvt_f16_f32_e32 v1, v1
	;; [unrolled: 1-line block ×4, first 2 shown]
	s_lshl_b64 s[0:1], s[0:1], 1
	s_add_u32 s24, s14, s0
	s_addc_u32 s0, s15, s1
	s_and_b32 s25, s0, 0xffff
	v_pack_b32_f16 v0, v0, v1
	v_pack_b32_f16 v1, v2, v3
	buffer_store_dwordx2 v[0:1], v6, s[24:27], 0 offen
	;;#ASMSTART
	s_nop 0
	;;#ASMEND
	s_endpgm
	.section	.rodata,"a",@progbits
	.p2align	6, 0x0
	.amdhsa_kernel _ZN5aiter35fused_qk_rmsnorm_group_quant_kernelIDF16_DB8_Li64ELi4ELi16ELb1ELb1ELb0ELb0ELb0ELb0EEEvPT0_PvPT_S6_S6_PKS5_S8_S8_S8_S8_ffiiiiiiiiiiiii
		.amdhsa_group_segment_fixed_size 0
		.amdhsa_private_segment_fixed_size 0
		.amdhsa_kernarg_size 400
		.amdhsa_user_sgpr_count 6
		.amdhsa_user_sgpr_private_segment_buffer 1
		.amdhsa_user_sgpr_dispatch_ptr 0
		.amdhsa_user_sgpr_queue_ptr 0
		.amdhsa_user_sgpr_kernarg_segment_ptr 1
		.amdhsa_user_sgpr_dispatch_id 0
		.amdhsa_user_sgpr_flat_scratch_init 0
		.amdhsa_user_sgpr_kernarg_preload_length 0
		.amdhsa_user_sgpr_kernarg_preload_offset 0
		.amdhsa_user_sgpr_private_segment_size 0
		.amdhsa_uses_dynamic_stack 0
		.amdhsa_system_sgpr_private_segment_wavefront_offset 0
		.amdhsa_system_sgpr_workgroup_id_x 1
		.amdhsa_system_sgpr_workgroup_id_y 1
		.amdhsa_system_sgpr_workgroup_id_z 0
		.amdhsa_system_sgpr_workgroup_info 0
		.amdhsa_system_vgpr_workitem_id 0
		.amdhsa_next_free_vgpr 16
		.amdhsa_next_free_sgpr 40
		.amdhsa_accum_offset 16
		.amdhsa_reserve_vcc 1
		.amdhsa_reserve_flat_scratch 0
		.amdhsa_float_round_mode_32 0
		.amdhsa_float_round_mode_16_64 0
		.amdhsa_float_denorm_mode_32 3
		.amdhsa_float_denorm_mode_16_64 3
		.amdhsa_dx10_clamp 1
		.amdhsa_ieee_mode 1
		.amdhsa_fp16_overflow 0
		.amdhsa_tg_split 0
		.amdhsa_exception_fp_ieee_invalid_op 0
		.amdhsa_exception_fp_denorm_src 0
		.amdhsa_exception_fp_ieee_div_zero 0
		.amdhsa_exception_fp_ieee_overflow 0
		.amdhsa_exception_fp_ieee_underflow 0
		.amdhsa_exception_fp_ieee_inexact 0
		.amdhsa_exception_int_div_zero 0
	.end_amdhsa_kernel
	.section	.text._ZN5aiter35fused_qk_rmsnorm_group_quant_kernelIDF16_DB8_Li64ELi4ELi16ELb1ELb1ELb0ELb0ELb0ELb0EEEvPT0_PvPT_S6_S6_PKS5_S8_S8_S8_S8_ffiiiiiiiiiiiii,"axG",@progbits,_ZN5aiter35fused_qk_rmsnorm_group_quant_kernelIDF16_DB8_Li64ELi4ELi16ELb1ELb1ELb0ELb0ELb0ELb0EEEvPT0_PvPT_S6_S6_PKS5_S8_S8_S8_S8_ffiiiiiiiiiiiii,comdat
.Lfunc_end275:
	.size	_ZN5aiter35fused_qk_rmsnorm_group_quant_kernelIDF16_DB8_Li64ELi4ELi16ELb1ELb1ELb0ELb0ELb0ELb0EEEvPT0_PvPT_S6_S6_PKS5_S8_S8_S8_S8_ffiiiiiiiiiiiii, .Lfunc_end275-_ZN5aiter35fused_qk_rmsnorm_group_quant_kernelIDF16_DB8_Li64ELi4ELi16ELb1ELb1ELb0ELb0ELb0ELb0EEEvPT0_PvPT_S6_S6_PKS5_S8_S8_S8_S8_ffiiiiiiiiiiiii
                                        ; -- End function
	.section	.AMDGPU.csdata,"",@progbits
; Kernel info:
; codeLenInByte = 2244
; NumSgprs: 44
; NumVgprs: 16
; NumAgprs: 0
; TotalNumVgprs: 16
; ScratchSize: 0
; MemoryBound: 0
; FloatMode: 240
; IeeeMode: 1
; LDSByteSize: 0 bytes/workgroup (compile time only)
; SGPRBlocks: 5
; VGPRBlocks: 1
; NumSGPRsForWavesPerEU: 44
; NumVGPRsForWavesPerEU: 16
; AccumOffset: 16
; Occupancy: 8
; WaveLimiterHint : 0
; COMPUTE_PGM_RSRC2:SCRATCH_EN: 0
; COMPUTE_PGM_RSRC2:USER_SGPR: 6
; COMPUTE_PGM_RSRC2:TRAP_HANDLER: 0
; COMPUTE_PGM_RSRC2:TGID_X_EN: 1
; COMPUTE_PGM_RSRC2:TGID_Y_EN: 1
; COMPUTE_PGM_RSRC2:TGID_Z_EN: 0
; COMPUTE_PGM_RSRC2:TIDIG_COMP_CNT: 0
; COMPUTE_PGM_RSRC3_GFX90A:ACCUM_OFFSET: 3
; COMPUTE_PGM_RSRC3_GFX90A:TG_SPLIT: 0
	.section	.text._ZN5aiter35fused_qk_rmsnorm_group_quant_kernelItDB8_Li64ELi4ELi16ELb1ELb1ELb0ELb0ELb0ELb0EEEvPT0_PvPT_S6_S6_PKS5_S8_S8_S8_S8_ffiiiiiiiiiiiii,"axG",@progbits,_ZN5aiter35fused_qk_rmsnorm_group_quant_kernelItDB8_Li64ELi4ELi16ELb1ELb1ELb0ELb0ELb0ELb0EEEvPT0_PvPT_S6_S6_PKS5_S8_S8_S8_S8_ffiiiiiiiiiiiii,comdat
	.protected	_ZN5aiter35fused_qk_rmsnorm_group_quant_kernelItDB8_Li64ELi4ELi16ELb1ELb1ELb0ELb0ELb0ELb0EEEvPT0_PvPT_S6_S6_PKS5_S8_S8_S8_S8_ffiiiiiiiiiiiii ; -- Begin function _ZN5aiter35fused_qk_rmsnorm_group_quant_kernelItDB8_Li64ELi4ELi16ELb1ELb1ELb0ELb0ELb0ELb0EEEvPT0_PvPT_S6_S6_PKS5_S8_S8_S8_S8_ffiiiiiiiiiiiii
	.globl	_ZN5aiter35fused_qk_rmsnorm_group_quant_kernelItDB8_Li64ELi4ELi16ELb1ELb1ELb0ELb0ELb0ELb0EEEvPT0_PvPT_S6_S6_PKS5_S8_S8_S8_S8_ffiiiiiiiiiiiii
	.p2align	8
	.type	_ZN5aiter35fused_qk_rmsnorm_group_quant_kernelItDB8_Li64ELi4ELi16ELb1ELb1ELb0ELb0ELb0ELb0EEEvPT0_PvPT_S6_S6_PKS5_S8_S8_S8_S8_ffiiiiiiiiiiiii,@function
_ZN5aiter35fused_qk_rmsnorm_group_quant_kernelItDB8_Li64ELi4ELi16ELb1ELb1ELb0ELb0ELb0ELb0EEEvPT0_PvPT_S6_S6_PKS5_S8_S8_S8_S8_ffiiiiiiiiiiiii: ; @_ZN5aiter35fused_qk_rmsnorm_group_quant_kernelItDB8_Li64ELi4ELi16ELb1ELb1ELb0ELb0ELb0ELb0EEEvPT0_PvPT_S6_S6_PKS5_S8_S8_S8_S8_ffiiiiiiiiiiiii
; %bb.0:
	s_load_dwordx8 s[16:23], s[4:5], 0x50
	s_waitcnt lgkmcnt(0)
	s_cmp_ge_i32 s6, s18
	s_cbranch_scc1 .LBB276_15
; %bb.1:
	s_cmp_lg_u32 s7, 0
	s_cselect_b64 s[2:3], -1, 0
	s_cmp_eq_u32 s7, 0
	s_cselect_b64 s[26:27], -1, 0
	s_and_b64 s[0:1], s[26:27], exec
	s_load_dwordx2 s[24:25], s[4:5], 0x48
	s_load_dwordx2 s[34:35], s[4:5], 0x30
	s_load_dwordx8 s[8:15], s[4:5], 0x70
	s_cselect_b32 s7, s19, s20
	s_add_i32 s0, s7, 1
	s_lshr_b32 s1, s0, 31
	s_add_i32 s0, s0, s1
	s_lshl_b32 s0, s0, 1
	v_lshlrev_b32_e32 v1, 2, v0
	s_and_b32 s30, s0, -4
	v_cmp_gt_i32_e64 s[0:1], s7, v1
	v_mov_b32_e32 v6, 0
	v_mov_b32_e32 v7, 0
	;; [unrolled: 1-line block ×4, first 2 shown]
	s_waitcnt lgkmcnt(0)
	s_and_saveexec_b64 s[14:15], s[0:1]
	s_cbranch_execz .LBB276_3
; %bb.2:
	s_load_dwordx2 s[28:29], s[4:5], 0x28
	s_load_dwordx2 s[38:39], s[4:5], 0x40
	s_and_b64 s[36:37], s[26:27], exec
	s_cselect_b32 s18, s21, s22
	v_lshlrev_b32_e32 v2, 3, v0
	s_waitcnt lgkmcnt(0)
	s_cselect_b32 s21, s29, s35
	s_cselect_b32 s31, s28, s34
	s_mul_hi_i32 s29, s18, s6
	s_mul_i32 s28, s18, s6
	s_lshl_b64 s[28:29], s[28:29], 1
	s_add_u32 s36, s31, s28
	s_addc_u32 s18, s21, s29
	s_and_b64 s[26:27], s[26:27], exec
	s_mov_b32 s31, 0x20000
	s_cselect_b32 s28, s38, s24
	s_cselect_b32 s21, s39, s25
	s_and_b32 s37, s18, 0xffff
	s_mov_b32 s38, s30
	s_mov_b32 s39, s31
	s_and_b32 s29, s21, 0xffff
	buffer_load_dwordx2 v[8:9], v2, s[36:39], 0 offen glc slc
	buffer_load_dwordx2 v[6:7], v2, s[28:31], 0 offen
.LBB276_3:
	s_or_b64 exec, exec, s[14:15]
	s_and_b64 vcc, exec, s[2:3]
	s_cbranch_vccz .LBB276_7
; %bb.4:
	s_mov_b32 s36, 0
	s_mov_b32 s37, s36
	;; [unrolled: 1-line block ×4, first 2 shown]
	v_pk_mov_b32 v[2:3], s[36:37], s[36:37] op_sel:[0,1]
	v_pk_mov_b32 v[4:5], s[38:39], s[38:39] op_sel:[0,1]
	s_and_saveexec_b64 s[14:15], s[0:1]
	s_cbranch_execz .LBB276_6
; %bb.5:
	s_waitcnt vmcnt(1)
	v_cvt_f32_u32_sdwa v3, v8 dst_sel:DWORD dst_unused:UNUSED_PAD src0_sel:WORD_1
	v_cvt_f32_u32_sdwa v2, v8 dst_sel:DWORD dst_unused:UNUSED_PAD src0_sel:WORD_0
	v_cvt_f32_u32_sdwa v5, v9 dst_sel:DWORD dst_unused:UNUSED_PAD src0_sel:WORD_1
	v_cvt_f32_u32_sdwa v4, v9 dst_sel:DWORD dst_unused:UNUSED_PAD src0_sel:WORD_0
.LBB276_6:
	s_or_b64 exec, exec, s[14:15]
	s_mov_b32 s18, s17
	s_cbranch_execz .LBB276_8
	s_branch .LBB276_11
.LBB276_7:
                                        ; implicit-def: $vgpr2_vgpr3_vgpr4_vgpr5
	s_mov_b32 s18, s17
.LBB276_8:
	s_mov_b32 s36, 0
	s_mov_b32 s37, s36
	;; [unrolled: 1-line block ×4, first 2 shown]
	v_pk_mov_b32 v[2:3], s[36:37], s[36:37] op_sel:[0,1]
	v_pk_mov_b32 v[4:5], s[38:39], s[38:39] op_sel:[0,1]
	s_and_saveexec_b64 s[14:15], s[0:1]
	s_cbranch_execz .LBB276_10
; %bb.9:
	s_load_dwordx2 s[26:27], s[4:5], 0x38
	s_mul_hi_i32 s29, s23, s6
	s_mul_i32 s28, s23, s6
	s_lshl_b64 s[28:29], s[28:29], 1
	s_mov_b32 s31, 0x20000
	s_waitcnt lgkmcnt(0)
	s_add_u32 s28, s26, s28
	s_addc_u32 s18, s27, s29
	s_and_b32 s29, s18, 0xffff
	v_lshlrev_b32_e32 v14, 3, v0
	buffer_load_dwordx2 v[2:3], v14, s[28:31], 0 offen glc slc
	s_load_dwordx2 s[26:27], s[4:5], 0x20
	s_waitcnt vmcnt(2)
	v_cvt_f32_u32_sdwa v5, v8 dst_sel:DWORD dst_unused:UNUSED_PAD src0_sel:WORD_1
	v_cvt_f32_u32_sdwa v4, v8 dst_sel:DWORD dst_unused:UNUSED_PAD src0_sel:WORD_0
	v_cvt_f32_u32_sdwa v11, v9 dst_sel:DWORD dst_unused:UNUSED_PAD src0_sel:WORD_1
	v_cvt_f32_u32_sdwa v10, v9 dst_sel:DWORD dst_unused:UNUSED_PAD src0_sel:WORD_0
	s_mul_hi_i32 s29, s13, s6
	s_mul_i32 s28, s13, s6
	s_lshl_b64 s[28:29], s[28:29], 1
	s_waitcnt lgkmcnt(0)
	s_add_u32 s28, s26, s28
	s_mov_b32 s13, 0x7060302
	s_addc_u32 s18, s27, s29
	s_and_b32 s29, s18, 0xffff
	s_waitcnt vmcnt(0)
	v_cvt_f32_u32_sdwa v9, v2 dst_sel:DWORD dst_unused:UNUSED_PAD src0_sel:WORD_1
	v_cvt_f32_u32_sdwa v8, v2 dst_sel:DWORD dst_unused:UNUSED_PAD src0_sel:WORD_0
	v_cvt_f32_u32_sdwa v13, v3 dst_sel:DWORD dst_unused:UNUSED_PAD src0_sel:WORD_1
	v_cvt_f32_u32_sdwa v12, v3 dst_sel:DWORD dst_unused:UNUSED_PAD src0_sel:WORD_0
	v_pk_add_f32 v[2:3], v[4:5], v[8:9]
	v_perm_b32 v8, v3, v2, s13
	v_pk_add_f32 v[4:5], v[10:11], v[12:13]
	v_perm_b32 v9, v5, v4, s13
	buffer_store_dwordx2 v[8:9], v14, s[28:31], 0 offen glc slc
	;;#ASMSTART
	s_nop 0
	;;#ASMEND
.LBB276_10:
	s_or_b64 exec, exec, s[14:15]
	s_mov_b32 s18, s16
.LBB276_11:
	s_waitcnt vmcnt(1)
	v_mul_f32_e32 v8, v3, v3
	v_fmac_f32_e32 v8, v2, v2
	v_fmac_f32_e32 v8, v4, v4
	;; [unrolled: 1-line block ×3, first 2 shown]
	v_bfrev_b32_e32 v10, 0.5
	s_load_dwordx2 s[14:15], s[4:5], 0x18
	v_mov_b32_dpp v9, v8 quad_perm:[1,0,3,2] row_mask:0xf bank_mask:0xf
	v_add_f32_e32 v8, v8, v9
	s_nop 1
	v_mov_b32_dpp v9, v8 quad_perm:[2,3,0,1] row_mask:0xf bank_mask:0xf
	v_add_f32_e32 v8, v8, v9
	s_nop 1
	v_mov_b32_dpp v9, v8 row_half_mirror row_mask:0xf bank_mask:0xf
	v_add_f32_e32 v8, v8, v9
	s_nop 1
	v_mov_b32_dpp v9, v8 row_mirror row_mask:0xf bank_mask:0xf
	v_add_f32_e32 v8, v8, v9
	s_nop 1
	v_mov_b32_dpp v9, v8 row_bcast:15 row_mask:0xf bank_mask:0xf
	v_add_f32_e32 v8, v8, v9
	s_nop 1
	v_mov_b32_dpp v9, v8 row_bcast:31 row_mask:0xf bank_mask:0xf
	v_add_f32_e32 v9, v8, v9
	v_mbcnt_lo_u32_b32 v8, -1, 0
	v_mbcnt_hi_u32_b32 v8, -1, v8
	v_lshl_or_b32 v8, v8, 2, v10
	ds_bpermute_b32 v9, v8, v9
	s_and_saveexec_b64 s[26:27], s[0:1]
	s_cbranch_execnz .LBB276_16
; %bb.12:
	s_or_b64 exec, exec, s[26:27]
	s_mov_b64 s[26:27], -1
	s_and_b64 vcc, exec, s[2:3]
	s_cbranch_vccnz .LBB276_17
.LBB276_13:
	s_andn2_b64 vcc, exec, s[26:27]
	s_cbranch_vccz .LBB276_20
.LBB276_14:
	s_cmp_lt_i32 s20, 1
	s_cbranch_scc0 .LBB276_29
.LBB276_15:
	s_endpgm
.LBB276_16:
	v_cvt_f32_u32_e32 v10, s7
	s_mov_b32 s7, 0x800000
	s_waitcnt lgkmcnt(0)
	v_div_scale_f32 v11, s[28:29], v10, v10, v9
	v_rcp_f32_e32 v12, v11
	v_div_scale_f32 v13, vcc, v9, v10, v9
	v_fma_f32 v14, -v11, v12, 1.0
	v_fmac_f32_e32 v12, v14, v12
	v_mul_f32_e32 v14, v13, v12
	v_fma_f32 v15, -v11, v14, v13
	v_fmac_f32_e32 v14, v15, v12
	v_fma_f32 v11, -v11, v14, v13
	v_div_fmas_f32 v11, v11, v12, v14
	v_div_fixup_f32 v9, v11, v10, v9
	v_add_f32_e32 v9, s18, v9
	v_mul_f32_e32 v10, 0x4b800000, v9
	v_cmp_gt_f32_e32 vcc, s7, v9
	v_cndmask_b32_e32 v9, v9, v10, vcc
	v_rsq_f32_e32 v9, v9
	s_waitcnt vmcnt(0)
	v_cvt_f32_u32_sdwa v11, v6 dst_sel:DWORD dst_unused:UNUSED_PAD src0_sel:WORD_1
	v_cvt_f32_u32_sdwa v10, v6 dst_sel:DWORD dst_unused:UNUSED_PAD src0_sel:WORD_0
	v_cvt_f32_u32_sdwa v13, v7 dst_sel:DWORD dst_unused:UNUSED_PAD src0_sel:WORD_1
	v_mul_f32_e32 v6, 0x45800000, v9
	v_cndmask_b32_e32 v14, v9, v6, vcc
	v_mov_b32_e32 v15, v14
	;;#ASMSTART
	v_pk_mul_f32 v[2:3], v[2:3], v[14:15]
	;;#ASMEND
	;;#ASMSTART
	v_pk_mul_f32 v[4:5], v[4:5], v[14:15]
	;;#ASMEND
	v_cvt_f32_u32_sdwa v12, v7 dst_sel:DWORD dst_unused:UNUSED_PAD src0_sel:WORD_0
	;;#ASMSTART
	v_pk_mul_f32 v[2:3], v[2:3], v[10:11]
	;;#ASMEND
	;;#ASMSTART
	v_pk_mul_f32 v[4:5], v[4:5], v[12:13]
	;;#ASMEND
	s_or_b64 exec, exec, s[26:27]
	s_mov_b64 s[26:27], -1
	s_and_b64 vcc, exec, s[2:3]
	s_cbranch_vccz .LBB276_13
.LBB276_17:
	s_and_saveexec_b64 s[2:3], s[0:1]
	s_cbranch_execz .LBB276_19
; %bb.18:
	s_mul_hi_i32 s27, s12, s6
	s_mul_i32 s26, s12, s6
	s_lshl_b64 s[26:27], s[26:27], 1
	s_waitcnt lgkmcnt(0)
	s_add_u32 s28, s14, s26
	s_addc_u32 s7, s15, s27
	s_and_b32 s29, s7, 0xffff
	s_mov_b32 s7, 0x7060302
	s_mov_b32 s31, 0x20000
	s_waitcnt vmcnt(0)
	v_perm_b32 v6, v3, v2, s7
	v_perm_b32 v7, v5, v4, s7
	v_lshlrev_b32_e32 v9, 3, v0
	buffer_store_dwordx2 v[6:7], v9, s[28:31], 0 offen
	;;#ASMSTART
	s_nop 0
	;;#ASMEND
.LBB276_19:
	s_or_b64 exec, exec, s[2:3]
	s_cbranch_execnz .LBB276_14
.LBB276_20:
	s_waitcnt vmcnt(0)
	v_mov_b32_e32 v6, 0
	s_and_saveexec_b64 s[2:3], s[0:1]
	s_cbranch_execz .LBB276_22
; %bb.21:
	s_load_dwordx2 s[26:27], s[4:5], 0x10
	s_mul_hi_i32 s29, s11, s6
	s_mul_i32 s28, s11, s6
	s_lshl_b64 s[28:29], s[28:29], 1
	s_mov_b32 s31, 0x20000
	s_waitcnt lgkmcnt(0)
	s_add_u32 s28, s26, s28
	s_addc_u32 s7, s27, s29
	s_and_b32 s29, s7, 0xffff
	s_mov_b32 s7, 0x7060302
	v_perm_b32 v6, v3, v2, s7
	v_perm_b32 v7, v5, v4, s7
	v_lshlrev_b32_e32 v9, 3, v0
	buffer_store_dwordx2 v[6:7], v9, s[28:31], 0 offen
	v_mov_b32_e32 v6, 0x2edbe6ff
	;;#ASMSTART
	s_nop 0
	;;#ASMEND
.LBB276_22:
	s_or_b64 exec, exec, s[2:3]
	s_and_saveexec_b64 s[2:3], s[0:1]
	s_cbranch_execz .LBB276_24
; %bb.23:
	v_and_b32_e32 v7, 0x7fffffff, v2
	s_waitcnt lgkmcnt(0)
	v_and_b32_e32 v9, 0x7fffffff, v3
	;;#ASMSTART
	v_max3_f32 v6, v6, v7, v9

	;;#ASMEND
	v_and_b32_e32 v7, 0x7fffffff, v4
	v_and_b32_e32 v9, 0x7fffffff, v5
	;;#ASMSTART
	v_max3_f32 v6, v6, v7, v9

	;;#ASMEND
.LBB276_24:
	s_or_b64 exec, exec, s[2:3]
	;;#ASMSTART
	v_max_f32 v7, v6, v6 quad_perm:[1,0,3,2] row_mask:0xf bank_mask:0xf bound_ctrl:1
	;;#ASMEND
	;;#ASMSTART
	v_max_f32 v6, v7, v7 quad_perm:[2,3,0,1] row_mask:0xf bank_mask:0xf bound_ctrl:1
	;;#ASMEND
	;;#ASMSTART
	v_max_f32 v7, v6, v6 row_half_mirror row_mask:0xf bank_mask:0xf bound_ctrl:1
	;;#ASMEND
	;;#ASMSTART
	v_max_f32 v6, v7, v7 row_mirror row_mask:0xf bank_mask:0xf bound_ctrl:1
	;;#ASMEND
	v_and_b32_e32 v7, 15, v0
	v_cmp_eq_u32_e32 vcc, 0, v7
	v_cmp_gt_i32_e64 s[2:3], s19, v1
	v_mul_f32_e32 v6, 0x3b124925, v6
	s_and_b64 s[26:27], vcc, s[2:3]
	s_and_saveexec_b64 s[2:3], s[26:27]
	s_cbranch_execz .LBB276_26
; %bb.25:
	s_load_dwordx2 s[26:27], s[4:5], 0x8
	v_lshrrev_b32_e32 v7, 4, v0
	s_mul_hi_i32 s29, s9, s6
	s_mul_i32 s28, s9, s6
	v_mad_i64_i32 v[10:11], s[10:11], s10, v7, 0
	s_lshl_b64 s[10:11], s[28:29], 2
	s_waitcnt lgkmcnt(0)
	s_add_u32 s7, s26, s10
	s_addc_u32 s9, s27, s11
	v_lshlrev_b64 v[10:11], 2, v[10:11]
	v_mov_b32_e32 v7, s9
	v_add_co_u32_e32 v10, vcc, s7, v10
	v_addc_co_u32_e32 v11, vcc, v7, v11, vcc
	global_store_dword v[10:11], v6, off
.LBB276_26:
	s_or_b64 exec, exec, s[2:3]
	;;#ASMSTART
	v_rcp_f32 v6, v6
	;;#ASMEND
	s_and_saveexec_b64 s[2:3], s[0:1]
	s_cbranch_execz .LBB276_28
; %bb.27:
	s_load_dwordx2 s[0:1], s[4:5], 0x0
	s_mul_hi_i32 s7, s8, s6
	s_mul_i32 s8, s8, s6
	v_mov_b32_e32 v7, v6
	;;#ASMSTART
	v_pk_mul_f32 v[2:3], v[2:3], v[6:7]
	;;#ASMEND
	s_waitcnt lgkmcnt(0)
	s_add_u32 s8, s0, s8
	s_addc_u32 s0, s1, s7
	s_add_i32 s1, s19, 3
	s_ashr_i32 s7, s1, 31
	v_mov_b32_e32 v9, 0xc3e00000
	v_mov_b32_e32 v10, 0x43e00000
	;;#ASMSTART
	v_med3_f32 v2, v2, v9, v10
v_med3_f32 v3, v3, v9, v10
v_cvt_pk_fp8_f32 v11, v2, v3
	;;#ASMEND
	s_and_b32 s9, s0, 0xffff
	s_lshr_b32 s0, s7, 30
	;;#ASMSTART
	v_pk_mul_f32 v[2:3], v[4:5], v[6:7]
	;;#ASMEND
	s_add_i32 s1, s1, s0
	;;#ASMSTART
	v_med3_f32 v2, v2, v9, v10
v_med3_f32 v3, v3, v9, v10
v_cvt_pk_fp8_f32 v4, v2, v3
	;;#ASMEND
	s_mov_b32 s0, 0x5040100
	s_and_b32 s10, s1, -4
	s_mov_b32 s11, 0x20000
	v_perm_b32 v2, v4, v11, s0
	buffer_store_dword v2, v1, s[8:11], 0 offen
	;;#ASMSTART
	s_nop 0
	;;#ASMEND
.LBB276_28:
	s_or_b64 exec, exec, s[2:3]
	s_cmp_lt_i32 s20, 1
	s_cbranch_scc1 .LBB276_15
.LBB276_29:
	s_load_dword s0, s[4:5], 0x94
	s_waitcnt lgkmcnt(0)
	s_cmp_lg_u32 s0, 1
	s_cbranch_scc1 .LBB276_15
; %bb.30:
	s_lshl_b32 s0, s20, 1
	s_add_i32 s0, s0, 2
	v_cmp_gt_u32_e32 vcc, s20, v1
	s_and_b32 s26, s0, -4
	v_mov_b32_e32 v2, 0
	s_waitcnt vmcnt(0)
	v_lshlrev_b32_e32 v6, 3, v0
	v_mov_b32_e32 v3, 0
	v_mov_b32_e32 v0, 0
	;; [unrolled: 1-line block ×3, first 2 shown]
	s_barrier
	s_and_saveexec_b64 s[0:1], vcc
	s_cbranch_execz .LBB276_32
; %bb.31:
	s_mul_hi_i32 s3, s22, s6
	s_mul_i32 s2, s22, s6
	s_and_b32 s25, s25, 0xffff
	s_lshl_b64 s[2:3], s[2:3], 1
	s_add_u32 s8, s34, s2
	s_mov_b32 s27, 0x20000
	s_addc_u32 s2, s35, s3
	s_and_b32 s9, s2, 0xffff
	s_mov_b32 s10, s26
	s_mov_b32 s11, s27
	buffer_load_dwordx2 v[2:3], v6, s[8:11], 0 offen glc slc
	buffer_load_dwordx2 v[0:1], v6, s[24:27], 0 offen
.LBB276_32:
	s_or_b64 exec, exec, s[0:1]
	s_waitcnt vmcnt(1)
	v_cvt_f32_u32_sdwa v5, v3 dst_sel:DWORD dst_unused:UNUSED_PAD src0_sel:WORD_0
	v_cvt_f32_u32_sdwa v7, v2 dst_sel:DWORD dst_unused:UNUSED_PAD src0_sel:WORD_1
	v_cvt_f32_u32_sdwa v4, v3 dst_sel:DWORD dst_unused:UNUSED_PAD src0_sel:WORD_1
	v_cvt_f32_u32_sdwa v9, v2 dst_sel:DWORD dst_unused:UNUSED_PAD src0_sel:WORD_0
	v_cndmask_b32_e32 v2, 0, v5, vcc
	v_cndmask_b32_e32 v5, 0, v7, vcc
	;; [unrolled: 1-line block ×4, first 2 shown]
	v_mul_f32_e32 v7, v5, v5
	v_fmac_f32_e32 v7, v4, v4
	v_fmac_f32_e32 v7, v2, v2
	v_fmac_f32_e32 v7, v3, v3
	s_nop 1
	v_mov_b32_dpp v9, v7 quad_perm:[1,0,3,2] row_mask:0xf bank_mask:0xf
	v_add_f32_e32 v7, v7, v9
	s_nop 1
	v_mov_b32_dpp v9, v7 quad_perm:[2,3,0,1] row_mask:0xf bank_mask:0xf
	v_add_f32_e32 v7, v7, v9
	s_nop 1
	v_mov_b32_dpp v9, v7 row_half_mirror row_mask:0xf bank_mask:0xf
	v_add_f32_e32 v7, v7, v9
	s_nop 1
	v_mov_b32_dpp v9, v7 row_mirror row_mask:0xf bank_mask:0xf
	v_add_f32_e32 v7, v7, v9
	s_nop 1
	v_mov_b32_dpp v9, v7 row_bcast:15 row_mask:0xf bank_mask:0xf
	v_add_f32_e32 v7, v7, v9
	s_nop 1
	v_mov_b32_dpp v9, v7 row_bcast:31 row_mask:0xf bank_mask:0xf
	v_add_f32_e32 v7, v7, v9
	ds_bpermute_b32 v7, v8, v7
	s_and_saveexec_b64 s[0:1], vcc
	s_cbranch_execz .LBB276_15
; %bb.33:
	v_cvt_f32_u32_e32 v8, s20
	s_mov_b32 s27, 0x20000
	s_waitcnt lgkmcnt(0)
	v_div_scale_f32 v9, s[0:1], v8, v8, v7
	v_rcp_f32_e32 v10, v9
	v_div_scale_f32 v11, vcc, v7, v8, v7
	s_mov_b32 s0, 0x800000
	v_fma_f32 v12, -v9, v10, 1.0
	v_fmac_f32_e32 v10, v12, v10
	v_mul_f32_e32 v12, v11, v10
	v_fma_f32 v13, -v9, v12, v11
	v_fmac_f32_e32 v12, v13, v10
	v_fma_f32 v9, -v9, v12, v11
	v_div_fmas_f32 v9, v9, v10, v12
	v_div_fixup_f32 v7, v9, v8, v7
	v_add_f32_e32 v7, s17, v7
	v_mul_f32_e32 v8, 0x4b800000, v7
	v_cmp_gt_f32_e32 vcc, s0, v7
	v_cndmask_b32_e32 v7, v7, v8, vcc
	v_rsq_f32_e32 v7, v7
	s_mul_hi_i32 s1, s12, s6
	s_mul_i32 s0, s12, s6
	s_waitcnt vmcnt(0)
	v_cvt_f32_u32_sdwa v9, v0 dst_sel:DWORD dst_unused:UNUSED_PAD src0_sel:WORD_1
	v_cvt_f32_u32_sdwa v8, v0 dst_sel:DWORD dst_unused:UNUSED_PAD src0_sel:WORD_0
	v_mul_f32_e32 v0, 0x45800000, v7
	s_lshl_b64 s[0:1], s[0:1], 1
	v_cndmask_b32_e32 v12, v7, v0, vcc
	s_add_u32 s24, s14, s0
	v_cvt_f32_u32_sdwa v11, v1 dst_sel:DWORD dst_unused:UNUSED_PAD src0_sel:WORD_1
	v_mov_b32_e32 v13, v12
	v_cvt_f32_u32_sdwa v10, v1 dst_sel:DWORD dst_unused:UNUSED_PAD src0_sel:WORD_0
	;;#ASMSTART
	v_pk_mul_f32 v[0:1], v[4:5], v[12:13]
	;;#ASMEND
	s_addc_u32 s0, s15, s1
	;;#ASMSTART
	v_pk_mul_f32 v[2:3], v[2:3], v[12:13]
	;;#ASMEND
	;;#ASMSTART
	v_pk_mul_f32 v[0:1], v[0:1], v[8:9]
	;;#ASMEND
	s_and_b32 s25, s0, 0xffff
	s_mov_b32 s0, 0x7060302
	;;#ASMSTART
	v_pk_mul_f32 v[2:3], v[2:3], v[10:11]
	;;#ASMEND
	v_perm_b32 v0, v1, v0, s0
	v_perm_b32 v1, v3, v2, s0
	buffer_store_dwordx2 v[0:1], v6, s[24:27], 0 offen
	;;#ASMSTART
	s_nop 0
	;;#ASMEND
	s_endpgm
	.section	.rodata,"a",@progbits
	.p2align	6, 0x0
	.amdhsa_kernel _ZN5aiter35fused_qk_rmsnorm_group_quant_kernelItDB8_Li64ELi4ELi16ELb1ELb1ELb0ELb0ELb0ELb0EEEvPT0_PvPT_S6_S6_PKS5_S8_S8_S8_S8_ffiiiiiiiiiiiii
		.amdhsa_group_segment_fixed_size 0
		.amdhsa_private_segment_fixed_size 0
		.amdhsa_kernarg_size 400
		.amdhsa_user_sgpr_count 6
		.amdhsa_user_sgpr_private_segment_buffer 1
		.amdhsa_user_sgpr_dispatch_ptr 0
		.amdhsa_user_sgpr_queue_ptr 0
		.amdhsa_user_sgpr_kernarg_segment_ptr 1
		.amdhsa_user_sgpr_dispatch_id 0
		.amdhsa_user_sgpr_flat_scratch_init 0
		.amdhsa_user_sgpr_kernarg_preload_length 0
		.amdhsa_user_sgpr_kernarg_preload_offset 0
		.amdhsa_user_sgpr_private_segment_size 0
		.amdhsa_uses_dynamic_stack 0
		.amdhsa_system_sgpr_private_segment_wavefront_offset 0
		.amdhsa_system_sgpr_workgroup_id_x 1
		.amdhsa_system_sgpr_workgroup_id_y 1
		.amdhsa_system_sgpr_workgroup_id_z 0
		.amdhsa_system_sgpr_workgroup_info 0
		.amdhsa_system_vgpr_workitem_id 0
		.amdhsa_next_free_vgpr 16
		.amdhsa_next_free_sgpr 40
		.amdhsa_accum_offset 16
		.amdhsa_reserve_vcc 1
		.amdhsa_reserve_flat_scratch 0
		.amdhsa_float_round_mode_32 0
		.amdhsa_float_round_mode_16_64 0
		.amdhsa_float_denorm_mode_32 3
		.amdhsa_float_denorm_mode_16_64 3
		.amdhsa_dx10_clamp 1
		.amdhsa_ieee_mode 1
		.amdhsa_fp16_overflow 0
		.amdhsa_tg_split 0
		.amdhsa_exception_fp_ieee_invalid_op 0
		.amdhsa_exception_fp_denorm_src 0
		.amdhsa_exception_fp_ieee_div_zero 0
		.amdhsa_exception_fp_ieee_overflow 0
		.amdhsa_exception_fp_ieee_underflow 0
		.amdhsa_exception_fp_ieee_inexact 0
		.amdhsa_exception_int_div_zero 0
	.end_amdhsa_kernel
	.section	.text._ZN5aiter35fused_qk_rmsnorm_group_quant_kernelItDB8_Li64ELi4ELi16ELb1ELb1ELb0ELb0ELb0ELb0EEEvPT0_PvPT_S6_S6_PKS5_S8_S8_S8_S8_ffiiiiiiiiiiiii,"axG",@progbits,_ZN5aiter35fused_qk_rmsnorm_group_quant_kernelItDB8_Li64ELi4ELi16ELb1ELb1ELb0ELb0ELb0ELb0EEEvPT0_PvPT_S6_S6_PKS5_S8_S8_S8_S8_ffiiiiiiiiiiiii,comdat
.Lfunc_end276:
	.size	_ZN5aiter35fused_qk_rmsnorm_group_quant_kernelItDB8_Li64ELi4ELi16ELb1ELb1ELb0ELb0ELb0ELb0EEEvPT0_PvPT_S6_S6_PKS5_S8_S8_S8_S8_ffiiiiiiiiiiiii, .Lfunc_end276-_ZN5aiter35fused_qk_rmsnorm_group_quant_kernelItDB8_Li64ELi4ELi16ELb1ELb1ELb0ELb0ELb0ELb0EEEvPT0_PvPT_S6_S6_PKS5_S8_S8_S8_S8_ffiiiiiiiiiiiii
                                        ; -- End function
	.section	.AMDGPU.csdata,"",@progbits
; Kernel info:
; codeLenInByte = 2284
; NumSgprs: 44
; NumVgprs: 16
; NumAgprs: 0
; TotalNumVgprs: 16
; ScratchSize: 0
; MemoryBound: 0
; FloatMode: 240
; IeeeMode: 1
; LDSByteSize: 0 bytes/workgroup (compile time only)
; SGPRBlocks: 5
; VGPRBlocks: 1
; NumSGPRsForWavesPerEU: 44
; NumVGPRsForWavesPerEU: 16
; AccumOffset: 16
; Occupancy: 8
; WaveLimiterHint : 0
; COMPUTE_PGM_RSRC2:SCRATCH_EN: 0
; COMPUTE_PGM_RSRC2:USER_SGPR: 6
; COMPUTE_PGM_RSRC2:TRAP_HANDLER: 0
; COMPUTE_PGM_RSRC2:TGID_X_EN: 1
; COMPUTE_PGM_RSRC2:TGID_Y_EN: 1
; COMPUTE_PGM_RSRC2:TGID_Z_EN: 0
; COMPUTE_PGM_RSRC2:TIDIG_COMP_CNT: 0
; COMPUTE_PGM_RSRC3_GFX90A:ACCUM_OFFSET: 3
; COMPUTE_PGM_RSRC3_GFX90A:TG_SPLIT: 0
	.section	.text._ZN5aiter35fused_qk_rmsnorm_group_quant_kernelIDF16_DB8_Li64ELi4ELi16ELb1ELb0ELb1ELb0ELb0ELb0EEEvPT0_PvPT_S6_S6_PKS5_S8_S8_S8_S8_ffiiiiiiiiiiiii,"axG",@progbits,_ZN5aiter35fused_qk_rmsnorm_group_quant_kernelIDF16_DB8_Li64ELi4ELi16ELb1ELb0ELb1ELb0ELb0ELb0EEEvPT0_PvPT_S6_S6_PKS5_S8_S8_S8_S8_ffiiiiiiiiiiiii,comdat
	.protected	_ZN5aiter35fused_qk_rmsnorm_group_quant_kernelIDF16_DB8_Li64ELi4ELi16ELb1ELb0ELb1ELb0ELb0ELb0EEEvPT0_PvPT_S6_S6_PKS5_S8_S8_S8_S8_ffiiiiiiiiiiiii ; -- Begin function _ZN5aiter35fused_qk_rmsnorm_group_quant_kernelIDF16_DB8_Li64ELi4ELi16ELb1ELb0ELb1ELb0ELb0ELb0EEEvPT0_PvPT_S6_S6_PKS5_S8_S8_S8_S8_ffiiiiiiiiiiiii
	.globl	_ZN5aiter35fused_qk_rmsnorm_group_quant_kernelIDF16_DB8_Li64ELi4ELi16ELb1ELb0ELb1ELb0ELb0ELb0EEEvPT0_PvPT_S6_S6_PKS5_S8_S8_S8_S8_ffiiiiiiiiiiiii
	.p2align	8
	.type	_ZN5aiter35fused_qk_rmsnorm_group_quant_kernelIDF16_DB8_Li64ELi4ELi16ELb1ELb0ELb1ELb0ELb0ELb0EEEvPT0_PvPT_S6_S6_PKS5_S8_S8_S8_S8_ffiiiiiiiiiiiii,@function
_ZN5aiter35fused_qk_rmsnorm_group_quant_kernelIDF16_DB8_Li64ELi4ELi16ELb1ELb0ELb1ELb0ELb0ELb0EEEvPT0_PvPT_S6_S6_PKS5_S8_S8_S8_S8_ffiiiiiiiiiiiii: ; @_ZN5aiter35fused_qk_rmsnorm_group_quant_kernelIDF16_DB8_Li64ELi4ELi16ELb1ELb0ELb1ELb0ELb0ELb0EEEvPT0_PvPT_S6_S6_PKS5_S8_S8_S8_S8_ffiiiiiiiiiiiii
; %bb.0:
	s_load_dwordx8 s[8:15], s[4:5], 0x50
	s_waitcnt lgkmcnt(0)
	s_cmp_ge_i32 s6, s10
	s_cbranch_scc1 .LBB277_15
; %bb.1:
	s_cmp_lg_u32 s7, 0
	s_cselect_b64 s[2:3], -1, 0
	s_cmp_eq_u32 s7, 0
	s_cselect_b64 s[24:25], -1, 0
	s_and_b64 s[0:1], s[24:25], exec
	s_load_dwordx2 s[16:17], s[4:5], 0x48
	s_load_dwordx2 s[30:31], s[4:5], 0x30
	s_load_dwordx4 s[20:23], s[4:5], 0x70
	s_cselect_b32 s7, s11, s12
	s_add_i32 s0, s7, 1
	s_lshr_b32 s1, s0, 31
	s_add_i32 s0, s0, s1
	s_lshl_b32 s0, s0, 1
	v_lshlrev_b32_e32 v1, 2, v0
	s_and_b32 s26, s0, -4
	v_cmp_gt_i32_e64 s[0:1], s7, v1
	v_mov_b32_e32 v8, 0
	v_mov_b32_e32 v9, 0
	;; [unrolled: 1-line block ×4, first 2 shown]
	s_and_saveexec_b64 s[18:19], s[0:1]
	s_cbranch_execz .LBB277_3
; %bb.2:
	s_load_dwordx2 s[28:29], s[4:5], 0x28
	s_load_dwordx2 s[34:35], s[4:5], 0x40
	s_and_b64 s[36:37], s[24:25], exec
	s_cselect_b32 s10, s13, s14
	s_mov_b32 s27, 0x20000
	s_waitcnt lgkmcnt(0)
	s_cselect_b32 s13, s29, s31
	s_cselect_b32 s23, s28, s30
	s_mul_hi_i32 s29, s10, s6
	s_mul_i32 s28, s10, s6
	s_lshl_b64 s[28:29], s[28:29], 1
	s_add_u32 s36, s23, s28
	s_addc_u32 s10, s13, s29
	s_and_b64 s[24:25], s[24:25], exec
	s_cselect_b32 s24, s34, s16
	s_cselect_b32 s13, s35, s17
	v_lshlrev_b32_e32 v2, 3, v0
	s_and_b32 s37, s10, 0xffff
	s_mov_b32 s38, s26
	s_mov_b32 s39, s27
	s_and_b32 s25, s13, 0xffff
	buffer_load_dwordx2 v[10:11], v2, s[36:39], 0 offen glc slc
	buffer_load_dwordx2 v[8:9], v2, s[24:27], 0 offen
.LBB277_3:
	s_or_b64 exec, exec, s[18:19]
	s_load_dwordx2 s[28:29], s[4:5], 0x80
	s_and_b64 vcc, exec, s[2:3]
	s_cbranch_vccz .LBB277_7
; %bb.4:
	v_mov_b32_e32 v7, 0
	v_mov_b32_e32 v6, 0
	v_mov_b32_e32 v3, 0
	v_mov_b32_e32 v2, 0
	s_and_saveexec_b64 s[18:19], s[0:1]
	s_cbranch_execz .LBB277_6
; %bb.5:
	s_waitcnt vmcnt(1)
	v_cvt_f32_f16_sdwa v3, v10 dst_sel:DWORD dst_unused:UNUSED_PAD src0_sel:WORD_1
	v_cvt_f32_f16_e32 v2, v10
	v_cvt_f32_f16_sdwa v7, v11 dst_sel:DWORD dst_unused:UNUSED_PAD src0_sel:WORD_1
	v_cvt_f32_f16_e32 v6, v11
.LBB277_6:
	s_or_b64 exec, exec, s[18:19]
	s_mov_b32 s10, s9
	s_cbranch_execz .LBB277_8
	s_branch .LBB277_11
.LBB277_7:
                                        ; implicit-def: $vgpr7
                                        ; implicit-def: $vgpr2_vgpr3_vgpr4_vgpr5
	s_mov_b32 s10, s9
.LBB277_8:
	v_mov_b32_e32 v7, 0
	v_mov_b32_e32 v6, 0
	;; [unrolled: 1-line block ×4, first 2 shown]
	s_and_saveexec_b64 s[18:19], s[0:1]
	s_cbranch_execz .LBB277_10
; %bb.9:
	s_load_dwordx2 s[24:25], s[4:5], 0x38
	s_mul_hi_i32 s35, s15, s6
	s_mul_i32 s34, s15, s6
	s_lshl_b64 s[34:35], s[34:35], 1
	s_mov_b32 s27, 0x20000
	s_waitcnt lgkmcnt(0)
	s_add_u32 s24, s24, s34
	s_addc_u32 s10, s25, s35
	s_and_b32 s25, s10, 0xffff
	v_lshlrev_b32_e32 v14, 3, v0
	buffer_load_dwordx2 v[2:3], v14, s[24:27], 0 offen glc slc
	s_waitcnt vmcnt(2)
	v_cvt_f32_f16_sdwa v5, v10 dst_sel:DWORD dst_unused:UNUSED_PAD src0_sel:WORD_1
	v_cvt_f32_f16_e32 v4, v10
	v_cvt_f32_f16_sdwa v7, v11 dst_sel:DWORD dst_unused:UNUSED_PAD src0_sel:WORD_1
	v_cvt_f32_f16_e32 v6, v11
	s_load_dwordx2 s[24:25], s[4:5], 0x20
	s_mul_hi_i32 s35, s29, s6
	s_mul_i32 s34, s29, s6
	s_lshl_b64 s[34:35], s[34:35], 1
	s_waitcnt lgkmcnt(0)
	s_add_u32 s24, s24, s34
	s_addc_u32 s10, s25, s35
	s_and_b32 s25, s10, 0xffff
	s_waitcnt vmcnt(0)
	v_cvt_f32_f16_e32 v10, v2
	v_cvt_f32_f16_sdwa v11, v2 dst_sel:DWORD dst_unused:UNUSED_PAD src0_sel:WORD_1
	v_cvt_f32_f16_e32 v12, v3
	v_cvt_f32_f16_sdwa v13, v3 dst_sel:DWORD dst_unused:UNUSED_PAD src0_sel:WORD_1
	v_pk_add_f32 v[2:3], v[4:5], v[10:11]
	v_cvt_f16_f32_e32 v4, v3
	v_pk_add_f32 v[6:7], v[6:7], v[12:13]
	v_cvt_f16_f32_e32 v5, v7
	v_cvt_f16_f32_e32 v10, v6
	;; [unrolled: 1-line block ×3, first 2 shown]
	v_pack_b32_f16 v5, v10, v5
	v_pack_b32_f16 v4, v11, v4
	buffer_store_dwordx2 v[4:5], v14, s[24:27], 0 offen glc slc
	;;#ASMSTART
	s_nop 0
	;;#ASMEND
.LBB277_10:
	s_or_b64 exec, exec, s[18:19]
	s_mov_b32 s10, s8
.LBB277_11:
	v_mul_f32_e32 v4, v3, v3
	v_fmac_f32_e32 v4, v2, v2
	v_fmac_f32_e32 v4, v6, v6
	;; [unrolled: 1-line block ×3, first 2 shown]
	s_waitcnt vmcnt(1)
	v_bfrev_b32_e32 v10, 0.5
	s_load_dwordx2 s[34:35], s[4:5], 0x18
	v_mov_b32_dpp v5, v4 quad_perm:[1,0,3,2] row_mask:0xf bank_mask:0xf
	v_add_f32_e32 v4, v4, v5
	s_nop 1
	v_mov_b32_dpp v5, v4 quad_perm:[2,3,0,1] row_mask:0xf bank_mask:0xf
	v_add_f32_e32 v4, v4, v5
	s_nop 1
	v_mov_b32_dpp v5, v4 row_half_mirror row_mask:0xf bank_mask:0xf
	v_add_f32_e32 v4, v4, v5
	s_nop 1
	v_mov_b32_dpp v5, v4 row_mirror row_mask:0xf bank_mask:0xf
	v_add_f32_e32 v4, v4, v5
	s_nop 1
	v_mov_b32_dpp v5, v4 row_bcast:15 row_mask:0xf bank_mask:0xf
	v_add_f32_e32 v4, v4, v5
	s_nop 1
	v_mov_b32_dpp v5, v4 row_bcast:31 row_mask:0xf bank_mask:0xf
	v_add_f32_e32 v4, v4, v5
	v_mbcnt_lo_u32_b32 v5, -1, 0
	v_mbcnt_hi_u32_b32 v5, -1, v5
	v_lshl_or_b32 v10, v5, 2, v10
	ds_bpermute_b32 v4, v10, v4
	s_and_saveexec_b64 s[18:19], s[0:1]
	s_cbranch_execnz .LBB277_16
; %bb.12:
	s_or_b64 exec, exec, s[18:19]
	s_mov_b64 s[18:19], -1
	s_and_b64 vcc, exec, s[2:3]
	s_cbranch_vccnz .LBB277_17
.LBB277_13:
	s_andn2_b64 vcc, exec, s[18:19]
	s_cbranch_vccz .LBB277_20
.LBB277_14:
	s_cmp_lt_i32 s12, 1
	s_cbranch_scc0 .LBB277_27
.LBB277_15:
	s_endpgm
.LBB277_16:
	v_cvt_f32_u32_e32 v5, s7
	s_mov_b32 s7, 0x800000
	s_waitcnt lgkmcnt(0)
	v_div_scale_f32 v11, s[24:25], v5, v5, v4
	v_rcp_f32_e32 v12, v11
	v_div_scale_f32 v13, vcc, v4, v5, v4
	v_fma_f32 v14, -v11, v12, 1.0
	v_fmac_f32_e32 v12, v14, v12
	v_mul_f32_e32 v14, v13, v12
	v_fma_f32 v15, -v11, v14, v13
	v_fmac_f32_e32 v14, v15, v12
	v_fma_f32 v11, -v11, v14, v13
	v_div_fmas_f32 v11, v11, v12, v14
	v_div_fixup_f32 v4, v11, v5, v4
	v_add_f32_e32 v4, s10, v4
	v_mul_f32_e32 v5, 0x4b800000, v4
	v_cmp_gt_f32_e32 vcc, s7, v4
	v_cndmask_b32_e32 v4, v4, v5, vcc
	v_rsq_f32_e32 v11, v4
	s_waitcnt vmcnt(0)
	v_cvt_f32_f16_sdwa v5, v8 dst_sel:DWORD dst_unused:UNUSED_PAD src0_sel:WORD_1
	v_cvt_f32_f16_e32 v4, v8
	v_cvt_f32_f16_sdwa v13, v9 dst_sel:DWORD dst_unused:UNUSED_PAD src0_sel:WORD_1
	v_cvt_f32_f16_e32 v12, v9
	v_mul_f32_e32 v8, 0x45800000, v11
	v_cndmask_b32_e32 v14, v11, v8, vcc
	v_mov_b32_e32 v15, v14
	;;#ASMSTART
	v_pk_mul_f32 v[2:3], v[2:3], v[14:15]
	;;#ASMEND
	;;#ASMSTART
	v_pk_mul_f32 v[6:7], v[6:7], v[14:15]
	;;#ASMEND
	v_pk_add_f32 v[4:5], v[4:5], 1.0 op_sel_hi:[1,0]
	;;#ASMSTART
	v_pk_mul_f32 v[2:3], v[2:3], v[4:5]
	;;#ASMEND
	v_pk_add_f32 v[4:5], v[12:13], 1.0 op_sel_hi:[1,0]
	;;#ASMSTART
	v_pk_mul_f32 v[6:7], v[6:7], v[4:5]
	;;#ASMEND
	s_or_b64 exec, exec, s[18:19]
	s_mov_b64 s[18:19], -1
	s_and_b64 vcc, exec, s[2:3]
	s_cbranch_vccz .LBB277_13
.LBB277_17:
	s_and_saveexec_b64 s[2:3], s[0:1]
	s_cbranch_execz .LBB277_19
; %bb.18:
	s_waitcnt lgkmcnt(0)
	s_mul_hi_i32 s19, s28, s6
	s_mul_i32 s18, s28, s6
	v_cvt_f16_f32_e32 v4, v2
	v_cvt_f16_f32_e32 v5, v6
	s_waitcnt vmcnt(0)
	v_cvt_f16_f32_e32 v8, v7
	v_cvt_f16_f32_e32 v9, v3
	s_lshl_b64 s[18:19], s[18:19], 1
	s_add_u32 s24, s34, s18
	s_addc_u32 s7, s35, s19
	s_and_b32 s25, s7, 0xffff
	s_mov_b32 s27, 0x20000
	v_pack_b32_f16 v5, v5, v8
	v_pack_b32_f16 v4, v4, v9
	v_lshlrev_b32_e32 v8, 3, v0
	buffer_store_dwordx2 v[4:5], v8, s[24:27], 0 offen
	;;#ASMSTART
	s_nop 0
	;;#ASMEND
.LBB277_19:
	s_or_b64 exec, exec, s[2:3]
	s_cbranch_execnz .LBB277_14
.LBB277_20:
	s_waitcnt lgkmcnt(0)
	v_mov_b32_e32 v4, 0
	s_and_saveexec_b64 s[2:3], s[0:1]
	s_cbranch_execz .LBB277_22
; %bb.21:
	v_and_b32_e32 v4, 0x7fffffff, v2
	v_and_b32_e32 v5, 0x7fffffff, v3
	s_waitcnt vmcnt(0)
	v_mov_b32_e32 v8, 0x2edbe6ff
	;;#ASMSTART
	v_max3_f32 v4, v8, v4, v5

	;;#ASMEND
	v_and_b32_e32 v5, 0x7fffffff, v6
	v_and_b32_e32 v8, 0x7fffffff, v7
	;;#ASMSTART
	v_max3_f32 v4, v4, v5, v8

	;;#ASMEND
.LBB277_22:
	s_or_b64 exec, exec, s[2:3]
	;;#ASMSTART
	v_max_f32 v5, v4, v4 quad_perm:[1,0,3,2] row_mask:0xf bank_mask:0xf bound_ctrl:1
	;;#ASMEND
	;;#ASMSTART
	v_max_f32 v4, v5, v5 quad_perm:[2,3,0,1] row_mask:0xf bank_mask:0xf bound_ctrl:1
	;;#ASMEND
	;;#ASMSTART
	v_max_f32 v5, v4, v4 row_half_mirror row_mask:0xf bank_mask:0xf bound_ctrl:1
	;;#ASMEND
	;;#ASMSTART
	v_max_f32 v4, v5, v5 row_mirror row_mask:0xf bank_mask:0xf bound_ctrl:1
	;;#ASMEND
	v_and_b32_e32 v5, 15, v0
	v_cmp_eq_u32_e32 vcc, 0, v5
	v_cmp_gt_i32_e64 s[2:3], s11, v1
	v_mul_f32_e32 v4, 0x3b124925, v4
	s_and_b64 s[18:19], vcc, s[2:3]
	s_and_saveexec_b64 s[2:3], s[18:19]
	s_cbranch_execz .LBB277_24
; %bb.23:
	s_load_dwordx2 s[18:19], s[4:5], 0x8
	v_lshrrev_b32_e32 v5, 4, v0
	s_mul_hi_i32 s25, s21, s6
	s_mul_i32 s24, s21, s6
	s_waitcnt vmcnt(0)
	v_mad_i64_i32 v[8:9], s[22:23], s22, v5, 0
	s_lshl_b64 s[22:23], s[24:25], 2
	s_waitcnt lgkmcnt(0)
	s_add_u32 s7, s18, s22
	s_addc_u32 s8, s19, s23
	v_lshlrev_b64 v[8:9], 2, v[8:9]
	v_mov_b32_e32 v5, s8
	v_add_co_u32_e32 v8, vcc, s7, v8
	v_addc_co_u32_e32 v9, vcc, v5, v9, vcc
	global_store_dword v[8:9], v4, off
.LBB277_24:
	s_or_b64 exec, exec, s[2:3]
	;;#ASMSTART
	v_rcp_f32 v4, v4
	;;#ASMEND
	s_and_saveexec_b64 s[2:3], s[0:1]
	s_cbranch_execz .LBB277_26
; %bb.25:
	s_load_dwordx2 s[0:1], s[4:5], 0x0
	s_mul_i32 s8, s20, s6
	s_mul_hi_i32 s7, s20, s6
	v_mov_b32_e32 v5, v4
	;;#ASMSTART
	v_pk_mul_f32 v[2:3], v[2:3], v[4:5]
	;;#ASMEND
	s_waitcnt lgkmcnt(0)
	s_add_u32 s20, s0, s8
	s_addc_u32 s0, s1, s7
	s_add_i32 s1, s11, 3
	s_ashr_i32 s7, s1, 31
	s_waitcnt vmcnt(0)
	v_mov_b32_e32 v8, 0xc3e00000
	v_mov_b32_e32 v9, 0x43e00000
	;;#ASMSTART
	v_med3_f32 v2, v2, v8, v9
v_med3_f32 v3, v3, v8, v9
v_cvt_pk_fp8_f32 v11, v2, v3
	;;#ASMEND
	s_and_b32 s21, s0, 0xffff
	s_lshr_b32 s0, s7, 30
	;;#ASMSTART
	v_pk_mul_f32 v[2:3], v[6:7], v[4:5]
	;;#ASMEND
	s_add_i32 s1, s1, s0
	;;#ASMSTART
	v_med3_f32 v2, v2, v8, v9
v_med3_f32 v3, v3, v8, v9
v_cvt_pk_fp8_f32 v4, v2, v3
	;;#ASMEND
	s_mov_b32 s0, 0x5040100
	s_and_b32 s22, s1, -4
	s_mov_b32 s23, 0x20000
	v_perm_b32 v2, v4, v11, s0
	buffer_store_dword v2, v1, s[20:23], 0 offen
	;;#ASMSTART
	s_nop 0
	;;#ASMEND
.LBB277_26:
	s_or_b64 exec, exec, s[2:3]
	s_cmp_lt_i32 s12, 1
	s_cbranch_scc1 .LBB277_15
.LBB277_27:
	s_load_dword s0, s[4:5], 0x94
	s_waitcnt lgkmcnt(0)
	s_cmp_lg_u32 s0, 1
	s_cbranch_scc1 .LBB277_15
; %bb.28:
	s_lshl_b32 s0, s12, 1
	s_add_i32 s0, s0, 2
	v_cmp_gt_u32_e32 vcc, s12, v1
	s_and_b32 s18, s0, -4
	v_mov_b32_e32 v2, 0
	v_lshlrev_b32_e32 v6, 3, v0
	v_mov_b32_e32 v3, 0
	v_mov_b32_e32 v0, 0
	;; [unrolled: 1-line block ×3, first 2 shown]
	s_barrier
	s_and_saveexec_b64 s[0:1], vcc
	s_cbranch_execz .LBB277_30
; %bb.29:
	s_mul_hi_i32 s3, s14, s6
	s_mul_i32 s2, s14, s6
	s_and_b32 s17, s17, 0xffff
	s_lshl_b64 s[2:3], s[2:3], 1
	s_add_u32 s20, s30, s2
	s_mov_b32 s19, 0x20000
	s_addc_u32 s2, s31, s3
	s_and_b32 s21, s2, 0xffff
	s_mov_b32 s22, s18
	s_mov_b32 s23, s19
	buffer_load_dwordx2 v[2:3], v6, s[20:23], 0 offen glc slc
	buffer_load_dwordx2 v[0:1], v6, s[16:19], 0 offen
.LBB277_30:
	s_or_b64 exec, exec, s[0:1]
	s_waitcnt vmcnt(1)
	v_cvt_f32_f16_e32 v4, v3
	v_cvt_f32_f16_e32 v5, v2
	v_cvt_f32_f16_sdwa v7, v2 dst_sel:DWORD dst_unused:UNUSED_PAD src0_sel:WORD_1
	v_cvt_f32_f16_sdwa v3, v3 dst_sel:DWORD dst_unused:UNUSED_PAD src0_sel:WORD_1
	v_cndmask_b32_e32 v2, 0, v4, vcc
	v_cndmask_b32_e32 v4, 0, v5, vcc
	;; [unrolled: 1-line block ×3, first 2 shown]
	v_mul_f32_e32 v7, v5, v5
	v_fmac_f32_e32 v7, v4, v4
	v_cndmask_b32_e32 v3, 0, v3, vcc
	v_fmac_f32_e32 v7, v2, v2
	v_fmac_f32_e32 v7, v3, v3
	s_waitcnt vmcnt(0)
	s_nop 0
	v_mov_b32_dpp v8, v7 quad_perm:[1,0,3,2] row_mask:0xf bank_mask:0xf
	v_add_f32_e32 v7, v7, v8
	s_nop 1
	v_mov_b32_dpp v8, v7 quad_perm:[2,3,0,1] row_mask:0xf bank_mask:0xf
	v_add_f32_e32 v7, v7, v8
	s_nop 1
	v_mov_b32_dpp v8, v7 row_half_mirror row_mask:0xf bank_mask:0xf
	v_add_f32_e32 v7, v7, v8
	s_nop 1
	v_mov_b32_dpp v8, v7 row_mirror row_mask:0xf bank_mask:0xf
	v_add_f32_e32 v7, v7, v8
	s_nop 1
	v_mov_b32_dpp v8, v7 row_bcast:15 row_mask:0xf bank_mask:0xf
	v_add_f32_e32 v7, v7, v8
	s_nop 1
	v_mov_b32_dpp v8, v7 row_bcast:31 row_mask:0xf bank_mask:0xf
	v_add_f32_e32 v7, v7, v8
	ds_bpermute_b32 v7, v10, v7
	s_and_saveexec_b64 s[0:1], vcc
	s_cbranch_execz .LBB277_15
; %bb.31:
	v_cvt_f32_u32_e32 v8, s12
	s_mov_b32 s19, 0x20000
	s_waitcnt lgkmcnt(0)
	v_div_scale_f32 v9, s[0:1], v8, v8, v7
	v_rcp_f32_e32 v10, v9
	v_div_scale_f32 v11, vcc, v7, v8, v7
	s_mov_b32 s0, 0x800000
	v_fma_f32 v12, -v9, v10, 1.0
	v_fmac_f32_e32 v10, v12, v10
	v_mul_f32_e32 v12, v11, v10
	v_fma_f32 v13, -v9, v12, v11
	v_fmac_f32_e32 v12, v13, v10
	v_fma_f32 v9, -v9, v12, v11
	v_div_fmas_f32 v9, v9, v10, v12
	v_div_fixup_f32 v7, v9, v8, v7
	v_add_f32_e32 v7, s9, v7
	v_mul_f32_e32 v8, 0x4b800000, v7
	v_cmp_gt_f32_e32 vcc, s0, v7
	v_cndmask_b32_e32 v7, v7, v8, vcc
	v_rsq_f32_e32 v7, v7
	v_cvt_f32_f16_sdwa v9, v0 dst_sel:DWORD dst_unused:UNUSED_PAD src0_sel:WORD_1
	v_cvt_f32_f16_e32 v8, v0
	v_cvt_f32_f16_sdwa v11, v1 dst_sel:DWORD dst_unused:UNUSED_PAD src0_sel:WORD_1
	v_cvt_f32_f16_e32 v10, v1
	v_mul_f32_e32 v0, 0x45800000, v7
	v_cndmask_b32_e32 v12, v7, v0, vcc
	v_mov_b32_e32 v13, v12
	;;#ASMSTART
	v_pk_mul_f32 v[4:5], v[4:5], v[12:13]
	;;#ASMEND
	;;#ASMSTART
	v_pk_mul_f32 v[0:1], v[2:3], v[12:13]
	;;#ASMEND
	v_pk_add_f32 v[2:3], v[8:9], 1.0 op_sel_hi:[1,0]
	;;#ASMSTART
	v_pk_mul_f32 v[2:3], v[4:5], v[2:3]
	;;#ASMEND
	v_pk_add_f32 v[4:5], v[10:11], 1.0 op_sel_hi:[1,0]
	;;#ASMSTART
	v_pk_mul_f32 v[0:1], v[0:1], v[4:5]
	;;#ASMEND
	s_mul_hi_i32 s1, s28, s6
	s_mul_i32 s0, s28, s6
	v_cvt_f16_f32_e32 v2, v2
	v_cvt_f16_f32_e32 v3, v3
	;; [unrolled: 1-line block ×4, first 2 shown]
	s_lshl_b64 s[0:1], s[0:1], 1
	s_add_u32 s16, s34, s0
	s_addc_u32 s0, s35, s1
	s_and_b32 s17, s0, 0xffff
	v_pack_b32_f16 v0, v2, v3
	v_pack_b32_f16 v1, v4, v1
	buffer_store_dwordx2 v[0:1], v6, s[16:19], 0 offen
	;;#ASMSTART
	s_nop 0
	;;#ASMEND
	s_endpgm
	.section	.rodata,"a",@progbits
	.p2align	6, 0x0
	.amdhsa_kernel _ZN5aiter35fused_qk_rmsnorm_group_quant_kernelIDF16_DB8_Li64ELi4ELi16ELb1ELb0ELb1ELb0ELb0ELb0EEEvPT0_PvPT_S6_S6_PKS5_S8_S8_S8_S8_ffiiiiiiiiiiiii
		.amdhsa_group_segment_fixed_size 0
		.amdhsa_private_segment_fixed_size 0
		.amdhsa_kernarg_size 400
		.amdhsa_user_sgpr_count 6
		.amdhsa_user_sgpr_private_segment_buffer 1
		.amdhsa_user_sgpr_dispatch_ptr 0
		.amdhsa_user_sgpr_queue_ptr 0
		.amdhsa_user_sgpr_kernarg_segment_ptr 1
		.amdhsa_user_sgpr_dispatch_id 0
		.amdhsa_user_sgpr_flat_scratch_init 0
		.amdhsa_user_sgpr_kernarg_preload_length 0
		.amdhsa_user_sgpr_kernarg_preload_offset 0
		.amdhsa_user_sgpr_private_segment_size 0
		.amdhsa_uses_dynamic_stack 0
		.amdhsa_system_sgpr_private_segment_wavefront_offset 0
		.amdhsa_system_sgpr_workgroup_id_x 1
		.amdhsa_system_sgpr_workgroup_id_y 1
		.amdhsa_system_sgpr_workgroup_id_z 0
		.amdhsa_system_sgpr_workgroup_info 0
		.amdhsa_system_vgpr_workitem_id 0
		.amdhsa_next_free_vgpr 16
		.amdhsa_next_free_sgpr 40
		.amdhsa_accum_offset 16
		.amdhsa_reserve_vcc 1
		.amdhsa_reserve_flat_scratch 0
		.amdhsa_float_round_mode_32 0
		.amdhsa_float_round_mode_16_64 0
		.amdhsa_float_denorm_mode_32 3
		.amdhsa_float_denorm_mode_16_64 3
		.amdhsa_dx10_clamp 1
		.amdhsa_ieee_mode 1
		.amdhsa_fp16_overflow 0
		.amdhsa_tg_split 0
		.amdhsa_exception_fp_ieee_invalid_op 0
		.amdhsa_exception_fp_denorm_src 0
		.amdhsa_exception_fp_ieee_div_zero 0
		.amdhsa_exception_fp_ieee_overflow 0
		.amdhsa_exception_fp_ieee_underflow 0
		.amdhsa_exception_fp_ieee_inexact 0
		.amdhsa_exception_int_div_zero 0
	.end_amdhsa_kernel
	.section	.text._ZN5aiter35fused_qk_rmsnorm_group_quant_kernelIDF16_DB8_Li64ELi4ELi16ELb1ELb0ELb1ELb0ELb0ELb0EEEvPT0_PvPT_S6_S6_PKS5_S8_S8_S8_S8_ffiiiiiiiiiiiii,"axG",@progbits,_ZN5aiter35fused_qk_rmsnorm_group_quant_kernelIDF16_DB8_Li64ELi4ELi16ELb1ELb0ELb1ELb0ELb0ELb0EEEvPT0_PvPT_S6_S6_PKS5_S8_S8_S8_S8_ffiiiiiiiiiiiii,comdat
.Lfunc_end277:
	.size	_ZN5aiter35fused_qk_rmsnorm_group_quant_kernelIDF16_DB8_Li64ELi4ELi16ELb1ELb0ELb1ELb0ELb0ELb0EEEvPT0_PvPT_S6_S6_PKS5_S8_S8_S8_S8_ffiiiiiiiiiiiii, .Lfunc_end277-_ZN5aiter35fused_qk_rmsnorm_group_quant_kernelIDF16_DB8_Li64ELi4ELi16ELb1ELb0ELb1ELb0ELb0ELb0EEEvPT0_PvPT_S6_S6_PKS5_S8_S8_S8_S8_ffiiiiiiiiiiiii
                                        ; -- End function
	.section	.AMDGPU.csdata,"",@progbits
; Kernel info:
; codeLenInByte = 2164
; NumSgprs: 44
; NumVgprs: 16
; NumAgprs: 0
; TotalNumVgprs: 16
; ScratchSize: 0
; MemoryBound: 0
; FloatMode: 240
; IeeeMode: 1
; LDSByteSize: 0 bytes/workgroup (compile time only)
; SGPRBlocks: 5
; VGPRBlocks: 1
; NumSGPRsForWavesPerEU: 44
; NumVGPRsForWavesPerEU: 16
; AccumOffset: 16
; Occupancy: 8
; WaveLimiterHint : 0
; COMPUTE_PGM_RSRC2:SCRATCH_EN: 0
; COMPUTE_PGM_RSRC2:USER_SGPR: 6
; COMPUTE_PGM_RSRC2:TRAP_HANDLER: 0
; COMPUTE_PGM_RSRC2:TGID_X_EN: 1
; COMPUTE_PGM_RSRC2:TGID_Y_EN: 1
; COMPUTE_PGM_RSRC2:TGID_Z_EN: 0
; COMPUTE_PGM_RSRC2:TIDIG_COMP_CNT: 0
; COMPUTE_PGM_RSRC3_GFX90A:ACCUM_OFFSET: 3
; COMPUTE_PGM_RSRC3_GFX90A:TG_SPLIT: 0
	.section	.text._ZN5aiter35fused_qk_rmsnorm_group_quant_kernelItDB8_Li64ELi4ELi16ELb1ELb0ELb1ELb0ELb0ELb0EEEvPT0_PvPT_S6_S6_PKS5_S8_S8_S8_S8_ffiiiiiiiiiiiii,"axG",@progbits,_ZN5aiter35fused_qk_rmsnorm_group_quant_kernelItDB8_Li64ELi4ELi16ELb1ELb0ELb1ELb0ELb0ELb0EEEvPT0_PvPT_S6_S6_PKS5_S8_S8_S8_S8_ffiiiiiiiiiiiii,comdat
	.protected	_ZN5aiter35fused_qk_rmsnorm_group_quant_kernelItDB8_Li64ELi4ELi16ELb1ELb0ELb1ELb0ELb0ELb0EEEvPT0_PvPT_S6_S6_PKS5_S8_S8_S8_S8_ffiiiiiiiiiiiii ; -- Begin function _ZN5aiter35fused_qk_rmsnorm_group_quant_kernelItDB8_Li64ELi4ELi16ELb1ELb0ELb1ELb0ELb0ELb0EEEvPT0_PvPT_S6_S6_PKS5_S8_S8_S8_S8_ffiiiiiiiiiiiii
	.globl	_ZN5aiter35fused_qk_rmsnorm_group_quant_kernelItDB8_Li64ELi4ELi16ELb1ELb0ELb1ELb0ELb0ELb0EEEvPT0_PvPT_S6_S6_PKS5_S8_S8_S8_S8_ffiiiiiiiiiiiii
	.p2align	8
	.type	_ZN5aiter35fused_qk_rmsnorm_group_quant_kernelItDB8_Li64ELi4ELi16ELb1ELb0ELb1ELb0ELb0ELb0EEEvPT0_PvPT_S6_S6_PKS5_S8_S8_S8_S8_ffiiiiiiiiiiiii,@function
_ZN5aiter35fused_qk_rmsnorm_group_quant_kernelItDB8_Li64ELi4ELi16ELb1ELb0ELb1ELb0ELb0ELb0EEEvPT0_PvPT_S6_S6_PKS5_S8_S8_S8_S8_ffiiiiiiiiiiiii: ; @_ZN5aiter35fused_qk_rmsnorm_group_quant_kernelItDB8_Li64ELi4ELi16ELb1ELb0ELb1ELb0ELb0ELb0EEEvPT0_PvPT_S6_S6_PKS5_S8_S8_S8_S8_ffiiiiiiiiiiiii
; %bb.0:
	s_load_dwordx8 s[8:15], s[4:5], 0x50
	s_waitcnt lgkmcnt(0)
	s_cmp_ge_i32 s6, s10
	s_cbranch_scc1 .LBB278_15
; %bb.1:
	s_cmp_lg_u32 s7, 0
	s_cselect_b64 s[2:3], -1, 0
	s_cmp_eq_u32 s7, 0
	s_cselect_b64 s[24:25], -1, 0
	s_and_b64 s[0:1], s[24:25], exec
	s_load_dwordx2 s[16:17], s[4:5], 0x48
	s_load_dwordx2 s[30:31], s[4:5], 0x30
	s_load_dwordx4 s[20:23], s[4:5], 0x70
	s_cselect_b32 s7, s11, s12
	s_add_i32 s0, s7, 1
	s_lshr_b32 s1, s0, 31
	s_add_i32 s0, s0, s1
	s_lshl_b32 s0, s0, 1
	v_lshlrev_b32_e32 v1, 2, v0
	s_and_b32 s26, s0, -4
	v_cmp_gt_i32_e64 s[0:1], s7, v1
	v_mov_b32_e32 v6, 0
	v_mov_b32_e32 v7, 0
	;; [unrolled: 1-line block ×4, first 2 shown]
	s_and_saveexec_b64 s[18:19], s[0:1]
	s_cbranch_execz .LBB278_3
; %bb.2:
	s_load_dwordx2 s[28:29], s[4:5], 0x28
	s_load_dwordx2 s[34:35], s[4:5], 0x40
	s_and_b64 s[36:37], s[24:25], exec
	s_cselect_b32 s10, s13, s14
	s_mov_b32 s27, 0x20000
	s_waitcnt lgkmcnt(0)
	s_cselect_b32 s13, s29, s31
	s_cselect_b32 s23, s28, s30
	s_mul_hi_i32 s29, s10, s6
	s_mul_i32 s28, s10, s6
	s_lshl_b64 s[28:29], s[28:29], 1
	s_add_u32 s36, s23, s28
	s_addc_u32 s10, s13, s29
	s_and_b64 s[24:25], s[24:25], exec
	s_cselect_b32 s24, s34, s16
	s_cselect_b32 s13, s35, s17
	v_lshlrev_b32_e32 v2, 3, v0
	s_and_b32 s37, s10, 0xffff
	s_mov_b32 s38, s26
	s_mov_b32 s39, s27
	s_and_b32 s25, s13, 0xffff
	buffer_load_dwordx2 v[8:9], v2, s[36:39], 0 offen glc slc
	buffer_load_dwordx2 v[6:7], v2, s[24:27], 0 offen
.LBB278_3:
	s_or_b64 exec, exec, s[18:19]
	s_load_dwordx2 s[28:29], s[4:5], 0x80
	s_and_b64 vcc, exec, s[2:3]
	s_cbranch_vccz .LBB278_7
; %bb.4:
	s_mov_b32 s36, 0
	s_mov_b32 s37, s36
	;; [unrolled: 1-line block ×4, first 2 shown]
	v_pk_mov_b32 v[2:3], s[36:37], s[36:37] op_sel:[0,1]
	v_pk_mov_b32 v[4:5], s[38:39], s[38:39] op_sel:[0,1]
	s_and_saveexec_b64 s[18:19], s[0:1]
	s_cbranch_execz .LBB278_6
; %bb.5:
	s_waitcnt vmcnt(1)
	v_cvt_f32_u32_sdwa v3, v8 dst_sel:DWORD dst_unused:UNUSED_PAD src0_sel:WORD_1
	v_cvt_f32_u32_sdwa v2, v8 dst_sel:DWORD dst_unused:UNUSED_PAD src0_sel:WORD_0
	v_cvt_f32_u32_sdwa v5, v9 dst_sel:DWORD dst_unused:UNUSED_PAD src0_sel:WORD_1
	v_cvt_f32_u32_sdwa v4, v9 dst_sel:DWORD dst_unused:UNUSED_PAD src0_sel:WORD_0
.LBB278_6:
	s_or_b64 exec, exec, s[18:19]
	s_mov_b32 s10, s9
	s_cbranch_execz .LBB278_8
	s_branch .LBB278_11
.LBB278_7:
                                        ; implicit-def: $vgpr2_vgpr3_vgpr4_vgpr5
	s_mov_b32 s10, s9
.LBB278_8:
	s_mov_b32 s36, 0
	s_mov_b32 s37, s36
	;; [unrolled: 1-line block ×4, first 2 shown]
	v_pk_mov_b32 v[2:3], s[36:37], s[36:37] op_sel:[0,1]
	v_pk_mov_b32 v[4:5], s[38:39], s[38:39] op_sel:[0,1]
	s_and_saveexec_b64 s[18:19], s[0:1]
	s_cbranch_execz .LBB278_10
; %bb.9:
	s_load_dwordx2 s[24:25], s[4:5], 0x38
	s_mul_hi_i32 s35, s15, s6
	s_mul_i32 s34, s15, s6
	s_lshl_b64 s[34:35], s[34:35], 1
	s_mov_b32 s27, 0x20000
	s_waitcnt lgkmcnt(0)
	s_add_u32 s24, s24, s34
	s_addc_u32 s10, s25, s35
	s_and_b32 s25, s10, 0xffff
	v_lshlrev_b32_e32 v14, 3, v0
	buffer_load_dwordx2 v[2:3], v14, s[24:27], 0 offen glc slc
	s_load_dwordx2 s[24:25], s[4:5], 0x20
	s_waitcnt vmcnt(2)
	v_cvt_f32_u32_sdwa v5, v8 dst_sel:DWORD dst_unused:UNUSED_PAD src0_sel:WORD_1
	v_cvt_f32_u32_sdwa v4, v8 dst_sel:DWORD dst_unused:UNUSED_PAD src0_sel:WORD_0
	v_cvt_f32_u32_sdwa v11, v9 dst_sel:DWORD dst_unused:UNUSED_PAD src0_sel:WORD_1
	v_cvt_f32_u32_sdwa v10, v9 dst_sel:DWORD dst_unused:UNUSED_PAD src0_sel:WORD_0
	s_mul_hi_i32 s35, s29, s6
	s_mul_i32 s34, s29, s6
	s_lshl_b64 s[34:35], s[34:35], 1
	s_waitcnt lgkmcnt(0)
	s_add_u32 s24, s24, s34
	s_mov_b32 s10, 0x7060302
	s_addc_u32 s13, s25, s35
	s_and_b32 s25, s13, 0xffff
	s_waitcnt vmcnt(0)
	v_cvt_f32_u32_sdwa v9, v2 dst_sel:DWORD dst_unused:UNUSED_PAD src0_sel:WORD_1
	v_cvt_f32_u32_sdwa v8, v2 dst_sel:DWORD dst_unused:UNUSED_PAD src0_sel:WORD_0
	v_cvt_f32_u32_sdwa v13, v3 dst_sel:DWORD dst_unused:UNUSED_PAD src0_sel:WORD_1
	v_cvt_f32_u32_sdwa v12, v3 dst_sel:DWORD dst_unused:UNUSED_PAD src0_sel:WORD_0
	v_pk_add_f32 v[2:3], v[4:5], v[8:9]
	v_perm_b32 v8, v3, v2, s10
	v_pk_add_f32 v[4:5], v[10:11], v[12:13]
	v_perm_b32 v9, v5, v4, s10
	buffer_store_dwordx2 v[8:9], v14, s[24:27], 0 offen glc slc
	;;#ASMSTART
	s_nop 0
	;;#ASMEND
.LBB278_10:
	s_or_b64 exec, exec, s[18:19]
	s_mov_b32 s10, s8
.LBB278_11:
	s_waitcnt vmcnt(1)
	v_mul_f32_e32 v8, v3, v3
	v_fmac_f32_e32 v8, v2, v2
	v_fmac_f32_e32 v8, v4, v4
	;; [unrolled: 1-line block ×3, first 2 shown]
	v_bfrev_b32_e32 v10, 0.5
	s_load_dwordx2 s[34:35], s[4:5], 0x18
	v_mov_b32_dpp v9, v8 quad_perm:[1,0,3,2] row_mask:0xf bank_mask:0xf
	v_add_f32_e32 v8, v8, v9
	s_nop 1
	v_mov_b32_dpp v9, v8 quad_perm:[2,3,0,1] row_mask:0xf bank_mask:0xf
	v_add_f32_e32 v8, v8, v9
	s_nop 1
	v_mov_b32_dpp v9, v8 row_half_mirror row_mask:0xf bank_mask:0xf
	v_add_f32_e32 v8, v8, v9
	s_nop 1
	v_mov_b32_dpp v9, v8 row_mirror row_mask:0xf bank_mask:0xf
	v_add_f32_e32 v8, v8, v9
	s_nop 1
	v_mov_b32_dpp v9, v8 row_bcast:15 row_mask:0xf bank_mask:0xf
	v_add_f32_e32 v8, v8, v9
	s_nop 1
	v_mov_b32_dpp v9, v8 row_bcast:31 row_mask:0xf bank_mask:0xf
	v_add_f32_e32 v9, v8, v9
	v_mbcnt_lo_u32_b32 v8, -1, 0
	v_mbcnt_hi_u32_b32 v8, -1, v8
	v_lshl_or_b32 v8, v8, 2, v10
	ds_bpermute_b32 v9, v8, v9
	s_and_saveexec_b64 s[18:19], s[0:1]
	s_cbranch_execnz .LBB278_16
; %bb.12:
	s_or_b64 exec, exec, s[18:19]
	s_mov_b64 s[18:19], -1
	s_and_b64 vcc, exec, s[2:3]
	s_cbranch_vccnz .LBB278_17
.LBB278_13:
	s_andn2_b64 vcc, exec, s[18:19]
	s_cbranch_vccz .LBB278_20
.LBB278_14:
	s_cmp_lt_i32 s12, 1
	s_cbranch_scc0 .LBB278_27
.LBB278_15:
	s_endpgm
.LBB278_16:
	v_cvt_f32_u32_e32 v10, s7
	s_mov_b32 s7, 0x800000
	s_waitcnt lgkmcnt(0)
	v_div_scale_f32 v11, s[24:25], v10, v10, v9
	v_rcp_f32_e32 v12, v11
	v_div_scale_f32 v13, vcc, v9, v10, v9
	v_fma_f32 v14, -v11, v12, 1.0
	v_fmac_f32_e32 v12, v14, v12
	v_mul_f32_e32 v14, v13, v12
	v_fma_f32 v15, -v11, v14, v13
	v_fmac_f32_e32 v14, v15, v12
	v_fma_f32 v11, -v11, v14, v13
	v_div_fmas_f32 v11, v11, v12, v14
	v_div_fixup_f32 v9, v11, v10, v9
	v_add_f32_e32 v9, s10, v9
	v_mul_f32_e32 v10, 0x4b800000, v9
	v_cmp_gt_f32_e32 vcc, s7, v9
	v_cndmask_b32_e32 v9, v9, v10, vcc
	v_rsq_f32_e32 v9, v9
	s_waitcnt vmcnt(0)
	v_cvt_f32_u32_sdwa v11, v6 dst_sel:DWORD dst_unused:UNUSED_PAD src0_sel:WORD_1
	v_cvt_f32_u32_sdwa v10, v6 dst_sel:DWORD dst_unused:UNUSED_PAD src0_sel:WORD_0
	v_cvt_f32_u32_sdwa v13, v7 dst_sel:DWORD dst_unused:UNUSED_PAD src0_sel:WORD_1
	v_cvt_f32_u32_sdwa v12, v7 dst_sel:DWORD dst_unused:UNUSED_PAD src0_sel:WORD_0
	v_mul_f32_e32 v6, 0x45800000, v9
	v_cndmask_b32_e32 v14, v9, v6, vcc
	v_mov_b32_e32 v15, v14
	;;#ASMSTART
	v_pk_mul_f32 v[2:3], v[2:3], v[14:15]
	;;#ASMEND
	;;#ASMSTART
	v_pk_mul_f32 v[4:5], v[4:5], v[14:15]
	;;#ASMEND
	v_pk_add_f32 v[6:7], v[10:11], 1.0 op_sel_hi:[1,0]
	;;#ASMSTART
	v_pk_mul_f32 v[2:3], v[2:3], v[6:7]
	;;#ASMEND
	v_pk_add_f32 v[6:7], v[12:13], 1.0 op_sel_hi:[1,0]
	;;#ASMSTART
	v_pk_mul_f32 v[4:5], v[4:5], v[6:7]
	;;#ASMEND
	s_or_b64 exec, exec, s[18:19]
	s_mov_b64 s[18:19], -1
	s_and_b64 vcc, exec, s[2:3]
	s_cbranch_vccz .LBB278_13
.LBB278_17:
	s_and_saveexec_b64 s[2:3], s[0:1]
	s_cbranch_execz .LBB278_19
; %bb.18:
	s_waitcnt lgkmcnt(0)
	s_mul_hi_i32 s19, s28, s6
	s_mul_i32 s18, s28, s6
	s_lshl_b64 s[18:19], s[18:19], 1
	s_add_u32 s24, s34, s18
	s_addc_u32 s7, s35, s19
	s_and_b32 s25, s7, 0xffff
	s_mov_b32 s7, 0x7060302
	s_mov_b32 s27, 0x20000
	s_waitcnt vmcnt(0)
	v_perm_b32 v6, v3, v2, s7
	v_perm_b32 v7, v5, v4, s7
	v_lshlrev_b32_e32 v9, 3, v0
	buffer_store_dwordx2 v[6:7], v9, s[24:27], 0 offen
	;;#ASMSTART
	s_nop 0
	;;#ASMEND
.LBB278_19:
	s_or_b64 exec, exec, s[2:3]
	s_cbranch_execnz .LBB278_14
.LBB278_20:
	s_waitcnt vmcnt(0)
	v_mov_b32_e32 v6, 0
	s_and_saveexec_b64 s[2:3], s[0:1]
	s_cbranch_execz .LBB278_22
; %bb.21:
	v_and_b32_e32 v6, 0x7fffffff, v2
	v_and_b32_e32 v7, 0x7fffffff, v3
	s_waitcnt lgkmcnt(0)
	v_mov_b32_e32 v9, 0x2edbe6ff
	;;#ASMSTART
	v_max3_f32 v6, v9, v6, v7

	;;#ASMEND
	v_and_b32_e32 v7, 0x7fffffff, v4
	v_and_b32_e32 v9, 0x7fffffff, v5
	;;#ASMSTART
	v_max3_f32 v6, v6, v7, v9

	;;#ASMEND
.LBB278_22:
	s_or_b64 exec, exec, s[2:3]
	;;#ASMSTART
	v_max_f32 v7, v6, v6 quad_perm:[1,0,3,2] row_mask:0xf bank_mask:0xf bound_ctrl:1
	;;#ASMEND
	;;#ASMSTART
	v_max_f32 v6, v7, v7 quad_perm:[2,3,0,1] row_mask:0xf bank_mask:0xf bound_ctrl:1
	;;#ASMEND
	;;#ASMSTART
	v_max_f32 v7, v6, v6 row_half_mirror row_mask:0xf bank_mask:0xf bound_ctrl:1
	;;#ASMEND
	;;#ASMSTART
	v_max_f32 v6, v7, v7 row_mirror row_mask:0xf bank_mask:0xf bound_ctrl:1
	;;#ASMEND
	v_and_b32_e32 v7, 15, v0
	v_cmp_eq_u32_e32 vcc, 0, v7
	v_cmp_gt_i32_e64 s[2:3], s11, v1
	v_mul_f32_e32 v6, 0x3b124925, v6
	s_and_b64 s[18:19], vcc, s[2:3]
	s_and_saveexec_b64 s[2:3], s[18:19]
	s_cbranch_execz .LBB278_24
; %bb.23:
	s_load_dwordx2 s[18:19], s[4:5], 0x8
	v_lshrrev_b32_e32 v7, 4, v0
	s_waitcnt lgkmcnt(0)
	s_mul_hi_i32 s25, s21, s6
	s_mul_i32 s24, s21, s6
	v_mad_i64_i32 v[10:11], s[22:23], s22, v7, 0
	s_lshl_b64 s[22:23], s[24:25], 2
	s_add_u32 s7, s18, s22
	s_addc_u32 s8, s19, s23
	v_lshlrev_b64 v[10:11], 2, v[10:11]
	v_mov_b32_e32 v7, s8
	v_add_co_u32_e32 v10, vcc, s7, v10
	v_addc_co_u32_e32 v11, vcc, v7, v11, vcc
	global_store_dword v[10:11], v6, off
.LBB278_24:
	s_or_b64 exec, exec, s[2:3]
	;;#ASMSTART
	v_rcp_f32 v6, v6
	;;#ASMEND
	s_and_saveexec_b64 s[2:3], s[0:1]
	s_cbranch_execz .LBB278_26
; %bb.25:
	s_load_dwordx2 s[0:1], s[4:5], 0x0
	s_waitcnt lgkmcnt(0)
	s_mul_i32 s8, s20, s6
	s_mul_hi_i32 s7, s20, s6
	v_mov_b32_e32 v7, v6
	;;#ASMSTART
	v_pk_mul_f32 v[2:3], v[2:3], v[6:7]
	;;#ASMEND
	s_add_u32 s20, s0, s8
	s_addc_u32 s0, s1, s7
	s_add_i32 s1, s11, 3
	s_ashr_i32 s7, s1, 31
	v_mov_b32_e32 v9, 0xc3e00000
	v_mov_b32_e32 v10, 0x43e00000
	;;#ASMSTART
	v_med3_f32 v2, v2, v9, v10
v_med3_f32 v3, v3, v9, v10
v_cvt_pk_fp8_f32 v11, v2, v3
	;;#ASMEND
	s_and_b32 s21, s0, 0xffff
	s_lshr_b32 s0, s7, 30
	;;#ASMSTART
	v_pk_mul_f32 v[2:3], v[4:5], v[6:7]
	;;#ASMEND
	s_add_i32 s1, s1, s0
	;;#ASMSTART
	v_med3_f32 v2, v2, v9, v10
v_med3_f32 v3, v3, v9, v10
v_cvt_pk_fp8_f32 v4, v2, v3
	;;#ASMEND
	s_mov_b32 s0, 0x5040100
	s_and_b32 s22, s1, -4
	s_mov_b32 s23, 0x20000
	v_perm_b32 v2, v4, v11, s0
	buffer_store_dword v2, v1, s[20:23], 0 offen
	;;#ASMSTART
	s_nop 0
	;;#ASMEND
.LBB278_26:
	s_or_b64 exec, exec, s[2:3]
	s_cmp_lt_i32 s12, 1
	s_cbranch_scc1 .LBB278_15
.LBB278_27:
	s_load_dword s0, s[4:5], 0x94
	s_waitcnt lgkmcnt(0)
	s_cmp_lg_u32 s0, 1
	s_cbranch_scc1 .LBB278_15
; %bb.28:
	s_lshl_b32 s0, s12, 1
	s_add_i32 s0, s0, 2
	v_cmp_gt_u32_e32 vcc, s12, v1
	s_and_b32 s18, s0, -4
	v_mov_b32_e32 v2, 0
	s_waitcnt vmcnt(0)
	v_lshlrev_b32_e32 v6, 3, v0
	v_mov_b32_e32 v3, 0
	v_mov_b32_e32 v0, 0
	v_mov_b32_e32 v1, 0
	s_barrier
	s_and_saveexec_b64 s[0:1], vcc
	s_cbranch_execz .LBB278_30
; %bb.29:
	s_mul_hi_i32 s3, s14, s6
	s_mul_i32 s2, s14, s6
	s_and_b32 s17, s17, 0xffff
	s_lshl_b64 s[2:3], s[2:3], 1
	s_add_u32 s20, s30, s2
	s_mov_b32 s19, 0x20000
	s_addc_u32 s2, s31, s3
	s_and_b32 s21, s2, 0xffff
	s_mov_b32 s22, s18
	s_mov_b32 s23, s19
	buffer_load_dwordx2 v[2:3], v6, s[20:23], 0 offen glc slc
	buffer_load_dwordx2 v[0:1], v6, s[16:19], 0 offen
.LBB278_30:
	s_or_b64 exec, exec, s[0:1]
	s_waitcnt vmcnt(1)
	v_cvt_f32_u32_sdwa v5, v3 dst_sel:DWORD dst_unused:UNUSED_PAD src0_sel:WORD_0
	v_cvt_f32_u32_sdwa v7, v2 dst_sel:DWORD dst_unused:UNUSED_PAD src0_sel:WORD_1
	v_cvt_f32_u32_sdwa v4, v3 dst_sel:DWORD dst_unused:UNUSED_PAD src0_sel:WORD_1
	v_cvt_f32_u32_sdwa v9, v2 dst_sel:DWORD dst_unused:UNUSED_PAD src0_sel:WORD_0
	v_cndmask_b32_e32 v2, 0, v5, vcc
	v_cndmask_b32_e32 v5, 0, v7, vcc
	;; [unrolled: 1-line block ×4, first 2 shown]
	v_mul_f32_e32 v7, v5, v5
	v_fmac_f32_e32 v7, v4, v4
	v_fmac_f32_e32 v7, v2, v2
	;; [unrolled: 1-line block ×3, first 2 shown]
	s_nop 1
	v_mov_b32_dpp v9, v7 quad_perm:[1,0,3,2] row_mask:0xf bank_mask:0xf
	v_add_f32_e32 v7, v7, v9
	s_nop 1
	v_mov_b32_dpp v9, v7 quad_perm:[2,3,0,1] row_mask:0xf bank_mask:0xf
	v_add_f32_e32 v7, v7, v9
	s_nop 1
	v_mov_b32_dpp v9, v7 row_half_mirror row_mask:0xf bank_mask:0xf
	v_add_f32_e32 v7, v7, v9
	s_nop 1
	v_mov_b32_dpp v9, v7 row_mirror row_mask:0xf bank_mask:0xf
	v_add_f32_e32 v7, v7, v9
	s_nop 1
	v_mov_b32_dpp v9, v7 row_bcast:15 row_mask:0xf bank_mask:0xf
	v_add_f32_e32 v7, v7, v9
	s_nop 1
	v_mov_b32_dpp v9, v7 row_bcast:31 row_mask:0xf bank_mask:0xf
	v_add_f32_e32 v7, v7, v9
	ds_bpermute_b32 v7, v8, v7
	s_and_saveexec_b64 s[0:1], vcc
	s_cbranch_execz .LBB278_15
; %bb.31:
	v_cvt_f32_u32_e32 v8, s12
	s_mov_b32 s19, 0x20000
	s_waitcnt lgkmcnt(0)
	v_div_scale_f32 v9, s[0:1], v8, v8, v7
	v_rcp_f32_e32 v10, v9
	v_div_scale_f32 v11, vcc, v7, v8, v7
	s_mov_b32 s0, 0x800000
	v_fma_f32 v12, -v9, v10, 1.0
	v_fmac_f32_e32 v10, v12, v10
	v_mul_f32_e32 v12, v11, v10
	v_fma_f32 v13, -v9, v12, v11
	v_fmac_f32_e32 v12, v13, v10
	v_fma_f32 v9, -v9, v12, v11
	v_div_fmas_f32 v9, v9, v10, v12
	v_div_fixup_f32 v7, v9, v8, v7
	v_add_f32_e32 v7, s9, v7
	v_mul_f32_e32 v8, 0x4b800000, v7
	v_cmp_gt_f32_e32 vcc, s0, v7
	v_cndmask_b32_e32 v7, v7, v8, vcc
	v_rsq_f32_e32 v7, v7
	s_waitcnt vmcnt(0)
	v_cvt_f32_u32_sdwa v9, v0 dst_sel:DWORD dst_unused:UNUSED_PAD src0_sel:WORD_1
	v_cvt_f32_u32_sdwa v8, v0 dst_sel:DWORD dst_unused:UNUSED_PAD src0_sel:WORD_0
	s_mul_hi_i32 s1, s28, s6
	s_mul_i32 s0, s28, s6
	v_cvt_f32_u32_sdwa v11, v1 dst_sel:DWORD dst_unused:UNUSED_PAD src0_sel:WORD_1
	v_mul_f32_e32 v0, 0x45800000, v7
	v_cvt_f32_u32_sdwa v10, v1 dst_sel:DWORD dst_unused:UNUSED_PAD src0_sel:WORD_0
	s_lshl_b64 s[0:1], s[0:1], 1
	v_cndmask_b32_e32 v12, v7, v0, vcc
	s_add_u32 s16, s34, s0
	v_mov_b32_e32 v13, v12
	;;#ASMSTART
	v_pk_mul_f32 v[4:5], v[4:5], v[12:13]
	;;#ASMEND
	;;#ASMSTART
	v_pk_mul_f32 v[0:1], v[2:3], v[12:13]
	;;#ASMEND
	v_pk_add_f32 v[2:3], v[8:9], 1.0 op_sel_hi:[1,0]
	s_addc_u32 s0, s35, s1
	;;#ASMSTART
	v_pk_mul_f32 v[2:3], v[4:5], v[2:3]
	;;#ASMEND
	s_and_b32 s17, s0, 0xffff
	s_mov_b32 s0, 0x7060302
	v_pk_add_f32 v[4:5], v[10:11], 1.0 op_sel_hi:[1,0]
	;;#ASMSTART
	v_pk_mul_f32 v[0:1], v[0:1], v[4:5]
	;;#ASMEND
	v_perm_b32 v2, v3, v2, s0
	v_perm_b32 v3, v1, v0, s0
	buffer_store_dwordx2 v[2:3], v6, s[16:19], 0 offen
	;;#ASMSTART
	s_nop 0
	;;#ASMEND
	s_endpgm
	.section	.rodata,"a",@progbits
	.p2align	6, 0x0
	.amdhsa_kernel _ZN5aiter35fused_qk_rmsnorm_group_quant_kernelItDB8_Li64ELi4ELi16ELb1ELb0ELb1ELb0ELb0ELb0EEEvPT0_PvPT_S6_S6_PKS5_S8_S8_S8_S8_ffiiiiiiiiiiiii
		.amdhsa_group_segment_fixed_size 0
		.amdhsa_private_segment_fixed_size 0
		.amdhsa_kernarg_size 400
		.amdhsa_user_sgpr_count 6
		.amdhsa_user_sgpr_private_segment_buffer 1
		.amdhsa_user_sgpr_dispatch_ptr 0
		.amdhsa_user_sgpr_queue_ptr 0
		.amdhsa_user_sgpr_kernarg_segment_ptr 1
		.amdhsa_user_sgpr_dispatch_id 0
		.amdhsa_user_sgpr_flat_scratch_init 0
		.amdhsa_user_sgpr_kernarg_preload_length 0
		.amdhsa_user_sgpr_kernarg_preload_offset 0
		.amdhsa_user_sgpr_private_segment_size 0
		.amdhsa_uses_dynamic_stack 0
		.amdhsa_system_sgpr_private_segment_wavefront_offset 0
		.amdhsa_system_sgpr_workgroup_id_x 1
		.amdhsa_system_sgpr_workgroup_id_y 1
		.amdhsa_system_sgpr_workgroup_id_z 0
		.amdhsa_system_sgpr_workgroup_info 0
		.amdhsa_system_vgpr_workitem_id 0
		.amdhsa_next_free_vgpr 16
		.amdhsa_next_free_sgpr 40
		.amdhsa_accum_offset 16
		.amdhsa_reserve_vcc 1
		.amdhsa_reserve_flat_scratch 0
		.amdhsa_float_round_mode_32 0
		.amdhsa_float_round_mode_16_64 0
		.amdhsa_float_denorm_mode_32 3
		.amdhsa_float_denorm_mode_16_64 3
		.amdhsa_dx10_clamp 1
		.amdhsa_ieee_mode 1
		.amdhsa_fp16_overflow 0
		.amdhsa_tg_split 0
		.amdhsa_exception_fp_ieee_invalid_op 0
		.amdhsa_exception_fp_denorm_src 0
		.amdhsa_exception_fp_ieee_div_zero 0
		.amdhsa_exception_fp_ieee_overflow 0
		.amdhsa_exception_fp_ieee_underflow 0
		.amdhsa_exception_fp_ieee_inexact 0
		.amdhsa_exception_int_div_zero 0
	.end_amdhsa_kernel
	.section	.text._ZN5aiter35fused_qk_rmsnorm_group_quant_kernelItDB8_Li64ELi4ELi16ELb1ELb0ELb1ELb0ELb0ELb0EEEvPT0_PvPT_S6_S6_PKS5_S8_S8_S8_S8_ffiiiiiiiiiiiii,"axG",@progbits,_ZN5aiter35fused_qk_rmsnorm_group_quant_kernelItDB8_Li64ELi4ELi16ELb1ELb0ELb1ELb0ELb0ELb0EEEvPT0_PvPT_S6_S6_PKS5_S8_S8_S8_S8_ffiiiiiiiiiiiii,comdat
.Lfunc_end278:
	.size	_ZN5aiter35fused_qk_rmsnorm_group_quant_kernelItDB8_Li64ELi4ELi16ELb1ELb0ELb1ELb0ELb0ELb0EEEvPT0_PvPT_S6_S6_PKS5_S8_S8_S8_S8_ffiiiiiiiiiiiii, .Lfunc_end278-_ZN5aiter35fused_qk_rmsnorm_group_quant_kernelItDB8_Li64ELi4ELi16ELb1ELb0ELb1ELb0ELb0ELb0EEEvPT0_PvPT_S6_S6_PKS5_S8_S8_S8_S8_ffiiiiiiiiiiiii
                                        ; -- End function
	.section	.AMDGPU.csdata,"",@progbits
; Kernel info:
; codeLenInByte = 2216
; NumSgprs: 44
; NumVgprs: 16
; NumAgprs: 0
; TotalNumVgprs: 16
; ScratchSize: 0
; MemoryBound: 0
; FloatMode: 240
; IeeeMode: 1
; LDSByteSize: 0 bytes/workgroup (compile time only)
; SGPRBlocks: 5
; VGPRBlocks: 1
; NumSGPRsForWavesPerEU: 44
; NumVGPRsForWavesPerEU: 16
; AccumOffset: 16
; Occupancy: 8
; WaveLimiterHint : 0
; COMPUTE_PGM_RSRC2:SCRATCH_EN: 0
; COMPUTE_PGM_RSRC2:USER_SGPR: 6
; COMPUTE_PGM_RSRC2:TRAP_HANDLER: 0
; COMPUTE_PGM_RSRC2:TGID_X_EN: 1
; COMPUTE_PGM_RSRC2:TGID_Y_EN: 1
; COMPUTE_PGM_RSRC2:TGID_Z_EN: 0
; COMPUTE_PGM_RSRC2:TIDIG_COMP_CNT: 0
; COMPUTE_PGM_RSRC3_GFX90A:ACCUM_OFFSET: 3
; COMPUTE_PGM_RSRC3_GFX90A:TG_SPLIT: 0
	.section	.text._ZN5aiter35fused_qk_rmsnorm_group_quant_kernelIDF16_DB8_Li64ELi4ELi16ELb1ELb0ELb0ELb0ELb0ELb0EEEvPT0_PvPT_S6_S6_PKS5_S8_S8_S8_S8_ffiiiiiiiiiiiii,"axG",@progbits,_ZN5aiter35fused_qk_rmsnorm_group_quant_kernelIDF16_DB8_Li64ELi4ELi16ELb1ELb0ELb0ELb0ELb0ELb0EEEvPT0_PvPT_S6_S6_PKS5_S8_S8_S8_S8_ffiiiiiiiiiiiii,comdat
	.protected	_ZN5aiter35fused_qk_rmsnorm_group_quant_kernelIDF16_DB8_Li64ELi4ELi16ELb1ELb0ELb0ELb0ELb0ELb0EEEvPT0_PvPT_S6_S6_PKS5_S8_S8_S8_S8_ffiiiiiiiiiiiii ; -- Begin function _ZN5aiter35fused_qk_rmsnorm_group_quant_kernelIDF16_DB8_Li64ELi4ELi16ELb1ELb0ELb0ELb0ELb0ELb0EEEvPT0_PvPT_S6_S6_PKS5_S8_S8_S8_S8_ffiiiiiiiiiiiii
	.globl	_ZN5aiter35fused_qk_rmsnorm_group_quant_kernelIDF16_DB8_Li64ELi4ELi16ELb1ELb0ELb0ELb0ELb0ELb0EEEvPT0_PvPT_S6_S6_PKS5_S8_S8_S8_S8_ffiiiiiiiiiiiii
	.p2align	8
	.type	_ZN5aiter35fused_qk_rmsnorm_group_quant_kernelIDF16_DB8_Li64ELi4ELi16ELb1ELb0ELb0ELb0ELb0ELb0EEEvPT0_PvPT_S6_S6_PKS5_S8_S8_S8_S8_ffiiiiiiiiiiiii,@function
_ZN5aiter35fused_qk_rmsnorm_group_quant_kernelIDF16_DB8_Li64ELi4ELi16ELb1ELb0ELb0ELb0ELb0ELb0EEEvPT0_PvPT_S6_S6_PKS5_S8_S8_S8_S8_ffiiiiiiiiiiiii: ; @_ZN5aiter35fused_qk_rmsnorm_group_quant_kernelIDF16_DB8_Li64ELi4ELi16ELb1ELb0ELb0ELb0ELb0ELb0EEEvPT0_PvPT_S6_S6_PKS5_S8_S8_S8_S8_ffiiiiiiiiiiiii
; %bb.0:
	s_load_dwordx8 s[8:15], s[4:5], 0x50
	s_waitcnt lgkmcnt(0)
	s_cmp_ge_i32 s6, s10
	s_cbranch_scc1 .LBB279_15
; %bb.1:
	s_cmp_lg_u32 s7, 0
	s_cselect_b64 s[2:3], -1, 0
	s_cmp_eq_u32 s7, 0
	s_cselect_b64 s[24:25], -1, 0
	s_and_b64 s[0:1], s[24:25], exec
	s_load_dwordx2 s[16:17], s[4:5], 0x48
	s_load_dwordx2 s[30:31], s[4:5], 0x30
	s_load_dwordx4 s[20:23], s[4:5], 0x70
	s_cselect_b32 s7, s11, s12
	s_add_i32 s0, s7, 1
	s_lshr_b32 s1, s0, 31
	s_add_i32 s0, s0, s1
	s_lshl_b32 s0, s0, 1
	v_lshlrev_b32_e32 v1, 2, v0
	s_and_b32 s26, s0, -4
	v_cmp_gt_i32_e64 s[0:1], s7, v1
	v_mov_b32_e32 v8, 0
	v_mov_b32_e32 v9, 0
	v_mov_b32_e32 v10, 0
	v_mov_b32_e32 v11, 0
	s_and_saveexec_b64 s[18:19], s[0:1]
	s_cbranch_execz .LBB279_3
; %bb.2:
	s_load_dwordx2 s[28:29], s[4:5], 0x28
	s_load_dwordx2 s[34:35], s[4:5], 0x40
	s_and_b64 s[36:37], s[24:25], exec
	s_cselect_b32 s10, s13, s14
	s_mov_b32 s27, 0x20000
	s_waitcnt lgkmcnt(0)
	s_cselect_b32 s13, s29, s31
	s_cselect_b32 s23, s28, s30
	s_mul_hi_i32 s29, s10, s6
	s_mul_i32 s28, s10, s6
	s_lshl_b64 s[28:29], s[28:29], 1
	s_add_u32 s36, s23, s28
	s_addc_u32 s10, s13, s29
	s_and_b64 s[24:25], s[24:25], exec
	s_cselect_b32 s24, s34, s16
	s_cselect_b32 s13, s35, s17
	v_lshlrev_b32_e32 v2, 3, v0
	s_and_b32 s37, s10, 0xffff
	s_mov_b32 s38, s26
	s_mov_b32 s39, s27
	s_and_b32 s25, s13, 0xffff
	buffer_load_dwordx2 v[10:11], v2, s[36:39], 0 offen glc slc
	buffer_load_dwordx2 v[8:9], v2, s[24:27], 0 offen
.LBB279_3:
	s_or_b64 exec, exec, s[18:19]
	s_load_dwordx2 s[28:29], s[4:5], 0x80
	s_and_b64 vcc, exec, s[2:3]
	s_cbranch_vccz .LBB279_7
; %bb.4:
	v_mov_b32_e32 v7, 0
	v_mov_b32_e32 v6, 0
	;; [unrolled: 1-line block ×4, first 2 shown]
	s_and_saveexec_b64 s[18:19], s[0:1]
	s_cbranch_execz .LBB279_6
; %bb.5:
	s_waitcnt vmcnt(1)
	v_cvt_f32_f16_sdwa v3, v10 dst_sel:DWORD dst_unused:UNUSED_PAD src0_sel:WORD_1
	v_cvt_f32_f16_e32 v2, v10
	v_cvt_f32_f16_sdwa v7, v11 dst_sel:DWORD dst_unused:UNUSED_PAD src0_sel:WORD_1
	v_cvt_f32_f16_e32 v6, v11
.LBB279_6:
	s_or_b64 exec, exec, s[18:19]
	s_mov_b32 s10, s9
	s_cbranch_execz .LBB279_8
	s_branch .LBB279_11
.LBB279_7:
                                        ; implicit-def: $vgpr7
                                        ; implicit-def: $vgpr2_vgpr3_vgpr4_vgpr5
	s_mov_b32 s10, s9
.LBB279_8:
	v_mov_b32_e32 v7, 0
	v_mov_b32_e32 v6, 0
	;; [unrolled: 1-line block ×4, first 2 shown]
	s_and_saveexec_b64 s[18:19], s[0:1]
	s_cbranch_execz .LBB279_10
; %bb.9:
	s_load_dwordx2 s[24:25], s[4:5], 0x38
	s_mul_hi_i32 s35, s15, s6
	s_mul_i32 s34, s15, s6
	s_lshl_b64 s[34:35], s[34:35], 1
	s_mov_b32 s27, 0x20000
	s_waitcnt lgkmcnt(0)
	s_add_u32 s24, s24, s34
	s_addc_u32 s10, s25, s35
	s_and_b32 s25, s10, 0xffff
	v_lshlrev_b32_e32 v14, 3, v0
	buffer_load_dwordx2 v[2:3], v14, s[24:27], 0 offen glc slc
	s_waitcnt vmcnt(2)
	v_cvt_f32_f16_sdwa v5, v10 dst_sel:DWORD dst_unused:UNUSED_PAD src0_sel:WORD_1
	v_cvt_f32_f16_e32 v4, v10
	v_cvt_f32_f16_sdwa v7, v11 dst_sel:DWORD dst_unused:UNUSED_PAD src0_sel:WORD_1
	v_cvt_f32_f16_e32 v6, v11
	s_load_dwordx2 s[24:25], s[4:5], 0x20
	s_mul_hi_i32 s35, s29, s6
	s_mul_i32 s34, s29, s6
	s_lshl_b64 s[34:35], s[34:35], 1
	s_waitcnt lgkmcnt(0)
	s_add_u32 s24, s24, s34
	s_addc_u32 s10, s25, s35
	s_and_b32 s25, s10, 0xffff
	s_waitcnt vmcnt(0)
	v_cvt_f32_f16_e32 v10, v2
	v_cvt_f32_f16_sdwa v11, v2 dst_sel:DWORD dst_unused:UNUSED_PAD src0_sel:WORD_1
	v_cvt_f32_f16_e32 v12, v3
	v_cvt_f32_f16_sdwa v13, v3 dst_sel:DWORD dst_unused:UNUSED_PAD src0_sel:WORD_1
	v_pk_add_f32 v[2:3], v[4:5], v[10:11]
	v_cvt_f16_f32_e32 v4, v3
	v_pk_add_f32 v[6:7], v[6:7], v[12:13]
	v_cvt_f16_f32_e32 v5, v7
	v_cvt_f16_f32_e32 v10, v6
	v_cvt_f16_f32_e32 v11, v2
	v_pack_b32_f16 v5, v10, v5
	v_pack_b32_f16 v4, v11, v4
	buffer_store_dwordx2 v[4:5], v14, s[24:27], 0 offen glc slc
	;;#ASMSTART
	s_nop 0
	;;#ASMEND
.LBB279_10:
	s_or_b64 exec, exec, s[18:19]
	s_mov_b32 s10, s8
.LBB279_11:
	v_mul_f32_e32 v4, v3, v3
	v_fmac_f32_e32 v4, v2, v2
	v_fmac_f32_e32 v4, v6, v6
	;; [unrolled: 1-line block ×3, first 2 shown]
	s_waitcnt vmcnt(1)
	v_bfrev_b32_e32 v10, 0.5
	s_load_dwordx2 s[34:35], s[4:5], 0x18
	v_mov_b32_dpp v5, v4 quad_perm:[1,0,3,2] row_mask:0xf bank_mask:0xf
	v_add_f32_e32 v4, v4, v5
	s_nop 1
	v_mov_b32_dpp v5, v4 quad_perm:[2,3,0,1] row_mask:0xf bank_mask:0xf
	v_add_f32_e32 v4, v4, v5
	s_nop 1
	v_mov_b32_dpp v5, v4 row_half_mirror row_mask:0xf bank_mask:0xf
	v_add_f32_e32 v4, v4, v5
	s_nop 1
	v_mov_b32_dpp v5, v4 row_mirror row_mask:0xf bank_mask:0xf
	v_add_f32_e32 v4, v4, v5
	s_nop 1
	v_mov_b32_dpp v5, v4 row_bcast:15 row_mask:0xf bank_mask:0xf
	v_add_f32_e32 v4, v4, v5
	s_nop 1
	v_mov_b32_dpp v5, v4 row_bcast:31 row_mask:0xf bank_mask:0xf
	v_add_f32_e32 v4, v4, v5
	v_mbcnt_lo_u32_b32 v5, -1, 0
	v_mbcnt_hi_u32_b32 v5, -1, v5
	v_lshl_or_b32 v10, v5, 2, v10
	ds_bpermute_b32 v4, v10, v4
	s_and_saveexec_b64 s[18:19], s[0:1]
	s_cbranch_execnz .LBB279_16
; %bb.12:
	s_or_b64 exec, exec, s[18:19]
	s_mov_b64 s[18:19], -1
	s_and_b64 vcc, exec, s[2:3]
	s_cbranch_vccnz .LBB279_17
.LBB279_13:
	s_andn2_b64 vcc, exec, s[18:19]
	s_cbranch_vccz .LBB279_20
.LBB279_14:
	s_cmp_lt_i32 s12, 1
	s_cbranch_scc0 .LBB279_27
.LBB279_15:
	s_endpgm
.LBB279_16:
	v_cvt_f32_u32_e32 v5, s7
	s_mov_b32 s7, 0x800000
	s_waitcnt lgkmcnt(0)
	v_div_scale_f32 v11, s[24:25], v5, v5, v4
	v_rcp_f32_e32 v12, v11
	v_div_scale_f32 v13, vcc, v4, v5, v4
	v_fma_f32 v14, -v11, v12, 1.0
	v_fmac_f32_e32 v12, v14, v12
	v_mul_f32_e32 v14, v13, v12
	v_fma_f32 v15, -v11, v14, v13
	v_fmac_f32_e32 v14, v15, v12
	v_fma_f32 v11, -v11, v14, v13
	v_div_fmas_f32 v11, v11, v12, v14
	v_div_fixup_f32 v4, v11, v5, v4
	v_add_f32_e32 v4, s10, v4
	v_mul_f32_e32 v5, 0x4b800000, v4
	v_cmp_gt_f32_e32 vcc, s7, v4
	v_cndmask_b32_e32 v4, v4, v5, vcc
	v_rsq_f32_e32 v11, v4
	s_waitcnt vmcnt(0)
	v_cvt_f32_f16_sdwa v5, v8 dst_sel:DWORD dst_unused:UNUSED_PAD src0_sel:WORD_1
	v_cvt_f32_f16_e32 v4, v8
	v_cvt_f32_f16_sdwa v13, v9 dst_sel:DWORD dst_unused:UNUSED_PAD src0_sel:WORD_1
	v_mul_f32_e32 v8, 0x45800000, v11
	v_cndmask_b32_e32 v14, v11, v8, vcc
	v_mov_b32_e32 v15, v14
	;;#ASMSTART
	v_pk_mul_f32 v[2:3], v[2:3], v[14:15]
	;;#ASMEND
	;;#ASMSTART
	v_pk_mul_f32 v[6:7], v[6:7], v[14:15]
	;;#ASMEND
	v_cvt_f32_f16_e32 v12, v9
	;;#ASMSTART
	v_pk_mul_f32 v[2:3], v[2:3], v[4:5]
	;;#ASMEND
	;;#ASMSTART
	v_pk_mul_f32 v[6:7], v[6:7], v[12:13]
	;;#ASMEND
	s_or_b64 exec, exec, s[18:19]
	s_mov_b64 s[18:19], -1
	s_and_b64 vcc, exec, s[2:3]
	s_cbranch_vccz .LBB279_13
.LBB279_17:
	s_and_saveexec_b64 s[2:3], s[0:1]
	s_cbranch_execz .LBB279_19
; %bb.18:
	s_waitcnt lgkmcnt(0)
	s_mul_hi_i32 s19, s28, s6
	s_mul_i32 s18, s28, s6
	v_cvt_f16_f32_e32 v4, v2
	v_cvt_f16_f32_e32 v5, v6
	s_waitcnt vmcnt(0)
	v_cvt_f16_f32_e32 v8, v7
	v_cvt_f16_f32_e32 v9, v3
	s_lshl_b64 s[18:19], s[18:19], 1
	s_add_u32 s24, s34, s18
	s_addc_u32 s7, s35, s19
	s_and_b32 s25, s7, 0xffff
	s_mov_b32 s27, 0x20000
	v_pack_b32_f16 v5, v5, v8
	v_pack_b32_f16 v4, v4, v9
	v_lshlrev_b32_e32 v8, 3, v0
	buffer_store_dwordx2 v[4:5], v8, s[24:27], 0 offen
	;;#ASMSTART
	s_nop 0
	;;#ASMEND
.LBB279_19:
	s_or_b64 exec, exec, s[2:3]
	s_cbranch_execnz .LBB279_14
.LBB279_20:
	s_waitcnt lgkmcnt(0)
	v_mov_b32_e32 v4, 0
	s_and_saveexec_b64 s[2:3], s[0:1]
	s_cbranch_execz .LBB279_22
; %bb.21:
	v_and_b32_e32 v4, 0x7fffffff, v2
	v_and_b32_e32 v5, 0x7fffffff, v3
	s_waitcnt vmcnt(0)
	v_mov_b32_e32 v8, 0x2edbe6ff
	;;#ASMSTART
	v_max3_f32 v4, v8, v4, v5

	;;#ASMEND
	v_and_b32_e32 v5, 0x7fffffff, v6
	v_and_b32_e32 v8, 0x7fffffff, v7
	;;#ASMSTART
	v_max3_f32 v4, v4, v5, v8

	;;#ASMEND
.LBB279_22:
	s_or_b64 exec, exec, s[2:3]
	;;#ASMSTART
	v_max_f32 v5, v4, v4 quad_perm:[1,0,3,2] row_mask:0xf bank_mask:0xf bound_ctrl:1
	;;#ASMEND
	;;#ASMSTART
	v_max_f32 v4, v5, v5 quad_perm:[2,3,0,1] row_mask:0xf bank_mask:0xf bound_ctrl:1
	;;#ASMEND
	;;#ASMSTART
	v_max_f32 v5, v4, v4 row_half_mirror row_mask:0xf bank_mask:0xf bound_ctrl:1
	;;#ASMEND
	;;#ASMSTART
	v_max_f32 v4, v5, v5 row_mirror row_mask:0xf bank_mask:0xf bound_ctrl:1
	;;#ASMEND
	v_and_b32_e32 v5, 15, v0
	v_cmp_eq_u32_e32 vcc, 0, v5
	v_cmp_gt_i32_e64 s[2:3], s11, v1
	v_mul_f32_e32 v4, 0x3b124925, v4
	s_and_b64 s[18:19], vcc, s[2:3]
	s_and_saveexec_b64 s[2:3], s[18:19]
	s_cbranch_execz .LBB279_24
; %bb.23:
	s_load_dwordx2 s[18:19], s[4:5], 0x8
	v_lshrrev_b32_e32 v5, 4, v0
	s_mul_hi_i32 s25, s21, s6
	s_mul_i32 s24, s21, s6
	s_waitcnt vmcnt(0)
	v_mad_i64_i32 v[8:9], s[22:23], s22, v5, 0
	s_lshl_b64 s[22:23], s[24:25], 2
	s_waitcnt lgkmcnt(0)
	s_add_u32 s7, s18, s22
	s_addc_u32 s8, s19, s23
	v_lshlrev_b64 v[8:9], 2, v[8:9]
	v_mov_b32_e32 v5, s8
	v_add_co_u32_e32 v8, vcc, s7, v8
	v_addc_co_u32_e32 v9, vcc, v5, v9, vcc
	global_store_dword v[8:9], v4, off
.LBB279_24:
	s_or_b64 exec, exec, s[2:3]
	;;#ASMSTART
	v_rcp_f32 v4, v4
	;;#ASMEND
	s_and_saveexec_b64 s[2:3], s[0:1]
	s_cbranch_execz .LBB279_26
; %bb.25:
	s_load_dwordx2 s[0:1], s[4:5], 0x0
	s_mul_i32 s8, s20, s6
	s_mul_hi_i32 s7, s20, s6
	v_mov_b32_e32 v5, v4
	;;#ASMSTART
	v_pk_mul_f32 v[2:3], v[2:3], v[4:5]
	;;#ASMEND
	s_waitcnt lgkmcnt(0)
	s_add_u32 s20, s0, s8
	s_addc_u32 s0, s1, s7
	s_add_i32 s1, s11, 3
	s_ashr_i32 s7, s1, 31
	s_waitcnt vmcnt(0)
	v_mov_b32_e32 v8, 0xc3e00000
	v_mov_b32_e32 v9, 0x43e00000
	;;#ASMSTART
	v_med3_f32 v2, v2, v8, v9
v_med3_f32 v3, v3, v8, v9
v_cvt_pk_fp8_f32 v11, v2, v3
	;;#ASMEND
	s_and_b32 s21, s0, 0xffff
	s_lshr_b32 s0, s7, 30
	;;#ASMSTART
	v_pk_mul_f32 v[2:3], v[6:7], v[4:5]
	;;#ASMEND
	s_add_i32 s1, s1, s0
	;;#ASMSTART
	v_med3_f32 v2, v2, v8, v9
v_med3_f32 v3, v3, v8, v9
v_cvt_pk_fp8_f32 v4, v2, v3
	;;#ASMEND
	s_mov_b32 s0, 0x5040100
	s_and_b32 s22, s1, -4
	s_mov_b32 s23, 0x20000
	v_perm_b32 v2, v4, v11, s0
	buffer_store_dword v2, v1, s[20:23], 0 offen
	;;#ASMSTART
	s_nop 0
	;;#ASMEND
.LBB279_26:
	s_or_b64 exec, exec, s[2:3]
	s_cmp_lt_i32 s12, 1
	s_cbranch_scc1 .LBB279_15
.LBB279_27:
	s_load_dword s0, s[4:5], 0x94
	s_waitcnt lgkmcnt(0)
	s_cmp_lg_u32 s0, 1
	s_cbranch_scc1 .LBB279_15
; %bb.28:
	s_lshl_b32 s0, s12, 1
	s_add_i32 s0, s0, 2
	v_cmp_gt_u32_e32 vcc, s12, v1
	s_and_b32 s18, s0, -4
	v_mov_b32_e32 v2, 0
	v_lshlrev_b32_e32 v6, 3, v0
	v_mov_b32_e32 v3, 0
	v_mov_b32_e32 v0, 0
	;; [unrolled: 1-line block ×3, first 2 shown]
	s_barrier
	s_and_saveexec_b64 s[0:1], vcc
	s_cbranch_execz .LBB279_30
; %bb.29:
	s_mul_hi_i32 s3, s14, s6
	s_mul_i32 s2, s14, s6
	s_and_b32 s17, s17, 0xffff
	s_lshl_b64 s[2:3], s[2:3], 1
	s_add_u32 s20, s30, s2
	s_mov_b32 s19, 0x20000
	s_addc_u32 s2, s31, s3
	s_and_b32 s21, s2, 0xffff
	s_mov_b32 s22, s18
	s_mov_b32 s23, s19
	buffer_load_dwordx2 v[2:3], v6, s[20:23], 0 offen glc slc
	buffer_load_dwordx2 v[0:1], v6, s[16:19], 0 offen
.LBB279_30:
	s_or_b64 exec, exec, s[0:1]
	s_waitcnt vmcnt(1)
	v_cvt_f32_f16_e32 v4, v3
	v_cvt_f32_f16_e32 v5, v2
	v_cvt_f32_f16_sdwa v7, v2 dst_sel:DWORD dst_unused:UNUSED_PAD src0_sel:WORD_1
	v_cvt_f32_f16_sdwa v3, v3 dst_sel:DWORD dst_unused:UNUSED_PAD src0_sel:WORD_1
	v_cndmask_b32_e32 v2, 0, v4, vcc
	v_cndmask_b32_e32 v4, 0, v5, vcc
	;; [unrolled: 1-line block ×3, first 2 shown]
	v_mul_f32_e32 v7, v5, v5
	v_fmac_f32_e32 v7, v4, v4
	v_cndmask_b32_e32 v3, 0, v3, vcc
	v_fmac_f32_e32 v7, v2, v2
	v_fmac_f32_e32 v7, v3, v3
	s_waitcnt vmcnt(0)
	s_nop 0
	v_mov_b32_dpp v8, v7 quad_perm:[1,0,3,2] row_mask:0xf bank_mask:0xf
	v_add_f32_e32 v7, v7, v8
	s_nop 1
	v_mov_b32_dpp v8, v7 quad_perm:[2,3,0,1] row_mask:0xf bank_mask:0xf
	v_add_f32_e32 v7, v7, v8
	s_nop 1
	v_mov_b32_dpp v8, v7 row_half_mirror row_mask:0xf bank_mask:0xf
	v_add_f32_e32 v7, v7, v8
	s_nop 1
	v_mov_b32_dpp v8, v7 row_mirror row_mask:0xf bank_mask:0xf
	v_add_f32_e32 v7, v7, v8
	s_nop 1
	v_mov_b32_dpp v8, v7 row_bcast:15 row_mask:0xf bank_mask:0xf
	v_add_f32_e32 v7, v7, v8
	s_nop 1
	v_mov_b32_dpp v8, v7 row_bcast:31 row_mask:0xf bank_mask:0xf
	v_add_f32_e32 v7, v7, v8
	ds_bpermute_b32 v7, v10, v7
	s_and_saveexec_b64 s[0:1], vcc
	s_cbranch_execz .LBB279_15
; %bb.31:
	v_cvt_f32_u32_e32 v8, s12
	s_mov_b32 s19, 0x20000
	s_waitcnt lgkmcnt(0)
	v_div_scale_f32 v9, s[0:1], v8, v8, v7
	v_rcp_f32_e32 v10, v9
	v_div_scale_f32 v11, vcc, v7, v8, v7
	s_mov_b32 s0, 0x800000
	v_fma_f32 v12, -v9, v10, 1.0
	v_fmac_f32_e32 v10, v12, v10
	v_mul_f32_e32 v12, v11, v10
	v_fma_f32 v13, -v9, v12, v11
	v_fmac_f32_e32 v12, v13, v10
	v_fma_f32 v9, -v9, v12, v11
	v_div_fmas_f32 v9, v9, v10, v12
	v_div_fixup_f32 v7, v9, v8, v7
	v_add_f32_e32 v7, s9, v7
	v_mul_f32_e32 v8, 0x4b800000, v7
	v_cmp_gt_f32_e32 vcc, s0, v7
	v_cndmask_b32_e32 v7, v7, v8, vcc
	v_rsq_f32_e32 v7, v7
	v_cvt_f32_f16_sdwa v9, v0 dst_sel:DWORD dst_unused:UNUSED_PAD src0_sel:WORD_1
	v_cvt_f32_f16_e32 v8, v0
	v_cvt_f32_f16_sdwa v11, v1 dst_sel:DWORD dst_unused:UNUSED_PAD src0_sel:WORD_1
	v_mul_f32_e32 v0, 0x45800000, v7
	v_cndmask_b32_e32 v12, v7, v0, vcc
	v_mov_b32_e32 v13, v12
	v_cvt_f32_f16_e32 v10, v1
	;;#ASMSTART
	v_pk_mul_f32 v[0:1], v[4:5], v[12:13]
	;;#ASMEND
	;;#ASMSTART
	v_pk_mul_f32 v[2:3], v[2:3], v[12:13]
	;;#ASMEND
	;; [unrolled: 3-line block ×4, first 2 shown]
	s_mul_hi_i32 s1, s28, s6
	s_mul_i32 s0, s28, s6
	v_cvt_f16_f32_e32 v0, v0
	v_cvt_f16_f32_e32 v1, v1
	;; [unrolled: 1-line block ×4, first 2 shown]
	s_lshl_b64 s[0:1], s[0:1], 1
	s_add_u32 s16, s34, s0
	s_addc_u32 s0, s35, s1
	s_and_b32 s17, s0, 0xffff
	v_pack_b32_f16 v0, v0, v1
	v_pack_b32_f16 v1, v2, v3
	buffer_store_dwordx2 v[0:1], v6, s[16:19], 0 offen
	;;#ASMSTART
	s_nop 0
	;;#ASMEND
	s_endpgm
	.section	.rodata,"a",@progbits
	.p2align	6, 0x0
	.amdhsa_kernel _ZN5aiter35fused_qk_rmsnorm_group_quant_kernelIDF16_DB8_Li64ELi4ELi16ELb1ELb0ELb0ELb0ELb0ELb0EEEvPT0_PvPT_S6_S6_PKS5_S8_S8_S8_S8_ffiiiiiiiiiiiii
		.amdhsa_group_segment_fixed_size 0
		.amdhsa_private_segment_fixed_size 0
		.amdhsa_kernarg_size 400
		.amdhsa_user_sgpr_count 6
		.amdhsa_user_sgpr_private_segment_buffer 1
		.amdhsa_user_sgpr_dispatch_ptr 0
		.amdhsa_user_sgpr_queue_ptr 0
		.amdhsa_user_sgpr_kernarg_segment_ptr 1
		.amdhsa_user_sgpr_dispatch_id 0
		.amdhsa_user_sgpr_flat_scratch_init 0
		.amdhsa_user_sgpr_kernarg_preload_length 0
		.amdhsa_user_sgpr_kernarg_preload_offset 0
		.amdhsa_user_sgpr_private_segment_size 0
		.amdhsa_uses_dynamic_stack 0
		.amdhsa_system_sgpr_private_segment_wavefront_offset 0
		.amdhsa_system_sgpr_workgroup_id_x 1
		.amdhsa_system_sgpr_workgroup_id_y 1
		.amdhsa_system_sgpr_workgroup_id_z 0
		.amdhsa_system_sgpr_workgroup_info 0
		.amdhsa_system_vgpr_workitem_id 0
		.amdhsa_next_free_vgpr 16
		.amdhsa_next_free_sgpr 40
		.amdhsa_accum_offset 16
		.amdhsa_reserve_vcc 1
		.amdhsa_reserve_flat_scratch 0
		.amdhsa_float_round_mode_32 0
		.amdhsa_float_round_mode_16_64 0
		.amdhsa_float_denorm_mode_32 3
		.amdhsa_float_denorm_mode_16_64 3
		.amdhsa_dx10_clamp 1
		.amdhsa_ieee_mode 1
		.amdhsa_fp16_overflow 0
		.amdhsa_tg_split 0
		.amdhsa_exception_fp_ieee_invalid_op 0
		.amdhsa_exception_fp_denorm_src 0
		.amdhsa_exception_fp_ieee_div_zero 0
		.amdhsa_exception_fp_ieee_overflow 0
		.amdhsa_exception_fp_ieee_underflow 0
		.amdhsa_exception_fp_ieee_inexact 0
		.amdhsa_exception_int_div_zero 0
	.end_amdhsa_kernel
	.section	.text._ZN5aiter35fused_qk_rmsnorm_group_quant_kernelIDF16_DB8_Li64ELi4ELi16ELb1ELb0ELb0ELb0ELb0ELb0EEEvPT0_PvPT_S6_S6_PKS5_S8_S8_S8_S8_ffiiiiiiiiiiiii,"axG",@progbits,_ZN5aiter35fused_qk_rmsnorm_group_quant_kernelIDF16_DB8_Li64ELi4ELi16ELb1ELb0ELb0ELb0ELb0ELb0EEEvPT0_PvPT_S6_S6_PKS5_S8_S8_S8_S8_ffiiiiiiiiiiiii,comdat
.Lfunc_end279:
	.size	_ZN5aiter35fused_qk_rmsnorm_group_quant_kernelIDF16_DB8_Li64ELi4ELi16ELb1ELb0ELb0ELb0ELb0ELb0EEEvPT0_PvPT_S6_S6_PKS5_S8_S8_S8_S8_ffiiiiiiiiiiiii, .Lfunc_end279-_ZN5aiter35fused_qk_rmsnorm_group_quant_kernelIDF16_DB8_Li64ELi4ELi16ELb1ELb0ELb0ELb0ELb0ELb0EEEvPT0_PvPT_S6_S6_PKS5_S8_S8_S8_S8_ffiiiiiiiiiiiii
                                        ; -- End function
	.section	.AMDGPU.csdata,"",@progbits
; Kernel info:
; codeLenInByte = 2132
; NumSgprs: 44
; NumVgprs: 16
; NumAgprs: 0
; TotalNumVgprs: 16
; ScratchSize: 0
; MemoryBound: 0
; FloatMode: 240
; IeeeMode: 1
; LDSByteSize: 0 bytes/workgroup (compile time only)
; SGPRBlocks: 5
; VGPRBlocks: 1
; NumSGPRsForWavesPerEU: 44
; NumVGPRsForWavesPerEU: 16
; AccumOffset: 16
; Occupancy: 8
; WaveLimiterHint : 0
; COMPUTE_PGM_RSRC2:SCRATCH_EN: 0
; COMPUTE_PGM_RSRC2:USER_SGPR: 6
; COMPUTE_PGM_RSRC2:TRAP_HANDLER: 0
; COMPUTE_PGM_RSRC2:TGID_X_EN: 1
; COMPUTE_PGM_RSRC2:TGID_Y_EN: 1
; COMPUTE_PGM_RSRC2:TGID_Z_EN: 0
; COMPUTE_PGM_RSRC2:TIDIG_COMP_CNT: 0
; COMPUTE_PGM_RSRC3_GFX90A:ACCUM_OFFSET: 3
; COMPUTE_PGM_RSRC3_GFX90A:TG_SPLIT: 0
	.section	.text._ZN5aiter35fused_qk_rmsnorm_group_quant_kernelItDB8_Li64ELi4ELi16ELb1ELb0ELb0ELb0ELb0ELb0EEEvPT0_PvPT_S6_S6_PKS5_S8_S8_S8_S8_ffiiiiiiiiiiiii,"axG",@progbits,_ZN5aiter35fused_qk_rmsnorm_group_quant_kernelItDB8_Li64ELi4ELi16ELb1ELb0ELb0ELb0ELb0ELb0EEEvPT0_PvPT_S6_S6_PKS5_S8_S8_S8_S8_ffiiiiiiiiiiiii,comdat
	.protected	_ZN5aiter35fused_qk_rmsnorm_group_quant_kernelItDB8_Li64ELi4ELi16ELb1ELb0ELb0ELb0ELb0ELb0EEEvPT0_PvPT_S6_S6_PKS5_S8_S8_S8_S8_ffiiiiiiiiiiiii ; -- Begin function _ZN5aiter35fused_qk_rmsnorm_group_quant_kernelItDB8_Li64ELi4ELi16ELb1ELb0ELb0ELb0ELb0ELb0EEEvPT0_PvPT_S6_S6_PKS5_S8_S8_S8_S8_ffiiiiiiiiiiiii
	.globl	_ZN5aiter35fused_qk_rmsnorm_group_quant_kernelItDB8_Li64ELi4ELi16ELb1ELb0ELb0ELb0ELb0ELb0EEEvPT0_PvPT_S6_S6_PKS5_S8_S8_S8_S8_ffiiiiiiiiiiiii
	.p2align	8
	.type	_ZN5aiter35fused_qk_rmsnorm_group_quant_kernelItDB8_Li64ELi4ELi16ELb1ELb0ELb0ELb0ELb0ELb0EEEvPT0_PvPT_S6_S6_PKS5_S8_S8_S8_S8_ffiiiiiiiiiiiii,@function
_ZN5aiter35fused_qk_rmsnorm_group_quant_kernelItDB8_Li64ELi4ELi16ELb1ELb0ELb0ELb0ELb0ELb0EEEvPT0_PvPT_S6_S6_PKS5_S8_S8_S8_S8_ffiiiiiiiiiiiii: ; @_ZN5aiter35fused_qk_rmsnorm_group_quant_kernelItDB8_Li64ELi4ELi16ELb1ELb0ELb0ELb0ELb0ELb0EEEvPT0_PvPT_S6_S6_PKS5_S8_S8_S8_S8_ffiiiiiiiiiiiii
; %bb.0:
	s_load_dwordx8 s[8:15], s[4:5], 0x50
	s_waitcnt lgkmcnt(0)
	s_cmp_ge_i32 s6, s10
	s_cbranch_scc1 .LBB280_15
; %bb.1:
	s_cmp_lg_u32 s7, 0
	s_cselect_b64 s[2:3], -1, 0
	s_cmp_eq_u32 s7, 0
	s_cselect_b64 s[24:25], -1, 0
	s_and_b64 s[0:1], s[24:25], exec
	s_load_dwordx2 s[16:17], s[4:5], 0x48
	s_load_dwordx2 s[30:31], s[4:5], 0x30
	s_load_dwordx4 s[20:23], s[4:5], 0x70
	s_cselect_b32 s7, s11, s12
	s_add_i32 s0, s7, 1
	s_lshr_b32 s1, s0, 31
	s_add_i32 s0, s0, s1
	s_lshl_b32 s0, s0, 1
	v_lshlrev_b32_e32 v1, 2, v0
	s_and_b32 s26, s0, -4
	v_cmp_gt_i32_e64 s[0:1], s7, v1
	v_mov_b32_e32 v6, 0
	v_mov_b32_e32 v7, 0
	;; [unrolled: 1-line block ×4, first 2 shown]
	s_and_saveexec_b64 s[18:19], s[0:1]
	s_cbranch_execz .LBB280_3
; %bb.2:
	s_load_dwordx2 s[28:29], s[4:5], 0x28
	s_load_dwordx2 s[34:35], s[4:5], 0x40
	s_and_b64 s[36:37], s[24:25], exec
	s_cselect_b32 s10, s13, s14
	s_mov_b32 s27, 0x20000
	s_waitcnt lgkmcnt(0)
	s_cselect_b32 s13, s29, s31
	s_cselect_b32 s23, s28, s30
	s_mul_hi_i32 s29, s10, s6
	s_mul_i32 s28, s10, s6
	s_lshl_b64 s[28:29], s[28:29], 1
	s_add_u32 s36, s23, s28
	s_addc_u32 s10, s13, s29
	s_and_b64 s[24:25], s[24:25], exec
	s_cselect_b32 s24, s34, s16
	s_cselect_b32 s13, s35, s17
	v_lshlrev_b32_e32 v2, 3, v0
	s_and_b32 s37, s10, 0xffff
	s_mov_b32 s38, s26
	s_mov_b32 s39, s27
	s_and_b32 s25, s13, 0xffff
	buffer_load_dwordx2 v[8:9], v2, s[36:39], 0 offen glc slc
	buffer_load_dwordx2 v[6:7], v2, s[24:27], 0 offen
.LBB280_3:
	s_or_b64 exec, exec, s[18:19]
	s_load_dwordx2 s[28:29], s[4:5], 0x80
	s_and_b64 vcc, exec, s[2:3]
	s_cbranch_vccz .LBB280_7
; %bb.4:
	s_mov_b32 s36, 0
	s_mov_b32 s37, s36
	;; [unrolled: 1-line block ×4, first 2 shown]
	v_pk_mov_b32 v[2:3], s[36:37], s[36:37] op_sel:[0,1]
	v_pk_mov_b32 v[4:5], s[38:39], s[38:39] op_sel:[0,1]
	s_and_saveexec_b64 s[18:19], s[0:1]
	s_cbranch_execz .LBB280_6
; %bb.5:
	s_waitcnt vmcnt(1)
	v_cvt_f32_u32_sdwa v3, v8 dst_sel:DWORD dst_unused:UNUSED_PAD src0_sel:WORD_1
	v_cvt_f32_u32_sdwa v2, v8 dst_sel:DWORD dst_unused:UNUSED_PAD src0_sel:WORD_0
	v_cvt_f32_u32_sdwa v5, v9 dst_sel:DWORD dst_unused:UNUSED_PAD src0_sel:WORD_1
	v_cvt_f32_u32_sdwa v4, v9 dst_sel:DWORD dst_unused:UNUSED_PAD src0_sel:WORD_0
.LBB280_6:
	s_or_b64 exec, exec, s[18:19]
	s_mov_b32 s10, s9
	s_cbranch_execz .LBB280_8
	s_branch .LBB280_11
.LBB280_7:
                                        ; implicit-def: $vgpr2_vgpr3_vgpr4_vgpr5
	s_mov_b32 s10, s9
.LBB280_8:
	s_mov_b32 s36, 0
	s_mov_b32 s37, s36
	s_mov_b32 s38, s36
	s_mov_b32 s39, s36
	v_pk_mov_b32 v[2:3], s[36:37], s[36:37] op_sel:[0,1]
	v_pk_mov_b32 v[4:5], s[38:39], s[38:39] op_sel:[0,1]
	s_and_saveexec_b64 s[18:19], s[0:1]
	s_cbranch_execz .LBB280_10
; %bb.9:
	s_load_dwordx2 s[24:25], s[4:5], 0x38
	s_mul_hi_i32 s35, s15, s6
	s_mul_i32 s34, s15, s6
	s_lshl_b64 s[34:35], s[34:35], 1
	s_mov_b32 s27, 0x20000
	s_waitcnt lgkmcnt(0)
	s_add_u32 s24, s24, s34
	s_addc_u32 s10, s25, s35
	s_and_b32 s25, s10, 0xffff
	v_lshlrev_b32_e32 v14, 3, v0
	buffer_load_dwordx2 v[2:3], v14, s[24:27], 0 offen glc slc
	s_load_dwordx2 s[24:25], s[4:5], 0x20
	s_waitcnt vmcnt(2)
	v_cvt_f32_u32_sdwa v5, v8 dst_sel:DWORD dst_unused:UNUSED_PAD src0_sel:WORD_1
	v_cvt_f32_u32_sdwa v4, v8 dst_sel:DWORD dst_unused:UNUSED_PAD src0_sel:WORD_0
	v_cvt_f32_u32_sdwa v11, v9 dst_sel:DWORD dst_unused:UNUSED_PAD src0_sel:WORD_1
	v_cvt_f32_u32_sdwa v10, v9 dst_sel:DWORD dst_unused:UNUSED_PAD src0_sel:WORD_0
	s_mul_hi_i32 s35, s29, s6
	s_mul_i32 s34, s29, s6
	s_lshl_b64 s[34:35], s[34:35], 1
	s_waitcnt lgkmcnt(0)
	s_add_u32 s24, s24, s34
	s_mov_b32 s10, 0x7060302
	s_addc_u32 s13, s25, s35
	s_and_b32 s25, s13, 0xffff
	s_waitcnt vmcnt(0)
	v_cvt_f32_u32_sdwa v9, v2 dst_sel:DWORD dst_unused:UNUSED_PAD src0_sel:WORD_1
	v_cvt_f32_u32_sdwa v8, v2 dst_sel:DWORD dst_unused:UNUSED_PAD src0_sel:WORD_0
	v_cvt_f32_u32_sdwa v13, v3 dst_sel:DWORD dst_unused:UNUSED_PAD src0_sel:WORD_1
	v_cvt_f32_u32_sdwa v12, v3 dst_sel:DWORD dst_unused:UNUSED_PAD src0_sel:WORD_0
	v_pk_add_f32 v[2:3], v[4:5], v[8:9]
	v_perm_b32 v8, v3, v2, s10
	v_pk_add_f32 v[4:5], v[10:11], v[12:13]
	v_perm_b32 v9, v5, v4, s10
	buffer_store_dwordx2 v[8:9], v14, s[24:27], 0 offen glc slc
	;;#ASMSTART
	s_nop 0
	;;#ASMEND
.LBB280_10:
	s_or_b64 exec, exec, s[18:19]
	s_mov_b32 s10, s8
.LBB280_11:
	s_waitcnt vmcnt(1)
	v_mul_f32_e32 v8, v3, v3
	v_fmac_f32_e32 v8, v2, v2
	v_fmac_f32_e32 v8, v4, v4
	;; [unrolled: 1-line block ×3, first 2 shown]
	v_bfrev_b32_e32 v10, 0.5
	s_load_dwordx2 s[34:35], s[4:5], 0x18
	v_mov_b32_dpp v9, v8 quad_perm:[1,0,3,2] row_mask:0xf bank_mask:0xf
	v_add_f32_e32 v8, v8, v9
	s_nop 1
	v_mov_b32_dpp v9, v8 quad_perm:[2,3,0,1] row_mask:0xf bank_mask:0xf
	v_add_f32_e32 v8, v8, v9
	s_nop 1
	v_mov_b32_dpp v9, v8 row_half_mirror row_mask:0xf bank_mask:0xf
	v_add_f32_e32 v8, v8, v9
	s_nop 1
	v_mov_b32_dpp v9, v8 row_mirror row_mask:0xf bank_mask:0xf
	v_add_f32_e32 v8, v8, v9
	s_nop 1
	v_mov_b32_dpp v9, v8 row_bcast:15 row_mask:0xf bank_mask:0xf
	v_add_f32_e32 v8, v8, v9
	s_nop 1
	v_mov_b32_dpp v9, v8 row_bcast:31 row_mask:0xf bank_mask:0xf
	v_add_f32_e32 v9, v8, v9
	v_mbcnt_lo_u32_b32 v8, -1, 0
	v_mbcnt_hi_u32_b32 v8, -1, v8
	v_lshl_or_b32 v8, v8, 2, v10
	ds_bpermute_b32 v9, v8, v9
	s_and_saveexec_b64 s[18:19], s[0:1]
	s_cbranch_execnz .LBB280_16
; %bb.12:
	s_or_b64 exec, exec, s[18:19]
	s_mov_b64 s[18:19], -1
	s_and_b64 vcc, exec, s[2:3]
	s_cbranch_vccnz .LBB280_17
.LBB280_13:
	s_andn2_b64 vcc, exec, s[18:19]
	s_cbranch_vccz .LBB280_20
.LBB280_14:
	s_cmp_lt_i32 s12, 1
	s_cbranch_scc0 .LBB280_27
.LBB280_15:
	s_endpgm
.LBB280_16:
	v_cvt_f32_u32_e32 v10, s7
	s_mov_b32 s7, 0x800000
	s_waitcnt lgkmcnt(0)
	v_div_scale_f32 v11, s[24:25], v10, v10, v9
	v_rcp_f32_e32 v12, v11
	v_div_scale_f32 v13, vcc, v9, v10, v9
	v_fma_f32 v14, -v11, v12, 1.0
	v_fmac_f32_e32 v12, v14, v12
	v_mul_f32_e32 v14, v13, v12
	v_fma_f32 v15, -v11, v14, v13
	v_fmac_f32_e32 v14, v15, v12
	v_fma_f32 v11, -v11, v14, v13
	v_div_fmas_f32 v11, v11, v12, v14
	v_div_fixup_f32 v9, v11, v10, v9
	v_add_f32_e32 v9, s10, v9
	v_mul_f32_e32 v10, 0x4b800000, v9
	v_cmp_gt_f32_e32 vcc, s7, v9
	v_cndmask_b32_e32 v9, v9, v10, vcc
	v_rsq_f32_e32 v9, v9
	s_waitcnt vmcnt(0)
	v_cvt_f32_u32_sdwa v11, v6 dst_sel:DWORD dst_unused:UNUSED_PAD src0_sel:WORD_1
	v_cvt_f32_u32_sdwa v10, v6 dst_sel:DWORD dst_unused:UNUSED_PAD src0_sel:WORD_0
	v_cvt_f32_u32_sdwa v13, v7 dst_sel:DWORD dst_unused:UNUSED_PAD src0_sel:WORD_1
	v_mul_f32_e32 v6, 0x45800000, v9
	v_cndmask_b32_e32 v14, v9, v6, vcc
	v_mov_b32_e32 v15, v14
	;;#ASMSTART
	v_pk_mul_f32 v[2:3], v[2:3], v[14:15]
	;;#ASMEND
	;;#ASMSTART
	v_pk_mul_f32 v[4:5], v[4:5], v[14:15]
	;;#ASMEND
	v_cvt_f32_u32_sdwa v12, v7 dst_sel:DWORD dst_unused:UNUSED_PAD src0_sel:WORD_0
	;;#ASMSTART
	v_pk_mul_f32 v[2:3], v[2:3], v[10:11]
	;;#ASMEND
	;;#ASMSTART
	v_pk_mul_f32 v[4:5], v[4:5], v[12:13]
	;;#ASMEND
	s_or_b64 exec, exec, s[18:19]
	s_mov_b64 s[18:19], -1
	s_and_b64 vcc, exec, s[2:3]
	s_cbranch_vccz .LBB280_13
.LBB280_17:
	s_and_saveexec_b64 s[2:3], s[0:1]
	s_cbranch_execz .LBB280_19
; %bb.18:
	s_waitcnt lgkmcnt(0)
	s_mul_hi_i32 s19, s28, s6
	s_mul_i32 s18, s28, s6
	s_lshl_b64 s[18:19], s[18:19], 1
	s_add_u32 s24, s34, s18
	s_addc_u32 s7, s35, s19
	s_and_b32 s25, s7, 0xffff
	s_mov_b32 s7, 0x7060302
	s_mov_b32 s27, 0x20000
	s_waitcnt vmcnt(0)
	v_perm_b32 v6, v3, v2, s7
	v_perm_b32 v7, v5, v4, s7
	v_lshlrev_b32_e32 v9, 3, v0
	buffer_store_dwordx2 v[6:7], v9, s[24:27], 0 offen
	;;#ASMSTART
	s_nop 0
	;;#ASMEND
.LBB280_19:
	s_or_b64 exec, exec, s[2:3]
	s_cbranch_execnz .LBB280_14
.LBB280_20:
	s_waitcnt vmcnt(0)
	v_mov_b32_e32 v6, 0
	s_and_saveexec_b64 s[2:3], s[0:1]
	s_cbranch_execz .LBB280_22
; %bb.21:
	v_and_b32_e32 v6, 0x7fffffff, v2
	v_and_b32_e32 v7, 0x7fffffff, v3
	s_waitcnt lgkmcnt(0)
	v_mov_b32_e32 v9, 0x2edbe6ff
	;;#ASMSTART
	v_max3_f32 v6, v9, v6, v7

	;;#ASMEND
	v_and_b32_e32 v7, 0x7fffffff, v4
	v_and_b32_e32 v9, 0x7fffffff, v5
	;;#ASMSTART
	v_max3_f32 v6, v6, v7, v9

	;;#ASMEND
.LBB280_22:
	s_or_b64 exec, exec, s[2:3]
	;;#ASMSTART
	v_max_f32 v7, v6, v6 quad_perm:[1,0,3,2] row_mask:0xf bank_mask:0xf bound_ctrl:1
	;;#ASMEND
	;;#ASMSTART
	v_max_f32 v6, v7, v7 quad_perm:[2,3,0,1] row_mask:0xf bank_mask:0xf bound_ctrl:1
	;;#ASMEND
	;;#ASMSTART
	v_max_f32 v7, v6, v6 row_half_mirror row_mask:0xf bank_mask:0xf bound_ctrl:1
	;;#ASMEND
	;;#ASMSTART
	v_max_f32 v6, v7, v7 row_mirror row_mask:0xf bank_mask:0xf bound_ctrl:1
	;;#ASMEND
	v_and_b32_e32 v7, 15, v0
	v_cmp_eq_u32_e32 vcc, 0, v7
	v_cmp_gt_i32_e64 s[2:3], s11, v1
	v_mul_f32_e32 v6, 0x3b124925, v6
	s_and_b64 s[18:19], vcc, s[2:3]
	s_and_saveexec_b64 s[2:3], s[18:19]
	s_cbranch_execz .LBB280_24
; %bb.23:
	s_load_dwordx2 s[18:19], s[4:5], 0x8
	v_lshrrev_b32_e32 v7, 4, v0
	s_waitcnt lgkmcnt(0)
	s_mul_hi_i32 s25, s21, s6
	s_mul_i32 s24, s21, s6
	v_mad_i64_i32 v[10:11], s[22:23], s22, v7, 0
	s_lshl_b64 s[22:23], s[24:25], 2
	s_add_u32 s7, s18, s22
	s_addc_u32 s8, s19, s23
	v_lshlrev_b64 v[10:11], 2, v[10:11]
	v_mov_b32_e32 v7, s8
	v_add_co_u32_e32 v10, vcc, s7, v10
	v_addc_co_u32_e32 v11, vcc, v7, v11, vcc
	global_store_dword v[10:11], v6, off
.LBB280_24:
	s_or_b64 exec, exec, s[2:3]
	;;#ASMSTART
	v_rcp_f32 v6, v6
	;;#ASMEND
	s_and_saveexec_b64 s[2:3], s[0:1]
	s_cbranch_execz .LBB280_26
; %bb.25:
	s_load_dwordx2 s[0:1], s[4:5], 0x0
	s_waitcnt lgkmcnt(0)
	s_mul_i32 s8, s20, s6
	s_mul_hi_i32 s7, s20, s6
	v_mov_b32_e32 v7, v6
	;;#ASMSTART
	v_pk_mul_f32 v[2:3], v[2:3], v[6:7]
	;;#ASMEND
	s_add_u32 s20, s0, s8
	s_addc_u32 s0, s1, s7
	s_add_i32 s1, s11, 3
	s_ashr_i32 s7, s1, 31
	v_mov_b32_e32 v9, 0xc3e00000
	v_mov_b32_e32 v10, 0x43e00000
	;;#ASMSTART
	v_med3_f32 v2, v2, v9, v10
v_med3_f32 v3, v3, v9, v10
v_cvt_pk_fp8_f32 v11, v2, v3
	;;#ASMEND
	s_and_b32 s21, s0, 0xffff
	s_lshr_b32 s0, s7, 30
	;;#ASMSTART
	v_pk_mul_f32 v[2:3], v[4:5], v[6:7]
	;;#ASMEND
	s_add_i32 s1, s1, s0
	;;#ASMSTART
	v_med3_f32 v2, v2, v9, v10
v_med3_f32 v3, v3, v9, v10
v_cvt_pk_fp8_f32 v4, v2, v3
	;;#ASMEND
	s_mov_b32 s0, 0x5040100
	s_and_b32 s22, s1, -4
	s_mov_b32 s23, 0x20000
	v_perm_b32 v2, v4, v11, s0
	buffer_store_dword v2, v1, s[20:23], 0 offen
	;;#ASMSTART
	s_nop 0
	;;#ASMEND
.LBB280_26:
	s_or_b64 exec, exec, s[2:3]
	s_cmp_lt_i32 s12, 1
	s_cbranch_scc1 .LBB280_15
.LBB280_27:
	s_load_dword s0, s[4:5], 0x94
	s_waitcnt lgkmcnt(0)
	s_cmp_lg_u32 s0, 1
	s_cbranch_scc1 .LBB280_15
; %bb.28:
	s_lshl_b32 s0, s12, 1
	s_add_i32 s0, s0, 2
	v_cmp_gt_u32_e32 vcc, s12, v1
	s_and_b32 s18, s0, -4
	v_mov_b32_e32 v2, 0
	s_waitcnt vmcnt(0)
	v_lshlrev_b32_e32 v6, 3, v0
	v_mov_b32_e32 v3, 0
	v_mov_b32_e32 v0, 0
	;; [unrolled: 1-line block ×3, first 2 shown]
	s_barrier
	s_and_saveexec_b64 s[0:1], vcc
	s_cbranch_execz .LBB280_30
; %bb.29:
	s_mul_hi_i32 s3, s14, s6
	s_mul_i32 s2, s14, s6
	s_and_b32 s17, s17, 0xffff
	s_lshl_b64 s[2:3], s[2:3], 1
	s_add_u32 s20, s30, s2
	s_mov_b32 s19, 0x20000
	s_addc_u32 s2, s31, s3
	s_and_b32 s21, s2, 0xffff
	s_mov_b32 s22, s18
	s_mov_b32 s23, s19
	buffer_load_dwordx2 v[2:3], v6, s[20:23], 0 offen glc slc
	buffer_load_dwordx2 v[0:1], v6, s[16:19], 0 offen
.LBB280_30:
	s_or_b64 exec, exec, s[0:1]
	s_waitcnt vmcnt(1)
	v_cvt_f32_u32_sdwa v5, v3 dst_sel:DWORD dst_unused:UNUSED_PAD src0_sel:WORD_0
	v_cvt_f32_u32_sdwa v7, v2 dst_sel:DWORD dst_unused:UNUSED_PAD src0_sel:WORD_1
	v_cvt_f32_u32_sdwa v4, v3 dst_sel:DWORD dst_unused:UNUSED_PAD src0_sel:WORD_1
	v_cvt_f32_u32_sdwa v9, v2 dst_sel:DWORD dst_unused:UNUSED_PAD src0_sel:WORD_0
	v_cndmask_b32_e32 v2, 0, v5, vcc
	v_cndmask_b32_e32 v5, 0, v7, vcc
	;; [unrolled: 1-line block ×4, first 2 shown]
	v_mul_f32_e32 v7, v5, v5
	v_fmac_f32_e32 v7, v4, v4
	v_fmac_f32_e32 v7, v2, v2
	;; [unrolled: 1-line block ×3, first 2 shown]
	s_nop 1
	v_mov_b32_dpp v9, v7 quad_perm:[1,0,3,2] row_mask:0xf bank_mask:0xf
	v_add_f32_e32 v7, v7, v9
	s_nop 1
	v_mov_b32_dpp v9, v7 quad_perm:[2,3,0,1] row_mask:0xf bank_mask:0xf
	v_add_f32_e32 v7, v7, v9
	s_nop 1
	v_mov_b32_dpp v9, v7 row_half_mirror row_mask:0xf bank_mask:0xf
	v_add_f32_e32 v7, v7, v9
	s_nop 1
	v_mov_b32_dpp v9, v7 row_mirror row_mask:0xf bank_mask:0xf
	v_add_f32_e32 v7, v7, v9
	s_nop 1
	v_mov_b32_dpp v9, v7 row_bcast:15 row_mask:0xf bank_mask:0xf
	v_add_f32_e32 v7, v7, v9
	s_nop 1
	v_mov_b32_dpp v9, v7 row_bcast:31 row_mask:0xf bank_mask:0xf
	v_add_f32_e32 v7, v7, v9
	ds_bpermute_b32 v7, v8, v7
	s_and_saveexec_b64 s[0:1], vcc
	s_cbranch_execz .LBB280_15
; %bb.31:
	v_cvt_f32_u32_e32 v8, s12
	s_mov_b32 s19, 0x20000
	s_waitcnt lgkmcnt(0)
	v_div_scale_f32 v9, s[0:1], v8, v8, v7
	v_rcp_f32_e32 v10, v9
	v_div_scale_f32 v11, vcc, v7, v8, v7
	s_mov_b32 s0, 0x800000
	v_fma_f32 v12, -v9, v10, 1.0
	v_fmac_f32_e32 v10, v12, v10
	v_mul_f32_e32 v12, v11, v10
	v_fma_f32 v13, -v9, v12, v11
	v_fmac_f32_e32 v12, v13, v10
	v_fma_f32 v9, -v9, v12, v11
	v_div_fmas_f32 v9, v9, v10, v12
	v_div_fixup_f32 v7, v9, v8, v7
	v_add_f32_e32 v7, s9, v7
	v_mul_f32_e32 v8, 0x4b800000, v7
	v_cmp_gt_f32_e32 vcc, s0, v7
	v_cndmask_b32_e32 v7, v7, v8, vcc
	v_rsq_f32_e32 v7, v7
	s_mul_hi_i32 s1, s28, s6
	s_mul_i32 s0, s28, s6
	s_waitcnt vmcnt(0)
	v_cvt_f32_u32_sdwa v9, v0 dst_sel:DWORD dst_unused:UNUSED_PAD src0_sel:WORD_1
	v_cvt_f32_u32_sdwa v8, v0 dst_sel:DWORD dst_unused:UNUSED_PAD src0_sel:WORD_0
	v_mul_f32_e32 v0, 0x45800000, v7
	s_lshl_b64 s[0:1], s[0:1], 1
	v_cndmask_b32_e32 v12, v7, v0, vcc
	s_add_u32 s16, s34, s0
	v_cvt_f32_u32_sdwa v11, v1 dst_sel:DWORD dst_unused:UNUSED_PAD src0_sel:WORD_1
	v_mov_b32_e32 v13, v12
	v_cvt_f32_u32_sdwa v10, v1 dst_sel:DWORD dst_unused:UNUSED_PAD src0_sel:WORD_0
	;;#ASMSTART
	v_pk_mul_f32 v[0:1], v[4:5], v[12:13]
	;;#ASMEND
	s_addc_u32 s0, s35, s1
	;;#ASMSTART
	v_pk_mul_f32 v[2:3], v[2:3], v[12:13]
	;;#ASMEND
	;;#ASMSTART
	v_pk_mul_f32 v[0:1], v[0:1], v[8:9]
	;;#ASMEND
	s_and_b32 s17, s0, 0xffff
	s_mov_b32 s0, 0x7060302
	;;#ASMSTART
	v_pk_mul_f32 v[2:3], v[2:3], v[10:11]
	;;#ASMEND
	v_perm_b32 v0, v1, v0, s0
	v_perm_b32 v1, v3, v2, s0
	buffer_store_dwordx2 v[0:1], v6, s[16:19], 0 offen
	;;#ASMSTART
	s_nop 0
	;;#ASMEND
	s_endpgm
	.section	.rodata,"a",@progbits
	.p2align	6, 0x0
	.amdhsa_kernel _ZN5aiter35fused_qk_rmsnorm_group_quant_kernelItDB8_Li64ELi4ELi16ELb1ELb0ELb0ELb0ELb0ELb0EEEvPT0_PvPT_S6_S6_PKS5_S8_S8_S8_S8_ffiiiiiiiiiiiii
		.amdhsa_group_segment_fixed_size 0
		.amdhsa_private_segment_fixed_size 0
		.amdhsa_kernarg_size 400
		.amdhsa_user_sgpr_count 6
		.amdhsa_user_sgpr_private_segment_buffer 1
		.amdhsa_user_sgpr_dispatch_ptr 0
		.amdhsa_user_sgpr_queue_ptr 0
		.amdhsa_user_sgpr_kernarg_segment_ptr 1
		.amdhsa_user_sgpr_dispatch_id 0
		.amdhsa_user_sgpr_flat_scratch_init 0
		.amdhsa_user_sgpr_kernarg_preload_length 0
		.amdhsa_user_sgpr_kernarg_preload_offset 0
		.amdhsa_user_sgpr_private_segment_size 0
		.amdhsa_uses_dynamic_stack 0
		.amdhsa_system_sgpr_private_segment_wavefront_offset 0
		.amdhsa_system_sgpr_workgroup_id_x 1
		.amdhsa_system_sgpr_workgroup_id_y 1
		.amdhsa_system_sgpr_workgroup_id_z 0
		.amdhsa_system_sgpr_workgroup_info 0
		.amdhsa_system_vgpr_workitem_id 0
		.amdhsa_next_free_vgpr 16
		.amdhsa_next_free_sgpr 40
		.amdhsa_accum_offset 16
		.amdhsa_reserve_vcc 1
		.amdhsa_reserve_flat_scratch 0
		.amdhsa_float_round_mode_32 0
		.amdhsa_float_round_mode_16_64 0
		.amdhsa_float_denorm_mode_32 3
		.amdhsa_float_denorm_mode_16_64 3
		.amdhsa_dx10_clamp 1
		.amdhsa_ieee_mode 1
		.amdhsa_fp16_overflow 0
		.amdhsa_tg_split 0
		.amdhsa_exception_fp_ieee_invalid_op 0
		.amdhsa_exception_fp_denorm_src 0
		.amdhsa_exception_fp_ieee_div_zero 0
		.amdhsa_exception_fp_ieee_overflow 0
		.amdhsa_exception_fp_ieee_underflow 0
		.amdhsa_exception_fp_ieee_inexact 0
		.amdhsa_exception_int_div_zero 0
	.end_amdhsa_kernel
	.section	.text._ZN5aiter35fused_qk_rmsnorm_group_quant_kernelItDB8_Li64ELi4ELi16ELb1ELb0ELb0ELb0ELb0ELb0EEEvPT0_PvPT_S6_S6_PKS5_S8_S8_S8_S8_ffiiiiiiiiiiiii,"axG",@progbits,_ZN5aiter35fused_qk_rmsnorm_group_quant_kernelItDB8_Li64ELi4ELi16ELb1ELb0ELb0ELb0ELb0ELb0EEEvPT0_PvPT_S6_S6_PKS5_S8_S8_S8_S8_ffiiiiiiiiiiiii,comdat
.Lfunc_end280:
	.size	_ZN5aiter35fused_qk_rmsnorm_group_quant_kernelItDB8_Li64ELi4ELi16ELb1ELb0ELb0ELb0ELb0ELb0EEEvPT0_PvPT_S6_S6_PKS5_S8_S8_S8_S8_ffiiiiiiiiiiiii, .Lfunc_end280-_ZN5aiter35fused_qk_rmsnorm_group_quant_kernelItDB8_Li64ELi4ELi16ELb1ELb0ELb0ELb0ELb0ELb0EEEvPT0_PvPT_S6_S6_PKS5_S8_S8_S8_S8_ffiiiiiiiiiiiii
                                        ; -- End function
	.section	.AMDGPU.csdata,"",@progbits
; Kernel info:
; codeLenInByte = 2184
; NumSgprs: 44
; NumVgprs: 16
; NumAgprs: 0
; TotalNumVgprs: 16
; ScratchSize: 0
; MemoryBound: 0
; FloatMode: 240
; IeeeMode: 1
; LDSByteSize: 0 bytes/workgroup (compile time only)
; SGPRBlocks: 5
; VGPRBlocks: 1
; NumSGPRsForWavesPerEU: 44
; NumVGPRsForWavesPerEU: 16
; AccumOffset: 16
; Occupancy: 8
; WaveLimiterHint : 0
; COMPUTE_PGM_RSRC2:SCRATCH_EN: 0
; COMPUTE_PGM_RSRC2:USER_SGPR: 6
; COMPUTE_PGM_RSRC2:TRAP_HANDLER: 0
; COMPUTE_PGM_RSRC2:TGID_X_EN: 1
; COMPUTE_PGM_RSRC2:TGID_Y_EN: 1
; COMPUTE_PGM_RSRC2:TGID_Z_EN: 0
; COMPUTE_PGM_RSRC2:TIDIG_COMP_CNT: 0
; COMPUTE_PGM_RSRC3_GFX90A:ACCUM_OFFSET: 3
; COMPUTE_PGM_RSRC3_GFX90A:TG_SPLIT: 0
	.section	.text._ZN5aiter35fused_qk_rmsnorm_group_quant_kernelIDF16_DB8_Li64ELi4ELi16ELb0ELb1ELb1ELb0ELb0ELb0EEEvPT0_PvPT_S6_S6_PKS5_S8_S8_S8_S8_ffiiiiiiiiiiiii,"axG",@progbits,_ZN5aiter35fused_qk_rmsnorm_group_quant_kernelIDF16_DB8_Li64ELi4ELi16ELb0ELb1ELb1ELb0ELb0ELb0EEEvPT0_PvPT_S6_S6_PKS5_S8_S8_S8_S8_ffiiiiiiiiiiiii,comdat
	.protected	_ZN5aiter35fused_qk_rmsnorm_group_quant_kernelIDF16_DB8_Li64ELi4ELi16ELb0ELb1ELb1ELb0ELb0ELb0EEEvPT0_PvPT_S6_S6_PKS5_S8_S8_S8_S8_ffiiiiiiiiiiiii ; -- Begin function _ZN5aiter35fused_qk_rmsnorm_group_quant_kernelIDF16_DB8_Li64ELi4ELi16ELb0ELb1ELb1ELb0ELb0ELb0EEEvPT0_PvPT_S6_S6_PKS5_S8_S8_S8_S8_ffiiiiiiiiiiiii
	.globl	_ZN5aiter35fused_qk_rmsnorm_group_quant_kernelIDF16_DB8_Li64ELi4ELi16ELb0ELb1ELb1ELb0ELb0ELb0EEEvPT0_PvPT_S6_S6_PKS5_S8_S8_S8_S8_ffiiiiiiiiiiiii
	.p2align	8
	.type	_ZN5aiter35fused_qk_rmsnorm_group_quant_kernelIDF16_DB8_Li64ELi4ELi16ELb0ELb1ELb1ELb0ELb0ELb0EEEvPT0_PvPT_S6_S6_PKS5_S8_S8_S8_S8_ffiiiiiiiiiiiii,@function
_ZN5aiter35fused_qk_rmsnorm_group_quant_kernelIDF16_DB8_Li64ELi4ELi16ELb0ELb1ELb1ELb0ELb0ELb0EEEvPT0_PvPT_S6_S6_PKS5_S8_S8_S8_S8_ffiiiiiiiiiiiii: ; @_ZN5aiter35fused_qk_rmsnorm_group_quant_kernelIDF16_DB8_Li64ELi4ELi16ELb0ELb1ELb1ELb0ELb0ELb0EEEvPT0_PvPT_S6_S6_PKS5_S8_S8_S8_S8_ffiiiiiiiiiiiii
; %bb.0:
	s_load_dwordx4 s[12:15], s[4:5], 0x50
	s_waitcnt lgkmcnt(0)
	s_cmp_ge_i32 s6, s14
	s_cbranch_scc1 .LBB281_8
; %bb.1:
	s_load_dwordx2 s[8:9], s[4:5], 0x48
	s_load_dwordx2 s[30:31], s[4:5], 0x30
	s_load_dwordx4 s[16:19], s[4:5], 0x60
	s_cmp_lg_u32 s7, 0
	s_cselect_b64 s[2:3], -1, 0
	s_cmp_eq_u32 s7, 0
	s_cselect_b64 vcc, -1, 0
	s_and_b64 s[0:1], vcc, exec
	s_waitcnt lgkmcnt(0)
	s_cselect_b32 s7, s15, s16
	s_add_i32 s0, s7, 1
	s_lshr_b32 s1, s0, 31
	s_add_i32 s0, s0, s1
	s_lshl_b32 s0, s0, 1
	v_lshlrev_b32_e32 v1, 2, v0
	s_and_b32 s22, s0, -4
	v_cmp_gt_i32_e64 s[0:1], s7, v1
	v_mov_b32_e32 v6, 0
	v_mov_b32_e32 v7, 0
	;; [unrolled: 1-line block ×4, first 2 shown]
	s_and_saveexec_b64 s[10:11], s[0:1]
	s_cbranch_execz .LBB281_3
; %bb.2:
	s_load_dwordx2 s[20:21], s[4:5], 0x28
	s_load_dwordx2 s[26:27], s[4:5], 0x40
	s_and_b64 s[24:25], vcc, exec
	s_cselect_b32 s14, s17, s18
	s_mov_b32 s23, 0x20000
	s_waitcnt lgkmcnt(0)
	s_cselect_b32 s17, s21, s31
	s_cselect_b32 s19, s20, s30
	s_mul_hi_i32 s21, s14, s6
	s_mul_i32 s20, s14, s6
	s_lshl_b64 s[20:21], s[20:21], 1
	s_add_u32 s24, s19, s20
	s_addc_u32 s14, s17, s21
	s_and_b64 s[20:21], vcc, exec
	s_cselect_b32 s20, s26, s8
	s_cselect_b32 s17, s27, s9
	v_lshlrev_b32_e32 v4, 3, v0
	s_and_b32 s25, s14, 0xffff
	s_mov_b32 s26, s22
	s_mov_b32 s27, s23
	s_and_b32 s21, s17, 0xffff
	buffer_load_dwordx2 v[2:3], v4, s[24:27], 0 offen glc slc
	buffer_load_dwordx2 v[6:7], v4, s[20:23], 0 offen
.LBB281_3:
	s_or_b64 exec, exec, s[10:11]
	s_waitcnt vmcnt(1)
	v_cvt_f32_f16_e32 v4, v3
	v_cvt_f32_f16_e32 v5, v2
	v_cvt_f32_f16_sdwa v8, v2 dst_sel:DWORD dst_unused:UNUSED_PAD src0_sel:WORD_1
	v_cvt_f32_f16_sdwa v3, v3 dst_sel:DWORD dst_unused:UNUSED_PAD src0_sel:WORD_1
	v_cndmask_b32_e64 v2, 0, v4, s[0:1]
	v_cndmask_b32_e64 v4, 0, v5, s[0:1]
	;; [unrolled: 1-line block ×3, first 2 shown]
	v_mul_f32_e32 v8, v5, v5
	v_fmac_f32_e32 v8, v4, v4
	v_cndmask_b32_e64 v3, 0, v3, s[0:1]
	v_fmac_f32_e32 v8, v2, v2
	v_fmac_f32_e32 v8, v3, v3
	v_bfrev_b32_e32 v10, 0.5
	s_load_dwordx2 s[28:29], s[4:5], 0x18
	v_mov_b32_dpp v9, v8 quad_perm:[1,0,3,2] row_mask:0xf bank_mask:0xf
	v_add_f32_e32 v8, v8, v9
	s_nop 1
	v_mov_b32_dpp v9, v8 quad_perm:[2,3,0,1] row_mask:0xf bank_mask:0xf
	v_add_f32_e32 v8, v8, v9
	s_nop 1
	v_mov_b32_dpp v9, v8 row_half_mirror row_mask:0xf bank_mask:0xf
	v_add_f32_e32 v8, v8, v9
	s_nop 1
	v_mov_b32_dpp v9, v8 row_mirror row_mask:0xf bank_mask:0xf
	v_add_f32_e32 v8, v8, v9
	s_nop 1
	v_mov_b32_dpp v9, v8 row_bcast:15 row_mask:0xf bank_mask:0xf
	v_add_f32_e32 v8, v8, v9
	s_nop 1
	v_mov_b32_dpp v9, v8 row_bcast:31 row_mask:0xf bank_mask:0xf
	v_add_f32_e32 v9, v8, v9
	v_mbcnt_lo_u32_b32 v8, -1, 0
	v_mbcnt_hi_u32_b32 v8, -1, v8
	v_lshl_or_b32 v8, v8, 2, v10
	ds_bpermute_b32 v9, v8, v9
	s_and_saveexec_b64 s[10:11], s[0:1]
	s_cbranch_execz .LBB281_5
; %bb.4:
	v_cvt_f32_u32_e32 v10, s7
	v_mov_b32_e32 v11, s13
	v_mov_b32_e32 v12, s12
	v_cndmask_b32_e32 v11, v11, v12, vcc
	s_waitcnt lgkmcnt(0)
	v_div_scale_f32 v13, s[20:21], v10, v10, v9
	v_rcp_f32_e32 v14, v13
	v_div_scale_f32 v12, vcc, v9, v10, v9
	s_mov_b32 s7, 0x800000
	v_fma_f32 v15, -v13, v14, 1.0
	v_fmac_f32_e32 v14, v15, v14
	v_mul_f32_e32 v15, v12, v14
	v_fma_f32 v16, -v13, v15, v12
	v_fmac_f32_e32 v15, v16, v14
	v_fma_f32 v12, -v13, v15, v12
	v_div_fmas_f32 v12, v12, v14, v15
	v_div_fixup_f32 v9, v12, v10, v9
	v_add_f32_e32 v9, v11, v9
	v_mul_f32_e32 v10, 0x4b800000, v9
	v_cmp_gt_f32_e32 vcc, s7, v9
	v_cndmask_b32_e32 v9, v9, v10, vcc
	v_rsq_f32_e32 v9, v9
	s_waitcnt vmcnt(0)
	v_cvt_f32_f16_sdwa v13, v6 dst_sel:DWORD dst_unused:UNUSED_PAD src0_sel:WORD_1
	v_cvt_f32_f16_e32 v12, v6
	v_cvt_f32_f16_sdwa v15, v7 dst_sel:DWORD dst_unused:UNUSED_PAD src0_sel:WORD_1
	v_cvt_f32_f16_e32 v14, v7
	v_mul_f32_e32 v10, 0x45800000, v9
	v_cndmask_b32_e32 v10, v9, v10, vcc
	v_mov_b32_e32 v11, v10
	;;#ASMSTART
	v_pk_mul_f32 v[4:5], v[4:5], v[10:11]
	;;#ASMEND
	;;#ASMSTART
	v_pk_mul_f32 v[2:3], v[2:3], v[10:11]
	;;#ASMEND
	v_pk_add_f32 v[6:7], v[12:13], 1.0 op_sel_hi:[1,0]
	;;#ASMSTART
	v_pk_mul_f32 v[4:5], v[4:5], v[6:7]
	;;#ASMEND
	v_pk_add_f32 v[6:7], v[14:15], 1.0 op_sel_hi:[1,0]
	;;#ASMSTART
	v_pk_mul_f32 v[2:3], v[2:3], v[6:7]
	;;#ASMEND
.LBB281_5:
	s_or_b64 exec, exec, s[10:11]
	s_load_dword s7, s[4:5], 0x80
	s_mov_b64 s[10:11], -1
	s_and_b64 vcc, exec, s[2:3]
	s_cbranch_vccnz .LBB281_9
; %bb.6:
	s_andn2_b64 vcc, exec, s[10:11]
	s_cbranch_vccz .LBB281_12
.LBB281_7:
	s_cmp_lt_i32 s16, 1
	s_cbranch_scc0 .LBB281_21
.LBB281_8:
	s_endpgm
.LBB281_9:
	s_and_saveexec_b64 s[2:3], s[0:1]
	s_cbranch_execz .LBB281_11
; %bb.10:
	s_waitcnt lgkmcnt(0)
	s_mul_hi_i32 s11, s7, s6
	s_mul_i32 s10, s7, s6
	s_waitcnt vmcnt(0)
	v_cvt_f16_f32_e32 v6, v4
	v_cvt_f16_f32_e32 v7, v2
	;; [unrolled: 1-line block ×4, first 2 shown]
	s_lshl_b64 s[10:11], s[10:11], 1
	s_add_u32 s20, s28, s10
	s_addc_u32 s10, s29, s11
	s_and_b32 s21, s10, 0xffff
	s_mov_b32 s23, 0x20000
	v_pack_b32_f16 v7, v7, v9
	v_pack_b32_f16 v6, v6, v10
	v_lshlrev_b32_e32 v9, 3, v0
	buffer_store_dwordx2 v[6:7], v9, s[20:23], 0 offen
	;;#ASMSTART
	s_nop 0
	;;#ASMEND
.LBB281_11:
	s_or_b64 exec, exec, s[2:3]
	s_cbranch_execnz .LBB281_7
.LBB281_12:
	s_load_dwordx4 s[24:27], s[4:5], 0x70
	s_waitcnt vmcnt(0)
	v_mov_b32_e32 v6, 0
	s_and_saveexec_b64 s[2:3], s[0:1]
	s_cbranch_execz .LBB281_14
; %bb.13:
	s_load_dwordx2 s[10:11], s[4:5], 0x10
	s_waitcnt lgkmcnt(0)
	s_mul_hi_i32 s21, s27, s6
	s_mul_i32 s20, s27, s6
	v_cvt_f16_f32_e32 v6, v4
	v_cvt_f16_f32_e32 v7, v2
	;; [unrolled: 1-line block ×4, first 2 shown]
	s_lshl_b64 s[20:21], s[20:21], 1
	s_add_u32 s20, s10, s20
	s_addc_u32 s10, s11, s21
	s_and_b32 s21, s10, 0xffff
	s_mov_b32 s23, 0x20000
	v_pack_b32_f16 v7, v7, v9
	v_pack_b32_f16 v6, v6, v10
	v_lshlrev_b32_e32 v9, 3, v0
	buffer_store_dwordx2 v[6:7], v9, s[20:23], 0 offen
	v_mov_b32_e32 v6, 0x2edbe6ff
	;;#ASMSTART
	s_nop 0
	;;#ASMEND
.LBB281_14:
	s_or_b64 exec, exec, s[2:3]
	s_and_saveexec_b64 s[2:3], s[0:1]
	s_cbranch_execz .LBB281_16
; %bb.15:
	v_and_b32_e32 v7, 0x7fffffff, v4
	s_waitcnt lgkmcnt(0)
	v_and_b32_e32 v9, 0x7fffffff, v5
	;;#ASMSTART
	v_max3_f32 v6, v6, v7, v9

	;;#ASMEND
	v_and_b32_e32 v7, 0x7fffffff, v2
	v_and_b32_e32 v9, 0x7fffffff, v3
	;;#ASMSTART
	v_max3_f32 v6, v6, v7, v9

	;;#ASMEND
.LBB281_16:
	s_or_b64 exec, exec, s[2:3]
	;;#ASMSTART
	v_max_f32 v7, v6, v6 quad_perm:[1,0,3,2] row_mask:0xf bank_mask:0xf bound_ctrl:1
	;;#ASMEND
	;;#ASMSTART
	v_max_f32 v6, v7, v7 quad_perm:[2,3,0,1] row_mask:0xf bank_mask:0xf bound_ctrl:1
	;;#ASMEND
	;;#ASMSTART
	v_max_f32 v7, v6, v6 row_half_mirror row_mask:0xf bank_mask:0xf bound_ctrl:1
	;;#ASMEND
	;;#ASMSTART
	v_max_f32 v6, v7, v7 row_mirror row_mask:0xf bank_mask:0xf bound_ctrl:1
	;;#ASMEND
	v_and_b32_e32 v7, 15, v0
	v_cmp_eq_u32_e32 vcc, 0, v7
	v_cmp_gt_i32_e64 s[2:3], s15, v1
	v_mul_f32_e32 v6, 0x3b124925, v6
	s_and_b64 s[10:11], vcc, s[2:3]
	s_and_saveexec_b64 s[2:3], s[10:11]
	s_cbranch_execz .LBB281_18
; %bb.17:
	s_load_dwordx2 s[10:11], s[4:5], 0x8
	s_waitcnt lgkmcnt(0)
	s_mul_hi_i32 s21, s25, s6
	s_mul_i32 s20, s25, s6
	v_lshrrev_b32_e32 v7, 4, v0
	s_lshl_b64 s[20:21], s[20:21], 2
	v_mad_i64_i32 v[10:11], s[22:23], s26, v7, 0
	s_add_u32 s10, s10, s20
	s_addc_u32 s11, s11, s21
	v_lshlrev_b64 v[10:11], 2, v[10:11]
	v_mov_b32_e32 v7, s11
	v_add_co_u32_e32 v10, vcc, s10, v10
	v_addc_co_u32_e32 v11, vcc, v7, v11, vcc
	global_store_dword v[10:11], v6, off
.LBB281_18:
	s_or_b64 exec, exec, s[2:3]
	;;#ASMSTART
	v_rcp_f32 v6, v6
	;;#ASMEND
	s_and_saveexec_b64 s[2:3], s[0:1]
	s_cbranch_execz .LBB281_20
; %bb.19:
	s_load_dwordx2 s[0:1], s[4:5], 0x0
	s_waitcnt lgkmcnt(0)
	s_mul_i32 s11, s24, s6
	s_mul_hi_i32 s10, s24, s6
	v_mov_b32_e32 v7, v6
	;;#ASMSTART
	v_pk_mul_f32 v[4:5], v[4:5], v[6:7]
	;;#ASMEND
	s_add_u32 s20, s0, s11
	s_addc_u32 s0, s1, s10
	s_add_i32 s1, s15, 3
	s_ashr_i32 s10, s1, 31
	s_and_b32 s21, s0, 0xffff
	s_lshr_b32 s0, s10, 30
	v_mov_b32_e32 v9, 0xc3e00000
	v_mov_b32_e32 v10, 0x43e00000
	;;#ASMSTART
	v_med3_f32 v4, v4, v9, v10
v_med3_f32 v5, v5, v9, v10
v_cvt_pk_fp8_f32 v11, v4, v5
	;;#ASMEND
	;;#ASMSTART
	v_pk_mul_f32 v[2:3], v[2:3], v[6:7]
	;;#ASMEND
	s_add_i32 s1, s1, s0
	;;#ASMSTART
	v_med3_f32 v2, v2, v9, v10
v_med3_f32 v3, v3, v9, v10
v_cvt_pk_fp8_f32 v4, v2, v3
	;;#ASMEND
	s_mov_b32 s0, 0x5040100
	s_and_b32 s22, s1, -4
	s_mov_b32 s23, 0x20000
	v_perm_b32 v2, v4, v11, s0
	buffer_store_dword v2, v1, s[20:23], 0 offen
	;;#ASMSTART
	s_nop 0
	;;#ASMEND
.LBB281_20:
	s_or_b64 exec, exec, s[2:3]
	s_cmp_lt_i32 s16, 1
	s_cbranch_scc1 .LBB281_8
.LBB281_21:
	s_load_dword s0, s[4:5], 0x94
	s_waitcnt lgkmcnt(0)
	s_cmp_lg_u32 s0, 1
	s_cbranch_scc1 .LBB281_8
; %bb.22:
	s_lshl_b32 s0, s16, 1
	s_add_i32 s0, s0, 2
	v_cmp_gt_u32_e32 vcc, s16, v1
	s_and_b32 s10, s0, -4
	v_mov_b32_e32 v2, 0
	s_waitcnt vmcnt(0)
	v_lshlrev_b32_e32 v6, 3, v0
	v_mov_b32_e32 v3, 0
	v_mov_b32_e32 v0, 0
	;; [unrolled: 1-line block ×3, first 2 shown]
	s_barrier
	s_and_saveexec_b64 s[0:1], vcc
	s_cbranch_execz .LBB281_24
; %bb.23:
	s_mul_hi_i32 s3, s18, s6
	s_mul_i32 s2, s18, s6
	s_and_b32 s9, s9, 0xffff
	s_lshl_b64 s[2:3], s[2:3], 1
	s_add_u32 s20, s30, s2
	s_mov_b32 s11, 0x20000
	s_addc_u32 s2, s31, s3
	s_and_b32 s21, s2, 0xffff
	s_mov_b32 s22, s10
	s_mov_b32 s23, s11
	buffer_load_dwordx2 v[2:3], v6, s[20:23], 0 offen glc slc
	buffer_load_dwordx2 v[0:1], v6, s[8:11], 0 offen
.LBB281_24:
	s_or_b64 exec, exec, s[0:1]
	s_waitcnt vmcnt(1)
	v_cvt_f32_f16_e32 v4, v3
	v_cvt_f32_f16_e32 v5, v2
	v_cvt_f32_f16_sdwa v7, v2 dst_sel:DWORD dst_unused:UNUSED_PAD src0_sel:WORD_1
	v_cvt_f32_f16_sdwa v3, v3 dst_sel:DWORD dst_unused:UNUSED_PAD src0_sel:WORD_1
	v_cndmask_b32_e32 v2, 0, v4, vcc
	v_cndmask_b32_e32 v4, 0, v5, vcc
	v_cndmask_b32_e32 v5, 0, v7, vcc
	v_mul_f32_e32 v7, v5, v5
	v_fmac_f32_e32 v7, v4, v4
	v_cndmask_b32_e32 v3, 0, v3, vcc
	v_fmac_f32_e32 v7, v2, v2
	v_fmac_f32_e32 v7, v3, v3
	s_nop 1
	v_mov_b32_dpp v9, v7 quad_perm:[1,0,3,2] row_mask:0xf bank_mask:0xf
	v_add_f32_e32 v7, v7, v9
	s_nop 1
	v_mov_b32_dpp v9, v7 quad_perm:[2,3,0,1] row_mask:0xf bank_mask:0xf
	v_add_f32_e32 v7, v7, v9
	s_nop 1
	v_mov_b32_dpp v9, v7 row_half_mirror row_mask:0xf bank_mask:0xf
	v_add_f32_e32 v7, v7, v9
	s_nop 1
	v_mov_b32_dpp v9, v7 row_mirror row_mask:0xf bank_mask:0xf
	v_add_f32_e32 v7, v7, v9
	s_nop 1
	v_mov_b32_dpp v9, v7 row_bcast:15 row_mask:0xf bank_mask:0xf
	v_add_f32_e32 v7, v7, v9
	s_nop 1
	v_mov_b32_dpp v9, v7 row_bcast:31 row_mask:0xf bank_mask:0xf
	v_add_f32_e32 v7, v7, v9
	ds_bpermute_b32 v7, v8, v7
	s_and_saveexec_b64 s[0:1], vcc
	s_cbranch_execz .LBB281_8
; %bb.25:
	v_cvt_f32_u32_e32 v8, s16
	s_mov_b32 s11, 0x20000
	s_waitcnt lgkmcnt(0)
	v_div_scale_f32 v9, s[0:1], v8, v8, v7
	v_rcp_f32_e32 v10, v9
	v_div_scale_f32 v11, vcc, v7, v8, v7
	s_mov_b32 s0, 0x800000
	v_fma_f32 v12, -v9, v10, 1.0
	v_fmac_f32_e32 v10, v12, v10
	v_mul_f32_e32 v12, v11, v10
	v_fma_f32 v13, -v9, v12, v11
	v_fmac_f32_e32 v12, v13, v10
	v_fma_f32 v9, -v9, v12, v11
	v_div_fmas_f32 v9, v9, v10, v12
	v_div_fixup_f32 v7, v9, v8, v7
	v_add_f32_e32 v7, s13, v7
	v_mul_f32_e32 v8, 0x4b800000, v7
	v_cmp_gt_f32_e32 vcc, s0, v7
	v_cndmask_b32_e32 v7, v7, v8, vcc
	v_rsq_f32_e32 v7, v7
	s_waitcnt vmcnt(0)
	v_cvt_f32_f16_sdwa v9, v0 dst_sel:DWORD dst_unused:UNUSED_PAD src0_sel:WORD_1
	v_cvt_f32_f16_e32 v8, v0
	v_cvt_f32_f16_sdwa v11, v1 dst_sel:DWORD dst_unused:UNUSED_PAD src0_sel:WORD_1
	v_cvt_f32_f16_e32 v10, v1
	v_mul_f32_e32 v0, 0x45800000, v7
	v_cndmask_b32_e32 v12, v7, v0, vcc
	v_mov_b32_e32 v13, v12
	;;#ASMSTART
	v_pk_mul_f32 v[4:5], v[4:5], v[12:13]
	;;#ASMEND
	;;#ASMSTART
	v_pk_mul_f32 v[0:1], v[2:3], v[12:13]
	;;#ASMEND
	v_pk_add_f32 v[2:3], v[8:9], 1.0 op_sel_hi:[1,0]
	;;#ASMSTART
	v_pk_mul_f32 v[2:3], v[4:5], v[2:3]
	;;#ASMEND
	v_pk_add_f32 v[4:5], v[10:11], 1.0 op_sel_hi:[1,0]
	;;#ASMSTART
	v_pk_mul_f32 v[0:1], v[0:1], v[4:5]
	;;#ASMEND
	s_mul_hi_i32 s1, s7, s6
	s_mul_i32 s0, s7, s6
	v_cvt_f16_f32_e32 v2, v2
	v_cvt_f16_f32_e32 v3, v3
	;; [unrolled: 1-line block ×4, first 2 shown]
	s_lshl_b64 s[0:1], s[0:1], 1
	s_add_u32 s8, s28, s0
	s_addc_u32 s0, s29, s1
	s_and_b32 s9, s0, 0xffff
	v_pack_b32_f16 v0, v2, v3
	v_pack_b32_f16 v1, v4, v1
	buffer_store_dwordx2 v[0:1], v6, s[8:11], 0 offen
	;;#ASMSTART
	s_nop 0
	;;#ASMEND
	s_endpgm
	.section	.rodata,"a",@progbits
	.p2align	6, 0x0
	.amdhsa_kernel _ZN5aiter35fused_qk_rmsnorm_group_quant_kernelIDF16_DB8_Li64ELi4ELi16ELb0ELb1ELb1ELb0ELb0ELb0EEEvPT0_PvPT_S6_S6_PKS5_S8_S8_S8_S8_ffiiiiiiiiiiiii
		.amdhsa_group_segment_fixed_size 0
		.amdhsa_private_segment_fixed_size 0
		.amdhsa_kernarg_size 400
		.amdhsa_user_sgpr_count 6
		.amdhsa_user_sgpr_private_segment_buffer 1
		.amdhsa_user_sgpr_dispatch_ptr 0
		.amdhsa_user_sgpr_queue_ptr 0
		.amdhsa_user_sgpr_kernarg_segment_ptr 1
		.amdhsa_user_sgpr_dispatch_id 0
		.amdhsa_user_sgpr_flat_scratch_init 0
		.amdhsa_user_sgpr_kernarg_preload_length 0
		.amdhsa_user_sgpr_kernarg_preload_offset 0
		.amdhsa_user_sgpr_private_segment_size 0
		.amdhsa_uses_dynamic_stack 0
		.amdhsa_system_sgpr_private_segment_wavefront_offset 0
		.amdhsa_system_sgpr_workgroup_id_x 1
		.amdhsa_system_sgpr_workgroup_id_y 1
		.amdhsa_system_sgpr_workgroup_id_z 0
		.amdhsa_system_sgpr_workgroup_info 0
		.amdhsa_system_vgpr_workitem_id 0
		.amdhsa_next_free_vgpr 17
		.amdhsa_next_free_sgpr 32
		.amdhsa_accum_offset 20
		.amdhsa_reserve_vcc 1
		.amdhsa_reserve_flat_scratch 0
		.amdhsa_float_round_mode_32 0
		.amdhsa_float_round_mode_16_64 0
		.amdhsa_float_denorm_mode_32 3
		.amdhsa_float_denorm_mode_16_64 3
		.amdhsa_dx10_clamp 1
		.amdhsa_ieee_mode 1
		.amdhsa_fp16_overflow 0
		.amdhsa_tg_split 0
		.amdhsa_exception_fp_ieee_invalid_op 0
		.amdhsa_exception_fp_denorm_src 0
		.amdhsa_exception_fp_ieee_div_zero 0
		.amdhsa_exception_fp_ieee_overflow 0
		.amdhsa_exception_fp_ieee_underflow 0
		.amdhsa_exception_fp_ieee_inexact 0
		.amdhsa_exception_int_div_zero 0
	.end_amdhsa_kernel
	.section	.text._ZN5aiter35fused_qk_rmsnorm_group_quant_kernelIDF16_DB8_Li64ELi4ELi16ELb0ELb1ELb1ELb0ELb0ELb0EEEvPT0_PvPT_S6_S6_PKS5_S8_S8_S8_S8_ffiiiiiiiiiiiii,"axG",@progbits,_ZN5aiter35fused_qk_rmsnorm_group_quant_kernelIDF16_DB8_Li64ELi4ELi16ELb0ELb1ELb1ELb0ELb0ELb0EEEvPT0_PvPT_S6_S6_PKS5_S8_S8_S8_S8_ffiiiiiiiiiiiii,comdat
.Lfunc_end281:
	.size	_ZN5aiter35fused_qk_rmsnorm_group_quant_kernelIDF16_DB8_Li64ELi4ELi16ELb0ELb1ELb1ELb0ELb0ELb0EEEvPT0_PvPT_S6_S6_PKS5_S8_S8_S8_S8_ffiiiiiiiiiiiii, .Lfunc_end281-_ZN5aiter35fused_qk_rmsnorm_group_quant_kernelIDF16_DB8_Li64ELi4ELi16ELb0ELb1ELb1ELb0ELb0ELb0EEEvPT0_PvPT_S6_S6_PKS5_S8_S8_S8_S8_ffiiiiiiiiiiiii
                                        ; -- End function
	.section	.AMDGPU.csdata,"",@progbits
; Kernel info:
; codeLenInByte = 2004
; NumSgprs: 36
; NumVgprs: 17
; NumAgprs: 0
; TotalNumVgprs: 17
; ScratchSize: 0
; MemoryBound: 0
; FloatMode: 240
; IeeeMode: 1
; LDSByteSize: 0 bytes/workgroup (compile time only)
; SGPRBlocks: 4
; VGPRBlocks: 2
; NumSGPRsForWavesPerEU: 36
; NumVGPRsForWavesPerEU: 17
; AccumOffset: 20
; Occupancy: 8
; WaveLimiterHint : 0
; COMPUTE_PGM_RSRC2:SCRATCH_EN: 0
; COMPUTE_PGM_RSRC2:USER_SGPR: 6
; COMPUTE_PGM_RSRC2:TRAP_HANDLER: 0
; COMPUTE_PGM_RSRC2:TGID_X_EN: 1
; COMPUTE_PGM_RSRC2:TGID_Y_EN: 1
; COMPUTE_PGM_RSRC2:TGID_Z_EN: 0
; COMPUTE_PGM_RSRC2:TIDIG_COMP_CNT: 0
; COMPUTE_PGM_RSRC3_GFX90A:ACCUM_OFFSET: 4
; COMPUTE_PGM_RSRC3_GFX90A:TG_SPLIT: 0
	.section	.text._ZN5aiter35fused_qk_rmsnorm_group_quant_kernelItDB8_Li64ELi4ELi16ELb0ELb1ELb1ELb0ELb0ELb0EEEvPT0_PvPT_S6_S6_PKS5_S8_S8_S8_S8_ffiiiiiiiiiiiii,"axG",@progbits,_ZN5aiter35fused_qk_rmsnorm_group_quant_kernelItDB8_Li64ELi4ELi16ELb0ELb1ELb1ELb0ELb0ELb0EEEvPT0_PvPT_S6_S6_PKS5_S8_S8_S8_S8_ffiiiiiiiiiiiii,comdat
	.protected	_ZN5aiter35fused_qk_rmsnorm_group_quant_kernelItDB8_Li64ELi4ELi16ELb0ELb1ELb1ELb0ELb0ELb0EEEvPT0_PvPT_S6_S6_PKS5_S8_S8_S8_S8_ffiiiiiiiiiiiii ; -- Begin function _ZN5aiter35fused_qk_rmsnorm_group_quant_kernelItDB8_Li64ELi4ELi16ELb0ELb1ELb1ELb0ELb0ELb0EEEvPT0_PvPT_S6_S6_PKS5_S8_S8_S8_S8_ffiiiiiiiiiiiii
	.globl	_ZN5aiter35fused_qk_rmsnorm_group_quant_kernelItDB8_Li64ELi4ELi16ELb0ELb1ELb1ELb0ELb0ELb0EEEvPT0_PvPT_S6_S6_PKS5_S8_S8_S8_S8_ffiiiiiiiiiiiii
	.p2align	8
	.type	_ZN5aiter35fused_qk_rmsnorm_group_quant_kernelItDB8_Li64ELi4ELi16ELb0ELb1ELb1ELb0ELb0ELb0EEEvPT0_PvPT_S6_S6_PKS5_S8_S8_S8_S8_ffiiiiiiiiiiiii,@function
_ZN5aiter35fused_qk_rmsnorm_group_quant_kernelItDB8_Li64ELi4ELi16ELb0ELb1ELb1ELb0ELb0ELb0EEEvPT0_PvPT_S6_S6_PKS5_S8_S8_S8_S8_ffiiiiiiiiiiiii: ; @_ZN5aiter35fused_qk_rmsnorm_group_quant_kernelItDB8_Li64ELi4ELi16ELb0ELb1ELb1ELb0ELb0ELb0EEEvPT0_PvPT_S6_S6_PKS5_S8_S8_S8_S8_ffiiiiiiiiiiiii
; %bb.0:
	s_load_dwordx4 s[12:15], s[4:5], 0x50
	s_waitcnt lgkmcnt(0)
	s_cmp_ge_i32 s6, s14
	s_cbranch_scc1 .LBB282_8
; %bb.1:
	s_load_dwordx2 s[8:9], s[4:5], 0x48
	s_load_dwordx2 s[30:31], s[4:5], 0x30
	s_load_dwordx4 s[16:19], s[4:5], 0x60
	s_cmp_lg_u32 s7, 0
	s_cselect_b64 s[2:3], -1, 0
	s_cmp_eq_u32 s7, 0
	s_cselect_b64 vcc, -1, 0
	s_and_b64 s[0:1], vcc, exec
	s_waitcnt lgkmcnt(0)
	s_cselect_b32 s7, s15, s16
	s_add_i32 s0, s7, 1
	s_lshr_b32 s1, s0, 31
	s_add_i32 s0, s0, s1
	s_lshl_b32 s0, s0, 1
	v_lshlrev_b32_e32 v1, 2, v0
	s_and_b32 s22, s0, -4
	v_cmp_gt_i32_e64 s[0:1], s7, v1
	v_mov_b32_e32 v6, 0
	v_mov_b32_e32 v7, 0
	;; [unrolled: 1-line block ×4, first 2 shown]
	s_and_saveexec_b64 s[10:11], s[0:1]
	s_cbranch_execz .LBB282_3
; %bb.2:
	s_load_dwordx2 s[20:21], s[4:5], 0x28
	s_load_dwordx2 s[26:27], s[4:5], 0x40
	s_and_b64 s[24:25], vcc, exec
	s_cselect_b32 s14, s17, s18
	s_mov_b32 s23, 0x20000
	s_waitcnt lgkmcnt(0)
	s_cselect_b32 s17, s21, s31
	s_cselect_b32 s19, s20, s30
	s_mul_hi_i32 s21, s14, s6
	s_mul_i32 s20, s14, s6
	s_lshl_b64 s[20:21], s[20:21], 1
	s_add_u32 s24, s19, s20
	s_addc_u32 s14, s17, s21
	s_and_b64 s[20:21], vcc, exec
	s_cselect_b32 s20, s26, s8
	s_cselect_b32 s17, s27, s9
	v_lshlrev_b32_e32 v4, 3, v0
	s_and_b32 s25, s14, 0xffff
	s_mov_b32 s26, s22
	s_mov_b32 s27, s23
	s_and_b32 s21, s17, 0xffff
	buffer_load_dwordx2 v[2:3], v4, s[24:27], 0 offen glc slc
	buffer_load_dwordx2 v[6:7], v4, s[20:23], 0 offen
.LBB282_3:
	s_or_b64 exec, exec, s[10:11]
	s_waitcnt vmcnt(1)
	v_cvt_f32_u32_sdwa v5, v3 dst_sel:DWORD dst_unused:UNUSED_PAD src0_sel:WORD_0
	v_cvt_f32_u32_sdwa v8, v2 dst_sel:DWORD dst_unused:UNUSED_PAD src0_sel:WORD_1
	v_cvt_f32_u32_sdwa v4, v3 dst_sel:DWORD dst_unused:UNUSED_PAD src0_sel:WORD_1
	v_cvt_f32_u32_sdwa v9, v2 dst_sel:DWORD dst_unused:UNUSED_PAD src0_sel:WORD_0
	v_cndmask_b32_e64 v2, 0, v5, s[0:1]
	v_cndmask_b32_e64 v5, 0, v8, s[0:1]
	;; [unrolled: 1-line block ×4, first 2 shown]
	v_mul_f32_e32 v8, v5, v5
	v_fmac_f32_e32 v8, v4, v4
	v_fmac_f32_e32 v8, v2, v2
	;; [unrolled: 1-line block ×3, first 2 shown]
	v_bfrev_b32_e32 v10, 0.5
	s_load_dwordx2 s[28:29], s[4:5], 0x18
	v_mov_b32_dpp v9, v8 quad_perm:[1,0,3,2] row_mask:0xf bank_mask:0xf
	v_add_f32_e32 v8, v8, v9
	s_nop 1
	v_mov_b32_dpp v9, v8 quad_perm:[2,3,0,1] row_mask:0xf bank_mask:0xf
	v_add_f32_e32 v8, v8, v9
	s_nop 1
	v_mov_b32_dpp v9, v8 row_half_mirror row_mask:0xf bank_mask:0xf
	v_add_f32_e32 v8, v8, v9
	s_nop 1
	v_mov_b32_dpp v9, v8 row_mirror row_mask:0xf bank_mask:0xf
	v_add_f32_e32 v8, v8, v9
	s_nop 1
	v_mov_b32_dpp v9, v8 row_bcast:15 row_mask:0xf bank_mask:0xf
	v_add_f32_e32 v8, v8, v9
	s_nop 1
	v_mov_b32_dpp v9, v8 row_bcast:31 row_mask:0xf bank_mask:0xf
	v_add_f32_e32 v9, v8, v9
	v_mbcnt_lo_u32_b32 v8, -1, 0
	v_mbcnt_hi_u32_b32 v8, -1, v8
	v_lshl_or_b32 v8, v8, 2, v10
	ds_bpermute_b32 v9, v8, v9
	s_and_saveexec_b64 s[10:11], s[0:1]
	s_cbranch_execz .LBB282_5
; %bb.4:
	v_cvt_f32_u32_e32 v10, s7
	v_mov_b32_e32 v11, s13
	v_mov_b32_e32 v12, s12
	v_cndmask_b32_e32 v11, v11, v12, vcc
	s_waitcnt lgkmcnt(0)
	v_div_scale_f32 v13, s[20:21], v10, v10, v9
	v_rcp_f32_e32 v14, v13
	v_div_scale_f32 v12, vcc, v9, v10, v9
	s_mov_b32 s7, 0x800000
	v_fma_f32 v15, -v13, v14, 1.0
	v_fmac_f32_e32 v14, v15, v14
	v_mul_f32_e32 v15, v12, v14
	v_fma_f32 v16, -v13, v15, v12
	v_fmac_f32_e32 v15, v16, v14
	v_fma_f32 v12, -v13, v15, v12
	v_div_fmas_f32 v12, v12, v14, v15
	v_div_fixup_f32 v9, v12, v10, v9
	v_add_f32_e32 v9, v11, v9
	v_mul_f32_e32 v10, 0x4b800000, v9
	v_cmp_gt_f32_e32 vcc, s7, v9
	v_cndmask_b32_e32 v9, v9, v10, vcc
	v_rsq_f32_e32 v9, v9
	s_waitcnt vmcnt(0)
	v_cvt_f32_u32_sdwa v13, v6 dst_sel:DWORD dst_unused:UNUSED_PAD src0_sel:WORD_1
	v_cvt_f32_u32_sdwa v12, v6 dst_sel:DWORD dst_unused:UNUSED_PAD src0_sel:WORD_0
	v_cvt_f32_u32_sdwa v15, v7 dst_sel:DWORD dst_unused:UNUSED_PAD src0_sel:WORD_1
	v_cvt_f32_u32_sdwa v14, v7 dst_sel:DWORD dst_unused:UNUSED_PAD src0_sel:WORD_0
	v_mul_f32_e32 v10, 0x45800000, v9
	v_cndmask_b32_e32 v10, v9, v10, vcc
	v_mov_b32_e32 v11, v10
	;;#ASMSTART
	v_pk_mul_f32 v[4:5], v[4:5], v[10:11]
	;;#ASMEND
	;;#ASMSTART
	v_pk_mul_f32 v[2:3], v[2:3], v[10:11]
	;;#ASMEND
	v_pk_add_f32 v[6:7], v[12:13], 1.0 op_sel_hi:[1,0]
	;;#ASMSTART
	v_pk_mul_f32 v[4:5], v[4:5], v[6:7]
	;;#ASMEND
	v_pk_add_f32 v[6:7], v[14:15], 1.0 op_sel_hi:[1,0]
	;;#ASMSTART
	v_pk_mul_f32 v[2:3], v[2:3], v[6:7]
	;;#ASMEND
.LBB282_5:
	s_or_b64 exec, exec, s[10:11]
	s_load_dword s7, s[4:5], 0x80
	s_mov_b64 s[10:11], -1
	s_and_b64 vcc, exec, s[2:3]
	s_cbranch_vccnz .LBB282_9
; %bb.6:
	s_andn2_b64 vcc, exec, s[10:11]
	s_cbranch_vccz .LBB282_12
.LBB282_7:
	s_cmp_lt_i32 s16, 1
	s_cbranch_scc0 .LBB282_21
.LBB282_8:
	s_endpgm
.LBB282_9:
	s_and_saveexec_b64 s[2:3], s[0:1]
	s_cbranch_execz .LBB282_11
; %bb.10:
	s_waitcnt lgkmcnt(0)
	s_mul_hi_i32 s11, s7, s6
	s_mul_i32 s10, s7, s6
	s_lshl_b64 s[10:11], s[10:11], 1
	s_add_u32 s20, s28, s10
	s_addc_u32 s10, s29, s11
	s_and_b32 s21, s10, 0xffff
	s_mov_b32 s10, 0x7060302
	s_mov_b32 s23, 0x20000
	s_waitcnt vmcnt(0)
	v_perm_b32 v6, v5, v4, s10
	v_perm_b32 v7, v3, v2, s10
	v_lshlrev_b32_e32 v9, 3, v0
	buffer_store_dwordx2 v[6:7], v9, s[20:23], 0 offen
	;;#ASMSTART
	s_nop 0
	;;#ASMEND
.LBB282_11:
	s_or_b64 exec, exec, s[2:3]
	s_cbranch_execnz .LBB282_7
.LBB282_12:
	s_load_dwordx4 s[24:27], s[4:5], 0x70
	s_waitcnt vmcnt(0)
	v_mov_b32_e32 v6, 0
	s_and_saveexec_b64 s[2:3], s[0:1]
	s_cbranch_execz .LBB282_14
; %bb.13:
	s_load_dwordx2 s[10:11], s[4:5], 0x10
	s_waitcnt lgkmcnt(0)
	s_mul_hi_i32 s21, s27, s6
	s_mul_i32 s20, s27, s6
	s_lshl_b64 s[20:21], s[20:21], 1
	s_mov_b32 s23, 0x20000
	s_add_u32 s20, s10, s20
	s_addc_u32 s10, s11, s21
	s_and_b32 s21, s10, 0xffff
	s_mov_b32 s10, 0x7060302
	v_perm_b32 v6, v5, v4, s10
	v_perm_b32 v7, v3, v2, s10
	v_lshlrev_b32_e32 v9, 3, v0
	buffer_store_dwordx2 v[6:7], v9, s[20:23], 0 offen
	v_mov_b32_e32 v6, 0x2edbe6ff
	;;#ASMSTART
	s_nop 0
	;;#ASMEND
.LBB282_14:
	s_or_b64 exec, exec, s[2:3]
	s_and_saveexec_b64 s[2:3], s[0:1]
	s_cbranch_execz .LBB282_16
; %bb.15:
	v_and_b32_e32 v7, 0x7fffffff, v4
	s_waitcnt lgkmcnt(0)
	v_and_b32_e32 v9, 0x7fffffff, v5
	;;#ASMSTART
	v_max3_f32 v6, v6, v7, v9

	;;#ASMEND
	v_and_b32_e32 v7, 0x7fffffff, v2
	v_and_b32_e32 v9, 0x7fffffff, v3
	;;#ASMSTART
	v_max3_f32 v6, v6, v7, v9

	;;#ASMEND
.LBB282_16:
	s_or_b64 exec, exec, s[2:3]
	;;#ASMSTART
	v_max_f32 v7, v6, v6 quad_perm:[1,0,3,2] row_mask:0xf bank_mask:0xf bound_ctrl:1
	;;#ASMEND
	;;#ASMSTART
	v_max_f32 v6, v7, v7 quad_perm:[2,3,0,1] row_mask:0xf bank_mask:0xf bound_ctrl:1
	;;#ASMEND
	;;#ASMSTART
	v_max_f32 v7, v6, v6 row_half_mirror row_mask:0xf bank_mask:0xf bound_ctrl:1
	;;#ASMEND
	;;#ASMSTART
	v_max_f32 v6, v7, v7 row_mirror row_mask:0xf bank_mask:0xf bound_ctrl:1
	;;#ASMEND
	v_and_b32_e32 v7, 15, v0
	v_cmp_eq_u32_e32 vcc, 0, v7
	v_cmp_gt_i32_e64 s[2:3], s15, v1
	v_mul_f32_e32 v6, 0x3b124925, v6
	s_and_b64 s[10:11], vcc, s[2:3]
	s_and_saveexec_b64 s[2:3], s[10:11]
	s_cbranch_execz .LBB282_18
; %bb.17:
	s_load_dwordx2 s[10:11], s[4:5], 0x8
	s_waitcnt lgkmcnt(0)
	s_mul_hi_i32 s21, s25, s6
	s_mul_i32 s20, s25, s6
	v_lshrrev_b32_e32 v7, 4, v0
	s_lshl_b64 s[20:21], s[20:21], 2
	v_mad_i64_i32 v[10:11], s[22:23], s26, v7, 0
	s_add_u32 s10, s10, s20
	s_addc_u32 s11, s11, s21
	v_lshlrev_b64 v[10:11], 2, v[10:11]
	v_mov_b32_e32 v7, s11
	v_add_co_u32_e32 v10, vcc, s10, v10
	v_addc_co_u32_e32 v11, vcc, v7, v11, vcc
	global_store_dword v[10:11], v6, off
.LBB282_18:
	s_or_b64 exec, exec, s[2:3]
	;;#ASMSTART
	v_rcp_f32 v6, v6
	;;#ASMEND
	s_and_saveexec_b64 s[2:3], s[0:1]
	s_cbranch_execz .LBB282_20
; %bb.19:
	s_load_dwordx2 s[0:1], s[4:5], 0x0
	s_waitcnt lgkmcnt(0)
	s_mul_i32 s11, s24, s6
	s_mul_hi_i32 s10, s24, s6
	v_mov_b32_e32 v7, v6
	;;#ASMSTART
	v_pk_mul_f32 v[4:5], v[4:5], v[6:7]
	;;#ASMEND
	s_add_u32 s20, s0, s11
	s_addc_u32 s0, s1, s10
	s_add_i32 s1, s15, 3
	s_ashr_i32 s10, s1, 31
	s_and_b32 s21, s0, 0xffff
	s_lshr_b32 s0, s10, 30
	v_mov_b32_e32 v9, 0xc3e00000
	v_mov_b32_e32 v10, 0x43e00000
	;;#ASMSTART
	v_med3_f32 v4, v4, v9, v10
v_med3_f32 v5, v5, v9, v10
v_cvt_pk_fp8_f32 v11, v4, v5
	;;#ASMEND
	;;#ASMSTART
	v_pk_mul_f32 v[2:3], v[2:3], v[6:7]
	;;#ASMEND
	s_add_i32 s1, s1, s0
	;;#ASMSTART
	v_med3_f32 v2, v2, v9, v10
v_med3_f32 v3, v3, v9, v10
v_cvt_pk_fp8_f32 v4, v2, v3
	;;#ASMEND
	s_mov_b32 s0, 0x5040100
	s_and_b32 s22, s1, -4
	s_mov_b32 s23, 0x20000
	v_perm_b32 v2, v4, v11, s0
	buffer_store_dword v2, v1, s[20:23], 0 offen
	;;#ASMSTART
	s_nop 0
	;;#ASMEND
.LBB282_20:
	s_or_b64 exec, exec, s[2:3]
	s_cmp_lt_i32 s16, 1
	s_cbranch_scc1 .LBB282_8
.LBB282_21:
	s_load_dword s0, s[4:5], 0x94
	s_waitcnt lgkmcnt(0)
	s_cmp_lg_u32 s0, 1
	s_cbranch_scc1 .LBB282_8
; %bb.22:
	s_lshl_b32 s0, s16, 1
	s_add_i32 s0, s0, 2
	v_cmp_gt_u32_e32 vcc, s16, v1
	s_and_b32 s10, s0, -4
	v_mov_b32_e32 v2, 0
	s_waitcnt vmcnt(0)
	v_lshlrev_b32_e32 v6, 3, v0
	v_mov_b32_e32 v3, 0
	v_mov_b32_e32 v0, 0
	;; [unrolled: 1-line block ×3, first 2 shown]
	s_barrier
	s_and_saveexec_b64 s[0:1], vcc
	s_cbranch_execz .LBB282_24
; %bb.23:
	s_mul_hi_i32 s3, s18, s6
	s_mul_i32 s2, s18, s6
	s_and_b32 s9, s9, 0xffff
	s_lshl_b64 s[2:3], s[2:3], 1
	s_add_u32 s20, s30, s2
	s_mov_b32 s11, 0x20000
	s_addc_u32 s2, s31, s3
	s_and_b32 s21, s2, 0xffff
	s_mov_b32 s22, s10
	s_mov_b32 s23, s11
	buffer_load_dwordx2 v[2:3], v6, s[20:23], 0 offen glc slc
	buffer_load_dwordx2 v[0:1], v6, s[8:11], 0 offen
.LBB282_24:
	s_or_b64 exec, exec, s[0:1]
	s_waitcnt vmcnt(1)
	v_cvt_f32_u32_sdwa v5, v3 dst_sel:DWORD dst_unused:UNUSED_PAD src0_sel:WORD_0
	v_cvt_f32_u32_sdwa v7, v2 dst_sel:DWORD dst_unused:UNUSED_PAD src0_sel:WORD_1
	v_cvt_f32_u32_sdwa v4, v3 dst_sel:DWORD dst_unused:UNUSED_PAD src0_sel:WORD_1
	v_cvt_f32_u32_sdwa v9, v2 dst_sel:DWORD dst_unused:UNUSED_PAD src0_sel:WORD_0
	v_cndmask_b32_e32 v2, 0, v5, vcc
	v_cndmask_b32_e32 v5, 0, v7, vcc
	;; [unrolled: 1-line block ×4, first 2 shown]
	v_mul_f32_e32 v7, v5, v5
	v_fmac_f32_e32 v7, v4, v4
	v_fmac_f32_e32 v7, v2, v2
	v_fmac_f32_e32 v7, v3, v3
	s_nop 1
	v_mov_b32_dpp v9, v7 quad_perm:[1,0,3,2] row_mask:0xf bank_mask:0xf
	v_add_f32_e32 v7, v7, v9
	s_nop 1
	v_mov_b32_dpp v9, v7 quad_perm:[2,3,0,1] row_mask:0xf bank_mask:0xf
	v_add_f32_e32 v7, v7, v9
	s_nop 1
	v_mov_b32_dpp v9, v7 row_half_mirror row_mask:0xf bank_mask:0xf
	v_add_f32_e32 v7, v7, v9
	s_nop 1
	v_mov_b32_dpp v9, v7 row_mirror row_mask:0xf bank_mask:0xf
	v_add_f32_e32 v7, v7, v9
	s_nop 1
	v_mov_b32_dpp v9, v7 row_bcast:15 row_mask:0xf bank_mask:0xf
	v_add_f32_e32 v7, v7, v9
	s_nop 1
	v_mov_b32_dpp v9, v7 row_bcast:31 row_mask:0xf bank_mask:0xf
	v_add_f32_e32 v7, v7, v9
	ds_bpermute_b32 v7, v8, v7
	s_and_saveexec_b64 s[0:1], vcc
	s_cbranch_execz .LBB282_8
; %bb.25:
	v_cvt_f32_u32_e32 v8, s16
	s_mov_b32 s11, 0x20000
	s_waitcnt lgkmcnt(0)
	v_div_scale_f32 v9, s[0:1], v8, v8, v7
	v_rcp_f32_e32 v10, v9
	v_div_scale_f32 v11, vcc, v7, v8, v7
	s_mov_b32 s0, 0x800000
	v_fma_f32 v12, -v9, v10, 1.0
	v_fmac_f32_e32 v10, v12, v10
	v_mul_f32_e32 v12, v11, v10
	v_fma_f32 v13, -v9, v12, v11
	v_fmac_f32_e32 v12, v13, v10
	v_fma_f32 v9, -v9, v12, v11
	v_div_fmas_f32 v9, v9, v10, v12
	v_div_fixup_f32 v7, v9, v8, v7
	v_add_f32_e32 v7, s13, v7
	v_mul_f32_e32 v8, 0x4b800000, v7
	v_cmp_gt_f32_e32 vcc, s0, v7
	v_cndmask_b32_e32 v7, v7, v8, vcc
	v_rsq_f32_e32 v7, v7
	s_waitcnt vmcnt(0)
	v_cvt_f32_u32_sdwa v9, v0 dst_sel:DWORD dst_unused:UNUSED_PAD src0_sel:WORD_1
	v_cvt_f32_u32_sdwa v8, v0 dst_sel:DWORD dst_unused:UNUSED_PAD src0_sel:WORD_0
	s_mul_hi_i32 s1, s7, s6
	s_mul_i32 s0, s7, s6
	v_cvt_f32_u32_sdwa v11, v1 dst_sel:DWORD dst_unused:UNUSED_PAD src0_sel:WORD_1
	v_mul_f32_e32 v0, 0x45800000, v7
	v_cvt_f32_u32_sdwa v10, v1 dst_sel:DWORD dst_unused:UNUSED_PAD src0_sel:WORD_0
	s_lshl_b64 s[0:1], s[0:1], 1
	v_cndmask_b32_e32 v12, v7, v0, vcc
	s_add_u32 s8, s28, s0
	v_mov_b32_e32 v13, v12
	;;#ASMSTART
	v_pk_mul_f32 v[4:5], v[4:5], v[12:13]
	;;#ASMEND
	;;#ASMSTART
	v_pk_mul_f32 v[0:1], v[2:3], v[12:13]
	;;#ASMEND
	v_pk_add_f32 v[2:3], v[8:9], 1.0 op_sel_hi:[1,0]
	s_addc_u32 s0, s29, s1
	;;#ASMSTART
	v_pk_mul_f32 v[2:3], v[4:5], v[2:3]
	;;#ASMEND
	s_and_b32 s9, s0, 0xffff
	s_mov_b32 s0, 0x7060302
	v_pk_add_f32 v[4:5], v[10:11], 1.0 op_sel_hi:[1,0]
	;;#ASMSTART
	v_pk_mul_f32 v[0:1], v[0:1], v[4:5]
	;;#ASMEND
	v_perm_b32 v2, v3, v2, s0
	v_perm_b32 v3, v1, v0, s0
	buffer_store_dwordx2 v[2:3], v6, s[8:11], 0 offen
	;;#ASMSTART
	s_nop 0
	;;#ASMEND
	s_endpgm
	.section	.rodata,"a",@progbits
	.p2align	6, 0x0
	.amdhsa_kernel _ZN5aiter35fused_qk_rmsnorm_group_quant_kernelItDB8_Li64ELi4ELi16ELb0ELb1ELb1ELb0ELb0ELb0EEEvPT0_PvPT_S6_S6_PKS5_S8_S8_S8_S8_ffiiiiiiiiiiiii
		.amdhsa_group_segment_fixed_size 0
		.amdhsa_private_segment_fixed_size 0
		.amdhsa_kernarg_size 400
		.amdhsa_user_sgpr_count 6
		.amdhsa_user_sgpr_private_segment_buffer 1
		.amdhsa_user_sgpr_dispatch_ptr 0
		.amdhsa_user_sgpr_queue_ptr 0
		.amdhsa_user_sgpr_kernarg_segment_ptr 1
		.amdhsa_user_sgpr_dispatch_id 0
		.amdhsa_user_sgpr_flat_scratch_init 0
		.amdhsa_user_sgpr_kernarg_preload_length 0
		.amdhsa_user_sgpr_kernarg_preload_offset 0
		.amdhsa_user_sgpr_private_segment_size 0
		.amdhsa_uses_dynamic_stack 0
		.amdhsa_system_sgpr_private_segment_wavefront_offset 0
		.amdhsa_system_sgpr_workgroup_id_x 1
		.amdhsa_system_sgpr_workgroup_id_y 1
		.amdhsa_system_sgpr_workgroup_id_z 0
		.amdhsa_system_sgpr_workgroup_info 0
		.amdhsa_system_vgpr_workitem_id 0
		.amdhsa_next_free_vgpr 17
		.amdhsa_next_free_sgpr 32
		.amdhsa_accum_offset 20
		.amdhsa_reserve_vcc 1
		.amdhsa_reserve_flat_scratch 0
		.amdhsa_float_round_mode_32 0
		.amdhsa_float_round_mode_16_64 0
		.amdhsa_float_denorm_mode_32 3
		.amdhsa_float_denorm_mode_16_64 3
		.amdhsa_dx10_clamp 1
		.amdhsa_ieee_mode 1
		.amdhsa_fp16_overflow 0
		.amdhsa_tg_split 0
		.amdhsa_exception_fp_ieee_invalid_op 0
		.amdhsa_exception_fp_denorm_src 0
		.amdhsa_exception_fp_ieee_div_zero 0
		.amdhsa_exception_fp_ieee_overflow 0
		.amdhsa_exception_fp_ieee_underflow 0
		.amdhsa_exception_fp_ieee_inexact 0
		.amdhsa_exception_int_div_zero 0
	.end_amdhsa_kernel
	.section	.text._ZN5aiter35fused_qk_rmsnorm_group_quant_kernelItDB8_Li64ELi4ELi16ELb0ELb1ELb1ELb0ELb0ELb0EEEvPT0_PvPT_S6_S6_PKS5_S8_S8_S8_S8_ffiiiiiiiiiiiii,"axG",@progbits,_ZN5aiter35fused_qk_rmsnorm_group_quant_kernelItDB8_Li64ELi4ELi16ELb0ELb1ELb1ELb0ELb0ELb0EEEvPT0_PvPT_S6_S6_PKS5_S8_S8_S8_S8_ffiiiiiiiiiiiii,comdat
.Lfunc_end282:
	.size	_ZN5aiter35fused_qk_rmsnorm_group_quant_kernelItDB8_Li64ELi4ELi16ELb0ELb1ELb1ELb0ELb0ELb0EEEvPT0_PvPT_S6_S6_PKS5_S8_S8_S8_S8_ffiiiiiiiiiiiii, .Lfunc_end282-_ZN5aiter35fused_qk_rmsnorm_group_quant_kernelItDB8_Li64ELi4ELi16ELb0ELb1ELb1ELb0ELb0ELb0EEEvPT0_PvPT_S6_S6_PKS5_S8_S8_S8_S8_ffiiiiiiiiiiiii
                                        ; -- End function
	.section	.AMDGPU.csdata,"",@progbits
; Kernel info:
; codeLenInByte = 2012
; NumSgprs: 36
; NumVgprs: 17
; NumAgprs: 0
; TotalNumVgprs: 17
; ScratchSize: 0
; MemoryBound: 0
; FloatMode: 240
; IeeeMode: 1
; LDSByteSize: 0 bytes/workgroup (compile time only)
; SGPRBlocks: 4
; VGPRBlocks: 2
; NumSGPRsForWavesPerEU: 36
; NumVGPRsForWavesPerEU: 17
; AccumOffset: 20
; Occupancy: 8
; WaveLimiterHint : 0
; COMPUTE_PGM_RSRC2:SCRATCH_EN: 0
; COMPUTE_PGM_RSRC2:USER_SGPR: 6
; COMPUTE_PGM_RSRC2:TRAP_HANDLER: 0
; COMPUTE_PGM_RSRC2:TGID_X_EN: 1
; COMPUTE_PGM_RSRC2:TGID_Y_EN: 1
; COMPUTE_PGM_RSRC2:TGID_Z_EN: 0
; COMPUTE_PGM_RSRC2:TIDIG_COMP_CNT: 0
; COMPUTE_PGM_RSRC3_GFX90A:ACCUM_OFFSET: 4
; COMPUTE_PGM_RSRC3_GFX90A:TG_SPLIT: 0
	.section	.text._ZN5aiter35fused_qk_rmsnorm_group_quant_kernelIDF16_DB8_Li64ELi4ELi16ELb0ELb1ELb0ELb0ELb0ELb0EEEvPT0_PvPT_S6_S6_PKS5_S8_S8_S8_S8_ffiiiiiiiiiiiii,"axG",@progbits,_ZN5aiter35fused_qk_rmsnorm_group_quant_kernelIDF16_DB8_Li64ELi4ELi16ELb0ELb1ELb0ELb0ELb0ELb0EEEvPT0_PvPT_S6_S6_PKS5_S8_S8_S8_S8_ffiiiiiiiiiiiii,comdat
	.protected	_ZN5aiter35fused_qk_rmsnorm_group_quant_kernelIDF16_DB8_Li64ELi4ELi16ELb0ELb1ELb0ELb0ELb0ELb0EEEvPT0_PvPT_S6_S6_PKS5_S8_S8_S8_S8_ffiiiiiiiiiiiii ; -- Begin function _ZN5aiter35fused_qk_rmsnorm_group_quant_kernelIDF16_DB8_Li64ELi4ELi16ELb0ELb1ELb0ELb0ELb0ELb0EEEvPT0_PvPT_S6_S6_PKS5_S8_S8_S8_S8_ffiiiiiiiiiiiii
	.globl	_ZN5aiter35fused_qk_rmsnorm_group_quant_kernelIDF16_DB8_Li64ELi4ELi16ELb0ELb1ELb0ELb0ELb0ELb0EEEvPT0_PvPT_S6_S6_PKS5_S8_S8_S8_S8_ffiiiiiiiiiiiii
	.p2align	8
	.type	_ZN5aiter35fused_qk_rmsnorm_group_quant_kernelIDF16_DB8_Li64ELi4ELi16ELb0ELb1ELb0ELb0ELb0ELb0EEEvPT0_PvPT_S6_S6_PKS5_S8_S8_S8_S8_ffiiiiiiiiiiiii,@function
_ZN5aiter35fused_qk_rmsnorm_group_quant_kernelIDF16_DB8_Li64ELi4ELi16ELb0ELb1ELb0ELb0ELb0ELb0EEEvPT0_PvPT_S6_S6_PKS5_S8_S8_S8_S8_ffiiiiiiiiiiiii: ; @_ZN5aiter35fused_qk_rmsnorm_group_quant_kernelIDF16_DB8_Li64ELi4ELi16ELb0ELb1ELb0ELb0ELb0ELb0EEEvPT0_PvPT_S6_S6_PKS5_S8_S8_S8_S8_ffiiiiiiiiiiiii
; %bb.0:
	s_load_dwordx4 s[12:15], s[4:5], 0x50
	s_waitcnt lgkmcnt(0)
	s_cmp_ge_i32 s6, s14
	s_cbranch_scc1 .LBB283_8
; %bb.1:
	s_load_dwordx2 s[8:9], s[4:5], 0x48
	s_load_dwordx2 s[30:31], s[4:5], 0x30
	s_load_dwordx4 s[16:19], s[4:5], 0x60
	s_cmp_lg_u32 s7, 0
	s_cselect_b64 s[2:3], -1, 0
	s_cmp_eq_u32 s7, 0
	s_cselect_b64 vcc, -1, 0
	s_and_b64 s[0:1], vcc, exec
	s_waitcnt lgkmcnt(0)
	s_cselect_b32 s7, s15, s16
	s_add_i32 s0, s7, 1
	s_lshr_b32 s1, s0, 31
	s_add_i32 s0, s0, s1
	s_lshl_b32 s0, s0, 1
	v_lshlrev_b32_e32 v1, 2, v0
	s_and_b32 s22, s0, -4
	v_cmp_gt_i32_e64 s[0:1], s7, v1
	v_mov_b32_e32 v6, 0
	v_mov_b32_e32 v7, 0
	;; [unrolled: 1-line block ×4, first 2 shown]
	s_and_saveexec_b64 s[10:11], s[0:1]
	s_cbranch_execz .LBB283_3
; %bb.2:
	s_load_dwordx2 s[20:21], s[4:5], 0x28
	s_load_dwordx2 s[26:27], s[4:5], 0x40
	s_and_b64 s[24:25], vcc, exec
	s_cselect_b32 s14, s17, s18
	s_mov_b32 s23, 0x20000
	s_waitcnt lgkmcnt(0)
	s_cselect_b32 s17, s21, s31
	s_cselect_b32 s19, s20, s30
	s_mul_hi_i32 s21, s14, s6
	s_mul_i32 s20, s14, s6
	s_lshl_b64 s[20:21], s[20:21], 1
	s_add_u32 s24, s19, s20
	s_addc_u32 s14, s17, s21
	s_and_b64 s[20:21], vcc, exec
	s_cselect_b32 s20, s26, s8
	s_cselect_b32 s17, s27, s9
	v_lshlrev_b32_e32 v4, 3, v0
	s_and_b32 s25, s14, 0xffff
	s_mov_b32 s26, s22
	s_mov_b32 s27, s23
	s_and_b32 s21, s17, 0xffff
	buffer_load_dwordx2 v[2:3], v4, s[24:27], 0 offen glc slc
	buffer_load_dwordx2 v[6:7], v4, s[20:23], 0 offen
.LBB283_3:
	s_or_b64 exec, exec, s[10:11]
	s_waitcnt vmcnt(1)
	v_cvt_f32_f16_e32 v4, v3
	v_cvt_f32_f16_e32 v5, v2
	v_cvt_f32_f16_sdwa v8, v2 dst_sel:DWORD dst_unused:UNUSED_PAD src0_sel:WORD_1
	v_cvt_f32_f16_sdwa v3, v3 dst_sel:DWORD dst_unused:UNUSED_PAD src0_sel:WORD_1
	v_cndmask_b32_e64 v2, 0, v4, s[0:1]
	v_cndmask_b32_e64 v4, 0, v5, s[0:1]
	;; [unrolled: 1-line block ×3, first 2 shown]
	v_mul_f32_e32 v8, v5, v5
	v_fmac_f32_e32 v8, v4, v4
	v_cndmask_b32_e64 v3, 0, v3, s[0:1]
	v_fmac_f32_e32 v8, v2, v2
	v_fmac_f32_e32 v8, v3, v3
	v_bfrev_b32_e32 v10, 0.5
	s_load_dwordx2 s[28:29], s[4:5], 0x18
	v_mov_b32_dpp v9, v8 quad_perm:[1,0,3,2] row_mask:0xf bank_mask:0xf
	v_add_f32_e32 v8, v8, v9
	s_nop 1
	v_mov_b32_dpp v9, v8 quad_perm:[2,3,0,1] row_mask:0xf bank_mask:0xf
	v_add_f32_e32 v8, v8, v9
	s_nop 1
	v_mov_b32_dpp v9, v8 row_half_mirror row_mask:0xf bank_mask:0xf
	v_add_f32_e32 v8, v8, v9
	s_nop 1
	v_mov_b32_dpp v9, v8 row_mirror row_mask:0xf bank_mask:0xf
	v_add_f32_e32 v8, v8, v9
	s_nop 1
	v_mov_b32_dpp v9, v8 row_bcast:15 row_mask:0xf bank_mask:0xf
	v_add_f32_e32 v8, v8, v9
	s_nop 1
	v_mov_b32_dpp v9, v8 row_bcast:31 row_mask:0xf bank_mask:0xf
	v_add_f32_e32 v9, v8, v9
	v_mbcnt_lo_u32_b32 v8, -1, 0
	v_mbcnt_hi_u32_b32 v8, -1, v8
	v_lshl_or_b32 v8, v8, 2, v10
	ds_bpermute_b32 v9, v8, v9
	s_and_saveexec_b64 s[10:11], s[0:1]
	s_cbranch_execz .LBB283_5
; %bb.4:
	v_cvt_f32_u32_e32 v10, s7
	v_mov_b32_e32 v11, s13
	v_mov_b32_e32 v12, s12
	v_cndmask_b32_e32 v11, v11, v12, vcc
	s_waitcnt lgkmcnt(0)
	v_div_scale_f32 v13, s[20:21], v10, v10, v9
	v_rcp_f32_e32 v14, v13
	v_div_scale_f32 v12, vcc, v9, v10, v9
	s_mov_b32 s7, 0x800000
	v_fma_f32 v15, -v13, v14, 1.0
	v_fmac_f32_e32 v14, v15, v14
	v_mul_f32_e32 v15, v12, v14
	v_fma_f32 v16, -v13, v15, v12
	v_fmac_f32_e32 v15, v16, v14
	v_fma_f32 v12, -v13, v15, v12
	v_div_fmas_f32 v12, v12, v14, v15
	v_div_fixup_f32 v9, v12, v10, v9
	v_add_f32_e32 v9, v11, v9
	v_mul_f32_e32 v10, 0x4b800000, v9
	v_cmp_gt_f32_e32 vcc, s7, v9
	v_cndmask_b32_e32 v9, v9, v10, vcc
	v_rsq_f32_e32 v9, v9
	s_waitcnt vmcnt(0)
	v_cvt_f32_f16_sdwa v13, v6 dst_sel:DWORD dst_unused:UNUSED_PAD src0_sel:WORD_1
	v_cvt_f32_f16_e32 v12, v6
	v_cvt_f32_f16_sdwa v15, v7 dst_sel:DWORD dst_unused:UNUSED_PAD src0_sel:WORD_1
	v_mul_f32_e32 v10, 0x45800000, v9
	v_cndmask_b32_e32 v10, v9, v10, vcc
	v_mov_b32_e32 v11, v10
	;;#ASMSTART
	v_pk_mul_f32 v[4:5], v[4:5], v[10:11]
	;;#ASMEND
	;;#ASMSTART
	v_pk_mul_f32 v[2:3], v[2:3], v[10:11]
	;;#ASMEND
	v_cvt_f32_f16_e32 v14, v7
	;;#ASMSTART
	v_pk_mul_f32 v[4:5], v[4:5], v[12:13]
	;;#ASMEND
	;;#ASMSTART
	v_pk_mul_f32 v[2:3], v[2:3], v[14:15]
	;;#ASMEND
.LBB283_5:
	s_or_b64 exec, exec, s[10:11]
	s_load_dword s7, s[4:5], 0x80
	s_mov_b64 s[10:11], -1
	s_and_b64 vcc, exec, s[2:3]
	s_cbranch_vccnz .LBB283_9
; %bb.6:
	s_andn2_b64 vcc, exec, s[10:11]
	s_cbranch_vccz .LBB283_12
.LBB283_7:
	s_cmp_lt_i32 s16, 1
	s_cbranch_scc0 .LBB283_21
.LBB283_8:
	s_endpgm
.LBB283_9:
	s_and_saveexec_b64 s[2:3], s[0:1]
	s_cbranch_execz .LBB283_11
; %bb.10:
	s_waitcnt lgkmcnt(0)
	s_mul_hi_i32 s11, s7, s6
	s_mul_i32 s10, s7, s6
	s_waitcnt vmcnt(0)
	v_cvt_f16_f32_e32 v6, v4
	v_cvt_f16_f32_e32 v7, v2
	;; [unrolled: 1-line block ×4, first 2 shown]
	s_lshl_b64 s[10:11], s[10:11], 1
	s_add_u32 s20, s28, s10
	s_addc_u32 s10, s29, s11
	s_and_b32 s21, s10, 0xffff
	s_mov_b32 s23, 0x20000
	v_pack_b32_f16 v7, v7, v9
	v_pack_b32_f16 v6, v6, v10
	v_lshlrev_b32_e32 v9, 3, v0
	buffer_store_dwordx2 v[6:7], v9, s[20:23], 0 offen
	;;#ASMSTART
	s_nop 0
	;;#ASMEND
.LBB283_11:
	s_or_b64 exec, exec, s[2:3]
	s_cbranch_execnz .LBB283_7
.LBB283_12:
	s_load_dwordx4 s[24:27], s[4:5], 0x70
	s_waitcnt vmcnt(0)
	v_mov_b32_e32 v6, 0
	s_and_saveexec_b64 s[2:3], s[0:1]
	s_cbranch_execz .LBB283_14
; %bb.13:
	s_load_dwordx2 s[10:11], s[4:5], 0x10
	s_waitcnt lgkmcnt(0)
	s_mul_hi_i32 s21, s27, s6
	s_mul_i32 s20, s27, s6
	v_cvt_f16_f32_e32 v6, v4
	v_cvt_f16_f32_e32 v7, v2
	;; [unrolled: 1-line block ×4, first 2 shown]
	s_lshl_b64 s[20:21], s[20:21], 1
	s_add_u32 s20, s10, s20
	s_addc_u32 s10, s11, s21
	s_and_b32 s21, s10, 0xffff
	s_mov_b32 s23, 0x20000
	v_pack_b32_f16 v7, v7, v9
	v_pack_b32_f16 v6, v6, v10
	v_lshlrev_b32_e32 v9, 3, v0
	buffer_store_dwordx2 v[6:7], v9, s[20:23], 0 offen
	v_mov_b32_e32 v6, 0x2edbe6ff
	;;#ASMSTART
	s_nop 0
	;;#ASMEND
.LBB283_14:
	s_or_b64 exec, exec, s[2:3]
	s_and_saveexec_b64 s[2:3], s[0:1]
	s_cbranch_execz .LBB283_16
; %bb.15:
	v_and_b32_e32 v7, 0x7fffffff, v4
	s_waitcnt lgkmcnt(0)
	v_and_b32_e32 v9, 0x7fffffff, v5
	;;#ASMSTART
	v_max3_f32 v6, v6, v7, v9

	;;#ASMEND
	v_and_b32_e32 v7, 0x7fffffff, v2
	v_and_b32_e32 v9, 0x7fffffff, v3
	;;#ASMSTART
	v_max3_f32 v6, v6, v7, v9

	;;#ASMEND
.LBB283_16:
	s_or_b64 exec, exec, s[2:3]
	;;#ASMSTART
	v_max_f32 v7, v6, v6 quad_perm:[1,0,3,2] row_mask:0xf bank_mask:0xf bound_ctrl:1
	;;#ASMEND
	;;#ASMSTART
	v_max_f32 v6, v7, v7 quad_perm:[2,3,0,1] row_mask:0xf bank_mask:0xf bound_ctrl:1
	;;#ASMEND
	;;#ASMSTART
	v_max_f32 v7, v6, v6 row_half_mirror row_mask:0xf bank_mask:0xf bound_ctrl:1
	;;#ASMEND
	;;#ASMSTART
	v_max_f32 v6, v7, v7 row_mirror row_mask:0xf bank_mask:0xf bound_ctrl:1
	;;#ASMEND
	v_and_b32_e32 v7, 15, v0
	v_cmp_eq_u32_e32 vcc, 0, v7
	v_cmp_gt_i32_e64 s[2:3], s15, v1
	v_mul_f32_e32 v6, 0x3b124925, v6
	s_and_b64 s[10:11], vcc, s[2:3]
	s_and_saveexec_b64 s[2:3], s[10:11]
	s_cbranch_execz .LBB283_18
; %bb.17:
	s_load_dwordx2 s[10:11], s[4:5], 0x8
	s_waitcnt lgkmcnt(0)
	s_mul_hi_i32 s21, s25, s6
	s_mul_i32 s20, s25, s6
	v_lshrrev_b32_e32 v7, 4, v0
	s_lshl_b64 s[20:21], s[20:21], 2
	v_mad_i64_i32 v[10:11], s[22:23], s26, v7, 0
	s_add_u32 s10, s10, s20
	s_addc_u32 s11, s11, s21
	v_lshlrev_b64 v[10:11], 2, v[10:11]
	v_mov_b32_e32 v7, s11
	v_add_co_u32_e32 v10, vcc, s10, v10
	v_addc_co_u32_e32 v11, vcc, v7, v11, vcc
	global_store_dword v[10:11], v6, off
.LBB283_18:
	s_or_b64 exec, exec, s[2:3]
	;;#ASMSTART
	v_rcp_f32 v6, v6
	;;#ASMEND
	s_and_saveexec_b64 s[2:3], s[0:1]
	s_cbranch_execz .LBB283_20
; %bb.19:
	s_load_dwordx2 s[0:1], s[4:5], 0x0
	s_waitcnt lgkmcnt(0)
	s_mul_i32 s11, s24, s6
	s_mul_hi_i32 s10, s24, s6
	v_mov_b32_e32 v7, v6
	;;#ASMSTART
	v_pk_mul_f32 v[4:5], v[4:5], v[6:7]
	;;#ASMEND
	s_add_u32 s20, s0, s11
	s_addc_u32 s0, s1, s10
	s_add_i32 s1, s15, 3
	s_ashr_i32 s10, s1, 31
	s_and_b32 s21, s0, 0xffff
	s_lshr_b32 s0, s10, 30
	v_mov_b32_e32 v9, 0xc3e00000
	v_mov_b32_e32 v10, 0x43e00000
	;;#ASMSTART
	v_med3_f32 v4, v4, v9, v10
v_med3_f32 v5, v5, v9, v10
v_cvt_pk_fp8_f32 v11, v4, v5
	;;#ASMEND
	;;#ASMSTART
	v_pk_mul_f32 v[2:3], v[2:3], v[6:7]
	;;#ASMEND
	s_add_i32 s1, s1, s0
	;;#ASMSTART
	v_med3_f32 v2, v2, v9, v10
v_med3_f32 v3, v3, v9, v10
v_cvt_pk_fp8_f32 v4, v2, v3
	;;#ASMEND
	s_mov_b32 s0, 0x5040100
	s_and_b32 s22, s1, -4
	s_mov_b32 s23, 0x20000
	v_perm_b32 v2, v4, v11, s0
	buffer_store_dword v2, v1, s[20:23], 0 offen
	;;#ASMSTART
	s_nop 0
	;;#ASMEND
.LBB283_20:
	s_or_b64 exec, exec, s[2:3]
	s_cmp_lt_i32 s16, 1
	s_cbranch_scc1 .LBB283_8
.LBB283_21:
	s_load_dword s0, s[4:5], 0x94
	s_waitcnt lgkmcnt(0)
	s_cmp_lg_u32 s0, 1
	s_cbranch_scc1 .LBB283_8
; %bb.22:
	s_lshl_b32 s0, s16, 1
	s_add_i32 s0, s0, 2
	v_cmp_gt_u32_e32 vcc, s16, v1
	s_and_b32 s10, s0, -4
	v_mov_b32_e32 v2, 0
	s_waitcnt vmcnt(0)
	v_lshlrev_b32_e32 v6, 3, v0
	v_mov_b32_e32 v3, 0
	v_mov_b32_e32 v0, 0
	;; [unrolled: 1-line block ×3, first 2 shown]
	s_barrier
	s_and_saveexec_b64 s[0:1], vcc
	s_cbranch_execz .LBB283_24
; %bb.23:
	s_mul_hi_i32 s3, s18, s6
	s_mul_i32 s2, s18, s6
	s_and_b32 s9, s9, 0xffff
	s_lshl_b64 s[2:3], s[2:3], 1
	s_add_u32 s20, s30, s2
	s_mov_b32 s11, 0x20000
	s_addc_u32 s2, s31, s3
	s_and_b32 s21, s2, 0xffff
	s_mov_b32 s22, s10
	s_mov_b32 s23, s11
	buffer_load_dwordx2 v[2:3], v6, s[20:23], 0 offen glc slc
	buffer_load_dwordx2 v[0:1], v6, s[8:11], 0 offen
.LBB283_24:
	s_or_b64 exec, exec, s[0:1]
	s_waitcnt vmcnt(1)
	v_cvt_f32_f16_e32 v4, v3
	v_cvt_f32_f16_e32 v5, v2
	v_cvt_f32_f16_sdwa v7, v2 dst_sel:DWORD dst_unused:UNUSED_PAD src0_sel:WORD_1
	v_cvt_f32_f16_sdwa v3, v3 dst_sel:DWORD dst_unused:UNUSED_PAD src0_sel:WORD_1
	v_cndmask_b32_e32 v2, 0, v4, vcc
	v_cndmask_b32_e32 v4, 0, v5, vcc
	;; [unrolled: 1-line block ×3, first 2 shown]
	v_mul_f32_e32 v7, v5, v5
	v_fmac_f32_e32 v7, v4, v4
	v_cndmask_b32_e32 v3, 0, v3, vcc
	v_fmac_f32_e32 v7, v2, v2
	v_fmac_f32_e32 v7, v3, v3
	s_nop 1
	v_mov_b32_dpp v9, v7 quad_perm:[1,0,3,2] row_mask:0xf bank_mask:0xf
	v_add_f32_e32 v7, v7, v9
	s_nop 1
	v_mov_b32_dpp v9, v7 quad_perm:[2,3,0,1] row_mask:0xf bank_mask:0xf
	v_add_f32_e32 v7, v7, v9
	s_nop 1
	v_mov_b32_dpp v9, v7 row_half_mirror row_mask:0xf bank_mask:0xf
	v_add_f32_e32 v7, v7, v9
	s_nop 1
	v_mov_b32_dpp v9, v7 row_mirror row_mask:0xf bank_mask:0xf
	v_add_f32_e32 v7, v7, v9
	s_nop 1
	v_mov_b32_dpp v9, v7 row_bcast:15 row_mask:0xf bank_mask:0xf
	v_add_f32_e32 v7, v7, v9
	s_nop 1
	v_mov_b32_dpp v9, v7 row_bcast:31 row_mask:0xf bank_mask:0xf
	v_add_f32_e32 v7, v7, v9
	ds_bpermute_b32 v7, v8, v7
	s_and_saveexec_b64 s[0:1], vcc
	s_cbranch_execz .LBB283_8
; %bb.25:
	v_cvt_f32_u32_e32 v8, s16
	s_mov_b32 s11, 0x20000
	s_waitcnt lgkmcnt(0)
	v_div_scale_f32 v9, s[0:1], v8, v8, v7
	v_rcp_f32_e32 v10, v9
	v_div_scale_f32 v11, vcc, v7, v8, v7
	s_mov_b32 s0, 0x800000
	v_fma_f32 v12, -v9, v10, 1.0
	v_fmac_f32_e32 v10, v12, v10
	v_mul_f32_e32 v12, v11, v10
	v_fma_f32 v13, -v9, v12, v11
	v_fmac_f32_e32 v12, v13, v10
	v_fma_f32 v9, -v9, v12, v11
	v_div_fmas_f32 v9, v9, v10, v12
	v_div_fixup_f32 v7, v9, v8, v7
	v_add_f32_e32 v7, s13, v7
	v_mul_f32_e32 v8, 0x4b800000, v7
	v_cmp_gt_f32_e32 vcc, s0, v7
	v_cndmask_b32_e32 v7, v7, v8, vcc
	v_rsq_f32_e32 v7, v7
	s_waitcnt vmcnt(0)
	v_cvt_f32_f16_sdwa v9, v0 dst_sel:DWORD dst_unused:UNUSED_PAD src0_sel:WORD_1
	v_cvt_f32_f16_e32 v8, v0
	v_cvt_f32_f16_sdwa v11, v1 dst_sel:DWORD dst_unused:UNUSED_PAD src0_sel:WORD_1
	v_mul_f32_e32 v0, 0x45800000, v7
	v_cndmask_b32_e32 v12, v7, v0, vcc
	v_mov_b32_e32 v13, v12
	v_cvt_f32_f16_e32 v10, v1
	;;#ASMSTART
	v_pk_mul_f32 v[0:1], v[4:5], v[12:13]
	;;#ASMEND
	;;#ASMSTART
	v_pk_mul_f32 v[2:3], v[2:3], v[12:13]
	;;#ASMEND
	;; [unrolled: 3-line block ×4, first 2 shown]
	s_mul_hi_i32 s1, s7, s6
	s_mul_i32 s0, s7, s6
	v_cvt_f16_f32_e32 v0, v0
	v_cvt_f16_f32_e32 v1, v1
	;; [unrolled: 1-line block ×4, first 2 shown]
	s_lshl_b64 s[0:1], s[0:1], 1
	s_add_u32 s8, s28, s0
	s_addc_u32 s0, s29, s1
	s_and_b32 s9, s0, 0xffff
	v_pack_b32_f16 v0, v0, v1
	v_pack_b32_f16 v1, v2, v3
	buffer_store_dwordx2 v[0:1], v6, s[8:11], 0 offen
	;;#ASMSTART
	s_nop 0
	;;#ASMEND
	s_endpgm
	.section	.rodata,"a",@progbits
	.p2align	6, 0x0
	.amdhsa_kernel _ZN5aiter35fused_qk_rmsnorm_group_quant_kernelIDF16_DB8_Li64ELi4ELi16ELb0ELb1ELb0ELb0ELb0ELb0EEEvPT0_PvPT_S6_S6_PKS5_S8_S8_S8_S8_ffiiiiiiiiiiiii
		.amdhsa_group_segment_fixed_size 0
		.amdhsa_private_segment_fixed_size 0
		.amdhsa_kernarg_size 400
		.amdhsa_user_sgpr_count 6
		.amdhsa_user_sgpr_private_segment_buffer 1
		.amdhsa_user_sgpr_dispatch_ptr 0
		.amdhsa_user_sgpr_queue_ptr 0
		.amdhsa_user_sgpr_kernarg_segment_ptr 1
		.amdhsa_user_sgpr_dispatch_id 0
		.amdhsa_user_sgpr_flat_scratch_init 0
		.amdhsa_user_sgpr_kernarg_preload_length 0
		.amdhsa_user_sgpr_kernarg_preload_offset 0
		.amdhsa_user_sgpr_private_segment_size 0
		.amdhsa_uses_dynamic_stack 0
		.amdhsa_system_sgpr_private_segment_wavefront_offset 0
		.amdhsa_system_sgpr_workgroup_id_x 1
		.amdhsa_system_sgpr_workgroup_id_y 1
		.amdhsa_system_sgpr_workgroup_id_z 0
		.amdhsa_system_sgpr_workgroup_info 0
		.amdhsa_system_vgpr_workitem_id 0
		.amdhsa_next_free_vgpr 17
		.amdhsa_next_free_sgpr 32
		.amdhsa_accum_offset 20
		.amdhsa_reserve_vcc 1
		.amdhsa_reserve_flat_scratch 0
		.amdhsa_float_round_mode_32 0
		.amdhsa_float_round_mode_16_64 0
		.amdhsa_float_denorm_mode_32 3
		.amdhsa_float_denorm_mode_16_64 3
		.amdhsa_dx10_clamp 1
		.amdhsa_ieee_mode 1
		.amdhsa_fp16_overflow 0
		.amdhsa_tg_split 0
		.amdhsa_exception_fp_ieee_invalid_op 0
		.amdhsa_exception_fp_denorm_src 0
		.amdhsa_exception_fp_ieee_div_zero 0
		.amdhsa_exception_fp_ieee_overflow 0
		.amdhsa_exception_fp_ieee_underflow 0
		.amdhsa_exception_fp_ieee_inexact 0
		.amdhsa_exception_int_div_zero 0
	.end_amdhsa_kernel
	.section	.text._ZN5aiter35fused_qk_rmsnorm_group_quant_kernelIDF16_DB8_Li64ELi4ELi16ELb0ELb1ELb0ELb0ELb0ELb0EEEvPT0_PvPT_S6_S6_PKS5_S8_S8_S8_S8_ffiiiiiiiiiiiii,"axG",@progbits,_ZN5aiter35fused_qk_rmsnorm_group_quant_kernelIDF16_DB8_Li64ELi4ELi16ELb0ELb1ELb0ELb0ELb0ELb0EEEvPT0_PvPT_S6_S6_PKS5_S8_S8_S8_S8_ffiiiiiiiiiiiii,comdat
.Lfunc_end283:
	.size	_ZN5aiter35fused_qk_rmsnorm_group_quant_kernelIDF16_DB8_Li64ELi4ELi16ELb0ELb1ELb0ELb0ELb0ELb0EEEvPT0_PvPT_S6_S6_PKS5_S8_S8_S8_S8_ffiiiiiiiiiiiii, .Lfunc_end283-_ZN5aiter35fused_qk_rmsnorm_group_quant_kernelIDF16_DB8_Li64ELi4ELi16ELb0ELb1ELb0ELb0ELb0ELb0EEEvPT0_PvPT_S6_S6_PKS5_S8_S8_S8_S8_ffiiiiiiiiiiiii
                                        ; -- End function
	.section	.AMDGPU.csdata,"",@progbits
; Kernel info:
; codeLenInByte = 1972
; NumSgprs: 36
; NumVgprs: 17
; NumAgprs: 0
; TotalNumVgprs: 17
; ScratchSize: 0
; MemoryBound: 0
; FloatMode: 240
; IeeeMode: 1
; LDSByteSize: 0 bytes/workgroup (compile time only)
; SGPRBlocks: 4
; VGPRBlocks: 2
; NumSGPRsForWavesPerEU: 36
; NumVGPRsForWavesPerEU: 17
; AccumOffset: 20
; Occupancy: 8
; WaveLimiterHint : 0
; COMPUTE_PGM_RSRC2:SCRATCH_EN: 0
; COMPUTE_PGM_RSRC2:USER_SGPR: 6
; COMPUTE_PGM_RSRC2:TRAP_HANDLER: 0
; COMPUTE_PGM_RSRC2:TGID_X_EN: 1
; COMPUTE_PGM_RSRC2:TGID_Y_EN: 1
; COMPUTE_PGM_RSRC2:TGID_Z_EN: 0
; COMPUTE_PGM_RSRC2:TIDIG_COMP_CNT: 0
; COMPUTE_PGM_RSRC3_GFX90A:ACCUM_OFFSET: 4
; COMPUTE_PGM_RSRC3_GFX90A:TG_SPLIT: 0
	.section	.text._ZN5aiter35fused_qk_rmsnorm_group_quant_kernelItDB8_Li64ELi4ELi16ELb0ELb1ELb0ELb0ELb0ELb0EEEvPT0_PvPT_S6_S6_PKS5_S8_S8_S8_S8_ffiiiiiiiiiiiii,"axG",@progbits,_ZN5aiter35fused_qk_rmsnorm_group_quant_kernelItDB8_Li64ELi4ELi16ELb0ELb1ELb0ELb0ELb0ELb0EEEvPT0_PvPT_S6_S6_PKS5_S8_S8_S8_S8_ffiiiiiiiiiiiii,comdat
	.protected	_ZN5aiter35fused_qk_rmsnorm_group_quant_kernelItDB8_Li64ELi4ELi16ELb0ELb1ELb0ELb0ELb0ELb0EEEvPT0_PvPT_S6_S6_PKS5_S8_S8_S8_S8_ffiiiiiiiiiiiii ; -- Begin function _ZN5aiter35fused_qk_rmsnorm_group_quant_kernelItDB8_Li64ELi4ELi16ELb0ELb1ELb0ELb0ELb0ELb0EEEvPT0_PvPT_S6_S6_PKS5_S8_S8_S8_S8_ffiiiiiiiiiiiii
	.globl	_ZN5aiter35fused_qk_rmsnorm_group_quant_kernelItDB8_Li64ELi4ELi16ELb0ELb1ELb0ELb0ELb0ELb0EEEvPT0_PvPT_S6_S6_PKS5_S8_S8_S8_S8_ffiiiiiiiiiiiii
	.p2align	8
	.type	_ZN5aiter35fused_qk_rmsnorm_group_quant_kernelItDB8_Li64ELi4ELi16ELb0ELb1ELb0ELb0ELb0ELb0EEEvPT0_PvPT_S6_S6_PKS5_S8_S8_S8_S8_ffiiiiiiiiiiiii,@function
_ZN5aiter35fused_qk_rmsnorm_group_quant_kernelItDB8_Li64ELi4ELi16ELb0ELb1ELb0ELb0ELb0ELb0EEEvPT0_PvPT_S6_S6_PKS5_S8_S8_S8_S8_ffiiiiiiiiiiiii: ; @_ZN5aiter35fused_qk_rmsnorm_group_quant_kernelItDB8_Li64ELi4ELi16ELb0ELb1ELb0ELb0ELb0ELb0EEEvPT0_PvPT_S6_S6_PKS5_S8_S8_S8_S8_ffiiiiiiiiiiiii
; %bb.0:
	s_load_dwordx4 s[12:15], s[4:5], 0x50
	s_waitcnt lgkmcnt(0)
	s_cmp_ge_i32 s6, s14
	s_cbranch_scc1 .LBB284_8
; %bb.1:
	s_load_dwordx2 s[8:9], s[4:5], 0x48
	s_load_dwordx2 s[30:31], s[4:5], 0x30
	s_load_dwordx4 s[16:19], s[4:5], 0x60
	s_cmp_lg_u32 s7, 0
	s_cselect_b64 s[2:3], -1, 0
	s_cmp_eq_u32 s7, 0
	s_cselect_b64 vcc, -1, 0
	s_and_b64 s[0:1], vcc, exec
	s_waitcnt lgkmcnt(0)
	s_cselect_b32 s7, s15, s16
	s_add_i32 s0, s7, 1
	s_lshr_b32 s1, s0, 31
	s_add_i32 s0, s0, s1
	s_lshl_b32 s0, s0, 1
	v_lshlrev_b32_e32 v1, 2, v0
	s_and_b32 s22, s0, -4
	v_cmp_gt_i32_e64 s[0:1], s7, v1
	v_mov_b32_e32 v6, 0
	v_mov_b32_e32 v7, 0
	;; [unrolled: 1-line block ×4, first 2 shown]
	s_and_saveexec_b64 s[10:11], s[0:1]
	s_cbranch_execz .LBB284_3
; %bb.2:
	s_load_dwordx2 s[20:21], s[4:5], 0x28
	s_load_dwordx2 s[26:27], s[4:5], 0x40
	s_and_b64 s[24:25], vcc, exec
	s_cselect_b32 s14, s17, s18
	s_mov_b32 s23, 0x20000
	s_waitcnt lgkmcnt(0)
	s_cselect_b32 s17, s21, s31
	s_cselect_b32 s19, s20, s30
	s_mul_hi_i32 s21, s14, s6
	s_mul_i32 s20, s14, s6
	s_lshl_b64 s[20:21], s[20:21], 1
	s_add_u32 s24, s19, s20
	s_addc_u32 s14, s17, s21
	s_and_b64 s[20:21], vcc, exec
	s_cselect_b32 s20, s26, s8
	s_cselect_b32 s17, s27, s9
	v_lshlrev_b32_e32 v4, 3, v0
	s_and_b32 s25, s14, 0xffff
	s_mov_b32 s26, s22
	s_mov_b32 s27, s23
	s_and_b32 s21, s17, 0xffff
	buffer_load_dwordx2 v[2:3], v4, s[24:27], 0 offen glc slc
	buffer_load_dwordx2 v[6:7], v4, s[20:23], 0 offen
.LBB284_3:
	s_or_b64 exec, exec, s[10:11]
	s_waitcnt vmcnt(1)
	v_cvt_f32_u32_sdwa v5, v3 dst_sel:DWORD dst_unused:UNUSED_PAD src0_sel:WORD_0
	v_cvt_f32_u32_sdwa v8, v2 dst_sel:DWORD dst_unused:UNUSED_PAD src0_sel:WORD_1
	v_cvt_f32_u32_sdwa v4, v3 dst_sel:DWORD dst_unused:UNUSED_PAD src0_sel:WORD_1
	v_cvt_f32_u32_sdwa v9, v2 dst_sel:DWORD dst_unused:UNUSED_PAD src0_sel:WORD_0
	v_cndmask_b32_e64 v2, 0, v5, s[0:1]
	v_cndmask_b32_e64 v5, 0, v8, s[0:1]
	v_cndmask_b32_e64 v3, 0, v4, s[0:1]
	v_cndmask_b32_e64 v4, 0, v9, s[0:1]
	v_mul_f32_e32 v8, v5, v5
	v_fmac_f32_e32 v8, v4, v4
	v_fmac_f32_e32 v8, v2, v2
	;; [unrolled: 1-line block ×3, first 2 shown]
	v_bfrev_b32_e32 v10, 0.5
	s_load_dwordx2 s[28:29], s[4:5], 0x18
	v_mov_b32_dpp v9, v8 quad_perm:[1,0,3,2] row_mask:0xf bank_mask:0xf
	v_add_f32_e32 v8, v8, v9
	s_nop 1
	v_mov_b32_dpp v9, v8 quad_perm:[2,3,0,1] row_mask:0xf bank_mask:0xf
	v_add_f32_e32 v8, v8, v9
	s_nop 1
	v_mov_b32_dpp v9, v8 row_half_mirror row_mask:0xf bank_mask:0xf
	v_add_f32_e32 v8, v8, v9
	s_nop 1
	v_mov_b32_dpp v9, v8 row_mirror row_mask:0xf bank_mask:0xf
	v_add_f32_e32 v8, v8, v9
	s_nop 1
	v_mov_b32_dpp v9, v8 row_bcast:15 row_mask:0xf bank_mask:0xf
	v_add_f32_e32 v8, v8, v9
	s_nop 1
	v_mov_b32_dpp v9, v8 row_bcast:31 row_mask:0xf bank_mask:0xf
	v_add_f32_e32 v9, v8, v9
	v_mbcnt_lo_u32_b32 v8, -1, 0
	v_mbcnt_hi_u32_b32 v8, -1, v8
	v_lshl_or_b32 v8, v8, 2, v10
	ds_bpermute_b32 v9, v8, v9
	s_and_saveexec_b64 s[10:11], s[0:1]
	s_cbranch_execz .LBB284_5
; %bb.4:
	v_cvt_f32_u32_e32 v10, s7
	v_mov_b32_e32 v11, s13
	v_mov_b32_e32 v12, s12
	v_cndmask_b32_e32 v11, v11, v12, vcc
	s_waitcnt lgkmcnt(0)
	v_div_scale_f32 v13, s[20:21], v10, v10, v9
	v_rcp_f32_e32 v14, v13
	v_div_scale_f32 v12, vcc, v9, v10, v9
	s_mov_b32 s7, 0x800000
	v_fma_f32 v15, -v13, v14, 1.0
	v_fmac_f32_e32 v14, v15, v14
	v_mul_f32_e32 v15, v12, v14
	v_fma_f32 v16, -v13, v15, v12
	v_fmac_f32_e32 v15, v16, v14
	v_fma_f32 v12, -v13, v15, v12
	v_div_fmas_f32 v12, v12, v14, v15
	v_div_fixup_f32 v9, v12, v10, v9
	v_add_f32_e32 v9, v11, v9
	v_mul_f32_e32 v10, 0x4b800000, v9
	v_cmp_gt_f32_e32 vcc, s7, v9
	v_cndmask_b32_e32 v9, v9, v10, vcc
	v_rsq_f32_e32 v9, v9
	s_waitcnt vmcnt(0)
	v_cvt_f32_u32_sdwa v13, v6 dst_sel:DWORD dst_unused:UNUSED_PAD src0_sel:WORD_1
	v_cvt_f32_u32_sdwa v12, v6 dst_sel:DWORD dst_unused:UNUSED_PAD src0_sel:WORD_0
	v_cvt_f32_u32_sdwa v15, v7 dst_sel:DWORD dst_unused:UNUSED_PAD src0_sel:WORD_1
	v_mul_f32_e32 v10, 0x45800000, v9
	v_cndmask_b32_e32 v10, v9, v10, vcc
	v_mov_b32_e32 v11, v10
	;;#ASMSTART
	v_pk_mul_f32 v[4:5], v[4:5], v[10:11]
	;;#ASMEND
	;;#ASMSTART
	v_pk_mul_f32 v[2:3], v[2:3], v[10:11]
	;;#ASMEND
	v_cvt_f32_u32_sdwa v14, v7 dst_sel:DWORD dst_unused:UNUSED_PAD src0_sel:WORD_0
	;;#ASMSTART
	v_pk_mul_f32 v[4:5], v[4:5], v[12:13]
	;;#ASMEND
	;;#ASMSTART
	v_pk_mul_f32 v[2:3], v[2:3], v[14:15]
	;;#ASMEND
.LBB284_5:
	s_or_b64 exec, exec, s[10:11]
	s_load_dword s7, s[4:5], 0x80
	s_mov_b64 s[10:11], -1
	s_and_b64 vcc, exec, s[2:3]
	s_cbranch_vccnz .LBB284_9
; %bb.6:
	s_andn2_b64 vcc, exec, s[10:11]
	s_cbranch_vccz .LBB284_12
.LBB284_7:
	s_cmp_lt_i32 s16, 1
	s_cbranch_scc0 .LBB284_21
.LBB284_8:
	s_endpgm
.LBB284_9:
	s_and_saveexec_b64 s[2:3], s[0:1]
	s_cbranch_execz .LBB284_11
; %bb.10:
	s_waitcnt lgkmcnt(0)
	s_mul_hi_i32 s11, s7, s6
	s_mul_i32 s10, s7, s6
	s_lshl_b64 s[10:11], s[10:11], 1
	s_add_u32 s20, s28, s10
	s_addc_u32 s10, s29, s11
	s_and_b32 s21, s10, 0xffff
	s_mov_b32 s10, 0x7060302
	s_mov_b32 s23, 0x20000
	s_waitcnt vmcnt(0)
	v_perm_b32 v6, v5, v4, s10
	v_perm_b32 v7, v3, v2, s10
	v_lshlrev_b32_e32 v9, 3, v0
	buffer_store_dwordx2 v[6:7], v9, s[20:23], 0 offen
	;;#ASMSTART
	s_nop 0
	;;#ASMEND
.LBB284_11:
	s_or_b64 exec, exec, s[2:3]
	s_cbranch_execnz .LBB284_7
.LBB284_12:
	s_load_dwordx4 s[24:27], s[4:5], 0x70
	s_waitcnt vmcnt(0)
	v_mov_b32_e32 v6, 0
	s_and_saveexec_b64 s[2:3], s[0:1]
	s_cbranch_execz .LBB284_14
; %bb.13:
	s_load_dwordx2 s[10:11], s[4:5], 0x10
	s_waitcnt lgkmcnt(0)
	s_mul_hi_i32 s21, s27, s6
	s_mul_i32 s20, s27, s6
	s_lshl_b64 s[20:21], s[20:21], 1
	s_mov_b32 s23, 0x20000
	s_add_u32 s20, s10, s20
	s_addc_u32 s10, s11, s21
	s_and_b32 s21, s10, 0xffff
	s_mov_b32 s10, 0x7060302
	v_perm_b32 v6, v5, v4, s10
	v_perm_b32 v7, v3, v2, s10
	v_lshlrev_b32_e32 v9, 3, v0
	buffer_store_dwordx2 v[6:7], v9, s[20:23], 0 offen
	v_mov_b32_e32 v6, 0x2edbe6ff
	;;#ASMSTART
	s_nop 0
	;;#ASMEND
.LBB284_14:
	s_or_b64 exec, exec, s[2:3]
	s_and_saveexec_b64 s[2:3], s[0:1]
	s_cbranch_execz .LBB284_16
; %bb.15:
	v_and_b32_e32 v7, 0x7fffffff, v4
	s_waitcnt lgkmcnt(0)
	v_and_b32_e32 v9, 0x7fffffff, v5
	;;#ASMSTART
	v_max3_f32 v6, v6, v7, v9

	;;#ASMEND
	v_and_b32_e32 v7, 0x7fffffff, v2
	v_and_b32_e32 v9, 0x7fffffff, v3
	;;#ASMSTART
	v_max3_f32 v6, v6, v7, v9

	;;#ASMEND
.LBB284_16:
	s_or_b64 exec, exec, s[2:3]
	;;#ASMSTART
	v_max_f32 v7, v6, v6 quad_perm:[1,0,3,2] row_mask:0xf bank_mask:0xf bound_ctrl:1
	;;#ASMEND
	;;#ASMSTART
	v_max_f32 v6, v7, v7 quad_perm:[2,3,0,1] row_mask:0xf bank_mask:0xf bound_ctrl:1
	;;#ASMEND
	;;#ASMSTART
	v_max_f32 v7, v6, v6 row_half_mirror row_mask:0xf bank_mask:0xf bound_ctrl:1
	;;#ASMEND
	;;#ASMSTART
	v_max_f32 v6, v7, v7 row_mirror row_mask:0xf bank_mask:0xf bound_ctrl:1
	;;#ASMEND
	v_and_b32_e32 v7, 15, v0
	v_cmp_eq_u32_e32 vcc, 0, v7
	v_cmp_gt_i32_e64 s[2:3], s15, v1
	v_mul_f32_e32 v6, 0x3b124925, v6
	s_and_b64 s[10:11], vcc, s[2:3]
	s_and_saveexec_b64 s[2:3], s[10:11]
	s_cbranch_execz .LBB284_18
; %bb.17:
	s_load_dwordx2 s[10:11], s[4:5], 0x8
	s_waitcnt lgkmcnt(0)
	s_mul_hi_i32 s21, s25, s6
	s_mul_i32 s20, s25, s6
	v_lshrrev_b32_e32 v7, 4, v0
	s_lshl_b64 s[20:21], s[20:21], 2
	v_mad_i64_i32 v[10:11], s[22:23], s26, v7, 0
	s_add_u32 s10, s10, s20
	s_addc_u32 s11, s11, s21
	v_lshlrev_b64 v[10:11], 2, v[10:11]
	v_mov_b32_e32 v7, s11
	v_add_co_u32_e32 v10, vcc, s10, v10
	v_addc_co_u32_e32 v11, vcc, v7, v11, vcc
	global_store_dword v[10:11], v6, off
.LBB284_18:
	s_or_b64 exec, exec, s[2:3]
	;;#ASMSTART
	v_rcp_f32 v6, v6
	;;#ASMEND
	s_and_saveexec_b64 s[2:3], s[0:1]
	s_cbranch_execz .LBB284_20
; %bb.19:
	s_load_dwordx2 s[0:1], s[4:5], 0x0
	s_waitcnt lgkmcnt(0)
	s_mul_i32 s11, s24, s6
	s_mul_hi_i32 s10, s24, s6
	v_mov_b32_e32 v7, v6
	;;#ASMSTART
	v_pk_mul_f32 v[4:5], v[4:5], v[6:7]
	;;#ASMEND
	s_add_u32 s20, s0, s11
	s_addc_u32 s0, s1, s10
	s_add_i32 s1, s15, 3
	s_ashr_i32 s10, s1, 31
	s_and_b32 s21, s0, 0xffff
	s_lshr_b32 s0, s10, 30
	v_mov_b32_e32 v9, 0xc3e00000
	v_mov_b32_e32 v10, 0x43e00000
	;;#ASMSTART
	v_med3_f32 v4, v4, v9, v10
v_med3_f32 v5, v5, v9, v10
v_cvt_pk_fp8_f32 v11, v4, v5
	;;#ASMEND
	;;#ASMSTART
	v_pk_mul_f32 v[2:3], v[2:3], v[6:7]
	;;#ASMEND
	s_add_i32 s1, s1, s0
	;;#ASMSTART
	v_med3_f32 v2, v2, v9, v10
v_med3_f32 v3, v3, v9, v10
v_cvt_pk_fp8_f32 v4, v2, v3
	;;#ASMEND
	s_mov_b32 s0, 0x5040100
	s_and_b32 s22, s1, -4
	s_mov_b32 s23, 0x20000
	v_perm_b32 v2, v4, v11, s0
	buffer_store_dword v2, v1, s[20:23], 0 offen
	;;#ASMSTART
	s_nop 0
	;;#ASMEND
.LBB284_20:
	s_or_b64 exec, exec, s[2:3]
	s_cmp_lt_i32 s16, 1
	s_cbranch_scc1 .LBB284_8
.LBB284_21:
	s_load_dword s0, s[4:5], 0x94
	s_waitcnt lgkmcnt(0)
	s_cmp_lg_u32 s0, 1
	s_cbranch_scc1 .LBB284_8
; %bb.22:
	s_lshl_b32 s0, s16, 1
	s_add_i32 s0, s0, 2
	v_cmp_gt_u32_e32 vcc, s16, v1
	s_and_b32 s10, s0, -4
	v_mov_b32_e32 v2, 0
	s_waitcnt vmcnt(0)
	v_lshlrev_b32_e32 v6, 3, v0
	v_mov_b32_e32 v3, 0
	v_mov_b32_e32 v0, 0
	;; [unrolled: 1-line block ×3, first 2 shown]
	s_barrier
	s_and_saveexec_b64 s[0:1], vcc
	s_cbranch_execz .LBB284_24
; %bb.23:
	s_mul_hi_i32 s3, s18, s6
	s_mul_i32 s2, s18, s6
	s_and_b32 s9, s9, 0xffff
	s_lshl_b64 s[2:3], s[2:3], 1
	s_add_u32 s20, s30, s2
	s_mov_b32 s11, 0x20000
	s_addc_u32 s2, s31, s3
	s_and_b32 s21, s2, 0xffff
	s_mov_b32 s22, s10
	s_mov_b32 s23, s11
	buffer_load_dwordx2 v[2:3], v6, s[20:23], 0 offen glc slc
	buffer_load_dwordx2 v[0:1], v6, s[8:11], 0 offen
.LBB284_24:
	s_or_b64 exec, exec, s[0:1]
	s_waitcnt vmcnt(1)
	v_cvt_f32_u32_sdwa v5, v3 dst_sel:DWORD dst_unused:UNUSED_PAD src0_sel:WORD_0
	v_cvt_f32_u32_sdwa v7, v2 dst_sel:DWORD dst_unused:UNUSED_PAD src0_sel:WORD_1
	v_cvt_f32_u32_sdwa v4, v3 dst_sel:DWORD dst_unused:UNUSED_PAD src0_sel:WORD_1
	v_cvt_f32_u32_sdwa v9, v2 dst_sel:DWORD dst_unused:UNUSED_PAD src0_sel:WORD_0
	v_cndmask_b32_e32 v2, 0, v5, vcc
	v_cndmask_b32_e32 v5, 0, v7, vcc
	;; [unrolled: 1-line block ×4, first 2 shown]
	v_mul_f32_e32 v7, v5, v5
	v_fmac_f32_e32 v7, v4, v4
	v_fmac_f32_e32 v7, v2, v2
	;; [unrolled: 1-line block ×3, first 2 shown]
	s_nop 1
	v_mov_b32_dpp v9, v7 quad_perm:[1,0,3,2] row_mask:0xf bank_mask:0xf
	v_add_f32_e32 v7, v7, v9
	s_nop 1
	v_mov_b32_dpp v9, v7 quad_perm:[2,3,0,1] row_mask:0xf bank_mask:0xf
	v_add_f32_e32 v7, v7, v9
	s_nop 1
	v_mov_b32_dpp v9, v7 row_half_mirror row_mask:0xf bank_mask:0xf
	v_add_f32_e32 v7, v7, v9
	s_nop 1
	v_mov_b32_dpp v9, v7 row_mirror row_mask:0xf bank_mask:0xf
	v_add_f32_e32 v7, v7, v9
	s_nop 1
	v_mov_b32_dpp v9, v7 row_bcast:15 row_mask:0xf bank_mask:0xf
	v_add_f32_e32 v7, v7, v9
	s_nop 1
	v_mov_b32_dpp v9, v7 row_bcast:31 row_mask:0xf bank_mask:0xf
	v_add_f32_e32 v7, v7, v9
	ds_bpermute_b32 v7, v8, v7
	s_and_saveexec_b64 s[0:1], vcc
	s_cbranch_execz .LBB284_8
; %bb.25:
	v_cvt_f32_u32_e32 v8, s16
	s_mov_b32 s11, 0x20000
	s_waitcnt lgkmcnt(0)
	v_div_scale_f32 v9, s[0:1], v8, v8, v7
	v_rcp_f32_e32 v10, v9
	v_div_scale_f32 v11, vcc, v7, v8, v7
	s_mov_b32 s0, 0x800000
	v_fma_f32 v12, -v9, v10, 1.0
	v_fmac_f32_e32 v10, v12, v10
	v_mul_f32_e32 v12, v11, v10
	v_fma_f32 v13, -v9, v12, v11
	v_fmac_f32_e32 v12, v13, v10
	v_fma_f32 v9, -v9, v12, v11
	v_div_fmas_f32 v9, v9, v10, v12
	v_div_fixup_f32 v7, v9, v8, v7
	v_add_f32_e32 v7, s13, v7
	v_mul_f32_e32 v8, 0x4b800000, v7
	v_cmp_gt_f32_e32 vcc, s0, v7
	v_cndmask_b32_e32 v7, v7, v8, vcc
	v_rsq_f32_e32 v7, v7
	s_mul_hi_i32 s1, s7, s6
	s_mul_i32 s0, s7, s6
	s_waitcnt vmcnt(0)
	v_cvt_f32_u32_sdwa v9, v0 dst_sel:DWORD dst_unused:UNUSED_PAD src0_sel:WORD_1
	v_cvt_f32_u32_sdwa v8, v0 dst_sel:DWORD dst_unused:UNUSED_PAD src0_sel:WORD_0
	v_mul_f32_e32 v0, 0x45800000, v7
	s_lshl_b64 s[0:1], s[0:1], 1
	v_cndmask_b32_e32 v12, v7, v0, vcc
	s_add_u32 s8, s28, s0
	v_cvt_f32_u32_sdwa v11, v1 dst_sel:DWORD dst_unused:UNUSED_PAD src0_sel:WORD_1
	v_mov_b32_e32 v13, v12
	v_cvt_f32_u32_sdwa v10, v1 dst_sel:DWORD dst_unused:UNUSED_PAD src0_sel:WORD_0
	;;#ASMSTART
	v_pk_mul_f32 v[0:1], v[4:5], v[12:13]
	;;#ASMEND
	s_addc_u32 s0, s29, s1
	;;#ASMSTART
	v_pk_mul_f32 v[2:3], v[2:3], v[12:13]
	;;#ASMEND
	;;#ASMSTART
	v_pk_mul_f32 v[0:1], v[0:1], v[8:9]
	;;#ASMEND
	s_and_b32 s9, s0, 0xffff
	s_mov_b32 s0, 0x7060302
	;;#ASMSTART
	v_pk_mul_f32 v[2:3], v[2:3], v[10:11]
	;;#ASMEND
	v_perm_b32 v0, v1, v0, s0
	v_perm_b32 v1, v3, v2, s0
	buffer_store_dwordx2 v[0:1], v6, s[8:11], 0 offen
	;;#ASMSTART
	s_nop 0
	;;#ASMEND
	s_endpgm
	.section	.rodata,"a",@progbits
	.p2align	6, 0x0
	.amdhsa_kernel _ZN5aiter35fused_qk_rmsnorm_group_quant_kernelItDB8_Li64ELi4ELi16ELb0ELb1ELb0ELb0ELb0ELb0EEEvPT0_PvPT_S6_S6_PKS5_S8_S8_S8_S8_ffiiiiiiiiiiiii
		.amdhsa_group_segment_fixed_size 0
		.amdhsa_private_segment_fixed_size 0
		.amdhsa_kernarg_size 400
		.amdhsa_user_sgpr_count 6
		.amdhsa_user_sgpr_private_segment_buffer 1
		.amdhsa_user_sgpr_dispatch_ptr 0
		.amdhsa_user_sgpr_queue_ptr 0
		.amdhsa_user_sgpr_kernarg_segment_ptr 1
		.amdhsa_user_sgpr_dispatch_id 0
		.amdhsa_user_sgpr_flat_scratch_init 0
		.amdhsa_user_sgpr_kernarg_preload_length 0
		.amdhsa_user_sgpr_kernarg_preload_offset 0
		.amdhsa_user_sgpr_private_segment_size 0
		.amdhsa_uses_dynamic_stack 0
		.amdhsa_system_sgpr_private_segment_wavefront_offset 0
		.amdhsa_system_sgpr_workgroup_id_x 1
		.amdhsa_system_sgpr_workgroup_id_y 1
		.amdhsa_system_sgpr_workgroup_id_z 0
		.amdhsa_system_sgpr_workgroup_info 0
		.amdhsa_system_vgpr_workitem_id 0
		.amdhsa_next_free_vgpr 17
		.amdhsa_next_free_sgpr 32
		.amdhsa_accum_offset 20
		.amdhsa_reserve_vcc 1
		.amdhsa_reserve_flat_scratch 0
		.amdhsa_float_round_mode_32 0
		.amdhsa_float_round_mode_16_64 0
		.amdhsa_float_denorm_mode_32 3
		.amdhsa_float_denorm_mode_16_64 3
		.amdhsa_dx10_clamp 1
		.amdhsa_ieee_mode 1
		.amdhsa_fp16_overflow 0
		.amdhsa_tg_split 0
		.amdhsa_exception_fp_ieee_invalid_op 0
		.amdhsa_exception_fp_denorm_src 0
		.amdhsa_exception_fp_ieee_div_zero 0
		.amdhsa_exception_fp_ieee_overflow 0
		.amdhsa_exception_fp_ieee_underflow 0
		.amdhsa_exception_fp_ieee_inexact 0
		.amdhsa_exception_int_div_zero 0
	.end_amdhsa_kernel
	.section	.text._ZN5aiter35fused_qk_rmsnorm_group_quant_kernelItDB8_Li64ELi4ELi16ELb0ELb1ELb0ELb0ELb0ELb0EEEvPT0_PvPT_S6_S6_PKS5_S8_S8_S8_S8_ffiiiiiiiiiiiii,"axG",@progbits,_ZN5aiter35fused_qk_rmsnorm_group_quant_kernelItDB8_Li64ELi4ELi16ELb0ELb1ELb0ELb0ELb0ELb0EEEvPT0_PvPT_S6_S6_PKS5_S8_S8_S8_S8_ffiiiiiiiiiiiii,comdat
.Lfunc_end284:
	.size	_ZN5aiter35fused_qk_rmsnorm_group_quant_kernelItDB8_Li64ELi4ELi16ELb0ELb1ELb0ELb0ELb0ELb0EEEvPT0_PvPT_S6_S6_PKS5_S8_S8_S8_S8_ffiiiiiiiiiiiii, .Lfunc_end284-_ZN5aiter35fused_qk_rmsnorm_group_quant_kernelItDB8_Li64ELi4ELi16ELb0ELb1ELb0ELb0ELb0ELb0EEEvPT0_PvPT_S6_S6_PKS5_S8_S8_S8_S8_ffiiiiiiiiiiiii
                                        ; -- End function
	.section	.AMDGPU.csdata,"",@progbits
; Kernel info:
; codeLenInByte = 1980
; NumSgprs: 36
; NumVgprs: 17
; NumAgprs: 0
; TotalNumVgprs: 17
; ScratchSize: 0
; MemoryBound: 0
; FloatMode: 240
; IeeeMode: 1
; LDSByteSize: 0 bytes/workgroup (compile time only)
; SGPRBlocks: 4
; VGPRBlocks: 2
; NumSGPRsForWavesPerEU: 36
; NumVGPRsForWavesPerEU: 17
; AccumOffset: 20
; Occupancy: 8
; WaveLimiterHint : 0
; COMPUTE_PGM_RSRC2:SCRATCH_EN: 0
; COMPUTE_PGM_RSRC2:USER_SGPR: 6
; COMPUTE_PGM_RSRC2:TRAP_HANDLER: 0
; COMPUTE_PGM_RSRC2:TGID_X_EN: 1
; COMPUTE_PGM_RSRC2:TGID_Y_EN: 1
; COMPUTE_PGM_RSRC2:TGID_Z_EN: 0
; COMPUTE_PGM_RSRC2:TIDIG_COMP_CNT: 0
; COMPUTE_PGM_RSRC3_GFX90A:ACCUM_OFFSET: 4
; COMPUTE_PGM_RSRC3_GFX90A:TG_SPLIT: 0
	.section	.text._ZN5aiter35fused_qk_rmsnorm_group_quant_kernelIDF16_DB8_Li64ELi4ELi16ELb0ELb0ELb1ELb0ELb0ELb0EEEvPT0_PvPT_S6_S6_PKS5_S8_S8_S8_S8_ffiiiiiiiiiiiii,"axG",@progbits,_ZN5aiter35fused_qk_rmsnorm_group_quant_kernelIDF16_DB8_Li64ELi4ELi16ELb0ELb0ELb1ELb0ELb0ELb0EEEvPT0_PvPT_S6_S6_PKS5_S8_S8_S8_S8_ffiiiiiiiiiiiii,comdat
	.protected	_ZN5aiter35fused_qk_rmsnorm_group_quant_kernelIDF16_DB8_Li64ELi4ELi16ELb0ELb0ELb1ELb0ELb0ELb0EEEvPT0_PvPT_S6_S6_PKS5_S8_S8_S8_S8_ffiiiiiiiiiiiii ; -- Begin function _ZN5aiter35fused_qk_rmsnorm_group_quant_kernelIDF16_DB8_Li64ELi4ELi16ELb0ELb0ELb1ELb0ELb0ELb0EEEvPT0_PvPT_S6_S6_PKS5_S8_S8_S8_S8_ffiiiiiiiiiiiii
	.globl	_ZN5aiter35fused_qk_rmsnorm_group_quant_kernelIDF16_DB8_Li64ELi4ELi16ELb0ELb0ELb1ELb0ELb0ELb0EEEvPT0_PvPT_S6_S6_PKS5_S8_S8_S8_S8_ffiiiiiiiiiiiii
	.p2align	8
	.type	_ZN5aiter35fused_qk_rmsnorm_group_quant_kernelIDF16_DB8_Li64ELi4ELi16ELb0ELb0ELb1ELb0ELb0ELb0EEEvPT0_PvPT_S6_S6_PKS5_S8_S8_S8_S8_ffiiiiiiiiiiiii,@function
_ZN5aiter35fused_qk_rmsnorm_group_quant_kernelIDF16_DB8_Li64ELi4ELi16ELb0ELb0ELb1ELb0ELb0ELb0EEEvPT0_PvPT_S6_S6_PKS5_S8_S8_S8_S8_ffiiiiiiiiiiiii: ; @_ZN5aiter35fused_qk_rmsnorm_group_quant_kernelIDF16_DB8_Li64ELi4ELi16ELb0ELb0ELb1ELb0ELb0ELb0EEEvPT0_PvPT_S6_S6_PKS5_S8_S8_S8_S8_ffiiiiiiiiiiiii
; %bb.0:
	s_load_dwordx4 s[12:15], s[4:5], 0x50
	s_waitcnt lgkmcnt(0)
	s_cmp_ge_i32 s6, s14
	s_cbranch_scc1 .LBB285_8
; %bb.1:
	s_load_dwordx2 s[8:9], s[4:5], 0x48
	s_load_dwordx2 s[26:27], s[4:5], 0x30
	s_load_dwordx4 s[16:19], s[4:5], 0x60
	s_cmp_lg_u32 s7, 0
	s_cselect_b64 s[2:3], -1, 0
	s_cmp_eq_u32 s7, 0
	s_cselect_b64 vcc, -1, 0
	s_and_b64 s[0:1], vcc, exec
	s_waitcnt lgkmcnt(0)
	s_cselect_b32 s7, s15, s16
	s_add_i32 s0, s7, 1
	s_lshr_b32 s1, s0, 31
	s_add_i32 s0, s0, s1
	s_lshl_b32 s0, s0, 1
	v_lshlrev_b32_e32 v1, 2, v0
	s_and_b32 s22, s0, -4
	v_cmp_gt_i32_e64 s[0:1], s7, v1
	v_mov_b32_e32 v6, 0
	v_mov_b32_e32 v7, 0
	;; [unrolled: 1-line block ×4, first 2 shown]
	s_and_saveexec_b64 s[10:11], s[0:1]
	s_cbranch_execz .LBB285_3
; %bb.2:
	s_load_dwordx2 s[20:21], s[4:5], 0x28
	s_load_dwordx2 s[24:25], s[4:5], 0x40
	s_and_b64 s[28:29], vcc, exec
	s_cselect_b32 s14, s17, s18
	s_mov_b32 s23, 0x20000
	s_waitcnt lgkmcnt(0)
	s_cselect_b32 s17, s21, s27
	s_cselect_b32 s19, s20, s26
	s_mul_hi_i32 s21, s14, s6
	s_mul_i32 s20, s14, s6
	s_lshl_b64 s[20:21], s[20:21], 1
	s_add_u32 s28, s19, s20
	s_addc_u32 s14, s17, s21
	s_and_b64 s[20:21], vcc, exec
	s_cselect_b32 s20, s24, s8
	s_cselect_b32 s17, s25, s9
	v_lshlrev_b32_e32 v4, 3, v0
	s_and_b32 s29, s14, 0xffff
	s_mov_b32 s30, s22
	s_mov_b32 s31, s23
	s_and_b32 s21, s17, 0xffff
	buffer_load_dwordx2 v[2:3], v4, s[28:31], 0 offen glc slc
	buffer_load_dwordx2 v[6:7], v4, s[20:23], 0 offen
.LBB285_3:
	s_or_b64 exec, exec, s[10:11]
	s_waitcnt vmcnt(1)
	v_cvt_f32_f16_e32 v4, v3
	v_cvt_f32_f16_e32 v5, v2
	v_cvt_f32_f16_sdwa v8, v2 dst_sel:DWORD dst_unused:UNUSED_PAD src0_sel:WORD_1
	v_cvt_f32_f16_sdwa v3, v3 dst_sel:DWORD dst_unused:UNUSED_PAD src0_sel:WORD_1
	v_cndmask_b32_e64 v2, 0, v4, s[0:1]
	v_cndmask_b32_e64 v4, 0, v5, s[0:1]
	;; [unrolled: 1-line block ×3, first 2 shown]
	v_mul_f32_e32 v8, v5, v5
	v_fmac_f32_e32 v8, v4, v4
	v_cndmask_b32_e64 v3, 0, v3, s[0:1]
	v_fmac_f32_e32 v8, v2, v2
	v_fmac_f32_e32 v8, v3, v3
	v_bfrev_b32_e32 v10, 0.5
	s_load_dwordx2 s[24:25], s[4:5], 0x18
	v_mov_b32_dpp v9, v8 quad_perm:[1,0,3,2] row_mask:0xf bank_mask:0xf
	v_add_f32_e32 v8, v8, v9
	s_nop 1
	v_mov_b32_dpp v9, v8 quad_perm:[2,3,0,1] row_mask:0xf bank_mask:0xf
	v_add_f32_e32 v8, v8, v9
	s_nop 1
	v_mov_b32_dpp v9, v8 row_half_mirror row_mask:0xf bank_mask:0xf
	v_add_f32_e32 v8, v8, v9
	s_nop 1
	v_mov_b32_dpp v9, v8 row_mirror row_mask:0xf bank_mask:0xf
	v_add_f32_e32 v8, v8, v9
	s_nop 1
	v_mov_b32_dpp v9, v8 row_bcast:15 row_mask:0xf bank_mask:0xf
	v_add_f32_e32 v8, v8, v9
	s_nop 1
	v_mov_b32_dpp v9, v8 row_bcast:31 row_mask:0xf bank_mask:0xf
	v_add_f32_e32 v9, v8, v9
	v_mbcnt_lo_u32_b32 v8, -1, 0
	v_mbcnt_hi_u32_b32 v8, -1, v8
	v_lshl_or_b32 v8, v8, 2, v10
	ds_bpermute_b32 v9, v8, v9
	s_and_saveexec_b64 s[10:11], s[0:1]
	s_cbranch_execz .LBB285_5
; %bb.4:
	v_cvt_f32_u32_e32 v10, s7
	v_mov_b32_e32 v11, s13
	v_mov_b32_e32 v12, s12
	v_cndmask_b32_e32 v11, v11, v12, vcc
	s_waitcnt lgkmcnt(0)
	v_div_scale_f32 v13, s[20:21], v10, v10, v9
	v_rcp_f32_e32 v14, v13
	v_div_scale_f32 v12, vcc, v9, v10, v9
	s_mov_b32 s7, 0x800000
	v_fma_f32 v15, -v13, v14, 1.0
	v_fmac_f32_e32 v14, v15, v14
	v_mul_f32_e32 v15, v12, v14
	v_fma_f32 v16, -v13, v15, v12
	v_fmac_f32_e32 v15, v16, v14
	v_fma_f32 v12, -v13, v15, v12
	v_div_fmas_f32 v12, v12, v14, v15
	v_div_fixup_f32 v9, v12, v10, v9
	v_add_f32_e32 v9, v11, v9
	v_mul_f32_e32 v10, 0x4b800000, v9
	v_cmp_gt_f32_e32 vcc, s7, v9
	v_cndmask_b32_e32 v9, v9, v10, vcc
	v_rsq_f32_e32 v9, v9
	s_waitcnt vmcnt(0)
	v_cvt_f32_f16_sdwa v13, v6 dst_sel:DWORD dst_unused:UNUSED_PAD src0_sel:WORD_1
	v_cvt_f32_f16_e32 v12, v6
	v_cvt_f32_f16_sdwa v15, v7 dst_sel:DWORD dst_unused:UNUSED_PAD src0_sel:WORD_1
	v_cvt_f32_f16_e32 v14, v7
	v_mul_f32_e32 v10, 0x45800000, v9
	v_cndmask_b32_e32 v10, v9, v10, vcc
	v_mov_b32_e32 v11, v10
	;;#ASMSTART
	v_pk_mul_f32 v[4:5], v[4:5], v[10:11]
	;;#ASMEND
	;;#ASMSTART
	v_pk_mul_f32 v[2:3], v[2:3], v[10:11]
	;;#ASMEND
	v_pk_add_f32 v[6:7], v[12:13], 1.0 op_sel_hi:[1,0]
	;;#ASMSTART
	v_pk_mul_f32 v[4:5], v[4:5], v[6:7]
	;;#ASMEND
	v_pk_add_f32 v[6:7], v[14:15], 1.0 op_sel_hi:[1,0]
	;;#ASMSTART
	v_pk_mul_f32 v[2:3], v[2:3], v[6:7]
	;;#ASMEND
.LBB285_5:
	s_or_b64 exec, exec, s[10:11]
	s_load_dword s7, s[4:5], 0x80
	s_mov_b64 s[10:11], -1
	s_and_b64 vcc, exec, s[2:3]
	s_cbranch_vccnz .LBB285_9
; %bb.6:
	s_andn2_b64 vcc, exec, s[10:11]
	s_cbranch_vccz .LBB285_12
.LBB285_7:
	s_cmp_lt_i32 s16, 1
	s_cbranch_scc0 .LBB285_19
.LBB285_8:
	s_endpgm
.LBB285_9:
	s_and_saveexec_b64 s[2:3], s[0:1]
	s_cbranch_execz .LBB285_11
; %bb.10:
	s_waitcnt lgkmcnt(0)
	s_mul_hi_i32 s11, s7, s6
	s_mul_i32 s10, s7, s6
	s_waitcnt vmcnt(0)
	v_cvt_f16_f32_e32 v6, v4
	v_cvt_f16_f32_e32 v7, v2
	;; [unrolled: 1-line block ×4, first 2 shown]
	s_lshl_b64 s[10:11], s[10:11], 1
	s_add_u32 s20, s24, s10
	s_addc_u32 s10, s25, s11
	s_and_b32 s21, s10, 0xffff
	s_mov_b32 s23, 0x20000
	v_pack_b32_f16 v7, v7, v9
	v_pack_b32_f16 v6, v6, v10
	v_lshlrev_b32_e32 v9, 3, v0
	buffer_store_dwordx2 v[6:7], v9, s[20:23], 0 offen
	;;#ASMSTART
	s_nop 0
	;;#ASMEND
.LBB285_11:
	s_or_b64 exec, exec, s[2:3]
	s_cbranch_execnz .LBB285_7
.LBB285_12:
	s_waitcnt vmcnt(0)
	v_mov_b32_e32 v6, 0
	s_and_saveexec_b64 s[2:3], s[0:1]
	s_cbranch_execz .LBB285_14
; %bb.13:
	v_and_b32_e32 v6, 0x7fffffff, v4
	v_and_b32_e32 v7, 0x7fffffff, v5
	s_waitcnt lgkmcnt(0)
	v_mov_b32_e32 v9, 0x2edbe6ff
	;;#ASMSTART
	v_max3_f32 v6, v9, v6, v7

	;;#ASMEND
	v_and_b32_e32 v7, 0x7fffffff, v2
	v_and_b32_e32 v9, 0x7fffffff, v3
	;;#ASMSTART
	v_max3_f32 v6, v6, v7, v9

	;;#ASMEND
.LBB285_14:
	s_or_b64 exec, exec, s[2:3]
	s_load_dwordx4 s[20:23], s[4:5], 0x70
	;;#ASMSTART
	v_max_f32 v7, v6, v6 quad_perm:[1,0,3,2] row_mask:0xf bank_mask:0xf bound_ctrl:1
	;;#ASMEND
	;;#ASMSTART
	v_max_f32 v6, v7, v7 quad_perm:[2,3,0,1] row_mask:0xf bank_mask:0xf bound_ctrl:1
	;;#ASMEND
	;;#ASMSTART
	v_max_f32 v7, v6, v6 row_half_mirror row_mask:0xf bank_mask:0xf bound_ctrl:1
	;;#ASMEND
	;;#ASMSTART
	v_max_f32 v6, v7, v7 row_mirror row_mask:0xf bank_mask:0xf bound_ctrl:1
	;;#ASMEND
	v_and_b32_e32 v7, 15, v0
	v_cmp_eq_u32_e32 vcc, 0, v7
	v_cmp_gt_i32_e64 s[2:3], s15, v1
	v_mul_f32_e32 v6, 0x3b124925, v6
	s_and_b64 s[10:11], vcc, s[2:3]
	s_and_saveexec_b64 s[2:3], s[10:11]
	s_cbranch_execz .LBB285_16
; %bb.15:
	s_load_dwordx2 s[10:11], s[4:5], 0x8
	v_lshrrev_b32_e32 v7, 4, v0
	s_waitcnt lgkmcnt(0)
	s_mul_hi_i32 s29, s21, s6
	s_mul_i32 s28, s21, s6
	v_mad_i64_i32 v[10:11], s[22:23], s22, v7, 0
	s_lshl_b64 s[22:23], s[28:29], 2
	s_add_u32 s10, s10, s22
	s_addc_u32 s11, s11, s23
	v_lshlrev_b64 v[10:11], 2, v[10:11]
	v_mov_b32_e32 v7, s11
	v_add_co_u32_e32 v10, vcc, s10, v10
	v_addc_co_u32_e32 v11, vcc, v7, v11, vcc
	global_store_dword v[10:11], v6, off
.LBB285_16:
	s_or_b64 exec, exec, s[2:3]
	;;#ASMSTART
	v_rcp_f32 v6, v6
	;;#ASMEND
	s_and_saveexec_b64 s[2:3], s[0:1]
	s_cbranch_execz .LBB285_18
; %bb.17:
	s_load_dwordx2 s[0:1], s[4:5], 0x0
	s_waitcnt lgkmcnt(0)
	s_mul_i32 s11, s20, s6
	s_mul_hi_i32 s10, s20, s6
	v_mov_b32_e32 v7, v6
	;;#ASMSTART
	v_pk_mul_f32 v[4:5], v[4:5], v[6:7]
	;;#ASMEND
	s_add_u32 s20, s0, s11
	s_addc_u32 s0, s1, s10
	s_add_i32 s1, s15, 3
	s_ashr_i32 s10, s1, 31
	s_and_b32 s21, s0, 0xffff
	s_lshr_b32 s0, s10, 30
	v_mov_b32_e32 v9, 0xc3e00000
	v_mov_b32_e32 v10, 0x43e00000
	;;#ASMSTART
	v_med3_f32 v4, v4, v9, v10
v_med3_f32 v5, v5, v9, v10
v_cvt_pk_fp8_f32 v11, v4, v5
	;;#ASMEND
	;;#ASMSTART
	v_pk_mul_f32 v[2:3], v[2:3], v[6:7]
	;;#ASMEND
	s_add_i32 s1, s1, s0
	;;#ASMSTART
	v_med3_f32 v2, v2, v9, v10
v_med3_f32 v3, v3, v9, v10
v_cvt_pk_fp8_f32 v4, v2, v3
	;;#ASMEND
	s_mov_b32 s0, 0x5040100
	s_and_b32 s22, s1, -4
	s_mov_b32 s23, 0x20000
	v_perm_b32 v2, v4, v11, s0
	buffer_store_dword v2, v1, s[20:23], 0 offen
	;;#ASMSTART
	s_nop 0
	;;#ASMEND
.LBB285_18:
	s_or_b64 exec, exec, s[2:3]
	s_cmp_lt_i32 s16, 1
	s_cbranch_scc1 .LBB285_8
.LBB285_19:
	s_load_dword s0, s[4:5], 0x94
	s_waitcnt lgkmcnt(0)
	s_cmp_lg_u32 s0, 1
	s_cbranch_scc1 .LBB285_8
; %bb.20:
	s_lshl_b32 s0, s16, 1
	s_add_i32 s0, s0, 2
	v_cmp_gt_u32_e32 vcc, s16, v1
	s_and_b32 s10, s0, -4
	v_mov_b32_e32 v2, 0
	s_waitcnt vmcnt(0)
	v_lshlrev_b32_e32 v6, 3, v0
	v_mov_b32_e32 v3, 0
	v_mov_b32_e32 v0, 0
	;; [unrolled: 1-line block ×3, first 2 shown]
	s_barrier
	s_and_saveexec_b64 s[0:1], vcc
	s_cbranch_execz .LBB285_22
; %bb.21:
	s_mul_hi_i32 s3, s18, s6
	s_mul_i32 s2, s18, s6
	s_and_b32 s9, s9, 0xffff
	s_lshl_b64 s[2:3], s[2:3], 1
	s_add_u32 s20, s26, s2
	s_mov_b32 s11, 0x20000
	s_addc_u32 s2, s27, s3
	s_and_b32 s21, s2, 0xffff
	s_mov_b32 s22, s10
	s_mov_b32 s23, s11
	buffer_load_dwordx2 v[2:3], v6, s[20:23], 0 offen glc slc
	buffer_load_dwordx2 v[0:1], v6, s[8:11], 0 offen
.LBB285_22:
	s_or_b64 exec, exec, s[0:1]
	s_waitcnt vmcnt(1)
	v_cvt_f32_f16_e32 v4, v3
	v_cvt_f32_f16_e32 v5, v2
	v_cvt_f32_f16_sdwa v7, v2 dst_sel:DWORD dst_unused:UNUSED_PAD src0_sel:WORD_1
	v_cvt_f32_f16_sdwa v3, v3 dst_sel:DWORD dst_unused:UNUSED_PAD src0_sel:WORD_1
	v_cndmask_b32_e32 v2, 0, v4, vcc
	v_cndmask_b32_e32 v4, 0, v5, vcc
	;; [unrolled: 1-line block ×3, first 2 shown]
	v_mul_f32_e32 v7, v5, v5
	v_fmac_f32_e32 v7, v4, v4
	v_cndmask_b32_e32 v3, 0, v3, vcc
	v_fmac_f32_e32 v7, v2, v2
	v_fmac_f32_e32 v7, v3, v3
	s_nop 1
	v_mov_b32_dpp v9, v7 quad_perm:[1,0,3,2] row_mask:0xf bank_mask:0xf
	v_add_f32_e32 v7, v7, v9
	s_nop 1
	v_mov_b32_dpp v9, v7 quad_perm:[2,3,0,1] row_mask:0xf bank_mask:0xf
	v_add_f32_e32 v7, v7, v9
	s_nop 1
	v_mov_b32_dpp v9, v7 row_half_mirror row_mask:0xf bank_mask:0xf
	v_add_f32_e32 v7, v7, v9
	s_nop 1
	v_mov_b32_dpp v9, v7 row_mirror row_mask:0xf bank_mask:0xf
	v_add_f32_e32 v7, v7, v9
	s_nop 1
	v_mov_b32_dpp v9, v7 row_bcast:15 row_mask:0xf bank_mask:0xf
	v_add_f32_e32 v7, v7, v9
	s_nop 1
	v_mov_b32_dpp v9, v7 row_bcast:31 row_mask:0xf bank_mask:0xf
	v_add_f32_e32 v7, v7, v9
	ds_bpermute_b32 v7, v8, v7
	s_and_saveexec_b64 s[0:1], vcc
	s_cbranch_execz .LBB285_8
; %bb.23:
	v_cvt_f32_u32_e32 v8, s16
	s_mov_b32 s11, 0x20000
	s_waitcnt lgkmcnt(0)
	v_div_scale_f32 v9, s[0:1], v8, v8, v7
	v_rcp_f32_e32 v10, v9
	v_div_scale_f32 v11, vcc, v7, v8, v7
	s_mov_b32 s0, 0x800000
	v_fma_f32 v12, -v9, v10, 1.0
	v_fmac_f32_e32 v10, v12, v10
	v_mul_f32_e32 v12, v11, v10
	v_fma_f32 v13, -v9, v12, v11
	v_fmac_f32_e32 v12, v13, v10
	v_fma_f32 v9, -v9, v12, v11
	v_div_fmas_f32 v9, v9, v10, v12
	v_div_fixup_f32 v7, v9, v8, v7
	v_add_f32_e32 v7, s13, v7
	v_mul_f32_e32 v8, 0x4b800000, v7
	v_cmp_gt_f32_e32 vcc, s0, v7
	v_cndmask_b32_e32 v7, v7, v8, vcc
	v_rsq_f32_e32 v7, v7
	s_waitcnt vmcnt(0)
	v_cvt_f32_f16_sdwa v9, v0 dst_sel:DWORD dst_unused:UNUSED_PAD src0_sel:WORD_1
	v_cvt_f32_f16_e32 v8, v0
	v_cvt_f32_f16_sdwa v11, v1 dst_sel:DWORD dst_unused:UNUSED_PAD src0_sel:WORD_1
	v_cvt_f32_f16_e32 v10, v1
	v_mul_f32_e32 v0, 0x45800000, v7
	v_cndmask_b32_e32 v12, v7, v0, vcc
	v_mov_b32_e32 v13, v12
	;;#ASMSTART
	v_pk_mul_f32 v[4:5], v[4:5], v[12:13]
	;;#ASMEND
	;;#ASMSTART
	v_pk_mul_f32 v[0:1], v[2:3], v[12:13]
	;;#ASMEND
	v_pk_add_f32 v[2:3], v[8:9], 1.0 op_sel_hi:[1,0]
	;;#ASMSTART
	v_pk_mul_f32 v[2:3], v[4:5], v[2:3]
	;;#ASMEND
	v_pk_add_f32 v[4:5], v[10:11], 1.0 op_sel_hi:[1,0]
	;;#ASMSTART
	v_pk_mul_f32 v[0:1], v[0:1], v[4:5]
	;;#ASMEND
	s_mul_hi_i32 s1, s7, s6
	s_mul_i32 s0, s7, s6
	v_cvt_f16_f32_e32 v2, v2
	v_cvt_f16_f32_e32 v3, v3
	;; [unrolled: 1-line block ×4, first 2 shown]
	s_lshl_b64 s[0:1], s[0:1], 1
	s_add_u32 s8, s24, s0
	s_addc_u32 s0, s25, s1
	s_and_b32 s9, s0, 0xffff
	v_pack_b32_f16 v0, v2, v3
	v_pack_b32_f16 v1, v4, v1
	buffer_store_dwordx2 v[0:1], v6, s[8:11], 0 offen
	;;#ASMSTART
	s_nop 0
	;;#ASMEND
	s_endpgm
	.section	.rodata,"a",@progbits
	.p2align	6, 0x0
	.amdhsa_kernel _ZN5aiter35fused_qk_rmsnorm_group_quant_kernelIDF16_DB8_Li64ELi4ELi16ELb0ELb0ELb1ELb0ELb0ELb0EEEvPT0_PvPT_S6_S6_PKS5_S8_S8_S8_S8_ffiiiiiiiiiiiii
		.amdhsa_group_segment_fixed_size 0
		.amdhsa_private_segment_fixed_size 0
		.amdhsa_kernarg_size 400
		.amdhsa_user_sgpr_count 6
		.amdhsa_user_sgpr_private_segment_buffer 1
		.amdhsa_user_sgpr_dispatch_ptr 0
		.amdhsa_user_sgpr_queue_ptr 0
		.amdhsa_user_sgpr_kernarg_segment_ptr 1
		.amdhsa_user_sgpr_dispatch_id 0
		.amdhsa_user_sgpr_flat_scratch_init 0
		.amdhsa_user_sgpr_kernarg_preload_length 0
		.amdhsa_user_sgpr_kernarg_preload_offset 0
		.amdhsa_user_sgpr_private_segment_size 0
		.amdhsa_uses_dynamic_stack 0
		.amdhsa_system_sgpr_private_segment_wavefront_offset 0
		.amdhsa_system_sgpr_workgroup_id_x 1
		.amdhsa_system_sgpr_workgroup_id_y 1
		.amdhsa_system_sgpr_workgroup_id_z 0
		.amdhsa_system_sgpr_workgroup_info 0
		.amdhsa_system_vgpr_workitem_id 0
		.amdhsa_next_free_vgpr 17
		.amdhsa_next_free_sgpr 32
		.amdhsa_accum_offset 20
		.amdhsa_reserve_vcc 1
		.amdhsa_reserve_flat_scratch 0
		.amdhsa_float_round_mode_32 0
		.amdhsa_float_round_mode_16_64 0
		.amdhsa_float_denorm_mode_32 3
		.amdhsa_float_denorm_mode_16_64 3
		.amdhsa_dx10_clamp 1
		.amdhsa_ieee_mode 1
		.amdhsa_fp16_overflow 0
		.amdhsa_tg_split 0
		.amdhsa_exception_fp_ieee_invalid_op 0
		.amdhsa_exception_fp_denorm_src 0
		.amdhsa_exception_fp_ieee_div_zero 0
		.amdhsa_exception_fp_ieee_overflow 0
		.amdhsa_exception_fp_ieee_underflow 0
		.amdhsa_exception_fp_ieee_inexact 0
		.amdhsa_exception_int_div_zero 0
	.end_amdhsa_kernel
	.section	.text._ZN5aiter35fused_qk_rmsnorm_group_quant_kernelIDF16_DB8_Li64ELi4ELi16ELb0ELb0ELb1ELb0ELb0ELb0EEEvPT0_PvPT_S6_S6_PKS5_S8_S8_S8_S8_ffiiiiiiiiiiiii,"axG",@progbits,_ZN5aiter35fused_qk_rmsnorm_group_quant_kernelIDF16_DB8_Li64ELi4ELi16ELb0ELb0ELb1ELb0ELb0ELb0EEEvPT0_PvPT_S6_S6_PKS5_S8_S8_S8_S8_ffiiiiiiiiiiiii,comdat
.Lfunc_end285:
	.size	_ZN5aiter35fused_qk_rmsnorm_group_quant_kernelIDF16_DB8_Li64ELi4ELi16ELb0ELb0ELb1ELb0ELb0ELb0EEEvPT0_PvPT_S6_S6_PKS5_S8_S8_S8_S8_ffiiiiiiiiiiiii, .Lfunc_end285-_ZN5aiter35fused_qk_rmsnorm_group_quant_kernelIDF16_DB8_Li64ELi4ELi16ELb0ELb0ELb1ELb0ELb0ELb0EEEvPT0_PvPT_S6_S6_PKS5_S8_S8_S8_S8_ffiiiiiiiiiiiii
                                        ; -- End function
	.section	.AMDGPU.csdata,"",@progbits
; Kernel info:
; codeLenInByte = 1892
; NumSgprs: 36
; NumVgprs: 17
; NumAgprs: 0
; TotalNumVgprs: 17
; ScratchSize: 0
; MemoryBound: 0
; FloatMode: 240
; IeeeMode: 1
; LDSByteSize: 0 bytes/workgroup (compile time only)
; SGPRBlocks: 4
; VGPRBlocks: 2
; NumSGPRsForWavesPerEU: 36
; NumVGPRsForWavesPerEU: 17
; AccumOffset: 20
; Occupancy: 8
; WaveLimiterHint : 0
; COMPUTE_PGM_RSRC2:SCRATCH_EN: 0
; COMPUTE_PGM_RSRC2:USER_SGPR: 6
; COMPUTE_PGM_RSRC2:TRAP_HANDLER: 0
; COMPUTE_PGM_RSRC2:TGID_X_EN: 1
; COMPUTE_PGM_RSRC2:TGID_Y_EN: 1
; COMPUTE_PGM_RSRC2:TGID_Z_EN: 0
; COMPUTE_PGM_RSRC2:TIDIG_COMP_CNT: 0
; COMPUTE_PGM_RSRC3_GFX90A:ACCUM_OFFSET: 4
; COMPUTE_PGM_RSRC3_GFX90A:TG_SPLIT: 0
	.section	.text._ZN5aiter35fused_qk_rmsnorm_group_quant_kernelItDB8_Li64ELi4ELi16ELb0ELb0ELb1ELb0ELb0ELb0EEEvPT0_PvPT_S6_S6_PKS5_S8_S8_S8_S8_ffiiiiiiiiiiiii,"axG",@progbits,_ZN5aiter35fused_qk_rmsnorm_group_quant_kernelItDB8_Li64ELi4ELi16ELb0ELb0ELb1ELb0ELb0ELb0EEEvPT0_PvPT_S6_S6_PKS5_S8_S8_S8_S8_ffiiiiiiiiiiiii,comdat
	.protected	_ZN5aiter35fused_qk_rmsnorm_group_quant_kernelItDB8_Li64ELi4ELi16ELb0ELb0ELb1ELb0ELb0ELb0EEEvPT0_PvPT_S6_S6_PKS5_S8_S8_S8_S8_ffiiiiiiiiiiiii ; -- Begin function _ZN5aiter35fused_qk_rmsnorm_group_quant_kernelItDB8_Li64ELi4ELi16ELb0ELb0ELb1ELb0ELb0ELb0EEEvPT0_PvPT_S6_S6_PKS5_S8_S8_S8_S8_ffiiiiiiiiiiiii
	.globl	_ZN5aiter35fused_qk_rmsnorm_group_quant_kernelItDB8_Li64ELi4ELi16ELb0ELb0ELb1ELb0ELb0ELb0EEEvPT0_PvPT_S6_S6_PKS5_S8_S8_S8_S8_ffiiiiiiiiiiiii
	.p2align	8
	.type	_ZN5aiter35fused_qk_rmsnorm_group_quant_kernelItDB8_Li64ELi4ELi16ELb0ELb0ELb1ELb0ELb0ELb0EEEvPT0_PvPT_S6_S6_PKS5_S8_S8_S8_S8_ffiiiiiiiiiiiii,@function
_ZN5aiter35fused_qk_rmsnorm_group_quant_kernelItDB8_Li64ELi4ELi16ELb0ELb0ELb1ELb0ELb0ELb0EEEvPT0_PvPT_S6_S6_PKS5_S8_S8_S8_S8_ffiiiiiiiiiiiii: ; @_ZN5aiter35fused_qk_rmsnorm_group_quant_kernelItDB8_Li64ELi4ELi16ELb0ELb0ELb1ELb0ELb0ELb0EEEvPT0_PvPT_S6_S6_PKS5_S8_S8_S8_S8_ffiiiiiiiiiiiii
; %bb.0:
	s_load_dwordx4 s[12:15], s[4:5], 0x50
	s_waitcnt lgkmcnt(0)
	s_cmp_ge_i32 s6, s14
	s_cbranch_scc1 .LBB286_8
; %bb.1:
	s_load_dwordx2 s[8:9], s[4:5], 0x48
	s_load_dwordx2 s[26:27], s[4:5], 0x30
	s_load_dwordx4 s[16:19], s[4:5], 0x60
	s_cmp_lg_u32 s7, 0
	s_cselect_b64 s[2:3], -1, 0
	s_cmp_eq_u32 s7, 0
	s_cselect_b64 vcc, -1, 0
	s_and_b64 s[0:1], vcc, exec
	s_waitcnt lgkmcnt(0)
	s_cselect_b32 s7, s15, s16
	s_add_i32 s0, s7, 1
	s_lshr_b32 s1, s0, 31
	s_add_i32 s0, s0, s1
	s_lshl_b32 s0, s0, 1
	v_lshlrev_b32_e32 v1, 2, v0
	s_and_b32 s22, s0, -4
	v_cmp_gt_i32_e64 s[0:1], s7, v1
	v_mov_b32_e32 v6, 0
	v_mov_b32_e32 v7, 0
	;; [unrolled: 1-line block ×4, first 2 shown]
	s_and_saveexec_b64 s[10:11], s[0:1]
	s_cbranch_execz .LBB286_3
; %bb.2:
	s_load_dwordx2 s[20:21], s[4:5], 0x28
	s_load_dwordx2 s[24:25], s[4:5], 0x40
	s_and_b64 s[28:29], vcc, exec
	s_cselect_b32 s14, s17, s18
	s_mov_b32 s23, 0x20000
	s_waitcnt lgkmcnt(0)
	s_cselect_b32 s17, s21, s27
	s_cselect_b32 s19, s20, s26
	s_mul_hi_i32 s21, s14, s6
	s_mul_i32 s20, s14, s6
	s_lshl_b64 s[20:21], s[20:21], 1
	s_add_u32 s28, s19, s20
	s_addc_u32 s14, s17, s21
	s_and_b64 s[20:21], vcc, exec
	s_cselect_b32 s20, s24, s8
	s_cselect_b32 s17, s25, s9
	v_lshlrev_b32_e32 v4, 3, v0
	s_and_b32 s29, s14, 0xffff
	s_mov_b32 s30, s22
	s_mov_b32 s31, s23
	s_and_b32 s21, s17, 0xffff
	buffer_load_dwordx2 v[2:3], v4, s[28:31], 0 offen glc slc
	buffer_load_dwordx2 v[6:7], v4, s[20:23], 0 offen
.LBB286_3:
	s_or_b64 exec, exec, s[10:11]
	s_waitcnt vmcnt(1)
	v_cvt_f32_u32_sdwa v5, v3 dst_sel:DWORD dst_unused:UNUSED_PAD src0_sel:WORD_0
	v_cvt_f32_u32_sdwa v8, v2 dst_sel:DWORD dst_unused:UNUSED_PAD src0_sel:WORD_1
	v_cvt_f32_u32_sdwa v4, v3 dst_sel:DWORD dst_unused:UNUSED_PAD src0_sel:WORD_1
	v_cvt_f32_u32_sdwa v9, v2 dst_sel:DWORD dst_unused:UNUSED_PAD src0_sel:WORD_0
	v_cndmask_b32_e64 v2, 0, v5, s[0:1]
	v_cndmask_b32_e64 v5, 0, v8, s[0:1]
	;; [unrolled: 1-line block ×4, first 2 shown]
	v_mul_f32_e32 v8, v5, v5
	v_fmac_f32_e32 v8, v4, v4
	v_fmac_f32_e32 v8, v2, v2
	;; [unrolled: 1-line block ×3, first 2 shown]
	v_bfrev_b32_e32 v10, 0.5
	s_load_dwordx2 s[24:25], s[4:5], 0x18
	v_mov_b32_dpp v9, v8 quad_perm:[1,0,3,2] row_mask:0xf bank_mask:0xf
	v_add_f32_e32 v8, v8, v9
	s_nop 1
	v_mov_b32_dpp v9, v8 quad_perm:[2,3,0,1] row_mask:0xf bank_mask:0xf
	v_add_f32_e32 v8, v8, v9
	s_nop 1
	v_mov_b32_dpp v9, v8 row_half_mirror row_mask:0xf bank_mask:0xf
	v_add_f32_e32 v8, v8, v9
	s_nop 1
	v_mov_b32_dpp v9, v8 row_mirror row_mask:0xf bank_mask:0xf
	v_add_f32_e32 v8, v8, v9
	s_nop 1
	v_mov_b32_dpp v9, v8 row_bcast:15 row_mask:0xf bank_mask:0xf
	v_add_f32_e32 v8, v8, v9
	s_nop 1
	v_mov_b32_dpp v9, v8 row_bcast:31 row_mask:0xf bank_mask:0xf
	v_add_f32_e32 v9, v8, v9
	v_mbcnt_lo_u32_b32 v8, -1, 0
	v_mbcnt_hi_u32_b32 v8, -1, v8
	v_lshl_or_b32 v8, v8, 2, v10
	ds_bpermute_b32 v9, v8, v9
	s_and_saveexec_b64 s[10:11], s[0:1]
	s_cbranch_execz .LBB286_5
; %bb.4:
	v_cvt_f32_u32_e32 v10, s7
	v_mov_b32_e32 v11, s13
	v_mov_b32_e32 v12, s12
	v_cndmask_b32_e32 v11, v11, v12, vcc
	s_waitcnt lgkmcnt(0)
	v_div_scale_f32 v13, s[20:21], v10, v10, v9
	v_rcp_f32_e32 v14, v13
	v_div_scale_f32 v12, vcc, v9, v10, v9
	s_mov_b32 s7, 0x800000
	v_fma_f32 v15, -v13, v14, 1.0
	v_fmac_f32_e32 v14, v15, v14
	v_mul_f32_e32 v15, v12, v14
	v_fma_f32 v16, -v13, v15, v12
	v_fmac_f32_e32 v15, v16, v14
	v_fma_f32 v12, -v13, v15, v12
	v_div_fmas_f32 v12, v12, v14, v15
	v_div_fixup_f32 v9, v12, v10, v9
	v_add_f32_e32 v9, v11, v9
	v_mul_f32_e32 v10, 0x4b800000, v9
	v_cmp_gt_f32_e32 vcc, s7, v9
	v_cndmask_b32_e32 v9, v9, v10, vcc
	v_rsq_f32_e32 v9, v9
	s_waitcnt vmcnt(0)
	v_cvt_f32_u32_sdwa v13, v6 dst_sel:DWORD dst_unused:UNUSED_PAD src0_sel:WORD_1
	v_cvt_f32_u32_sdwa v12, v6 dst_sel:DWORD dst_unused:UNUSED_PAD src0_sel:WORD_0
	v_cvt_f32_u32_sdwa v15, v7 dst_sel:DWORD dst_unused:UNUSED_PAD src0_sel:WORD_1
	v_cvt_f32_u32_sdwa v14, v7 dst_sel:DWORD dst_unused:UNUSED_PAD src0_sel:WORD_0
	v_mul_f32_e32 v10, 0x45800000, v9
	v_cndmask_b32_e32 v10, v9, v10, vcc
	v_mov_b32_e32 v11, v10
	;;#ASMSTART
	v_pk_mul_f32 v[4:5], v[4:5], v[10:11]
	;;#ASMEND
	;;#ASMSTART
	v_pk_mul_f32 v[2:3], v[2:3], v[10:11]
	;;#ASMEND
	v_pk_add_f32 v[6:7], v[12:13], 1.0 op_sel_hi:[1,0]
	;;#ASMSTART
	v_pk_mul_f32 v[4:5], v[4:5], v[6:7]
	;;#ASMEND
	v_pk_add_f32 v[6:7], v[14:15], 1.0 op_sel_hi:[1,0]
	;;#ASMSTART
	v_pk_mul_f32 v[2:3], v[2:3], v[6:7]
	;;#ASMEND
.LBB286_5:
	s_or_b64 exec, exec, s[10:11]
	s_load_dword s7, s[4:5], 0x80
	s_mov_b64 s[10:11], -1
	s_and_b64 vcc, exec, s[2:3]
	s_cbranch_vccnz .LBB286_9
; %bb.6:
	s_andn2_b64 vcc, exec, s[10:11]
	s_cbranch_vccz .LBB286_12
.LBB286_7:
	s_cmp_lt_i32 s16, 1
	s_cbranch_scc0 .LBB286_19
.LBB286_8:
	s_endpgm
.LBB286_9:
	s_and_saveexec_b64 s[2:3], s[0:1]
	s_cbranch_execz .LBB286_11
; %bb.10:
	s_waitcnt lgkmcnt(0)
	s_mul_hi_i32 s11, s7, s6
	s_mul_i32 s10, s7, s6
	s_lshl_b64 s[10:11], s[10:11], 1
	s_add_u32 s20, s24, s10
	s_addc_u32 s10, s25, s11
	s_and_b32 s21, s10, 0xffff
	s_mov_b32 s10, 0x7060302
	s_mov_b32 s23, 0x20000
	s_waitcnt vmcnt(0)
	v_perm_b32 v6, v5, v4, s10
	v_perm_b32 v7, v3, v2, s10
	v_lshlrev_b32_e32 v9, 3, v0
	buffer_store_dwordx2 v[6:7], v9, s[20:23], 0 offen
	;;#ASMSTART
	s_nop 0
	;;#ASMEND
.LBB286_11:
	s_or_b64 exec, exec, s[2:3]
	s_cbranch_execnz .LBB286_7
.LBB286_12:
	s_waitcnt vmcnt(0)
	v_mov_b32_e32 v6, 0
	s_and_saveexec_b64 s[2:3], s[0:1]
	s_cbranch_execz .LBB286_14
; %bb.13:
	v_and_b32_e32 v6, 0x7fffffff, v4
	v_and_b32_e32 v7, 0x7fffffff, v5
	s_waitcnt lgkmcnt(0)
	v_mov_b32_e32 v9, 0x2edbe6ff
	;;#ASMSTART
	v_max3_f32 v6, v9, v6, v7

	;;#ASMEND
	v_and_b32_e32 v7, 0x7fffffff, v2
	v_and_b32_e32 v9, 0x7fffffff, v3
	;;#ASMSTART
	v_max3_f32 v6, v6, v7, v9

	;;#ASMEND
.LBB286_14:
	s_or_b64 exec, exec, s[2:3]
	s_load_dwordx4 s[20:23], s[4:5], 0x70
	;;#ASMSTART
	v_max_f32 v7, v6, v6 quad_perm:[1,0,3,2] row_mask:0xf bank_mask:0xf bound_ctrl:1
	;;#ASMEND
	;;#ASMSTART
	v_max_f32 v6, v7, v7 quad_perm:[2,3,0,1] row_mask:0xf bank_mask:0xf bound_ctrl:1
	;;#ASMEND
	;;#ASMSTART
	v_max_f32 v7, v6, v6 row_half_mirror row_mask:0xf bank_mask:0xf bound_ctrl:1
	;;#ASMEND
	;;#ASMSTART
	v_max_f32 v6, v7, v7 row_mirror row_mask:0xf bank_mask:0xf bound_ctrl:1
	;;#ASMEND
	v_and_b32_e32 v7, 15, v0
	v_cmp_eq_u32_e32 vcc, 0, v7
	v_cmp_gt_i32_e64 s[2:3], s15, v1
	v_mul_f32_e32 v6, 0x3b124925, v6
	s_and_b64 s[10:11], vcc, s[2:3]
	s_and_saveexec_b64 s[2:3], s[10:11]
	s_cbranch_execz .LBB286_16
; %bb.15:
	s_load_dwordx2 s[10:11], s[4:5], 0x8
	v_lshrrev_b32_e32 v7, 4, v0
	s_waitcnt lgkmcnt(0)
	s_mul_hi_i32 s29, s21, s6
	s_mul_i32 s28, s21, s6
	v_mad_i64_i32 v[10:11], s[22:23], s22, v7, 0
	s_lshl_b64 s[22:23], s[28:29], 2
	s_add_u32 s10, s10, s22
	s_addc_u32 s11, s11, s23
	v_lshlrev_b64 v[10:11], 2, v[10:11]
	v_mov_b32_e32 v7, s11
	v_add_co_u32_e32 v10, vcc, s10, v10
	v_addc_co_u32_e32 v11, vcc, v7, v11, vcc
	global_store_dword v[10:11], v6, off
.LBB286_16:
	s_or_b64 exec, exec, s[2:3]
	;;#ASMSTART
	v_rcp_f32 v6, v6
	;;#ASMEND
	s_and_saveexec_b64 s[2:3], s[0:1]
	s_cbranch_execz .LBB286_18
; %bb.17:
	s_load_dwordx2 s[0:1], s[4:5], 0x0
	s_waitcnt lgkmcnt(0)
	s_mul_i32 s11, s20, s6
	s_mul_hi_i32 s10, s20, s6
	v_mov_b32_e32 v7, v6
	;;#ASMSTART
	v_pk_mul_f32 v[4:5], v[4:5], v[6:7]
	;;#ASMEND
	s_add_u32 s20, s0, s11
	s_addc_u32 s0, s1, s10
	s_add_i32 s1, s15, 3
	s_ashr_i32 s10, s1, 31
	s_and_b32 s21, s0, 0xffff
	s_lshr_b32 s0, s10, 30
	v_mov_b32_e32 v9, 0xc3e00000
	v_mov_b32_e32 v10, 0x43e00000
	;;#ASMSTART
	v_med3_f32 v4, v4, v9, v10
v_med3_f32 v5, v5, v9, v10
v_cvt_pk_fp8_f32 v11, v4, v5
	;;#ASMEND
	;;#ASMSTART
	v_pk_mul_f32 v[2:3], v[2:3], v[6:7]
	;;#ASMEND
	s_add_i32 s1, s1, s0
	;;#ASMSTART
	v_med3_f32 v2, v2, v9, v10
v_med3_f32 v3, v3, v9, v10
v_cvt_pk_fp8_f32 v4, v2, v3
	;;#ASMEND
	s_mov_b32 s0, 0x5040100
	s_and_b32 s22, s1, -4
	s_mov_b32 s23, 0x20000
	v_perm_b32 v2, v4, v11, s0
	buffer_store_dword v2, v1, s[20:23], 0 offen
	;;#ASMSTART
	s_nop 0
	;;#ASMEND
.LBB286_18:
	s_or_b64 exec, exec, s[2:3]
	s_cmp_lt_i32 s16, 1
	s_cbranch_scc1 .LBB286_8
.LBB286_19:
	s_load_dword s0, s[4:5], 0x94
	s_waitcnt lgkmcnt(0)
	s_cmp_lg_u32 s0, 1
	s_cbranch_scc1 .LBB286_8
; %bb.20:
	s_lshl_b32 s0, s16, 1
	s_add_i32 s0, s0, 2
	v_cmp_gt_u32_e32 vcc, s16, v1
	s_and_b32 s10, s0, -4
	v_mov_b32_e32 v2, 0
	s_waitcnt vmcnt(0)
	v_lshlrev_b32_e32 v6, 3, v0
	v_mov_b32_e32 v3, 0
	v_mov_b32_e32 v0, 0
	;; [unrolled: 1-line block ×3, first 2 shown]
	s_barrier
	s_and_saveexec_b64 s[0:1], vcc
	s_cbranch_execz .LBB286_22
; %bb.21:
	s_mul_hi_i32 s3, s18, s6
	s_mul_i32 s2, s18, s6
	s_and_b32 s9, s9, 0xffff
	s_lshl_b64 s[2:3], s[2:3], 1
	s_add_u32 s20, s26, s2
	s_mov_b32 s11, 0x20000
	s_addc_u32 s2, s27, s3
	s_and_b32 s21, s2, 0xffff
	s_mov_b32 s22, s10
	s_mov_b32 s23, s11
	buffer_load_dwordx2 v[2:3], v6, s[20:23], 0 offen glc slc
	buffer_load_dwordx2 v[0:1], v6, s[8:11], 0 offen
.LBB286_22:
	s_or_b64 exec, exec, s[0:1]
	s_waitcnt vmcnt(1)
	v_cvt_f32_u32_sdwa v5, v3 dst_sel:DWORD dst_unused:UNUSED_PAD src0_sel:WORD_0
	v_cvt_f32_u32_sdwa v7, v2 dst_sel:DWORD dst_unused:UNUSED_PAD src0_sel:WORD_1
	v_cvt_f32_u32_sdwa v4, v3 dst_sel:DWORD dst_unused:UNUSED_PAD src0_sel:WORD_1
	v_cvt_f32_u32_sdwa v9, v2 dst_sel:DWORD dst_unused:UNUSED_PAD src0_sel:WORD_0
	v_cndmask_b32_e32 v2, 0, v5, vcc
	v_cndmask_b32_e32 v5, 0, v7, vcc
	;; [unrolled: 1-line block ×4, first 2 shown]
	v_mul_f32_e32 v7, v5, v5
	v_fmac_f32_e32 v7, v4, v4
	v_fmac_f32_e32 v7, v2, v2
	;; [unrolled: 1-line block ×3, first 2 shown]
	s_nop 1
	v_mov_b32_dpp v9, v7 quad_perm:[1,0,3,2] row_mask:0xf bank_mask:0xf
	v_add_f32_e32 v7, v7, v9
	s_nop 1
	v_mov_b32_dpp v9, v7 quad_perm:[2,3,0,1] row_mask:0xf bank_mask:0xf
	v_add_f32_e32 v7, v7, v9
	s_nop 1
	v_mov_b32_dpp v9, v7 row_half_mirror row_mask:0xf bank_mask:0xf
	v_add_f32_e32 v7, v7, v9
	s_nop 1
	v_mov_b32_dpp v9, v7 row_mirror row_mask:0xf bank_mask:0xf
	v_add_f32_e32 v7, v7, v9
	s_nop 1
	v_mov_b32_dpp v9, v7 row_bcast:15 row_mask:0xf bank_mask:0xf
	v_add_f32_e32 v7, v7, v9
	s_nop 1
	v_mov_b32_dpp v9, v7 row_bcast:31 row_mask:0xf bank_mask:0xf
	v_add_f32_e32 v7, v7, v9
	ds_bpermute_b32 v7, v8, v7
	s_and_saveexec_b64 s[0:1], vcc
	s_cbranch_execz .LBB286_8
; %bb.23:
	v_cvt_f32_u32_e32 v8, s16
	s_mov_b32 s11, 0x20000
	s_waitcnt lgkmcnt(0)
	v_div_scale_f32 v9, s[0:1], v8, v8, v7
	v_rcp_f32_e32 v10, v9
	v_div_scale_f32 v11, vcc, v7, v8, v7
	s_mov_b32 s0, 0x800000
	v_fma_f32 v12, -v9, v10, 1.0
	v_fmac_f32_e32 v10, v12, v10
	v_mul_f32_e32 v12, v11, v10
	v_fma_f32 v13, -v9, v12, v11
	v_fmac_f32_e32 v12, v13, v10
	v_fma_f32 v9, -v9, v12, v11
	v_div_fmas_f32 v9, v9, v10, v12
	v_div_fixup_f32 v7, v9, v8, v7
	v_add_f32_e32 v7, s13, v7
	v_mul_f32_e32 v8, 0x4b800000, v7
	v_cmp_gt_f32_e32 vcc, s0, v7
	v_cndmask_b32_e32 v7, v7, v8, vcc
	v_rsq_f32_e32 v7, v7
	s_waitcnt vmcnt(0)
	v_cvt_f32_u32_sdwa v9, v0 dst_sel:DWORD dst_unused:UNUSED_PAD src0_sel:WORD_1
	v_cvt_f32_u32_sdwa v8, v0 dst_sel:DWORD dst_unused:UNUSED_PAD src0_sel:WORD_0
	s_mul_hi_i32 s1, s7, s6
	s_mul_i32 s0, s7, s6
	v_cvt_f32_u32_sdwa v11, v1 dst_sel:DWORD dst_unused:UNUSED_PAD src0_sel:WORD_1
	v_mul_f32_e32 v0, 0x45800000, v7
	v_cvt_f32_u32_sdwa v10, v1 dst_sel:DWORD dst_unused:UNUSED_PAD src0_sel:WORD_0
	s_lshl_b64 s[0:1], s[0:1], 1
	v_cndmask_b32_e32 v12, v7, v0, vcc
	s_add_u32 s8, s24, s0
	v_mov_b32_e32 v13, v12
	;;#ASMSTART
	v_pk_mul_f32 v[4:5], v[4:5], v[12:13]
	;;#ASMEND
	;;#ASMSTART
	v_pk_mul_f32 v[0:1], v[2:3], v[12:13]
	;;#ASMEND
	v_pk_add_f32 v[2:3], v[8:9], 1.0 op_sel_hi:[1,0]
	s_addc_u32 s0, s25, s1
	;;#ASMSTART
	v_pk_mul_f32 v[2:3], v[4:5], v[2:3]
	;;#ASMEND
	s_and_b32 s9, s0, 0xffff
	s_mov_b32 s0, 0x7060302
	v_pk_add_f32 v[4:5], v[10:11], 1.0 op_sel_hi:[1,0]
	;;#ASMSTART
	v_pk_mul_f32 v[0:1], v[0:1], v[4:5]
	;;#ASMEND
	v_perm_b32 v2, v3, v2, s0
	v_perm_b32 v3, v1, v0, s0
	buffer_store_dwordx2 v[2:3], v6, s[8:11], 0 offen
	;;#ASMSTART
	s_nop 0
	;;#ASMEND
	s_endpgm
	.section	.rodata,"a",@progbits
	.p2align	6, 0x0
	.amdhsa_kernel _ZN5aiter35fused_qk_rmsnorm_group_quant_kernelItDB8_Li64ELi4ELi16ELb0ELb0ELb1ELb0ELb0ELb0EEEvPT0_PvPT_S6_S6_PKS5_S8_S8_S8_S8_ffiiiiiiiiiiiii
		.amdhsa_group_segment_fixed_size 0
		.amdhsa_private_segment_fixed_size 0
		.amdhsa_kernarg_size 400
		.amdhsa_user_sgpr_count 6
		.amdhsa_user_sgpr_private_segment_buffer 1
		.amdhsa_user_sgpr_dispatch_ptr 0
		.amdhsa_user_sgpr_queue_ptr 0
		.amdhsa_user_sgpr_kernarg_segment_ptr 1
		.amdhsa_user_sgpr_dispatch_id 0
		.amdhsa_user_sgpr_flat_scratch_init 0
		.amdhsa_user_sgpr_kernarg_preload_length 0
		.amdhsa_user_sgpr_kernarg_preload_offset 0
		.amdhsa_user_sgpr_private_segment_size 0
		.amdhsa_uses_dynamic_stack 0
		.amdhsa_system_sgpr_private_segment_wavefront_offset 0
		.amdhsa_system_sgpr_workgroup_id_x 1
		.amdhsa_system_sgpr_workgroup_id_y 1
		.amdhsa_system_sgpr_workgroup_id_z 0
		.amdhsa_system_sgpr_workgroup_info 0
		.amdhsa_system_vgpr_workitem_id 0
		.amdhsa_next_free_vgpr 17
		.amdhsa_next_free_sgpr 32
		.amdhsa_accum_offset 20
		.amdhsa_reserve_vcc 1
		.amdhsa_reserve_flat_scratch 0
		.amdhsa_float_round_mode_32 0
		.amdhsa_float_round_mode_16_64 0
		.amdhsa_float_denorm_mode_32 3
		.amdhsa_float_denorm_mode_16_64 3
		.amdhsa_dx10_clamp 1
		.amdhsa_ieee_mode 1
		.amdhsa_fp16_overflow 0
		.amdhsa_tg_split 0
		.amdhsa_exception_fp_ieee_invalid_op 0
		.amdhsa_exception_fp_denorm_src 0
		.amdhsa_exception_fp_ieee_div_zero 0
		.amdhsa_exception_fp_ieee_overflow 0
		.amdhsa_exception_fp_ieee_underflow 0
		.amdhsa_exception_fp_ieee_inexact 0
		.amdhsa_exception_int_div_zero 0
	.end_amdhsa_kernel
	.section	.text._ZN5aiter35fused_qk_rmsnorm_group_quant_kernelItDB8_Li64ELi4ELi16ELb0ELb0ELb1ELb0ELb0ELb0EEEvPT0_PvPT_S6_S6_PKS5_S8_S8_S8_S8_ffiiiiiiiiiiiii,"axG",@progbits,_ZN5aiter35fused_qk_rmsnorm_group_quant_kernelItDB8_Li64ELi4ELi16ELb0ELb0ELb1ELb0ELb0ELb0EEEvPT0_PvPT_S6_S6_PKS5_S8_S8_S8_S8_ffiiiiiiiiiiiii,comdat
.Lfunc_end286:
	.size	_ZN5aiter35fused_qk_rmsnorm_group_quant_kernelItDB8_Li64ELi4ELi16ELb0ELb0ELb1ELb0ELb0ELb0EEEvPT0_PvPT_S6_S6_PKS5_S8_S8_S8_S8_ffiiiiiiiiiiiii, .Lfunc_end286-_ZN5aiter35fused_qk_rmsnorm_group_quant_kernelItDB8_Li64ELi4ELi16ELb0ELb0ELb1ELb0ELb0ELb0EEEvPT0_PvPT_S6_S6_PKS5_S8_S8_S8_S8_ffiiiiiiiiiiiii
                                        ; -- End function
	.section	.AMDGPU.csdata,"",@progbits
; Kernel info:
; codeLenInByte = 1908
; NumSgprs: 36
; NumVgprs: 17
; NumAgprs: 0
; TotalNumVgprs: 17
; ScratchSize: 0
; MemoryBound: 0
; FloatMode: 240
; IeeeMode: 1
; LDSByteSize: 0 bytes/workgroup (compile time only)
; SGPRBlocks: 4
; VGPRBlocks: 2
; NumSGPRsForWavesPerEU: 36
; NumVGPRsForWavesPerEU: 17
; AccumOffset: 20
; Occupancy: 8
; WaveLimiterHint : 0
; COMPUTE_PGM_RSRC2:SCRATCH_EN: 0
; COMPUTE_PGM_RSRC2:USER_SGPR: 6
; COMPUTE_PGM_RSRC2:TRAP_HANDLER: 0
; COMPUTE_PGM_RSRC2:TGID_X_EN: 1
; COMPUTE_PGM_RSRC2:TGID_Y_EN: 1
; COMPUTE_PGM_RSRC2:TGID_Z_EN: 0
; COMPUTE_PGM_RSRC2:TIDIG_COMP_CNT: 0
; COMPUTE_PGM_RSRC3_GFX90A:ACCUM_OFFSET: 4
; COMPUTE_PGM_RSRC3_GFX90A:TG_SPLIT: 0
	.section	.text._ZN5aiter35fused_qk_rmsnorm_group_quant_kernelIDF16_DB8_Li64ELi4ELi16ELb0ELb0ELb0ELb0ELb0ELb0EEEvPT0_PvPT_S6_S6_PKS5_S8_S8_S8_S8_ffiiiiiiiiiiiii,"axG",@progbits,_ZN5aiter35fused_qk_rmsnorm_group_quant_kernelIDF16_DB8_Li64ELi4ELi16ELb0ELb0ELb0ELb0ELb0ELb0EEEvPT0_PvPT_S6_S6_PKS5_S8_S8_S8_S8_ffiiiiiiiiiiiii,comdat
	.protected	_ZN5aiter35fused_qk_rmsnorm_group_quant_kernelIDF16_DB8_Li64ELi4ELi16ELb0ELb0ELb0ELb0ELb0ELb0EEEvPT0_PvPT_S6_S6_PKS5_S8_S8_S8_S8_ffiiiiiiiiiiiii ; -- Begin function _ZN5aiter35fused_qk_rmsnorm_group_quant_kernelIDF16_DB8_Li64ELi4ELi16ELb0ELb0ELb0ELb0ELb0ELb0EEEvPT0_PvPT_S6_S6_PKS5_S8_S8_S8_S8_ffiiiiiiiiiiiii
	.globl	_ZN5aiter35fused_qk_rmsnorm_group_quant_kernelIDF16_DB8_Li64ELi4ELi16ELb0ELb0ELb0ELb0ELb0ELb0EEEvPT0_PvPT_S6_S6_PKS5_S8_S8_S8_S8_ffiiiiiiiiiiiii
	.p2align	8
	.type	_ZN5aiter35fused_qk_rmsnorm_group_quant_kernelIDF16_DB8_Li64ELi4ELi16ELb0ELb0ELb0ELb0ELb0ELb0EEEvPT0_PvPT_S6_S6_PKS5_S8_S8_S8_S8_ffiiiiiiiiiiiii,@function
_ZN5aiter35fused_qk_rmsnorm_group_quant_kernelIDF16_DB8_Li64ELi4ELi16ELb0ELb0ELb0ELb0ELb0ELb0EEEvPT0_PvPT_S6_S6_PKS5_S8_S8_S8_S8_ffiiiiiiiiiiiii: ; @_ZN5aiter35fused_qk_rmsnorm_group_quant_kernelIDF16_DB8_Li64ELi4ELi16ELb0ELb0ELb0ELb0ELb0ELb0EEEvPT0_PvPT_S6_S6_PKS5_S8_S8_S8_S8_ffiiiiiiiiiiiii
; %bb.0:
	s_load_dwordx4 s[12:15], s[4:5], 0x50
	s_waitcnt lgkmcnt(0)
	s_cmp_ge_i32 s6, s14
	s_cbranch_scc1 .LBB287_8
; %bb.1:
	s_load_dwordx2 s[8:9], s[4:5], 0x48
	s_load_dwordx2 s[26:27], s[4:5], 0x30
	s_load_dwordx4 s[16:19], s[4:5], 0x60
	s_cmp_lg_u32 s7, 0
	s_cselect_b64 s[2:3], -1, 0
	s_cmp_eq_u32 s7, 0
	s_cselect_b64 vcc, -1, 0
	s_and_b64 s[0:1], vcc, exec
	s_waitcnt lgkmcnt(0)
	s_cselect_b32 s7, s15, s16
	s_add_i32 s0, s7, 1
	s_lshr_b32 s1, s0, 31
	s_add_i32 s0, s0, s1
	s_lshl_b32 s0, s0, 1
	v_lshlrev_b32_e32 v1, 2, v0
	s_and_b32 s22, s0, -4
	v_cmp_gt_i32_e64 s[0:1], s7, v1
	v_mov_b32_e32 v6, 0
	v_mov_b32_e32 v7, 0
	;; [unrolled: 1-line block ×4, first 2 shown]
	s_and_saveexec_b64 s[10:11], s[0:1]
	s_cbranch_execz .LBB287_3
; %bb.2:
	s_load_dwordx2 s[20:21], s[4:5], 0x28
	s_load_dwordx2 s[24:25], s[4:5], 0x40
	s_and_b64 s[28:29], vcc, exec
	s_cselect_b32 s14, s17, s18
	s_mov_b32 s23, 0x20000
	s_waitcnt lgkmcnt(0)
	s_cselect_b32 s17, s21, s27
	s_cselect_b32 s19, s20, s26
	s_mul_hi_i32 s21, s14, s6
	s_mul_i32 s20, s14, s6
	s_lshl_b64 s[20:21], s[20:21], 1
	s_add_u32 s28, s19, s20
	s_addc_u32 s14, s17, s21
	s_and_b64 s[20:21], vcc, exec
	s_cselect_b32 s20, s24, s8
	s_cselect_b32 s17, s25, s9
	v_lshlrev_b32_e32 v4, 3, v0
	s_and_b32 s29, s14, 0xffff
	s_mov_b32 s30, s22
	s_mov_b32 s31, s23
	s_and_b32 s21, s17, 0xffff
	buffer_load_dwordx2 v[2:3], v4, s[28:31], 0 offen glc slc
	buffer_load_dwordx2 v[6:7], v4, s[20:23], 0 offen
.LBB287_3:
	s_or_b64 exec, exec, s[10:11]
	s_waitcnt vmcnt(1)
	v_cvt_f32_f16_e32 v4, v3
	v_cvt_f32_f16_e32 v5, v2
	v_cvt_f32_f16_sdwa v8, v2 dst_sel:DWORD dst_unused:UNUSED_PAD src0_sel:WORD_1
	v_cvt_f32_f16_sdwa v3, v3 dst_sel:DWORD dst_unused:UNUSED_PAD src0_sel:WORD_1
	v_cndmask_b32_e64 v2, 0, v4, s[0:1]
	v_cndmask_b32_e64 v4, 0, v5, s[0:1]
	;; [unrolled: 1-line block ×3, first 2 shown]
	v_mul_f32_e32 v8, v5, v5
	v_fmac_f32_e32 v8, v4, v4
	v_cndmask_b32_e64 v3, 0, v3, s[0:1]
	v_fmac_f32_e32 v8, v2, v2
	v_fmac_f32_e32 v8, v3, v3
	v_bfrev_b32_e32 v10, 0.5
	s_load_dwordx2 s[24:25], s[4:5], 0x18
	v_mov_b32_dpp v9, v8 quad_perm:[1,0,3,2] row_mask:0xf bank_mask:0xf
	v_add_f32_e32 v8, v8, v9
	s_nop 1
	v_mov_b32_dpp v9, v8 quad_perm:[2,3,0,1] row_mask:0xf bank_mask:0xf
	v_add_f32_e32 v8, v8, v9
	s_nop 1
	v_mov_b32_dpp v9, v8 row_half_mirror row_mask:0xf bank_mask:0xf
	v_add_f32_e32 v8, v8, v9
	s_nop 1
	v_mov_b32_dpp v9, v8 row_mirror row_mask:0xf bank_mask:0xf
	v_add_f32_e32 v8, v8, v9
	s_nop 1
	v_mov_b32_dpp v9, v8 row_bcast:15 row_mask:0xf bank_mask:0xf
	v_add_f32_e32 v8, v8, v9
	s_nop 1
	v_mov_b32_dpp v9, v8 row_bcast:31 row_mask:0xf bank_mask:0xf
	v_add_f32_e32 v9, v8, v9
	v_mbcnt_lo_u32_b32 v8, -1, 0
	v_mbcnt_hi_u32_b32 v8, -1, v8
	v_lshl_or_b32 v8, v8, 2, v10
	ds_bpermute_b32 v9, v8, v9
	s_and_saveexec_b64 s[10:11], s[0:1]
	s_cbranch_execz .LBB287_5
; %bb.4:
	v_cvt_f32_u32_e32 v10, s7
	v_mov_b32_e32 v11, s13
	v_mov_b32_e32 v12, s12
	v_cndmask_b32_e32 v11, v11, v12, vcc
	s_waitcnt lgkmcnt(0)
	v_div_scale_f32 v13, s[20:21], v10, v10, v9
	v_rcp_f32_e32 v14, v13
	v_div_scale_f32 v12, vcc, v9, v10, v9
	s_mov_b32 s7, 0x800000
	v_fma_f32 v15, -v13, v14, 1.0
	v_fmac_f32_e32 v14, v15, v14
	v_mul_f32_e32 v15, v12, v14
	v_fma_f32 v16, -v13, v15, v12
	v_fmac_f32_e32 v15, v16, v14
	v_fma_f32 v12, -v13, v15, v12
	v_div_fmas_f32 v12, v12, v14, v15
	v_div_fixup_f32 v9, v12, v10, v9
	v_add_f32_e32 v9, v11, v9
	v_mul_f32_e32 v10, 0x4b800000, v9
	v_cmp_gt_f32_e32 vcc, s7, v9
	v_cndmask_b32_e32 v9, v9, v10, vcc
	v_rsq_f32_e32 v9, v9
	s_waitcnt vmcnt(0)
	v_cvt_f32_f16_sdwa v13, v6 dst_sel:DWORD dst_unused:UNUSED_PAD src0_sel:WORD_1
	v_cvt_f32_f16_e32 v12, v6
	v_cvt_f32_f16_sdwa v15, v7 dst_sel:DWORD dst_unused:UNUSED_PAD src0_sel:WORD_1
	v_mul_f32_e32 v10, 0x45800000, v9
	v_cndmask_b32_e32 v10, v9, v10, vcc
	v_mov_b32_e32 v11, v10
	;;#ASMSTART
	v_pk_mul_f32 v[4:5], v[4:5], v[10:11]
	;;#ASMEND
	;;#ASMSTART
	v_pk_mul_f32 v[2:3], v[2:3], v[10:11]
	;;#ASMEND
	v_cvt_f32_f16_e32 v14, v7
	;;#ASMSTART
	v_pk_mul_f32 v[4:5], v[4:5], v[12:13]
	;;#ASMEND
	;;#ASMSTART
	v_pk_mul_f32 v[2:3], v[2:3], v[14:15]
	;;#ASMEND
.LBB287_5:
	s_or_b64 exec, exec, s[10:11]
	s_load_dword s7, s[4:5], 0x80
	s_mov_b64 s[10:11], -1
	s_and_b64 vcc, exec, s[2:3]
	s_cbranch_vccnz .LBB287_9
; %bb.6:
	s_andn2_b64 vcc, exec, s[10:11]
	s_cbranch_vccz .LBB287_12
.LBB287_7:
	s_cmp_lt_i32 s16, 1
	s_cbranch_scc0 .LBB287_19
.LBB287_8:
	s_endpgm
.LBB287_9:
	s_and_saveexec_b64 s[2:3], s[0:1]
	s_cbranch_execz .LBB287_11
; %bb.10:
	s_waitcnt lgkmcnt(0)
	s_mul_hi_i32 s11, s7, s6
	s_mul_i32 s10, s7, s6
	s_waitcnt vmcnt(0)
	v_cvt_f16_f32_e32 v6, v4
	v_cvt_f16_f32_e32 v7, v2
	v_cvt_f16_f32_e32 v9, v3
	v_cvt_f16_f32_e32 v10, v5
	s_lshl_b64 s[10:11], s[10:11], 1
	s_add_u32 s20, s24, s10
	s_addc_u32 s10, s25, s11
	s_and_b32 s21, s10, 0xffff
	s_mov_b32 s23, 0x20000
	v_pack_b32_f16 v7, v7, v9
	v_pack_b32_f16 v6, v6, v10
	v_lshlrev_b32_e32 v9, 3, v0
	buffer_store_dwordx2 v[6:7], v9, s[20:23], 0 offen
	;;#ASMSTART
	s_nop 0
	;;#ASMEND
.LBB287_11:
	s_or_b64 exec, exec, s[2:3]
	s_cbranch_execnz .LBB287_7
.LBB287_12:
	s_waitcnt vmcnt(0)
	v_mov_b32_e32 v6, 0
	s_and_saveexec_b64 s[2:3], s[0:1]
	s_cbranch_execz .LBB287_14
; %bb.13:
	v_and_b32_e32 v6, 0x7fffffff, v4
	v_and_b32_e32 v7, 0x7fffffff, v5
	s_waitcnt lgkmcnt(0)
	v_mov_b32_e32 v9, 0x2edbe6ff
	;;#ASMSTART
	v_max3_f32 v6, v9, v6, v7

	;;#ASMEND
	v_and_b32_e32 v7, 0x7fffffff, v2
	v_and_b32_e32 v9, 0x7fffffff, v3
	;;#ASMSTART
	v_max3_f32 v6, v6, v7, v9

	;;#ASMEND
.LBB287_14:
	s_or_b64 exec, exec, s[2:3]
	s_load_dwordx4 s[20:23], s[4:5], 0x70
	;;#ASMSTART
	v_max_f32 v7, v6, v6 quad_perm:[1,0,3,2] row_mask:0xf bank_mask:0xf bound_ctrl:1
	;;#ASMEND
	;;#ASMSTART
	v_max_f32 v6, v7, v7 quad_perm:[2,3,0,1] row_mask:0xf bank_mask:0xf bound_ctrl:1
	;;#ASMEND
	;;#ASMSTART
	v_max_f32 v7, v6, v6 row_half_mirror row_mask:0xf bank_mask:0xf bound_ctrl:1
	;;#ASMEND
	;;#ASMSTART
	v_max_f32 v6, v7, v7 row_mirror row_mask:0xf bank_mask:0xf bound_ctrl:1
	;;#ASMEND
	v_and_b32_e32 v7, 15, v0
	v_cmp_eq_u32_e32 vcc, 0, v7
	v_cmp_gt_i32_e64 s[2:3], s15, v1
	v_mul_f32_e32 v6, 0x3b124925, v6
	s_and_b64 s[10:11], vcc, s[2:3]
	s_and_saveexec_b64 s[2:3], s[10:11]
	s_cbranch_execz .LBB287_16
; %bb.15:
	s_load_dwordx2 s[10:11], s[4:5], 0x8
	v_lshrrev_b32_e32 v7, 4, v0
	s_waitcnt lgkmcnt(0)
	s_mul_hi_i32 s29, s21, s6
	s_mul_i32 s28, s21, s6
	v_mad_i64_i32 v[10:11], s[22:23], s22, v7, 0
	s_lshl_b64 s[22:23], s[28:29], 2
	s_add_u32 s10, s10, s22
	s_addc_u32 s11, s11, s23
	v_lshlrev_b64 v[10:11], 2, v[10:11]
	v_mov_b32_e32 v7, s11
	v_add_co_u32_e32 v10, vcc, s10, v10
	v_addc_co_u32_e32 v11, vcc, v7, v11, vcc
	global_store_dword v[10:11], v6, off
.LBB287_16:
	s_or_b64 exec, exec, s[2:3]
	;;#ASMSTART
	v_rcp_f32 v6, v6
	;;#ASMEND
	s_and_saveexec_b64 s[2:3], s[0:1]
	s_cbranch_execz .LBB287_18
; %bb.17:
	s_load_dwordx2 s[0:1], s[4:5], 0x0
	s_waitcnt lgkmcnt(0)
	s_mul_i32 s11, s20, s6
	s_mul_hi_i32 s10, s20, s6
	v_mov_b32_e32 v7, v6
	;;#ASMSTART
	v_pk_mul_f32 v[4:5], v[4:5], v[6:7]
	;;#ASMEND
	s_add_u32 s20, s0, s11
	s_addc_u32 s0, s1, s10
	s_add_i32 s1, s15, 3
	s_ashr_i32 s10, s1, 31
	s_and_b32 s21, s0, 0xffff
	s_lshr_b32 s0, s10, 30
	v_mov_b32_e32 v9, 0xc3e00000
	v_mov_b32_e32 v10, 0x43e00000
	;;#ASMSTART
	v_med3_f32 v4, v4, v9, v10
v_med3_f32 v5, v5, v9, v10
v_cvt_pk_fp8_f32 v11, v4, v5
	;;#ASMEND
	;;#ASMSTART
	v_pk_mul_f32 v[2:3], v[2:3], v[6:7]
	;;#ASMEND
	s_add_i32 s1, s1, s0
	;;#ASMSTART
	v_med3_f32 v2, v2, v9, v10
v_med3_f32 v3, v3, v9, v10
v_cvt_pk_fp8_f32 v4, v2, v3
	;;#ASMEND
	s_mov_b32 s0, 0x5040100
	s_and_b32 s22, s1, -4
	s_mov_b32 s23, 0x20000
	v_perm_b32 v2, v4, v11, s0
	buffer_store_dword v2, v1, s[20:23], 0 offen
	;;#ASMSTART
	s_nop 0
	;;#ASMEND
.LBB287_18:
	s_or_b64 exec, exec, s[2:3]
	s_cmp_lt_i32 s16, 1
	s_cbranch_scc1 .LBB287_8
.LBB287_19:
	s_load_dword s0, s[4:5], 0x94
	s_waitcnt lgkmcnt(0)
	s_cmp_lg_u32 s0, 1
	s_cbranch_scc1 .LBB287_8
; %bb.20:
	s_lshl_b32 s0, s16, 1
	s_add_i32 s0, s0, 2
	v_cmp_gt_u32_e32 vcc, s16, v1
	s_and_b32 s10, s0, -4
	v_mov_b32_e32 v2, 0
	s_waitcnt vmcnt(0)
	v_lshlrev_b32_e32 v6, 3, v0
	v_mov_b32_e32 v3, 0
	v_mov_b32_e32 v0, 0
	;; [unrolled: 1-line block ×3, first 2 shown]
	s_barrier
	s_and_saveexec_b64 s[0:1], vcc
	s_cbranch_execz .LBB287_22
; %bb.21:
	s_mul_hi_i32 s3, s18, s6
	s_mul_i32 s2, s18, s6
	s_and_b32 s9, s9, 0xffff
	s_lshl_b64 s[2:3], s[2:3], 1
	s_add_u32 s20, s26, s2
	s_mov_b32 s11, 0x20000
	s_addc_u32 s2, s27, s3
	s_and_b32 s21, s2, 0xffff
	s_mov_b32 s22, s10
	s_mov_b32 s23, s11
	buffer_load_dwordx2 v[2:3], v6, s[20:23], 0 offen glc slc
	buffer_load_dwordx2 v[0:1], v6, s[8:11], 0 offen
.LBB287_22:
	s_or_b64 exec, exec, s[0:1]
	s_waitcnt vmcnt(1)
	v_cvt_f32_f16_e32 v4, v3
	v_cvt_f32_f16_e32 v5, v2
	v_cvt_f32_f16_sdwa v7, v2 dst_sel:DWORD dst_unused:UNUSED_PAD src0_sel:WORD_1
	v_cvt_f32_f16_sdwa v3, v3 dst_sel:DWORD dst_unused:UNUSED_PAD src0_sel:WORD_1
	v_cndmask_b32_e32 v2, 0, v4, vcc
	v_cndmask_b32_e32 v4, 0, v5, vcc
	;; [unrolled: 1-line block ×3, first 2 shown]
	v_mul_f32_e32 v7, v5, v5
	v_fmac_f32_e32 v7, v4, v4
	v_cndmask_b32_e32 v3, 0, v3, vcc
	v_fmac_f32_e32 v7, v2, v2
	v_fmac_f32_e32 v7, v3, v3
	s_nop 1
	v_mov_b32_dpp v9, v7 quad_perm:[1,0,3,2] row_mask:0xf bank_mask:0xf
	v_add_f32_e32 v7, v7, v9
	s_nop 1
	v_mov_b32_dpp v9, v7 quad_perm:[2,3,0,1] row_mask:0xf bank_mask:0xf
	v_add_f32_e32 v7, v7, v9
	s_nop 1
	v_mov_b32_dpp v9, v7 row_half_mirror row_mask:0xf bank_mask:0xf
	v_add_f32_e32 v7, v7, v9
	s_nop 1
	v_mov_b32_dpp v9, v7 row_mirror row_mask:0xf bank_mask:0xf
	v_add_f32_e32 v7, v7, v9
	s_nop 1
	v_mov_b32_dpp v9, v7 row_bcast:15 row_mask:0xf bank_mask:0xf
	v_add_f32_e32 v7, v7, v9
	s_nop 1
	v_mov_b32_dpp v9, v7 row_bcast:31 row_mask:0xf bank_mask:0xf
	v_add_f32_e32 v7, v7, v9
	ds_bpermute_b32 v7, v8, v7
	s_and_saveexec_b64 s[0:1], vcc
	s_cbranch_execz .LBB287_8
; %bb.23:
	v_cvt_f32_u32_e32 v8, s16
	s_mov_b32 s11, 0x20000
	s_waitcnt lgkmcnt(0)
	v_div_scale_f32 v9, s[0:1], v8, v8, v7
	v_rcp_f32_e32 v10, v9
	v_div_scale_f32 v11, vcc, v7, v8, v7
	s_mov_b32 s0, 0x800000
	v_fma_f32 v12, -v9, v10, 1.0
	v_fmac_f32_e32 v10, v12, v10
	v_mul_f32_e32 v12, v11, v10
	v_fma_f32 v13, -v9, v12, v11
	v_fmac_f32_e32 v12, v13, v10
	v_fma_f32 v9, -v9, v12, v11
	v_div_fmas_f32 v9, v9, v10, v12
	v_div_fixup_f32 v7, v9, v8, v7
	v_add_f32_e32 v7, s13, v7
	v_mul_f32_e32 v8, 0x4b800000, v7
	v_cmp_gt_f32_e32 vcc, s0, v7
	v_cndmask_b32_e32 v7, v7, v8, vcc
	v_rsq_f32_e32 v7, v7
	s_waitcnt vmcnt(0)
	v_cvt_f32_f16_sdwa v9, v0 dst_sel:DWORD dst_unused:UNUSED_PAD src0_sel:WORD_1
	v_cvt_f32_f16_e32 v8, v0
	v_cvt_f32_f16_sdwa v11, v1 dst_sel:DWORD dst_unused:UNUSED_PAD src0_sel:WORD_1
	v_mul_f32_e32 v0, 0x45800000, v7
	v_cndmask_b32_e32 v12, v7, v0, vcc
	v_mov_b32_e32 v13, v12
	v_cvt_f32_f16_e32 v10, v1
	;;#ASMSTART
	v_pk_mul_f32 v[0:1], v[4:5], v[12:13]
	;;#ASMEND
	;;#ASMSTART
	v_pk_mul_f32 v[2:3], v[2:3], v[12:13]
	;;#ASMEND
	;; [unrolled: 3-line block ×4, first 2 shown]
	s_mul_hi_i32 s1, s7, s6
	s_mul_i32 s0, s7, s6
	v_cvt_f16_f32_e32 v0, v0
	v_cvt_f16_f32_e32 v1, v1
	;; [unrolled: 1-line block ×4, first 2 shown]
	s_lshl_b64 s[0:1], s[0:1], 1
	s_add_u32 s8, s24, s0
	s_addc_u32 s0, s25, s1
	s_and_b32 s9, s0, 0xffff
	v_pack_b32_f16 v0, v0, v1
	v_pack_b32_f16 v1, v2, v3
	buffer_store_dwordx2 v[0:1], v6, s[8:11], 0 offen
	;;#ASMSTART
	s_nop 0
	;;#ASMEND
	s_endpgm
	.section	.rodata,"a",@progbits
	.p2align	6, 0x0
	.amdhsa_kernel _ZN5aiter35fused_qk_rmsnorm_group_quant_kernelIDF16_DB8_Li64ELi4ELi16ELb0ELb0ELb0ELb0ELb0ELb0EEEvPT0_PvPT_S6_S6_PKS5_S8_S8_S8_S8_ffiiiiiiiiiiiii
		.amdhsa_group_segment_fixed_size 0
		.amdhsa_private_segment_fixed_size 0
		.amdhsa_kernarg_size 400
		.amdhsa_user_sgpr_count 6
		.amdhsa_user_sgpr_private_segment_buffer 1
		.amdhsa_user_sgpr_dispatch_ptr 0
		.amdhsa_user_sgpr_queue_ptr 0
		.amdhsa_user_sgpr_kernarg_segment_ptr 1
		.amdhsa_user_sgpr_dispatch_id 0
		.amdhsa_user_sgpr_flat_scratch_init 0
		.amdhsa_user_sgpr_kernarg_preload_length 0
		.amdhsa_user_sgpr_kernarg_preload_offset 0
		.amdhsa_user_sgpr_private_segment_size 0
		.amdhsa_uses_dynamic_stack 0
		.amdhsa_system_sgpr_private_segment_wavefront_offset 0
		.amdhsa_system_sgpr_workgroup_id_x 1
		.amdhsa_system_sgpr_workgroup_id_y 1
		.amdhsa_system_sgpr_workgroup_id_z 0
		.amdhsa_system_sgpr_workgroup_info 0
		.amdhsa_system_vgpr_workitem_id 0
		.amdhsa_next_free_vgpr 17
		.amdhsa_next_free_sgpr 32
		.amdhsa_accum_offset 20
		.amdhsa_reserve_vcc 1
		.amdhsa_reserve_flat_scratch 0
		.amdhsa_float_round_mode_32 0
		.amdhsa_float_round_mode_16_64 0
		.amdhsa_float_denorm_mode_32 3
		.amdhsa_float_denorm_mode_16_64 3
		.amdhsa_dx10_clamp 1
		.amdhsa_ieee_mode 1
		.amdhsa_fp16_overflow 0
		.amdhsa_tg_split 0
		.amdhsa_exception_fp_ieee_invalid_op 0
		.amdhsa_exception_fp_denorm_src 0
		.amdhsa_exception_fp_ieee_div_zero 0
		.amdhsa_exception_fp_ieee_overflow 0
		.amdhsa_exception_fp_ieee_underflow 0
		.amdhsa_exception_fp_ieee_inexact 0
		.amdhsa_exception_int_div_zero 0
	.end_amdhsa_kernel
	.section	.text._ZN5aiter35fused_qk_rmsnorm_group_quant_kernelIDF16_DB8_Li64ELi4ELi16ELb0ELb0ELb0ELb0ELb0ELb0EEEvPT0_PvPT_S6_S6_PKS5_S8_S8_S8_S8_ffiiiiiiiiiiiii,"axG",@progbits,_ZN5aiter35fused_qk_rmsnorm_group_quant_kernelIDF16_DB8_Li64ELi4ELi16ELb0ELb0ELb0ELb0ELb0ELb0EEEvPT0_PvPT_S6_S6_PKS5_S8_S8_S8_S8_ffiiiiiiiiiiiii,comdat
.Lfunc_end287:
	.size	_ZN5aiter35fused_qk_rmsnorm_group_quant_kernelIDF16_DB8_Li64ELi4ELi16ELb0ELb0ELb0ELb0ELb0ELb0EEEvPT0_PvPT_S6_S6_PKS5_S8_S8_S8_S8_ffiiiiiiiiiiiii, .Lfunc_end287-_ZN5aiter35fused_qk_rmsnorm_group_quant_kernelIDF16_DB8_Li64ELi4ELi16ELb0ELb0ELb0ELb0ELb0ELb0EEEvPT0_PvPT_S6_S6_PKS5_S8_S8_S8_S8_ffiiiiiiiiiiiii
                                        ; -- End function
	.section	.AMDGPU.csdata,"",@progbits
; Kernel info:
; codeLenInByte = 1860
; NumSgprs: 36
; NumVgprs: 17
; NumAgprs: 0
; TotalNumVgprs: 17
; ScratchSize: 0
; MemoryBound: 0
; FloatMode: 240
; IeeeMode: 1
; LDSByteSize: 0 bytes/workgroup (compile time only)
; SGPRBlocks: 4
; VGPRBlocks: 2
; NumSGPRsForWavesPerEU: 36
; NumVGPRsForWavesPerEU: 17
; AccumOffset: 20
; Occupancy: 8
; WaveLimiterHint : 0
; COMPUTE_PGM_RSRC2:SCRATCH_EN: 0
; COMPUTE_PGM_RSRC2:USER_SGPR: 6
; COMPUTE_PGM_RSRC2:TRAP_HANDLER: 0
; COMPUTE_PGM_RSRC2:TGID_X_EN: 1
; COMPUTE_PGM_RSRC2:TGID_Y_EN: 1
; COMPUTE_PGM_RSRC2:TGID_Z_EN: 0
; COMPUTE_PGM_RSRC2:TIDIG_COMP_CNT: 0
; COMPUTE_PGM_RSRC3_GFX90A:ACCUM_OFFSET: 4
; COMPUTE_PGM_RSRC3_GFX90A:TG_SPLIT: 0
	.section	.text._ZN5aiter35fused_qk_rmsnorm_group_quant_kernelItDB8_Li64ELi4ELi16ELb0ELb0ELb0ELb0ELb0ELb0EEEvPT0_PvPT_S6_S6_PKS5_S8_S8_S8_S8_ffiiiiiiiiiiiii,"axG",@progbits,_ZN5aiter35fused_qk_rmsnorm_group_quant_kernelItDB8_Li64ELi4ELi16ELb0ELb0ELb0ELb0ELb0ELb0EEEvPT0_PvPT_S6_S6_PKS5_S8_S8_S8_S8_ffiiiiiiiiiiiii,comdat
	.protected	_ZN5aiter35fused_qk_rmsnorm_group_quant_kernelItDB8_Li64ELi4ELi16ELb0ELb0ELb0ELb0ELb0ELb0EEEvPT0_PvPT_S6_S6_PKS5_S8_S8_S8_S8_ffiiiiiiiiiiiii ; -- Begin function _ZN5aiter35fused_qk_rmsnorm_group_quant_kernelItDB8_Li64ELi4ELi16ELb0ELb0ELb0ELb0ELb0ELb0EEEvPT0_PvPT_S6_S6_PKS5_S8_S8_S8_S8_ffiiiiiiiiiiiii
	.globl	_ZN5aiter35fused_qk_rmsnorm_group_quant_kernelItDB8_Li64ELi4ELi16ELb0ELb0ELb0ELb0ELb0ELb0EEEvPT0_PvPT_S6_S6_PKS5_S8_S8_S8_S8_ffiiiiiiiiiiiii
	.p2align	8
	.type	_ZN5aiter35fused_qk_rmsnorm_group_quant_kernelItDB8_Li64ELi4ELi16ELb0ELb0ELb0ELb0ELb0ELb0EEEvPT0_PvPT_S6_S6_PKS5_S8_S8_S8_S8_ffiiiiiiiiiiiii,@function
_ZN5aiter35fused_qk_rmsnorm_group_quant_kernelItDB8_Li64ELi4ELi16ELb0ELb0ELb0ELb0ELb0ELb0EEEvPT0_PvPT_S6_S6_PKS5_S8_S8_S8_S8_ffiiiiiiiiiiiii: ; @_ZN5aiter35fused_qk_rmsnorm_group_quant_kernelItDB8_Li64ELi4ELi16ELb0ELb0ELb0ELb0ELb0ELb0EEEvPT0_PvPT_S6_S6_PKS5_S8_S8_S8_S8_ffiiiiiiiiiiiii
; %bb.0:
	s_load_dwordx4 s[12:15], s[4:5], 0x50
	s_waitcnt lgkmcnt(0)
	s_cmp_ge_i32 s6, s14
	s_cbranch_scc1 .LBB288_8
; %bb.1:
	s_load_dwordx2 s[8:9], s[4:5], 0x48
	s_load_dwordx2 s[26:27], s[4:5], 0x30
	s_load_dwordx4 s[16:19], s[4:5], 0x60
	s_cmp_lg_u32 s7, 0
	s_cselect_b64 s[2:3], -1, 0
	s_cmp_eq_u32 s7, 0
	s_cselect_b64 vcc, -1, 0
	s_and_b64 s[0:1], vcc, exec
	s_waitcnt lgkmcnt(0)
	s_cselect_b32 s7, s15, s16
	s_add_i32 s0, s7, 1
	s_lshr_b32 s1, s0, 31
	s_add_i32 s0, s0, s1
	s_lshl_b32 s0, s0, 1
	v_lshlrev_b32_e32 v1, 2, v0
	s_and_b32 s22, s0, -4
	v_cmp_gt_i32_e64 s[0:1], s7, v1
	v_mov_b32_e32 v6, 0
	v_mov_b32_e32 v7, 0
	;; [unrolled: 1-line block ×4, first 2 shown]
	s_and_saveexec_b64 s[10:11], s[0:1]
	s_cbranch_execz .LBB288_3
; %bb.2:
	s_load_dwordx2 s[20:21], s[4:5], 0x28
	s_load_dwordx2 s[24:25], s[4:5], 0x40
	s_and_b64 s[28:29], vcc, exec
	s_cselect_b32 s14, s17, s18
	s_mov_b32 s23, 0x20000
	s_waitcnt lgkmcnt(0)
	s_cselect_b32 s17, s21, s27
	s_cselect_b32 s19, s20, s26
	s_mul_hi_i32 s21, s14, s6
	s_mul_i32 s20, s14, s6
	s_lshl_b64 s[20:21], s[20:21], 1
	s_add_u32 s28, s19, s20
	s_addc_u32 s14, s17, s21
	s_and_b64 s[20:21], vcc, exec
	s_cselect_b32 s20, s24, s8
	s_cselect_b32 s17, s25, s9
	v_lshlrev_b32_e32 v4, 3, v0
	s_and_b32 s29, s14, 0xffff
	s_mov_b32 s30, s22
	s_mov_b32 s31, s23
	s_and_b32 s21, s17, 0xffff
	buffer_load_dwordx2 v[2:3], v4, s[28:31], 0 offen glc slc
	buffer_load_dwordx2 v[6:7], v4, s[20:23], 0 offen
.LBB288_3:
	s_or_b64 exec, exec, s[10:11]
	s_waitcnt vmcnt(1)
	v_cvt_f32_u32_sdwa v5, v3 dst_sel:DWORD dst_unused:UNUSED_PAD src0_sel:WORD_0
	v_cvt_f32_u32_sdwa v8, v2 dst_sel:DWORD dst_unused:UNUSED_PAD src0_sel:WORD_1
	v_cvt_f32_u32_sdwa v4, v3 dst_sel:DWORD dst_unused:UNUSED_PAD src0_sel:WORD_1
	v_cvt_f32_u32_sdwa v9, v2 dst_sel:DWORD dst_unused:UNUSED_PAD src0_sel:WORD_0
	v_cndmask_b32_e64 v2, 0, v5, s[0:1]
	v_cndmask_b32_e64 v5, 0, v8, s[0:1]
	;; [unrolled: 1-line block ×4, first 2 shown]
	v_mul_f32_e32 v8, v5, v5
	v_fmac_f32_e32 v8, v4, v4
	v_fmac_f32_e32 v8, v2, v2
	;; [unrolled: 1-line block ×3, first 2 shown]
	v_bfrev_b32_e32 v10, 0.5
	s_load_dwordx2 s[24:25], s[4:5], 0x18
	v_mov_b32_dpp v9, v8 quad_perm:[1,0,3,2] row_mask:0xf bank_mask:0xf
	v_add_f32_e32 v8, v8, v9
	s_nop 1
	v_mov_b32_dpp v9, v8 quad_perm:[2,3,0,1] row_mask:0xf bank_mask:0xf
	v_add_f32_e32 v8, v8, v9
	s_nop 1
	v_mov_b32_dpp v9, v8 row_half_mirror row_mask:0xf bank_mask:0xf
	v_add_f32_e32 v8, v8, v9
	s_nop 1
	v_mov_b32_dpp v9, v8 row_mirror row_mask:0xf bank_mask:0xf
	v_add_f32_e32 v8, v8, v9
	s_nop 1
	v_mov_b32_dpp v9, v8 row_bcast:15 row_mask:0xf bank_mask:0xf
	v_add_f32_e32 v8, v8, v9
	s_nop 1
	v_mov_b32_dpp v9, v8 row_bcast:31 row_mask:0xf bank_mask:0xf
	v_add_f32_e32 v9, v8, v9
	v_mbcnt_lo_u32_b32 v8, -1, 0
	v_mbcnt_hi_u32_b32 v8, -1, v8
	v_lshl_or_b32 v8, v8, 2, v10
	ds_bpermute_b32 v9, v8, v9
	s_and_saveexec_b64 s[10:11], s[0:1]
	s_cbranch_execz .LBB288_5
; %bb.4:
	v_cvt_f32_u32_e32 v10, s7
	v_mov_b32_e32 v11, s13
	v_mov_b32_e32 v12, s12
	v_cndmask_b32_e32 v11, v11, v12, vcc
	s_waitcnt lgkmcnt(0)
	v_div_scale_f32 v13, s[20:21], v10, v10, v9
	v_rcp_f32_e32 v14, v13
	v_div_scale_f32 v12, vcc, v9, v10, v9
	s_mov_b32 s7, 0x800000
	v_fma_f32 v15, -v13, v14, 1.0
	v_fmac_f32_e32 v14, v15, v14
	v_mul_f32_e32 v15, v12, v14
	v_fma_f32 v16, -v13, v15, v12
	v_fmac_f32_e32 v15, v16, v14
	v_fma_f32 v12, -v13, v15, v12
	v_div_fmas_f32 v12, v12, v14, v15
	v_div_fixup_f32 v9, v12, v10, v9
	v_add_f32_e32 v9, v11, v9
	v_mul_f32_e32 v10, 0x4b800000, v9
	v_cmp_gt_f32_e32 vcc, s7, v9
	v_cndmask_b32_e32 v9, v9, v10, vcc
	v_rsq_f32_e32 v9, v9
	s_waitcnt vmcnt(0)
	v_cvt_f32_u32_sdwa v13, v6 dst_sel:DWORD dst_unused:UNUSED_PAD src0_sel:WORD_1
	v_cvt_f32_u32_sdwa v12, v6 dst_sel:DWORD dst_unused:UNUSED_PAD src0_sel:WORD_0
	v_cvt_f32_u32_sdwa v15, v7 dst_sel:DWORD dst_unused:UNUSED_PAD src0_sel:WORD_1
	v_mul_f32_e32 v10, 0x45800000, v9
	v_cndmask_b32_e32 v10, v9, v10, vcc
	v_mov_b32_e32 v11, v10
	;;#ASMSTART
	v_pk_mul_f32 v[4:5], v[4:5], v[10:11]
	;;#ASMEND
	;;#ASMSTART
	v_pk_mul_f32 v[2:3], v[2:3], v[10:11]
	;;#ASMEND
	v_cvt_f32_u32_sdwa v14, v7 dst_sel:DWORD dst_unused:UNUSED_PAD src0_sel:WORD_0
	;;#ASMSTART
	v_pk_mul_f32 v[4:5], v[4:5], v[12:13]
	;;#ASMEND
	;;#ASMSTART
	v_pk_mul_f32 v[2:3], v[2:3], v[14:15]
	;;#ASMEND
.LBB288_5:
	s_or_b64 exec, exec, s[10:11]
	s_load_dword s7, s[4:5], 0x80
	s_mov_b64 s[10:11], -1
	s_and_b64 vcc, exec, s[2:3]
	s_cbranch_vccnz .LBB288_9
; %bb.6:
	s_andn2_b64 vcc, exec, s[10:11]
	s_cbranch_vccz .LBB288_12
.LBB288_7:
	s_cmp_lt_i32 s16, 1
	s_cbranch_scc0 .LBB288_19
.LBB288_8:
	s_endpgm
.LBB288_9:
	s_and_saveexec_b64 s[2:3], s[0:1]
	s_cbranch_execz .LBB288_11
; %bb.10:
	s_waitcnt lgkmcnt(0)
	s_mul_hi_i32 s11, s7, s6
	s_mul_i32 s10, s7, s6
	s_lshl_b64 s[10:11], s[10:11], 1
	s_add_u32 s20, s24, s10
	s_addc_u32 s10, s25, s11
	s_and_b32 s21, s10, 0xffff
	s_mov_b32 s10, 0x7060302
	s_mov_b32 s23, 0x20000
	s_waitcnt vmcnt(0)
	v_perm_b32 v6, v5, v4, s10
	v_perm_b32 v7, v3, v2, s10
	v_lshlrev_b32_e32 v9, 3, v0
	buffer_store_dwordx2 v[6:7], v9, s[20:23], 0 offen
	;;#ASMSTART
	s_nop 0
	;;#ASMEND
.LBB288_11:
	s_or_b64 exec, exec, s[2:3]
	s_cbranch_execnz .LBB288_7
.LBB288_12:
	s_waitcnt vmcnt(0)
	v_mov_b32_e32 v6, 0
	s_and_saveexec_b64 s[2:3], s[0:1]
	s_cbranch_execz .LBB288_14
; %bb.13:
	v_and_b32_e32 v6, 0x7fffffff, v4
	v_and_b32_e32 v7, 0x7fffffff, v5
	s_waitcnt lgkmcnt(0)
	v_mov_b32_e32 v9, 0x2edbe6ff
	;;#ASMSTART
	v_max3_f32 v6, v9, v6, v7

	;;#ASMEND
	v_and_b32_e32 v7, 0x7fffffff, v2
	v_and_b32_e32 v9, 0x7fffffff, v3
	;;#ASMSTART
	v_max3_f32 v6, v6, v7, v9

	;;#ASMEND
.LBB288_14:
	s_or_b64 exec, exec, s[2:3]
	s_load_dwordx4 s[20:23], s[4:5], 0x70
	;;#ASMSTART
	v_max_f32 v7, v6, v6 quad_perm:[1,0,3,2] row_mask:0xf bank_mask:0xf bound_ctrl:1
	;;#ASMEND
	;;#ASMSTART
	v_max_f32 v6, v7, v7 quad_perm:[2,3,0,1] row_mask:0xf bank_mask:0xf bound_ctrl:1
	;;#ASMEND
	;;#ASMSTART
	v_max_f32 v7, v6, v6 row_half_mirror row_mask:0xf bank_mask:0xf bound_ctrl:1
	;;#ASMEND
	;;#ASMSTART
	v_max_f32 v6, v7, v7 row_mirror row_mask:0xf bank_mask:0xf bound_ctrl:1
	;;#ASMEND
	v_and_b32_e32 v7, 15, v0
	v_cmp_eq_u32_e32 vcc, 0, v7
	v_cmp_gt_i32_e64 s[2:3], s15, v1
	v_mul_f32_e32 v6, 0x3b124925, v6
	s_and_b64 s[10:11], vcc, s[2:3]
	s_and_saveexec_b64 s[2:3], s[10:11]
	s_cbranch_execz .LBB288_16
; %bb.15:
	s_load_dwordx2 s[10:11], s[4:5], 0x8
	v_lshrrev_b32_e32 v7, 4, v0
	s_waitcnt lgkmcnt(0)
	s_mul_hi_i32 s29, s21, s6
	s_mul_i32 s28, s21, s6
	v_mad_i64_i32 v[10:11], s[22:23], s22, v7, 0
	s_lshl_b64 s[22:23], s[28:29], 2
	s_add_u32 s10, s10, s22
	s_addc_u32 s11, s11, s23
	v_lshlrev_b64 v[10:11], 2, v[10:11]
	v_mov_b32_e32 v7, s11
	v_add_co_u32_e32 v10, vcc, s10, v10
	v_addc_co_u32_e32 v11, vcc, v7, v11, vcc
	global_store_dword v[10:11], v6, off
.LBB288_16:
	s_or_b64 exec, exec, s[2:3]
	;;#ASMSTART
	v_rcp_f32 v6, v6
	;;#ASMEND
	s_and_saveexec_b64 s[2:3], s[0:1]
	s_cbranch_execz .LBB288_18
; %bb.17:
	s_load_dwordx2 s[0:1], s[4:5], 0x0
	s_waitcnt lgkmcnt(0)
	s_mul_i32 s11, s20, s6
	s_mul_hi_i32 s10, s20, s6
	v_mov_b32_e32 v7, v6
	;;#ASMSTART
	v_pk_mul_f32 v[4:5], v[4:5], v[6:7]
	;;#ASMEND
	s_add_u32 s20, s0, s11
	s_addc_u32 s0, s1, s10
	s_add_i32 s1, s15, 3
	s_ashr_i32 s10, s1, 31
	s_and_b32 s21, s0, 0xffff
	s_lshr_b32 s0, s10, 30
	v_mov_b32_e32 v9, 0xc3e00000
	v_mov_b32_e32 v10, 0x43e00000
	;;#ASMSTART
	v_med3_f32 v4, v4, v9, v10
v_med3_f32 v5, v5, v9, v10
v_cvt_pk_fp8_f32 v11, v4, v5
	;;#ASMEND
	;;#ASMSTART
	v_pk_mul_f32 v[2:3], v[2:3], v[6:7]
	;;#ASMEND
	s_add_i32 s1, s1, s0
	;;#ASMSTART
	v_med3_f32 v2, v2, v9, v10
v_med3_f32 v3, v3, v9, v10
v_cvt_pk_fp8_f32 v4, v2, v3
	;;#ASMEND
	s_mov_b32 s0, 0x5040100
	s_and_b32 s22, s1, -4
	s_mov_b32 s23, 0x20000
	v_perm_b32 v2, v4, v11, s0
	buffer_store_dword v2, v1, s[20:23], 0 offen
	;;#ASMSTART
	s_nop 0
	;;#ASMEND
.LBB288_18:
	s_or_b64 exec, exec, s[2:3]
	s_cmp_lt_i32 s16, 1
	s_cbranch_scc1 .LBB288_8
.LBB288_19:
	s_load_dword s0, s[4:5], 0x94
	s_waitcnt lgkmcnt(0)
	s_cmp_lg_u32 s0, 1
	s_cbranch_scc1 .LBB288_8
; %bb.20:
	s_lshl_b32 s0, s16, 1
	s_add_i32 s0, s0, 2
	v_cmp_gt_u32_e32 vcc, s16, v1
	s_and_b32 s10, s0, -4
	v_mov_b32_e32 v2, 0
	s_waitcnt vmcnt(0)
	v_lshlrev_b32_e32 v6, 3, v0
	v_mov_b32_e32 v3, 0
	v_mov_b32_e32 v0, 0
	;; [unrolled: 1-line block ×3, first 2 shown]
	s_barrier
	s_and_saveexec_b64 s[0:1], vcc
	s_cbranch_execz .LBB288_22
; %bb.21:
	s_mul_hi_i32 s3, s18, s6
	s_mul_i32 s2, s18, s6
	s_and_b32 s9, s9, 0xffff
	s_lshl_b64 s[2:3], s[2:3], 1
	s_add_u32 s20, s26, s2
	s_mov_b32 s11, 0x20000
	s_addc_u32 s2, s27, s3
	s_and_b32 s21, s2, 0xffff
	s_mov_b32 s22, s10
	s_mov_b32 s23, s11
	buffer_load_dwordx2 v[2:3], v6, s[20:23], 0 offen glc slc
	buffer_load_dwordx2 v[0:1], v6, s[8:11], 0 offen
.LBB288_22:
	s_or_b64 exec, exec, s[0:1]
	s_waitcnt vmcnt(1)
	v_cvt_f32_u32_sdwa v5, v3 dst_sel:DWORD dst_unused:UNUSED_PAD src0_sel:WORD_0
	v_cvt_f32_u32_sdwa v7, v2 dst_sel:DWORD dst_unused:UNUSED_PAD src0_sel:WORD_1
	v_cvt_f32_u32_sdwa v4, v3 dst_sel:DWORD dst_unused:UNUSED_PAD src0_sel:WORD_1
	v_cvt_f32_u32_sdwa v9, v2 dst_sel:DWORD dst_unused:UNUSED_PAD src0_sel:WORD_0
	v_cndmask_b32_e32 v2, 0, v5, vcc
	v_cndmask_b32_e32 v5, 0, v7, vcc
	;; [unrolled: 1-line block ×4, first 2 shown]
	v_mul_f32_e32 v7, v5, v5
	v_fmac_f32_e32 v7, v4, v4
	v_fmac_f32_e32 v7, v2, v2
	;; [unrolled: 1-line block ×3, first 2 shown]
	s_nop 1
	v_mov_b32_dpp v9, v7 quad_perm:[1,0,3,2] row_mask:0xf bank_mask:0xf
	v_add_f32_e32 v7, v7, v9
	s_nop 1
	v_mov_b32_dpp v9, v7 quad_perm:[2,3,0,1] row_mask:0xf bank_mask:0xf
	v_add_f32_e32 v7, v7, v9
	s_nop 1
	v_mov_b32_dpp v9, v7 row_half_mirror row_mask:0xf bank_mask:0xf
	v_add_f32_e32 v7, v7, v9
	s_nop 1
	v_mov_b32_dpp v9, v7 row_mirror row_mask:0xf bank_mask:0xf
	v_add_f32_e32 v7, v7, v9
	s_nop 1
	v_mov_b32_dpp v9, v7 row_bcast:15 row_mask:0xf bank_mask:0xf
	v_add_f32_e32 v7, v7, v9
	s_nop 1
	v_mov_b32_dpp v9, v7 row_bcast:31 row_mask:0xf bank_mask:0xf
	v_add_f32_e32 v7, v7, v9
	ds_bpermute_b32 v7, v8, v7
	s_and_saveexec_b64 s[0:1], vcc
	s_cbranch_execz .LBB288_8
; %bb.23:
	v_cvt_f32_u32_e32 v8, s16
	s_mov_b32 s11, 0x20000
	s_waitcnt lgkmcnt(0)
	v_div_scale_f32 v9, s[0:1], v8, v8, v7
	v_rcp_f32_e32 v10, v9
	v_div_scale_f32 v11, vcc, v7, v8, v7
	s_mov_b32 s0, 0x800000
	v_fma_f32 v12, -v9, v10, 1.0
	v_fmac_f32_e32 v10, v12, v10
	v_mul_f32_e32 v12, v11, v10
	v_fma_f32 v13, -v9, v12, v11
	v_fmac_f32_e32 v12, v13, v10
	v_fma_f32 v9, -v9, v12, v11
	v_div_fmas_f32 v9, v9, v10, v12
	v_div_fixup_f32 v7, v9, v8, v7
	v_add_f32_e32 v7, s13, v7
	v_mul_f32_e32 v8, 0x4b800000, v7
	v_cmp_gt_f32_e32 vcc, s0, v7
	v_cndmask_b32_e32 v7, v7, v8, vcc
	v_rsq_f32_e32 v7, v7
	s_mul_hi_i32 s1, s7, s6
	s_mul_i32 s0, s7, s6
	s_waitcnt vmcnt(0)
	v_cvt_f32_u32_sdwa v9, v0 dst_sel:DWORD dst_unused:UNUSED_PAD src0_sel:WORD_1
	v_cvt_f32_u32_sdwa v8, v0 dst_sel:DWORD dst_unused:UNUSED_PAD src0_sel:WORD_0
	v_mul_f32_e32 v0, 0x45800000, v7
	s_lshl_b64 s[0:1], s[0:1], 1
	v_cndmask_b32_e32 v12, v7, v0, vcc
	s_add_u32 s8, s24, s0
	v_cvt_f32_u32_sdwa v11, v1 dst_sel:DWORD dst_unused:UNUSED_PAD src0_sel:WORD_1
	v_mov_b32_e32 v13, v12
	v_cvt_f32_u32_sdwa v10, v1 dst_sel:DWORD dst_unused:UNUSED_PAD src0_sel:WORD_0
	;;#ASMSTART
	v_pk_mul_f32 v[0:1], v[4:5], v[12:13]
	;;#ASMEND
	s_addc_u32 s0, s25, s1
	;;#ASMSTART
	v_pk_mul_f32 v[2:3], v[2:3], v[12:13]
	;;#ASMEND
	;;#ASMSTART
	v_pk_mul_f32 v[0:1], v[0:1], v[8:9]
	;;#ASMEND
	s_and_b32 s9, s0, 0xffff
	s_mov_b32 s0, 0x7060302
	;;#ASMSTART
	v_pk_mul_f32 v[2:3], v[2:3], v[10:11]
	;;#ASMEND
	v_perm_b32 v0, v1, v0, s0
	v_perm_b32 v1, v3, v2, s0
	buffer_store_dwordx2 v[0:1], v6, s[8:11], 0 offen
	;;#ASMSTART
	s_nop 0
	;;#ASMEND
	s_endpgm
	.section	.rodata,"a",@progbits
	.p2align	6, 0x0
	.amdhsa_kernel _ZN5aiter35fused_qk_rmsnorm_group_quant_kernelItDB8_Li64ELi4ELi16ELb0ELb0ELb0ELb0ELb0ELb0EEEvPT0_PvPT_S6_S6_PKS5_S8_S8_S8_S8_ffiiiiiiiiiiiii
		.amdhsa_group_segment_fixed_size 0
		.amdhsa_private_segment_fixed_size 0
		.amdhsa_kernarg_size 400
		.amdhsa_user_sgpr_count 6
		.amdhsa_user_sgpr_private_segment_buffer 1
		.amdhsa_user_sgpr_dispatch_ptr 0
		.amdhsa_user_sgpr_queue_ptr 0
		.amdhsa_user_sgpr_kernarg_segment_ptr 1
		.amdhsa_user_sgpr_dispatch_id 0
		.amdhsa_user_sgpr_flat_scratch_init 0
		.amdhsa_user_sgpr_kernarg_preload_length 0
		.amdhsa_user_sgpr_kernarg_preload_offset 0
		.amdhsa_user_sgpr_private_segment_size 0
		.amdhsa_uses_dynamic_stack 0
		.amdhsa_system_sgpr_private_segment_wavefront_offset 0
		.amdhsa_system_sgpr_workgroup_id_x 1
		.amdhsa_system_sgpr_workgroup_id_y 1
		.amdhsa_system_sgpr_workgroup_id_z 0
		.amdhsa_system_sgpr_workgroup_info 0
		.amdhsa_system_vgpr_workitem_id 0
		.amdhsa_next_free_vgpr 17
		.amdhsa_next_free_sgpr 32
		.amdhsa_accum_offset 20
		.amdhsa_reserve_vcc 1
		.amdhsa_reserve_flat_scratch 0
		.amdhsa_float_round_mode_32 0
		.amdhsa_float_round_mode_16_64 0
		.amdhsa_float_denorm_mode_32 3
		.amdhsa_float_denorm_mode_16_64 3
		.amdhsa_dx10_clamp 1
		.amdhsa_ieee_mode 1
		.amdhsa_fp16_overflow 0
		.amdhsa_tg_split 0
		.amdhsa_exception_fp_ieee_invalid_op 0
		.amdhsa_exception_fp_denorm_src 0
		.amdhsa_exception_fp_ieee_div_zero 0
		.amdhsa_exception_fp_ieee_overflow 0
		.amdhsa_exception_fp_ieee_underflow 0
		.amdhsa_exception_fp_ieee_inexact 0
		.amdhsa_exception_int_div_zero 0
	.end_amdhsa_kernel
	.section	.text._ZN5aiter35fused_qk_rmsnorm_group_quant_kernelItDB8_Li64ELi4ELi16ELb0ELb0ELb0ELb0ELb0ELb0EEEvPT0_PvPT_S6_S6_PKS5_S8_S8_S8_S8_ffiiiiiiiiiiiii,"axG",@progbits,_ZN5aiter35fused_qk_rmsnorm_group_quant_kernelItDB8_Li64ELi4ELi16ELb0ELb0ELb0ELb0ELb0ELb0EEEvPT0_PvPT_S6_S6_PKS5_S8_S8_S8_S8_ffiiiiiiiiiiiii,comdat
.Lfunc_end288:
	.size	_ZN5aiter35fused_qk_rmsnorm_group_quant_kernelItDB8_Li64ELi4ELi16ELb0ELb0ELb0ELb0ELb0ELb0EEEvPT0_PvPT_S6_S6_PKS5_S8_S8_S8_S8_ffiiiiiiiiiiiii, .Lfunc_end288-_ZN5aiter35fused_qk_rmsnorm_group_quant_kernelItDB8_Li64ELi4ELi16ELb0ELb0ELb0ELb0ELb0ELb0EEEvPT0_PvPT_S6_S6_PKS5_S8_S8_S8_S8_ffiiiiiiiiiiiii
                                        ; -- End function
	.section	.AMDGPU.csdata,"",@progbits
; Kernel info:
; codeLenInByte = 1876
; NumSgprs: 36
; NumVgprs: 17
; NumAgprs: 0
; TotalNumVgprs: 17
; ScratchSize: 0
; MemoryBound: 0
; FloatMode: 240
; IeeeMode: 1
; LDSByteSize: 0 bytes/workgroup (compile time only)
; SGPRBlocks: 4
; VGPRBlocks: 2
; NumSGPRsForWavesPerEU: 36
; NumVGPRsForWavesPerEU: 17
; AccumOffset: 20
; Occupancy: 8
; WaveLimiterHint : 0
; COMPUTE_PGM_RSRC2:SCRATCH_EN: 0
; COMPUTE_PGM_RSRC2:USER_SGPR: 6
; COMPUTE_PGM_RSRC2:TRAP_HANDLER: 0
; COMPUTE_PGM_RSRC2:TGID_X_EN: 1
; COMPUTE_PGM_RSRC2:TGID_Y_EN: 1
; COMPUTE_PGM_RSRC2:TGID_Z_EN: 0
; COMPUTE_PGM_RSRC2:TIDIG_COMP_CNT: 0
; COMPUTE_PGM_RSRC3_GFX90A:ACCUM_OFFSET: 4
; COMPUTE_PGM_RSRC3_GFX90A:TG_SPLIT: 0
	.section	.text._ZN5aiter35fused_qk_rmsnorm_group_quant_kernelIDF16_DB8_Li64ELi4ELi8ELb1ELb1ELb1ELb1ELb0ELb0EEEvPT0_PvPT_S6_S6_PKS5_S8_S8_S8_S8_ffiiiiiiiiiiiii,"axG",@progbits,_ZN5aiter35fused_qk_rmsnorm_group_quant_kernelIDF16_DB8_Li64ELi4ELi8ELb1ELb1ELb1ELb1ELb0ELb0EEEvPT0_PvPT_S6_S6_PKS5_S8_S8_S8_S8_ffiiiiiiiiiiiii,comdat
	.protected	_ZN5aiter35fused_qk_rmsnorm_group_quant_kernelIDF16_DB8_Li64ELi4ELi8ELb1ELb1ELb1ELb1ELb0ELb0EEEvPT0_PvPT_S6_S6_PKS5_S8_S8_S8_S8_ffiiiiiiiiiiiii ; -- Begin function _ZN5aiter35fused_qk_rmsnorm_group_quant_kernelIDF16_DB8_Li64ELi4ELi8ELb1ELb1ELb1ELb1ELb0ELb0EEEvPT0_PvPT_S6_S6_PKS5_S8_S8_S8_S8_ffiiiiiiiiiiiii
	.globl	_ZN5aiter35fused_qk_rmsnorm_group_quant_kernelIDF16_DB8_Li64ELi4ELi8ELb1ELb1ELb1ELb1ELb0ELb0EEEvPT0_PvPT_S6_S6_PKS5_S8_S8_S8_S8_ffiiiiiiiiiiiii
	.p2align	8
	.type	_ZN5aiter35fused_qk_rmsnorm_group_quant_kernelIDF16_DB8_Li64ELi4ELi8ELb1ELb1ELb1ELb1ELb0ELb0EEEvPT0_PvPT_S6_S6_PKS5_S8_S8_S8_S8_ffiiiiiiiiiiiii,@function
_ZN5aiter35fused_qk_rmsnorm_group_quant_kernelIDF16_DB8_Li64ELi4ELi8ELb1ELb1ELb1ELb1ELb0ELb0EEEvPT0_PvPT_S6_S6_PKS5_S8_S8_S8_S8_ffiiiiiiiiiiiii: ; @_ZN5aiter35fused_qk_rmsnorm_group_quant_kernelIDF16_DB8_Li64ELi4ELi8ELb1ELb1ELb1ELb1ELb0ELb0EEEvPT0_PvPT_S6_S6_PKS5_S8_S8_S8_S8_ffiiiiiiiiiiiii
; %bb.0:
	s_load_dwordx8 s[8:15], s[4:5], 0x50
	s_waitcnt lgkmcnt(0)
	s_cmp_ge_i32 s6, s10
	s_cbranch_scc1 .LBB289_15
; %bb.1:
	s_cmp_lg_u32 s7, 0
	s_cselect_b64 s[18:19], -1, 0
	s_cmp_eq_u32 s7, 0
	s_cselect_b64 s[20:21], -1, 0
	s_and_b64 s[0:1], s[20:21], exec
	s_cselect_b32 s7, s11, s12
	s_load_dwordx2 s[2:3], s[4:5], 0x30
	s_load_dwordx2 s[16:17], s[4:5], 0x48
	s_add_i32 s0, s7, 1
	s_lshr_b32 s1, s0, 31
	s_add_i32 s0, s0, s1
	s_lshl_b32 s0, s0, 1
	v_lshlrev_b32_e32 v1, 2, v0
	s_and_b32 s26, s0, -4
	v_cmp_gt_i32_e64 s[0:1], s7, v1
	v_mov_b32_e32 v2, 0
	v_mov_b32_e32 v3, 0
	;; [unrolled: 1-line block ×4, first 2 shown]
	s_and_saveexec_b64 s[10:11], s[0:1]
	s_cbranch_execz .LBB289_3
; %bb.2:
	s_load_dwordx2 s[22:23], s[4:5], 0x28
	s_load_dwordx2 s[24:25], s[4:5], 0x40
	s_and_b64 s[28:29], s[20:21], exec
	s_cselect_b32 s13, s13, s14
	v_lshlrev_b32_e32 v4, 3, v0
	s_waitcnt lgkmcnt(0)
	s_cselect_b32 s27, s23, s3
	s_cselect_b32 s28, s22, s2
	s_mul_hi_i32 s23, s13, s6
	s_mul_i32 s22, s13, s6
	s_lshl_b64 s[22:23], s[22:23], 1
	s_add_u32 s28, s28, s22
	s_addc_u32 s13, s27, s23
	s_and_b64 s[20:21], s[20:21], exec
	s_mov_b32 s27, 0x20000
	s_cselect_b32 s24, s24, s16
	s_cselect_b32 s20, s25, s17
	s_and_b32 s29, s13, 0xffff
	s_mov_b32 s30, s26
	s_mov_b32 s31, s27
	s_and_b32 s25, s20, 0xffff
	buffer_load_dwordx2 v[8:9], v4, s[28:31], 0 offen glc slc
	buffer_load_dwordx2 v[2:3], v4, s[24:27], 0 offen
.LBB289_3:
	s_or_b64 exec, exec, s[10:11]
	s_load_dwordx4 s[20:23], s[4:5], 0x7c
	s_and_b64 vcc, exec, s[18:19]
	s_cbranch_vccz .LBB289_7
; %bb.4:
	v_mov_b32_e32 v7, 0
	v_mov_b32_e32 v6, 0
	;; [unrolled: 1-line block ×4, first 2 shown]
	s_and_saveexec_b64 s[10:11], s[0:1]
	s_cbranch_execz .LBB289_6
; %bb.5:
	s_waitcnt vmcnt(1)
	v_cvt_f32_f16_sdwa v5, v8 dst_sel:DWORD dst_unused:UNUSED_PAD src0_sel:WORD_1
	v_cvt_f32_f16_e32 v4, v8
	v_cvt_f32_f16_sdwa v7, v9 dst_sel:DWORD dst_unused:UNUSED_PAD src0_sel:WORD_1
	v_cvt_f32_f16_e32 v6, v9
.LBB289_6:
	s_or_b64 exec, exec, s[10:11]
	s_mov_b32 s13, s9
	s_cbranch_execz .LBB289_8
	s_branch .LBB289_11
.LBB289_7:
                                        ; implicit-def: $vgpr7
                                        ; implicit-def: $vgpr5
	s_mov_b32 s13, s9
.LBB289_8:
	v_mov_b32_e32 v7, 0
	v_mov_b32_e32 v6, 0
	;; [unrolled: 1-line block ×4, first 2 shown]
	s_and_saveexec_b64 s[10:11], s[0:1]
	s_cbranch_execz .LBB289_10
; %bb.9:
	s_load_dwordx2 s[24:25], s[4:5], 0x38
	s_mul_hi_i32 s29, s15, s6
	s_mul_i32 s28, s15, s6
	s_lshl_b64 s[28:29], s[28:29], 1
	s_mov_b32 s27, 0x20000
	s_waitcnt lgkmcnt(0)
	s_add_u32 s24, s24, s28
	s_addc_u32 s13, s25, s29
	s_and_b32 s25, s13, 0xffff
	v_lshlrev_b32_e32 v14, 3, v0
	buffer_load_dwordx2 v[4:5], v14, s[24:27], 0 offen glc slc
	s_waitcnt vmcnt(2)
	v_cvt_f32_f16_sdwa v7, v8 dst_sel:DWORD dst_unused:UNUSED_PAD src0_sel:WORD_1
	v_cvt_f32_f16_e32 v6, v8
	v_cvt_f32_f16_sdwa v11, v9 dst_sel:DWORD dst_unused:UNUSED_PAD src0_sel:WORD_1
	v_cvt_f32_f16_e32 v10, v9
	s_load_dwordx2 s[24:25], s[4:5], 0x20
	s_mul_hi_i32 s23, s22, s6
	s_mul_i32 s22, s22, s6
	s_lshl_b64 s[22:23], s[22:23], 1
	s_waitcnt lgkmcnt(0)
	s_add_u32 s24, s24, s22
	s_addc_u32 s13, s25, s23
	s_and_b32 s25, s13, 0xffff
	s_waitcnt vmcnt(0)
	v_cvt_f32_f16_e32 v8, v4
	v_cvt_f32_f16_sdwa v9, v4 dst_sel:DWORD dst_unused:UNUSED_PAD src0_sel:WORD_1
	v_cvt_f32_f16_e32 v12, v5
	v_cvt_f32_f16_sdwa v13, v5 dst_sel:DWORD dst_unused:UNUSED_PAD src0_sel:WORD_1
	v_pk_add_f32 v[4:5], v[6:7], v[8:9]
	v_cvt_f16_f32_e32 v8, v5
	v_pk_add_f32 v[6:7], v[10:11], v[12:13]
	v_cvt_f16_f32_e32 v9, v7
	v_cvt_f16_f32_e32 v10, v6
	;; [unrolled: 1-line block ×3, first 2 shown]
	v_pack_b32_f16 v9, v10, v9
	v_pack_b32_f16 v8, v11, v8
	buffer_store_dwordx2 v[8:9], v14, s[24:27], 0 offen glc slc
	;;#ASMSTART
	s_nop 0
	;;#ASMEND
.LBB289_10:
	s_or_b64 exec, exec, s[10:11]
	s_mov_b32 s13, s8
.LBB289_11:
	s_waitcnt vmcnt(1)
	v_mul_f32_e32 v8, v5, v5
	v_fmac_f32_e32 v8, v4, v4
	v_fmac_f32_e32 v8, v6, v6
	;; [unrolled: 1-line block ×3, first 2 shown]
	v_bfrev_b32_e32 v10, 0.5
	s_load_dwordx2 s[10:11], s[4:5], 0x18
	v_mov_b32_dpp v9, v8 quad_perm:[1,0,3,2] row_mask:0xf bank_mask:0xf
	v_add_f32_e32 v8, v8, v9
	s_nop 1
	v_mov_b32_dpp v9, v8 quad_perm:[2,3,0,1] row_mask:0xf bank_mask:0xf
	v_add_f32_e32 v8, v8, v9
	s_nop 1
	v_mov_b32_dpp v9, v8 row_half_mirror row_mask:0xf bank_mask:0xf
	v_add_f32_e32 v8, v8, v9
	s_nop 1
	v_mov_b32_dpp v9, v8 row_mirror row_mask:0xf bank_mask:0xf
	v_add_f32_e32 v8, v8, v9
	s_nop 1
	v_mov_b32_dpp v9, v8 row_bcast:15 row_mask:0xf bank_mask:0xf
	v_add_f32_e32 v8, v8, v9
	s_nop 1
	v_mov_b32_dpp v9, v8 row_bcast:31 row_mask:0xf bank_mask:0xf
	v_add_f32_e32 v9, v8, v9
	v_mbcnt_lo_u32_b32 v8, -1, 0
	v_mbcnt_hi_u32_b32 v8, -1, v8
	v_lshl_or_b32 v8, v8, 2, v10
	ds_bpermute_b32 v9, v8, v9
	s_waitcnt lgkmcnt(0)
	s_and_saveexec_b64 s[22:23], s[0:1]
	s_cbranch_execnz .LBB289_16
; %bb.12:
	s_or_b64 exec, exec, s[22:23]
	s_mov_b64 s[22:23], -1
	s_and_b64 vcc, exec, s[18:19]
	s_cbranch_vccnz .LBB289_17
.LBB289_13:
	s_andn2_b64 vcc, exec, s[22:23]
	s_cbranch_vccz .LBB289_20
.LBB289_14:
	s_cmp_lt_i32 s12, 1
	s_cbranch_scc0 .LBB289_23
.LBB289_15:
	s_endpgm
.LBB289_16:
	v_cvt_f32_u32_e32 v10, s7
	s_mov_b32 s7, 0x800000
	v_div_scale_f32 v11, s[24:25], v10, v10, v9
	v_rcp_f32_e32 v12, v11
	v_div_scale_f32 v13, vcc, v9, v10, v9
	v_fma_f32 v14, -v11, v12, 1.0
	v_fmac_f32_e32 v12, v14, v12
	v_mul_f32_e32 v14, v13, v12
	v_fma_f32 v15, -v11, v14, v13
	v_fmac_f32_e32 v14, v15, v12
	v_fma_f32 v11, -v11, v14, v13
	v_div_fmas_f32 v11, v11, v12, v14
	v_div_fixup_f32 v9, v11, v10, v9
	v_add_f32_e32 v9, s13, v9
	v_mul_f32_e32 v10, 0x4b800000, v9
	v_cmp_gt_f32_e32 vcc, s7, v9
	v_cndmask_b32_e32 v9, v9, v10, vcc
	v_rsq_f32_e32 v9, v9
	s_waitcnt vmcnt(0)
	v_cvt_f32_f16_sdwa v11, v2 dst_sel:DWORD dst_unused:UNUSED_PAD src0_sel:WORD_1
	v_cvt_f32_f16_e32 v10, v2
	v_cvt_f32_f16_sdwa v13, v3 dst_sel:DWORD dst_unused:UNUSED_PAD src0_sel:WORD_1
	v_cvt_f32_f16_e32 v12, v3
	v_mul_f32_e32 v2, 0x45800000, v9
	v_cndmask_b32_e32 v14, v9, v2, vcc
	v_mov_b32_e32 v15, v14
	;;#ASMSTART
	v_pk_mul_f32 v[4:5], v[4:5], v[14:15]
	;;#ASMEND
	;;#ASMSTART
	v_pk_mul_f32 v[2:3], v[6:7], v[14:15]
	;;#ASMEND
	v_pk_add_f32 v[6:7], v[10:11], 1.0 op_sel_hi:[1,0]
	;;#ASMSTART
	v_pk_mul_f32 v[4:5], v[4:5], v[6:7]
	;;#ASMEND
	v_pk_add_f32 v[6:7], v[12:13], 1.0 op_sel_hi:[1,0]
	;;#ASMSTART
	v_pk_mul_f32 v[6:7], v[2:3], v[6:7]
	;;#ASMEND
	s_or_b64 exec, exec, s[22:23]
	s_mov_b64 s[22:23], -1
	s_and_b64 vcc, exec, s[18:19]
	s_cbranch_vccz .LBB289_13
.LBB289_17:
	s_and_saveexec_b64 s[18:19], s[0:1]
	s_cbranch_execz .LBB289_19
; %bb.18:
	s_mul_hi_i32 s23, s21, s6
	s_mul_i32 s22, s21, s6
	s_waitcnt vmcnt(0)
	v_cvt_f16_f32_e32 v2, v4
	v_cvt_f16_f32_e32 v3, v6
	;; [unrolled: 1-line block ×4, first 2 shown]
	s_lshl_b64 s[22:23], s[22:23], 1
	s_add_u32 s24, s10, s22
	s_addc_u32 s7, s11, s23
	s_and_b32 s25, s7, 0xffff
	s_mov_b32 s27, 0x20000
	v_pack_b32_f16 v3, v3, v9
	v_pack_b32_f16 v2, v2, v10
	v_lshlrev_b32_e32 v9, 3, v0
	buffer_store_dwordx2 v[2:3], v9, s[24:27], 0 offen
	;;#ASMSTART
	s_nop 0
	;;#ASMEND
.LBB289_19:
	s_or_b64 exec, exec, s[18:19]
	s_cbranch_execnz .LBB289_14
.LBB289_20:
	s_and_saveexec_b64 s[18:19], s[0:1]
	s_cbranch_execz .LBB289_22
; %bb.21:
	s_load_dwordx2 s[0:1], s[4:5], 0x10
	s_mul_hi_i32 s23, s20, s6
	s_mul_i32 s22, s20, s6
	s_waitcnt vmcnt(0)
	v_cvt_f16_f32_e32 v2, v4
	v_cvt_f16_f32_e32 v3, v6
	v_cvt_f16_f32_e32 v4, v7
	v_cvt_f16_f32_e32 v5, v5
	s_lshl_b64 s[22:23], s[22:23], 1
	s_waitcnt lgkmcnt(0)
	s_add_u32 s24, s0, s22
	s_addc_u32 s0, s1, s23
	s_and_b32 s25, s0, 0xffff
	s_mov_b32 s27, 0x20000
	v_pack_b32_f16 v3, v3, v4
	v_pack_b32_f16 v2, v2, v5
	v_lshlrev_b32_e32 v4, 3, v0
	buffer_store_dwordx2 v[2:3], v4, s[24:27], 0 offen
	;;#ASMSTART
	s_nop 0
	;;#ASMEND
.LBB289_22:
	s_or_b64 exec, exec, s[18:19]
	s_cmp_lt_i32 s12, 1
	s_cbranch_scc1 .LBB289_15
.LBB289_23:
	s_load_dword s0, s[4:5], 0x94
	s_waitcnt lgkmcnt(0)
	s_cmp_lg_u32 s0, 1
	s_cbranch_scc1 .LBB289_15
; %bb.24:
	s_lshl_b32 s0, s12, 1
	s_add_i32 s0, s0, 2
	v_cmp_gt_u32_e32 vcc, s12, v1
	s_and_b32 s18, s0, -4
	s_waitcnt vmcnt(0)
	v_mov_b32_e32 v2, 0
	v_lshlrev_b32_e32 v6, 3, v0
	v_mov_b32_e32 v3, 0
	v_mov_b32_e32 v0, 0
	;; [unrolled: 1-line block ×3, first 2 shown]
	s_barrier
	s_and_saveexec_b64 s[0:1], vcc
	s_cbranch_execz .LBB289_26
; %bb.25:
	s_mul_hi_i32 s5, s14, s6
	s_mul_i32 s4, s14, s6
	s_and_b32 s17, s17, 0xffff
	s_lshl_b64 s[4:5], s[4:5], 1
	s_add_u32 s24, s2, s4
	s_mov_b32 s19, 0x20000
	s_addc_u32 s2, s3, s5
	s_and_b32 s25, s2, 0xffff
	s_mov_b32 s26, s18
	s_mov_b32 s27, s19
	buffer_load_dwordx2 v[2:3], v6, s[24:27], 0 offen glc slc
	buffer_load_dwordx2 v[0:1], v6, s[16:19], 0 offen
.LBB289_26:
	s_or_b64 exec, exec, s[0:1]
	s_waitcnt vmcnt(1)
	v_cvt_f32_f16_e32 v4, v3
	v_cvt_f32_f16_e32 v5, v2
	v_cvt_f32_f16_sdwa v7, v2 dst_sel:DWORD dst_unused:UNUSED_PAD src0_sel:WORD_1
	v_cvt_f32_f16_sdwa v3, v3 dst_sel:DWORD dst_unused:UNUSED_PAD src0_sel:WORD_1
	v_cndmask_b32_e32 v2, 0, v4, vcc
	v_cndmask_b32_e32 v4, 0, v5, vcc
	v_cndmask_b32_e32 v5, 0, v7, vcc
	v_mul_f32_e32 v7, v5, v5
	v_fmac_f32_e32 v7, v4, v4
	v_cndmask_b32_e32 v3, 0, v3, vcc
	v_fmac_f32_e32 v7, v2, v2
	v_fmac_f32_e32 v7, v3, v3
	s_nop 1
	v_mov_b32_dpp v9, v7 quad_perm:[1,0,3,2] row_mask:0xf bank_mask:0xf
	v_add_f32_e32 v7, v7, v9
	s_nop 1
	v_mov_b32_dpp v9, v7 quad_perm:[2,3,0,1] row_mask:0xf bank_mask:0xf
	v_add_f32_e32 v7, v7, v9
	s_nop 1
	v_mov_b32_dpp v9, v7 row_half_mirror row_mask:0xf bank_mask:0xf
	v_add_f32_e32 v7, v7, v9
	s_nop 1
	v_mov_b32_dpp v9, v7 row_mirror row_mask:0xf bank_mask:0xf
	v_add_f32_e32 v7, v7, v9
	s_nop 1
	v_mov_b32_dpp v9, v7 row_bcast:15 row_mask:0xf bank_mask:0xf
	v_add_f32_e32 v7, v7, v9
	s_nop 1
	v_mov_b32_dpp v9, v7 row_bcast:31 row_mask:0xf bank_mask:0xf
	v_add_f32_e32 v7, v7, v9
	ds_bpermute_b32 v7, v8, v7
	s_and_saveexec_b64 s[0:1], vcc
	s_cbranch_execz .LBB289_15
; %bb.27:
	v_cvt_f32_u32_e32 v8, s12
	s_mov_b32 s19, 0x20000
	s_waitcnt lgkmcnt(0)
	v_div_scale_f32 v9, s[0:1], v8, v8, v7
	v_rcp_f32_e32 v10, v9
	v_div_scale_f32 v11, vcc, v7, v8, v7
	s_mov_b32 s0, 0x800000
	v_fma_f32 v12, -v9, v10, 1.0
	v_fmac_f32_e32 v10, v12, v10
	v_mul_f32_e32 v12, v11, v10
	v_fma_f32 v13, -v9, v12, v11
	v_fmac_f32_e32 v12, v13, v10
	v_fma_f32 v9, -v9, v12, v11
	v_div_fmas_f32 v9, v9, v10, v12
	v_div_fixup_f32 v7, v9, v8, v7
	v_add_f32_e32 v7, s9, v7
	v_mul_f32_e32 v8, 0x4b800000, v7
	v_cmp_gt_f32_e32 vcc, s0, v7
	v_cndmask_b32_e32 v7, v7, v8, vcc
	v_rsq_f32_e32 v7, v7
	s_waitcnt vmcnt(0)
	v_cvt_f32_f16_sdwa v9, v0 dst_sel:DWORD dst_unused:UNUSED_PAD src0_sel:WORD_1
	v_cvt_f32_f16_e32 v8, v0
	v_cvt_f32_f16_sdwa v11, v1 dst_sel:DWORD dst_unused:UNUSED_PAD src0_sel:WORD_1
	v_cvt_f32_f16_e32 v10, v1
	v_mul_f32_e32 v0, 0x45800000, v7
	v_cndmask_b32_e32 v12, v7, v0, vcc
	v_mov_b32_e32 v13, v12
	;;#ASMSTART
	v_pk_mul_f32 v[4:5], v[4:5], v[12:13]
	;;#ASMEND
	;;#ASMSTART
	v_pk_mul_f32 v[0:1], v[2:3], v[12:13]
	;;#ASMEND
	v_pk_add_f32 v[2:3], v[8:9], 1.0 op_sel_hi:[1,0]
	;;#ASMSTART
	v_pk_mul_f32 v[2:3], v[4:5], v[2:3]
	;;#ASMEND
	v_pk_add_f32 v[4:5], v[10:11], 1.0 op_sel_hi:[1,0]
	;;#ASMSTART
	v_pk_mul_f32 v[0:1], v[0:1], v[4:5]
	;;#ASMEND
	s_mul_hi_i32 s1, s21, s6
	s_mul_i32 s0, s21, s6
	v_cvt_f16_f32_e32 v2, v2
	v_cvt_f16_f32_e32 v3, v3
	;; [unrolled: 1-line block ×4, first 2 shown]
	s_lshl_b64 s[0:1], s[0:1], 1
	s_add_u32 s16, s10, s0
	s_addc_u32 s0, s11, s1
	s_and_b32 s17, s0, 0xffff
	v_pack_b32_f16 v0, v2, v3
	v_pack_b32_f16 v1, v4, v1
	buffer_store_dwordx2 v[0:1], v6, s[16:19], 0 offen
	;;#ASMSTART
	s_nop 0
	;;#ASMEND
	s_endpgm
	.section	.rodata,"a",@progbits
	.p2align	6, 0x0
	.amdhsa_kernel _ZN5aiter35fused_qk_rmsnorm_group_quant_kernelIDF16_DB8_Li64ELi4ELi8ELb1ELb1ELb1ELb1ELb0ELb0EEEvPT0_PvPT_S6_S6_PKS5_S8_S8_S8_S8_ffiiiiiiiiiiiii
		.amdhsa_group_segment_fixed_size 0
		.amdhsa_private_segment_fixed_size 0
		.amdhsa_kernarg_size 400
		.amdhsa_user_sgpr_count 6
		.amdhsa_user_sgpr_private_segment_buffer 1
		.amdhsa_user_sgpr_dispatch_ptr 0
		.amdhsa_user_sgpr_queue_ptr 0
		.amdhsa_user_sgpr_kernarg_segment_ptr 1
		.amdhsa_user_sgpr_dispatch_id 0
		.amdhsa_user_sgpr_flat_scratch_init 0
		.amdhsa_user_sgpr_kernarg_preload_length 0
		.amdhsa_user_sgpr_kernarg_preload_offset 0
		.amdhsa_user_sgpr_private_segment_size 0
		.amdhsa_uses_dynamic_stack 0
		.amdhsa_system_sgpr_private_segment_wavefront_offset 0
		.amdhsa_system_sgpr_workgroup_id_x 1
		.amdhsa_system_sgpr_workgroup_id_y 1
		.amdhsa_system_sgpr_workgroup_id_z 0
		.amdhsa_system_sgpr_workgroup_info 0
		.amdhsa_system_vgpr_workitem_id 0
		.amdhsa_next_free_vgpr 16
		.amdhsa_next_free_sgpr 32
		.amdhsa_accum_offset 16
		.amdhsa_reserve_vcc 1
		.amdhsa_reserve_flat_scratch 0
		.amdhsa_float_round_mode_32 0
		.amdhsa_float_round_mode_16_64 0
		.amdhsa_float_denorm_mode_32 3
		.amdhsa_float_denorm_mode_16_64 3
		.amdhsa_dx10_clamp 1
		.amdhsa_ieee_mode 1
		.amdhsa_fp16_overflow 0
		.amdhsa_tg_split 0
		.amdhsa_exception_fp_ieee_invalid_op 0
		.amdhsa_exception_fp_denorm_src 0
		.amdhsa_exception_fp_ieee_div_zero 0
		.amdhsa_exception_fp_ieee_overflow 0
		.amdhsa_exception_fp_ieee_underflow 0
		.amdhsa_exception_fp_ieee_inexact 0
		.amdhsa_exception_int_div_zero 0
	.end_amdhsa_kernel
	.section	.text._ZN5aiter35fused_qk_rmsnorm_group_quant_kernelIDF16_DB8_Li64ELi4ELi8ELb1ELb1ELb1ELb1ELb0ELb0EEEvPT0_PvPT_S6_S6_PKS5_S8_S8_S8_S8_ffiiiiiiiiiiiii,"axG",@progbits,_ZN5aiter35fused_qk_rmsnorm_group_quant_kernelIDF16_DB8_Li64ELi4ELi8ELb1ELb1ELb1ELb1ELb0ELb0EEEvPT0_PvPT_S6_S6_PKS5_S8_S8_S8_S8_ffiiiiiiiiiiiii,comdat
.Lfunc_end289:
	.size	_ZN5aiter35fused_qk_rmsnorm_group_quant_kernelIDF16_DB8_Li64ELi4ELi8ELb1ELb1ELb1ELb1ELb0ELb0EEEvPT0_PvPT_S6_S6_PKS5_S8_S8_S8_S8_ffiiiiiiiiiiiii, .Lfunc_end289-_ZN5aiter35fused_qk_rmsnorm_group_quant_kernelIDF16_DB8_Li64ELi4ELi8ELb1ELb1ELb1ELb1ELb0ELb0EEEvPT0_PvPT_S6_S6_PKS5_S8_S8_S8_S8_ffiiiiiiiiiiiii
                                        ; -- End function
	.section	.AMDGPU.csdata,"",@progbits
; Kernel info:
; codeLenInByte = 1840
; NumSgprs: 36
; NumVgprs: 16
; NumAgprs: 0
; TotalNumVgprs: 16
; ScratchSize: 0
; MemoryBound: 0
; FloatMode: 240
; IeeeMode: 1
; LDSByteSize: 0 bytes/workgroup (compile time only)
; SGPRBlocks: 4
; VGPRBlocks: 1
; NumSGPRsForWavesPerEU: 36
; NumVGPRsForWavesPerEU: 16
; AccumOffset: 16
; Occupancy: 8
; WaveLimiterHint : 0
; COMPUTE_PGM_RSRC2:SCRATCH_EN: 0
; COMPUTE_PGM_RSRC2:USER_SGPR: 6
; COMPUTE_PGM_RSRC2:TRAP_HANDLER: 0
; COMPUTE_PGM_RSRC2:TGID_X_EN: 1
; COMPUTE_PGM_RSRC2:TGID_Y_EN: 1
; COMPUTE_PGM_RSRC2:TGID_Z_EN: 0
; COMPUTE_PGM_RSRC2:TIDIG_COMP_CNT: 0
; COMPUTE_PGM_RSRC3_GFX90A:ACCUM_OFFSET: 3
; COMPUTE_PGM_RSRC3_GFX90A:TG_SPLIT: 0
	.section	.text._ZN5aiter35fused_qk_rmsnorm_group_quant_kernelItDB8_Li64ELi4ELi8ELb1ELb1ELb1ELb1ELb0ELb0EEEvPT0_PvPT_S6_S6_PKS5_S8_S8_S8_S8_ffiiiiiiiiiiiii,"axG",@progbits,_ZN5aiter35fused_qk_rmsnorm_group_quant_kernelItDB8_Li64ELi4ELi8ELb1ELb1ELb1ELb1ELb0ELb0EEEvPT0_PvPT_S6_S6_PKS5_S8_S8_S8_S8_ffiiiiiiiiiiiii,comdat
	.protected	_ZN5aiter35fused_qk_rmsnorm_group_quant_kernelItDB8_Li64ELi4ELi8ELb1ELb1ELb1ELb1ELb0ELb0EEEvPT0_PvPT_S6_S6_PKS5_S8_S8_S8_S8_ffiiiiiiiiiiiii ; -- Begin function _ZN5aiter35fused_qk_rmsnorm_group_quant_kernelItDB8_Li64ELi4ELi8ELb1ELb1ELb1ELb1ELb0ELb0EEEvPT0_PvPT_S6_S6_PKS5_S8_S8_S8_S8_ffiiiiiiiiiiiii
	.globl	_ZN5aiter35fused_qk_rmsnorm_group_quant_kernelItDB8_Li64ELi4ELi8ELb1ELb1ELb1ELb1ELb0ELb0EEEvPT0_PvPT_S6_S6_PKS5_S8_S8_S8_S8_ffiiiiiiiiiiiii
	.p2align	8
	.type	_ZN5aiter35fused_qk_rmsnorm_group_quant_kernelItDB8_Li64ELi4ELi8ELb1ELb1ELb1ELb1ELb0ELb0EEEvPT0_PvPT_S6_S6_PKS5_S8_S8_S8_S8_ffiiiiiiiiiiiii,@function
_ZN5aiter35fused_qk_rmsnorm_group_quant_kernelItDB8_Li64ELi4ELi8ELb1ELb1ELb1ELb1ELb0ELb0EEEvPT0_PvPT_S6_S6_PKS5_S8_S8_S8_S8_ffiiiiiiiiiiiii: ; @_ZN5aiter35fused_qk_rmsnorm_group_quant_kernelItDB8_Li64ELi4ELi8ELb1ELb1ELb1ELb1ELb0ELb0EEEvPT0_PvPT_S6_S6_PKS5_S8_S8_S8_S8_ffiiiiiiiiiiiii
; %bb.0:
	s_load_dwordx8 s[8:15], s[4:5], 0x50
	s_waitcnt lgkmcnt(0)
	s_cmp_ge_i32 s6, s10
	s_cbranch_scc1 .LBB290_15
; %bb.1:
	s_cmp_lg_u32 s7, 0
	s_cselect_b64 s[18:19], -1, 0
	s_cmp_eq_u32 s7, 0
	s_cselect_b64 s[20:21], -1, 0
	s_and_b64 s[0:1], s[20:21], exec
	s_cselect_b32 s7, s11, s12
	s_load_dwordx2 s[2:3], s[4:5], 0x30
	s_load_dwordx2 s[16:17], s[4:5], 0x48
	s_add_i32 s0, s7, 1
	s_lshr_b32 s1, s0, 31
	s_add_i32 s0, s0, s1
	s_lshl_b32 s0, s0, 1
	v_lshlrev_b32_e32 v1, 2, v0
	s_and_b32 s26, s0, -4
	v_cmp_gt_i32_e64 s[0:1], s7, v1
	v_mov_b32_e32 v6, 0
	v_mov_b32_e32 v7, 0
	v_mov_b32_e32 v8, 0
	v_mov_b32_e32 v9, 0
	s_and_saveexec_b64 s[10:11], s[0:1]
	s_cbranch_execz .LBB290_3
; %bb.2:
	s_load_dwordx2 s[22:23], s[4:5], 0x28
	s_load_dwordx2 s[24:25], s[4:5], 0x40
	s_and_b64 s[28:29], s[20:21], exec
	s_cselect_b32 s13, s13, s14
	v_lshlrev_b32_e32 v2, 3, v0
	s_waitcnt lgkmcnt(0)
	s_cselect_b32 s27, s23, s3
	s_cselect_b32 s28, s22, s2
	s_mul_hi_i32 s23, s13, s6
	s_mul_i32 s22, s13, s6
	s_lshl_b64 s[22:23], s[22:23], 1
	s_add_u32 s28, s28, s22
	s_addc_u32 s13, s27, s23
	s_and_b64 s[20:21], s[20:21], exec
	s_mov_b32 s27, 0x20000
	s_cselect_b32 s24, s24, s16
	s_cselect_b32 s20, s25, s17
	s_and_b32 s29, s13, 0xffff
	s_mov_b32 s30, s26
	s_mov_b32 s31, s27
	s_and_b32 s25, s20, 0xffff
	buffer_load_dwordx2 v[8:9], v2, s[28:31], 0 offen glc slc
	buffer_load_dwordx2 v[6:7], v2, s[24:27], 0 offen
.LBB290_3:
	s_or_b64 exec, exec, s[10:11]
	s_load_dwordx4 s[20:23], s[4:5], 0x7c
	s_and_b64 vcc, exec, s[18:19]
	s_cbranch_vccz .LBB290_7
; %bb.4:
	s_mov_b32 s28, 0
	s_mov_b32 s29, s28
	;; [unrolled: 1-line block ×4, first 2 shown]
	v_pk_mov_b32 v[2:3], s[28:29], s[28:29] op_sel:[0,1]
	v_pk_mov_b32 v[4:5], s[30:31], s[30:31] op_sel:[0,1]
	s_and_saveexec_b64 s[10:11], s[0:1]
	s_cbranch_execz .LBB290_6
; %bb.5:
	s_waitcnt vmcnt(1)
	v_cvt_f32_u32_sdwa v3, v8 dst_sel:DWORD dst_unused:UNUSED_PAD src0_sel:WORD_1
	v_cvt_f32_u32_sdwa v2, v8 dst_sel:DWORD dst_unused:UNUSED_PAD src0_sel:WORD_0
	v_cvt_f32_u32_sdwa v5, v9 dst_sel:DWORD dst_unused:UNUSED_PAD src0_sel:WORD_1
	v_cvt_f32_u32_sdwa v4, v9 dst_sel:DWORD dst_unused:UNUSED_PAD src0_sel:WORD_0
.LBB290_6:
	s_or_b64 exec, exec, s[10:11]
	s_mov_b32 s13, s9
	s_cbranch_execz .LBB290_8
	s_branch .LBB290_11
.LBB290_7:
                                        ; implicit-def: $vgpr2_vgpr3_vgpr4_vgpr5
	s_mov_b32 s13, s9
.LBB290_8:
	s_mov_b32 s28, 0
	s_mov_b32 s29, s28
	;; [unrolled: 1-line block ×4, first 2 shown]
	v_pk_mov_b32 v[2:3], s[28:29], s[28:29] op_sel:[0,1]
	v_pk_mov_b32 v[4:5], s[30:31], s[30:31] op_sel:[0,1]
	s_and_saveexec_b64 s[10:11], s[0:1]
	s_cbranch_execz .LBB290_10
; %bb.9:
	s_load_dwordx2 s[24:25], s[4:5], 0x38
	s_mul_hi_i32 s29, s15, s6
	s_mul_i32 s28, s15, s6
	s_lshl_b64 s[28:29], s[28:29], 1
	s_mov_b32 s27, 0x20000
	s_waitcnt lgkmcnt(0)
	s_add_u32 s24, s24, s28
	s_addc_u32 s13, s25, s29
	s_and_b32 s25, s13, 0xffff
	v_lshlrev_b32_e32 v14, 3, v0
	buffer_load_dwordx2 v[2:3], v14, s[24:27], 0 offen glc slc
	s_load_dwordx2 s[24:25], s[4:5], 0x20
	s_waitcnt vmcnt(2)
	v_cvt_f32_u32_sdwa v5, v8 dst_sel:DWORD dst_unused:UNUSED_PAD src0_sel:WORD_1
	v_cvt_f32_u32_sdwa v4, v8 dst_sel:DWORD dst_unused:UNUSED_PAD src0_sel:WORD_0
	v_cvt_f32_u32_sdwa v11, v9 dst_sel:DWORD dst_unused:UNUSED_PAD src0_sel:WORD_1
	v_cvt_f32_u32_sdwa v10, v9 dst_sel:DWORD dst_unused:UNUSED_PAD src0_sel:WORD_0
	s_mul_hi_i32 s23, s22, s6
	s_mul_i32 s22, s22, s6
	s_lshl_b64 s[22:23], s[22:23], 1
	s_waitcnt lgkmcnt(0)
	s_add_u32 s24, s24, s22
	s_mov_b32 s13, 0x7060302
	s_addc_u32 s15, s25, s23
	s_and_b32 s25, s15, 0xffff
	s_waitcnt vmcnt(0)
	v_cvt_f32_u32_sdwa v9, v2 dst_sel:DWORD dst_unused:UNUSED_PAD src0_sel:WORD_1
	v_cvt_f32_u32_sdwa v8, v2 dst_sel:DWORD dst_unused:UNUSED_PAD src0_sel:WORD_0
	v_cvt_f32_u32_sdwa v13, v3 dst_sel:DWORD dst_unused:UNUSED_PAD src0_sel:WORD_1
	v_cvt_f32_u32_sdwa v12, v3 dst_sel:DWORD dst_unused:UNUSED_PAD src0_sel:WORD_0
	v_pk_add_f32 v[2:3], v[4:5], v[8:9]
	v_perm_b32 v8, v3, v2, s13
	v_pk_add_f32 v[4:5], v[10:11], v[12:13]
	v_perm_b32 v9, v5, v4, s13
	buffer_store_dwordx2 v[8:9], v14, s[24:27], 0 offen glc slc
	;;#ASMSTART
	s_nop 0
	;;#ASMEND
.LBB290_10:
	s_or_b64 exec, exec, s[10:11]
	s_mov_b32 s13, s8
.LBB290_11:
	s_waitcnt vmcnt(1)
	v_mul_f32_e32 v8, v3, v3
	v_fmac_f32_e32 v8, v2, v2
	v_fmac_f32_e32 v8, v4, v4
	;; [unrolled: 1-line block ×3, first 2 shown]
	v_bfrev_b32_e32 v10, 0.5
	s_load_dwordx2 s[10:11], s[4:5], 0x18
	v_mov_b32_dpp v9, v8 quad_perm:[1,0,3,2] row_mask:0xf bank_mask:0xf
	v_add_f32_e32 v8, v8, v9
	s_nop 1
	v_mov_b32_dpp v9, v8 quad_perm:[2,3,0,1] row_mask:0xf bank_mask:0xf
	v_add_f32_e32 v8, v8, v9
	s_nop 1
	v_mov_b32_dpp v9, v8 row_half_mirror row_mask:0xf bank_mask:0xf
	v_add_f32_e32 v8, v8, v9
	s_nop 1
	v_mov_b32_dpp v9, v8 row_mirror row_mask:0xf bank_mask:0xf
	v_add_f32_e32 v8, v8, v9
	s_nop 1
	v_mov_b32_dpp v9, v8 row_bcast:15 row_mask:0xf bank_mask:0xf
	v_add_f32_e32 v8, v8, v9
	s_nop 1
	v_mov_b32_dpp v9, v8 row_bcast:31 row_mask:0xf bank_mask:0xf
	v_add_f32_e32 v9, v8, v9
	v_mbcnt_lo_u32_b32 v8, -1, 0
	v_mbcnt_hi_u32_b32 v8, -1, v8
	v_lshl_or_b32 v8, v8, 2, v10
	ds_bpermute_b32 v9, v8, v9
	s_waitcnt lgkmcnt(0)
	s_and_saveexec_b64 s[22:23], s[0:1]
	s_cbranch_execnz .LBB290_16
; %bb.12:
	s_or_b64 exec, exec, s[22:23]
	s_mov_b64 s[22:23], -1
	s_and_b64 vcc, exec, s[18:19]
	s_cbranch_vccnz .LBB290_17
.LBB290_13:
	s_andn2_b64 vcc, exec, s[22:23]
	s_cbranch_vccz .LBB290_20
.LBB290_14:
	s_cmp_lt_i32 s12, 1
	s_cbranch_scc0 .LBB290_23
.LBB290_15:
	s_endpgm
.LBB290_16:
	v_cvt_f32_u32_e32 v10, s7
	s_mov_b32 s7, 0x800000
	v_div_scale_f32 v11, s[24:25], v10, v10, v9
	v_rcp_f32_e32 v12, v11
	v_div_scale_f32 v13, vcc, v9, v10, v9
	v_fma_f32 v14, -v11, v12, 1.0
	v_fmac_f32_e32 v12, v14, v12
	v_mul_f32_e32 v14, v13, v12
	v_fma_f32 v15, -v11, v14, v13
	v_fmac_f32_e32 v14, v15, v12
	v_fma_f32 v11, -v11, v14, v13
	v_div_fmas_f32 v11, v11, v12, v14
	v_div_fixup_f32 v9, v11, v10, v9
	v_add_f32_e32 v9, s13, v9
	v_mul_f32_e32 v10, 0x4b800000, v9
	v_cmp_gt_f32_e32 vcc, s7, v9
	v_cndmask_b32_e32 v9, v9, v10, vcc
	v_rsq_f32_e32 v9, v9
	s_waitcnt vmcnt(0)
	v_cvt_f32_u32_sdwa v11, v6 dst_sel:DWORD dst_unused:UNUSED_PAD src0_sel:WORD_1
	v_cvt_f32_u32_sdwa v10, v6 dst_sel:DWORD dst_unused:UNUSED_PAD src0_sel:WORD_0
	v_cvt_f32_u32_sdwa v13, v7 dst_sel:DWORD dst_unused:UNUSED_PAD src0_sel:WORD_1
	v_cvt_f32_u32_sdwa v12, v7 dst_sel:DWORD dst_unused:UNUSED_PAD src0_sel:WORD_0
	v_mul_f32_e32 v6, 0x45800000, v9
	v_cndmask_b32_e32 v14, v9, v6, vcc
	v_mov_b32_e32 v15, v14
	;;#ASMSTART
	v_pk_mul_f32 v[2:3], v[2:3], v[14:15]
	;;#ASMEND
	;;#ASMSTART
	v_pk_mul_f32 v[4:5], v[4:5], v[14:15]
	;;#ASMEND
	v_pk_add_f32 v[6:7], v[10:11], 1.0 op_sel_hi:[1,0]
	;;#ASMSTART
	v_pk_mul_f32 v[2:3], v[2:3], v[6:7]
	;;#ASMEND
	v_pk_add_f32 v[6:7], v[12:13], 1.0 op_sel_hi:[1,0]
	;;#ASMSTART
	v_pk_mul_f32 v[4:5], v[4:5], v[6:7]
	;;#ASMEND
	s_or_b64 exec, exec, s[22:23]
	s_mov_b64 s[22:23], -1
	s_and_b64 vcc, exec, s[18:19]
	s_cbranch_vccz .LBB290_13
.LBB290_17:
	s_and_saveexec_b64 s[18:19], s[0:1]
	s_cbranch_execz .LBB290_19
; %bb.18:
	s_mul_hi_i32 s23, s21, s6
	s_mul_i32 s22, s21, s6
	s_lshl_b64 s[22:23], s[22:23], 1
	s_add_u32 s24, s10, s22
	s_addc_u32 s7, s11, s23
	s_and_b32 s25, s7, 0xffff
	s_mov_b32 s7, 0x7060302
	s_mov_b32 s27, 0x20000
	s_waitcnt vmcnt(0)
	v_perm_b32 v6, v3, v2, s7
	v_perm_b32 v7, v5, v4, s7
	v_lshlrev_b32_e32 v9, 3, v0
	buffer_store_dwordx2 v[6:7], v9, s[24:27], 0 offen
	;;#ASMSTART
	s_nop 0
	;;#ASMEND
.LBB290_19:
	s_or_b64 exec, exec, s[18:19]
	s_cbranch_execnz .LBB290_14
.LBB290_20:
	s_and_saveexec_b64 s[18:19], s[0:1]
	s_cbranch_execz .LBB290_22
; %bb.21:
	s_load_dwordx2 s[0:1], s[4:5], 0x10
	s_mul_hi_i32 s23, s20, s6
	s_mul_i32 s22, s20, s6
	s_lshl_b64 s[22:23], s[22:23], 1
	s_mov_b32 s27, 0x20000
	s_waitcnt lgkmcnt(0)
	s_add_u32 s24, s0, s22
	s_addc_u32 s0, s1, s23
	s_and_b32 s25, s0, 0xffff
	s_mov_b32 s0, 0x7060302
	v_perm_b32 v2, v3, v2, s0
	v_perm_b32 v3, v5, v4, s0
	v_lshlrev_b32_e32 v4, 3, v0
	buffer_store_dwordx2 v[2:3], v4, s[24:27], 0 offen
	;;#ASMSTART
	s_nop 0
	;;#ASMEND
.LBB290_22:
	s_or_b64 exec, exec, s[18:19]
	s_cmp_lt_i32 s12, 1
	s_cbranch_scc1 .LBB290_15
.LBB290_23:
	s_load_dword s0, s[4:5], 0x94
	s_waitcnt lgkmcnt(0)
	s_cmp_lg_u32 s0, 1
	s_cbranch_scc1 .LBB290_15
; %bb.24:
	s_lshl_b32 s0, s12, 1
	s_add_i32 s0, s0, 2
	v_cmp_gt_u32_e32 vcc, s12, v1
	s_and_b32 s18, s0, -4
	v_mov_b32_e32 v2, 0
	s_waitcnt vmcnt(0)
	v_lshlrev_b32_e32 v6, 3, v0
	v_mov_b32_e32 v3, 0
	v_mov_b32_e32 v0, 0
	;; [unrolled: 1-line block ×3, first 2 shown]
	s_barrier
	s_and_saveexec_b64 s[0:1], vcc
	s_cbranch_execz .LBB290_26
; %bb.25:
	s_mul_hi_i32 s5, s14, s6
	s_mul_i32 s4, s14, s6
	s_and_b32 s17, s17, 0xffff
	s_lshl_b64 s[4:5], s[4:5], 1
	s_add_u32 s24, s2, s4
	s_mov_b32 s19, 0x20000
	s_addc_u32 s2, s3, s5
	s_and_b32 s25, s2, 0xffff
	s_mov_b32 s26, s18
	s_mov_b32 s27, s19
	buffer_load_dwordx2 v[2:3], v6, s[24:27], 0 offen glc slc
	buffer_load_dwordx2 v[0:1], v6, s[16:19], 0 offen
.LBB290_26:
	s_or_b64 exec, exec, s[0:1]
	s_waitcnt vmcnt(1)
	v_cvt_f32_u32_sdwa v5, v3 dst_sel:DWORD dst_unused:UNUSED_PAD src0_sel:WORD_0
	v_cvt_f32_u32_sdwa v7, v2 dst_sel:DWORD dst_unused:UNUSED_PAD src0_sel:WORD_1
	v_cvt_f32_u32_sdwa v4, v3 dst_sel:DWORD dst_unused:UNUSED_PAD src0_sel:WORD_1
	v_cvt_f32_u32_sdwa v9, v2 dst_sel:DWORD dst_unused:UNUSED_PAD src0_sel:WORD_0
	v_cndmask_b32_e32 v2, 0, v5, vcc
	v_cndmask_b32_e32 v5, 0, v7, vcc
	;; [unrolled: 1-line block ×4, first 2 shown]
	v_mul_f32_e32 v7, v5, v5
	v_fmac_f32_e32 v7, v4, v4
	v_fmac_f32_e32 v7, v2, v2
	;; [unrolled: 1-line block ×3, first 2 shown]
	s_nop 1
	v_mov_b32_dpp v9, v7 quad_perm:[1,0,3,2] row_mask:0xf bank_mask:0xf
	v_add_f32_e32 v7, v7, v9
	s_nop 1
	v_mov_b32_dpp v9, v7 quad_perm:[2,3,0,1] row_mask:0xf bank_mask:0xf
	v_add_f32_e32 v7, v7, v9
	s_nop 1
	v_mov_b32_dpp v9, v7 row_half_mirror row_mask:0xf bank_mask:0xf
	v_add_f32_e32 v7, v7, v9
	s_nop 1
	v_mov_b32_dpp v9, v7 row_mirror row_mask:0xf bank_mask:0xf
	v_add_f32_e32 v7, v7, v9
	s_nop 1
	v_mov_b32_dpp v9, v7 row_bcast:15 row_mask:0xf bank_mask:0xf
	v_add_f32_e32 v7, v7, v9
	s_nop 1
	v_mov_b32_dpp v9, v7 row_bcast:31 row_mask:0xf bank_mask:0xf
	v_add_f32_e32 v7, v7, v9
	ds_bpermute_b32 v7, v8, v7
	s_and_saveexec_b64 s[0:1], vcc
	s_cbranch_execz .LBB290_15
; %bb.27:
	v_cvt_f32_u32_e32 v8, s12
	s_mov_b32 s19, 0x20000
	s_waitcnt lgkmcnt(0)
	v_div_scale_f32 v9, s[0:1], v8, v8, v7
	v_rcp_f32_e32 v10, v9
	v_div_scale_f32 v11, vcc, v7, v8, v7
	s_mov_b32 s0, 0x800000
	v_fma_f32 v12, -v9, v10, 1.0
	v_fmac_f32_e32 v10, v12, v10
	v_mul_f32_e32 v12, v11, v10
	v_fma_f32 v13, -v9, v12, v11
	v_fmac_f32_e32 v12, v13, v10
	v_fma_f32 v9, -v9, v12, v11
	v_div_fmas_f32 v9, v9, v10, v12
	v_div_fixup_f32 v7, v9, v8, v7
	v_add_f32_e32 v7, s9, v7
	v_mul_f32_e32 v8, 0x4b800000, v7
	v_cmp_gt_f32_e32 vcc, s0, v7
	v_cndmask_b32_e32 v7, v7, v8, vcc
	v_rsq_f32_e32 v7, v7
	s_waitcnt vmcnt(0)
	v_cvt_f32_u32_sdwa v9, v0 dst_sel:DWORD dst_unused:UNUSED_PAD src0_sel:WORD_1
	v_cvt_f32_u32_sdwa v8, v0 dst_sel:DWORD dst_unused:UNUSED_PAD src0_sel:WORD_0
	s_mul_hi_i32 s1, s21, s6
	s_mul_i32 s0, s21, s6
	v_cvt_f32_u32_sdwa v11, v1 dst_sel:DWORD dst_unused:UNUSED_PAD src0_sel:WORD_1
	v_mul_f32_e32 v0, 0x45800000, v7
	v_cvt_f32_u32_sdwa v10, v1 dst_sel:DWORD dst_unused:UNUSED_PAD src0_sel:WORD_0
	s_lshl_b64 s[0:1], s[0:1], 1
	v_cndmask_b32_e32 v12, v7, v0, vcc
	s_add_u32 s16, s10, s0
	v_mov_b32_e32 v13, v12
	;;#ASMSTART
	v_pk_mul_f32 v[4:5], v[4:5], v[12:13]
	;;#ASMEND
	;;#ASMSTART
	v_pk_mul_f32 v[0:1], v[2:3], v[12:13]
	;;#ASMEND
	v_pk_add_f32 v[2:3], v[8:9], 1.0 op_sel_hi:[1,0]
	s_addc_u32 s0, s11, s1
	;;#ASMSTART
	v_pk_mul_f32 v[2:3], v[4:5], v[2:3]
	;;#ASMEND
	s_and_b32 s17, s0, 0xffff
	s_mov_b32 s0, 0x7060302
	v_pk_add_f32 v[4:5], v[10:11], 1.0 op_sel_hi:[1,0]
	;;#ASMSTART
	v_pk_mul_f32 v[0:1], v[0:1], v[4:5]
	;;#ASMEND
	v_perm_b32 v2, v3, v2, s0
	v_perm_b32 v3, v1, v0, s0
	buffer_store_dwordx2 v[2:3], v6, s[16:19], 0 offen
	;;#ASMSTART
	s_nop 0
	;;#ASMEND
	s_endpgm
	.section	.rodata,"a",@progbits
	.p2align	6, 0x0
	.amdhsa_kernel _ZN5aiter35fused_qk_rmsnorm_group_quant_kernelItDB8_Li64ELi4ELi8ELb1ELb1ELb1ELb1ELb0ELb0EEEvPT0_PvPT_S6_S6_PKS5_S8_S8_S8_S8_ffiiiiiiiiiiiii
		.amdhsa_group_segment_fixed_size 0
		.amdhsa_private_segment_fixed_size 0
		.amdhsa_kernarg_size 400
		.amdhsa_user_sgpr_count 6
		.amdhsa_user_sgpr_private_segment_buffer 1
		.amdhsa_user_sgpr_dispatch_ptr 0
		.amdhsa_user_sgpr_queue_ptr 0
		.amdhsa_user_sgpr_kernarg_segment_ptr 1
		.amdhsa_user_sgpr_dispatch_id 0
		.amdhsa_user_sgpr_flat_scratch_init 0
		.amdhsa_user_sgpr_kernarg_preload_length 0
		.amdhsa_user_sgpr_kernarg_preload_offset 0
		.amdhsa_user_sgpr_private_segment_size 0
		.amdhsa_uses_dynamic_stack 0
		.amdhsa_system_sgpr_private_segment_wavefront_offset 0
		.amdhsa_system_sgpr_workgroup_id_x 1
		.amdhsa_system_sgpr_workgroup_id_y 1
		.amdhsa_system_sgpr_workgroup_id_z 0
		.amdhsa_system_sgpr_workgroup_info 0
		.amdhsa_system_vgpr_workitem_id 0
		.amdhsa_next_free_vgpr 16
		.amdhsa_next_free_sgpr 32
		.amdhsa_accum_offset 16
		.amdhsa_reserve_vcc 1
		.amdhsa_reserve_flat_scratch 0
		.amdhsa_float_round_mode_32 0
		.amdhsa_float_round_mode_16_64 0
		.amdhsa_float_denorm_mode_32 3
		.amdhsa_float_denorm_mode_16_64 3
		.amdhsa_dx10_clamp 1
		.amdhsa_ieee_mode 1
		.amdhsa_fp16_overflow 0
		.amdhsa_tg_split 0
		.amdhsa_exception_fp_ieee_invalid_op 0
		.amdhsa_exception_fp_denorm_src 0
		.amdhsa_exception_fp_ieee_div_zero 0
		.amdhsa_exception_fp_ieee_overflow 0
		.amdhsa_exception_fp_ieee_underflow 0
		.amdhsa_exception_fp_ieee_inexact 0
		.amdhsa_exception_int_div_zero 0
	.end_amdhsa_kernel
	.section	.text._ZN5aiter35fused_qk_rmsnorm_group_quant_kernelItDB8_Li64ELi4ELi8ELb1ELb1ELb1ELb1ELb0ELb0EEEvPT0_PvPT_S6_S6_PKS5_S8_S8_S8_S8_ffiiiiiiiiiiiii,"axG",@progbits,_ZN5aiter35fused_qk_rmsnorm_group_quant_kernelItDB8_Li64ELi4ELi8ELb1ELb1ELb1ELb1ELb0ELb0EEEvPT0_PvPT_S6_S6_PKS5_S8_S8_S8_S8_ffiiiiiiiiiiiii,comdat
.Lfunc_end290:
	.size	_ZN5aiter35fused_qk_rmsnorm_group_quant_kernelItDB8_Li64ELi4ELi8ELb1ELb1ELb1ELb1ELb0ELb0EEEvPT0_PvPT_S6_S6_PKS5_S8_S8_S8_S8_ffiiiiiiiiiiiii, .Lfunc_end290-_ZN5aiter35fused_qk_rmsnorm_group_quant_kernelItDB8_Li64ELi4ELi8ELb1ELb1ELb1ELb1ELb0ELb0EEEvPT0_PvPT_S6_S6_PKS5_S8_S8_S8_S8_ffiiiiiiiiiiiii
                                        ; -- End function
	.section	.AMDGPU.csdata,"",@progbits
; Kernel info:
; codeLenInByte = 1884
; NumSgprs: 36
; NumVgprs: 16
; NumAgprs: 0
; TotalNumVgprs: 16
; ScratchSize: 0
; MemoryBound: 0
; FloatMode: 240
; IeeeMode: 1
; LDSByteSize: 0 bytes/workgroup (compile time only)
; SGPRBlocks: 4
; VGPRBlocks: 1
; NumSGPRsForWavesPerEU: 36
; NumVGPRsForWavesPerEU: 16
; AccumOffset: 16
; Occupancy: 8
; WaveLimiterHint : 0
; COMPUTE_PGM_RSRC2:SCRATCH_EN: 0
; COMPUTE_PGM_RSRC2:USER_SGPR: 6
; COMPUTE_PGM_RSRC2:TRAP_HANDLER: 0
; COMPUTE_PGM_RSRC2:TGID_X_EN: 1
; COMPUTE_PGM_RSRC2:TGID_Y_EN: 1
; COMPUTE_PGM_RSRC2:TGID_Z_EN: 0
; COMPUTE_PGM_RSRC2:TIDIG_COMP_CNT: 0
; COMPUTE_PGM_RSRC3_GFX90A:ACCUM_OFFSET: 3
; COMPUTE_PGM_RSRC3_GFX90A:TG_SPLIT: 0
	.section	.text._ZN5aiter35fused_qk_rmsnorm_group_quant_kernelIDF16_DB8_Li64ELi4ELi8ELb1ELb1ELb0ELb1ELb0ELb0EEEvPT0_PvPT_S6_S6_PKS5_S8_S8_S8_S8_ffiiiiiiiiiiiii,"axG",@progbits,_ZN5aiter35fused_qk_rmsnorm_group_quant_kernelIDF16_DB8_Li64ELi4ELi8ELb1ELb1ELb0ELb1ELb0ELb0EEEvPT0_PvPT_S6_S6_PKS5_S8_S8_S8_S8_ffiiiiiiiiiiiii,comdat
	.protected	_ZN5aiter35fused_qk_rmsnorm_group_quant_kernelIDF16_DB8_Li64ELi4ELi8ELb1ELb1ELb0ELb1ELb0ELb0EEEvPT0_PvPT_S6_S6_PKS5_S8_S8_S8_S8_ffiiiiiiiiiiiii ; -- Begin function _ZN5aiter35fused_qk_rmsnorm_group_quant_kernelIDF16_DB8_Li64ELi4ELi8ELb1ELb1ELb0ELb1ELb0ELb0EEEvPT0_PvPT_S6_S6_PKS5_S8_S8_S8_S8_ffiiiiiiiiiiiii
	.globl	_ZN5aiter35fused_qk_rmsnorm_group_quant_kernelIDF16_DB8_Li64ELi4ELi8ELb1ELb1ELb0ELb1ELb0ELb0EEEvPT0_PvPT_S6_S6_PKS5_S8_S8_S8_S8_ffiiiiiiiiiiiii
	.p2align	8
	.type	_ZN5aiter35fused_qk_rmsnorm_group_quant_kernelIDF16_DB8_Li64ELi4ELi8ELb1ELb1ELb0ELb1ELb0ELb0EEEvPT0_PvPT_S6_S6_PKS5_S8_S8_S8_S8_ffiiiiiiiiiiiii,@function
_ZN5aiter35fused_qk_rmsnorm_group_quant_kernelIDF16_DB8_Li64ELi4ELi8ELb1ELb1ELb0ELb1ELb0ELb0EEEvPT0_PvPT_S6_S6_PKS5_S8_S8_S8_S8_ffiiiiiiiiiiiii: ; @_ZN5aiter35fused_qk_rmsnorm_group_quant_kernelIDF16_DB8_Li64ELi4ELi8ELb1ELb1ELb0ELb1ELb0ELb0EEEvPT0_PvPT_S6_S6_PKS5_S8_S8_S8_S8_ffiiiiiiiiiiiii
; %bb.0:
	s_load_dwordx8 s[8:15], s[4:5], 0x50
	s_waitcnt lgkmcnt(0)
	s_cmp_ge_i32 s6, s10
	s_cbranch_scc1 .LBB291_15
; %bb.1:
	s_cmp_lg_u32 s7, 0
	s_cselect_b64 s[18:19], -1, 0
	s_cmp_eq_u32 s7, 0
	s_cselect_b64 s[20:21], -1, 0
	s_and_b64 s[0:1], s[20:21], exec
	s_cselect_b32 s7, s11, s12
	s_load_dwordx2 s[2:3], s[4:5], 0x30
	s_load_dwordx2 s[16:17], s[4:5], 0x48
	s_add_i32 s0, s7, 1
	s_lshr_b32 s1, s0, 31
	s_add_i32 s0, s0, s1
	s_lshl_b32 s0, s0, 1
	v_lshlrev_b32_e32 v1, 2, v0
	s_and_b32 s26, s0, -4
	v_cmp_gt_i32_e64 s[0:1], s7, v1
	v_mov_b32_e32 v2, 0
	v_mov_b32_e32 v3, 0
	;; [unrolled: 1-line block ×4, first 2 shown]
	s_and_saveexec_b64 s[10:11], s[0:1]
	s_cbranch_execz .LBB291_3
; %bb.2:
	s_load_dwordx2 s[22:23], s[4:5], 0x28
	s_load_dwordx2 s[24:25], s[4:5], 0x40
	s_and_b64 s[28:29], s[20:21], exec
	s_cselect_b32 s13, s13, s14
	v_lshlrev_b32_e32 v4, 3, v0
	s_waitcnt lgkmcnt(0)
	s_cselect_b32 s27, s23, s3
	s_cselect_b32 s28, s22, s2
	s_mul_hi_i32 s23, s13, s6
	s_mul_i32 s22, s13, s6
	s_lshl_b64 s[22:23], s[22:23], 1
	s_add_u32 s28, s28, s22
	s_addc_u32 s13, s27, s23
	s_and_b64 s[20:21], s[20:21], exec
	s_mov_b32 s27, 0x20000
	s_cselect_b32 s24, s24, s16
	s_cselect_b32 s20, s25, s17
	s_and_b32 s29, s13, 0xffff
	s_mov_b32 s30, s26
	s_mov_b32 s31, s27
	s_and_b32 s25, s20, 0xffff
	buffer_load_dwordx2 v[8:9], v4, s[28:31], 0 offen glc slc
	buffer_load_dwordx2 v[2:3], v4, s[24:27], 0 offen
.LBB291_3:
	s_or_b64 exec, exec, s[10:11]
	s_load_dwordx4 s[20:23], s[4:5], 0x7c
	s_and_b64 vcc, exec, s[18:19]
	s_cbranch_vccz .LBB291_7
; %bb.4:
	v_mov_b32_e32 v7, 0
	v_mov_b32_e32 v6, 0
	;; [unrolled: 1-line block ×4, first 2 shown]
	s_and_saveexec_b64 s[10:11], s[0:1]
	s_cbranch_execz .LBB291_6
; %bb.5:
	s_waitcnt vmcnt(1)
	v_cvt_f32_f16_sdwa v5, v8 dst_sel:DWORD dst_unused:UNUSED_PAD src0_sel:WORD_1
	v_cvt_f32_f16_e32 v4, v8
	v_cvt_f32_f16_sdwa v7, v9 dst_sel:DWORD dst_unused:UNUSED_PAD src0_sel:WORD_1
	v_cvt_f32_f16_e32 v6, v9
.LBB291_6:
	s_or_b64 exec, exec, s[10:11]
	s_mov_b32 s13, s9
	s_cbranch_execz .LBB291_8
	s_branch .LBB291_11
.LBB291_7:
                                        ; implicit-def: $vgpr7
                                        ; implicit-def: $vgpr5
	s_mov_b32 s13, s9
.LBB291_8:
	v_mov_b32_e32 v7, 0
	v_mov_b32_e32 v6, 0
	;; [unrolled: 1-line block ×4, first 2 shown]
	s_and_saveexec_b64 s[10:11], s[0:1]
	s_cbranch_execz .LBB291_10
; %bb.9:
	s_load_dwordx2 s[24:25], s[4:5], 0x38
	s_mul_hi_i32 s29, s15, s6
	s_mul_i32 s28, s15, s6
	s_lshl_b64 s[28:29], s[28:29], 1
	s_mov_b32 s27, 0x20000
	s_waitcnt lgkmcnt(0)
	s_add_u32 s24, s24, s28
	s_addc_u32 s13, s25, s29
	s_and_b32 s25, s13, 0xffff
	v_lshlrev_b32_e32 v14, 3, v0
	buffer_load_dwordx2 v[4:5], v14, s[24:27], 0 offen glc slc
	s_waitcnt vmcnt(2)
	v_cvt_f32_f16_sdwa v7, v8 dst_sel:DWORD dst_unused:UNUSED_PAD src0_sel:WORD_1
	v_cvt_f32_f16_e32 v6, v8
	v_cvt_f32_f16_sdwa v11, v9 dst_sel:DWORD dst_unused:UNUSED_PAD src0_sel:WORD_1
	v_cvt_f32_f16_e32 v10, v9
	s_load_dwordx2 s[24:25], s[4:5], 0x20
	s_mul_hi_i32 s23, s22, s6
	s_mul_i32 s22, s22, s6
	s_lshl_b64 s[22:23], s[22:23], 1
	s_waitcnt lgkmcnt(0)
	s_add_u32 s24, s24, s22
	s_addc_u32 s13, s25, s23
	s_and_b32 s25, s13, 0xffff
	s_waitcnt vmcnt(0)
	v_cvt_f32_f16_e32 v8, v4
	v_cvt_f32_f16_sdwa v9, v4 dst_sel:DWORD dst_unused:UNUSED_PAD src0_sel:WORD_1
	v_cvt_f32_f16_e32 v12, v5
	v_cvt_f32_f16_sdwa v13, v5 dst_sel:DWORD dst_unused:UNUSED_PAD src0_sel:WORD_1
	v_pk_add_f32 v[4:5], v[6:7], v[8:9]
	v_cvt_f16_f32_e32 v8, v5
	v_pk_add_f32 v[6:7], v[10:11], v[12:13]
	v_cvt_f16_f32_e32 v9, v7
	v_cvt_f16_f32_e32 v10, v6
	;; [unrolled: 1-line block ×3, first 2 shown]
	v_pack_b32_f16 v9, v10, v9
	v_pack_b32_f16 v8, v11, v8
	buffer_store_dwordx2 v[8:9], v14, s[24:27], 0 offen glc slc
	;;#ASMSTART
	s_nop 0
	;;#ASMEND
.LBB291_10:
	s_or_b64 exec, exec, s[10:11]
	s_mov_b32 s13, s8
.LBB291_11:
	s_waitcnt vmcnt(1)
	v_mul_f32_e32 v8, v5, v5
	v_fmac_f32_e32 v8, v4, v4
	v_fmac_f32_e32 v8, v6, v6
	;; [unrolled: 1-line block ×3, first 2 shown]
	v_bfrev_b32_e32 v10, 0.5
	s_load_dwordx2 s[10:11], s[4:5], 0x18
	v_mov_b32_dpp v9, v8 quad_perm:[1,0,3,2] row_mask:0xf bank_mask:0xf
	v_add_f32_e32 v8, v8, v9
	s_nop 1
	v_mov_b32_dpp v9, v8 quad_perm:[2,3,0,1] row_mask:0xf bank_mask:0xf
	v_add_f32_e32 v8, v8, v9
	s_nop 1
	v_mov_b32_dpp v9, v8 row_half_mirror row_mask:0xf bank_mask:0xf
	v_add_f32_e32 v8, v8, v9
	s_nop 1
	v_mov_b32_dpp v9, v8 row_mirror row_mask:0xf bank_mask:0xf
	v_add_f32_e32 v8, v8, v9
	s_nop 1
	v_mov_b32_dpp v9, v8 row_bcast:15 row_mask:0xf bank_mask:0xf
	v_add_f32_e32 v8, v8, v9
	s_nop 1
	v_mov_b32_dpp v9, v8 row_bcast:31 row_mask:0xf bank_mask:0xf
	v_add_f32_e32 v9, v8, v9
	v_mbcnt_lo_u32_b32 v8, -1, 0
	v_mbcnt_hi_u32_b32 v8, -1, v8
	v_lshl_or_b32 v8, v8, 2, v10
	ds_bpermute_b32 v9, v8, v9
	s_waitcnt lgkmcnt(0)
	s_and_saveexec_b64 s[22:23], s[0:1]
	s_cbranch_execnz .LBB291_16
; %bb.12:
	s_or_b64 exec, exec, s[22:23]
	s_mov_b64 s[22:23], -1
	s_and_b64 vcc, exec, s[18:19]
	s_cbranch_vccnz .LBB291_17
.LBB291_13:
	s_andn2_b64 vcc, exec, s[22:23]
	s_cbranch_vccz .LBB291_20
.LBB291_14:
	s_cmp_lt_i32 s12, 1
	s_cbranch_scc0 .LBB291_23
.LBB291_15:
	s_endpgm
.LBB291_16:
	v_cvt_f32_u32_e32 v10, s7
	s_mov_b32 s7, 0x800000
	v_div_scale_f32 v11, s[24:25], v10, v10, v9
	v_rcp_f32_e32 v12, v11
	v_div_scale_f32 v13, vcc, v9, v10, v9
	v_fma_f32 v14, -v11, v12, 1.0
	v_fmac_f32_e32 v12, v14, v12
	v_mul_f32_e32 v14, v13, v12
	v_fma_f32 v15, -v11, v14, v13
	v_fmac_f32_e32 v14, v15, v12
	v_fma_f32 v11, -v11, v14, v13
	v_div_fmas_f32 v11, v11, v12, v14
	v_div_fixup_f32 v9, v11, v10, v9
	v_add_f32_e32 v9, s13, v9
	v_mul_f32_e32 v10, 0x4b800000, v9
	v_cmp_gt_f32_e32 vcc, s7, v9
	v_cndmask_b32_e32 v9, v9, v10, vcc
	v_rsq_f32_e32 v9, v9
	s_waitcnt vmcnt(0)
	v_cvt_f32_f16_sdwa v11, v2 dst_sel:DWORD dst_unused:UNUSED_PAD src0_sel:WORD_1
	v_cvt_f32_f16_e32 v10, v2
	v_cvt_f32_f16_sdwa v13, v3 dst_sel:DWORD dst_unused:UNUSED_PAD src0_sel:WORD_1
	v_mul_f32_e32 v2, 0x45800000, v9
	v_cndmask_b32_e32 v14, v9, v2, vcc
	v_mov_b32_e32 v15, v14
	v_cvt_f32_f16_e32 v12, v3
	;;#ASMSTART
	v_pk_mul_f32 v[2:3], v[4:5], v[14:15]
	;;#ASMEND
	;;#ASMSTART
	v_pk_mul_f32 v[6:7], v[6:7], v[14:15]
	;;#ASMEND
	;; [unrolled: 3-line block ×4, first 2 shown]
	s_or_b64 exec, exec, s[22:23]
	s_mov_b64 s[22:23], -1
	s_and_b64 vcc, exec, s[18:19]
	s_cbranch_vccz .LBB291_13
.LBB291_17:
	s_and_saveexec_b64 s[18:19], s[0:1]
	s_cbranch_execz .LBB291_19
; %bb.18:
	s_mul_hi_i32 s23, s21, s6
	s_mul_i32 s22, s21, s6
	s_waitcnt vmcnt(0)
	v_cvt_f16_f32_e32 v2, v4
	v_cvt_f16_f32_e32 v3, v6
	;; [unrolled: 1-line block ×4, first 2 shown]
	s_lshl_b64 s[22:23], s[22:23], 1
	s_add_u32 s24, s10, s22
	s_addc_u32 s7, s11, s23
	s_and_b32 s25, s7, 0xffff
	s_mov_b32 s27, 0x20000
	v_pack_b32_f16 v3, v3, v9
	v_pack_b32_f16 v2, v2, v10
	v_lshlrev_b32_e32 v9, 3, v0
	buffer_store_dwordx2 v[2:3], v9, s[24:27], 0 offen
	;;#ASMSTART
	s_nop 0
	;;#ASMEND
.LBB291_19:
	s_or_b64 exec, exec, s[18:19]
	s_cbranch_execnz .LBB291_14
.LBB291_20:
	s_and_saveexec_b64 s[18:19], s[0:1]
	s_cbranch_execz .LBB291_22
; %bb.21:
	s_load_dwordx2 s[0:1], s[4:5], 0x10
	s_mul_hi_i32 s23, s20, s6
	s_mul_i32 s22, s20, s6
	s_waitcnt vmcnt(0)
	v_cvt_f16_f32_e32 v2, v4
	v_cvt_f16_f32_e32 v3, v6
	;; [unrolled: 1-line block ×4, first 2 shown]
	s_lshl_b64 s[22:23], s[22:23], 1
	s_waitcnt lgkmcnt(0)
	s_add_u32 s24, s0, s22
	s_addc_u32 s0, s1, s23
	s_and_b32 s25, s0, 0xffff
	s_mov_b32 s27, 0x20000
	v_pack_b32_f16 v3, v3, v4
	v_pack_b32_f16 v2, v2, v5
	v_lshlrev_b32_e32 v4, 3, v0
	buffer_store_dwordx2 v[2:3], v4, s[24:27], 0 offen
	;;#ASMSTART
	s_nop 0
	;;#ASMEND
.LBB291_22:
	s_or_b64 exec, exec, s[18:19]
	s_cmp_lt_i32 s12, 1
	s_cbranch_scc1 .LBB291_15
.LBB291_23:
	s_load_dword s0, s[4:5], 0x94
	s_waitcnt lgkmcnt(0)
	s_cmp_lg_u32 s0, 1
	s_cbranch_scc1 .LBB291_15
; %bb.24:
	s_lshl_b32 s0, s12, 1
	s_add_i32 s0, s0, 2
	v_cmp_gt_u32_e32 vcc, s12, v1
	s_and_b32 s18, s0, -4
	s_waitcnt vmcnt(0)
	v_mov_b32_e32 v2, 0
	v_lshlrev_b32_e32 v6, 3, v0
	v_mov_b32_e32 v3, 0
	v_mov_b32_e32 v0, 0
	;; [unrolled: 1-line block ×3, first 2 shown]
	s_barrier
	s_and_saveexec_b64 s[0:1], vcc
	s_cbranch_execz .LBB291_26
; %bb.25:
	s_mul_hi_i32 s5, s14, s6
	s_mul_i32 s4, s14, s6
	s_and_b32 s17, s17, 0xffff
	s_lshl_b64 s[4:5], s[4:5], 1
	s_add_u32 s24, s2, s4
	s_mov_b32 s19, 0x20000
	s_addc_u32 s2, s3, s5
	s_and_b32 s25, s2, 0xffff
	s_mov_b32 s26, s18
	s_mov_b32 s27, s19
	buffer_load_dwordx2 v[2:3], v6, s[24:27], 0 offen glc slc
	buffer_load_dwordx2 v[0:1], v6, s[16:19], 0 offen
.LBB291_26:
	s_or_b64 exec, exec, s[0:1]
	s_waitcnt vmcnt(1)
	v_cvt_f32_f16_e32 v4, v3
	v_cvt_f32_f16_e32 v5, v2
	v_cvt_f32_f16_sdwa v7, v2 dst_sel:DWORD dst_unused:UNUSED_PAD src0_sel:WORD_1
	v_cvt_f32_f16_sdwa v3, v3 dst_sel:DWORD dst_unused:UNUSED_PAD src0_sel:WORD_1
	v_cndmask_b32_e32 v2, 0, v4, vcc
	v_cndmask_b32_e32 v4, 0, v5, vcc
	v_cndmask_b32_e32 v5, 0, v7, vcc
	v_mul_f32_e32 v7, v5, v5
	v_fmac_f32_e32 v7, v4, v4
	v_cndmask_b32_e32 v3, 0, v3, vcc
	v_fmac_f32_e32 v7, v2, v2
	v_fmac_f32_e32 v7, v3, v3
	s_nop 1
	v_mov_b32_dpp v9, v7 quad_perm:[1,0,3,2] row_mask:0xf bank_mask:0xf
	v_add_f32_e32 v7, v7, v9
	s_nop 1
	v_mov_b32_dpp v9, v7 quad_perm:[2,3,0,1] row_mask:0xf bank_mask:0xf
	v_add_f32_e32 v7, v7, v9
	s_nop 1
	v_mov_b32_dpp v9, v7 row_half_mirror row_mask:0xf bank_mask:0xf
	v_add_f32_e32 v7, v7, v9
	s_nop 1
	v_mov_b32_dpp v9, v7 row_mirror row_mask:0xf bank_mask:0xf
	v_add_f32_e32 v7, v7, v9
	s_nop 1
	v_mov_b32_dpp v9, v7 row_bcast:15 row_mask:0xf bank_mask:0xf
	v_add_f32_e32 v7, v7, v9
	s_nop 1
	v_mov_b32_dpp v9, v7 row_bcast:31 row_mask:0xf bank_mask:0xf
	v_add_f32_e32 v7, v7, v9
	ds_bpermute_b32 v7, v8, v7
	s_and_saveexec_b64 s[0:1], vcc
	s_cbranch_execz .LBB291_15
; %bb.27:
	v_cvt_f32_u32_e32 v8, s12
	s_mov_b32 s19, 0x20000
	s_waitcnt lgkmcnt(0)
	v_div_scale_f32 v9, s[0:1], v8, v8, v7
	v_rcp_f32_e32 v10, v9
	v_div_scale_f32 v11, vcc, v7, v8, v7
	s_mov_b32 s0, 0x800000
	v_fma_f32 v12, -v9, v10, 1.0
	v_fmac_f32_e32 v10, v12, v10
	v_mul_f32_e32 v12, v11, v10
	v_fma_f32 v13, -v9, v12, v11
	v_fmac_f32_e32 v12, v13, v10
	v_fma_f32 v9, -v9, v12, v11
	v_div_fmas_f32 v9, v9, v10, v12
	v_div_fixup_f32 v7, v9, v8, v7
	v_add_f32_e32 v7, s9, v7
	v_mul_f32_e32 v8, 0x4b800000, v7
	v_cmp_gt_f32_e32 vcc, s0, v7
	v_cndmask_b32_e32 v7, v7, v8, vcc
	v_rsq_f32_e32 v7, v7
	s_waitcnt vmcnt(0)
	v_cvt_f32_f16_sdwa v9, v0 dst_sel:DWORD dst_unused:UNUSED_PAD src0_sel:WORD_1
	v_cvt_f32_f16_e32 v8, v0
	v_cvt_f32_f16_sdwa v11, v1 dst_sel:DWORD dst_unused:UNUSED_PAD src0_sel:WORD_1
	v_mul_f32_e32 v0, 0x45800000, v7
	v_cndmask_b32_e32 v12, v7, v0, vcc
	v_mov_b32_e32 v13, v12
	v_cvt_f32_f16_e32 v10, v1
	;;#ASMSTART
	v_pk_mul_f32 v[0:1], v[4:5], v[12:13]
	;;#ASMEND
	;;#ASMSTART
	v_pk_mul_f32 v[2:3], v[2:3], v[12:13]
	;;#ASMEND
	;; [unrolled: 3-line block ×4, first 2 shown]
	s_mul_hi_i32 s1, s21, s6
	s_mul_i32 s0, s21, s6
	v_cvt_f16_f32_e32 v0, v0
	v_cvt_f16_f32_e32 v1, v1
	;; [unrolled: 1-line block ×4, first 2 shown]
	s_lshl_b64 s[0:1], s[0:1], 1
	s_add_u32 s16, s10, s0
	s_addc_u32 s0, s11, s1
	s_and_b32 s17, s0, 0xffff
	v_pack_b32_f16 v0, v0, v1
	v_pack_b32_f16 v1, v2, v3
	buffer_store_dwordx2 v[0:1], v6, s[16:19], 0 offen
	;;#ASMSTART
	s_nop 0
	;;#ASMEND
	s_endpgm
	.section	.rodata,"a",@progbits
	.p2align	6, 0x0
	.amdhsa_kernel _ZN5aiter35fused_qk_rmsnorm_group_quant_kernelIDF16_DB8_Li64ELi4ELi8ELb1ELb1ELb0ELb1ELb0ELb0EEEvPT0_PvPT_S6_S6_PKS5_S8_S8_S8_S8_ffiiiiiiiiiiiii
		.amdhsa_group_segment_fixed_size 0
		.amdhsa_private_segment_fixed_size 0
		.amdhsa_kernarg_size 400
		.amdhsa_user_sgpr_count 6
		.amdhsa_user_sgpr_private_segment_buffer 1
		.amdhsa_user_sgpr_dispatch_ptr 0
		.amdhsa_user_sgpr_queue_ptr 0
		.amdhsa_user_sgpr_kernarg_segment_ptr 1
		.amdhsa_user_sgpr_dispatch_id 0
		.amdhsa_user_sgpr_flat_scratch_init 0
		.amdhsa_user_sgpr_kernarg_preload_length 0
		.amdhsa_user_sgpr_kernarg_preload_offset 0
		.amdhsa_user_sgpr_private_segment_size 0
		.amdhsa_uses_dynamic_stack 0
		.amdhsa_system_sgpr_private_segment_wavefront_offset 0
		.amdhsa_system_sgpr_workgroup_id_x 1
		.amdhsa_system_sgpr_workgroup_id_y 1
		.amdhsa_system_sgpr_workgroup_id_z 0
		.amdhsa_system_sgpr_workgroup_info 0
		.amdhsa_system_vgpr_workitem_id 0
		.amdhsa_next_free_vgpr 16
		.amdhsa_next_free_sgpr 32
		.amdhsa_accum_offset 16
		.amdhsa_reserve_vcc 1
		.amdhsa_reserve_flat_scratch 0
		.amdhsa_float_round_mode_32 0
		.amdhsa_float_round_mode_16_64 0
		.amdhsa_float_denorm_mode_32 3
		.amdhsa_float_denorm_mode_16_64 3
		.amdhsa_dx10_clamp 1
		.amdhsa_ieee_mode 1
		.amdhsa_fp16_overflow 0
		.amdhsa_tg_split 0
		.amdhsa_exception_fp_ieee_invalid_op 0
		.amdhsa_exception_fp_denorm_src 0
		.amdhsa_exception_fp_ieee_div_zero 0
		.amdhsa_exception_fp_ieee_overflow 0
		.amdhsa_exception_fp_ieee_underflow 0
		.amdhsa_exception_fp_ieee_inexact 0
		.amdhsa_exception_int_div_zero 0
	.end_amdhsa_kernel
	.section	.text._ZN5aiter35fused_qk_rmsnorm_group_quant_kernelIDF16_DB8_Li64ELi4ELi8ELb1ELb1ELb0ELb1ELb0ELb0EEEvPT0_PvPT_S6_S6_PKS5_S8_S8_S8_S8_ffiiiiiiiiiiiii,"axG",@progbits,_ZN5aiter35fused_qk_rmsnorm_group_quant_kernelIDF16_DB8_Li64ELi4ELi8ELb1ELb1ELb0ELb1ELb0ELb0EEEvPT0_PvPT_S6_S6_PKS5_S8_S8_S8_S8_ffiiiiiiiiiiiii,comdat
.Lfunc_end291:
	.size	_ZN5aiter35fused_qk_rmsnorm_group_quant_kernelIDF16_DB8_Li64ELi4ELi8ELb1ELb1ELb0ELb1ELb0ELb0EEEvPT0_PvPT_S6_S6_PKS5_S8_S8_S8_S8_ffiiiiiiiiiiiii, .Lfunc_end291-_ZN5aiter35fused_qk_rmsnorm_group_quant_kernelIDF16_DB8_Li64ELi4ELi8ELb1ELb1ELb0ELb1ELb0ELb0EEEvPT0_PvPT_S6_S6_PKS5_S8_S8_S8_S8_ffiiiiiiiiiiiii
                                        ; -- End function
	.section	.AMDGPU.csdata,"",@progbits
; Kernel info:
; codeLenInByte = 1808
; NumSgprs: 36
; NumVgprs: 16
; NumAgprs: 0
; TotalNumVgprs: 16
; ScratchSize: 0
; MemoryBound: 0
; FloatMode: 240
; IeeeMode: 1
; LDSByteSize: 0 bytes/workgroup (compile time only)
; SGPRBlocks: 4
; VGPRBlocks: 1
; NumSGPRsForWavesPerEU: 36
; NumVGPRsForWavesPerEU: 16
; AccumOffset: 16
; Occupancy: 8
; WaveLimiterHint : 0
; COMPUTE_PGM_RSRC2:SCRATCH_EN: 0
; COMPUTE_PGM_RSRC2:USER_SGPR: 6
; COMPUTE_PGM_RSRC2:TRAP_HANDLER: 0
; COMPUTE_PGM_RSRC2:TGID_X_EN: 1
; COMPUTE_PGM_RSRC2:TGID_Y_EN: 1
; COMPUTE_PGM_RSRC2:TGID_Z_EN: 0
; COMPUTE_PGM_RSRC2:TIDIG_COMP_CNT: 0
; COMPUTE_PGM_RSRC3_GFX90A:ACCUM_OFFSET: 3
; COMPUTE_PGM_RSRC3_GFX90A:TG_SPLIT: 0
	.section	.text._ZN5aiter35fused_qk_rmsnorm_group_quant_kernelItDB8_Li64ELi4ELi8ELb1ELb1ELb0ELb1ELb0ELb0EEEvPT0_PvPT_S6_S6_PKS5_S8_S8_S8_S8_ffiiiiiiiiiiiii,"axG",@progbits,_ZN5aiter35fused_qk_rmsnorm_group_quant_kernelItDB8_Li64ELi4ELi8ELb1ELb1ELb0ELb1ELb0ELb0EEEvPT0_PvPT_S6_S6_PKS5_S8_S8_S8_S8_ffiiiiiiiiiiiii,comdat
	.protected	_ZN5aiter35fused_qk_rmsnorm_group_quant_kernelItDB8_Li64ELi4ELi8ELb1ELb1ELb0ELb1ELb0ELb0EEEvPT0_PvPT_S6_S6_PKS5_S8_S8_S8_S8_ffiiiiiiiiiiiii ; -- Begin function _ZN5aiter35fused_qk_rmsnorm_group_quant_kernelItDB8_Li64ELi4ELi8ELb1ELb1ELb0ELb1ELb0ELb0EEEvPT0_PvPT_S6_S6_PKS5_S8_S8_S8_S8_ffiiiiiiiiiiiii
	.globl	_ZN5aiter35fused_qk_rmsnorm_group_quant_kernelItDB8_Li64ELi4ELi8ELb1ELb1ELb0ELb1ELb0ELb0EEEvPT0_PvPT_S6_S6_PKS5_S8_S8_S8_S8_ffiiiiiiiiiiiii
	.p2align	8
	.type	_ZN5aiter35fused_qk_rmsnorm_group_quant_kernelItDB8_Li64ELi4ELi8ELb1ELb1ELb0ELb1ELb0ELb0EEEvPT0_PvPT_S6_S6_PKS5_S8_S8_S8_S8_ffiiiiiiiiiiiii,@function
_ZN5aiter35fused_qk_rmsnorm_group_quant_kernelItDB8_Li64ELi4ELi8ELb1ELb1ELb0ELb1ELb0ELb0EEEvPT0_PvPT_S6_S6_PKS5_S8_S8_S8_S8_ffiiiiiiiiiiiii: ; @_ZN5aiter35fused_qk_rmsnorm_group_quant_kernelItDB8_Li64ELi4ELi8ELb1ELb1ELb0ELb1ELb0ELb0EEEvPT0_PvPT_S6_S6_PKS5_S8_S8_S8_S8_ffiiiiiiiiiiiii
; %bb.0:
	s_load_dwordx8 s[8:15], s[4:5], 0x50
	s_waitcnt lgkmcnt(0)
	s_cmp_ge_i32 s6, s10
	s_cbranch_scc1 .LBB292_15
; %bb.1:
	s_cmp_lg_u32 s7, 0
	s_cselect_b64 s[18:19], -1, 0
	s_cmp_eq_u32 s7, 0
	s_cselect_b64 s[20:21], -1, 0
	s_and_b64 s[0:1], s[20:21], exec
	s_cselect_b32 s7, s11, s12
	s_load_dwordx2 s[2:3], s[4:5], 0x30
	s_load_dwordx2 s[16:17], s[4:5], 0x48
	s_add_i32 s0, s7, 1
	s_lshr_b32 s1, s0, 31
	s_add_i32 s0, s0, s1
	s_lshl_b32 s0, s0, 1
	v_lshlrev_b32_e32 v1, 2, v0
	s_and_b32 s26, s0, -4
	v_cmp_gt_i32_e64 s[0:1], s7, v1
	v_mov_b32_e32 v6, 0
	v_mov_b32_e32 v7, 0
	;; [unrolled: 1-line block ×4, first 2 shown]
	s_and_saveexec_b64 s[10:11], s[0:1]
	s_cbranch_execz .LBB292_3
; %bb.2:
	s_load_dwordx2 s[22:23], s[4:5], 0x28
	s_load_dwordx2 s[24:25], s[4:5], 0x40
	s_and_b64 s[28:29], s[20:21], exec
	s_cselect_b32 s13, s13, s14
	v_lshlrev_b32_e32 v2, 3, v0
	s_waitcnt lgkmcnt(0)
	s_cselect_b32 s27, s23, s3
	s_cselect_b32 s28, s22, s2
	s_mul_hi_i32 s23, s13, s6
	s_mul_i32 s22, s13, s6
	s_lshl_b64 s[22:23], s[22:23], 1
	s_add_u32 s28, s28, s22
	s_addc_u32 s13, s27, s23
	s_and_b64 s[20:21], s[20:21], exec
	s_mov_b32 s27, 0x20000
	s_cselect_b32 s24, s24, s16
	s_cselect_b32 s20, s25, s17
	s_and_b32 s29, s13, 0xffff
	s_mov_b32 s30, s26
	s_mov_b32 s31, s27
	s_and_b32 s25, s20, 0xffff
	buffer_load_dwordx2 v[8:9], v2, s[28:31], 0 offen glc slc
	buffer_load_dwordx2 v[6:7], v2, s[24:27], 0 offen
.LBB292_3:
	s_or_b64 exec, exec, s[10:11]
	s_load_dwordx4 s[20:23], s[4:5], 0x7c
	s_and_b64 vcc, exec, s[18:19]
	s_cbranch_vccz .LBB292_7
; %bb.4:
	s_mov_b32 s28, 0
	s_mov_b32 s29, s28
	;; [unrolled: 1-line block ×4, first 2 shown]
	v_pk_mov_b32 v[2:3], s[28:29], s[28:29] op_sel:[0,1]
	v_pk_mov_b32 v[4:5], s[30:31], s[30:31] op_sel:[0,1]
	s_and_saveexec_b64 s[10:11], s[0:1]
	s_cbranch_execz .LBB292_6
; %bb.5:
	s_waitcnt vmcnt(1)
	v_cvt_f32_u32_sdwa v3, v8 dst_sel:DWORD dst_unused:UNUSED_PAD src0_sel:WORD_1
	v_cvt_f32_u32_sdwa v2, v8 dst_sel:DWORD dst_unused:UNUSED_PAD src0_sel:WORD_0
	v_cvt_f32_u32_sdwa v5, v9 dst_sel:DWORD dst_unused:UNUSED_PAD src0_sel:WORD_1
	v_cvt_f32_u32_sdwa v4, v9 dst_sel:DWORD dst_unused:UNUSED_PAD src0_sel:WORD_0
.LBB292_6:
	s_or_b64 exec, exec, s[10:11]
	s_mov_b32 s13, s9
	s_cbranch_execz .LBB292_8
	s_branch .LBB292_11
.LBB292_7:
                                        ; implicit-def: $vgpr2_vgpr3_vgpr4_vgpr5
	s_mov_b32 s13, s9
.LBB292_8:
	s_mov_b32 s28, 0
	s_mov_b32 s29, s28
	;; [unrolled: 1-line block ×4, first 2 shown]
	v_pk_mov_b32 v[2:3], s[28:29], s[28:29] op_sel:[0,1]
	v_pk_mov_b32 v[4:5], s[30:31], s[30:31] op_sel:[0,1]
	s_and_saveexec_b64 s[10:11], s[0:1]
	s_cbranch_execz .LBB292_10
; %bb.9:
	s_load_dwordx2 s[24:25], s[4:5], 0x38
	s_mul_hi_i32 s29, s15, s6
	s_mul_i32 s28, s15, s6
	s_lshl_b64 s[28:29], s[28:29], 1
	s_mov_b32 s27, 0x20000
	s_waitcnt lgkmcnt(0)
	s_add_u32 s24, s24, s28
	s_addc_u32 s13, s25, s29
	s_and_b32 s25, s13, 0xffff
	v_lshlrev_b32_e32 v14, 3, v0
	buffer_load_dwordx2 v[2:3], v14, s[24:27], 0 offen glc slc
	s_load_dwordx2 s[24:25], s[4:5], 0x20
	s_waitcnt vmcnt(2)
	v_cvt_f32_u32_sdwa v5, v8 dst_sel:DWORD dst_unused:UNUSED_PAD src0_sel:WORD_1
	v_cvt_f32_u32_sdwa v4, v8 dst_sel:DWORD dst_unused:UNUSED_PAD src0_sel:WORD_0
	v_cvt_f32_u32_sdwa v11, v9 dst_sel:DWORD dst_unused:UNUSED_PAD src0_sel:WORD_1
	v_cvt_f32_u32_sdwa v10, v9 dst_sel:DWORD dst_unused:UNUSED_PAD src0_sel:WORD_0
	s_mul_hi_i32 s23, s22, s6
	s_mul_i32 s22, s22, s6
	s_lshl_b64 s[22:23], s[22:23], 1
	s_waitcnt lgkmcnt(0)
	s_add_u32 s24, s24, s22
	s_mov_b32 s13, 0x7060302
	s_addc_u32 s15, s25, s23
	s_and_b32 s25, s15, 0xffff
	s_waitcnt vmcnt(0)
	v_cvt_f32_u32_sdwa v9, v2 dst_sel:DWORD dst_unused:UNUSED_PAD src0_sel:WORD_1
	v_cvt_f32_u32_sdwa v8, v2 dst_sel:DWORD dst_unused:UNUSED_PAD src0_sel:WORD_0
	v_cvt_f32_u32_sdwa v13, v3 dst_sel:DWORD dst_unused:UNUSED_PAD src0_sel:WORD_1
	v_cvt_f32_u32_sdwa v12, v3 dst_sel:DWORD dst_unused:UNUSED_PAD src0_sel:WORD_0
	v_pk_add_f32 v[2:3], v[4:5], v[8:9]
	v_perm_b32 v8, v3, v2, s13
	v_pk_add_f32 v[4:5], v[10:11], v[12:13]
	v_perm_b32 v9, v5, v4, s13
	buffer_store_dwordx2 v[8:9], v14, s[24:27], 0 offen glc slc
	;;#ASMSTART
	s_nop 0
	;;#ASMEND
.LBB292_10:
	s_or_b64 exec, exec, s[10:11]
	s_mov_b32 s13, s8
.LBB292_11:
	s_waitcnt vmcnt(1)
	v_mul_f32_e32 v8, v3, v3
	v_fmac_f32_e32 v8, v2, v2
	v_fmac_f32_e32 v8, v4, v4
	;; [unrolled: 1-line block ×3, first 2 shown]
	v_bfrev_b32_e32 v10, 0.5
	s_load_dwordx2 s[10:11], s[4:5], 0x18
	v_mov_b32_dpp v9, v8 quad_perm:[1,0,3,2] row_mask:0xf bank_mask:0xf
	v_add_f32_e32 v8, v8, v9
	s_nop 1
	v_mov_b32_dpp v9, v8 quad_perm:[2,3,0,1] row_mask:0xf bank_mask:0xf
	v_add_f32_e32 v8, v8, v9
	s_nop 1
	v_mov_b32_dpp v9, v8 row_half_mirror row_mask:0xf bank_mask:0xf
	v_add_f32_e32 v8, v8, v9
	s_nop 1
	v_mov_b32_dpp v9, v8 row_mirror row_mask:0xf bank_mask:0xf
	v_add_f32_e32 v8, v8, v9
	s_nop 1
	v_mov_b32_dpp v9, v8 row_bcast:15 row_mask:0xf bank_mask:0xf
	v_add_f32_e32 v8, v8, v9
	s_nop 1
	v_mov_b32_dpp v9, v8 row_bcast:31 row_mask:0xf bank_mask:0xf
	v_add_f32_e32 v9, v8, v9
	v_mbcnt_lo_u32_b32 v8, -1, 0
	v_mbcnt_hi_u32_b32 v8, -1, v8
	v_lshl_or_b32 v8, v8, 2, v10
	ds_bpermute_b32 v9, v8, v9
	s_waitcnt lgkmcnt(0)
	s_and_saveexec_b64 s[22:23], s[0:1]
	s_cbranch_execnz .LBB292_16
; %bb.12:
	s_or_b64 exec, exec, s[22:23]
	s_mov_b64 s[22:23], -1
	s_and_b64 vcc, exec, s[18:19]
	s_cbranch_vccnz .LBB292_17
.LBB292_13:
	s_andn2_b64 vcc, exec, s[22:23]
	s_cbranch_vccz .LBB292_20
.LBB292_14:
	s_cmp_lt_i32 s12, 1
	s_cbranch_scc0 .LBB292_23
.LBB292_15:
	s_endpgm
.LBB292_16:
	v_cvt_f32_u32_e32 v10, s7
	s_mov_b32 s7, 0x800000
	v_div_scale_f32 v11, s[24:25], v10, v10, v9
	v_rcp_f32_e32 v12, v11
	v_div_scale_f32 v13, vcc, v9, v10, v9
	v_fma_f32 v14, -v11, v12, 1.0
	v_fmac_f32_e32 v12, v14, v12
	v_mul_f32_e32 v14, v13, v12
	v_fma_f32 v15, -v11, v14, v13
	v_fmac_f32_e32 v14, v15, v12
	v_fma_f32 v11, -v11, v14, v13
	v_div_fmas_f32 v11, v11, v12, v14
	v_div_fixup_f32 v9, v11, v10, v9
	v_add_f32_e32 v9, s13, v9
	v_mul_f32_e32 v10, 0x4b800000, v9
	v_cmp_gt_f32_e32 vcc, s7, v9
	v_cndmask_b32_e32 v9, v9, v10, vcc
	v_rsq_f32_e32 v9, v9
	s_waitcnt vmcnt(0)
	v_cvt_f32_u32_sdwa v11, v6 dst_sel:DWORD dst_unused:UNUSED_PAD src0_sel:WORD_1
	v_cvt_f32_u32_sdwa v10, v6 dst_sel:DWORD dst_unused:UNUSED_PAD src0_sel:WORD_0
	v_cvt_f32_u32_sdwa v13, v7 dst_sel:DWORD dst_unused:UNUSED_PAD src0_sel:WORD_1
	v_mul_f32_e32 v6, 0x45800000, v9
	v_cndmask_b32_e32 v14, v9, v6, vcc
	v_mov_b32_e32 v15, v14
	;;#ASMSTART
	v_pk_mul_f32 v[2:3], v[2:3], v[14:15]
	;;#ASMEND
	;;#ASMSTART
	v_pk_mul_f32 v[4:5], v[4:5], v[14:15]
	;;#ASMEND
	v_cvt_f32_u32_sdwa v12, v7 dst_sel:DWORD dst_unused:UNUSED_PAD src0_sel:WORD_0
	;;#ASMSTART
	v_pk_mul_f32 v[2:3], v[2:3], v[10:11]
	;;#ASMEND
	;;#ASMSTART
	v_pk_mul_f32 v[4:5], v[4:5], v[12:13]
	;;#ASMEND
	s_or_b64 exec, exec, s[22:23]
	s_mov_b64 s[22:23], -1
	s_and_b64 vcc, exec, s[18:19]
	s_cbranch_vccz .LBB292_13
.LBB292_17:
	s_and_saveexec_b64 s[18:19], s[0:1]
	s_cbranch_execz .LBB292_19
; %bb.18:
	s_mul_hi_i32 s23, s21, s6
	s_mul_i32 s22, s21, s6
	s_lshl_b64 s[22:23], s[22:23], 1
	s_add_u32 s24, s10, s22
	s_addc_u32 s7, s11, s23
	s_and_b32 s25, s7, 0xffff
	s_mov_b32 s7, 0x7060302
	s_mov_b32 s27, 0x20000
	s_waitcnt vmcnt(0)
	v_perm_b32 v6, v3, v2, s7
	v_perm_b32 v7, v5, v4, s7
	v_lshlrev_b32_e32 v9, 3, v0
	buffer_store_dwordx2 v[6:7], v9, s[24:27], 0 offen
	;;#ASMSTART
	s_nop 0
	;;#ASMEND
.LBB292_19:
	s_or_b64 exec, exec, s[18:19]
	s_cbranch_execnz .LBB292_14
.LBB292_20:
	s_and_saveexec_b64 s[18:19], s[0:1]
	s_cbranch_execz .LBB292_22
; %bb.21:
	s_load_dwordx2 s[0:1], s[4:5], 0x10
	s_mul_hi_i32 s23, s20, s6
	s_mul_i32 s22, s20, s6
	s_lshl_b64 s[22:23], s[22:23], 1
	s_mov_b32 s27, 0x20000
	s_waitcnt lgkmcnt(0)
	s_add_u32 s24, s0, s22
	s_addc_u32 s0, s1, s23
	s_and_b32 s25, s0, 0xffff
	s_mov_b32 s0, 0x7060302
	v_perm_b32 v2, v3, v2, s0
	v_perm_b32 v3, v5, v4, s0
	v_lshlrev_b32_e32 v4, 3, v0
	buffer_store_dwordx2 v[2:3], v4, s[24:27], 0 offen
	;;#ASMSTART
	s_nop 0
	;;#ASMEND
.LBB292_22:
	s_or_b64 exec, exec, s[18:19]
	s_cmp_lt_i32 s12, 1
	s_cbranch_scc1 .LBB292_15
.LBB292_23:
	s_load_dword s0, s[4:5], 0x94
	s_waitcnt lgkmcnt(0)
	s_cmp_lg_u32 s0, 1
	s_cbranch_scc1 .LBB292_15
; %bb.24:
	s_lshl_b32 s0, s12, 1
	s_add_i32 s0, s0, 2
	v_cmp_gt_u32_e32 vcc, s12, v1
	s_and_b32 s18, s0, -4
	v_mov_b32_e32 v2, 0
	s_waitcnt vmcnt(0)
	v_lshlrev_b32_e32 v6, 3, v0
	v_mov_b32_e32 v3, 0
	v_mov_b32_e32 v0, 0
	;; [unrolled: 1-line block ×3, first 2 shown]
	s_barrier
	s_and_saveexec_b64 s[0:1], vcc
	s_cbranch_execz .LBB292_26
; %bb.25:
	s_mul_hi_i32 s5, s14, s6
	s_mul_i32 s4, s14, s6
	s_and_b32 s17, s17, 0xffff
	s_lshl_b64 s[4:5], s[4:5], 1
	s_add_u32 s24, s2, s4
	s_mov_b32 s19, 0x20000
	s_addc_u32 s2, s3, s5
	s_and_b32 s25, s2, 0xffff
	s_mov_b32 s26, s18
	s_mov_b32 s27, s19
	buffer_load_dwordx2 v[2:3], v6, s[24:27], 0 offen glc slc
	buffer_load_dwordx2 v[0:1], v6, s[16:19], 0 offen
.LBB292_26:
	s_or_b64 exec, exec, s[0:1]
	s_waitcnt vmcnt(1)
	v_cvt_f32_u32_sdwa v5, v3 dst_sel:DWORD dst_unused:UNUSED_PAD src0_sel:WORD_0
	v_cvt_f32_u32_sdwa v7, v2 dst_sel:DWORD dst_unused:UNUSED_PAD src0_sel:WORD_1
	v_cvt_f32_u32_sdwa v4, v3 dst_sel:DWORD dst_unused:UNUSED_PAD src0_sel:WORD_1
	v_cvt_f32_u32_sdwa v9, v2 dst_sel:DWORD dst_unused:UNUSED_PAD src0_sel:WORD_0
	v_cndmask_b32_e32 v2, 0, v5, vcc
	v_cndmask_b32_e32 v5, 0, v7, vcc
	;; [unrolled: 1-line block ×4, first 2 shown]
	v_mul_f32_e32 v7, v5, v5
	v_fmac_f32_e32 v7, v4, v4
	v_fmac_f32_e32 v7, v2, v2
	;; [unrolled: 1-line block ×3, first 2 shown]
	s_nop 1
	v_mov_b32_dpp v9, v7 quad_perm:[1,0,3,2] row_mask:0xf bank_mask:0xf
	v_add_f32_e32 v7, v7, v9
	s_nop 1
	v_mov_b32_dpp v9, v7 quad_perm:[2,3,0,1] row_mask:0xf bank_mask:0xf
	v_add_f32_e32 v7, v7, v9
	s_nop 1
	v_mov_b32_dpp v9, v7 row_half_mirror row_mask:0xf bank_mask:0xf
	v_add_f32_e32 v7, v7, v9
	s_nop 1
	v_mov_b32_dpp v9, v7 row_mirror row_mask:0xf bank_mask:0xf
	v_add_f32_e32 v7, v7, v9
	s_nop 1
	v_mov_b32_dpp v9, v7 row_bcast:15 row_mask:0xf bank_mask:0xf
	v_add_f32_e32 v7, v7, v9
	s_nop 1
	v_mov_b32_dpp v9, v7 row_bcast:31 row_mask:0xf bank_mask:0xf
	v_add_f32_e32 v7, v7, v9
	ds_bpermute_b32 v7, v8, v7
	s_and_saveexec_b64 s[0:1], vcc
	s_cbranch_execz .LBB292_15
; %bb.27:
	v_cvt_f32_u32_e32 v8, s12
	s_mov_b32 s19, 0x20000
	s_waitcnt lgkmcnt(0)
	v_div_scale_f32 v9, s[0:1], v8, v8, v7
	v_rcp_f32_e32 v10, v9
	v_div_scale_f32 v11, vcc, v7, v8, v7
	s_mov_b32 s0, 0x800000
	v_fma_f32 v12, -v9, v10, 1.0
	v_fmac_f32_e32 v10, v12, v10
	v_mul_f32_e32 v12, v11, v10
	v_fma_f32 v13, -v9, v12, v11
	v_fmac_f32_e32 v12, v13, v10
	v_fma_f32 v9, -v9, v12, v11
	v_div_fmas_f32 v9, v9, v10, v12
	v_div_fixup_f32 v7, v9, v8, v7
	v_add_f32_e32 v7, s9, v7
	v_mul_f32_e32 v8, 0x4b800000, v7
	v_cmp_gt_f32_e32 vcc, s0, v7
	v_cndmask_b32_e32 v7, v7, v8, vcc
	v_rsq_f32_e32 v7, v7
	s_mul_hi_i32 s1, s21, s6
	s_mul_i32 s0, s21, s6
	s_waitcnt vmcnt(0)
	v_cvt_f32_u32_sdwa v9, v0 dst_sel:DWORD dst_unused:UNUSED_PAD src0_sel:WORD_1
	v_cvt_f32_u32_sdwa v8, v0 dst_sel:DWORD dst_unused:UNUSED_PAD src0_sel:WORD_0
	v_mul_f32_e32 v0, 0x45800000, v7
	s_lshl_b64 s[0:1], s[0:1], 1
	v_cndmask_b32_e32 v12, v7, v0, vcc
	s_add_u32 s16, s10, s0
	v_cvt_f32_u32_sdwa v11, v1 dst_sel:DWORD dst_unused:UNUSED_PAD src0_sel:WORD_1
	v_mov_b32_e32 v13, v12
	v_cvt_f32_u32_sdwa v10, v1 dst_sel:DWORD dst_unused:UNUSED_PAD src0_sel:WORD_0
	;;#ASMSTART
	v_pk_mul_f32 v[0:1], v[4:5], v[12:13]
	;;#ASMEND
	s_addc_u32 s0, s11, s1
	;;#ASMSTART
	v_pk_mul_f32 v[2:3], v[2:3], v[12:13]
	;;#ASMEND
	;;#ASMSTART
	v_pk_mul_f32 v[0:1], v[0:1], v[8:9]
	;;#ASMEND
	s_and_b32 s17, s0, 0xffff
	s_mov_b32 s0, 0x7060302
	;;#ASMSTART
	v_pk_mul_f32 v[2:3], v[2:3], v[10:11]
	;;#ASMEND
	v_perm_b32 v0, v1, v0, s0
	v_perm_b32 v1, v3, v2, s0
	buffer_store_dwordx2 v[0:1], v6, s[16:19], 0 offen
	;;#ASMSTART
	s_nop 0
	;;#ASMEND
	s_endpgm
	.section	.rodata,"a",@progbits
	.p2align	6, 0x0
	.amdhsa_kernel _ZN5aiter35fused_qk_rmsnorm_group_quant_kernelItDB8_Li64ELi4ELi8ELb1ELb1ELb0ELb1ELb0ELb0EEEvPT0_PvPT_S6_S6_PKS5_S8_S8_S8_S8_ffiiiiiiiiiiiii
		.amdhsa_group_segment_fixed_size 0
		.amdhsa_private_segment_fixed_size 0
		.amdhsa_kernarg_size 400
		.amdhsa_user_sgpr_count 6
		.amdhsa_user_sgpr_private_segment_buffer 1
		.amdhsa_user_sgpr_dispatch_ptr 0
		.amdhsa_user_sgpr_queue_ptr 0
		.amdhsa_user_sgpr_kernarg_segment_ptr 1
		.amdhsa_user_sgpr_dispatch_id 0
		.amdhsa_user_sgpr_flat_scratch_init 0
		.amdhsa_user_sgpr_kernarg_preload_length 0
		.amdhsa_user_sgpr_kernarg_preload_offset 0
		.amdhsa_user_sgpr_private_segment_size 0
		.amdhsa_uses_dynamic_stack 0
		.amdhsa_system_sgpr_private_segment_wavefront_offset 0
		.amdhsa_system_sgpr_workgroup_id_x 1
		.amdhsa_system_sgpr_workgroup_id_y 1
		.amdhsa_system_sgpr_workgroup_id_z 0
		.amdhsa_system_sgpr_workgroup_info 0
		.amdhsa_system_vgpr_workitem_id 0
		.amdhsa_next_free_vgpr 16
		.amdhsa_next_free_sgpr 32
		.amdhsa_accum_offset 16
		.amdhsa_reserve_vcc 1
		.amdhsa_reserve_flat_scratch 0
		.amdhsa_float_round_mode_32 0
		.amdhsa_float_round_mode_16_64 0
		.amdhsa_float_denorm_mode_32 3
		.amdhsa_float_denorm_mode_16_64 3
		.amdhsa_dx10_clamp 1
		.amdhsa_ieee_mode 1
		.amdhsa_fp16_overflow 0
		.amdhsa_tg_split 0
		.amdhsa_exception_fp_ieee_invalid_op 0
		.amdhsa_exception_fp_denorm_src 0
		.amdhsa_exception_fp_ieee_div_zero 0
		.amdhsa_exception_fp_ieee_overflow 0
		.amdhsa_exception_fp_ieee_underflow 0
		.amdhsa_exception_fp_ieee_inexact 0
		.amdhsa_exception_int_div_zero 0
	.end_amdhsa_kernel
	.section	.text._ZN5aiter35fused_qk_rmsnorm_group_quant_kernelItDB8_Li64ELi4ELi8ELb1ELb1ELb0ELb1ELb0ELb0EEEvPT0_PvPT_S6_S6_PKS5_S8_S8_S8_S8_ffiiiiiiiiiiiii,"axG",@progbits,_ZN5aiter35fused_qk_rmsnorm_group_quant_kernelItDB8_Li64ELi4ELi8ELb1ELb1ELb0ELb1ELb0ELb0EEEvPT0_PvPT_S6_S6_PKS5_S8_S8_S8_S8_ffiiiiiiiiiiiii,comdat
.Lfunc_end292:
	.size	_ZN5aiter35fused_qk_rmsnorm_group_quant_kernelItDB8_Li64ELi4ELi8ELb1ELb1ELb0ELb1ELb0ELb0EEEvPT0_PvPT_S6_S6_PKS5_S8_S8_S8_S8_ffiiiiiiiiiiiii, .Lfunc_end292-_ZN5aiter35fused_qk_rmsnorm_group_quant_kernelItDB8_Li64ELi4ELi8ELb1ELb1ELb0ELb1ELb0ELb0EEEvPT0_PvPT_S6_S6_PKS5_S8_S8_S8_S8_ffiiiiiiiiiiiii
                                        ; -- End function
	.section	.AMDGPU.csdata,"",@progbits
; Kernel info:
; codeLenInByte = 1852
; NumSgprs: 36
; NumVgprs: 16
; NumAgprs: 0
; TotalNumVgprs: 16
; ScratchSize: 0
; MemoryBound: 0
; FloatMode: 240
; IeeeMode: 1
; LDSByteSize: 0 bytes/workgroup (compile time only)
; SGPRBlocks: 4
; VGPRBlocks: 1
; NumSGPRsForWavesPerEU: 36
; NumVGPRsForWavesPerEU: 16
; AccumOffset: 16
; Occupancy: 8
; WaveLimiterHint : 0
; COMPUTE_PGM_RSRC2:SCRATCH_EN: 0
; COMPUTE_PGM_RSRC2:USER_SGPR: 6
; COMPUTE_PGM_RSRC2:TRAP_HANDLER: 0
; COMPUTE_PGM_RSRC2:TGID_X_EN: 1
; COMPUTE_PGM_RSRC2:TGID_Y_EN: 1
; COMPUTE_PGM_RSRC2:TGID_Z_EN: 0
; COMPUTE_PGM_RSRC2:TIDIG_COMP_CNT: 0
; COMPUTE_PGM_RSRC3_GFX90A:ACCUM_OFFSET: 3
; COMPUTE_PGM_RSRC3_GFX90A:TG_SPLIT: 0
	.section	.text._ZN5aiter35fused_qk_rmsnorm_group_quant_kernelIDF16_DB8_Li64ELi4ELi8ELb0ELb1ELb1ELb1ELb0ELb0EEEvPT0_PvPT_S6_S6_PKS5_S8_S8_S8_S8_ffiiiiiiiiiiiii,"axG",@progbits,_ZN5aiter35fused_qk_rmsnorm_group_quant_kernelIDF16_DB8_Li64ELi4ELi8ELb0ELb1ELb1ELb1ELb0ELb0EEEvPT0_PvPT_S6_S6_PKS5_S8_S8_S8_S8_ffiiiiiiiiiiiii,comdat
	.protected	_ZN5aiter35fused_qk_rmsnorm_group_quant_kernelIDF16_DB8_Li64ELi4ELi8ELb0ELb1ELb1ELb1ELb0ELb0EEEvPT0_PvPT_S6_S6_PKS5_S8_S8_S8_S8_ffiiiiiiiiiiiii ; -- Begin function _ZN5aiter35fused_qk_rmsnorm_group_quant_kernelIDF16_DB8_Li64ELi4ELi8ELb0ELb1ELb1ELb1ELb0ELb0EEEvPT0_PvPT_S6_S6_PKS5_S8_S8_S8_S8_ffiiiiiiiiiiiii
	.globl	_ZN5aiter35fused_qk_rmsnorm_group_quant_kernelIDF16_DB8_Li64ELi4ELi8ELb0ELb1ELb1ELb1ELb0ELb0EEEvPT0_PvPT_S6_S6_PKS5_S8_S8_S8_S8_ffiiiiiiiiiiiii
	.p2align	8
	.type	_ZN5aiter35fused_qk_rmsnorm_group_quant_kernelIDF16_DB8_Li64ELi4ELi8ELb0ELb1ELb1ELb1ELb0ELb0EEEvPT0_PvPT_S6_S6_PKS5_S8_S8_S8_S8_ffiiiiiiiiiiiii,@function
_ZN5aiter35fused_qk_rmsnorm_group_quant_kernelIDF16_DB8_Li64ELi4ELi8ELb0ELb1ELb1ELb1ELb0ELb0EEEvPT0_PvPT_S6_S6_PKS5_S8_S8_S8_S8_ffiiiiiiiiiiiii: ; @_ZN5aiter35fused_qk_rmsnorm_group_quant_kernelIDF16_DB8_Li64ELi4ELi8ELb0ELb1ELb1ELb1ELb0ELb0EEEvPT0_PvPT_S6_S6_PKS5_S8_S8_S8_S8_ffiiiiiiiiiiiii
; %bb.0:
	s_load_dwordx4 s[12:15], s[4:5], 0x50
	s_waitcnt lgkmcnt(0)
	s_cmp_ge_i32 s6, s14
	s_cbranch_scc1 .LBB293_8
; %bb.1:
	s_load_dwordx2 s[24:25], s[4:5], 0x30
	s_load_dwordx2 s[8:9], s[4:5], 0x48
	s_load_dwordx4 s[16:19], s[4:5], 0x60
	s_cmp_lg_u32 s7, 0
	s_cselect_b64 s[10:11], -1, 0
	s_cmp_eq_u32 s7, 0
	s_cselect_b64 vcc, -1, 0
	s_and_b64 s[0:1], vcc, exec
	s_waitcnt lgkmcnt(0)
	s_cselect_b32 s7, s15, s16
	s_add_i32 s0, s7, 1
	s_lshr_b32 s1, s0, 31
	s_add_i32 s0, s0, s1
	s_lshl_b32 s0, s0, 1
	v_lshlrev_b32_e32 v1, 2, v0
	s_and_b32 s22, s0, -4
	v_cmp_gt_i32_e64 s[0:1], s7, v1
	v_mov_b32_e32 v6, 0
	v_mov_b32_e32 v7, 0
	;; [unrolled: 1-line block ×4, first 2 shown]
	s_and_saveexec_b64 s[2:3], s[0:1]
	s_cbranch_execz .LBB293_3
; %bb.2:
	s_load_dwordx2 s[14:15], s[4:5], 0x28
	s_load_dwordx2 s[20:21], s[4:5], 0x40
	s_and_b64 s[26:27], vcc, exec
	s_cselect_b32 s17, s17, s18
	v_lshlrev_b32_e32 v4, 3, v0
	s_waitcnt lgkmcnt(0)
	s_cselect_b32 s19, s15, s25
	s_cselect_b32 s23, s14, s24
	s_mul_hi_i32 s15, s17, s6
	s_mul_i32 s14, s17, s6
	s_lshl_b64 s[14:15], s[14:15], 1
	s_add_u32 s28, s23, s14
	s_addc_u32 s17, s19, s15
	s_and_b64 s[14:15], vcc, exec
	s_mov_b32 s23, 0x20000
	s_cselect_b32 s20, s20, s8
	s_cselect_b32 s14, s21, s9
	s_and_b32 s29, s17, 0xffff
	s_mov_b32 s30, s22
	s_mov_b32 s31, s23
	s_and_b32 s21, s14, 0xffff
	buffer_load_dwordx2 v[2:3], v4, s[28:31], 0 offen glc slc
	buffer_load_dwordx2 v[6:7], v4, s[20:23], 0 offen
.LBB293_3:
	s_or_b64 exec, exec, s[2:3]
	s_waitcnt vmcnt(1)
	v_cvt_f32_f16_e32 v4, v3
	v_cvt_f32_f16_e32 v5, v2
	v_cvt_f32_f16_sdwa v8, v2 dst_sel:DWORD dst_unused:UNUSED_PAD src0_sel:WORD_1
	v_cvt_f32_f16_sdwa v3, v3 dst_sel:DWORD dst_unused:UNUSED_PAD src0_sel:WORD_1
	v_cndmask_b32_e64 v2, 0, v4, s[0:1]
	v_cndmask_b32_e64 v4, 0, v5, s[0:1]
	;; [unrolled: 1-line block ×3, first 2 shown]
	v_mul_f32_e32 v8, v5, v5
	v_fmac_f32_e32 v8, v4, v4
	v_cndmask_b32_e64 v3, 0, v3, s[0:1]
	v_fmac_f32_e32 v8, v2, v2
	v_fmac_f32_e32 v8, v3, v3
	v_bfrev_b32_e32 v10, 0.5
	s_load_dwordx2 s[2:3], s[4:5], 0x18
	v_mov_b32_dpp v9, v8 quad_perm:[1,0,3,2] row_mask:0xf bank_mask:0xf
	v_add_f32_e32 v8, v8, v9
	s_nop 1
	v_mov_b32_dpp v9, v8 quad_perm:[2,3,0,1] row_mask:0xf bank_mask:0xf
	v_add_f32_e32 v8, v8, v9
	s_nop 1
	v_mov_b32_dpp v9, v8 row_half_mirror row_mask:0xf bank_mask:0xf
	v_add_f32_e32 v8, v8, v9
	s_nop 1
	v_mov_b32_dpp v9, v8 row_mirror row_mask:0xf bank_mask:0xf
	v_add_f32_e32 v8, v8, v9
	s_nop 1
	v_mov_b32_dpp v9, v8 row_bcast:15 row_mask:0xf bank_mask:0xf
	v_add_f32_e32 v8, v8, v9
	s_nop 1
	v_mov_b32_dpp v9, v8 row_bcast:31 row_mask:0xf bank_mask:0xf
	v_add_f32_e32 v9, v8, v9
	v_mbcnt_lo_u32_b32 v8, -1, 0
	v_mbcnt_hi_u32_b32 v8, -1, v8
	v_lshl_or_b32 v8, v8, 2, v10
	ds_bpermute_b32 v9, v8, v9
	s_and_saveexec_b64 s[14:15], s[0:1]
	s_cbranch_execz .LBB293_5
; %bb.4:
	v_cvt_f32_u32_e32 v10, s7
	v_mov_b32_e32 v11, s13
	v_mov_b32_e32 v12, s12
	v_cndmask_b32_e32 v11, v11, v12, vcc
	s_waitcnt lgkmcnt(0)
	v_div_scale_f32 v13, s[20:21], v10, v10, v9
	v_rcp_f32_e32 v14, v13
	v_div_scale_f32 v12, vcc, v9, v10, v9
	s_mov_b32 s7, 0x800000
	v_fma_f32 v15, -v13, v14, 1.0
	v_fmac_f32_e32 v14, v15, v14
	v_mul_f32_e32 v15, v12, v14
	v_fma_f32 v16, -v13, v15, v12
	v_fmac_f32_e32 v15, v16, v14
	v_fma_f32 v12, -v13, v15, v12
	v_div_fmas_f32 v12, v12, v14, v15
	v_div_fixup_f32 v9, v12, v10, v9
	v_add_f32_e32 v9, v11, v9
	v_mul_f32_e32 v10, 0x4b800000, v9
	v_cmp_gt_f32_e32 vcc, s7, v9
	v_cndmask_b32_e32 v9, v9, v10, vcc
	v_rsq_f32_e32 v9, v9
	s_waitcnt vmcnt(0)
	v_cvt_f32_f16_sdwa v13, v6 dst_sel:DWORD dst_unused:UNUSED_PAD src0_sel:WORD_1
	v_cvt_f32_f16_e32 v12, v6
	v_cvt_f32_f16_sdwa v15, v7 dst_sel:DWORD dst_unused:UNUSED_PAD src0_sel:WORD_1
	v_cvt_f32_f16_e32 v14, v7
	v_mul_f32_e32 v10, 0x45800000, v9
	v_cndmask_b32_e32 v10, v9, v10, vcc
	v_mov_b32_e32 v11, v10
	;;#ASMSTART
	v_pk_mul_f32 v[4:5], v[4:5], v[10:11]
	;;#ASMEND
	;;#ASMSTART
	v_pk_mul_f32 v[2:3], v[2:3], v[10:11]
	;;#ASMEND
	v_pk_add_f32 v[6:7], v[12:13], 1.0 op_sel_hi:[1,0]
	;;#ASMSTART
	v_pk_mul_f32 v[4:5], v[4:5], v[6:7]
	;;#ASMEND
	v_pk_add_f32 v[6:7], v[14:15], 1.0 op_sel_hi:[1,0]
	;;#ASMSTART
	v_pk_mul_f32 v[2:3], v[2:3], v[6:7]
	;;#ASMEND
.LBB293_5:
	s_or_b64 exec, exec, s[14:15]
	s_load_dwordx2 s[14:15], s[4:5], 0x7c
	s_mov_b64 s[20:21], -1
	s_and_b64 vcc, exec, s[10:11]
	s_cbranch_vccnz .LBB293_9
; %bb.6:
	s_andn2_b64 vcc, exec, s[20:21]
	s_cbranch_vccz .LBB293_12
.LBB293_7:
	s_cmp_lt_i32 s16, 1
	s_cbranch_scc0 .LBB293_15
.LBB293_8:
	s_endpgm
.LBB293_9:
	s_and_saveexec_b64 s[10:11], s[0:1]
	s_cbranch_execz .LBB293_11
; %bb.10:
	s_waitcnt lgkmcnt(0)
	s_mul_hi_i32 s21, s15, s6
	s_mul_i32 s20, s15, s6
	s_waitcnt vmcnt(0)
	v_cvt_f16_f32_e32 v6, v4
	v_cvt_f16_f32_e32 v7, v2
	;; [unrolled: 1-line block ×4, first 2 shown]
	s_lshl_b64 s[20:21], s[20:21], 1
	s_add_u32 s20, s2, s20
	s_addc_u32 s7, s3, s21
	s_and_b32 s21, s7, 0xffff
	s_mov_b32 s23, 0x20000
	v_pack_b32_f16 v7, v7, v9
	v_pack_b32_f16 v6, v6, v10
	v_lshlrev_b32_e32 v9, 3, v0
	buffer_store_dwordx2 v[6:7], v9, s[20:23], 0 offen
	;;#ASMSTART
	s_nop 0
	;;#ASMEND
.LBB293_11:
	s_or_b64 exec, exec, s[10:11]
	s_cbranch_execnz .LBB293_7
.LBB293_12:
	s_and_saveexec_b64 s[10:11], s[0:1]
	s_cbranch_execz .LBB293_14
; %bb.13:
	s_load_dwordx2 s[0:1], s[4:5], 0x10
	s_waitcnt lgkmcnt(0)
	s_mul_hi_i32 s21, s14, s6
	s_mul_i32 s20, s14, s6
	v_cvt_f16_f32_e32 v4, v4
	v_cvt_f16_f32_e32 v2, v2
	v_cvt_f16_f32_e32 v3, v3
	v_cvt_f16_f32_e32 v5, v5
	s_lshl_b64 s[20:21], s[20:21], 1
	s_add_u32 s20, s0, s20
	s_addc_u32 s0, s1, s21
	s_and_b32 s21, s0, 0xffff
	s_mov_b32 s23, 0x20000
	v_pack_b32_f16 v3, v2, v3
	v_pack_b32_f16 v2, v4, v5
	v_lshlrev_b32_e32 v4, 3, v0
	buffer_store_dwordx2 v[2:3], v4, s[20:23], 0 offen
	;;#ASMSTART
	s_nop 0
	;;#ASMEND
.LBB293_14:
	s_or_b64 exec, exec, s[10:11]
	s_cmp_lt_i32 s16, 1
	s_cbranch_scc1 .LBB293_8
.LBB293_15:
	s_load_dword s0, s[4:5], 0x94
	s_waitcnt lgkmcnt(0)
	s_cmp_lg_u32 s0, 1
	s_cbranch_scc1 .LBB293_8
; %bb.16:
	s_lshl_b32 s0, s16, 1
	s_add_i32 s0, s0, 2
	v_cmp_gt_u32_e32 vcc, s16, v1
	s_and_b32 s10, s0, -4
	v_mov_b32_e32 v2, 0
	s_waitcnt vmcnt(0)
	v_lshlrev_b32_e32 v6, 3, v0
	v_mov_b32_e32 v3, 0
	v_mov_b32_e32 v0, 0
	;; [unrolled: 1-line block ×3, first 2 shown]
	s_barrier
	s_and_saveexec_b64 s[0:1], vcc
	s_cbranch_execz .LBB293_18
; %bb.17:
	s_mul_hi_i32 s5, s18, s6
	s_mul_i32 s4, s18, s6
	s_and_b32 s9, s9, 0xffff
	s_lshl_b64 s[4:5], s[4:5], 1
	s_add_u32 s20, s24, s4
	s_mov_b32 s11, 0x20000
	s_addc_u32 s4, s25, s5
	s_and_b32 s21, s4, 0xffff
	s_mov_b32 s22, s10
	s_mov_b32 s23, s11
	buffer_load_dwordx2 v[2:3], v6, s[20:23], 0 offen glc slc
	buffer_load_dwordx2 v[0:1], v6, s[8:11], 0 offen
.LBB293_18:
	s_or_b64 exec, exec, s[0:1]
	s_waitcnt vmcnt(1)
	v_cvt_f32_f16_e32 v4, v3
	v_cvt_f32_f16_e32 v5, v2
	v_cvt_f32_f16_sdwa v7, v2 dst_sel:DWORD dst_unused:UNUSED_PAD src0_sel:WORD_1
	v_cvt_f32_f16_sdwa v3, v3 dst_sel:DWORD dst_unused:UNUSED_PAD src0_sel:WORD_1
	v_cndmask_b32_e32 v2, 0, v4, vcc
	v_cndmask_b32_e32 v4, 0, v5, vcc
	;; [unrolled: 1-line block ×3, first 2 shown]
	v_mul_f32_e32 v7, v5, v5
	v_fmac_f32_e32 v7, v4, v4
	v_cndmask_b32_e32 v3, 0, v3, vcc
	v_fmac_f32_e32 v7, v2, v2
	v_fmac_f32_e32 v7, v3, v3
	s_nop 1
	v_mov_b32_dpp v9, v7 quad_perm:[1,0,3,2] row_mask:0xf bank_mask:0xf
	v_add_f32_e32 v7, v7, v9
	s_nop 1
	v_mov_b32_dpp v9, v7 quad_perm:[2,3,0,1] row_mask:0xf bank_mask:0xf
	v_add_f32_e32 v7, v7, v9
	s_nop 1
	v_mov_b32_dpp v9, v7 row_half_mirror row_mask:0xf bank_mask:0xf
	v_add_f32_e32 v7, v7, v9
	s_nop 1
	v_mov_b32_dpp v9, v7 row_mirror row_mask:0xf bank_mask:0xf
	v_add_f32_e32 v7, v7, v9
	s_nop 1
	v_mov_b32_dpp v9, v7 row_bcast:15 row_mask:0xf bank_mask:0xf
	v_add_f32_e32 v7, v7, v9
	s_nop 1
	v_mov_b32_dpp v9, v7 row_bcast:31 row_mask:0xf bank_mask:0xf
	v_add_f32_e32 v7, v7, v9
	ds_bpermute_b32 v7, v8, v7
	s_and_saveexec_b64 s[0:1], vcc
	s_cbranch_execz .LBB293_8
; %bb.19:
	v_cvt_f32_u32_e32 v8, s16
	s_mov_b32 s11, 0x20000
	s_waitcnt lgkmcnt(0)
	v_div_scale_f32 v9, s[0:1], v8, v8, v7
	v_rcp_f32_e32 v10, v9
	v_div_scale_f32 v11, vcc, v7, v8, v7
	s_mov_b32 s0, 0x800000
	v_fma_f32 v12, -v9, v10, 1.0
	v_fmac_f32_e32 v10, v12, v10
	v_mul_f32_e32 v12, v11, v10
	v_fma_f32 v13, -v9, v12, v11
	v_fmac_f32_e32 v12, v13, v10
	v_fma_f32 v9, -v9, v12, v11
	v_div_fmas_f32 v9, v9, v10, v12
	v_div_fixup_f32 v7, v9, v8, v7
	v_add_f32_e32 v7, s13, v7
	v_mul_f32_e32 v8, 0x4b800000, v7
	v_cmp_gt_f32_e32 vcc, s0, v7
	v_cndmask_b32_e32 v7, v7, v8, vcc
	v_rsq_f32_e32 v7, v7
	s_waitcnt vmcnt(0)
	v_cvt_f32_f16_sdwa v9, v0 dst_sel:DWORD dst_unused:UNUSED_PAD src0_sel:WORD_1
	v_cvt_f32_f16_e32 v8, v0
	v_cvt_f32_f16_sdwa v11, v1 dst_sel:DWORD dst_unused:UNUSED_PAD src0_sel:WORD_1
	v_cvt_f32_f16_e32 v10, v1
	v_mul_f32_e32 v0, 0x45800000, v7
	v_cndmask_b32_e32 v12, v7, v0, vcc
	v_mov_b32_e32 v13, v12
	;;#ASMSTART
	v_pk_mul_f32 v[4:5], v[4:5], v[12:13]
	;;#ASMEND
	;;#ASMSTART
	v_pk_mul_f32 v[0:1], v[2:3], v[12:13]
	;;#ASMEND
	v_pk_add_f32 v[2:3], v[8:9], 1.0 op_sel_hi:[1,0]
	;;#ASMSTART
	v_pk_mul_f32 v[2:3], v[4:5], v[2:3]
	;;#ASMEND
	v_pk_add_f32 v[4:5], v[10:11], 1.0 op_sel_hi:[1,0]
	;;#ASMSTART
	v_pk_mul_f32 v[0:1], v[0:1], v[4:5]
	;;#ASMEND
	s_mul_hi_i32 s1, s15, s6
	s_mul_i32 s0, s15, s6
	v_cvt_f16_f32_e32 v2, v2
	v_cvt_f16_f32_e32 v3, v3
	;; [unrolled: 1-line block ×4, first 2 shown]
	s_lshl_b64 s[0:1], s[0:1], 1
	s_add_u32 s8, s2, s0
	s_addc_u32 s0, s3, s1
	s_and_b32 s9, s0, 0xffff
	v_pack_b32_f16 v0, v2, v3
	v_pack_b32_f16 v1, v4, v1
	buffer_store_dwordx2 v[0:1], v6, s[8:11], 0 offen
	;;#ASMSTART
	s_nop 0
	;;#ASMEND
	s_endpgm
	.section	.rodata,"a",@progbits
	.p2align	6, 0x0
	.amdhsa_kernel _ZN5aiter35fused_qk_rmsnorm_group_quant_kernelIDF16_DB8_Li64ELi4ELi8ELb0ELb1ELb1ELb1ELb0ELb0EEEvPT0_PvPT_S6_S6_PKS5_S8_S8_S8_S8_ffiiiiiiiiiiiii
		.amdhsa_group_segment_fixed_size 0
		.amdhsa_private_segment_fixed_size 0
		.amdhsa_kernarg_size 400
		.amdhsa_user_sgpr_count 6
		.amdhsa_user_sgpr_private_segment_buffer 1
		.amdhsa_user_sgpr_dispatch_ptr 0
		.amdhsa_user_sgpr_queue_ptr 0
		.amdhsa_user_sgpr_kernarg_segment_ptr 1
		.amdhsa_user_sgpr_dispatch_id 0
		.amdhsa_user_sgpr_flat_scratch_init 0
		.amdhsa_user_sgpr_kernarg_preload_length 0
		.amdhsa_user_sgpr_kernarg_preload_offset 0
		.amdhsa_user_sgpr_private_segment_size 0
		.amdhsa_uses_dynamic_stack 0
		.amdhsa_system_sgpr_private_segment_wavefront_offset 0
		.amdhsa_system_sgpr_workgroup_id_x 1
		.amdhsa_system_sgpr_workgroup_id_y 1
		.amdhsa_system_sgpr_workgroup_id_z 0
		.amdhsa_system_sgpr_workgroup_info 0
		.amdhsa_system_vgpr_workitem_id 0
		.amdhsa_next_free_vgpr 17
		.amdhsa_next_free_sgpr 32
		.amdhsa_accum_offset 20
		.amdhsa_reserve_vcc 1
		.amdhsa_reserve_flat_scratch 0
		.amdhsa_float_round_mode_32 0
		.amdhsa_float_round_mode_16_64 0
		.amdhsa_float_denorm_mode_32 3
		.amdhsa_float_denorm_mode_16_64 3
		.amdhsa_dx10_clamp 1
		.amdhsa_ieee_mode 1
		.amdhsa_fp16_overflow 0
		.amdhsa_tg_split 0
		.amdhsa_exception_fp_ieee_invalid_op 0
		.amdhsa_exception_fp_denorm_src 0
		.amdhsa_exception_fp_ieee_div_zero 0
		.amdhsa_exception_fp_ieee_overflow 0
		.amdhsa_exception_fp_ieee_underflow 0
		.amdhsa_exception_fp_ieee_inexact 0
		.amdhsa_exception_int_div_zero 0
	.end_amdhsa_kernel
	.section	.text._ZN5aiter35fused_qk_rmsnorm_group_quant_kernelIDF16_DB8_Li64ELi4ELi8ELb0ELb1ELb1ELb1ELb0ELb0EEEvPT0_PvPT_S6_S6_PKS5_S8_S8_S8_S8_ffiiiiiiiiiiiii,"axG",@progbits,_ZN5aiter35fused_qk_rmsnorm_group_quant_kernelIDF16_DB8_Li64ELi4ELi8ELb0ELb1ELb1ELb1ELb0ELb0EEEvPT0_PvPT_S6_S6_PKS5_S8_S8_S8_S8_ffiiiiiiiiiiiii,comdat
.Lfunc_end293:
	.size	_ZN5aiter35fused_qk_rmsnorm_group_quant_kernelIDF16_DB8_Li64ELi4ELi8ELb0ELb1ELb1ELb1ELb0ELb0EEEvPT0_PvPT_S6_S6_PKS5_S8_S8_S8_S8_ffiiiiiiiiiiiii, .Lfunc_end293-_ZN5aiter35fused_qk_rmsnorm_group_quant_kernelIDF16_DB8_Li64ELi4ELi8ELb0ELb1ELb1ELb1ELb0ELb0EEEvPT0_PvPT_S6_S6_PKS5_S8_S8_S8_S8_ffiiiiiiiiiiiii
                                        ; -- End function
	.section	.AMDGPU.csdata,"",@progbits
; Kernel info:
; codeLenInByte = 1572
; NumSgprs: 36
; NumVgprs: 17
; NumAgprs: 0
; TotalNumVgprs: 17
; ScratchSize: 0
; MemoryBound: 0
; FloatMode: 240
; IeeeMode: 1
; LDSByteSize: 0 bytes/workgroup (compile time only)
; SGPRBlocks: 4
; VGPRBlocks: 2
; NumSGPRsForWavesPerEU: 36
; NumVGPRsForWavesPerEU: 17
; AccumOffset: 20
; Occupancy: 8
; WaveLimiterHint : 0
; COMPUTE_PGM_RSRC2:SCRATCH_EN: 0
; COMPUTE_PGM_RSRC2:USER_SGPR: 6
; COMPUTE_PGM_RSRC2:TRAP_HANDLER: 0
; COMPUTE_PGM_RSRC2:TGID_X_EN: 1
; COMPUTE_PGM_RSRC2:TGID_Y_EN: 1
; COMPUTE_PGM_RSRC2:TGID_Z_EN: 0
; COMPUTE_PGM_RSRC2:TIDIG_COMP_CNT: 0
; COMPUTE_PGM_RSRC3_GFX90A:ACCUM_OFFSET: 4
; COMPUTE_PGM_RSRC3_GFX90A:TG_SPLIT: 0
	.section	.text._ZN5aiter35fused_qk_rmsnorm_group_quant_kernelItDB8_Li64ELi4ELi8ELb0ELb1ELb1ELb1ELb0ELb0EEEvPT0_PvPT_S6_S6_PKS5_S8_S8_S8_S8_ffiiiiiiiiiiiii,"axG",@progbits,_ZN5aiter35fused_qk_rmsnorm_group_quant_kernelItDB8_Li64ELi4ELi8ELb0ELb1ELb1ELb1ELb0ELb0EEEvPT0_PvPT_S6_S6_PKS5_S8_S8_S8_S8_ffiiiiiiiiiiiii,comdat
	.protected	_ZN5aiter35fused_qk_rmsnorm_group_quant_kernelItDB8_Li64ELi4ELi8ELb0ELb1ELb1ELb1ELb0ELb0EEEvPT0_PvPT_S6_S6_PKS5_S8_S8_S8_S8_ffiiiiiiiiiiiii ; -- Begin function _ZN5aiter35fused_qk_rmsnorm_group_quant_kernelItDB8_Li64ELi4ELi8ELb0ELb1ELb1ELb1ELb0ELb0EEEvPT0_PvPT_S6_S6_PKS5_S8_S8_S8_S8_ffiiiiiiiiiiiii
	.globl	_ZN5aiter35fused_qk_rmsnorm_group_quant_kernelItDB8_Li64ELi4ELi8ELb0ELb1ELb1ELb1ELb0ELb0EEEvPT0_PvPT_S6_S6_PKS5_S8_S8_S8_S8_ffiiiiiiiiiiiii
	.p2align	8
	.type	_ZN5aiter35fused_qk_rmsnorm_group_quant_kernelItDB8_Li64ELi4ELi8ELb0ELb1ELb1ELb1ELb0ELb0EEEvPT0_PvPT_S6_S6_PKS5_S8_S8_S8_S8_ffiiiiiiiiiiiii,@function
_ZN5aiter35fused_qk_rmsnorm_group_quant_kernelItDB8_Li64ELi4ELi8ELb0ELb1ELb1ELb1ELb0ELb0EEEvPT0_PvPT_S6_S6_PKS5_S8_S8_S8_S8_ffiiiiiiiiiiiii: ; @_ZN5aiter35fused_qk_rmsnorm_group_quant_kernelItDB8_Li64ELi4ELi8ELb0ELb1ELb1ELb1ELb0ELb0EEEvPT0_PvPT_S6_S6_PKS5_S8_S8_S8_S8_ffiiiiiiiiiiiii
; %bb.0:
	s_load_dwordx4 s[12:15], s[4:5], 0x50
	s_waitcnt lgkmcnt(0)
	s_cmp_ge_i32 s6, s14
	s_cbranch_scc1 .LBB294_8
; %bb.1:
	s_load_dwordx2 s[24:25], s[4:5], 0x30
	s_load_dwordx2 s[8:9], s[4:5], 0x48
	s_load_dwordx4 s[16:19], s[4:5], 0x60
	s_cmp_lg_u32 s7, 0
	s_cselect_b64 s[10:11], -1, 0
	s_cmp_eq_u32 s7, 0
	s_cselect_b64 vcc, -1, 0
	s_and_b64 s[0:1], vcc, exec
	s_waitcnt lgkmcnt(0)
	s_cselect_b32 s7, s15, s16
	s_add_i32 s0, s7, 1
	s_lshr_b32 s1, s0, 31
	s_add_i32 s0, s0, s1
	s_lshl_b32 s0, s0, 1
	v_lshlrev_b32_e32 v1, 2, v0
	s_and_b32 s22, s0, -4
	v_cmp_gt_i32_e64 s[0:1], s7, v1
	v_mov_b32_e32 v6, 0
	v_mov_b32_e32 v7, 0
	;; [unrolled: 1-line block ×4, first 2 shown]
	s_and_saveexec_b64 s[2:3], s[0:1]
	s_cbranch_execz .LBB294_3
; %bb.2:
	s_load_dwordx2 s[14:15], s[4:5], 0x28
	s_load_dwordx2 s[20:21], s[4:5], 0x40
	s_and_b64 s[26:27], vcc, exec
	s_cselect_b32 s17, s17, s18
	v_lshlrev_b32_e32 v4, 3, v0
	s_waitcnt lgkmcnt(0)
	s_cselect_b32 s19, s15, s25
	s_cselect_b32 s23, s14, s24
	s_mul_hi_i32 s15, s17, s6
	s_mul_i32 s14, s17, s6
	s_lshl_b64 s[14:15], s[14:15], 1
	s_add_u32 s28, s23, s14
	s_addc_u32 s17, s19, s15
	s_and_b64 s[14:15], vcc, exec
	s_mov_b32 s23, 0x20000
	s_cselect_b32 s20, s20, s8
	s_cselect_b32 s14, s21, s9
	s_and_b32 s29, s17, 0xffff
	s_mov_b32 s30, s22
	s_mov_b32 s31, s23
	s_and_b32 s21, s14, 0xffff
	buffer_load_dwordx2 v[2:3], v4, s[28:31], 0 offen glc slc
	buffer_load_dwordx2 v[6:7], v4, s[20:23], 0 offen
.LBB294_3:
	s_or_b64 exec, exec, s[2:3]
	s_waitcnt vmcnt(1)
	v_cvt_f32_u32_sdwa v5, v3 dst_sel:DWORD dst_unused:UNUSED_PAD src0_sel:WORD_0
	v_cvt_f32_u32_sdwa v8, v2 dst_sel:DWORD dst_unused:UNUSED_PAD src0_sel:WORD_1
	v_cvt_f32_u32_sdwa v4, v3 dst_sel:DWORD dst_unused:UNUSED_PAD src0_sel:WORD_1
	v_cvt_f32_u32_sdwa v9, v2 dst_sel:DWORD dst_unused:UNUSED_PAD src0_sel:WORD_0
	v_cndmask_b32_e64 v2, 0, v5, s[0:1]
	v_cndmask_b32_e64 v5, 0, v8, s[0:1]
	;; [unrolled: 1-line block ×4, first 2 shown]
	v_mul_f32_e32 v8, v5, v5
	v_fmac_f32_e32 v8, v4, v4
	v_fmac_f32_e32 v8, v2, v2
	;; [unrolled: 1-line block ×3, first 2 shown]
	v_bfrev_b32_e32 v10, 0.5
	s_load_dwordx2 s[2:3], s[4:5], 0x18
	v_mov_b32_dpp v9, v8 quad_perm:[1,0,3,2] row_mask:0xf bank_mask:0xf
	v_add_f32_e32 v8, v8, v9
	s_nop 1
	v_mov_b32_dpp v9, v8 quad_perm:[2,3,0,1] row_mask:0xf bank_mask:0xf
	v_add_f32_e32 v8, v8, v9
	s_nop 1
	v_mov_b32_dpp v9, v8 row_half_mirror row_mask:0xf bank_mask:0xf
	v_add_f32_e32 v8, v8, v9
	s_nop 1
	v_mov_b32_dpp v9, v8 row_mirror row_mask:0xf bank_mask:0xf
	v_add_f32_e32 v8, v8, v9
	s_nop 1
	v_mov_b32_dpp v9, v8 row_bcast:15 row_mask:0xf bank_mask:0xf
	v_add_f32_e32 v8, v8, v9
	s_nop 1
	v_mov_b32_dpp v9, v8 row_bcast:31 row_mask:0xf bank_mask:0xf
	v_add_f32_e32 v9, v8, v9
	v_mbcnt_lo_u32_b32 v8, -1, 0
	v_mbcnt_hi_u32_b32 v8, -1, v8
	v_lshl_or_b32 v8, v8, 2, v10
	ds_bpermute_b32 v9, v8, v9
	s_and_saveexec_b64 s[14:15], s[0:1]
	s_cbranch_execz .LBB294_5
; %bb.4:
	v_cvt_f32_u32_e32 v10, s7
	v_mov_b32_e32 v11, s13
	v_mov_b32_e32 v12, s12
	v_cndmask_b32_e32 v11, v11, v12, vcc
	s_waitcnt lgkmcnt(0)
	v_div_scale_f32 v13, s[20:21], v10, v10, v9
	v_rcp_f32_e32 v14, v13
	v_div_scale_f32 v12, vcc, v9, v10, v9
	s_mov_b32 s7, 0x800000
	v_fma_f32 v15, -v13, v14, 1.0
	v_fmac_f32_e32 v14, v15, v14
	v_mul_f32_e32 v15, v12, v14
	v_fma_f32 v16, -v13, v15, v12
	v_fmac_f32_e32 v15, v16, v14
	v_fma_f32 v12, -v13, v15, v12
	v_div_fmas_f32 v12, v12, v14, v15
	v_div_fixup_f32 v9, v12, v10, v9
	v_add_f32_e32 v9, v11, v9
	v_mul_f32_e32 v10, 0x4b800000, v9
	v_cmp_gt_f32_e32 vcc, s7, v9
	v_cndmask_b32_e32 v9, v9, v10, vcc
	v_rsq_f32_e32 v9, v9
	s_waitcnt vmcnt(0)
	v_cvt_f32_u32_sdwa v13, v6 dst_sel:DWORD dst_unused:UNUSED_PAD src0_sel:WORD_1
	v_cvt_f32_u32_sdwa v12, v6 dst_sel:DWORD dst_unused:UNUSED_PAD src0_sel:WORD_0
	v_cvt_f32_u32_sdwa v15, v7 dst_sel:DWORD dst_unused:UNUSED_PAD src0_sel:WORD_1
	v_cvt_f32_u32_sdwa v14, v7 dst_sel:DWORD dst_unused:UNUSED_PAD src0_sel:WORD_0
	v_mul_f32_e32 v10, 0x45800000, v9
	v_cndmask_b32_e32 v10, v9, v10, vcc
	v_mov_b32_e32 v11, v10
	;;#ASMSTART
	v_pk_mul_f32 v[4:5], v[4:5], v[10:11]
	;;#ASMEND
	;;#ASMSTART
	v_pk_mul_f32 v[2:3], v[2:3], v[10:11]
	;;#ASMEND
	v_pk_add_f32 v[6:7], v[12:13], 1.0 op_sel_hi:[1,0]
	;;#ASMSTART
	v_pk_mul_f32 v[4:5], v[4:5], v[6:7]
	;;#ASMEND
	v_pk_add_f32 v[6:7], v[14:15], 1.0 op_sel_hi:[1,0]
	;;#ASMSTART
	v_pk_mul_f32 v[2:3], v[2:3], v[6:7]
	;;#ASMEND
.LBB294_5:
	s_or_b64 exec, exec, s[14:15]
	s_load_dwordx2 s[14:15], s[4:5], 0x7c
	s_mov_b64 s[20:21], -1
	s_and_b64 vcc, exec, s[10:11]
	s_cbranch_vccnz .LBB294_9
; %bb.6:
	s_andn2_b64 vcc, exec, s[20:21]
	s_cbranch_vccz .LBB294_12
.LBB294_7:
	s_cmp_lt_i32 s16, 1
	s_cbranch_scc0 .LBB294_15
.LBB294_8:
	s_endpgm
.LBB294_9:
	s_and_saveexec_b64 s[10:11], s[0:1]
	s_cbranch_execz .LBB294_11
; %bb.10:
	s_waitcnt lgkmcnt(0)
	s_mul_hi_i32 s21, s15, s6
	s_mul_i32 s20, s15, s6
	s_lshl_b64 s[20:21], s[20:21], 1
	s_add_u32 s20, s2, s20
	s_addc_u32 s7, s3, s21
	s_and_b32 s21, s7, 0xffff
	s_mov_b32 s7, 0x7060302
	s_mov_b32 s23, 0x20000
	s_waitcnt vmcnt(0)
	v_perm_b32 v6, v5, v4, s7
	v_perm_b32 v7, v3, v2, s7
	v_lshlrev_b32_e32 v9, 3, v0
	buffer_store_dwordx2 v[6:7], v9, s[20:23], 0 offen
	;;#ASMSTART
	s_nop 0
	;;#ASMEND
.LBB294_11:
	s_or_b64 exec, exec, s[10:11]
	s_cbranch_execnz .LBB294_7
.LBB294_12:
	s_and_saveexec_b64 s[10:11], s[0:1]
	s_cbranch_execz .LBB294_14
; %bb.13:
	s_load_dwordx2 s[0:1], s[4:5], 0x10
	s_waitcnt lgkmcnt(0)
	s_mul_hi_i32 s21, s14, s6
	s_mul_i32 s20, s14, s6
	s_lshl_b64 s[20:21], s[20:21], 1
	s_mov_b32 s23, 0x20000
	s_add_u32 s20, s0, s20
	s_addc_u32 s0, s1, s21
	s_and_b32 s21, s0, 0xffff
	s_mov_b32 s0, 0x7060302
	v_perm_b32 v4, v5, v4, s0
	v_perm_b32 v5, v3, v2, s0
	v_lshlrev_b32_e32 v2, 3, v0
	buffer_store_dwordx2 v[4:5], v2, s[20:23], 0 offen
	;;#ASMSTART
	s_nop 0
	;;#ASMEND
.LBB294_14:
	s_or_b64 exec, exec, s[10:11]
	s_cmp_lt_i32 s16, 1
	s_cbranch_scc1 .LBB294_8
.LBB294_15:
	s_load_dword s0, s[4:5], 0x94
	s_waitcnt lgkmcnt(0)
	s_cmp_lg_u32 s0, 1
	s_cbranch_scc1 .LBB294_8
; %bb.16:
	s_lshl_b32 s0, s16, 1
	s_add_i32 s0, s0, 2
	v_cmp_gt_u32_e32 vcc, s16, v1
	s_and_b32 s10, s0, -4
	v_mov_b32_e32 v2, 0
	s_waitcnt vmcnt(0)
	v_lshlrev_b32_e32 v6, 3, v0
	v_mov_b32_e32 v3, 0
	v_mov_b32_e32 v0, 0
	;; [unrolled: 1-line block ×3, first 2 shown]
	s_barrier
	s_and_saveexec_b64 s[0:1], vcc
	s_cbranch_execz .LBB294_18
; %bb.17:
	s_mul_hi_i32 s5, s18, s6
	s_mul_i32 s4, s18, s6
	s_and_b32 s9, s9, 0xffff
	s_lshl_b64 s[4:5], s[4:5], 1
	s_add_u32 s20, s24, s4
	s_mov_b32 s11, 0x20000
	s_addc_u32 s4, s25, s5
	s_and_b32 s21, s4, 0xffff
	s_mov_b32 s22, s10
	s_mov_b32 s23, s11
	buffer_load_dwordx2 v[2:3], v6, s[20:23], 0 offen glc slc
	buffer_load_dwordx2 v[0:1], v6, s[8:11], 0 offen
.LBB294_18:
	s_or_b64 exec, exec, s[0:1]
	s_waitcnt vmcnt(1)
	v_cvt_f32_u32_sdwa v5, v3 dst_sel:DWORD dst_unused:UNUSED_PAD src0_sel:WORD_0
	v_cvt_f32_u32_sdwa v7, v2 dst_sel:DWORD dst_unused:UNUSED_PAD src0_sel:WORD_1
	v_cvt_f32_u32_sdwa v4, v3 dst_sel:DWORD dst_unused:UNUSED_PAD src0_sel:WORD_1
	v_cvt_f32_u32_sdwa v9, v2 dst_sel:DWORD dst_unused:UNUSED_PAD src0_sel:WORD_0
	v_cndmask_b32_e32 v2, 0, v5, vcc
	v_cndmask_b32_e32 v5, 0, v7, vcc
	;; [unrolled: 1-line block ×4, first 2 shown]
	v_mul_f32_e32 v7, v5, v5
	v_fmac_f32_e32 v7, v4, v4
	v_fmac_f32_e32 v7, v2, v2
	;; [unrolled: 1-line block ×3, first 2 shown]
	s_nop 1
	v_mov_b32_dpp v9, v7 quad_perm:[1,0,3,2] row_mask:0xf bank_mask:0xf
	v_add_f32_e32 v7, v7, v9
	s_nop 1
	v_mov_b32_dpp v9, v7 quad_perm:[2,3,0,1] row_mask:0xf bank_mask:0xf
	v_add_f32_e32 v7, v7, v9
	s_nop 1
	v_mov_b32_dpp v9, v7 row_half_mirror row_mask:0xf bank_mask:0xf
	v_add_f32_e32 v7, v7, v9
	s_nop 1
	v_mov_b32_dpp v9, v7 row_mirror row_mask:0xf bank_mask:0xf
	v_add_f32_e32 v7, v7, v9
	s_nop 1
	v_mov_b32_dpp v9, v7 row_bcast:15 row_mask:0xf bank_mask:0xf
	v_add_f32_e32 v7, v7, v9
	s_nop 1
	v_mov_b32_dpp v9, v7 row_bcast:31 row_mask:0xf bank_mask:0xf
	v_add_f32_e32 v7, v7, v9
	ds_bpermute_b32 v7, v8, v7
	s_and_saveexec_b64 s[0:1], vcc
	s_cbranch_execz .LBB294_8
; %bb.19:
	v_cvt_f32_u32_e32 v8, s16
	s_mov_b32 s11, 0x20000
	s_waitcnt lgkmcnt(0)
	v_div_scale_f32 v9, s[0:1], v8, v8, v7
	v_rcp_f32_e32 v10, v9
	v_div_scale_f32 v11, vcc, v7, v8, v7
	s_mov_b32 s0, 0x800000
	v_fma_f32 v12, -v9, v10, 1.0
	v_fmac_f32_e32 v10, v12, v10
	v_mul_f32_e32 v12, v11, v10
	v_fma_f32 v13, -v9, v12, v11
	v_fmac_f32_e32 v12, v13, v10
	v_fma_f32 v9, -v9, v12, v11
	v_div_fmas_f32 v9, v9, v10, v12
	v_div_fixup_f32 v7, v9, v8, v7
	v_add_f32_e32 v7, s13, v7
	v_mul_f32_e32 v8, 0x4b800000, v7
	v_cmp_gt_f32_e32 vcc, s0, v7
	v_cndmask_b32_e32 v7, v7, v8, vcc
	v_rsq_f32_e32 v7, v7
	s_waitcnt vmcnt(0)
	v_cvt_f32_u32_sdwa v9, v0 dst_sel:DWORD dst_unused:UNUSED_PAD src0_sel:WORD_1
	v_cvt_f32_u32_sdwa v8, v0 dst_sel:DWORD dst_unused:UNUSED_PAD src0_sel:WORD_0
	s_mul_hi_i32 s1, s15, s6
	s_mul_i32 s0, s15, s6
	v_cvt_f32_u32_sdwa v11, v1 dst_sel:DWORD dst_unused:UNUSED_PAD src0_sel:WORD_1
	v_mul_f32_e32 v0, 0x45800000, v7
	v_cvt_f32_u32_sdwa v10, v1 dst_sel:DWORD dst_unused:UNUSED_PAD src0_sel:WORD_0
	s_lshl_b64 s[0:1], s[0:1], 1
	v_cndmask_b32_e32 v12, v7, v0, vcc
	s_add_u32 s8, s2, s0
	v_mov_b32_e32 v13, v12
	;;#ASMSTART
	v_pk_mul_f32 v[4:5], v[4:5], v[12:13]
	;;#ASMEND
	;;#ASMSTART
	v_pk_mul_f32 v[0:1], v[2:3], v[12:13]
	;;#ASMEND
	v_pk_add_f32 v[2:3], v[8:9], 1.0 op_sel_hi:[1,0]
	s_addc_u32 s0, s3, s1
	;;#ASMSTART
	v_pk_mul_f32 v[2:3], v[4:5], v[2:3]
	;;#ASMEND
	s_and_b32 s9, s0, 0xffff
	s_mov_b32 s0, 0x7060302
	v_pk_add_f32 v[4:5], v[10:11], 1.0 op_sel_hi:[1,0]
	;;#ASMSTART
	v_pk_mul_f32 v[0:1], v[0:1], v[4:5]
	;;#ASMEND
	v_perm_b32 v2, v3, v2, s0
	v_perm_b32 v3, v1, v0, s0
	buffer_store_dwordx2 v[2:3], v6, s[8:11], 0 offen
	;;#ASMSTART
	s_nop 0
	;;#ASMEND
	s_endpgm
	.section	.rodata,"a",@progbits
	.p2align	6, 0x0
	.amdhsa_kernel _ZN5aiter35fused_qk_rmsnorm_group_quant_kernelItDB8_Li64ELi4ELi8ELb0ELb1ELb1ELb1ELb0ELb0EEEvPT0_PvPT_S6_S6_PKS5_S8_S8_S8_S8_ffiiiiiiiiiiiii
		.amdhsa_group_segment_fixed_size 0
		.amdhsa_private_segment_fixed_size 0
		.amdhsa_kernarg_size 400
		.amdhsa_user_sgpr_count 6
		.amdhsa_user_sgpr_private_segment_buffer 1
		.amdhsa_user_sgpr_dispatch_ptr 0
		.amdhsa_user_sgpr_queue_ptr 0
		.amdhsa_user_sgpr_kernarg_segment_ptr 1
		.amdhsa_user_sgpr_dispatch_id 0
		.amdhsa_user_sgpr_flat_scratch_init 0
		.amdhsa_user_sgpr_kernarg_preload_length 0
		.amdhsa_user_sgpr_kernarg_preload_offset 0
		.amdhsa_user_sgpr_private_segment_size 0
		.amdhsa_uses_dynamic_stack 0
		.amdhsa_system_sgpr_private_segment_wavefront_offset 0
		.amdhsa_system_sgpr_workgroup_id_x 1
		.amdhsa_system_sgpr_workgroup_id_y 1
		.amdhsa_system_sgpr_workgroup_id_z 0
		.amdhsa_system_sgpr_workgroup_info 0
		.amdhsa_system_vgpr_workitem_id 0
		.amdhsa_next_free_vgpr 17
		.amdhsa_next_free_sgpr 32
		.amdhsa_accum_offset 20
		.amdhsa_reserve_vcc 1
		.amdhsa_reserve_flat_scratch 0
		.amdhsa_float_round_mode_32 0
		.amdhsa_float_round_mode_16_64 0
		.amdhsa_float_denorm_mode_32 3
		.amdhsa_float_denorm_mode_16_64 3
		.amdhsa_dx10_clamp 1
		.amdhsa_ieee_mode 1
		.amdhsa_fp16_overflow 0
		.amdhsa_tg_split 0
		.amdhsa_exception_fp_ieee_invalid_op 0
		.amdhsa_exception_fp_denorm_src 0
		.amdhsa_exception_fp_ieee_div_zero 0
		.amdhsa_exception_fp_ieee_overflow 0
		.amdhsa_exception_fp_ieee_underflow 0
		.amdhsa_exception_fp_ieee_inexact 0
		.amdhsa_exception_int_div_zero 0
	.end_amdhsa_kernel
	.section	.text._ZN5aiter35fused_qk_rmsnorm_group_quant_kernelItDB8_Li64ELi4ELi8ELb0ELb1ELb1ELb1ELb0ELb0EEEvPT0_PvPT_S6_S6_PKS5_S8_S8_S8_S8_ffiiiiiiiiiiiii,"axG",@progbits,_ZN5aiter35fused_qk_rmsnorm_group_quant_kernelItDB8_Li64ELi4ELi8ELb0ELb1ELb1ELb1ELb0ELb0EEEvPT0_PvPT_S6_S6_PKS5_S8_S8_S8_S8_ffiiiiiiiiiiiii,comdat
.Lfunc_end294:
	.size	_ZN5aiter35fused_qk_rmsnorm_group_quant_kernelItDB8_Li64ELi4ELi8ELb0ELb1ELb1ELb1ELb0ELb0EEEvPT0_PvPT_S6_S6_PKS5_S8_S8_S8_S8_ffiiiiiiiiiiiii, .Lfunc_end294-_ZN5aiter35fused_qk_rmsnorm_group_quant_kernelItDB8_Li64ELi4ELi8ELb0ELb1ELb1ELb1ELb0ELb0EEEvPT0_PvPT_S6_S6_PKS5_S8_S8_S8_S8_ffiiiiiiiiiiiii
                                        ; -- End function
	.section	.AMDGPU.csdata,"",@progbits
; Kernel info:
; codeLenInByte = 1580
; NumSgprs: 36
; NumVgprs: 17
; NumAgprs: 0
; TotalNumVgprs: 17
; ScratchSize: 0
; MemoryBound: 0
; FloatMode: 240
; IeeeMode: 1
; LDSByteSize: 0 bytes/workgroup (compile time only)
; SGPRBlocks: 4
; VGPRBlocks: 2
; NumSGPRsForWavesPerEU: 36
; NumVGPRsForWavesPerEU: 17
; AccumOffset: 20
; Occupancy: 8
; WaveLimiterHint : 0
; COMPUTE_PGM_RSRC2:SCRATCH_EN: 0
; COMPUTE_PGM_RSRC2:USER_SGPR: 6
; COMPUTE_PGM_RSRC2:TRAP_HANDLER: 0
; COMPUTE_PGM_RSRC2:TGID_X_EN: 1
; COMPUTE_PGM_RSRC2:TGID_Y_EN: 1
; COMPUTE_PGM_RSRC2:TGID_Z_EN: 0
; COMPUTE_PGM_RSRC2:TIDIG_COMP_CNT: 0
; COMPUTE_PGM_RSRC3_GFX90A:ACCUM_OFFSET: 4
; COMPUTE_PGM_RSRC3_GFX90A:TG_SPLIT: 0
	.section	.text._ZN5aiter35fused_qk_rmsnorm_group_quant_kernelIDF16_DB8_Li64ELi4ELi8ELb0ELb1ELb0ELb1ELb0ELb0EEEvPT0_PvPT_S6_S6_PKS5_S8_S8_S8_S8_ffiiiiiiiiiiiii,"axG",@progbits,_ZN5aiter35fused_qk_rmsnorm_group_quant_kernelIDF16_DB8_Li64ELi4ELi8ELb0ELb1ELb0ELb1ELb0ELb0EEEvPT0_PvPT_S6_S6_PKS5_S8_S8_S8_S8_ffiiiiiiiiiiiii,comdat
	.protected	_ZN5aiter35fused_qk_rmsnorm_group_quant_kernelIDF16_DB8_Li64ELi4ELi8ELb0ELb1ELb0ELb1ELb0ELb0EEEvPT0_PvPT_S6_S6_PKS5_S8_S8_S8_S8_ffiiiiiiiiiiiii ; -- Begin function _ZN5aiter35fused_qk_rmsnorm_group_quant_kernelIDF16_DB8_Li64ELi4ELi8ELb0ELb1ELb0ELb1ELb0ELb0EEEvPT0_PvPT_S6_S6_PKS5_S8_S8_S8_S8_ffiiiiiiiiiiiii
	.globl	_ZN5aiter35fused_qk_rmsnorm_group_quant_kernelIDF16_DB8_Li64ELi4ELi8ELb0ELb1ELb0ELb1ELb0ELb0EEEvPT0_PvPT_S6_S6_PKS5_S8_S8_S8_S8_ffiiiiiiiiiiiii
	.p2align	8
	.type	_ZN5aiter35fused_qk_rmsnorm_group_quant_kernelIDF16_DB8_Li64ELi4ELi8ELb0ELb1ELb0ELb1ELb0ELb0EEEvPT0_PvPT_S6_S6_PKS5_S8_S8_S8_S8_ffiiiiiiiiiiiii,@function
_ZN5aiter35fused_qk_rmsnorm_group_quant_kernelIDF16_DB8_Li64ELi4ELi8ELb0ELb1ELb0ELb1ELb0ELb0EEEvPT0_PvPT_S6_S6_PKS5_S8_S8_S8_S8_ffiiiiiiiiiiiii: ; @_ZN5aiter35fused_qk_rmsnorm_group_quant_kernelIDF16_DB8_Li64ELi4ELi8ELb0ELb1ELb0ELb1ELb0ELb0EEEvPT0_PvPT_S6_S6_PKS5_S8_S8_S8_S8_ffiiiiiiiiiiiii
; %bb.0:
	s_load_dwordx4 s[12:15], s[4:5], 0x50
	s_waitcnt lgkmcnt(0)
	s_cmp_ge_i32 s6, s14
	s_cbranch_scc1 .LBB295_8
; %bb.1:
	s_load_dwordx2 s[24:25], s[4:5], 0x30
	s_load_dwordx2 s[8:9], s[4:5], 0x48
	s_load_dwordx4 s[16:19], s[4:5], 0x60
	s_cmp_lg_u32 s7, 0
	s_cselect_b64 s[10:11], -1, 0
	s_cmp_eq_u32 s7, 0
	s_cselect_b64 vcc, -1, 0
	s_and_b64 s[0:1], vcc, exec
	s_waitcnt lgkmcnt(0)
	s_cselect_b32 s7, s15, s16
	s_add_i32 s0, s7, 1
	s_lshr_b32 s1, s0, 31
	s_add_i32 s0, s0, s1
	s_lshl_b32 s0, s0, 1
	v_lshlrev_b32_e32 v1, 2, v0
	s_and_b32 s22, s0, -4
	v_cmp_gt_i32_e64 s[0:1], s7, v1
	v_mov_b32_e32 v6, 0
	v_mov_b32_e32 v7, 0
	v_mov_b32_e32 v2, 0
	v_mov_b32_e32 v3, 0
	s_and_saveexec_b64 s[2:3], s[0:1]
	s_cbranch_execz .LBB295_3
; %bb.2:
	s_load_dwordx2 s[14:15], s[4:5], 0x28
	s_load_dwordx2 s[20:21], s[4:5], 0x40
	s_and_b64 s[26:27], vcc, exec
	s_cselect_b32 s17, s17, s18
	v_lshlrev_b32_e32 v4, 3, v0
	s_waitcnt lgkmcnt(0)
	s_cselect_b32 s19, s15, s25
	s_cselect_b32 s23, s14, s24
	s_mul_hi_i32 s15, s17, s6
	s_mul_i32 s14, s17, s6
	s_lshl_b64 s[14:15], s[14:15], 1
	s_add_u32 s28, s23, s14
	s_addc_u32 s17, s19, s15
	s_and_b64 s[14:15], vcc, exec
	s_mov_b32 s23, 0x20000
	s_cselect_b32 s20, s20, s8
	s_cselect_b32 s14, s21, s9
	s_and_b32 s29, s17, 0xffff
	s_mov_b32 s30, s22
	s_mov_b32 s31, s23
	s_and_b32 s21, s14, 0xffff
	buffer_load_dwordx2 v[2:3], v4, s[28:31], 0 offen glc slc
	buffer_load_dwordx2 v[6:7], v4, s[20:23], 0 offen
.LBB295_3:
	s_or_b64 exec, exec, s[2:3]
	s_waitcnt vmcnt(1)
	v_cvt_f32_f16_e32 v4, v3
	v_cvt_f32_f16_e32 v5, v2
	v_cvt_f32_f16_sdwa v3, v3 dst_sel:DWORD dst_unused:UNUSED_PAD src0_sel:WORD_1
	v_cvt_f32_f16_sdwa v8, v2 dst_sel:DWORD dst_unused:UNUSED_PAD src0_sel:WORD_1
	v_cndmask_b32_e64 v4, 0, v4, s[0:1]
	v_cndmask_b32_e64 v2, 0, v5, s[0:1]
	;; [unrolled: 1-line block ×4, first 2 shown]
	v_mul_f32_e32 v8, v3, v3
	v_fmac_f32_e32 v8, v2, v2
	v_fmac_f32_e32 v8, v4, v4
	;; [unrolled: 1-line block ×3, first 2 shown]
	v_bfrev_b32_e32 v10, 0.5
	s_load_dwordx2 s[2:3], s[4:5], 0x18
	v_mov_b32_dpp v9, v8 quad_perm:[1,0,3,2] row_mask:0xf bank_mask:0xf
	v_add_f32_e32 v8, v8, v9
	s_nop 1
	v_mov_b32_dpp v9, v8 quad_perm:[2,3,0,1] row_mask:0xf bank_mask:0xf
	v_add_f32_e32 v8, v8, v9
	s_nop 1
	v_mov_b32_dpp v9, v8 row_half_mirror row_mask:0xf bank_mask:0xf
	v_add_f32_e32 v8, v8, v9
	s_nop 1
	v_mov_b32_dpp v9, v8 row_mirror row_mask:0xf bank_mask:0xf
	v_add_f32_e32 v8, v8, v9
	s_nop 1
	v_mov_b32_dpp v9, v8 row_bcast:15 row_mask:0xf bank_mask:0xf
	v_add_f32_e32 v8, v8, v9
	s_nop 1
	v_mov_b32_dpp v9, v8 row_bcast:31 row_mask:0xf bank_mask:0xf
	v_add_f32_e32 v9, v8, v9
	v_mbcnt_lo_u32_b32 v8, -1, 0
	v_mbcnt_hi_u32_b32 v8, -1, v8
	v_lshl_or_b32 v8, v8, 2, v10
	ds_bpermute_b32 v9, v8, v9
	s_and_saveexec_b64 s[14:15], s[0:1]
	s_cbranch_execz .LBB295_5
; %bb.4:
	v_cvt_f32_u32_e32 v10, s7
	v_mov_b32_e32 v11, s13
	v_mov_b32_e32 v12, s12
	v_cndmask_b32_e32 v11, v11, v12, vcc
	s_waitcnt lgkmcnt(0)
	v_div_scale_f32 v13, s[20:21], v10, v10, v9
	v_rcp_f32_e32 v14, v13
	v_div_scale_f32 v12, vcc, v9, v10, v9
	s_mov_b32 s7, 0x800000
	v_fma_f32 v15, -v13, v14, 1.0
	v_fmac_f32_e32 v14, v15, v14
	v_mul_f32_e32 v15, v12, v14
	v_fma_f32 v16, -v13, v15, v12
	v_fmac_f32_e32 v15, v16, v14
	v_fma_f32 v12, -v13, v15, v12
	v_div_fmas_f32 v12, v12, v14, v15
	v_div_fixup_f32 v9, v12, v10, v9
	v_add_f32_e32 v9, v11, v9
	v_mul_f32_e32 v10, 0x4b800000, v9
	v_cmp_gt_f32_e32 vcc, s7, v9
	v_cndmask_b32_e32 v9, v9, v10, vcc
	v_rsq_f32_e32 v9, v9
	s_waitcnt vmcnt(0)
	v_cvt_f32_f16_sdwa v13, v6 dst_sel:DWORD dst_unused:UNUSED_PAD src0_sel:WORD_1
	v_cvt_f32_f16_e32 v12, v6
	v_cvt_f32_f16_sdwa v15, v7 dst_sel:DWORD dst_unused:UNUSED_PAD src0_sel:WORD_1
	v_mul_f32_e32 v10, 0x45800000, v9
	v_cndmask_b32_e32 v10, v9, v10, vcc
	v_mov_b32_e32 v11, v10
	;;#ASMSTART
	v_pk_mul_f32 v[2:3], v[2:3], v[10:11]
	;;#ASMEND
	;;#ASMSTART
	v_pk_mul_f32 v[4:5], v[4:5], v[10:11]
	;;#ASMEND
	v_cvt_f32_f16_e32 v14, v7
	;;#ASMSTART
	v_pk_mul_f32 v[2:3], v[2:3], v[12:13]
	;;#ASMEND
	;;#ASMSTART
	v_pk_mul_f32 v[4:5], v[4:5], v[14:15]
	;;#ASMEND
.LBB295_5:
	s_or_b64 exec, exec, s[14:15]
	s_load_dwordx2 s[14:15], s[4:5], 0x7c
	s_mov_b64 s[20:21], -1
	s_and_b64 vcc, exec, s[10:11]
	s_cbranch_vccnz .LBB295_9
; %bb.6:
	s_andn2_b64 vcc, exec, s[20:21]
	s_cbranch_vccz .LBB295_12
.LBB295_7:
	s_cmp_lt_i32 s16, 1
	s_cbranch_scc0 .LBB295_15
.LBB295_8:
	s_endpgm
.LBB295_9:
	s_and_saveexec_b64 s[10:11], s[0:1]
	s_cbranch_execz .LBB295_11
; %bb.10:
	s_waitcnt lgkmcnt(0)
	s_mul_hi_i32 s21, s15, s6
	s_mul_i32 s20, s15, s6
	s_waitcnt vmcnt(0)
	v_cvt_f16_f32_e32 v6, v2
	v_cvt_f16_f32_e32 v7, v4
	;; [unrolled: 1-line block ×4, first 2 shown]
	s_lshl_b64 s[20:21], s[20:21], 1
	s_add_u32 s20, s2, s20
	s_addc_u32 s7, s3, s21
	s_and_b32 s21, s7, 0xffff
	s_mov_b32 s23, 0x20000
	v_pack_b32_f16 v7, v7, v9
	v_pack_b32_f16 v6, v6, v10
	v_lshlrev_b32_e32 v9, 3, v0
	buffer_store_dwordx2 v[6:7], v9, s[20:23], 0 offen
	;;#ASMSTART
	s_nop 0
	;;#ASMEND
.LBB295_11:
	s_or_b64 exec, exec, s[10:11]
	s_cbranch_execnz .LBB295_7
.LBB295_12:
	s_and_saveexec_b64 s[10:11], s[0:1]
	s_cbranch_execz .LBB295_14
; %bb.13:
	s_load_dwordx2 s[0:1], s[4:5], 0x10
	s_waitcnt lgkmcnt(0)
	s_mul_hi_i32 s21, s14, s6
	s_mul_i32 s20, s14, s6
	v_cvt_f16_f32_e32 v2, v2
	v_cvt_f16_f32_e32 v4, v4
	;; [unrolled: 1-line block ×3, first 2 shown]
	s_waitcnt vmcnt(0)
	v_cvt_f16_f32_e32 v6, v3
	s_lshl_b64 s[20:21], s[20:21], 1
	s_add_u32 s20, s0, s20
	s_addc_u32 s0, s1, s21
	s_and_b32 s21, s0, 0xffff
	s_mov_b32 s23, 0x20000
	v_pack_b32_f16 v3, v4, v5
	v_pack_b32_f16 v2, v2, v6
	v_lshlrev_b32_e32 v4, 3, v0
	buffer_store_dwordx2 v[2:3], v4, s[20:23], 0 offen
	;;#ASMSTART
	s_nop 0
	;;#ASMEND
.LBB295_14:
	s_or_b64 exec, exec, s[10:11]
	s_cmp_lt_i32 s16, 1
	s_cbranch_scc1 .LBB295_8
.LBB295_15:
	s_load_dword s0, s[4:5], 0x94
	s_waitcnt lgkmcnt(0)
	s_cmp_lg_u32 s0, 1
	s_cbranch_scc1 .LBB295_8
; %bb.16:
	s_lshl_b32 s0, s16, 1
	s_add_i32 s0, s0, 2
	v_cmp_gt_u32_e32 vcc, s16, v1
	s_and_b32 s10, s0, -4
	v_mov_b32_e32 v2, 0
	s_waitcnt vmcnt(0)
	v_lshlrev_b32_e32 v6, 3, v0
	v_mov_b32_e32 v3, 0
	v_mov_b32_e32 v0, 0
	;; [unrolled: 1-line block ×3, first 2 shown]
	s_barrier
	s_and_saveexec_b64 s[0:1], vcc
	s_cbranch_execz .LBB295_18
; %bb.17:
	s_mul_hi_i32 s5, s18, s6
	s_mul_i32 s4, s18, s6
	s_and_b32 s9, s9, 0xffff
	s_lshl_b64 s[4:5], s[4:5], 1
	s_add_u32 s20, s24, s4
	s_mov_b32 s11, 0x20000
	s_addc_u32 s4, s25, s5
	s_and_b32 s21, s4, 0xffff
	s_mov_b32 s22, s10
	s_mov_b32 s23, s11
	buffer_load_dwordx2 v[2:3], v6, s[20:23], 0 offen glc slc
	buffer_load_dwordx2 v[0:1], v6, s[8:11], 0 offen
.LBB295_18:
	s_or_b64 exec, exec, s[0:1]
	s_waitcnt vmcnt(1)
	v_cvt_f32_f16_e32 v4, v3
	v_cvt_f32_f16_e32 v5, v2
	v_cvt_f32_f16_sdwa v7, v2 dst_sel:DWORD dst_unused:UNUSED_PAD src0_sel:WORD_1
	v_cvt_f32_f16_sdwa v3, v3 dst_sel:DWORD dst_unused:UNUSED_PAD src0_sel:WORD_1
	v_cndmask_b32_e32 v2, 0, v4, vcc
	v_cndmask_b32_e32 v4, 0, v5, vcc
	v_cndmask_b32_e32 v5, 0, v7, vcc
	v_mul_f32_e32 v7, v5, v5
	v_fmac_f32_e32 v7, v4, v4
	v_cndmask_b32_e32 v3, 0, v3, vcc
	v_fmac_f32_e32 v7, v2, v2
	v_fmac_f32_e32 v7, v3, v3
	s_nop 1
	v_mov_b32_dpp v9, v7 quad_perm:[1,0,3,2] row_mask:0xf bank_mask:0xf
	v_add_f32_e32 v7, v7, v9
	s_nop 1
	v_mov_b32_dpp v9, v7 quad_perm:[2,3,0,1] row_mask:0xf bank_mask:0xf
	v_add_f32_e32 v7, v7, v9
	s_nop 1
	v_mov_b32_dpp v9, v7 row_half_mirror row_mask:0xf bank_mask:0xf
	v_add_f32_e32 v7, v7, v9
	s_nop 1
	v_mov_b32_dpp v9, v7 row_mirror row_mask:0xf bank_mask:0xf
	v_add_f32_e32 v7, v7, v9
	s_nop 1
	v_mov_b32_dpp v9, v7 row_bcast:15 row_mask:0xf bank_mask:0xf
	v_add_f32_e32 v7, v7, v9
	s_nop 1
	v_mov_b32_dpp v9, v7 row_bcast:31 row_mask:0xf bank_mask:0xf
	v_add_f32_e32 v7, v7, v9
	ds_bpermute_b32 v7, v8, v7
	s_and_saveexec_b64 s[0:1], vcc
	s_cbranch_execz .LBB295_8
; %bb.19:
	v_cvt_f32_u32_e32 v8, s16
	s_mov_b32 s11, 0x20000
	s_waitcnt lgkmcnt(0)
	v_div_scale_f32 v9, s[0:1], v8, v8, v7
	v_rcp_f32_e32 v10, v9
	v_div_scale_f32 v11, vcc, v7, v8, v7
	s_mov_b32 s0, 0x800000
	v_fma_f32 v12, -v9, v10, 1.0
	v_fmac_f32_e32 v10, v12, v10
	v_mul_f32_e32 v12, v11, v10
	v_fma_f32 v13, -v9, v12, v11
	v_fmac_f32_e32 v12, v13, v10
	v_fma_f32 v9, -v9, v12, v11
	v_div_fmas_f32 v9, v9, v10, v12
	v_div_fixup_f32 v7, v9, v8, v7
	v_add_f32_e32 v7, s13, v7
	v_mul_f32_e32 v8, 0x4b800000, v7
	v_cmp_gt_f32_e32 vcc, s0, v7
	v_cndmask_b32_e32 v7, v7, v8, vcc
	v_rsq_f32_e32 v7, v7
	s_waitcnt vmcnt(0)
	v_cvt_f32_f16_sdwa v9, v0 dst_sel:DWORD dst_unused:UNUSED_PAD src0_sel:WORD_1
	v_cvt_f32_f16_e32 v8, v0
	v_cvt_f32_f16_sdwa v11, v1 dst_sel:DWORD dst_unused:UNUSED_PAD src0_sel:WORD_1
	v_mul_f32_e32 v0, 0x45800000, v7
	v_cndmask_b32_e32 v12, v7, v0, vcc
	v_mov_b32_e32 v13, v12
	v_cvt_f32_f16_e32 v10, v1
	;;#ASMSTART
	v_pk_mul_f32 v[0:1], v[4:5], v[12:13]
	;;#ASMEND
	;;#ASMSTART
	v_pk_mul_f32 v[2:3], v[2:3], v[12:13]
	;;#ASMEND
	;; [unrolled: 3-line block ×4, first 2 shown]
	s_mul_hi_i32 s1, s15, s6
	s_mul_i32 s0, s15, s6
	v_cvt_f16_f32_e32 v0, v0
	v_cvt_f16_f32_e32 v1, v1
	;; [unrolled: 1-line block ×4, first 2 shown]
	s_lshl_b64 s[0:1], s[0:1], 1
	s_add_u32 s8, s2, s0
	s_addc_u32 s0, s3, s1
	s_and_b32 s9, s0, 0xffff
	v_pack_b32_f16 v0, v0, v1
	v_pack_b32_f16 v1, v2, v3
	buffer_store_dwordx2 v[0:1], v6, s[8:11], 0 offen
	;;#ASMSTART
	s_nop 0
	;;#ASMEND
	s_endpgm
	.section	.rodata,"a",@progbits
	.p2align	6, 0x0
	.amdhsa_kernel _ZN5aiter35fused_qk_rmsnorm_group_quant_kernelIDF16_DB8_Li64ELi4ELi8ELb0ELb1ELb0ELb1ELb0ELb0EEEvPT0_PvPT_S6_S6_PKS5_S8_S8_S8_S8_ffiiiiiiiiiiiii
		.amdhsa_group_segment_fixed_size 0
		.amdhsa_private_segment_fixed_size 0
		.amdhsa_kernarg_size 400
		.amdhsa_user_sgpr_count 6
		.amdhsa_user_sgpr_private_segment_buffer 1
		.amdhsa_user_sgpr_dispatch_ptr 0
		.amdhsa_user_sgpr_queue_ptr 0
		.amdhsa_user_sgpr_kernarg_segment_ptr 1
		.amdhsa_user_sgpr_dispatch_id 0
		.amdhsa_user_sgpr_flat_scratch_init 0
		.amdhsa_user_sgpr_kernarg_preload_length 0
		.amdhsa_user_sgpr_kernarg_preload_offset 0
		.amdhsa_user_sgpr_private_segment_size 0
		.amdhsa_uses_dynamic_stack 0
		.amdhsa_system_sgpr_private_segment_wavefront_offset 0
		.amdhsa_system_sgpr_workgroup_id_x 1
		.amdhsa_system_sgpr_workgroup_id_y 1
		.amdhsa_system_sgpr_workgroup_id_z 0
		.amdhsa_system_sgpr_workgroup_info 0
		.amdhsa_system_vgpr_workitem_id 0
		.amdhsa_next_free_vgpr 17
		.amdhsa_next_free_sgpr 32
		.amdhsa_accum_offset 20
		.amdhsa_reserve_vcc 1
		.amdhsa_reserve_flat_scratch 0
		.amdhsa_float_round_mode_32 0
		.amdhsa_float_round_mode_16_64 0
		.amdhsa_float_denorm_mode_32 3
		.amdhsa_float_denorm_mode_16_64 3
		.amdhsa_dx10_clamp 1
		.amdhsa_ieee_mode 1
		.amdhsa_fp16_overflow 0
		.amdhsa_tg_split 0
		.amdhsa_exception_fp_ieee_invalid_op 0
		.amdhsa_exception_fp_denorm_src 0
		.amdhsa_exception_fp_ieee_div_zero 0
		.amdhsa_exception_fp_ieee_overflow 0
		.amdhsa_exception_fp_ieee_underflow 0
		.amdhsa_exception_fp_ieee_inexact 0
		.amdhsa_exception_int_div_zero 0
	.end_amdhsa_kernel
	.section	.text._ZN5aiter35fused_qk_rmsnorm_group_quant_kernelIDF16_DB8_Li64ELi4ELi8ELb0ELb1ELb0ELb1ELb0ELb0EEEvPT0_PvPT_S6_S6_PKS5_S8_S8_S8_S8_ffiiiiiiiiiiiii,"axG",@progbits,_ZN5aiter35fused_qk_rmsnorm_group_quant_kernelIDF16_DB8_Li64ELi4ELi8ELb0ELb1ELb0ELb1ELb0ELb0EEEvPT0_PvPT_S6_S6_PKS5_S8_S8_S8_S8_ffiiiiiiiiiiiii,comdat
.Lfunc_end295:
	.size	_ZN5aiter35fused_qk_rmsnorm_group_quant_kernelIDF16_DB8_Li64ELi4ELi8ELb0ELb1ELb0ELb1ELb0ELb0EEEvPT0_PvPT_S6_S6_PKS5_S8_S8_S8_S8_ffiiiiiiiiiiiii, .Lfunc_end295-_ZN5aiter35fused_qk_rmsnorm_group_quant_kernelIDF16_DB8_Li64ELi4ELi8ELb0ELb1ELb0ELb1ELb0ELb0EEEvPT0_PvPT_S6_S6_PKS5_S8_S8_S8_S8_ffiiiiiiiiiiiii
                                        ; -- End function
	.section	.AMDGPU.csdata,"",@progbits
; Kernel info:
; codeLenInByte = 1544
; NumSgprs: 36
; NumVgprs: 17
; NumAgprs: 0
; TotalNumVgprs: 17
; ScratchSize: 0
; MemoryBound: 0
; FloatMode: 240
; IeeeMode: 1
; LDSByteSize: 0 bytes/workgroup (compile time only)
; SGPRBlocks: 4
; VGPRBlocks: 2
; NumSGPRsForWavesPerEU: 36
; NumVGPRsForWavesPerEU: 17
; AccumOffset: 20
; Occupancy: 8
; WaveLimiterHint : 0
; COMPUTE_PGM_RSRC2:SCRATCH_EN: 0
; COMPUTE_PGM_RSRC2:USER_SGPR: 6
; COMPUTE_PGM_RSRC2:TRAP_HANDLER: 0
; COMPUTE_PGM_RSRC2:TGID_X_EN: 1
; COMPUTE_PGM_RSRC2:TGID_Y_EN: 1
; COMPUTE_PGM_RSRC2:TGID_Z_EN: 0
; COMPUTE_PGM_RSRC2:TIDIG_COMP_CNT: 0
; COMPUTE_PGM_RSRC3_GFX90A:ACCUM_OFFSET: 4
; COMPUTE_PGM_RSRC3_GFX90A:TG_SPLIT: 0
	.section	.text._ZN5aiter35fused_qk_rmsnorm_group_quant_kernelItDB8_Li64ELi4ELi8ELb0ELb1ELb0ELb1ELb0ELb0EEEvPT0_PvPT_S6_S6_PKS5_S8_S8_S8_S8_ffiiiiiiiiiiiii,"axG",@progbits,_ZN5aiter35fused_qk_rmsnorm_group_quant_kernelItDB8_Li64ELi4ELi8ELb0ELb1ELb0ELb1ELb0ELb0EEEvPT0_PvPT_S6_S6_PKS5_S8_S8_S8_S8_ffiiiiiiiiiiiii,comdat
	.protected	_ZN5aiter35fused_qk_rmsnorm_group_quant_kernelItDB8_Li64ELi4ELi8ELb0ELb1ELb0ELb1ELb0ELb0EEEvPT0_PvPT_S6_S6_PKS5_S8_S8_S8_S8_ffiiiiiiiiiiiii ; -- Begin function _ZN5aiter35fused_qk_rmsnorm_group_quant_kernelItDB8_Li64ELi4ELi8ELb0ELb1ELb0ELb1ELb0ELb0EEEvPT0_PvPT_S6_S6_PKS5_S8_S8_S8_S8_ffiiiiiiiiiiiii
	.globl	_ZN5aiter35fused_qk_rmsnorm_group_quant_kernelItDB8_Li64ELi4ELi8ELb0ELb1ELb0ELb1ELb0ELb0EEEvPT0_PvPT_S6_S6_PKS5_S8_S8_S8_S8_ffiiiiiiiiiiiii
	.p2align	8
	.type	_ZN5aiter35fused_qk_rmsnorm_group_quant_kernelItDB8_Li64ELi4ELi8ELb0ELb1ELb0ELb1ELb0ELb0EEEvPT0_PvPT_S6_S6_PKS5_S8_S8_S8_S8_ffiiiiiiiiiiiii,@function
_ZN5aiter35fused_qk_rmsnorm_group_quant_kernelItDB8_Li64ELi4ELi8ELb0ELb1ELb0ELb1ELb0ELb0EEEvPT0_PvPT_S6_S6_PKS5_S8_S8_S8_S8_ffiiiiiiiiiiiii: ; @_ZN5aiter35fused_qk_rmsnorm_group_quant_kernelItDB8_Li64ELi4ELi8ELb0ELb1ELb0ELb1ELb0ELb0EEEvPT0_PvPT_S6_S6_PKS5_S8_S8_S8_S8_ffiiiiiiiiiiiii
; %bb.0:
	s_load_dwordx4 s[12:15], s[4:5], 0x50
	s_waitcnt lgkmcnt(0)
	s_cmp_ge_i32 s6, s14
	s_cbranch_scc1 .LBB296_8
; %bb.1:
	s_load_dwordx2 s[24:25], s[4:5], 0x30
	s_load_dwordx2 s[8:9], s[4:5], 0x48
	s_load_dwordx4 s[16:19], s[4:5], 0x60
	s_cmp_lg_u32 s7, 0
	s_cselect_b64 s[10:11], -1, 0
	s_cmp_eq_u32 s7, 0
	s_cselect_b64 vcc, -1, 0
	s_and_b64 s[0:1], vcc, exec
	s_waitcnt lgkmcnt(0)
	s_cselect_b32 s7, s15, s16
	s_add_i32 s0, s7, 1
	s_lshr_b32 s1, s0, 31
	s_add_i32 s0, s0, s1
	s_lshl_b32 s0, s0, 1
	v_lshlrev_b32_e32 v1, 2, v0
	s_and_b32 s22, s0, -4
	v_cmp_gt_i32_e64 s[0:1], s7, v1
	v_mov_b32_e32 v6, 0
	v_mov_b32_e32 v7, 0
	;; [unrolled: 1-line block ×4, first 2 shown]
	s_and_saveexec_b64 s[2:3], s[0:1]
	s_cbranch_execz .LBB296_3
; %bb.2:
	s_load_dwordx2 s[14:15], s[4:5], 0x28
	s_load_dwordx2 s[20:21], s[4:5], 0x40
	s_and_b64 s[26:27], vcc, exec
	s_cselect_b32 s17, s17, s18
	v_lshlrev_b32_e32 v4, 3, v0
	s_waitcnt lgkmcnt(0)
	s_cselect_b32 s19, s15, s25
	s_cselect_b32 s23, s14, s24
	s_mul_hi_i32 s15, s17, s6
	s_mul_i32 s14, s17, s6
	s_lshl_b64 s[14:15], s[14:15], 1
	s_add_u32 s28, s23, s14
	s_addc_u32 s17, s19, s15
	s_and_b64 s[14:15], vcc, exec
	s_mov_b32 s23, 0x20000
	s_cselect_b32 s20, s20, s8
	s_cselect_b32 s14, s21, s9
	s_and_b32 s29, s17, 0xffff
	s_mov_b32 s30, s22
	s_mov_b32 s31, s23
	s_and_b32 s21, s14, 0xffff
	buffer_load_dwordx2 v[2:3], v4, s[28:31], 0 offen glc slc
	buffer_load_dwordx2 v[6:7], v4, s[20:23], 0 offen
.LBB296_3:
	s_or_b64 exec, exec, s[2:3]
	s_waitcnt vmcnt(1)
	v_cvt_f32_u32_sdwa v4, v3 dst_sel:DWORD dst_unused:UNUSED_PAD src0_sel:WORD_1
	v_cvt_f32_u32_sdwa v3, v3 dst_sel:DWORD dst_unused:UNUSED_PAD src0_sel:WORD_0
	v_cvt_f32_u32_sdwa v8, v2 dst_sel:DWORD dst_unused:UNUSED_PAD src0_sel:WORD_1
	v_cvt_f32_u32_sdwa v2, v2 dst_sel:DWORD dst_unused:UNUSED_PAD src0_sel:WORD_0
	v_cndmask_b32_e64 v5, 0, v4, s[0:1]
	v_cndmask_b32_e64 v4, 0, v3, s[0:1]
	;; [unrolled: 1-line block ×4, first 2 shown]
	v_mul_f32_e32 v8, v3, v3
	v_fmac_f32_e32 v8, v2, v2
	v_fmac_f32_e32 v8, v4, v4
	;; [unrolled: 1-line block ×3, first 2 shown]
	v_bfrev_b32_e32 v10, 0.5
	s_load_dwordx2 s[2:3], s[4:5], 0x18
	v_mov_b32_dpp v9, v8 quad_perm:[1,0,3,2] row_mask:0xf bank_mask:0xf
	v_add_f32_e32 v8, v8, v9
	s_nop 1
	v_mov_b32_dpp v9, v8 quad_perm:[2,3,0,1] row_mask:0xf bank_mask:0xf
	v_add_f32_e32 v8, v8, v9
	s_nop 1
	v_mov_b32_dpp v9, v8 row_half_mirror row_mask:0xf bank_mask:0xf
	v_add_f32_e32 v8, v8, v9
	s_nop 1
	v_mov_b32_dpp v9, v8 row_mirror row_mask:0xf bank_mask:0xf
	v_add_f32_e32 v8, v8, v9
	s_nop 1
	v_mov_b32_dpp v9, v8 row_bcast:15 row_mask:0xf bank_mask:0xf
	v_add_f32_e32 v8, v8, v9
	s_nop 1
	v_mov_b32_dpp v9, v8 row_bcast:31 row_mask:0xf bank_mask:0xf
	v_add_f32_e32 v9, v8, v9
	v_mbcnt_lo_u32_b32 v8, -1, 0
	v_mbcnt_hi_u32_b32 v8, -1, v8
	v_lshl_or_b32 v8, v8, 2, v10
	ds_bpermute_b32 v9, v8, v9
	s_and_saveexec_b64 s[14:15], s[0:1]
	s_cbranch_execz .LBB296_5
; %bb.4:
	v_cvt_f32_u32_e32 v10, s7
	v_mov_b32_e32 v11, s13
	v_mov_b32_e32 v12, s12
	v_cndmask_b32_e32 v11, v11, v12, vcc
	s_waitcnt lgkmcnt(0)
	v_div_scale_f32 v13, s[20:21], v10, v10, v9
	v_rcp_f32_e32 v14, v13
	v_div_scale_f32 v12, vcc, v9, v10, v9
	s_mov_b32 s7, 0x800000
	v_fma_f32 v15, -v13, v14, 1.0
	v_fmac_f32_e32 v14, v15, v14
	v_mul_f32_e32 v15, v12, v14
	v_fma_f32 v16, -v13, v15, v12
	v_fmac_f32_e32 v15, v16, v14
	v_fma_f32 v12, -v13, v15, v12
	v_div_fmas_f32 v12, v12, v14, v15
	v_div_fixup_f32 v9, v12, v10, v9
	v_add_f32_e32 v9, v11, v9
	v_mul_f32_e32 v10, 0x4b800000, v9
	v_cmp_gt_f32_e32 vcc, s7, v9
	v_cndmask_b32_e32 v9, v9, v10, vcc
	v_rsq_f32_e32 v9, v9
	s_waitcnt vmcnt(0)
	v_cvt_f32_u32_sdwa v13, v6 dst_sel:DWORD dst_unused:UNUSED_PAD src0_sel:WORD_1
	v_cvt_f32_u32_sdwa v12, v6 dst_sel:DWORD dst_unused:UNUSED_PAD src0_sel:WORD_0
	v_cvt_f32_u32_sdwa v15, v7 dst_sel:DWORD dst_unused:UNUSED_PAD src0_sel:WORD_1
	v_mul_f32_e32 v10, 0x45800000, v9
	v_cndmask_b32_e32 v10, v9, v10, vcc
	v_mov_b32_e32 v11, v10
	;;#ASMSTART
	v_pk_mul_f32 v[2:3], v[2:3], v[10:11]
	;;#ASMEND
	;;#ASMSTART
	v_pk_mul_f32 v[4:5], v[4:5], v[10:11]
	;;#ASMEND
	v_cvt_f32_u32_sdwa v14, v7 dst_sel:DWORD dst_unused:UNUSED_PAD src0_sel:WORD_0
	;;#ASMSTART
	v_pk_mul_f32 v[2:3], v[2:3], v[12:13]
	;;#ASMEND
	;;#ASMSTART
	v_pk_mul_f32 v[4:5], v[4:5], v[14:15]
	;;#ASMEND
.LBB296_5:
	s_or_b64 exec, exec, s[14:15]
	s_load_dwordx2 s[14:15], s[4:5], 0x7c
	s_mov_b64 s[20:21], -1
	s_and_b64 vcc, exec, s[10:11]
	s_cbranch_vccnz .LBB296_9
; %bb.6:
	s_andn2_b64 vcc, exec, s[20:21]
	s_cbranch_vccz .LBB296_12
.LBB296_7:
	s_cmp_lt_i32 s16, 1
	s_cbranch_scc0 .LBB296_15
.LBB296_8:
	s_endpgm
.LBB296_9:
	s_and_saveexec_b64 s[10:11], s[0:1]
	s_cbranch_execz .LBB296_11
; %bb.10:
	s_waitcnt lgkmcnt(0)
	s_mul_hi_i32 s21, s15, s6
	s_mul_i32 s20, s15, s6
	s_lshl_b64 s[20:21], s[20:21], 1
	s_add_u32 s20, s2, s20
	s_addc_u32 s7, s3, s21
	s_and_b32 s21, s7, 0xffff
	s_mov_b32 s7, 0x7060302
	s_mov_b32 s23, 0x20000
	s_waitcnt vmcnt(0)
	v_perm_b32 v6, v3, v2, s7
	v_perm_b32 v7, v5, v4, s7
	v_lshlrev_b32_e32 v9, 3, v0
	buffer_store_dwordx2 v[6:7], v9, s[20:23], 0 offen
	;;#ASMSTART
	s_nop 0
	;;#ASMEND
.LBB296_11:
	s_or_b64 exec, exec, s[10:11]
	s_cbranch_execnz .LBB296_7
.LBB296_12:
	s_and_saveexec_b64 s[10:11], s[0:1]
	s_cbranch_execz .LBB296_14
; %bb.13:
	s_load_dwordx2 s[0:1], s[4:5], 0x10
	s_waitcnt lgkmcnt(0)
	s_mul_hi_i32 s21, s14, s6
	s_mul_i32 s20, s14, s6
	s_lshl_b64 s[20:21], s[20:21], 1
	s_mov_b32 s23, 0x20000
	s_add_u32 s20, s0, s20
	s_addc_u32 s0, s1, s21
	s_and_b32 s21, s0, 0xffff
	s_mov_b32 s0, 0x7060302
	v_perm_b32 v2, v3, v2, s0
	v_perm_b32 v3, v5, v4, s0
	v_lshlrev_b32_e32 v4, 3, v0
	buffer_store_dwordx2 v[2:3], v4, s[20:23], 0 offen
	;;#ASMSTART
	s_nop 0
	;;#ASMEND
.LBB296_14:
	s_or_b64 exec, exec, s[10:11]
	s_cmp_lt_i32 s16, 1
	s_cbranch_scc1 .LBB296_8
.LBB296_15:
	s_load_dword s0, s[4:5], 0x94
	s_waitcnt lgkmcnt(0)
	s_cmp_lg_u32 s0, 1
	s_cbranch_scc1 .LBB296_8
; %bb.16:
	s_lshl_b32 s0, s16, 1
	s_add_i32 s0, s0, 2
	v_cmp_gt_u32_e32 vcc, s16, v1
	s_and_b32 s10, s0, -4
	v_mov_b32_e32 v2, 0
	s_waitcnt vmcnt(0)
	v_lshlrev_b32_e32 v6, 3, v0
	v_mov_b32_e32 v3, 0
	v_mov_b32_e32 v0, 0
	;; [unrolled: 1-line block ×3, first 2 shown]
	s_barrier
	s_and_saveexec_b64 s[0:1], vcc
	s_cbranch_execz .LBB296_18
; %bb.17:
	s_mul_hi_i32 s5, s18, s6
	s_mul_i32 s4, s18, s6
	s_and_b32 s9, s9, 0xffff
	s_lshl_b64 s[4:5], s[4:5], 1
	s_add_u32 s20, s24, s4
	s_mov_b32 s11, 0x20000
	s_addc_u32 s4, s25, s5
	s_and_b32 s21, s4, 0xffff
	s_mov_b32 s22, s10
	s_mov_b32 s23, s11
	buffer_load_dwordx2 v[2:3], v6, s[20:23], 0 offen glc slc
	buffer_load_dwordx2 v[0:1], v6, s[8:11], 0 offen
.LBB296_18:
	s_or_b64 exec, exec, s[0:1]
	s_waitcnt vmcnt(1)
	v_cvt_f32_u32_sdwa v5, v3 dst_sel:DWORD dst_unused:UNUSED_PAD src0_sel:WORD_0
	v_cvt_f32_u32_sdwa v7, v2 dst_sel:DWORD dst_unused:UNUSED_PAD src0_sel:WORD_1
	v_cvt_f32_u32_sdwa v4, v3 dst_sel:DWORD dst_unused:UNUSED_PAD src0_sel:WORD_1
	v_cvt_f32_u32_sdwa v9, v2 dst_sel:DWORD dst_unused:UNUSED_PAD src0_sel:WORD_0
	v_cndmask_b32_e32 v2, 0, v5, vcc
	v_cndmask_b32_e32 v5, 0, v7, vcc
	;; [unrolled: 1-line block ×4, first 2 shown]
	v_mul_f32_e32 v7, v5, v5
	v_fmac_f32_e32 v7, v4, v4
	v_fmac_f32_e32 v7, v2, v2
	;; [unrolled: 1-line block ×3, first 2 shown]
	s_nop 1
	v_mov_b32_dpp v9, v7 quad_perm:[1,0,3,2] row_mask:0xf bank_mask:0xf
	v_add_f32_e32 v7, v7, v9
	s_nop 1
	v_mov_b32_dpp v9, v7 quad_perm:[2,3,0,1] row_mask:0xf bank_mask:0xf
	v_add_f32_e32 v7, v7, v9
	s_nop 1
	v_mov_b32_dpp v9, v7 row_half_mirror row_mask:0xf bank_mask:0xf
	v_add_f32_e32 v7, v7, v9
	s_nop 1
	v_mov_b32_dpp v9, v7 row_mirror row_mask:0xf bank_mask:0xf
	v_add_f32_e32 v7, v7, v9
	s_nop 1
	v_mov_b32_dpp v9, v7 row_bcast:15 row_mask:0xf bank_mask:0xf
	v_add_f32_e32 v7, v7, v9
	s_nop 1
	v_mov_b32_dpp v9, v7 row_bcast:31 row_mask:0xf bank_mask:0xf
	v_add_f32_e32 v7, v7, v9
	ds_bpermute_b32 v7, v8, v7
	s_and_saveexec_b64 s[0:1], vcc
	s_cbranch_execz .LBB296_8
; %bb.19:
	v_cvt_f32_u32_e32 v8, s16
	s_mov_b32 s11, 0x20000
	s_waitcnt lgkmcnt(0)
	v_div_scale_f32 v9, s[0:1], v8, v8, v7
	v_rcp_f32_e32 v10, v9
	v_div_scale_f32 v11, vcc, v7, v8, v7
	s_mov_b32 s0, 0x800000
	v_fma_f32 v12, -v9, v10, 1.0
	v_fmac_f32_e32 v10, v12, v10
	v_mul_f32_e32 v12, v11, v10
	v_fma_f32 v13, -v9, v12, v11
	v_fmac_f32_e32 v12, v13, v10
	v_fma_f32 v9, -v9, v12, v11
	v_div_fmas_f32 v9, v9, v10, v12
	v_div_fixup_f32 v7, v9, v8, v7
	v_add_f32_e32 v7, s13, v7
	v_mul_f32_e32 v8, 0x4b800000, v7
	v_cmp_gt_f32_e32 vcc, s0, v7
	v_cndmask_b32_e32 v7, v7, v8, vcc
	v_rsq_f32_e32 v7, v7
	s_mul_hi_i32 s1, s15, s6
	s_mul_i32 s0, s15, s6
	s_waitcnt vmcnt(0)
	v_cvt_f32_u32_sdwa v9, v0 dst_sel:DWORD dst_unused:UNUSED_PAD src0_sel:WORD_1
	v_cvt_f32_u32_sdwa v8, v0 dst_sel:DWORD dst_unused:UNUSED_PAD src0_sel:WORD_0
	v_mul_f32_e32 v0, 0x45800000, v7
	s_lshl_b64 s[0:1], s[0:1], 1
	v_cndmask_b32_e32 v12, v7, v0, vcc
	s_add_u32 s8, s2, s0
	v_cvt_f32_u32_sdwa v11, v1 dst_sel:DWORD dst_unused:UNUSED_PAD src0_sel:WORD_1
	v_mov_b32_e32 v13, v12
	v_cvt_f32_u32_sdwa v10, v1 dst_sel:DWORD dst_unused:UNUSED_PAD src0_sel:WORD_0
	;;#ASMSTART
	v_pk_mul_f32 v[0:1], v[4:5], v[12:13]
	;;#ASMEND
	s_addc_u32 s0, s3, s1
	;;#ASMSTART
	v_pk_mul_f32 v[2:3], v[2:3], v[12:13]
	;;#ASMEND
	;;#ASMSTART
	v_pk_mul_f32 v[0:1], v[0:1], v[8:9]
	;;#ASMEND
	s_and_b32 s9, s0, 0xffff
	s_mov_b32 s0, 0x7060302
	;;#ASMSTART
	v_pk_mul_f32 v[2:3], v[2:3], v[10:11]
	;;#ASMEND
	v_perm_b32 v0, v1, v0, s0
	v_perm_b32 v1, v3, v2, s0
	buffer_store_dwordx2 v[0:1], v6, s[8:11], 0 offen
	;;#ASMSTART
	s_nop 0
	;;#ASMEND
	s_endpgm
	.section	.rodata,"a",@progbits
	.p2align	6, 0x0
	.amdhsa_kernel _ZN5aiter35fused_qk_rmsnorm_group_quant_kernelItDB8_Li64ELi4ELi8ELb0ELb1ELb0ELb1ELb0ELb0EEEvPT0_PvPT_S6_S6_PKS5_S8_S8_S8_S8_ffiiiiiiiiiiiii
		.amdhsa_group_segment_fixed_size 0
		.amdhsa_private_segment_fixed_size 0
		.amdhsa_kernarg_size 400
		.amdhsa_user_sgpr_count 6
		.amdhsa_user_sgpr_private_segment_buffer 1
		.amdhsa_user_sgpr_dispatch_ptr 0
		.amdhsa_user_sgpr_queue_ptr 0
		.amdhsa_user_sgpr_kernarg_segment_ptr 1
		.amdhsa_user_sgpr_dispatch_id 0
		.amdhsa_user_sgpr_flat_scratch_init 0
		.amdhsa_user_sgpr_kernarg_preload_length 0
		.amdhsa_user_sgpr_kernarg_preload_offset 0
		.amdhsa_user_sgpr_private_segment_size 0
		.amdhsa_uses_dynamic_stack 0
		.amdhsa_system_sgpr_private_segment_wavefront_offset 0
		.amdhsa_system_sgpr_workgroup_id_x 1
		.amdhsa_system_sgpr_workgroup_id_y 1
		.amdhsa_system_sgpr_workgroup_id_z 0
		.amdhsa_system_sgpr_workgroup_info 0
		.amdhsa_system_vgpr_workitem_id 0
		.amdhsa_next_free_vgpr 17
		.amdhsa_next_free_sgpr 32
		.amdhsa_accum_offset 20
		.amdhsa_reserve_vcc 1
		.amdhsa_reserve_flat_scratch 0
		.amdhsa_float_round_mode_32 0
		.amdhsa_float_round_mode_16_64 0
		.amdhsa_float_denorm_mode_32 3
		.amdhsa_float_denorm_mode_16_64 3
		.amdhsa_dx10_clamp 1
		.amdhsa_ieee_mode 1
		.amdhsa_fp16_overflow 0
		.amdhsa_tg_split 0
		.amdhsa_exception_fp_ieee_invalid_op 0
		.amdhsa_exception_fp_denorm_src 0
		.amdhsa_exception_fp_ieee_div_zero 0
		.amdhsa_exception_fp_ieee_overflow 0
		.amdhsa_exception_fp_ieee_underflow 0
		.amdhsa_exception_fp_ieee_inexact 0
		.amdhsa_exception_int_div_zero 0
	.end_amdhsa_kernel
	.section	.text._ZN5aiter35fused_qk_rmsnorm_group_quant_kernelItDB8_Li64ELi4ELi8ELb0ELb1ELb0ELb1ELb0ELb0EEEvPT0_PvPT_S6_S6_PKS5_S8_S8_S8_S8_ffiiiiiiiiiiiii,"axG",@progbits,_ZN5aiter35fused_qk_rmsnorm_group_quant_kernelItDB8_Li64ELi4ELi8ELb0ELb1ELb0ELb1ELb0ELb0EEEvPT0_PvPT_S6_S6_PKS5_S8_S8_S8_S8_ffiiiiiiiiiiiii,comdat
.Lfunc_end296:
	.size	_ZN5aiter35fused_qk_rmsnorm_group_quant_kernelItDB8_Li64ELi4ELi8ELb0ELb1ELb0ELb1ELb0ELb0EEEvPT0_PvPT_S6_S6_PKS5_S8_S8_S8_S8_ffiiiiiiiiiiiii, .Lfunc_end296-_ZN5aiter35fused_qk_rmsnorm_group_quant_kernelItDB8_Li64ELi4ELi8ELb0ELb1ELb0ELb1ELb0ELb0EEEvPT0_PvPT_S6_S6_PKS5_S8_S8_S8_S8_ffiiiiiiiiiiiii
                                        ; -- End function
	.section	.AMDGPU.csdata,"",@progbits
; Kernel info:
; codeLenInByte = 1548
; NumSgprs: 36
; NumVgprs: 17
; NumAgprs: 0
; TotalNumVgprs: 17
; ScratchSize: 0
; MemoryBound: 0
; FloatMode: 240
; IeeeMode: 1
; LDSByteSize: 0 bytes/workgroup (compile time only)
; SGPRBlocks: 4
; VGPRBlocks: 2
; NumSGPRsForWavesPerEU: 36
; NumVGPRsForWavesPerEU: 17
; AccumOffset: 20
; Occupancy: 8
; WaveLimiterHint : 0
; COMPUTE_PGM_RSRC2:SCRATCH_EN: 0
; COMPUTE_PGM_RSRC2:USER_SGPR: 6
; COMPUTE_PGM_RSRC2:TRAP_HANDLER: 0
; COMPUTE_PGM_RSRC2:TGID_X_EN: 1
; COMPUTE_PGM_RSRC2:TGID_Y_EN: 1
; COMPUTE_PGM_RSRC2:TGID_Z_EN: 0
; COMPUTE_PGM_RSRC2:TIDIG_COMP_CNT: 0
; COMPUTE_PGM_RSRC3_GFX90A:ACCUM_OFFSET: 4
; COMPUTE_PGM_RSRC3_GFX90A:TG_SPLIT: 0
	.section	.text._ZN5aiter35fused_qk_rmsnorm_group_quant_kernelIDF16_DB8_Li64ELi4ELi8ELb1ELb1ELb1ELb0ELb0ELb0EEEvPT0_PvPT_S6_S6_PKS5_S8_S8_S8_S8_ffiiiiiiiiiiiii,"axG",@progbits,_ZN5aiter35fused_qk_rmsnorm_group_quant_kernelIDF16_DB8_Li64ELi4ELi8ELb1ELb1ELb1ELb0ELb0ELb0EEEvPT0_PvPT_S6_S6_PKS5_S8_S8_S8_S8_ffiiiiiiiiiiiii,comdat
	.protected	_ZN5aiter35fused_qk_rmsnorm_group_quant_kernelIDF16_DB8_Li64ELi4ELi8ELb1ELb1ELb1ELb0ELb0ELb0EEEvPT0_PvPT_S6_S6_PKS5_S8_S8_S8_S8_ffiiiiiiiiiiiii ; -- Begin function _ZN5aiter35fused_qk_rmsnorm_group_quant_kernelIDF16_DB8_Li64ELi4ELi8ELb1ELb1ELb1ELb0ELb0ELb0EEEvPT0_PvPT_S6_S6_PKS5_S8_S8_S8_S8_ffiiiiiiiiiiiii
	.globl	_ZN5aiter35fused_qk_rmsnorm_group_quant_kernelIDF16_DB8_Li64ELi4ELi8ELb1ELb1ELb1ELb0ELb0ELb0EEEvPT0_PvPT_S6_S6_PKS5_S8_S8_S8_S8_ffiiiiiiiiiiiii
	.p2align	8
	.type	_ZN5aiter35fused_qk_rmsnorm_group_quant_kernelIDF16_DB8_Li64ELi4ELi8ELb1ELb1ELb1ELb0ELb0ELb0EEEvPT0_PvPT_S6_S6_PKS5_S8_S8_S8_S8_ffiiiiiiiiiiiii,@function
_ZN5aiter35fused_qk_rmsnorm_group_quant_kernelIDF16_DB8_Li64ELi4ELi8ELb1ELb1ELb1ELb0ELb0ELb0EEEvPT0_PvPT_S6_S6_PKS5_S8_S8_S8_S8_ffiiiiiiiiiiiii: ; @_ZN5aiter35fused_qk_rmsnorm_group_quant_kernelIDF16_DB8_Li64ELi4ELi8ELb1ELb1ELb1ELb0ELb0ELb0EEEvPT0_PvPT_S6_S6_PKS5_S8_S8_S8_S8_ffiiiiiiiiiiiii
; %bb.0:
	s_load_dwordx8 s[16:23], s[4:5], 0x50
	s_waitcnt lgkmcnt(0)
	s_cmp_ge_i32 s6, s18
	s_cbranch_scc1 .LBB297_15
; %bb.1:
	s_cmp_lg_u32 s7, 0
	s_cselect_b64 s[2:3], -1, 0
	s_cmp_eq_u32 s7, 0
	s_cselect_b64 s[26:27], -1, 0
	s_and_b64 s[0:1], s[26:27], exec
	s_load_dwordx2 s[24:25], s[4:5], 0x48
	s_load_dwordx2 s[34:35], s[4:5], 0x30
	s_load_dwordx8 s[8:15], s[4:5], 0x70
	s_cselect_b32 s7, s19, s20
	s_add_i32 s0, s7, 1
	s_lshr_b32 s1, s0, 31
	s_add_i32 s0, s0, s1
	s_lshl_b32 s0, s0, 1
	v_lshlrev_b32_e32 v1, 2, v0
	s_and_b32 s30, s0, -4
	v_cmp_gt_i32_e64 s[0:1], s7, v1
	v_mov_b32_e32 v8, 0
	v_mov_b32_e32 v9, 0
	;; [unrolled: 1-line block ×4, first 2 shown]
	s_waitcnt lgkmcnt(0)
	s_and_saveexec_b64 s[14:15], s[0:1]
	s_cbranch_execz .LBB297_3
; %bb.2:
	s_load_dwordx2 s[28:29], s[4:5], 0x28
	s_load_dwordx2 s[38:39], s[4:5], 0x40
	s_and_b64 s[36:37], s[26:27], exec
	s_cselect_b32 s18, s21, s22
	v_lshlrev_b32_e32 v2, 3, v0
	s_waitcnt lgkmcnt(0)
	s_cselect_b32 s21, s29, s35
	s_cselect_b32 s31, s28, s34
	s_mul_hi_i32 s29, s18, s6
	s_mul_i32 s28, s18, s6
	s_lshl_b64 s[28:29], s[28:29], 1
	s_add_u32 s36, s31, s28
	s_addc_u32 s18, s21, s29
	s_and_b64 s[26:27], s[26:27], exec
	s_mov_b32 s31, 0x20000
	s_cselect_b32 s28, s38, s24
	s_cselect_b32 s21, s39, s25
	s_and_b32 s37, s18, 0xffff
	s_mov_b32 s38, s30
	s_mov_b32 s39, s31
	s_and_b32 s29, s21, 0xffff
	buffer_load_dwordx2 v[10:11], v2, s[36:39], 0 offen glc slc
	buffer_load_dwordx2 v[8:9], v2, s[28:31], 0 offen
.LBB297_3:
	s_or_b64 exec, exec, s[14:15]
	s_and_b64 vcc, exec, s[2:3]
	s_cbranch_vccz .LBB297_7
; %bb.4:
	v_mov_b32_e32 v7, 0
	v_mov_b32_e32 v6, 0
	;; [unrolled: 1-line block ×4, first 2 shown]
	s_and_saveexec_b64 s[14:15], s[0:1]
	s_cbranch_execz .LBB297_6
; %bb.5:
	s_waitcnt vmcnt(1)
	v_cvt_f32_f16_sdwa v3, v10 dst_sel:DWORD dst_unused:UNUSED_PAD src0_sel:WORD_1
	v_cvt_f32_f16_e32 v2, v10
	v_cvt_f32_f16_sdwa v7, v11 dst_sel:DWORD dst_unused:UNUSED_PAD src0_sel:WORD_1
	v_cvt_f32_f16_e32 v6, v11
.LBB297_6:
	s_or_b64 exec, exec, s[14:15]
	s_mov_b32 s18, s17
	s_cbranch_execz .LBB297_8
	s_branch .LBB297_11
.LBB297_7:
                                        ; implicit-def: $vgpr7
                                        ; implicit-def: $vgpr2_vgpr3_vgpr4_vgpr5
	s_mov_b32 s18, s17
.LBB297_8:
	v_mov_b32_e32 v7, 0
	v_mov_b32_e32 v6, 0
	;; [unrolled: 1-line block ×4, first 2 shown]
	s_and_saveexec_b64 s[14:15], s[0:1]
	s_cbranch_execz .LBB297_10
; %bb.9:
	s_load_dwordx2 s[26:27], s[4:5], 0x38
	s_mul_hi_i32 s29, s23, s6
	s_mul_i32 s28, s23, s6
	s_lshl_b64 s[28:29], s[28:29], 1
	s_mov_b32 s31, 0x20000
	s_waitcnt lgkmcnt(0)
	s_add_u32 s28, s26, s28
	s_addc_u32 s18, s27, s29
	s_and_b32 s29, s18, 0xffff
	v_lshlrev_b32_e32 v14, 3, v0
	buffer_load_dwordx2 v[2:3], v14, s[28:31], 0 offen glc slc
	s_waitcnt vmcnt(2)
	v_cvt_f32_f16_sdwa v5, v10 dst_sel:DWORD dst_unused:UNUSED_PAD src0_sel:WORD_1
	v_cvt_f32_f16_e32 v4, v10
	v_cvt_f32_f16_sdwa v7, v11 dst_sel:DWORD dst_unused:UNUSED_PAD src0_sel:WORD_1
	v_cvt_f32_f16_e32 v6, v11
	s_load_dwordx2 s[26:27], s[4:5], 0x20
	s_mul_hi_i32 s29, s13, s6
	s_mul_i32 s28, s13, s6
	s_lshl_b64 s[28:29], s[28:29], 1
	s_waitcnt lgkmcnt(0)
	s_add_u32 s28, s26, s28
	s_addc_u32 s13, s27, s29
	s_and_b32 s29, s13, 0xffff
	s_waitcnt vmcnt(0)
	v_cvt_f32_f16_e32 v10, v2
	v_cvt_f32_f16_sdwa v11, v2 dst_sel:DWORD dst_unused:UNUSED_PAD src0_sel:WORD_1
	v_cvt_f32_f16_e32 v12, v3
	v_cvt_f32_f16_sdwa v13, v3 dst_sel:DWORD dst_unused:UNUSED_PAD src0_sel:WORD_1
	v_pk_add_f32 v[2:3], v[4:5], v[10:11]
	v_cvt_f16_f32_e32 v4, v3
	v_pk_add_f32 v[6:7], v[6:7], v[12:13]
	v_cvt_f16_f32_e32 v5, v7
	v_cvt_f16_f32_e32 v10, v6
	;; [unrolled: 1-line block ×3, first 2 shown]
	v_pack_b32_f16 v5, v10, v5
	v_pack_b32_f16 v4, v11, v4
	buffer_store_dwordx2 v[4:5], v14, s[28:31], 0 offen glc slc
	;;#ASMSTART
	s_nop 0
	;;#ASMEND
.LBB297_10:
	s_or_b64 exec, exec, s[14:15]
	s_mov_b32 s18, s16
.LBB297_11:
	v_mul_f32_e32 v4, v3, v3
	v_fmac_f32_e32 v4, v2, v2
	v_fmac_f32_e32 v4, v6, v6
	;; [unrolled: 1-line block ×3, first 2 shown]
	s_waitcnt vmcnt(1)
	v_bfrev_b32_e32 v10, 0.5
	s_load_dwordx2 s[14:15], s[4:5], 0x18
	v_mov_b32_dpp v5, v4 quad_perm:[1,0,3,2] row_mask:0xf bank_mask:0xf
	v_add_f32_e32 v4, v4, v5
	s_nop 1
	v_mov_b32_dpp v5, v4 quad_perm:[2,3,0,1] row_mask:0xf bank_mask:0xf
	v_add_f32_e32 v4, v4, v5
	s_nop 1
	v_mov_b32_dpp v5, v4 row_half_mirror row_mask:0xf bank_mask:0xf
	v_add_f32_e32 v4, v4, v5
	s_nop 1
	v_mov_b32_dpp v5, v4 row_mirror row_mask:0xf bank_mask:0xf
	v_add_f32_e32 v4, v4, v5
	s_nop 1
	v_mov_b32_dpp v5, v4 row_bcast:15 row_mask:0xf bank_mask:0xf
	v_add_f32_e32 v4, v4, v5
	s_nop 1
	v_mov_b32_dpp v5, v4 row_bcast:31 row_mask:0xf bank_mask:0xf
	v_add_f32_e32 v4, v4, v5
	v_mbcnt_lo_u32_b32 v5, -1, 0
	v_mbcnt_hi_u32_b32 v5, -1, v5
	v_lshl_or_b32 v10, v5, 2, v10
	ds_bpermute_b32 v4, v10, v4
	s_and_saveexec_b64 s[26:27], s[0:1]
	s_cbranch_execnz .LBB297_16
; %bb.12:
	s_or_b64 exec, exec, s[26:27]
	s_mov_b64 s[26:27], -1
	s_and_b64 vcc, exec, s[2:3]
	s_cbranch_vccnz .LBB297_17
.LBB297_13:
	s_andn2_b64 vcc, exec, s[26:27]
	s_cbranch_vccz .LBB297_20
.LBB297_14:
	s_cmp_lt_i32 s20, 1
	s_cbranch_scc0 .LBB297_29
.LBB297_15:
	s_endpgm
.LBB297_16:
	v_cvt_f32_u32_e32 v5, s7
	s_mov_b32 s7, 0x800000
	s_waitcnt lgkmcnt(0)
	v_div_scale_f32 v11, s[28:29], v5, v5, v4
	v_rcp_f32_e32 v12, v11
	v_div_scale_f32 v13, vcc, v4, v5, v4
	v_fma_f32 v14, -v11, v12, 1.0
	v_fmac_f32_e32 v12, v14, v12
	v_mul_f32_e32 v14, v13, v12
	v_fma_f32 v15, -v11, v14, v13
	v_fmac_f32_e32 v14, v15, v12
	v_fma_f32 v11, -v11, v14, v13
	v_div_fmas_f32 v11, v11, v12, v14
	v_div_fixup_f32 v4, v11, v5, v4
	v_add_f32_e32 v4, s18, v4
	v_mul_f32_e32 v5, 0x4b800000, v4
	v_cmp_gt_f32_e32 vcc, s7, v4
	v_cndmask_b32_e32 v4, v4, v5, vcc
	v_rsq_f32_e32 v11, v4
	s_waitcnt vmcnt(0)
	v_cvt_f32_f16_sdwa v5, v8 dst_sel:DWORD dst_unused:UNUSED_PAD src0_sel:WORD_1
	v_cvt_f32_f16_e32 v4, v8
	v_cvt_f32_f16_sdwa v13, v9 dst_sel:DWORD dst_unused:UNUSED_PAD src0_sel:WORD_1
	v_cvt_f32_f16_e32 v12, v9
	v_mul_f32_e32 v8, 0x45800000, v11
	v_cndmask_b32_e32 v14, v11, v8, vcc
	v_mov_b32_e32 v15, v14
	;;#ASMSTART
	v_pk_mul_f32 v[2:3], v[2:3], v[14:15]
	;;#ASMEND
	;;#ASMSTART
	v_pk_mul_f32 v[6:7], v[6:7], v[14:15]
	;;#ASMEND
	v_pk_add_f32 v[4:5], v[4:5], 1.0 op_sel_hi:[1,0]
	;;#ASMSTART
	v_pk_mul_f32 v[2:3], v[2:3], v[4:5]
	;;#ASMEND
	v_pk_add_f32 v[4:5], v[12:13], 1.0 op_sel_hi:[1,0]
	;;#ASMSTART
	v_pk_mul_f32 v[6:7], v[6:7], v[4:5]
	;;#ASMEND
	s_or_b64 exec, exec, s[26:27]
	s_mov_b64 s[26:27], -1
	s_and_b64 vcc, exec, s[2:3]
	s_cbranch_vccz .LBB297_13
.LBB297_17:
	s_and_saveexec_b64 s[2:3], s[0:1]
	s_cbranch_execz .LBB297_19
; %bb.18:
	s_mul_hi_i32 s27, s12, s6
	s_mul_i32 s26, s12, s6
	s_waitcnt lgkmcnt(0)
	v_cvt_f16_f32_e32 v4, v2
	v_cvt_f16_f32_e32 v5, v6
	s_waitcnt vmcnt(0)
	v_cvt_f16_f32_e32 v8, v7
	v_cvt_f16_f32_e32 v9, v3
	s_lshl_b64 s[26:27], s[26:27], 1
	s_add_u32 s28, s14, s26
	s_addc_u32 s7, s15, s27
	s_and_b32 s29, s7, 0xffff
	s_mov_b32 s31, 0x20000
	v_pack_b32_f16 v5, v5, v8
	v_pack_b32_f16 v4, v4, v9
	v_lshlrev_b32_e32 v8, 3, v0
	buffer_store_dwordx2 v[4:5], v8, s[28:31], 0 offen
	;;#ASMSTART
	s_nop 0
	;;#ASMEND
.LBB297_19:
	s_or_b64 exec, exec, s[2:3]
	s_cbranch_execnz .LBB297_14
.LBB297_20:
	s_waitcnt lgkmcnt(0)
	v_mov_b32_e32 v4, 0
	s_and_saveexec_b64 s[2:3], s[0:1]
	s_cbranch_execz .LBB297_22
; %bb.21:
	s_load_dwordx2 s[26:27], s[4:5], 0x10
	s_mul_hi_i32 s29, s11, s6
	s_mul_i32 s28, s11, s6
	v_cvt_f16_f32_e32 v4, v2
	v_cvt_f16_f32_e32 v5, v6
	s_waitcnt vmcnt(0)
	v_cvt_f16_f32_e32 v8, v7
	v_cvt_f16_f32_e32 v9, v3
	s_lshl_b64 s[28:29], s[28:29], 1
	s_waitcnt lgkmcnt(0)
	s_add_u32 s28, s26, s28
	s_addc_u32 s7, s27, s29
	s_and_b32 s29, s7, 0xffff
	s_mov_b32 s31, 0x20000
	v_pack_b32_f16 v5, v5, v8
	v_pack_b32_f16 v4, v4, v9
	v_lshlrev_b32_e32 v8, 3, v0
	buffer_store_dwordx2 v[4:5], v8, s[28:31], 0 offen
	v_mov_b32_e32 v4, 0x2edbe6ff
	;;#ASMSTART
	s_nop 0
	;;#ASMEND
.LBB297_22:
	s_or_b64 exec, exec, s[2:3]
	s_and_saveexec_b64 s[2:3], s[0:1]
	s_cbranch_execz .LBB297_24
; %bb.23:
	v_and_b32_e32 v5, 0x7fffffff, v2
	s_waitcnt vmcnt(0)
	v_and_b32_e32 v8, 0x7fffffff, v3
	;;#ASMSTART
	v_max3_f32 v4, v4, v5, v8

	;;#ASMEND
	v_and_b32_e32 v5, 0x7fffffff, v6
	v_and_b32_e32 v8, 0x7fffffff, v7
	;;#ASMSTART
	v_max3_f32 v4, v4, v5, v8

	;;#ASMEND
.LBB297_24:
	s_or_b64 exec, exec, s[2:3]
	;;#ASMSTART
	v_max_f32 v5, v4, v4 quad_perm:[1,0,3,2] row_mask:0xf bank_mask:0xf bound_ctrl:1
	;;#ASMEND
	;;#ASMSTART
	v_max_f32 v4, v5, v5 quad_perm:[2,3,0,1] row_mask:0xf bank_mask:0xf bound_ctrl:1
	;;#ASMEND
	;;#ASMSTART
	v_max_f32 v5, v4, v4 row_half_mirror row_mask:0xf bank_mask:0xf bound_ctrl:1
	;;#ASMEND
	v_mul_f32_e32 v4, 0x3b124925, v5
	v_and_b32_e32 v5, 7, v0
	v_cmp_eq_u32_e32 vcc, 0, v5
	v_cmp_gt_i32_e64 s[2:3], s19, v1
	s_and_b64 s[26:27], vcc, s[2:3]
	s_and_saveexec_b64 s[2:3], s[26:27]
	s_cbranch_execz .LBB297_26
; %bb.25:
	s_load_dwordx2 s[26:27], s[4:5], 0x8
	v_lshrrev_b32_e32 v5, 3, v0
	s_mul_hi_i32 s29, s9, s6
	s_mul_i32 s28, s9, s6
	s_waitcnt vmcnt(0)
	v_mad_i64_i32 v[8:9], s[10:11], s10, v5, 0
	s_lshl_b64 s[10:11], s[28:29], 2
	s_waitcnt lgkmcnt(0)
	s_add_u32 s7, s26, s10
	s_addc_u32 s9, s27, s11
	v_lshlrev_b64 v[8:9], 2, v[8:9]
	v_mov_b32_e32 v5, s9
	v_add_co_u32_e32 v8, vcc, s7, v8
	v_addc_co_u32_e32 v9, vcc, v5, v9, vcc
	global_store_dword v[8:9], v4, off
.LBB297_26:
	s_or_b64 exec, exec, s[2:3]
	;;#ASMSTART
	v_rcp_f32 v4, v4
	;;#ASMEND
	s_and_saveexec_b64 s[2:3], s[0:1]
	s_cbranch_execz .LBB297_28
; %bb.27:
	s_load_dwordx2 s[0:1], s[4:5], 0x0
	s_mul_hi_i32 s7, s8, s6
	s_mul_i32 s8, s8, s6
	v_mov_b32_e32 v5, v4
	;;#ASMSTART
	v_pk_mul_f32 v[2:3], v[2:3], v[4:5]
	;;#ASMEND
	s_waitcnt lgkmcnt(0)
	s_add_u32 s8, s0, s8
	s_addc_u32 s0, s1, s7
	s_add_i32 s1, s19, 3
	s_ashr_i32 s7, s1, 31
	s_waitcnt vmcnt(0)
	v_mov_b32_e32 v8, 0xc3e00000
	v_mov_b32_e32 v9, 0x43e00000
	;;#ASMSTART
	v_med3_f32 v2, v2, v8, v9
v_med3_f32 v3, v3, v8, v9
v_cvt_pk_fp8_f32 v11, v2, v3
	;;#ASMEND
	s_and_b32 s9, s0, 0xffff
	s_lshr_b32 s0, s7, 30
	;;#ASMSTART
	v_pk_mul_f32 v[2:3], v[6:7], v[4:5]
	;;#ASMEND
	s_add_i32 s1, s1, s0
	;;#ASMSTART
	v_med3_f32 v2, v2, v8, v9
v_med3_f32 v3, v3, v8, v9
v_cvt_pk_fp8_f32 v4, v2, v3
	;;#ASMEND
	s_mov_b32 s0, 0x5040100
	s_and_b32 s10, s1, -4
	s_mov_b32 s11, 0x20000
	v_perm_b32 v2, v4, v11, s0
	buffer_store_dword v2, v1, s[8:11], 0 offen
	;;#ASMSTART
	s_nop 0
	;;#ASMEND
.LBB297_28:
	s_or_b64 exec, exec, s[2:3]
	s_cmp_lt_i32 s20, 1
	s_cbranch_scc1 .LBB297_15
.LBB297_29:
	s_load_dword s0, s[4:5], 0x94
	s_waitcnt lgkmcnt(0)
	s_cmp_lg_u32 s0, 1
	s_cbranch_scc1 .LBB297_15
; %bb.30:
	s_lshl_b32 s0, s20, 1
	s_add_i32 s0, s0, 2
	v_cmp_gt_u32_e32 vcc, s20, v1
	s_and_b32 s26, s0, -4
	v_mov_b32_e32 v2, 0
	v_lshlrev_b32_e32 v6, 3, v0
	v_mov_b32_e32 v3, 0
	v_mov_b32_e32 v0, 0
	;; [unrolled: 1-line block ×3, first 2 shown]
	s_barrier
	s_and_saveexec_b64 s[0:1], vcc
	s_cbranch_execz .LBB297_32
; %bb.31:
	s_mul_hi_i32 s3, s22, s6
	s_mul_i32 s2, s22, s6
	s_and_b32 s25, s25, 0xffff
	s_lshl_b64 s[2:3], s[2:3], 1
	s_add_u32 s8, s34, s2
	s_mov_b32 s27, 0x20000
	s_addc_u32 s2, s35, s3
	s_and_b32 s9, s2, 0xffff
	s_mov_b32 s10, s26
	s_mov_b32 s11, s27
	buffer_load_dwordx2 v[2:3], v6, s[8:11], 0 offen glc slc
	buffer_load_dwordx2 v[0:1], v6, s[24:27], 0 offen
.LBB297_32:
	s_or_b64 exec, exec, s[0:1]
	s_waitcnt vmcnt(1)
	v_cvt_f32_f16_e32 v4, v3
	v_cvt_f32_f16_e32 v5, v2
	v_cvt_f32_f16_sdwa v7, v2 dst_sel:DWORD dst_unused:UNUSED_PAD src0_sel:WORD_1
	v_cvt_f32_f16_sdwa v3, v3 dst_sel:DWORD dst_unused:UNUSED_PAD src0_sel:WORD_1
	v_cndmask_b32_e32 v2, 0, v4, vcc
	v_cndmask_b32_e32 v4, 0, v5, vcc
	;; [unrolled: 1-line block ×3, first 2 shown]
	v_mul_f32_e32 v7, v5, v5
	v_fmac_f32_e32 v7, v4, v4
	v_cndmask_b32_e32 v3, 0, v3, vcc
	v_fmac_f32_e32 v7, v2, v2
	v_fmac_f32_e32 v7, v3, v3
	s_waitcnt vmcnt(0)
	s_nop 0
	v_mov_b32_dpp v8, v7 quad_perm:[1,0,3,2] row_mask:0xf bank_mask:0xf
	v_add_f32_e32 v7, v7, v8
	s_nop 1
	v_mov_b32_dpp v8, v7 quad_perm:[2,3,0,1] row_mask:0xf bank_mask:0xf
	v_add_f32_e32 v7, v7, v8
	s_nop 1
	v_mov_b32_dpp v8, v7 row_half_mirror row_mask:0xf bank_mask:0xf
	v_add_f32_e32 v7, v7, v8
	s_nop 1
	v_mov_b32_dpp v8, v7 row_mirror row_mask:0xf bank_mask:0xf
	v_add_f32_e32 v7, v7, v8
	s_nop 1
	v_mov_b32_dpp v8, v7 row_bcast:15 row_mask:0xf bank_mask:0xf
	v_add_f32_e32 v7, v7, v8
	s_nop 1
	v_mov_b32_dpp v8, v7 row_bcast:31 row_mask:0xf bank_mask:0xf
	v_add_f32_e32 v7, v7, v8
	ds_bpermute_b32 v7, v10, v7
	s_and_saveexec_b64 s[0:1], vcc
	s_cbranch_execz .LBB297_15
; %bb.33:
	v_cvt_f32_u32_e32 v8, s20
	s_mov_b32 s27, 0x20000
	s_waitcnt lgkmcnt(0)
	v_div_scale_f32 v9, s[0:1], v8, v8, v7
	v_rcp_f32_e32 v10, v9
	v_div_scale_f32 v11, vcc, v7, v8, v7
	s_mov_b32 s0, 0x800000
	v_fma_f32 v12, -v9, v10, 1.0
	v_fmac_f32_e32 v10, v12, v10
	v_mul_f32_e32 v12, v11, v10
	v_fma_f32 v13, -v9, v12, v11
	v_fmac_f32_e32 v12, v13, v10
	v_fma_f32 v9, -v9, v12, v11
	v_div_fmas_f32 v9, v9, v10, v12
	v_div_fixup_f32 v7, v9, v8, v7
	v_add_f32_e32 v7, s17, v7
	v_mul_f32_e32 v8, 0x4b800000, v7
	v_cmp_gt_f32_e32 vcc, s0, v7
	v_cndmask_b32_e32 v7, v7, v8, vcc
	v_rsq_f32_e32 v7, v7
	v_cvt_f32_f16_sdwa v9, v0 dst_sel:DWORD dst_unused:UNUSED_PAD src0_sel:WORD_1
	v_cvt_f32_f16_e32 v8, v0
	v_cvt_f32_f16_sdwa v11, v1 dst_sel:DWORD dst_unused:UNUSED_PAD src0_sel:WORD_1
	v_cvt_f32_f16_e32 v10, v1
	v_mul_f32_e32 v0, 0x45800000, v7
	v_cndmask_b32_e32 v12, v7, v0, vcc
	v_mov_b32_e32 v13, v12
	;;#ASMSTART
	v_pk_mul_f32 v[4:5], v[4:5], v[12:13]
	;;#ASMEND
	;;#ASMSTART
	v_pk_mul_f32 v[0:1], v[2:3], v[12:13]
	;;#ASMEND
	v_pk_add_f32 v[2:3], v[8:9], 1.0 op_sel_hi:[1,0]
	;;#ASMSTART
	v_pk_mul_f32 v[2:3], v[4:5], v[2:3]
	;;#ASMEND
	v_pk_add_f32 v[4:5], v[10:11], 1.0 op_sel_hi:[1,0]
	;;#ASMSTART
	v_pk_mul_f32 v[0:1], v[0:1], v[4:5]
	;;#ASMEND
	s_mul_hi_i32 s1, s12, s6
	s_mul_i32 s0, s12, s6
	v_cvt_f16_f32_e32 v2, v2
	v_cvt_f16_f32_e32 v3, v3
	;; [unrolled: 1-line block ×4, first 2 shown]
	s_lshl_b64 s[0:1], s[0:1], 1
	s_add_u32 s24, s14, s0
	s_addc_u32 s0, s15, s1
	s_and_b32 s25, s0, 0xffff
	v_pack_b32_f16 v0, v2, v3
	v_pack_b32_f16 v1, v4, v1
	buffer_store_dwordx2 v[0:1], v6, s[24:27], 0 offen
	;;#ASMSTART
	s_nop 0
	;;#ASMEND
	s_endpgm
	.section	.rodata,"a",@progbits
	.p2align	6, 0x0
	.amdhsa_kernel _ZN5aiter35fused_qk_rmsnorm_group_quant_kernelIDF16_DB8_Li64ELi4ELi8ELb1ELb1ELb1ELb0ELb0ELb0EEEvPT0_PvPT_S6_S6_PKS5_S8_S8_S8_S8_ffiiiiiiiiiiiii
		.amdhsa_group_segment_fixed_size 0
		.amdhsa_private_segment_fixed_size 0
		.amdhsa_kernarg_size 400
		.amdhsa_user_sgpr_count 6
		.amdhsa_user_sgpr_private_segment_buffer 1
		.amdhsa_user_sgpr_dispatch_ptr 0
		.amdhsa_user_sgpr_queue_ptr 0
		.amdhsa_user_sgpr_kernarg_segment_ptr 1
		.amdhsa_user_sgpr_dispatch_id 0
		.amdhsa_user_sgpr_flat_scratch_init 0
		.amdhsa_user_sgpr_kernarg_preload_length 0
		.amdhsa_user_sgpr_kernarg_preload_offset 0
		.amdhsa_user_sgpr_private_segment_size 0
		.amdhsa_uses_dynamic_stack 0
		.amdhsa_system_sgpr_private_segment_wavefront_offset 0
		.amdhsa_system_sgpr_workgroup_id_x 1
		.amdhsa_system_sgpr_workgroup_id_y 1
		.amdhsa_system_sgpr_workgroup_id_z 0
		.amdhsa_system_sgpr_workgroup_info 0
		.amdhsa_system_vgpr_workitem_id 0
		.amdhsa_next_free_vgpr 16
		.amdhsa_next_free_sgpr 40
		.amdhsa_accum_offset 16
		.amdhsa_reserve_vcc 1
		.amdhsa_reserve_flat_scratch 0
		.amdhsa_float_round_mode_32 0
		.amdhsa_float_round_mode_16_64 0
		.amdhsa_float_denorm_mode_32 3
		.amdhsa_float_denorm_mode_16_64 3
		.amdhsa_dx10_clamp 1
		.amdhsa_ieee_mode 1
		.amdhsa_fp16_overflow 0
		.amdhsa_tg_split 0
		.amdhsa_exception_fp_ieee_invalid_op 0
		.amdhsa_exception_fp_denorm_src 0
		.amdhsa_exception_fp_ieee_div_zero 0
		.amdhsa_exception_fp_ieee_overflow 0
		.amdhsa_exception_fp_ieee_underflow 0
		.amdhsa_exception_fp_ieee_inexact 0
		.amdhsa_exception_int_div_zero 0
	.end_amdhsa_kernel
	.section	.text._ZN5aiter35fused_qk_rmsnorm_group_quant_kernelIDF16_DB8_Li64ELi4ELi8ELb1ELb1ELb1ELb0ELb0ELb0EEEvPT0_PvPT_S6_S6_PKS5_S8_S8_S8_S8_ffiiiiiiiiiiiii,"axG",@progbits,_ZN5aiter35fused_qk_rmsnorm_group_quant_kernelIDF16_DB8_Li64ELi4ELi8ELb1ELb1ELb1ELb0ELb0ELb0EEEvPT0_PvPT_S6_S6_PKS5_S8_S8_S8_S8_ffiiiiiiiiiiiii,comdat
.Lfunc_end297:
	.size	_ZN5aiter35fused_qk_rmsnorm_group_quant_kernelIDF16_DB8_Li64ELi4ELi8ELb1ELb1ELb1ELb0ELb0ELb0EEEvPT0_PvPT_S6_S6_PKS5_S8_S8_S8_S8_ffiiiiiiiiiiiii, .Lfunc_end297-_ZN5aiter35fused_qk_rmsnorm_group_quant_kernelIDF16_DB8_Li64ELi4ELi8ELb1ELb1ELb1ELb0ELb0ELb0EEEvPT0_PvPT_S6_S6_PKS5_S8_S8_S8_S8_ffiiiiiiiiiiiii
                                        ; -- End function
	.section	.AMDGPU.csdata,"",@progbits
; Kernel info:
; codeLenInByte = 2268
; NumSgprs: 44
; NumVgprs: 16
; NumAgprs: 0
; TotalNumVgprs: 16
; ScratchSize: 0
; MemoryBound: 0
; FloatMode: 240
; IeeeMode: 1
; LDSByteSize: 0 bytes/workgroup (compile time only)
; SGPRBlocks: 5
; VGPRBlocks: 1
; NumSGPRsForWavesPerEU: 44
; NumVGPRsForWavesPerEU: 16
; AccumOffset: 16
; Occupancy: 8
; WaveLimiterHint : 0
; COMPUTE_PGM_RSRC2:SCRATCH_EN: 0
; COMPUTE_PGM_RSRC2:USER_SGPR: 6
; COMPUTE_PGM_RSRC2:TRAP_HANDLER: 0
; COMPUTE_PGM_RSRC2:TGID_X_EN: 1
; COMPUTE_PGM_RSRC2:TGID_Y_EN: 1
; COMPUTE_PGM_RSRC2:TGID_Z_EN: 0
; COMPUTE_PGM_RSRC2:TIDIG_COMP_CNT: 0
; COMPUTE_PGM_RSRC3_GFX90A:ACCUM_OFFSET: 3
; COMPUTE_PGM_RSRC3_GFX90A:TG_SPLIT: 0
	.section	.text._ZN5aiter35fused_qk_rmsnorm_group_quant_kernelItDB8_Li64ELi4ELi8ELb1ELb1ELb1ELb0ELb0ELb0EEEvPT0_PvPT_S6_S6_PKS5_S8_S8_S8_S8_ffiiiiiiiiiiiii,"axG",@progbits,_ZN5aiter35fused_qk_rmsnorm_group_quant_kernelItDB8_Li64ELi4ELi8ELb1ELb1ELb1ELb0ELb0ELb0EEEvPT0_PvPT_S6_S6_PKS5_S8_S8_S8_S8_ffiiiiiiiiiiiii,comdat
	.protected	_ZN5aiter35fused_qk_rmsnorm_group_quant_kernelItDB8_Li64ELi4ELi8ELb1ELb1ELb1ELb0ELb0ELb0EEEvPT0_PvPT_S6_S6_PKS5_S8_S8_S8_S8_ffiiiiiiiiiiiii ; -- Begin function _ZN5aiter35fused_qk_rmsnorm_group_quant_kernelItDB8_Li64ELi4ELi8ELb1ELb1ELb1ELb0ELb0ELb0EEEvPT0_PvPT_S6_S6_PKS5_S8_S8_S8_S8_ffiiiiiiiiiiiii
	.globl	_ZN5aiter35fused_qk_rmsnorm_group_quant_kernelItDB8_Li64ELi4ELi8ELb1ELb1ELb1ELb0ELb0ELb0EEEvPT0_PvPT_S6_S6_PKS5_S8_S8_S8_S8_ffiiiiiiiiiiiii
	.p2align	8
	.type	_ZN5aiter35fused_qk_rmsnorm_group_quant_kernelItDB8_Li64ELi4ELi8ELb1ELb1ELb1ELb0ELb0ELb0EEEvPT0_PvPT_S6_S6_PKS5_S8_S8_S8_S8_ffiiiiiiiiiiiii,@function
_ZN5aiter35fused_qk_rmsnorm_group_quant_kernelItDB8_Li64ELi4ELi8ELb1ELb1ELb1ELb0ELb0ELb0EEEvPT0_PvPT_S6_S6_PKS5_S8_S8_S8_S8_ffiiiiiiiiiiiii: ; @_ZN5aiter35fused_qk_rmsnorm_group_quant_kernelItDB8_Li64ELi4ELi8ELb1ELb1ELb1ELb0ELb0ELb0EEEvPT0_PvPT_S6_S6_PKS5_S8_S8_S8_S8_ffiiiiiiiiiiiii
; %bb.0:
	s_load_dwordx8 s[16:23], s[4:5], 0x50
	s_waitcnt lgkmcnt(0)
	s_cmp_ge_i32 s6, s18
	s_cbranch_scc1 .LBB298_15
; %bb.1:
	s_cmp_lg_u32 s7, 0
	s_cselect_b64 s[2:3], -1, 0
	s_cmp_eq_u32 s7, 0
	s_cselect_b64 s[26:27], -1, 0
	s_and_b64 s[0:1], s[26:27], exec
	s_load_dwordx2 s[24:25], s[4:5], 0x48
	s_load_dwordx2 s[34:35], s[4:5], 0x30
	s_load_dwordx8 s[8:15], s[4:5], 0x70
	s_cselect_b32 s7, s19, s20
	s_add_i32 s0, s7, 1
	s_lshr_b32 s1, s0, 31
	s_add_i32 s0, s0, s1
	s_lshl_b32 s0, s0, 1
	v_lshlrev_b32_e32 v1, 2, v0
	s_and_b32 s30, s0, -4
	v_cmp_gt_i32_e64 s[0:1], s7, v1
	v_mov_b32_e32 v6, 0
	v_mov_b32_e32 v7, 0
	;; [unrolled: 1-line block ×4, first 2 shown]
	s_waitcnt lgkmcnt(0)
	s_and_saveexec_b64 s[14:15], s[0:1]
	s_cbranch_execz .LBB298_3
; %bb.2:
	s_load_dwordx2 s[28:29], s[4:5], 0x28
	s_load_dwordx2 s[38:39], s[4:5], 0x40
	s_and_b64 s[36:37], s[26:27], exec
	s_cselect_b32 s18, s21, s22
	v_lshlrev_b32_e32 v2, 3, v0
	s_waitcnt lgkmcnt(0)
	s_cselect_b32 s21, s29, s35
	s_cselect_b32 s31, s28, s34
	s_mul_hi_i32 s29, s18, s6
	s_mul_i32 s28, s18, s6
	s_lshl_b64 s[28:29], s[28:29], 1
	s_add_u32 s36, s31, s28
	s_addc_u32 s18, s21, s29
	s_and_b64 s[26:27], s[26:27], exec
	s_mov_b32 s31, 0x20000
	s_cselect_b32 s28, s38, s24
	s_cselect_b32 s21, s39, s25
	s_and_b32 s37, s18, 0xffff
	s_mov_b32 s38, s30
	s_mov_b32 s39, s31
	s_and_b32 s29, s21, 0xffff
	buffer_load_dwordx2 v[8:9], v2, s[36:39], 0 offen glc slc
	buffer_load_dwordx2 v[6:7], v2, s[28:31], 0 offen
.LBB298_3:
	s_or_b64 exec, exec, s[14:15]
	s_and_b64 vcc, exec, s[2:3]
	s_cbranch_vccz .LBB298_7
; %bb.4:
	s_mov_b32 s36, 0
	s_mov_b32 s37, s36
	;; [unrolled: 1-line block ×4, first 2 shown]
	v_pk_mov_b32 v[2:3], s[36:37], s[36:37] op_sel:[0,1]
	v_pk_mov_b32 v[4:5], s[38:39], s[38:39] op_sel:[0,1]
	s_and_saveexec_b64 s[14:15], s[0:1]
	s_cbranch_execz .LBB298_6
; %bb.5:
	s_waitcnt vmcnt(1)
	v_cvt_f32_u32_sdwa v3, v8 dst_sel:DWORD dst_unused:UNUSED_PAD src0_sel:WORD_1
	v_cvt_f32_u32_sdwa v2, v8 dst_sel:DWORD dst_unused:UNUSED_PAD src0_sel:WORD_0
	v_cvt_f32_u32_sdwa v5, v9 dst_sel:DWORD dst_unused:UNUSED_PAD src0_sel:WORD_1
	v_cvt_f32_u32_sdwa v4, v9 dst_sel:DWORD dst_unused:UNUSED_PAD src0_sel:WORD_0
.LBB298_6:
	s_or_b64 exec, exec, s[14:15]
	s_mov_b32 s18, s17
	s_cbranch_execz .LBB298_8
	s_branch .LBB298_11
.LBB298_7:
                                        ; implicit-def: $vgpr2_vgpr3_vgpr4_vgpr5
	s_mov_b32 s18, s17
.LBB298_8:
	s_mov_b32 s36, 0
	s_mov_b32 s37, s36
	;; [unrolled: 1-line block ×4, first 2 shown]
	v_pk_mov_b32 v[2:3], s[36:37], s[36:37] op_sel:[0,1]
	v_pk_mov_b32 v[4:5], s[38:39], s[38:39] op_sel:[0,1]
	s_and_saveexec_b64 s[14:15], s[0:1]
	s_cbranch_execz .LBB298_10
; %bb.9:
	s_load_dwordx2 s[26:27], s[4:5], 0x38
	s_mul_hi_i32 s29, s23, s6
	s_mul_i32 s28, s23, s6
	s_lshl_b64 s[28:29], s[28:29], 1
	s_mov_b32 s31, 0x20000
	s_waitcnt lgkmcnt(0)
	s_add_u32 s28, s26, s28
	s_addc_u32 s18, s27, s29
	s_and_b32 s29, s18, 0xffff
	v_lshlrev_b32_e32 v14, 3, v0
	buffer_load_dwordx2 v[2:3], v14, s[28:31], 0 offen glc slc
	s_load_dwordx2 s[26:27], s[4:5], 0x20
	s_waitcnt vmcnt(2)
	v_cvt_f32_u32_sdwa v5, v8 dst_sel:DWORD dst_unused:UNUSED_PAD src0_sel:WORD_1
	v_cvt_f32_u32_sdwa v4, v8 dst_sel:DWORD dst_unused:UNUSED_PAD src0_sel:WORD_0
	v_cvt_f32_u32_sdwa v11, v9 dst_sel:DWORD dst_unused:UNUSED_PAD src0_sel:WORD_1
	v_cvt_f32_u32_sdwa v10, v9 dst_sel:DWORD dst_unused:UNUSED_PAD src0_sel:WORD_0
	s_mul_hi_i32 s29, s13, s6
	s_mul_i32 s28, s13, s6
	s_lshl_b64 s[28:29], s[28:29], 1
	s_waitcnt lgkmcnt(0)
	s_add_u32 s28, s26, s28
	s_mov_b32 s13, 0x7060302
	s_addc_u32 s18, s27, s29
	s_and_b32 s29, s18, 0xffff
	s_waitcnt vmcnt(0)
	v_cvt_f32_u32_sdwa v9, v2 dst_sel:DWORD dst_unused:UNUSED_PAD src0_sel:WORD_1
	v_cvt_f32_u32_sdwa v8, v2 dst_sel:DWORD dst_unused:UNUSED_PAD src0_sel:WORD_0
	v_cvt_f32_u32_sdwa v13, v3 dst_sel:DWORD dst_unused:UNUSED_PAD src0_sel:WORD_1
	v_cvt_f32_u32_sdwa v12, v3 dst_sel:DWORD dst_unused:UNUSED_PAD src0_sel:WORD_0
	v_pk_add_f32 v[2:3], v[4:5], v[8:9]
	v_perm_b32 v8, v3, v2, s13
	v_pk_add_f32 v[4:5], v[10:11], v[12:13]
	v_perm_b32 v9, v5, v4, s13
	buffer_store_dwordx2 v[8:9], v14, s[28:31], 0 offen glc slc
	;;#ASMSTART
	s_nop 0
	;;#ASMEND
.LBB298_10:
	s_or_b64 exec, exec, s[14:15]
	s_mov_b32 s18, s16
.LBB298_11:
	s_waitcnt vmcnt(1)
	v_mul_f32_e32 v8, v3, v3
	v_fmac_f32_e32 v8, v2, v2
	v_fmac_f32_e32 v8, v4, v4
	;; [unrolled: 1-line block ×3, first 2 shown]
	v_bfrev_b32_e32 v10, 0.5
	s_load_dwordx2 s[14:15], s[4:5], 0x18
	v_mov_b32_dpp v9, v8 quad_perm:[1,0,3,2] row_mask:0xf bank_mask:0xf
	v_add_f32_e32 v8, v8, v9
	s_nop 1
	v_mov_b32_dpp v9, v8 quad_perm:[2,3,0,1] row_mask:0xf bank_mask:0xf
	v_add_f32_e32 v8, v8, v9
	s_nop 1
	v_mov_b32_dpp v9, v8 row_half_mirror row_mask:0xf bank_mask:0xf
	v_add_f32_e32 v8, v8, v9
	s_nop 1
	v_mov_b32_dpp v9, v8 row_mirror row_mask:0xf bank_mask:0xf
	v_add_f32_e32 v8, v8, v9
	s_nop 1
	v_mov_b32_dpp v9, v8 row_bcast:15 row_mask:0xf bank_mask:0xf
	v_add_f32_e32 v8, v8, v9
	s_nop 1
	v_mov_b32_dpp v9, v8 row_bcast:31 row_mask:0xf bank_mask:0xf
	v_add_f32_e32 v9, v8, v9
	v_mbcnt_lo_u32_b32 v8, -1, 0
	v_mbcnt_hi_u32_b32 v8, -1, v8
	v_lshl_or_b32 v8, v8, 2, v10
	ds_bpermute_b32 v9, v8, v9
	s_and_saveexec_b64 s[26:27], s[0:1]
	s_cbranch_execnz .LBB298_16
; %bb.12:
	s_or_b64 exec, exec, s[26:27]
	s_mov_b64 s[26:27], -1
	s_and_b64 vcc, exec, s[2:3]
	s_cbranch_vccnz .LBB298_17
.LBB298_13:
	s_andn2_b64 vcc, exec, s[26:27]
	s_cbranch_vccz .LBB298_20
.LBB298_14:
	s_cmp_lt_i32 s20, 1
	s_cbranch_scc0 .LBB298_29
.LBB298_15:
	s_endpgm
.LBB298_16:
	v_cvt_f32_u32_e32 v10, s7
	s_mov_b32 s7, 0x800000
	s_waitcnt lgkmcnt(0)
	v_div_scale_f32 v11, s[28:29], v10, v10, v9
	v_rcp_f32_e32 v12, v11
	v_div_scale_f32 v13, vcc, v9, v10, v9
	v_fma_f32 v14, -v11, v12, 1.0
	v_fmac_f32_e32 v12, v14, v12
	v_mul_f32_e32 v14, v13, v12
	v_fma_f32 v15, -v11, v14, v13
	v_fmac_f32_e32 v14, v15, v12
	v_fma_f32 v11, -v11, v14, v13
	v_div_fmas_f32 v11, v11, v12, v14
	v_div_fixup_f32 v9, v11, v10, v9
	v_add_f32_e32 v9, s18, v9
	v_mul_f32_e32 v10, 0x4b800000, v9
	v_cmp_gt_f32_e32 vcc, s7, v9
	v_cndmask_b32_e32 v9, v9, v10, vcc
	v_rsq_f32_e32 v9, v9
	s_waitcnt vmcnt(0)
	v_cvt_f32_u32_sdwa v11, v6 dst_sel:DWORD dst_unused:UNUSED_PAD src0_sel:WORD_1
	v_cvt_f32_u32_sdwa v10, v6 dst_sel:DWORD dst_unused:UNUSED_PAD src0_sel:WORD_0
	v_cvt_f32_u32_sdwa v13, v7 dst_sel:DWORD dst_unused:UNUSED_PAD src0_sel:WORD_1
	v_cvt_f32_u32_sdwa v12, v7 dst_sel:DWORD dst_unused:UNUSED_PAD src0_sel:WORD_0
	v_mul_f32_e32 v6, 0x45800000, v9
	v_cndmask_b32_e32 v14, v9, v6, vcc
	v_mov_b32_e32 v15, v14
	;;#ASMSTART
	v_pk_mul_f32 v[2:3], v[2:3], v[14:15]
	;;#ASMEND
	;;#ASMSTART
	v_pk_mul_f32 v[4:5], v[4:5], v[14:15]
	;;#ASMEND
	v_pk_add_f32 v[6:7], v[10:11], 1.0 op_sel_hi:[1,0]
	;;#ASMSTART
	v_pk_mul_f32 v[2:3], v[2:3], v[6:7]
	;;#ASMEND
	v_pk_add_f32 v[6:7], v[12:13], 1.0 op_sel_hi:[1,0]
	;;#ASMSTART
	v_pk_mul_f32 v[4:5], v[4:5], v[6:7]
	;;#ASMEND
	s_or_b64 exec, exec, s[26:27]
	s_mov_b64 s[26:27], -1
	s_and_b64 vcc, exec, s[2:3]
	s_cbranch_vccz .LBB298_13
.LBB298_17:
	s_and_saveexec_b64 s[2:3], s[0:1]
	s_cbranch_execz .LBB298_19
; %bb.18:
	s_mul_hi_i32 s27, s12, s6
	s_mul_i32 s26, s12, s6
	s_lshl_b64 s[26:27], s[26:27], 1
	s_waitcnt lgkmcnt(0)
	s_add_u32 s28, s14, s26
	s_addc_u32 s7, s15, s27
	s_and_b32 s29, s7, 0xffff
	s_mov_b32 s7, 0x7060302
	s_mov_b32 s31, 0x20000
	s_waitcnt vmcnt(0)
	v_perm_b32 v6, v3, v2, s7
	v_perm_b32 v7, v5, v4, s7
	v_lshlrev_b32_e32 v9, 3, v0
	buffer_store_dwordx2 v[6:7], v9, s[28:31], 0 offen
	;;#ASMSTART
	s_nop 0
	;;#ASMEND
.LBB298_19:
	s_or_b64 exec, exec, s[2:3]
	s_cbranch_execnz .LBB298_14
.LBB298_20:
	s_waitcnt vmcnt(0)
	v_mov_b32_e32 v6, 0
	s_and_saveexec_b64 s[2:3], s[0:1]
	s_cbranch_execz .LBB298_22
; %bb.21:
	s_load_dwordx2 s[26:27], s[4:5], 0x10
	s_mul_hi_i32 s29, s11, s6
	s_mul_i32 s28, s11, s6
	s_lshl_b64 s[28:29], s[28:29], 1
	s_mov_b32 s31, 0x20000
	s_waitcnt lgkmcnt(0)
	s_add_u32 s28, s26, s28
	s_addc_u32 s7, s27, s29
	s_and_b32 s29, s7, 0xffff
	s_mov_b32 s7, 0x7060302
	v_perm_b32 v6, v3, v2, s7
	v_perm_b32 v7, v5, v4, s7
	v_lshlrev_b32_e32 v9, 3, v0
	buffer_store_dwordx2 v[6:7], v9, s[28:31], 0 offen
	v_mov_b32_e32 v6, 0x2edbe6ff
	;;#ASMSTART
	s_nop 0
	;;#ASMEND
.LBB298_22:
	s_or_b64 exec, exec, s[2:3]
	s_and_saveexec_b64 s[2:3], s[0:1]
	s_cbranch_execz .LBB298_24
; %bb.23:
	v_and_b32_e32 v7, 0x7fffffff, v2
	s_waitcnt lgkmcnt(0)
	v_and_b32_e32 v9, 0x7fffffff, v3
	;;#ASMSTART
	v_max3_f32 v6, v6, v7, v9

	;;#ASMEND
	v_and_b32_e32 v7, 0x7fffffff, v4
	v_and_b32_e32 v9, 0x7fffffff, v5
	;;#ASMSTART
	v_max3_f32 v6, v6, v7, v9

	;;#ASMEND
.LBB298_24:
	s_or_b64 exec, exec, s[2:3]
	;;#ASMSTART
	v_max_f32 v7, v6, v6 quad_perm:[1,0,3,2] row_mask:0xf bank_mask:0xf bound_ctrl:1
	;;#ASMEND
	;;#ASMSTART
	v_max_f32 v6, v7, v7 quad_perm:[2,3,0,1] row_mask:0xf bank_mask:0xf bound_ctrl:1
	;;#ASMEND
	;;#ASMSTART
	v_max_f32 v7, v6, v6 row_half_mirror row_mask:0xf bank_mask:0xf bound_ctrl:1
	;;#ASMEND
	v_mul_f32_e32 v6, 0x3b124925, v7
	v_and_b32_e32 v7, 7, v0
	v_cmp_eq_u32_e32 vcc, 0, v7
	v_cmp_gt_i32_e64 s[2:3], s19, v1
	s_and_b64 s[26:27], vcc, s[2:3]
	s_and_saveexec_b64 s[2:3], s[26:27]
	s_cbranch_execz .LBB298_26
; %bb.25:
	s_load_dwordx2 s[26:27], s[4:5], 0x8
	v_lshrrev_b32_e32 v7, 3, v0
	s_mul_hi_i32 s29, s9, s6
	s_mul_i32 s28, s9, s6
	v_mad_i64_i32 v[10:11], s[10:11], s10, v7, 0
	s_lshl_b64 s[10:11], s[28:29], 2
	s_waitcnt lgkmcnt(0)
	s_add_u32 s7, s26, s10
	s_addc_u32 s9, s27, s11
	v_lshlrev_b64 v[10:11], 2, v[10:11]
	v_mov_b32_e32 v7, s9
	v_add_co_u32_e32 v10, vcc, s7, v10
	v_addc_co_u32_e32 v11, vcc, v7, v11, vcc
	global_store_dword v[10:11], v6, off
.LBB298_26:
	s_or_b64 exec, exec, s[2:3]
	;;#ASMSTART
	v_rcp_f32 v6, v6
	;;#ASMEND
	s_and_saveexec_b64 s[2:3], s[0:1]
	s_cbranch_execz .LBB298_28
; %bb.27:
	s_load_dwordx2 s[0:1], s[4:5], 0x0
	s_mul_hi_i32 s7, s8, s6
	s_mul_i32 s8, s8, s6
	v_mov_b32_e32 v7, v6
	;;#ASMSTART
	v_pk_mul_f32 v[2:3], v[2:3], v[6:7]
	;;#ASMEND
	s_waitcnt lgkmcnt(0)
	s_add_u32 s8, s0, s8
	s_addc_u32 s0, s1, s7
	s_add_i32 s1, s19, 3
	s_ashr_i32 s7, s1, 31
	v_mov_b32_e32 v9, 0xc3e00000
	v_mov_b32_e32 v10, 0x43e00000
	;;#ASMSTART
	v_med3_f32 v2, v2, v9, v10
v_med3_f32 v3, v3, v9, v10
v_cvt_pk_fp8_f32 v11, v2, v3
	;;#ASMEND
	s_and_b32 s9, s0, 0xffff
	s_lshr_b32 s0, s7, 30
	;;#ASMSTART
	v_pk_mul_f32 v[2:3], v[4:5], v[6:7]
	;;#ASMEND
	s_add_i32 s1, s1, s0
	;;#ASMSTART
	v_med3_f32 v2, v2, v9, v10
v_med3_f32 v3, v3, v9, v10
v_cvt_pk_fp8_f32 v4, v2, v3
	;;#ASMEND
	s_mov_b32 s0, 0x5040100
	s_and_b32 s10, s1, -4
	s_mov_b32 s11, 0x20000
	v_perm_b32 v2, v4, v11, s0
	buffer_store_dword v2, v1, s[8:11], 0 offen
	;;#ASMSTART
	s_nop 0
	;;#ASMEND
.LBB298_28:
	s_or_b64 exec, exec, s[2:3]
	s_cmp_lt_i32 s20, 1
	s_cbranch_scc1 .LBB298_15
.LBB298_29:
	s_load_dword s0, s[4:5], 0x94
	s_waitcnt lgkmcnt(0)
	s_cmp_lg_u32 s0, 1
	s_cbranch_scc1 .LBB298_15
; %bb.30:
	s_lshl_b32 s0, s20, 1
	s_add_i32 s0, s0, 2
	v_cmp_gt_u32_e32 vcc, s20, v1
	s_and_b32 s26, s0, -4
	v_mov_b32_e32 v2, 0
	s_waitcnt vmcnt(0)
	v_lshlrev_b32_e32 v6, 3, v0
	v_mov_b32_e32 v3, 0
	v_mov_b32_e32 v0, 0
	;; [unrolled: 1-line block ×3, first 2 shown]
	s_barrier
	s_and_saveexec_b64 s[0:1], vcc
	s_cbranch_execz .LBB298_32
; %bb.31:
	s_mul_hi_i32 s3, s22, s6
	s_mul_i32 s2, s22, s6
	s_and_b32 s25, s25, 0xffff
	s_lshl_b64 s[2:3], s[2:3], 1
	s_add_u32 s8, s34, s2
	s_mov_b32 s27, 0x20000
	s_addc_u32 s2, s35, s3
	s_and_b32 s9, s2, 0xffff
	s_mov_b32 s10, s26
	s_mov_b32 s11, s27
	buffer_load_dwordx2 v[2:3], v6, s[8:11], 0 offen glc slc
	buffer_load_dwordx2 v[0:1], v6, s[24:27], 0 offen
.LBB298_32:
	s_or_b64 exec, exec, s[0:1]
	s_waitcnt vmcnt(1)
	v_cvt_f32_u32_sdwa v5, v3 dst_sel:DWORD dst_unused:UNUSED_PAD src0_sel:WORD_0
	v_cvt_f32_u32_sdwa v7, v2 dst_sel:DWORD dst_unused:UNUSED_PAD src0_sel:WORD_1
	v_cvt_f32_u32_sdwa v4, v3 dst_sel:DWORD dst_unused:UNUSED_PAD src0_sel:WORD_1
	v_cvt_f32_u32_sdwa v9, v2 dst_sel:DWORD dst_unused:UNUSED_PAD src0_sel:WORD_0
	v_cndmask_b32_e32 v2, 0, v5, vcc
	v_cndmask_b32_e32 v5, 0, v7, vcc
	;; [unrolled: 1-line block ×4, first 2 shown]
	v_mul_f32_e32 v7, v5, v5
	v_fmac_f32_e32 v7, v4, v4
	v_fmac_f32_e32 v7, v2, v2
	;; [unrolled: 1-line block ×3, first 2 shown]
	s_nop 1
	v_mov_b32_dpp v9, v7 quad_perm:[1,0,3,2] row_mask:0xf bank_mask:0xf
	v_add_f32_e32 v7, v7, v9
	s_nop 1
	v_mov_b32_dpp v9, v7 quad_perm:[2,3,0,1] row_mask:0xf bank_mask:0xf
	v_add_f32_e32 v7, v7, v9
	s_nop 1
	v_mov_b32_dpp v9, v7 row_half_mirror row_mask:0xf bank_mask:0xf
	v_add_f32_e32 v7, v7, v9
	s_nop 1
	v_mov_b32_dpp v9, v7 row_mirror row_mask:0xf bank_mask:0xf
	v_add_f32_e32 v7, v7, v9
	s_nop 1
	v_mov_b32_dpp v9, v7 row_bcast:15 row_mask:0xf bank_mask:0xf
	v_add_f32_e32 v7, v7, v9
	s_nop 1
	v_mov_b32_dpp v9, v7 row_bcast:31 row_mask:0xf bank_mask:0xf
	v_add_f32_e32 v7, v7, v9
	ds_bpermute_b32 v7, v8, v7
	s_and_saveexec_b64 s[0:1], vcc
	s_cbranch_execz .LBB298_15
; %bb.33:
	v_cvt_f32_u32_e32 v8, s20
	s_mov_b32 s27, 0x20000
	s_waitcnt lgkmcnt(0)
	v_div_scale_f32 v9, s[0:1], v8, v8, v7
	v_rcp_f32_e32 v10, v9
	v_div_scale_f32 v11, vcc, v7, v8, v7
	s_mov_b32 s0, 0x800000
	v_fma_f32 v12, -v9, v10, 1.0
	v_fmac_f32_e32 v10, v12, v10
	v_mul_f32_e32 v12, v11, v10
	v_fma_f32 v13, -v9, v12, v11
	v_fmac_f32_e32 v12, v13, v10
	v_fma_f32 v9, -v9, v12, v11
	v_div_fmas_f32 v9, v9, v10, v12
	v_div_fixup_f32 v7, v9, v8, v7
	v_add_f32_e32 v7, s17, v7
	v_mul_f32_e32 v8, 0x4b800000, v7
	v_cmp_gt_f32_e32 vcc, s0, v7
	v_cndmask_b32_e32 v7, v7, v8, vcc
	v_rsq_f32_e32 v7, v7
	s_waitcnt vmcnt(0)
	v_cvt_f32_u32_sdwa v9, v0 dst_sel:DWORD dst_unused:UNUSED_PAD src0_sel:WORD_1
	v_cvt_f32_u32_sdwa v8, v0 dst_sel:DWORD dst_unused:UNUSED_PAD src0_sel:WORD_0
	s_mul_hi_i32 s1, s12, s6
	s_mul_i32 s0, s12, s6
	v_cvt_f32_u32_sdwa v11, v1 dst_sel:DWORD dst_unused:UNUSED_PAD src0_sel:WORD_1
	v_mul_f32_e32 v0, 0x45800000, v7
	v_cvt_f32_u32_sdwa v10, v1 dst_sel:DWORD dst_unused:UNUSED_PAD src0_sel:WORD_0
	s_lshl_b64 s[0:1], s[0:1], 1
	v_cndmask_b32_e32 v12, v7, v0, vcc
	s_add_u32 s24, s14, s0
	v_mov_b32_e32 v13, v12
	;;#ASMSTART
	v_pk_mul_f32 v[4:5], v[4:5], v[12:13]
	;;#ASMEND
	;;#ASMSTART
	v_pk_mul_f32 v[0:1], v[2:3], v[12:13]
	;;#ASMEND
	v_pk_add_f32 v[2:3], v[8:9], 1.0 op_sel_hi:[1,0]
	s_addc_u32 s0, s15, s1
	;;#ASMSTART
	v_pk_mul_f32 v[2:3], v[4:5], v[2:3]
	;;#ASMEND
	s_and_b32 s25, s0, 0xffff
	s_mov_b32 s0, 0x7060302
	v_pk_add_f32 v[4:5], v[10:11], 1.0 op_sel_hi:[1,0]
	;;#ASMSTART
	v_pk_mul_f32 v[0:1], v[0:1], v[4:5]
	;;#ASMEND
	v_perm_b32 v2, v3, v2, s0
	v_perm_b32 v3, v1, v0, s0
	buffer_store_dwordx2 v[2:3], v6, s[24:27], 0 offen
	;;#ASMSTART
	s_nop 0
	;;#ASMEND
	s_endpgm
	.section	.rodata,"a",@progbits
	.p2align	6, 0x0
	.amdhsa_kernel _ZN5aiter35fused_qk_rmsnorm_group_quant_kernelItDB8_Li64ELi4ELi8ELb1ELb1ELb1ELb0ELb0ELb0EEEvPT0_PvPT_S6_S6_PKS5_S8_S8_S8_S8_ffiiiiiiiiiiiii
		.amdhsa_group_segment_fixed_size 0
		.amdhsa_private_segment_fixed_size 0
		.amdhsa_kernarg_size 400
		.amdhsa_user_sgpr_count 6
		.amdhsa_user_sgpr_private_segment_buffer 1
		.amdhsa_user_sgpr_dispatch_ptr 0
		.amdhsa_user_sgpr_queue_ptr 0
		.amdhsa_user_sgpr_kernarg_segment_ptr 1
		.amdhsa_user_sgpr_dispatch_id 0
		.amdhsa_user_sgpr_flat_scratch_init 0
		.amdhsa_user_sgpr_kernarg_preload_length 0
		.amdhsa_user_sgpr_kernarg_preload_offset 0
		.amdhsa_user_sgpr_private_segment_size 0
		.amdhsa_uses_dynamic_stack 0
		.amdhsa_system_sgpr_private_segment_wavefront_offset 0
		.amdhsa_system_sgpr_workgroup_id_x 1
		.amdhsa_system_sgpr_workgroup_id_y 1
		.amdhsa_system_sgpr_workgroup_id_z 0
		.amdhsa_system_sgpr_workgroup_info 0
		.amdhsa_system_vgpr_workitem_id 0
		.amdhsa_next_free_vgpr 16
		.amdhsa_next_free_sgpr 40
		.amdhsa_accum_offset 16
		.amdhsa_reserve_vcc 1
		.amdhsa_reserve_flat_scratch 0
		.amdhsa_float_round_mode_32 0
		.amdhsa_float_round_mode_16_64 0
		.amdhsa_float_denorm_mode_32 3
		.amdhsa_float_denorm_mode_16_64 3
		.amdhsa_dx10_clamp 1
		.amdhsa_ieee_mode 1
		.amdhsa_fp16_overflow 0
		.amdhsa_tg_split 0
		.amdhsa_exception_fp_ieee_invalid_op 0
		.amdhsa_exception_fp_denorm_src 0
		.amdhsa_exception_fp_ieee_div_zero 0
		.amdhsa_exception_fp_ieee_overflow 0
		.amdhsa_exception_fp_ieee_underflow 0
		.amdhsa_exception_fp_ieee_inexact 0
		.amdhsa_exception_int_div_zero 0
	.end_amdhsa_kernel
	.section	.text._ZN5aiter35fused_qk_rmsnorm_group_quant_kernelItDB8_Li64ELi4ELi8ELb1ELb1ELb1ELb0ELb0ELb0EEEvPT0_PvPT_S6_S6_PKS5_S8_S8_S8_S8_ffiiiiiiiiiiiii,"axG",@progbits,_ZN5aiter35fused_qk_rmsnorm_group_quant_kernelItDB8_Li64ELi4ELi8ELb1ELb1ELb1ELb0ELb0ELb0EEEvPT0_PvPT_S6_S6_PKS5_S8_S8_S8_S8_ffiiiiiiiiiiiii,comdat
.Lfunc_end298:
	.size	_ZN5aiter35fused_qk_rmsnorm_group_quant_kernelItDB8_Li64ELi4ELi8ELb1ELb1ELb1ELb0ELb0ELb0EEEvPT0_PvPT_S6_S6_PKS5_S8_S8_S8_S8_ffiiiiiiiiiiiii, .Lfunc_end298-_ZN5aiter35fused_qk_rmsnorm_group_quant_kernelItDB8_Li64ELi4ELi8ELb1ELb1ELb1ELb0ELb0ELb0EEEvPT0_PvPT_S6_S6_PKS5_S8_S8_S8_S8_ffiiiiiiiiiiiii
                                        ; -- End function
	.section	.AMDGPU.csdata,"",@progbits
; Kernel info:
; codeLenInByte = 2308
; NumSgprs: 44
; NumVgprs: 16
; NumAgprs: 0
; TotalNumVgprs: 16
; ScratchSize: 0
; MemoryBound: 0
; FloatMode: 240
; IeeeMode: 1
; LDSByteSize: 0 bytes/workgroup (compile time only)
; SGPRBlocks: 5
; VGPRBlocks: 1
; NumSGPRsForWavesPerEU: 44
; NumVGPRsForWavesPerEU: 16
; AccumOffset: 16
; Occupancy: 8
; WaveLimiterHint : 0
; COMPUTE_PGM_RSRC2:SCRATCH_EN: 0
; COMPUTE_PGM_RSRC2:USER_SGPR: 6
; COMPUTE_PGM_RSRC2:TRAP_HANDLER: 0
; COMPUTE_PGM_RSRC2:TGID_X_EN: 1
; COMPUTE_PGM_RSRC2:TGID_Y_EN: 1
; COMPUTE_PGM_RSRC2:TGID_Z_EN: 0
; COMPUTE_PGM_RSRC2:TIDIG_COMP_CNT: 0
; COMPUTE_PGM_RSRC3_GFX90A:ACCUM_OFFSET: 3
; COMPUTE_PGM_RSRC3_GFX90A:TG_SPLIT: 0
	.section	.text._ZN5aiter35fused_qk_rmsnorm_group_quant_kernelIDF16_DB8_Li64ELi4ELi8ELb1ELb1ELb0ELb0ELb0ELb0EEEvPT0_PvPT_S6_S6_PKS5_S8_S8_S8_S8_ffiiiiiiiiiiiii,"axG",@progbits,_ZN5aiter35fused_qk_rmsnorm_group_quant_kernelIDF16_DB8_Li64ELi4ELi8ELb1ELb1ELb0ELb0ELb0ELb0EEEvPT0_PvPT_S6_S6_PKS5_S8_S8_S8_S8_ffiiiiiiiiiiiii,comdat
	.protected	_ZN5aiter35fused_qk_rmsnorm_group_quant_kernelIDF16_DB8_Li64ELi4ELi8ELb1ELb1ELb0ELb0ELb0ELb0EEEvPT0_PvPT_S6_S6_PKS5_S8_S8_S8_S8_ffiiiiiiiiiiiii ; -- Begin function _ZN5aiter35fused_qk_rmsnorm_group_quant_kernelIDF16_DB8_Li64ELi4ELi8ELb1ELb1ELb0ELb0ELb0ELb0EEEvPT0_PvPT_S6_S6_PKS5_S8_S8_S8_S8_ffiiiiiiiiiiiii
	.globl	_ZN5aiter35fused_qk_rmsnorm_group_quant_kernelIDF16_DB8_Li64ELi4ELi8ELb1ELb1ELb0ELb0ELb0ELb0EEEvPT0_PvPT_S6_S6_PKS5_S8_S8_S8_S8_ffiiiiiiiiiiiii
	.p2align	8
	.type	_ZN5aiter35fused_qk_rmsnorm_group_quant_kernelIDF16_DB8_Li64ELi4ELi8ELb1ELb1ELb0ELb0ELb0ELb0EEEvPT0_PvPT_S6_S6_PKS5_S8_S8_S8_S8_ffiiiiiiiiiiiii,@function
_ZN5aiter35fused_qk_rmsnorm_group_quant_kernelIDF16_DB8_Li64ELi4ELi8ELb1ELb1ELb0ELb0ELb0ELb0EEEvPT0_PvPT_S6_S6_PKS5_S8_S8_S8_S8_ffiiiiiiiiiiiii: ; @_ZN5aiter35fused_qk_rmsnorm_group_quant_kernelIDF16_DB8_Li64ELi4ELi8ELb1ELb1ELb0ELb0ELb0ELb0EEEvPT0_PvPT_S6_S6_PKS5_S8_S8_S8_S8_ffiiiiiiiiiiiii
; %bb.0:
	s_load_dwordx8 s[16:23], s[4:5], 0x50
	s_waitcnt lgkmcnt(0)
	s_cmp_ge_i32 s6, s18
	s_cbranch_scc1 .LBB299_15
; %bb.1:
	s_cmp_lg_u32 s7, 0
	s_cselect_b64 s[2:3], -1, 0
	s_cmp_eq_u32 s7, 0
	s_cselect_b64 s[26:27], -1, 0
	s_and_b64 s[0:1], s[26:27], exec
	s_load_dwordx2 s[24:25], s[4:5], 0x48
	s_load_dwordx2 s[34:35], s[4:5], 0x30
	s_load_dwordx8 s[8:15], s[4:5], 0x70
	s_cselect_b32 s7, s19, s20
	s_add_i32 s0, s7, 1
	s_lshr_b32 s1, s0, 31
	s_add_i32 s0, s0, s1
	s_lshl_b32 s0, s0, 1
	v_lshlrev_b32_e32 v1, 2, v0
	s_and_b32 s30, s0, -4
	v_cmp_gt_i32_e64 s[0:1], s7, v1
	v_mov_b32_e32 v8, 0
	v_mov_b32_e32 v9, 0
	;; [unrolled: 1-line block ×4, first 2 shown]
	s_waitcnt lgkmcnt(0)
	s_and_saveexec_b64 s[14:15], s[0:1]
	s_cbranch_execz .LBB299_3
; %bb.2:
	s_load_dwordx2 s[28:29], s[4:5], 0x28
	s_load_dwordx2 s[38:39], s[4:5], 0x40
	s_and_b64 s[36:37], s[26:27], exec
	s_cselect_b32 s18, s21, s22
	v_lshlrev_b32_e32 v2, 3, v0
	s_waitcnt lgkmcnt(0)
	s_cselect_b32 s21, s29, s35
	s_cselect_b32 s31, s28, s34
	s_mul_hi_i32 s29, s18, s6
	s_mul_i32 s28, s18, s6
	s_lshl_b64 s[28:29], s[28:29], 1
	s_add_u32 s36, s31, s28
	s_addc_u32 s18, s21, s29
	s_and_b64 s[26:27], s[26:27], exec
	s_mov_b32 s31, 0x20000
	s_cselect_b32 s28, s38, s24
	s_cselect_b32 s21, s39, s25
	s_and_b32 s37, s18, 0xffff
	s_mov_b32 s38, s30
	s_mov_b32 s39, s31
	s_and_b32 s29, s21, 0xffff
	buffer_load_dwordx2 v[10:11], v2, s[36:39], 0 offen glc slc
	buffer_load_dwordx2 v[8:9], v2, s[28:31], 0 offen
.LBB299_3:
	s_or_b64 exec, exec, s[14:15]
	s_and_b64 vcc, exec, s[2:3]
	s_cbranch_vccz .LBB299_7
; %bb.4:
	v_mov_b32_e32 v7, 0
	v_mov_b32_e32 v6, 0
	;; [unrolled: 1-line block ×4, first 2 shown]
	s_and_saveexec_b64 s[14:15], s[0:1]
	s_cbranch_execz .LBB299_6
; %bb.5:
	s_waitcnt vmcnt(1)
	v_cvt_f32_f16_sdwa v3, v10 dst_sel:DWORD dst_unused:UNUSED_PAD src0_sel:WORD_1
	v_cvt_f32_f16_e32 v2, v10
	v_cvt_f32_f16_sdwa v7, v11 dst_sel:DWORD dst_unused:UNUSED_PAD src0_sel:WORD_1
	v_cvt_f32_f16_e32 v6, v11
.LBB299_6:
	s_or_b64 exec, exec, s[14:15]
	s_mov_b32 s18, s17
	s_cbranch_execz .LBB299_8
	s_branch .LBB299_11
.LBB299_7:
                                        ; implicit-def: $vgpr7
                                        ; implicit-def: $vgpr2_vgpr3_vgpr4_vgpr5
	s_mov_b32 s18, s17
.LBB299_8:
	v_mov_b32_e32 v7, 0
	v_mov_b32_e32 v6, 0
	;; [unrolled: 1-line block ×4, first 2 shown]
	s_and_saveexec_b64 s[14:15], s[0:1]
	s_cbranch_execz .LBB299_10
; %bb.9:
	s_load_dwordx2 s[26:27], s[4:5], 0x38
	s_mul_hi_i32 s29, s23, s6
	s_mul_i32 s28, s23, s6
	s_lshl_b64 s[28:29], s[28:29], 1
	s_mov_b32 s31, 0x20000
	s_waitcnt lgkmcnt(0)
	s_add_u32 s28, s26, s28
	s_addc_u32 s18, s27, s29
	s_and_b32 s29, s18, 0xffff
	v_lshlrev_b32_e32 v14, 3, v0
	buffer_load_dwordx2 v[2:3], v14, s[28:31], 0 offen glc slc
	s_waitcnt vmcnt(2)
	v_cvt_f32_f16_sdwa v5, v10 dst_sel:DWORD dst_unused:UNUSED_PAD src0_sel:WORD_1
	v_cvt_f32_f16_e32 v4, v10
	v_cvt_f32_f16_sdwa v7, v11 dst_sel:DWORD dst_unused:UNUSED_PAD src0_sel:WORD_1
	v_cvt_f32_f16_e32 v6, v11
	s_load_dwordx2 s[26:27], s[4:5], 0x20
	s_mul_hi_i32 s29, s13, s6
	s_mul_i32 s28, s13, s6
	s_lshl_b64 s[28:29], s[28:29], 1
	s_waitcnt lgkmcnt(0)
	s_add_u32 s28, s26, s28
	s_addc_u32 s13, s27, s29
	s_and_b32 s29, s13, 0xffff
	s_waitcnt vmcnt(0)
	v_cvt_f32_f16_e32 v10, v2
	v_cvt_f32_f16_sdwa v11, v2 dst_sel:DWORD dst_unused:UNUSED_PAD src0_sel:WORD_1
	v_cvt_f32_f16_e32 v12, v3
	v_cvt_f32_f16_sdwa v13, v3 dst_sel:DWORD dst_unused:UNUSED_PAD src0_sel:WORD_1
	v_pk_add_f32 v[2:3], v[4:5], v[10:11]
	v_cvt_f16_f32_e32 v4, v3
	v_pk_add_f32 v[6:7], v[6:7], v[12:13]
	v_cvt_f16_f32_e32 v5, v7
	v_cvt_f16_f32_e32 v10, v6
	;; [unrolled: 1-line block ×3, first 2 shown]
	v_pack_b32_f16 v5, v10, v5
	v_pack_b32_f16 v4, v11, v4
	buffer_store_dwordx2 v[4:5], v14, s[28:31], 0 offen glc slc
	;;#ASMSTART
	s_nop 0
	;;#ASMEND
.LBB299_10:
	s_or_b64 exec, exec, s[14:15]
	s_mov_b32 s18, s16
.LBB299_11:
	v_mul_f32_e32 v4, v3, v3
	v_fmac_f32_e32 v4, v2, v2
	v_fmac_f32_e32 v4, v6, v6
	;; [unrolled: 1-line block ×3, first 2 shown]
	s_waitcnt vmcnt(1)
	v_bfrev_b32_e32 v10, 0.5
	s_load_dwordx2 s[14:15], s[4:5], 0x18
	v_mov_b32_dpp v5, v4 quad_perm:[1,0,3,2] row_mask:0xf bank_mask:0xf
	v_add_f32_e32 v4, v4, v5
	s_nop 1
	v_mov_b32_dpp v5, v4 quad_perm:[2,3,0,1] row_mask:0xf bank_mask:0xf
	v_add_f32_e32 v4, v4, v5
	s_nop 1
	v_mov_b32_dpp v5, v4 row_half_mirror row_mask:0xf bank_mask:0xf
	v_add_f32_e32 v4, v4, v5
	s_nop 1
	v_mov_b32_dpp v5, v4 row_mirror row_mask:0xf bank_mask:0xf
	v_add_f32_e32 v4, v4, v5
	s_nop 1
	v_mov_b32_dpp v5, v4 row_bcast:15 row_mask:0xf bank_mask:0xf
	v_add_f32_e32 v4, v4, v5
	s_nop 1
	v_mov_b32_dpp v5, v4 row_bcast:31 row_mask:0xf bank_mask:0xf
	v_add_f32_e32 v4, v4, v5
	v_mbcnt_lo_u32_b32 v5, -1, 0
	v_mbcnt_hi_u32_b32 v5, -1, v5
	v_lshl_or_b32 v10, v5, 2, v10
	ds_bpermute_b32 v4, v10, v4
	s_and_saveexec_b64 s[26:27], s[0:1]
	s_cbranch_execnz .LBB299_16
; %bb.12:
	s_or_b64 exec, exec, s[26:27]
	s_mov_b64 s[26:27], -1
	s_and_b64 vcc, exec, s[2:3]
	s_cbranch_vccnz .LBB299_17
.LBB299_13:
	s_andn2_b64 vcc, exec, s[26:27]
	s_cbranch_vccz .LBB299_20
.LBB299_14:
	s_cmp_lt_i32 s20, 1
	s_cbranch_scc0 .LBB299_29
.LBB299_15:
	s_endpgm
.LBB299_16:
	v_cvt_f32_u32_e32 v5, s7
	s_mov_b32 s7, 0x800000
	s_waitcnt lgkmcnt(0)
	v_div_scale_f32 v11, s[28:29], v5, v5, v4
	v_rcp_f32_e32 v12, v11
	v_div_scale_f32 v13, vcc, v4, v5, v4
	v_fma_f32 v14, -v11, v12, 1.0
	v_fmac_f32_e32 v12, v14, v12
	v_mul_f32_e32 v14, v13, v12
	v_fma_f32 v15, -v11, v14, v13
	v_fmac_f32_e32 v14, v15, v12
	v_fma_f32 v11, -v11, v14, v13
	v_div_fmas_f32 v11, v11, v12, v14
	v_div_fixup_f32 v4, v11, v5, v4
	v_add_f32_e32 v4, s18, v4
	v_mul_f32_e32 v5, 0x4b800000, v4
	v_cmp_gt_f32_e32 vcc, s7, v4
	v_cndmask_b32_e32 v4, v4, v5, vcc
	v_rsq_f32_e32 v11, v4
	s_waitcnt vmcnt(0)
	v_cvt_f32_f16_sdwa v5, v8 dst_sel:DWORD dst_unused:UNUSED_PAD src0_sel:WORD_1
	v_cvt_f32_f16_e32 v4, v8
	v_cvt_f32_f16_sdwa v13, v9 dst_sel:DWORD dst_unused:UNUSED_PAD src0_sel:WORD_1
	v_mul_f32_e32 v8, 0x45800000, v11
	v_cndmask_b32_e32 v14, v11, v8, vcc
	v_mov_b32_e32 v15, v14
	;;#ASMSTART
	v_pk_mul_f32 v[2:3], v[2:3], v[14:15]
	;;#ASMEND
	;;#ASMSTART
	v_pk_mul_f32 v[6:7], v[6:7], v[14:15]
	;;#ASMEND
	v_cvt_f32_f16_e32 v12, v9
	;;#ASMSTART
	v_pk_mul_f32 v[2:3], v[2:3], v[4:5]
	;;#ASMEND
	;;#ASMSTART
	v_pk_mul_f32 v[6:7], v[6:7], v[12:13]
	;;#ASMEND
	s_or_b64 exec, exec, s[26:27]
	s_mov_b64 s[26:27], -1
	s_and_b64 vcc, exec, s[2:3]
	s_cbranch_vccz .LBB299_13
.LBB299_17:
	s_and_saveexec_b64 s[2:3], s[0:1]
	s_cbranch_execz .LBB299_19
; %bb.18:
	s_mul_hi_i32 s27, s12, s6
	s_mul_i32 s26, s12, s6
	s_waitcnt lgkmcnt(0)
	v_cvt_f16_f32_e32 v4, v2
	v_cvt_f16_f32_e32 v5, v6
	s_waitcnt vmcnt(0)
	v_cvt_f16_f32_e32 v8, v7
	v_cvt_f16_f32_e32 v9, v3
	s_lshl_b64 s[26:27], s[26:27], 1
	s_add_u32 s28, s14, s26
	s_addc_u32 s7, s15, s27
	s_and_b32 s29, s7, 0xffff
	s_mov_b32 s31, 0x20000
	v_pack_b32_f16 v5, v5, v8
	v_pack_b32_f16 v4, v4, v9
	v_lshlrev_b32_e32 v8, 3, v0
	buffer_store_dwordx2 v[4:5], v8, s[28:31], 0 offen
	;;#ASMSTART
	s_nop 0
	;;#ASMEND
.LBB299_19:
	s_or_b64 exec, exec, s[2:3]
	s_cbranch_execnz .LBB299_14
.LBB299_20:
	s_waitcnt lgkmcnt(0)
	v_mov_b32_e32 v4, 0
	s_and_saveexec_b64 s[2:3], s[0:1]
	s_cbranch_execz .LBB299_22
; %bb.21:
	s_load_dwordx2 s[26:27], s[4:5], 0x10
	s_mul_hi_i32 s29, s11, s6
	s_mul_i32 s28, s11, s6
	v_cvt_f16_f32_e32 v4, v2
	v_cvt_f16_f32_e32 v5, v6
	s_waitcnt vmcnt(0)
	v_cvt_f16_f32_e32 v8, v7
	v_cvt_f16_f32_e32 v9, v3
	s_lshl_b64 s[28:29], s[28:29], 1
	s_waitcnt lgkmcnt(0)
	s_add_u32 s28, s26, s28
	s_addc_u32 s7, s27, s29
	s_and_b32 s29, s7, 0xffff
	s_mov_b32 s31, 0x20000
	v_pack_b32_f16 v5, v5, v8
	v_pack_b32_f16 v4, v4, v9
	v_lshlrev_b32_e32 v8, 3, v0
	buffer_store_dwordx2 v[4:5], v8, s[28:31], 0 offen
	v_mov_b32_e32 v4, 0x2edbe6ff
	;;#ASMSTART
	s_nop 0
	;;#ASMEND
.LBB299_22:
	s_or_b64 exec, exec, s[2:3]
	s_and_saveexec_b64 s[2:3], s[0:1]
	s_cbranch_execz .LBB299_24
; %bb.23:
	v_and_b32_e32 v5, 0x7fffffff, v2
	s_waitcnt vmcnt(0)
	v_and_b32_e32 v8, 0x7fffffff, v3
	;;#ASMSTART
	v_max3_f32 v4, v4, v5, v8

	;;#ASMEND
	v_and_b32_e32 v5, 0x7fffffff, v6
	v_and_b32_e32 v8, 0x7fffffff, v7
	;;#ASMSTART
	v_max3_f32 v4, v4, v5, v8

	;;#ASMEND
.LBB299_24:
	s_or_b64 exec, exec, s[2:3]
	;;#ASMSTART
	v_max_f32 v5, v4, v4 quad_perm:[1,0,3,2] row_mask:0xf bank_mask:0xf bound_ctrl:1
	;;#ASMEND
	;;#ASMSTART
	v_max_f32 v4, v5, v5 quad_perm:[2,3,0,1] row_mask:0xf bank_mask:0xf bound_ctrl:1
	;;#ASMEND
	;;#ASMSTART
	v_max_f32 v5, v4, v4 row_half_mirror row_mask:0xf bank_mask:0xf bound_ctrl:1
	;;#ASMEND
	v_mul_f32_e32 v4, 0x3b124925, v5
	v_and_b32_e32 v5, 7, v0
	v_cmp_eq_u32_e32 vcc, 0, v5
	v_cmp_gt_i32_e64 s[2:3], s19, v1
	s_and_b64 s[26:27], vcc, s[2:3]
	s_and_saveexec_b64 s[2:3], s[26:27]
	s_cbranch_execz .LBB299_26
; %bb.25:
	s_load_dwordx2 s[26:27], s[4:5], 0x8
	v_lshrrev_b32_e32 v5, 3, v0
	s_mul_hi_i32 s29, s9, s6
	s_mul_i32 s28, s9, s6
	s_waitcnt vmcnt(0)
	v_mad_i64_i32 v[8:9], s[10:11], s10, v5, 0
	s_lshl_b64 s[10:11], s[28:29], 2
	s_waitcnt lgkmcnt(0)
	s_add_u32 s7, s26, s10
	s_addc_u32 s9, s27, s11
	v_lshlrev_b64 v[8:9], 2, v[8:9]
	v_mov_b32_e32 v5, s9
	v_add_co_u32_e32 v8, vcc, s7, v8
	v_addc_co_u32_e32 v9, vcc, v5, v9, vcc
	global_store_dword v[8:9], v4, off
.LBB299_26:
	s_or_b64 exec, exec, s[2:3]
	;;#ASMSTART
	v_rcp_f32 v4, v4
	;;#ASMEND
	s_and_saveexec_b64 s[2:3], s[0:1]
	s_cbranch_execz .LBB299_28
; %bb.27:
	s_load_dwordx2 s[0:1], s[4:5], 0x0
	s_mul_hi_i32 s7, s8, s6
	s_mul_i32 s8, s8, s6
	v_mov_b32_e32 v5, v4
	;;#ASMSTART
	v_pk_mul_f32 v[2:3], v[2:3], v[4:5]
	;;#ASMEND
	s_waitcnt lgkmcnt(0)
	s_add_u32 s8, s0, s8
	s_addc_u32 s0, s1, s7
	s_add_i32 s1, s19, 3
	s_ashr_i32 s7, s1, 31
	s_waitcnt vmcnt(0)
	v_mov_b32_e32 v8, 0xc3e00000
	v_mov_b32_e32 v9, 0x43e00000
	;;#ASMSTART
	v_med3_f32 v2, v2, v8, v9
v_med3_f32 v3, v3, v8, v9
v_cvt_pk_fp8_f32 v11, v2, v3
	;;#ASMEND
	s_and_b32 s9, s0, 0xffff
	s_lshr_b32 s0, s7, 30
	;;#ASMSTART
	v_pk_mul_f32 v[2:3], v[6:7], v[4:5]
	;;#ASMEND
	s_add_i32 s1, s1, s0
	;;#ASMSTART
	v_med3_f32 v2, v2, v8, v9
v_med3_f32 v3, v3, v8, v9
v_cvt_pk_fp8_f32 v4, v2, v3
	;;#ASMEND
	s_mov_b32 s0, 0x5040100
	s_and_b32 s10, s1, -4
	s_mov_b32 s11, 0x20000
	v_perm_b32 v2, v4, v11, s0
	buffer_store_dword v2, v1, s[8:11], 0 offen
	;;#ASMSTART
	s_nop 0
	;;#ASMEND
.LBB299_28:
	s_or_b64 exec, exec, s[2:3]
	s_cmp_lt_i32 s20, 1
	s_cbranch_scc1 .LBB299_15
.LBB299_29:
	s_load_dword s0, s[4:5], 0x94
	s_waitcnt lgkmcnt(0)
	s_cmp_lg_u32 s0, 1
	s_cbranch_scc1 .LBB299_15
; %bb.30:
	s_lshl_b32 s0, s20, 1
	s_add_i32 s0, s0, 2
	v_cmp_gt_u32_e32 vcc, s20, v1
	s_and_b32 s26, s0, -4
	v_mov_b32_e32 v2, 0
	v_lshlrev_b32_e32 v6, 3, v0
	v_mov_b32_e32 v3, 0
	v_mov_b32_e32 v0, 0
	;; [unrolled: 1-line block ×3, first 2 shown]
	s_barrier
	s_and_saveexec_b64 s[0:1], vcc
	s_cbranch_execz .LBB299_32
; %bb.31:
	s_mul_hi_i32 s3, s22, s6
	s_mul_i32 s2, s22, s6
	s_and_b32 s25, s25, 0xffff
	s_lshl_b64 s[2:3], s[2:3], 1
	s_add_u32 s8, s34, s2
	s_mov_b32 s27, 0x20000
	s_addc_u32 s2, s35, s3
	s_and_b32 s9, s2, 0xffff
	s_mov_b32 s10, s26
	s_mov_b32 s11, s27
	buffer_load_dwordx2 v[2:3], v6, s[8:11], 0 offen glc slc
	buffer_load_dwordx2 v[0:1], v6, s[24:27], 0 offen
.LBB299_32:
	s_or_b64 exec, exec, s[0:1]
	s_waitcnt vmcnt(1)
	v_cvt_f32_f16_e32 v4, v3
	v_cvt_f32_f16_e32 v5, v2
	v_cvt_f32_f16_sdwa v7, v2 dst_sel:DWORD dst_unused:UNUSED_PAD src0_sel:WORD_1
	v_cvt_f32_f16_sdwa v3, v3 dst_sel:DWORD dst_unused:UNUSED_PAD src0_sel:WORD_1
	v_cndmask_b32_e32 v2, 0, v4, vcc
	v_cndmask_b32_e32 v4, 0, v5, vcc
	;; [unrolled: 1-line block ×3, first 2 shown]
	v_mul_f32_e32 v7, v5, v5
	v_fmac_f32_e32 v7, v4, v4
	v_cndmask_b32_e32 v3, 0, v3, vcc
	v_fmac_f32_e32 v7, v2, v2
	v_fmac_f32_e32 v7, v3, v3
	s_waitcnt vmcnt(0)
	s_nop 0
	v_mov_b32_dpp v8, v7 quad_perm:[1,0,3,2] row_mask:0xf bank_mask:0xf
	v_add_f32_e32 v7, v7, v8
	s_nop 1
	v_mov_b32_dpp v8, v7 quad_perm:[2,3,0,1] row_mask:0xf bank_mask:0xf
	v_add_f32_e32 v7, v7, v8
	s_nop 1
	v_mov_b32_dpp v8, v7 row_half_mirror row_mask:0xf bank_mask:0xf
	v_add_f32_e32 v7, v7, v8
	s_nop 1
	v_mov_b32_dpp v8, v7 row_mirror row_mask:0xf bank_mask:0xf
	v_add_f32_e32 v7, v7, v8
	s_nop 1
	v_mov_b32_dpp v8, v7 row_bcast:15 row_mask:0xf bank_mask:0xf
	v_add_f32_e32 v7, v7, v8
	s_nop 1
	v_mov_b32_dpp v8, v7 row_bcast:31 row_mask:0xf bank_mask:0xf
	v_add_f32_e32 v7, v7, v8
	ds_bpermute_b32 v7, v10, v7
	s_and_saveexec_b64 s[0:1], vcc
	s_cbranch_execz .LBB299_15
; %bb.33:
	v_cvt_f32_u32_e32 v8, s20
	s_mov_b32 s27, 0x20000
	s_waitcnt lgkmcnt(0)
	v_div_scale_f32 v9, s[0:1], v8, v8, v7
	v_rcp_f32_e32 v10, v9
	v_div_scale_f32 v11, vcc, v7, v8, v7
	s_mov_b32 s0, 0x800000
	v_fma_f32 v12, -v9, v10, 1.0
	v_fmac_f32_e32 v10, v12, v10
	v_mul_f32_e32 v12, v11, v10
	v_fma_f32 v13, -v9, v12, v11
	v_fmac_f32_e32 v12, v13, v10
	v_fma_f32 v9, -v9, v12, v11
	v_div_fmas_f32 v9, v9, v10, v12
	v_div_fixup_f32 v7, v9, v8, v7
	v_add_f32_e32 v7, s17, v7
	v_mul_f32_e32 v8, 0x4b800000, v7
	v_cmp_gt_f32_e32 vcc, s0, v7
	v_cndmask_b32_e32 v7, v7, v8, vcc
	v_rsq_f32_e32 v7, v7
	v_cvt_f32_f16_sdwa v9, v0 dst_sel:DWORD dst_unused:UNUSED_PAD src0_sel:WORD_1
	v_cvt_f32_f16_e32 v8, v0
	v_cvt_f32_f16_sdwa v11, v1 dst_sel:DWORD dst_unused:UNUSED_PAD src0_sel:WORD_1
	v_mul_f32_e32 v0, 0x45800000, v7
	v_cndmask_b32_e32 v12, v7, v0, vcc
	v_mov_b32_e32 v13, v12
	v_cvt_f32_f16_e32 v10, v1
	;;#ASMSTART
	v_pk_mul_f32 v[0:1], v[4:5], v[12:13]
	;;#ASMEND
	;;#ASMSTART
	v_pk_mul_f32 v[2:3], v[2:3], v[12:13]
	;;#ASMEND
	;; [unrolled: 3-line block ×4, first 2 shown]
	s_mul_hi_i32 s1, s12, s6
	s_mul_i32 s0, s12, s6
	v_cvt_f16_f32_e32 v0, v0
	v_cvt_f16_f32_e32 v1, v1
	;; [unrolled: 1-line block ×4, first 2 shown]
	s_lshl_b64 s[0:1], s[0:1], 1
	s_add_u32 s24, s14, s0
	s_addc_u32 s0, s15, s1
	s_and_b32 s25, s0, 0xffff
	v_pack_b32_f16 v0, v0, v1
	v_pack_b32_f16 v1, v2, v3
	buffer_store_dwordx2 v[0:1], v6, s[24:27], 0 offen
	;;#ASMSTART
	s_nop 0
	;;#ASMEND
	s_endpgm
	.section	.rodata,"a",@progbits
	.p2align	6, 0x0
	.amdhsa_kernel _ZN5aiter35fused_qk_rmsnorm_group_quant_kernelIDF16_DB8_Li64ELi4ELi8ELb1ELb1ELb0ELb0ELb0ELb0EEEvPT0_PvPT_S6_S6_PKS5_S8_S8_S8_S8_ffiiiiiiiiiiiii
		.amdhsa_group_segment_fixed_size 0
		.amdhsa_private_segment_fixed_size 0
		.amdhsa_kernarg_size 400
		.amdhsa_user_sgpr_count 6
		.amdhsa_user_sgpr_private_segment_buffer 1
		.amdhsa_user_sgpr_dispatch_ptr 0
		.amdhsa_user_sgpr_queue_ptr 0
		.amdhsa_user_sgpr_kernarg_segment_ptr 1
		.amdhsa_user_sgpr_dispatch_id 0
		.amdhsa_user_sgpr_flat_scratch_init 0
		.amdhsa_user_sgpr_kernarg_preload_length 0
		.amdhsa_user_sgpr_kernarg_preload_offset 0
		.amdhsa_user_sgpr_private_segment_size 0
		.amdhsa_uses_dynamic_stack 0
		.amdhsa_system_sgpr_private_segment_wavefront_offset 0
		.amdhsa_system_sgpr_workgroup_id_x 1
		.amdhsa_system_sgpr_workgroup_id_y 1
		.amdhsa_system_sgpr_workgroup_id_z 0
		.amdhsa_system_sgpr_workgroup_info 0
		.amdhsa_system_vgpr_workitem_id 0
		.amdhsa_next_free_vgpr 16
		.amdhsa_next_free_sgpr 40
		.amdhsa_accum_offset 16
		.amdhsa_reserve_vcc 1
		.amdhsa_reserve_flat_scratch 0
		.amdhsa_float_round_mode_32 0
		.amdhsa_float_round_mode_16_64 0
		.amdhsa_float_denorm_mode_32 3
		.amdhsa_float_denorm_mode_16_64 3
		.amdhsa_dx10_clamp 1
		.amdhsa_ieee_mode 1
		.amdhsa_fp16_overflow 0
		.amdhsa_tg_split 0
		.amdhsa_exception_fp_ieee_invalid_op 0
		.amdhsa_exception_fp_denorm_src 0
		.amdhsa_exception_fp_ieee_div_zero 0
		.amdhsa_exception_fp_ieee_overflow 0
		.amdhsa_exception_fp_ieee_underflow 0
		.amdhsa_exception_fp_ieee_inexact 0
		.amdhsa_exception_int_div_zero 0
	.end_amdhsa_kernel
	.section	.text._ZN5aiter35fused_qk_rmsnorm_group_quant_kernelIDF16_DB8_Li64ELi4ELi8ELb1ELb1ELb0ELb0ELb0ELb0EEEvPT0_PvPT_S6_S6_PKS5_S8_S8_S8_S8_ffiiiiiiiiiiiii,"axG",@progbits,_ZN5aiter35fused_qk_rmsnorm_group_quant_kernelIDF16_DB8_Li64ELi4ELi8ELb1ELb1ELb0ELb0ELb0ELb0EEEvPT0_PvPT_S6_S6_PKS5_S8_S8_S8_S8_ffiiiiiiiiiiiii,comdat
.Lfunc_end299:
	.size	_ZN5aiter35fused_qk_rmsnorm_group_quant_kernelIDF16_DB8_Li64ELi4ELi8ELb1ELb1ELb0ELb0ELb0ELb0EEEvPT0_PvPT_S6_S6_PKS5_S8_S8_S8_S8_ffiiiiiiiiiiiii, .Lfunc_end299-_ZN5aiter35fused_qk_rmsnorm_group_quant_kernelIDF16_DB8_Li64ELi4ELi8ELb1ELb1ELb0ELb0ELb0ELb0EEEvPT0_PvPT_S6_S6_PKS5_S8_S8_S8_S8_ffiiiiiiiiiiiii
                                        ; -- End function
	.section	.AMDGPU.csdata,"",@progbits
; Kernel info:
; codeLenInByte = 2236
; NumSgprs: 44
; NumVgprs: 16
; NumAgprs: 0
; TotalNumVgprs: 16
; ScratchSize: 0
; MemoryBound: 0
; FloatMode: 240
; IeeeMode: 1
; LDSByteSize: 0 bytes/workgroup (compile time only)
; SGPRBlocks: 5
; VGPRBlocks: 1
; NumSGPRsForWavesPerEU: 44
; NumVGPRsForWavesPerEU: 16
; AccumOffset: 16
; Occupancy: 8
; WaveLimiterHint : 0
; COMPUTE_PGM_RSRC2:SCRATCH_EN: 0
; COMPUTE_PGM_RSRC2:USER_SGPR: 6
; COMPUTE_PGM_RSRC2:TRAP_HANDLER: 0
; COMPUTE_PGM_RSRC2:TGID_X_EN: 1
; COMPUTE_PGM_RSRC2:TGID_Y_EN: 1
; COMPUTE_PGM_RSRC2:TGID_Z_EN: 0
; COMPUTE_PGM_RSRC2:TIDIG_COMP_CNT: 0
; COMPUTE_PGM_RSRC3_GFX90A:ACCUM_OFFSET: 3
; COMPUTE_PGM_RSRC3_GFX90A:TG_SPLIT: 0
	.section	.text._ZN5aiter35fused_qk_rmsnorm_group_quant_kernelItDB8_Li64ELi4ELi8ELb1ELb1ELb0ELb0ELb0ELb0EEEvPT0_PvPT_S6_S6_PKS5_S8_S8_S8_S8_ffiiiiiiiiiiiii,"axG",@progbits,_ZN5aiter35fused_qk_rmsnorm_group_quant_kernelItDB8_Li64ELi4ELi8ELb1ELb1ELb0ELb0ELb0ELb0EEEvPT0_PvPT_S6_S6_PKS5_S8_S8_S8_S8_ffiiiiiiiiiiiii,comdat
	.protected	_ZN5aiter35fused_qk_rmsnorm_group_quant_kernelItDB8_Li64ELi4ELi8ELb1ELb1ELb0ELb0ELb0ELb0EEEvPT0_PvPT_S6_S6_PKS5_S8_S8_S8_S8_ffiiiiiiiiiiiii ; -- Begin function _ZN5aiter35fused_qk_rmsnorm_group_quant_kernelItDB8_Li64ELi4ELi8ELb1ELb1ELb0ELb0ELb0ELb0EEEvPT0_PvPT_S6_S6_PKS5_S8_S8_S8_S8_ffiiiiiiiiiiiii
	.globl	_ZN5aiter35fused_qk_rmsnorm_group_quant_kernelItDB8_Li64ELi4ELi8ELb1ELb1ELb0ELb0ELb0ELb0EEEvPT0_PvPT_S6_S6_PKS5_S8_S8_S8_S8_ffiiiiiiiiiiiii
	.p2align	8
	.type	_ZN5aiter35fused_qk_rmsnorm_group_quant_kernelItDB8_Li64ELi4ELi8ELb1ELb1ELb0ELb0ELb0ELb0EEEvPT0_PvPT_S6_S6_PKS5_S8_S8_S8_S8_ffiiiiiiiiiiiii,@function
_ZN5aiter35fused_qk_rmsnorm_group_quant_kernelItDB8_Li64ELi4ELi8ELb1ELb1ELb0ELb0ELb0ELb0EEEvPT0_PvPT_S6_S6_PKS5_S8_S8_S8_S8_ffiiiiiiiiiiiii: ; @_ZN5aiter35fused_qk_rmsnorm_group_quant_kernelItDB8_Li64ELi4ELi8ELb1ELb1ELb0ELb0ELb0ELb0EEEvPT0_PvPT_S6_S6_PKS5_S8_S8_S8_S8_ffiiiiiiiiiiiii
; %bb.0:
	s_load_dwordx8 s[16:23], s[4:5], 0x50
	s_waitcnt lgkmcnt(0)
	s_cmp_ge_i32 s6, s18
	s_cbranch_scc1 .LBB300_15
; %bb.1:
	s_cmp_lg_u32 s7, 0
	s_cselect_b64 s[2:3], -1, 0
	s_cmp_eq_u32 s7, 0
	s_cselect_b64 s[26:27], -1, 0
	s_and_b64 s[0:1], s[26:27], exec
	s_load_dwordx2 s[24:25], s[4:5], 0x48
	s_load_dwordx2 s[34:35], s[4:5], 0x30
	s_load_dwordx8 s[8:15], s[4:5], 0x70
	s_cselect_b32 s7, s19, s20
	s_add_i32 s0, s7, 1
	s_lshr_b32 s1, s0, 31
	s_add_i32 s0, s0, s1
	s_lshl_b32 s0, s0, 1
	v_lshlrev_b32_e32 v1, 2, v0
	s_and_b32 s30, s0, -4
	v_cmp_gt_i32_e64 s[0:1], s7, v1
	v_mov_b32_e32 v6, 0
	v_mov_b32_e32 v7, 0
	;; [unrolled: 1-line block ×4, first 2 shown]
	s_waitcnt lgkmcnt(0)
	s_and_saveexec_b64 s[14:15], s[0:1]
	s_cbranch_execz .LBB300_3
; %bb.2:
	s_load_dwordx2 s[28:29], s[4:5], 0x28
	s_load_dwordx2 s[38:39], s[4:5], 0x40
	s_and_b64 s[36:37], s[26:27], exec
	s_cselect_b32 s18, s21, s22
	v_lshlrev_b32_e32 v2, 3, v0
	s_waitcnt lgkmcnt(0)
	s_cselect_b32 s21, s29, s35
	s_cselect_b32 s31, s28, s34
	s_mul_hi_i32 s29, s18, s6
	s_mul_i32 s28, s18, s6
	s_lshl_b64 s[28:29], s[28:29], 1
	s_add_u32 s36, s31, s28
	s_addc_u32 s18, s21, s29
	s_and_b64 s[26:27], s[26:27], exec
	s_mov_b32 s31, 0x20000
	s_cselect_b32 s28, s38, s24
	s_cselect_b32 s21, s39, s25
	s_and_b32 s37, s18, 0xffff
	s_mov_b32 s38, s30
	s_mov_b32 s39, s31
	s_and_b32 s29, s21, 0xffff
	buffer_load_dwordx2 v[8:9], v2, s[36:39], 0 offen glc slc
	buffer_load_dwordx2 v[6:7], v2, s[28:31], 0 offen
.LBB300_3:
	s_or_b64 exec, exec, s[14:15]
	s_and_b64 vcc, exec, s[2:3]
	s_cbranch_vccz .LBB300_7
; %bb.4:
	s_mov_b32 s36, 0
	s_mov_b32 s37, s36
	;; [unrolled: 1-line block ×4, first 2 shown]
	v_pk_mov_b32 v[2:3], s[36:37], s[36:37] op_sel:[0,1]
	v_pk_mov_b32 v[4:5], s[38:39], s[38:39] op_sel:[0,1]
	s_and_saveexec_b64 s[14:15], s[0:1]
	s_cbranch_execz .LBB300_6
; %bb.5:
	s_waitcnt vmcnt(1)
	v_cvt_f32_u32_sdwa v3, v8 dst_sel:DWORD dst_unused:UNUSED_PAD src0_sel:WORD_1
	v_cvt_f32_u32_sdwa v2, v8 dst_sel:DWORD dst_unused:UNUSED_PAD src0_sel:WORD_0
	v_cvt_f32_u32_sdwa v5, v9 dst_sel:DWORD dst_unused:UNUSED_PAD src0_sel:WORD_1
	v_cvt_f32_u32_sdwa v4, v9 dst_sel:DWORD dst_unused:UNUSED_PAD src0_sel:WORD_0
.LBB300_6:
	s_or_b64 exec, exec, s[14:15]
	s_mov_b32 s18, s17
	s_cbranch_execz .LBB300_8
	s_branch .LBB300_11
.LBB300_7:
                                        ; implicit-def: $vgpr2_vgpr3_vgpr4_vgpr5
	s_mov_b32 s18, s17
.LBB300_8:
	s_mov_b32 s36, 0
	s_mov_b32 s37, s36
	;; [unrolled: 1-line block ×4, first 2 shown]
	v_pk_mov_b32 v[2:3], s[36:37], s[36:37] op_sel:[0,1]
	v_pk_mov_b32 v[4:5], s[38:39], s[38:39] op_sel:[0,1]
	s_and_saveexec_b64 s[14:15], s[0:1]
	s_cbranch_execz .LBB300_10
; %bb.9:
	s_load_dwordx2 s[26:27], s[4:5], 0x38
	s_mul_hi_i32 s29, s23, s6
	s_mul_i32 s28, s23, s6
	s_lshl_b64 s[28:29], s[28:29], 1
	s_mov_b32 s31, 0x20000
	s_waitcnt lgkmcnt(0)
	s_add_u32 s28, s26, s28
	s_addc_u32 s18, s27, s29
	s_and_b32 s29, s18, 0xffff
	v_lshlrev_b32_e32 v14, 3, v0
	buffer_load_dwordx2 v[2:3], v14, s[28:31], 0 offen glc slc
	s_load_dwordx2 s[26:27], s[4:5], 0x20
	s_waitcnt vmcnt(2)
	v_cvt_f32_u32_sdwa v5, v8 dst_sel:DWORD dst_unused:UNUSED_PAD src0_sel:WORD_1
	v_cvt_f32_u32_sdwa v4, v8 dst_sel:DWORD dst_unused:UNUSED_PAD src0_sel:WORD_0
	v_cvt_f32_u32_sdwa v11, v9 dst_sel:DWORD dst_unused:UNUSED_PAD src0_sel:WORD_1
	v_cvt_f32_u32_sdwa v10, v9 dst_sel:DWORD dst_unused:UNUSED_PAD src0_sel:WORD_0
	s_mul_hi_i32 s29, s13, s6
	s_mul_i32 s28, s13, s6
	s_lshl_b64 s[28:29], s[28:29], 1
	s_waitcnt lgkmcnt(0)
	s_add_u32 s28, s26, s28
	s_mov_b32 s13, 0x7060302
	s_addc_u32 s18, s27, s29
	s_and_b32 s29, s18, 0xffff
	s_waitcnt vmcnt(0)
	v_cvt_f32_u32_sdwa v9, v2 dst_sel:DWORD dst_unused:UNUSED_PAD src0_sel:WORD_1
	v_cvt_f32_u32_sdwa v8, v2 dst_sel:DWORD dst_unused:UNUSED_PAD src0_sel:WORD_0
	v_cvt_f32_u32_sdwa v13, v3 dst_sel:DWORD dst_unused:UNUSED_PAD src0_sel:WORD_1
	v_cvt_f32_u32_sdwa v12, v3 dst_sel:DWORD dst_unused:UNUSED_PAD src0_sel:WORD_0
	v_pk_add_f32 v[2:3], v[4:5], v[8:9]
	v_perm_b32 v8, v3, v2, s13
	v_pk_add_f32 v[4:5], v[10:11], v[12:13]
	v_perm_b32 v9, v5, v4, s13
	buffer_store_dwordx2 v[8:9], v14, s[28:31], 0 offen glc slc
	;;#ASMSTART
	s_nop 0
	;;#ASMEND
.LBB300_10:
	s_or_b64 exec, exec, s[14:15]
	s_mov_b32 s18, s16
.LBB300_11:
	s_waitcnt vmcnt(1)
	v_mul_f32_e32 v8, v3, v3
	v_fmac_f32_e32 v8, v2, v2
	v_fmac_f32_e32 v8, v4, v4
	;; [unrolled: 1-line block ×3, first 2 shown]
	v_bfrev_b32_e32 v10, 0.5
	s_load_dwordx2 s[14:15], s[4:5], 0x18
	v_mov_b32_dpp v9, v8 quad_perm:[1,0,3,2] row_mask:0xf bank_mask:0xf
	v_add_f32_e32 v8, v8, v9
	s_nop 1
	v_mov_b32_dpp v9, v8 quad_perm:[2,3,0,1] row_mask:0xf bank_mask:0xf
	v_add_f32_e32 v8, v8, v9
	s_nop 1
	v_mov_b32_dpp v9, v8 row_half_mirror row_mask:0xf bank_mask:0xf
	v_add_f32_e32 v8, v8, v9
	s_nop 1
	v_mov_b32_dpp v9, v8 row_mirror row_mask:0xf bank_mask:0xf
	v_add_f32_e32 v8, v8, v9
	s_nop 1
	v_mov_b32_dpp v9, v8 row_bcast:15 row_mask:0xf bank_mask:0xf
	v_add_f32_e32 v8, v8, v9
	s_nop 1
	v_mov_b32_dpp v9, v8 row_bcast:31 row_mask:0xf bank_mask:0xf
	v_add_f32_e32 v9, v8, v9
	v_mbcnt_lo_u32_b32 v8, -1, 0
	v_mbcnt_hi_u32_b32 v8, -1, v8
	v_lshl_or_b32 v8, v8, 2, v10
	ds_bpermute_b32 v9, v8, v9
	s_and_saveexec_b64 s[26:27], s[0:1]
	s_cbranch_execnz .LBB300_16
; %bb.12:
	s_or_b64 exec, exec, s[26:27]
	s_mov_b64 s[26:27], -1
	s_and_b64 vcc, exec, s[2:3]
	s_cbranch_vccnz .LBB300_17
.LBB300_13:
	s_andn2_b64 vcc, exec, s[26:27]
	s_cbranch_vccz .LBB300_20
.LBB300_14:
	s_cmp_lt_i32 s20, 1
	s_cbranch_scc0 .LBB300_29
.LBB300_15:
	s_endpgm
.LBB300_16:
	v_cvt_f32_u32_e32 v10, s7
	s_mov_b32 s7, 0x800000
	s_waitcnt lgkmcnt(0)
	v_div_scale_f32 v11, s[28:29], v10, v10, v9
	v_rcp_f32_e32 v12, v11
	v_div_scale_f32 v13, vcc, v9, v10, v9
	v_fma_f32 v14, -v11, v12, 1.0
	v_fmac_f32_e32 v12, v14, v12
	v_mul_f32_e32 v14, v13, v12
	v_fma_f32 v15, -v11, v14, v13
	v_fmac_f32_e32 v14, v15, v12
	v_fma_f32 v11, -v11, v14, v13
	v_div_fmas_f32 v11, v11, v12, v14
	v_div_fixup_f32 v9, v11, v10, v9
	v_add_f32_e32 v9, s18, v9
	v_mul_f32_e32 v10, 0x4b800000, v9
	v_cmp_gt_f32_e32 vcc, s7, v9
	v_cndmask_b32_e32 v9, v9, v10, vcc
	v_rsq_f32_e32 v9, v9
	s_waitcnt vmcnt(0)
	v_cvt_f32_u32_sdwa v11, v6 dst_sel:DWORD dst_unused:UNUSED_PAD src0_sel:WORD_1
	v_cvt_f32_u32_sdwa v10, v6 dst_sel:DWORD dst_unused:UNUSED_PAD src0_sel:WORD_0
	v_cvt_f32_u32_sdwa v13, v7 dst_sel:DWORD dst_unused:UNUSED_PAD src0_sel:WORD_1
	v_mul_f32_e32 v6, 0x45800000, v9
	v_cndmask_b32_e32 v14, v9, v6, vcc
	v_mov_b32_e32 v15, v14
	;;#ASMSTART
	v_pk_mul_f32 v[2:3], v[2:3], v[14:15]
	;;#ASMEND
	;;#ASMSTART
	v_pk_mul_f32 v[4:5], v[4:5], v[14:15]
	;;#ASMEND
	v_cvt_f32_u32_sdwa v12, v7 dst_sel:DWORD dst_unused:UNUSED_PAD src0_sel:WORD_0
	;;#ASMSTART
	v_pk_mul_f32 v[2:3], v[2:3], v[10:11]
	;;#ASMEND
	;;#ASMSTART
	v_pk_mul_f32 v[4:5], v[4:5], v[12:13]
	;;#ASMEND
	s_or_b64 exec, exec, s[26:27]
	s_mov_b64 s[26:27], -1
	s_and_b64 vcc, exec, s[2:3]
	s_cbranch_vccz .LBB300_13
.LBB300_17:
	s_and_saveexec_b64 s[2:3], s[0:1]
	s_cbranch_execz .LBB300_19
; %bb.18:
	s_mul_hi_i32 s27, s12, s6
	s_mul_i32 s26, s12, s6
	s_lshl_b64 s[26:27], s[26:27], 1
	s_waitcnt lgkmcnt(0)
	s_add_u32 s28, s14, s26
	s_addc_u32 s7, s15, s27
	s_and_b32 s29, s7, 0xffff
	s_mov_b32 s7, 0x7060302
	s_mov_b32 s31, 0x20000
	s_waitcnt vmcnt(0)
	v_perm_b32 v6, v3, v2, s7
	v_perm_b32 v7, v5, v4, s7
	v_lshlrev_b32_e32 v9, 3, v0
	buffer_store_dwordx2 v[6:7], v9, s[28:31], 0 offen
	;;#ASMSTART
	s_nop 0
	;;#ASMEND
.LBB300_19:
	s_or_b64 exec, exec, s[2:3]
	s_cbranch_execnz .LBB300_14
.LBB300_20:
	s_waitcnt vmcnt(0)
	v_mov_b32_e32 v6, 0
	s_and_saveexec_b64 s[2:3], s[0:1]
	s_cbranch_execz .LBB300_22
; %bb.21:
	s_load_dwordx2 s[26:27], s[4:5], 0x10
	s_mul_hi_i32 s29, s11, s6
	s_mul_i32 s28, s11, s6
	s_lshl_b64 s[28:29], s[28:29], 1
	s_mov_b32 s31, 0x20000
	s_waitcnt lgkmcnt(0)
	s_add_u32 s28, s26, s28
	s_addc_u32 s7, s27, s29
	s_and_b32 s29, s7, 0xffff
	s_mov_b32 s7, 0x7060302
	v_perm_b32 v6, v3, v2, s7
	v_perm_b32 v7, v5, v4, s7
	v_lshlrev_b32_e32 v9, 3, v0
	buffer_store_dwordx2 v[6:7], v9, s[28:31], 0 offen
	v_mov_b32_e32 v6, 0x2edbe6ff
	;;#ASMSTART
	s_nop 0
	;;#ASMEND
.LBB300_22:
	s_or_b64 exec, exec, s[2:3]
	s_and_saveexec_b64 s[2:3], s[0:1]
	s_cbranch_execz .LBB300_24
; %bb.23:
	v_and_b32_e32 v7, 0x7fffffff, v2
	s_waitcnt lgkmcnt(0)
	v_and_b32_e32 v9, 0x7fffffff, v3
	;;#ASMSTART
	v_max3_f32 v6, v6, v7, v9

	;;#ASMEND
	v_and_b32_e32 v7, 0x7fffffff, v4
	v_and_b32_e32 v9, 0x7fffffff, v5
	;;#ASMSTART
	v_max3_f32 v6, v6, v7, v9

	;;#ASMEND
.LBB300_24:
	s_or_b64 exec, exec, s[2:3]
	;;#ASMSTART
	v_max_f32 v7, v6, v6 quad_perm:[1,0,3,2] row_mask:0xf bank_mask:0xf bound_ctrl:1
	;;#ASMEND
	;;#ASMSTART
	v_max_f32 v6, v7, v7 quad_perm:[2,3,0,1] row_mask:0xf bank_mask:0xf bound_ctrl:1
	;;#ASMEND
	;;#ASMSTART
	v_max_f32 v7, v6, v6 row_half_mirror row_mask:0xf bank_mask:0xf bound_ctrl:1
	;;#ASMEND
	v_mul_f32_e32 v6, 0x3b124925, v7
	v_and_b32_e32 v7, 7, v0
	v_cmp_eq_u32_e32 vcc, 0, v7
	v_cmp_gt_i32_e64 s[2:3], s19, v1
	s_and_b64 s[26:27], vcc, s[2:3]
	s_and_saveexec_b64 s[2:3], s[26:27]
	s_cbranch_execz .LBB300_26
; %bb.25:
	s_load_dwordx2 s[26:27], s[4:5], 0x8
	v_lshrrev_b32_e32 v7, 3, v0
	s_mul_hi_i32 s29, s9, s6
	s_mul_i32 s28, s9, s6
	v_mad_i64_i32 v[10:11], s[10:11], s10, v7, 0
	s_lshl_b64 s[10:11], s[28:29], 2
	s_waitcnt lgkmcnt(0)
	s_add_u32 s7, s26, s10
	s_addc_u32 s9, s27, s11
	v_lshlrev_b64 v[10:11], 2, v[10:11]
	v_mov_b32_e32 v7, s9
	v_add_co_u32_e32 v10, vcc, s7, v10
	v_addc_co_u32_e32 v11, vcc, v7, v11, vcc
	global_store_dword v[10:11], v6, off
.LBB300_26:
	s_or_b64 exec, exec, s[2:3]
	;;#ASMSTART
	v_rcp_f32 v6, v6
	;;#ASMEND
	s_and_saveexec_b64 s[2:3], s[0:1]
	s_cbranch_execz .LBB300_28
; %bb.27:
	s_load_dwordx2 s[0:1], s[4:5], 0x0
	s_mul_hi_i32 s7, s8, s6
	s_mul_i32 s8, s8, s6
	v_mov_b32_e32 v7, v6
	;;#ASMSTART
	v_pk_mul_f32 v[2:3], v[2:3], v[6:7]
	;;#ASMEND
	s_waitcnt lgkmcnt(0)
	s_add_u32 s8, s0, s8
	s_addc_u32 s0, s1, s7
	s_add_i32 s1, s19, 3
	s_ashr_i32 s7, s1, 31
	v_mov_b32_e32 v9, 0xc3e00000
	v_mov_b32_e32 v10, 0x43e00000
	;;#ASMSTART
	v_med3_f32 v2, v2, v9, v10
v_med3_f32 v3, v3, v9, v10
v_cvt_pk_fp8_f32 v11, v2, v3
	;;#ASMEND
	s_and_b32 s9, s0, 0xffff
	s_lshr_b32 s0, s7, 30
	;;#ASMSTART
	v_pk_mul_f32 v[2:3], v[4:5], v[6:7]
	;;#ASMEND
	s_add_i32 s1, s1, s0
	;;#ASMSTART
	v_med3_f32 v2, v2, v9, v10
v_med3_f32 v3, v3, v9, v10
v_cvt_pk_fp8_f32 v4, v2, v3
	;;#ASMEND
	s_mov_b32 s0, 0x5040100
	s_and_b32 s10, s1, -4
	s_mov_b32 s11, 0x20000
	v_perm_b32 v2, v4, v11, s0
	buffer_store_dword v2, v1, s[8:11], 0 offen
	;;#ASMSTART
	s_nop 0
	;;#ASMEND
.LBB300_28:
	s_or_b64 exec, exec, s[2:3]
	s_cmp_lt_i32 s20, 1
	s_cbranch_scc1 .LBB300_15
.LBB300_29:
	s_load_dword s0, s[4:5], 0x94
	s_waitcnt lgkmcnt(0)
	s_cmp_lg_u32 s0, 1
	s_cbranch_scc1 .LBB300_15
; %bb.30:
	s_lshl_b32 s0, s20, 1
	s_add_i32 s0, s0, 2
	v_cmp_gt_u32_e32 vcc, s20, v1
	s_and_b32 s26, s0, -4
	v_mov_b32_e32 v2, 0
	s_waitcnt vmcnt(0)
	v_lshlrev_b32_e32 v6, 3, v0
	v_mov_b32_e32 v3, 0
	v_mov_b32_e32 v0, 0
	;; [unrolled: 1-line block ×3, first 2 shown]
	s_barrier
	s_and_saveexec_b64 s[0:1], vcc
	s_cbranch_execz .LBB300_32
; %bb.31:
	s_mul_hi_i32 s3, s22, s6
	s_mul_i32 s2, s22, s6
	s_and_b32 s25, s25, 0xffff
	s_lshl_b64 s[2:3], s[2:3], 1
	s_add_u32 s8, s34, s2
	s_mov_b32 s27, 0x20000
	s_addc_u32 s2, s35, s3
	s_and_b32 s9, s2, 0xffff
	s_mov_b32 s10, s26
	s_mov_b32 s11, s27
	buffer_load_dwordx2 v[2:3], v6, s[8:11], 0 offen glc slc
	buffer_load_dwordx2 v[0:1], v6, s[24:27], 0 offen
.LBB300_32:
	s_or_b64 exec, exec, s[0:1]
	s_waitcnt vmcnt(1)
	v_cvt_f32_u32_sdwa v5, v3 dst_sel:DWORD dst_unused:UNUSED_PAD src0_sel:WORD_0
	v_cvt_f32_u32_sdwa v7, v2 dst_sel:DWORD dst_unused:UNUSED_PAD src0_sel:WORD_1
	v_cvt_f32_u32_sdwa v4, v3 dst_sel:DWORD dst_unused:UNUSED_PAD src0_sel:WORD_1
	v_cvt_f32_u32_sdwa v9, v2 dst_sel:DWORD dst_unused:UNUSED_PAD src0_sel:WORD_0
	v_cndmask_b32_e32 v2, 0, v5, vcc
	v_cndmask_b32_e32 v5, 0, v7, vcc
	;; [unrolled: 1-line block ×4, first 2 shown]
	v_mul_f32_e32 v7, v5, v5
	v_fmac_f32_e32 v7, v4, v4
	v_fmac_f32_e32 v7, v2, v2
	;; [unrolled: 1-line block ×3, first 2 shown]
	s_nop 1
	v_mov_b32_dpp v9, v7 quad_perm:[1,0,3,2] row_mask:0xf bank_mask:0xf
	v_add_f32_e32 v7, v7, v9
	s_nop 1
	v_mov_b32_dpp v9, v7 quad_perm:[2,3,0,1] row_mask:0xf bank_mask:0xf
	v_add_f32_e32 v7, v7, v9
	s_nop 1
	v_mov_b32_dpp v9, v7 row_half_mirror row_mask:0xf bank_mask:0xf
	v_add_f32_e32 v7, v7, v9
	s_nop 1
	v_mov_b32_dpp v9, v7 row_mirror row_mask:0xf bank_mask:0xf
	v_add_f32_e32 v7, v7, v9
	s_nop 1
	v_mov_b32_dpp v9, v7 row_bcast:15 row_mask:0xf bank_mask:0xf
	v_add_f32_e32 v7, v7, v9
	s_nop 1
	v_mov_b32_dpp v9, v7 row_bcast:31 row_mask:0xf bank_mask:0xf
	v_add_f32_e32 v7, v7, v9
	ds_bpermute_b32 v7, v8, v7
	s_and_saveexec_b64 s[0:1], vcc
	s_cbranch_execz .LBB300_15
; %bb.33:
	v_cvt_f32_u32_e32 v8, s20
	s_mov_b32 s27, 0x20000
	s_waitcnt lgkmcnt(0)
	v_div_scale_f32 v9, s[0:1], v8, v8, v7
	v_rcp_f32_e32 v10, v9
	v_div_scale_f32 v11, vcc, v7, v8, v7
	s_mov_b32 s0, 0x800000
	v_fma_f32 v12, -v9, v10, 1.0
	v_fmac_f32_e32 v10, v12, v10
	v_mul_f32_e32 v12, v11, v10
	v_fma_f32 v13, -v9, v12, v11
	v_fmac_f32_e32 v12, v13, v10
	v_fma_f32 v9, -v9, v12, v11
	v_div_fmas_f32 v9, v9, v10, v12
	v_div_fixup_f32 v7, v9, v8, v7
	v_add_f32_e32 v7, s17, v7
	v_mul_f32_e32 v8, 0x4b800000, v7
	v_cmp_gt_f32_e32 vcc, s0, v7
	v_cndmask_b32_e32 v7, v7, v8, vcc
	v_rsq_f32_e32 v7, v7
	s_mul_hi_i32 s1, s12, s6
	s_mul_i32 s0, s12, s6
	s_waitcnt vmcnt(0)
	v_cvt_f32_u32_sdwa v9, v0 dst_sel:DWORD dst_unused:UNUSED_PAD src0_sel:WORD_1
	v_cvt_f32_u32_sdwa v8, v0 dst_sel:DWORD dst_unused:UNUSED_PAD src0_sel:WORD_0
	v_mul_f32_e32 v0, 0x45800000, v7
	s_lshl_b64 s[0:1], s[0:1], 1
	v_cndmask_b32_e32 v12, v7, v0, vcc
	s_add_u32 s24, s14, s0
	v_cvt_f32_u32_sdwa v11, v1 dst_sel:DWORD dst_unused:UNUSED_PAD src0_sel:WORD_1
	v_mov_b32_e32 v13, v12
	v_cvt_f32_u32_sdwa v10, v1 dst_sel:DWORD dst_unused:UNUSED_PAD src0_sel:WORD_0
	;;#ASMSTART
	v_pk_mul_f32 v[0:1], v[4:5], v[12:13]
	;;#ASMEND
	s_addc_u32 s0, s15, s1
	;;#ASMSTART
	v_pk_mul_f32 v[2:3], v[2:3], v[12:13]
	;;#ASMEND
	;;#ASMSTART
	v_pk_mul_f32 v[0:1], v[0:1], v[8:9]
	;;#ASMEND
	s_and_b32 s25, s0, 0xffff
	s_mov_b32 s0, 0x7060302
	;;#ASMSTART
	v_pk_mul_f32 v[2:3], v[2:3], v[10:11]
	;;#ASMEND
	v_perm_b32 v0, v1, v0, s0
	v_perm_b32 v1, v3, v2, s0
	buffer_store_dwordx2 v[0:1], v6, s[24:27], 0 offen
	;;#ASMSTART
	s_nop 0
	;;#ASMEND
	s_endpgm
	.section	.rodata,"a",@progbits
	.p2align	6, 0x0
	.amdhsa_kernel _ZN5aiter35fused_qk_rmsnorm_group_quant_kernelItDB8_Li64ELi4ELi8ELb1ELb1ELb0ELb0ELb0ELb0EEEvPT0_PvPT_S6_S6_PKS5_S8_S8_S8_S8_ffiiiiiiiiiiiii
		.amdhsa_group_segment_fixed_size 0
		.amdhsa_private_segment_fixed_size 0
		.amdhsa_kernarg_size 400
		.amdhsa_user_sgpr_count 6
		.amdhsa_user_sgpr_private_segment_buffer 1
		.amdhsa_user_sgpr_dispatch_ptr 0
		.amdhsa_user_sgpr_queue_ptr 0
		.amdhsa_user_sgpr_kernarg_segment_ptr 1
		.amdhsa_user_sgpr_dispatch_id 0
		.amdhsa_user_sgpr_flat_scratch_init 0
		.amdhsa_user_sgpr_kernarg_preload_length 0
		.amdhsa_user_sgpr_kernarg_preload_offset 0
		.amdhsa_user_sgpr_private_segment_size 0
		.amdhsa_uses_dynamic_stack 0
		.amdhsa_system_sgpr_private_segment_wavefront_offset 0
		.amdhsa_system_sgpr_workgroup_id_x 1
		.amdhsa_system_sgpr_workgroup_id_y 1
		.amdhsa_system_sgpr_workgroup_id_z 0
		.amdhsa_system_sgpr_workgroup_info 0
		.amdhsa_system_vgpr_workitem_id 0
		.amdhsa_next_free_vgpr 16
		.amdhsa_next_free_sgpr 40
		.amdhsa_accum_offset 16
		.amdhsa_reserve_vcc 1
		.amdhsa_reserve_flat_scratch 0
		.amdhsa_float_round_mode_32 0
		.amdhsa_float_round_mode_16_64 0
		.amdhsa_float_denorm_mode_32 3
		.amdhsa_float_denorm_mode_16_64 3
		.amdhsa_dx10_clamp 1
		.amdhsa_ieee_mode 1
		.amdhsa_fp16_overflow 0
		.amdhsa_tg_split 0
		.amdhsa_exception_fp_ieee_invalid_op 0
		.amdhsa_exception_fp_denorm_src 0
		.amdhsa_exception_fp_ieee_div_zero 0
		.amdhsa_exception_fp_ieee_overflow 0
		.amdhsa_exception_fp_ieee_underflow 0
		.amdhsa_exception_fp_ieee_inexact 0
		.amdhsa_exception_int_div_zero 0
	.end_amdhsa_kernel
	.section	.text._ZN5aiter35fused_qk_rmsnorm_group_quant_kernelItDB8_Li64ELi4ELi8ELb1ELb1ELb0ELb0ELb0ELb0EEEvPT0_PvPT_S6_S6_PKS5_S8_S8_S8_S8_ffiiiiiiiiiiiii,"axG",@progbits,_ZN5aiter35fused_qk_rmsnorm_group_quant_kernelItDB8_Li64ELi4ELi8ELb1ELb1ELb0ELb0ELb0ELb0EEEvPT0_PvPT_S6_S6_PKS5_S8_S8_S8_S8_ffiiiiiiiiiiiii,comdat
.Lfunc_end300:
	.size	_ZN5aiter35fused_qk_rmsnorm_group_quant_kernelItDB8_Li64ELi4ELi8ELb1ELb1ELb0ELb0ELb0ELb0EEEvPT0_PvPT_S6_S6_PKS5_S8_S8_S8_S8_ffiiiiiiiiiiiii, .Lfunc_end300-_ZN5aiter35fused_qk_rmsnorm_group_quant_kernelItDB8_Li64ELi4ELi8ELb1ELb1ELb0ELb0ELb0ELb0EEEvPT0_PvPT_S6_S6_PKS5_S8_S8_S8_S8_ffiiiiiiiiiiiii
                                        ; -- End function
	.section	.AMDGPU.csdata,"",@progbits
; Kernel info:
; codeLenInByte = 2276
; NumSgprs: 44
; NumVgprs: 16
; NumAgprs: 0
; TotalNumVgprs: 16
; ScratchSize: 0
; MemoryBound: 0
; FloatMode: 240
; IeeeMode: 1
; LDSByteSize: 0 bytes/workgroup (compile time only)
; SGPRBlocks: 5
; VGPRBlocks: 1
; NumSGPRsForWavesPerEU: 44
; NumVGPRsForWavesPerEU: 16
; AccumOffset: 16
; Occupancy: 8
; WaveLimiterHint : 0
; COMPUTE_PGM_RSRC2:SCRATCH_EN: 0
; COMPUTE_PGM_RSRC2:USER_SGPR: 6
; COMPUTE_PGM_RSRC2:TRAP_HANDLER: 0
; COMPUTE_PGM_RSRC2:TGID_X_EN: 1
; COMPUTE_PGM_RSRC2:TGID_Y_EN: 1
; COMPUTE_PGM_RSRC2:TGID_Z_EN: 0
; COMPUTE_PGM_RSRC2:TIDIG_COMP_CNT: 0
; COMPUTE_PGM_RSRC3_GFX90A:ACCUM_OFFSET: 3
; COMPUTE_PGM_RSRC3_GFX90A:TG_SPLIT: 0
	.section	.text._ZN5aiter35fused_qk_rmsnorm_group_quant_kernelIDF16_DB8_Li64ELi4ELi8ELb1ELb0ELb1ELb0ELb0ELb0EEEvPT0_PvPT_S6_S6_PKS5_S8_S8_S8_S8_ffiiiiiiiiiiiii,"axG",@progbits,_ZN5aiter35fused_qk_rmsnorm_group_quant_kernelIDF16_DB8_Li64ELi4ELi8ELb1ELb0ELb1ELb0ELb0ELb0EEEvPT0_PvPT_S6_S6_PKS5_S8_S8_S8_S8_ffiiiiiiiiiiiii,comdat
	.protected	_ZN5aiter35fused_qk_rmsnorm_group_quant_kernelIDF16_DB8_Li64ELi4ELi8ELb1ELb0ELb1ELb0ELb0ELb0EEEvPT0_PvPT_S6_S6_PKS5_S8_S8_S8_S8_ffiiiiiiiiiiiii ; -- Begin function _ZN5aiter35fused_qk_rmsnorm_group_quant_kernelIDF16_DB8_Li64ELi4ELi8ELb1ELb0ELb1ELb0ELb0ELb0EEEvPT0_PvPT_S6_S6_PKS5_S8_S8_S8_S8_ffiiiiiiiiiiiii
	.globl	_ZN5aiter35fused_qk_rmsnorm_group_quant_kernelIDF16_DB8_Li64ELi4ELi8ELb1ELb0ELb1ELb0ELb0ELb0EEEvPT0_PvPT_S6_S6_PKS5_S8_S8_S8_S8_ffiiiiiiiiiiiii
	.p2align	8
	.type	_ZN5aiter35fused_qk_rmsnorm_group_quant_kernelIDF16_DB8_Li64ELi4ELi8ELb1ELb0ELb1ELb0ELb0ELb0EEEvPT0_PvPT_S6_S6_PKS5_S8_S8_S8_S8_ffiiiiiiiiiiiii,@function
_ZN5aiter35fused_qk_rmsnorm_group_quant_kernelIDF16_DB8_Li64ELi4ELi8ELb1ELb0ELb1ELb0ELb0ELb0EEEvPT0_PvPT_S6_S6_PKS5_S8_S8_S8_S8_ffiiiiiiiiiiiii: ; @_ZN5aiter35fused_qk_rmsnorm_group_quant_kernelIDF16_DB8_Li64ELi4ELi8ELb1ELb0ELb1ELb0ELb0ELb0EEEvPT0_PvPT_S6_S6_PKS5_S8_S8_S8_S8_ffiiiiiiiiiiiii
; %bb.0:
	s_load_dwordx8 s[8:15], s[4:5], 0x50
	s_waitcnt lgkmcnt(0)
	s_cmp_ge_i32 s6, s10
	s_cbranch_scc1 .LBB301_15
; %bb.1:
	s_cmp_lg_u32 s7, 0
	s_cselect_b64 s[2:3], -1, 0
	s_cmp_eq_u32 s7, 0
	s_cselect_b64 s[24:25], -1, 0
	s_and_b64 s[0:1], s[24:25], exec
	s_load_dwordx2 s[16:17], s[4:5], 0x48
	s_load_dwordx2 s[30:31], s[4:5], 0x30
	s_load_dwordx4 s[20:23], s[4:5], 0x70
	s_cselect_b32 s7, s11, s12
	s_add_i32 s0, s7, 1
	s_lshr_b32 s1, s0, 31
	s_add_i32 s0, s0, s1
	s_lshl_b32 s0, s0, 1
	v_lshlrev_b32_e32 v1, 2, v0
	s_and_b32 s26, s0, -4
	v_cmp_gt_i32_e64 s[0:1], s7, v1
	v_mov_b32_e32 v8, 0
	v_mov_b32_e32 v9, 0
	;; [unrolled: 1-line block ×4, first 2 shown]
	s_and_saveexec_b64 s[18:19], s[0:1]
	s_cbranch_execz .LBB301_3
; %bb.2:
	s_load_dwordx2 s[28:29], s[4:5], 0x28
	s_load_dwordx2 s[34:35], s[4:5], 0x40
	s_and_b64 s[36:37], s[24:25], exec
	s_cselect_b32 s10, s13, s14
	s_mov_b32 s27, 0x20000
	s_waitcnt lgkmcnt(0)
	s_cselect_b32 s13, s29, s31
	s_cselect_b32 s23, s28, s30
	s_mul_hi_i32 s29, s10, s6
	s_mul_i32 s28, s10, s6
	s_lshl_b64 s[28:29], s[28:29], 1
	s_add_u32 s36, s23, s28
	s_addc_u32 s10, s13, s29
	s_and_b64 s[24:25], s[24:25], exec
	s_cselect_b32 s24, s34, s16
	s_cselect_b32 s13, s35, s17
	v_lshlrev_b32_e32 v2, 3, v0
	s_and_b32 s37, s10, 0xffff
	s_mov_b32 s38, s26
	s_mov_b32 s39, s27
	s_and_b32 s25, s13, 0xffff
	buffer_load_dwordx2 v[10:11], v2, s[36:39], 0 offen glc slc
	buffer_load_dwordx2 v[8:9], v2, s[24:27], 0 offen
.LBB301_3:
	s_or_b64 exec, exec, s[18:19]
	s_load_dwordx2 s[28:29], s[4:5], 0x80
	s_and_b64 vcc, exec, s[2:3]
	s_cbranch_vccz .LBB301_7
; %bb.4:
	v_mov_b32_e32 v7, 0
	v_mov_b32_e32 v6, 0
	;; [unrolled: 1-line block ×4, first 2 shown]
	s_and_saveexec_b64 s[18:19], s[0:1]
	s_cbranch_execz .LBB301_6
; %bb.5:
	s_waitcnt vmcnt(1)
	v_cvt_f32_f16_sdwa v3, v10 dst_sel:DWORD dst_unused:UNUSED_PAD src0_sel:WORD_1
	v_cvt_f32_f16_e32 v2, v10
	v_cvt_f32_f16_sdwa v7, v11 dst_sel:DWORD dst_unused:UNUSED_PAD src0_sel:WORD_1
	v_cvt_f32_f16_e32 v6, v11
.LBB301_6:
	s_or_b64 exec, exec, s[18:19]
	s_mov_b32 s10, s9
	s_cbranch_execz .LBB301_8
	s_branch .LBB301_11
.LBB301_7:
                                        ; implicit-def: $vgpr7
                                        ; implicit-def: $vgpr2_vgpr3_vgpr4_vgpr5
	s_mov_b32 s10, s9
.LBB301_8:
	v_mov_b32_e32 v7, 0
	v_mov_b32_e32 v6, 0
	;; [unrolled: 1-line block ×4, first 2 shown]
	s_and_saveexec_b64 s[18:19], s[0:1]
	s_cbranch_execz .LBB301_10
; %bb.9:
	s_load_dwordx2 s[24:25], s[4:5], 0x38
	s_mul_hi_i32 s35, s15, s6
	s_mul_i32 s34, s15, s6
	s_lshl_b64 s[34:35], s[34:35], 1
	s_mov_b32 s27, 0x20000
	s_waitcnt lgkmcnt(0)
	s_add_u32 s24, s24, s34
	s_addc_u32 s10, s25, s35
	s_and_b32 s25, s10, 0xffff
	v_lshlrev_b32_e32 v14, 3, v0
	buffer_load_dwordx2 v[2:3], v14, s[24:27], 0 offen glc slc
	s_waitcnt vmcnt(2)
	v_cvt_f32_f16_sdwa v5, v10 dst_sel:DWORD dst_unused:UNUSED_PAD src0_sel:WORD_1
	v_cvt_f32_f16_e32 v4, v10
	v_cvt_f32_f16_sdwa v7, v11 dst_sel:DWORD dst_unused:UNUSED_PAD src0_sel:WORD_1
	v_cvt_f32_f16_e32 v6, v11
	s_load_dwordx2 s[24:25], s[4:5], 0x20
	s_mul_hi_i32 s35, s29, s6
	s_mul_i32 s34, s29, s6
	s_lshl_b64 s[34:35], s[34:35], 1
	s_waitcnt lgkmcnt(0)
	s_add_u32 s24, s24, s34
	s_addc_u32 s10, s25, s35
	s_and_b32 s25, s10, 0xffff
	s_waitcnt vmcnt(0)
	v_cvt_f32_f16_e32 v10, v2
	v_cvt_f32_f16_sdwa v11, v2 dst_sel:DWORD dst_unused:UNUSED_PAD src0_sel:WORD_1
	v_cvt_f32_f16_e32 v12, v3
	v_cvt_f32_f16_sdwa v13, v3 dst_sel:DWORD dst_unused:UNUSED_PAD src0_sel:WORD_1
	v_pk_add_f32 v[2:3], v[4:5], v[10:11]
	v_cvt_f16_f32_e32 v4, v3
	v_pk_add_f32 v[6:7], v[6:7], v[12:13]
	v_cvt_f16_f32_e32 v5, v7
	v_cvt_f16_f32_e32 v10, v6
	;; [unrolled: 1-line block ×3, first 2 shown]
	v_pack_b32_f16 v5, v10, v5
	v_pack_b32_f16 v4, v11, v4
	buffer_store_dwordx2 v[4:5], v14, s[24:27], 0 offen glc slc
	;;#ASMSTART
	s_nop 0
	;;#ASMEND
.LBB301_10:
	s_or_b64 exec, exec, s[18:19]
	s_mov_b32 s10, s8
.LBB301_11:
	v_mul_f32_e32 v4, v3, v3
	v_fmac_f32_e32 v4, v2, v2
	v_fmac_f32_e32 v4, v6, v6
	;; [unrolled: 1-line block ×3, first 2 shown]
	s_waitcnt vmcnt(1)
	v_bfrev_b32_e32 v10, 0.5
	s_load_dwordx2 s[34:35], s[4:5], 0x18
	v_mov_b32_dpp v5, v4 quad_perm:[1,0,3,2] row_mask:0xf bank_mask:0xf
	v_add_f32_e32 v4, v4, v5
	s_nop 1
	v_mov_b32_dpp v5, v4 quad_perm:[2,3,0,1] row_mask:0xf bank_mask:0xf
	v_add_f32_e32 v4, v4, v5
	s_nop 1
	v_mov_b32_dpp v5, v4 row_half_mirror row_mask:0xf bank_mask:0xf
	v_add_f32_e32 v4, v4, v5
	s_nop 1
	v_mov_b32_dpp v5, v4 row_mirror row_mask:0xf bank_mask:0xf
	v_add_f32_e32 v4, v4, v5
	s_nop 1
	v_mov_b32_dpp v5, v4 row_bcast:15 row_mask:0xf bank_mask:0xf
	v_add_f32_e32 v4, v4, v5
	s_nop 1
	v_mov_b32_dpp v5, v4 row_bcast:31 row_mask:0xf bank_mask:0xf
	v_add_f32_e32 v4, v4, v5
	v_mbcnt_lo_u32_b32 v5, -1, 0
	v_mbcnt_hi_u32_b32 v5, -1, v5
	v_lshl_or_b32 v10, v5, 2, v10
	ds_bpermute_b32 v4, v10, v4
	s_and_saveexec_b64 s[18:19], s[0:1]
	s_cbranch_execnz .LBB301_16
; %bb.12:
	s_or_b64 exec, exec, s[18:19]
	s_mov_b64 s[18:19], -1
	s_and_b64 vcc, exec, s[2:3]
	s_cbranch_vccnz .LBB301_17
.LBB301_13:
	s_andn2_b64 vcc, exec, s[18:19]
	s_cbranch_vccz .LBB301_20
.LBB301_14:
	s_cmp_lt_i32 s12, 1
	s_cbranch_scc0 .LBB301_27
.LBB301_15:
	s_endpgm
.LBB301_16:
	v_cvt_f32_u32_e32 v5, s7
	s_mov_b32 s7, 0x800000
	s_waitcnt lgkmcnt(0)
	v_div_scale_f32 v11, s[24:25], v5, v5, v4
	v_rcp_f32_e32 v12, v11
	v_div_scale_f32 v13, vcc, v4, v5, v4
	v_fma_f32 v14, -v11, v12, 1.0
	v_fmac_f32_e32 v12, v14, v12
	v_mul_f32_e32 v14, v13, v12
	v_fma_f32 v15, -v11, v14, v13
	v_fmac_f32_e32 v14, v15, v12
	v_fma_f32 v11, -v11, v14, v13
	v_div_fmas_f32 v11, v11, v12, v14
	v_div_fixup_f32 v4, v11, v5, v4
	v_add_f32_e32 v4, s10, v4
	v_mul_f32_e32 v5, 0x4b800000, v4
	v_cmp_gt_f32_e32 vcc, s7, v4
	v_cndmask_b32_e32 v4, v4, v5, vcc
	v_rsq_f32_e32 v11, v4
	s_waitcnt vmcnt(0)
	v_cvt_f32_f16_sdwa v5, v8 dst_sel:DWORD dst_unused:UNUSED_PAD src0_sel:WORD_1
	v_cvt_f32_f16_e32 v4, v8
	v_cvt_f32_f16_sdwa v13, v9 dst_sel:DWORD dst_unused:UNUSED_PAD src0_sel:WORD_1
	v_cvt_f32_f16_e32 v12, v9
	v_mul_f32_e32 v8, 0x45800000, v11
	v_cndmask_b32_e32 v14, v11, v8, vcc
	v_mov_b32_e32 v15, v14
	;;#ASMSTART
	v_pk_mul_f32 v[2:3], v[2:3], v[14:15]
	;;#ASMEND
	;;#ASMSTART
	v_pk_mul_f32 v[6:7], v[6:7], v[14:15]
	;;#ASMEND
	v_pk_add_f32 v[4:5], v[4:5], 1.0 op_sel_hi:[1,0]
	;;#ASMSTART
	v_pk_mul_f32 v[2:3], v[2:3], v[4:5]
	;;#ASMEND
	v_pk_add_f32 v[4:5], v[12:13], 1.0 op_sel_hi:[1,0]
	;;#ASMSTART
	v_pk_mul_f32 v[6:7], v[6:7], v[4:5]
	;;#ASMEND
	s_or_b64 exec, exec, s[18:19]
	s_mov_b64 s[18:19], -1
	s_and_b64 vcc, exec, s[2:3]
	s_cbranch_vccz .LBB301_13
.LBB301_17:
	s_and_saveexec_b64 s[2:3], s[0:1]
	s_cbranch_execz .LBB301_19
; %bb.18:
	s_waitcnt lgkmcnt(0)
	s_mul_hi_i32 s19, s28, s6
	s_mul_i32 s18, s28, s6
	v_cvt_f16_f32_e32 v4, v2
	v_cvt_f16_f32_e32 v5, v6
	s_waitcnt vmcnt(0)
	v_cvt_f16_f32_e32 v8, v7
	v_cvt_f16_f32_e32 v9, v3
	s_lshl_b64 s[18:19], s[18:19], 1
	s_add_u32 s24, s34, s18
	s_addc_u32 s7, s35, s19
	s_and_b32 s25, s7, 0xffff
	s_mov_b32 s27, 0x20000
	v_pack_b32_f16 v5, v5, v8
	v_pack_b32_f16 v4, v4, v9
	v_lshlrev_b32_e32 v8, 3, v0
	buffer_store_dwordx2 v[4:5], v8, s[24:27], 0 offen
	;;#ASMSTART
	s_nop 0
	;;#ASMEND
.LBB301_19:
	s_or_b64 exec, exec, s[2:3]
	s_cbranch_execnz .LBB301_14
.LBB301_20:
	s_waitcnt lgkmcnt(0)
	v_mov_b32_e32 v4, 0
	s_and_saveexec_b64 s[2:3], s[0:1]
	s_cbranch_execz .LBB301_22
; %bb.21:
	v_and_b32_e32 v4, 0x7fffffff, v2
	v_and_b32_e32 v5, 0x7fffffff, v3
	s_waitcnt vmcnt(0)
	v_mov_b32_e32 v8, 0x2edbe6ff
	;;#ASMSTART
	v_max3_f32 v4, v8, v4, v5

	;;#ASMEND
	v_and_b32_e32 v5, 0x7fffffff, v6
	v_and_b32_e32 v8, 0x7fffffff, v7
	;;#ASMSTART
	v_max3_f32 v4, v4, v5, v8

	;;#ASMEND
.LBB301_22:
	s_or_b64 exec, exec, s[2:3]
	;;#ASMSTART
	v_max_f32 v5, v4, v4 quad_perm:[1,0,3,2] row_mask:0xf bank_mask:0xf bound_ctrl:1
	;;#ASMEND
	;;#ASMSTART
	v_max_f32 v4, v5, v5 quad_perm:[2,3,0,1] row_mask:0xf bank_mask:0xf bound_ctrl:1
	;;#ASMEND
	;;#ASMSTART
	v_max_f32 v5, v4, v4 row_half_mirror row_mask:0xf bank_mask:0xf bound_ctrl:1
	;;#ASMEND
	v_mul_f32_e32 v4, 0x3b124925, v5
	v_and_b32_e32 v5, 7, v0
	v_cmp_eq_u32_e32 vcc, 0, v5
	v_cmp_gt_i32_e64 s[2:3], s11, v1
	s_and_b64 s[18:19], vcc, s[2:3]
	s_and_saveexec_b64 s[2:3], s[18:19]
	s_cbranch_execz .LBB301_24
; %bb.23:
	s_load_dwordx2 s[18:19], s[4:5], 0x8
	v_lshrrev_b32_e32 v5, 3, v0
	s_mul_hi_i32 s25, s21, s6
	s_mul_i32 s24, s21, s6
	s_waitcnt vmcnt(0)
	v_mad_i64_i32 v[8:9], s[22:23], s22, v5, 0
	s_lshl_b64 s[22:23], s[24:25], 2
	s_waitcnt lgkmcnt(0)
	s_add_u32 s7, s18, s22
	s_addc_u32 s8, s19, s23
	v_lshlrev_b64 v[8:9], 2, v[8:9]
	v_mov_b32_e32 v5, s8
	v_add_co_u32_e32 v8, vcc, s7, v8
	v_addc_co_u32_e32 v9, vcc, v5, v9, vcc
	global_store_dword v[8:9], v4, off
.LBB301_24:
	s_or_b64 exec, exec, s[2:3]
	;;#ASMSTART
	v_rcp_f32 v4, v4
	;;#ASMEND
	s_and_saveexec_b64 s[2:3], s[0:1]
	s_cbranch_execz .LBB301_26
; %bb.25:
	s_load_dwordx2 s[0:1], s[4:5], 0x0
	s_mul_i32 s8, s20, s6
	s_mul_hi_i32 s7, s20, s6
	v_mov_b32_e32 v5, v4
	;;#ASMSTART
	v_pk_mul_f32 v[2:3], v[2:3], v[4:5]
	;;#ASMEND
	s_waitcnt lgkmcnt(0)
	s_add_u32 s20, s0, s8
	s_addc_u32 s0, s1, s7
	s_add_i32 s1, s11, 3
	s_ashr_i32 s7, s1, 31
	s_waitcnt vmcnt(0)
	v_mov_b32_e32 v8, 0xc3e00000
	v_mov_b32_e32 v9, 0x43e00000
	;;#ASMSTART
	v_med3_f32 v2, v2, v8, v9
v_med3_f32 v3, v3, v8, v9
v_cvt_pk_fp8_f32 v11, v2, v3
	;;#ASMEND
	s_and_b32 s21, s0, 0xffff
	s_lshr_b32 s0, s7, 30
	;;#ASMSTART
	v_pk_mul_f32 v[2:3], v[6:7], v[4:5]
	;;#ASMEND
	s_add_i32 s1, s1, s0
	;;#ASMSTART
	v_med3_f32 v2, v2, v8, v9
v_med3_f32 v3, v3, v8, v9
v_cvt_pk_fp8_f32 v4, v2, v3
	;;#ASMEND
	s_mov_b32 s0, 0x5040100
	s_and_b32 s22, s1, -4
	s_mov_b32 s23, 0x20000
	v_perm_b32 v2, v4, v11, s0
	buffer_store_dword v2, v1, s[20:23], 0 offen
	;;#ASMSTART
	s_nop 0
	;;#ASMEND
.LBB301_26:
	s_or_b64 exec, exec, s[2:3]
	s_cmp_lt_i32 s12, 1
	s_cbranch_scc1 .LBB301_15
.LBB301_27:
	s_load_dword s0, s[4:5], 0x94
	s_waitcnt lgkmcnt(0)
	s_cmp_lg_u32 s0, 1
	s_cbranch_scc1 .LBB301_15
; %bb.28:
	s_lshl_b32 s0, s12, 1
	s_add_i32 s0, s0, 2
	v_cmp_gt_u32_e32 vcc, s12, v1
	s_and_b32 s18, s0, -4
	v_mov_b32_e32 v2, 0
	v_lshlrev_b32_e32 v6, 3, v0
	v_mov_b32_e32 v3, 0
	v_mov_b32_e32 v0, 0
	;; [unrolled: 1-line block ×3, first 2 shown]
	s_barrier
	s_and_saveexec_b64 s[0:1], vcc
	s_cbranch_execz .LBB301_30
; %bb.29:
	s_mul_hi_i32 s3, s14, s6
	s_mul_i32 s2, s14, s6
	s_and_b32 s17, s17, 0xffff
	s_lshl_b64 s[2:3], s[2:3], 1
	s_add_u32 s20, s30, s2
	s_mov_b32 s19, 0x20000
	s_addc_u32 s2, s31, s3
	s_and_b32 s21, s2, 0xffff
	s_mov_b32 s22, s18
	s_mov_b32 s23, s19
	buffer_load_dwordx2 v[2:3], v6, s[20:23], 0 offen glc slc
	buffer_load_dwordx2 v[0:1], v6, s[16:19], 0 offen
.LBB301_30:
	s_or_b64 exec, exec, s[0:1]
	s_waitcnt vmcnt(1)
	v_cvt_f32_f16_e32 v4, v3
	v_cvt_f32_f16_e32 v5, v2
	v_cvt_f32_f16_sdwa v7, v2 dst_sel:DWORD dst_unused:UNUSED_PAD src0_sel:WORD_1
	v_cvt_f32_f16_sdwa v3, v3 dst_sel:DWORD dst_unused:UNUSED_PAD src0_sel:WORD_1
	v_cndmask_b32_e32 v2, 0, v4, vcc
	v_cndmask_b32_e32 v4, 0, v5, vcc
	;; [unrolled: 1-line block ×3, first 2 shown]
	v_mul_f32_e32 v7, v5, v5
	v_fmac_f32_e32 v7, v4, v4
	v_cndmask_b32_e32 v3, 0, v3, vcc
	v_fmac_f32_e32 v7, v2, v2
	v_fmac_f32_e32 v7, v3, v3
	s_waitcnt vmcnt(0)
	s_nop 0
	v_mov_b32_dpp v8, v7 quad_perm:[1,0,3,2] row_mask:0xf bank_mask:0xf
	v_add_f32_e32 v7, v7, v8
	s_nop 1
	v_mov_b32_dpp v8, v7 quad_perm:[2,3,0,1] row_mask:0xf bank_mask:0xf
	v_add_f32_e32 v7, v7, v8
	s_nop 1
	v_mov_b32_dpp v8, v7 row_half_mirror row_mask:0xf bank_mask:0xf
	v_add_f32_e32 v7, v7, v8
	s_nop 1
	v_mov_b32_dpp v8, v7 row_mirror row_mask:0xf bank_mask:0xf
	v_add_f32_e32 v7, v7, v8
	s_nop 1
	v_mov_b32_dpp v8, v7 row_bcast:15 row_mask:0xf bank_mask:0xf
	v_add_f32_e32 v7, v7, v8
	s_nop 1
	v_mov_b32_dpp v8, v7 row_bcast:31 row_mask:0xf bank_mask:0xf
	v_add_f32_e32 v7, v7, v8
	ds_bpermute_b32 v7, v10, v7
	s_and_saveexec_b64 s[0:1], vcc
	s_cbranch_execz .LBB301_15
; %bb.31:
	v_cvt_f32_u32_e32 v8, s12
	s_mov_b32 s19, 0x20000
	s_waitcnt lgkmcnt(0)
	v_div_scale_f32 v9, s[0:1], v8, v8, v7
	v_rcp_f32_e32 v10, v9
	v_div_scale_f32 v11, vcc, v7, v8, v7
	s_mov_b32 s0, 0x800000
	v_fma_f32 v12, -v9, v10, 1.0
	v_fmac_f32_e32 v10, v12, v10
	v_mul_f32_e32 v12, v11, v10
	v_fma_f32 v13, -v9, v12, v11
	v_fmac_f32_e32 v12, v13, v10
	v_fma_f32 v9, -v9, v12, v11
	v_div_fmas_f32 v9, v9, v10, v12
	v_div_fixup_f32 v7, v9, v8, v7
	v_add_f32_e32 v7, s9, v7
	v_mul_f32_e32 v8, 0x4b800000, v7
	v_cmp_gt_f32_e32 vcc, s0, v7
	v_cndmask_b32_e32 v7, v7, v8, vcc
	v_rsq_f32_e32 v7, v7
	v_cvt_f32_f16_sdwa v9, v0 dst_sel:DWORD dst_unused:UNUSED_PAD src0_sel:WORD_1
	v_cvt_f32_f16_e32 v8, v0
	v_cvt_f32_f16_sdwa v11, v1 dst_sel:DWORD dst_unused:UNUSED_PAD src0_sel:WORD_1
	v_cvt_f32_f16_e32 v10, v1
	v_mul_f32_e32 v0, 0x45800000, v7
	v_cndmask_b32_e32 v12, v7, v0, vcc
	v_mov_b32_e32 v13, v12
	;;#ASMSTART
	v_pk_mul_f32 v[4:5], v[4:5], v[12:13]
	;;#ASMEND
	;;#ASMSTART
	v_pk_mul_f32 v[0:1], v[2:3], v[12:13]
	;;#ASMEND
	v_pk_add_f32 v[2:3], v[8:9], 1.0 op_sel_hi:[1,0]
	;;#ASMSTART
	v_pk_mul_f32 v[2:3], v[4:5], v[2:3]
	;;#ASMEND
	v_pk_add_f32 v[4:5], v[10:11], 1.0 op_sel_hi:[1,0]
	;;#ASMSTART
	v_pk_mul_f32 v[0:1], v[0:1], v[4:5]
	;;#ASMEND
	s_mul_hi_i32 s1, s28, s6
	s_mul_i32 s0, s28, s6
	v_cvt_f16_f32_e32 v2, v2
	v_cvt_f16_f32_e32 v3, v3
	;; [unrolled: 1-line block ×4, first 2 shown]
	s_lshl_b64 s[0:1], s[0:1], 1
	s_add_u32 s16, s34, s0
	s_addc_u32 s0, s35, s1
	s_and_b32 s17, s0, 0xffff
	v_pack_b32_f16 v0, v2, v3
	v_pack_b32_f16 v1, v4, v1
	buffer_store_dwordx2 v[0:1], v6, s[16:19], 0 offen
	;;#ASMSTART
	s_nop 0
	;;#ASMEND
	s_endpgm
	.section	.rodata,"a",@progbits
	.p2align	6, 0x0
	.amdhsa_kernel _ZN5aiter35fused_qk_rmsnorm_group_quant_kernelIDF16_DB8_Li64ELi4ELi8ELb1ELb0ELb1ELb0ELb0ELb0EEEvPT0_PvPT_S6_S6_PKS5_S8_S8_S8_S8_ffiiiiiiiiiiiii
		.amdhsa_group_segment_fixed_size 0
		.amdhsa_private_segment_fixed_size 0
		.amdhsa_kernarg_size 400
		.amdhsa_user_sgpr_count 6
		.amdhsa_user_sgpr_private_segment_buffer 1
		.amdhsa_user_sgpr_dispatch_ptr 0
		.amdhsa_user_sgpr_queue_ptr 0
		.amdhsa_user_sgpr_kernarg_segment_ptr 1
		.amdhsa_user_sgpr_dispatch_id 0
		.amdhsa_user_sgpr_flat_scratch_init 0
		.amdhsa_user_sgpr_kernarg_preload_length 0
		.amdhsa_user_sgpr_kernarg_preload_offset 0
		.amdhsa_user_sgpr_private_segment_size 0
		.amdhsa_uses_dynamic_stack 0
		.amdhsa_system_sgpr_private_segment_wavefront_offset 0
		.amdhsa_system_sgpr_workgroup_id_x 1
		.amdhsa_system_sgpr_workgroup_id_y 1
		.amdhsa_system_sgpr_workgroup_id_z 0
		.amdhsa_system_sgpr_workgroup_info 0
		.amdhsa_system_vgpr_workitem_id 0
		.amdhsa_next_free_vgpr 16
		.amdhsa_next_free_sgpr 40
		.amdhsa_accum_offset 16
		.amdhsa_reserve_vcc 1
		.amdhsa_reserve_flat_scratch 0
		.amdhsa_float_round_mode_32 0
		.amdhsa_float_round_mode_16_64 0
		.amdhsa_float_denorm_mode_32 3
		.amdhsa_float_denorm_mode_16_64 3
		.amdhsa_dx10_clamp 1
		.amdhsa_ieee_mode 1
		.amdhsa_fp16_overflow 0
		.amdhsa_tg_split 0
		.amdhsa_exception_fp_ieee_invalid_op 0
		.amdhsa_exception_fp_denorm_src 0
		.amdhsa_exception_fp_ieee_div_zero 0
		.amdhsa_exception_fp_ieee_overflow 0
		.amdhsa_exception_fp_ieee_underflow 0
		.amdhsa_exception_fp_ieee_inexact 0
		.amdhsa_exception_int_div_zero 0
	.end_amdhsa_kernel
	.section	.text._ZN5aiter35fused_qk_rmsnorm_group_quant_kernelIDF16_DB8_Li64ELi4ELi8ELb1ELb0ELb1ELb0ELb0ELb0EEEvPT0_PvPT_S6_S6_PKS5_S8_S8_S8_S8_ffiiiiiiiiiiiii,"axG",@progbits,_ZN5aiter35fused_qk_rmsnorm_group_quant_kernelIDF16_DB8_Li64ELi4ELi8ELb1ELb0ELb1ELb0ELb0ELb0EEEvPT0_PvPT_S6_S6_PKS5_S8_S8_S8_S8_ffiiiiiiiiiiiii,comdat
.Lfunc_end301:
	.size	_ZN5aiter35fused_qk_rmsnorm_group_quant_kernelIDF16_DB8_Li64ELi4ELi8ELb1ELb0ELb1ELb0ELb0ELb0EEEvPT0_PvPT_S6_S6_PKS5_S8_S8_S8_S8_ffiiiiiiiiiiiii, .Lfunc_end301-_ZN5aiter35fused_qk_rmsnorm_group_quant_kernelIDF16_DB8_Li64ELi4ELi8ELb1ELb0ELb1ELb0ELb0ELb0EEEvPT0_PvPT_S6_S6_PKS5_S8_S8_S8_S8_ffiiiiiiiiiiiii
                                        ; -- End function
	.section	.AMDGPU.csdata,"",@progbits
; Kernel info:
; codeLenInByte = 2156
; NumSgprs: 44
; NumVgprs: 16
; NumAgprs: 0
; TotalNumVgprs: 16
; ScratchSize: 0
; MemoryBound: 0
; FloatMode: 240
; IeeeMode: 1
; LDSByteSize: 0 bytes/workgroup (compile time only)
; SGPRBlocks: 5
; VGPRBlocks: 1
; NumSGPRsForWavesPerEU: 44
; NumVGPRsForWavesPerEU: 16
; AccumOffset: 16
; Occupancy: 8
; WaveLimiterHint : 0
; COMPUTE_PGM_RSRC2:SCRATCH_EN: 0
; COMPUTE_PGM_RSRC2:USER_SGPR: 6
; COMPUTE_PGM_RSRC2:TRAP_HANDLER: 0
; COMPUTE_PGM_RSRC2:TGID_X_EN: 1
; COMPUTE_PGM_RSRC2:TGID_Y_EN: 1
; COMPUTE_PGM_RSRC2:TGID_Z_EN: 0
; COMPUTE_PGM_RSRC2:TIDIG_COMP_CNT: 0
; COMPUTE_PGM_RSRC3_GFX90A:ACCUM_OFFSET: 3
; COMPUTE_PGM_RSRC3_GFX90A:TG_SPLIT: 0
	.section	.text._ZN5aiter35fused_qk_rmsnorm_group_quant_kernelItDB8_Li64ELi4ELi8ELb1ELb0ELb1ELb0ELb0ELb0EEEvPT0_PvPT_S6_S6_PKS5_S8_S8_S8_S8_ffiiiiiiiiiiiii,"axG",@progbits,_ZN5aiter35fused_qk_rmsnorm_group_quant_kernelItDB8_Li64ELi4ELi8ELb1ELb0ELb1ELb0ELb0ELb0EEEvPT0_PvPT_S6_S6_PKS5_S8_S8_S8_S8_ffiiiiiiiiiiiii,comdat
	.protected	_ZN5aiter35fused_qk_rmsnorm_group_quant_kernelItDB8_Li64ELi4ELi8ELb1ELb0ELb1ELb0ELb0ELb0EEEvPT0_PvPT_S6_S6_PKS5_S8_S8_S8_S8_ffiiiiiiiiiiiii ; -- Begin function _ZN5aiter35fused_qk_rmsnorm_group_quant_kernelItDB8_Li64ELi4ELi8ELb1ELb0ELb1ELb0ELb0ELb0EEEvPT0_PvPT_S6_S6_PKS5_S8_S8_S8_S8_ffiiiiiiiiiiiii
	.globl	_ZN5aiter35fused_qk_rmsnorm_group_quant_kernelItDB8_Li64ELi4ELi8ELb1ELb0ELb1ELb0ELb0ELb0EEEvPT0_PvPT_S6_S6_PKS5_S8_S8_S8_S8_ffiiiiiiiiiiiii
	.p2align	8
	.type	_ZN5aiter35fused_qk_rmsnorm_group_quant_kernelItDB8_Li64ELi4ELi8ELb1ELb0ELb1ELb0ELb0ELb0EEEvPT0_PvPT_S6_S6_PKS5_S8_S8_S8_S8_ffiiiiiiiiiiiii,@function
_ZN5aiter35fused_qk_rmsnorm_group_quant_kernelItDB8_Li64ELi4ELi8ELb1ELb0ELb1ELb0ELb0ELb0EEEvPT0_PvPT_S6_S6_PKS5_S8_S8_S8_S8_ffiiiiiiiiiiiii: ; @_ZN5aiter35fused_qk_rmsnorm_group_quant_kernelItDB8_Li64ELi4ELi8ELb1ELb0ELb1ELb0ELb0ELb0EEEvPT0_PvPT_S6_S6_PKS5_S8_S8_S8_S8_ffiiiiiiiiiiiii
; %bb.0:
	s_load_dwordx8 s[8:15], s[4:5], 0x50
	s_waitcnt lgkmcnt(0)
	s_cmp_ge_i32 s6, s10
	s_cbranch_scc1 .LBB302_15
; %bb.1:
	s_cmp_lg_u32 s7, 0
	s_cselect_b64 s[2:3], -1, 0
	s_cmp_eq_u32 s7, 0
	s_cselect_b64 s[24:25], -1, 0
	s_and_b64 s[0:1], s[24:25], exec
	s_load_dwordx2 s[16:17], s[4:5], 0x48
	s_load_dwordx2 s[30:31], s[4:5], 0x30
	s_load_dwordx4 s[20:23], s[4:5], 0x70
	s_cselect_b32 s7, s11, s12
	s_add_i32 s0, s7, 1
	s_lshr_b32 s1, s0, 31
	s_add_i32 s0, s0, s1
	s_lshl_b32 s0, s0, 1
	v_lshlrev_b32_e32 v1, 2, v0
	s_and_b32 s26, s0, -4
	v_cmp_gt_i32_e64 s[0:1], s7, v1
	v_mov_b32_e32 v6, 0
	v_mov_b32_e32 v7, 0
	;; [unrolled: 1-line block ×4, first 2 shown]
	s_and_saveexec_b64 s[18:19], s[0:1]
	s_cbranch_execz .LBB302_3
; %bb.2:
	s_load_dwordx2 s[28:29], s[4:5], 0x28
	s_load_dwordx2 s[34:35], s[4:5], 0x40
	s_and_b64 s[36:37], s[24:25], exec
	s_cselect_b32 s10, s13, s14
	s_mov_b32 s27, 0x20000
	s_waitcnt lgkmcnt(0)
	s_cselect_b32 s13, s29, s31
	s_cselect_b32 s23, s28, s30
	s_mul_hi_i32 s29, s10, s6
	s_mul_i32 s28, s10, s6
	s_lshl_b64 s[28:29], s[28:29], 1
	s_add_u32 s36, s23, s28
	s_addc_u32 s10, s13, s29
	s_and_b64 s[24:25], s[24:25], exec
	s_cselect_b32 s24, s34, s16
	s_cselect_b32 s13, s35, s17
	v_lshlrev_b32_e32 v2, 3, v0
	s_and_b32 s37, s10, 0xffff
	s_mov_b32 s38, s26
	s_mov_b32 s39, s27
	s_and_b32 s25, s13, 0xffff
	buffer_load_dwordx2 v[8:9], v2, s[36:39], 0 offen glc slc
	buffer_load_dwordx2 v[6:7], v2, s[24:27], 0 offen
.LBB302_3:
	s_or_b64 exec, exec, s[18:19]
	s_load_dwordx2 s[28:29], s[4:5], 0x80
	s_and_b64 vcc, exec, s[2:3]
	s_cbranch_vccz .LBB302_7
; %bb.4:
	s_mov_b32 s36, 0
	s_mov_b32 s37, s36
	;; [unrolled: 1-line block ×4, first 2 shown]
	v_pk_mov_b32 v[2:3], s[36:37], s[36:37] op_sel:[0,1]
	v_pk_mov_b32 v[4:5], s[38:39], s[38:39] op_sel:[0,1]
	s_and_saveexec_b64 s[18:19], s[0:1]
	s_cbranch_execz .LBB302_6
; %bb.5:
	s_waitcnt vmcnt(1)
	v_cvt_f32_u32_sdwa v3, v8 dst_sel:DWORD dst_unused:UNUSED_PAD src0_sel:WORD_1
	v_cvt_f32_u32_sdwa v2, v8 dst_sel:DWORD dst_unused:UNUSED_PAD src0_sel:WORD_0
	v_cvt_f32_u32_sdwa v5, v9 dst_sel:DWORD dst_unused:UNUSED_PAD src0_sel:WORD_1
	v_cvt_f32_u32_sdwa v4, v9 dst_sel:DWORD dst_unused:UNUSED_PAD src0_sel:WORD_0
.LBB302_6:
	s_or_b64 exec, exec, s[18:19]
	s_mov_b32 s10, s9
	s_cbranch_execz .LBB302_8
	s_branch .LBB302_11
.LBB302_7:
                                        ; implicit-def: $vgpr2_vgpr3_vgpr4_vgpr5
	s_mov_b32 s10, s9
.LBB302_8:
	s_mov_b32 s36, 0
	s_mov_b32 s37, s36
	;; [unrolled: 1-line block ×4, first 2 shown]
	v_pk_mov_b32 v[2:3], s[36:37], s[36:37] op_sel:[0,1]
	v_pk_mov_b32 v[4:5], s[38:39], s[38:39] op_sel:[0,1]
	s_and_saveexec_b64 s[18:19], s[0:1]
	s_cbranch_execz .LBB302_10
; %bb.9:
	s_load_dwordx2 s[24:25], s[4:5], 0x38
	s_mul_hi_i32 s35, s15, s6
	s_mul_i32 s34, s15, s6
	s_lshl_b64 s[34:35], s[34:35], 1
	s_mov_b32 s27, 0x20000
	s_waitcnt lgkmcnt(0)
	s_add_u32 s24, s24, s34
	s_addc_u32 s10, s25, s35
	s_and_b32 s25, s10, 0xffff
	v_lshlrev_b32_e32 v14, 3, v0
	buffer_load_dwordx2 v[2:3], v14, s[24:27], 0 offen glc slc
	s_load_dwordx2 s[24:25], s[4:5], 0x20
	s_waitcnt vmcnt(2)
	v_cvt_f32_u32_sdwa v5, v8 dst_sel:DWORD dst_unused:UNUSED_PAD src0_sel:WORD_1
	v_cvt_f32_u32_sdwa v4, v8 dst_sel:DWORD dst_unused:UNUSED_PAD src0_sel:WORD_0
	v_cvt_f32_u32_sdwa v11, v9 dst_sel:DWORD dst_unused:UNUSED_PAD src0_sel:WORD_1
	v_cvt_f32_u32_sdwa v10, v9 dst_sel:DWORD dst_unused:UNUSED_PAD src0_sel:WORD_0
	s_mul_hi_i32 s35, s29, s6
	s_mul_i32 s34, s29, s6
	s_lshl_b64 s[34:35], s[34:35], 1
	s_waitcnt lgkmcnt(0)
	s_add_u32 s24, s24, s34
	s_mov_b32 s10, 0x7060302
	s_addc_u32 s13, s25, s35
	s_and_b32 s25, s13, 0xffff
	s_waitcnt vmcnt(0)
	v_cvt_f32_u32_sdwa v9, v2 dst_sel:DWORD dst_unused:UNUSED_PAD src0_sel:WORD_1
	v_cvt_f32_u32_sdwa v8, v2 dst_sel:DWORD dst_unused:UNUSED_PAD src0_sel:WORD_0
	v_cvt_f32_u32_sdwa v13, v3 dst_sel:DWORD dst_unused:UNUSED_PAD src0_sel:WORD_1
	v_cvt_f32_u32_sdwa v12, v3 dst_sel:DWORD dst_unused:UNUSED_PAD src0_sel:WORD_0
	v_pk_add_f32 v[2:3], v[4:5], v[8:9]
	v_perm_b32 v8, v3, v2, s10
	v_pk_add_f32 v[4:5], v[10:11], v[12:13]
	v_perm_b32 v9, v5, v4, s10
	buffer_store_dwordx2 v[8:9], v14, s[24:27], 0 offen glc slc
	;;#ASMSTART
	s_nop 0
	;;#ASMEND
.LBB302_10:
	s_or_b64 exec, exec, s[18:19]
	s_mov_b32 s10, s8
.LBB302_11:
	s_waitcnt vmcnt(1)
	v_mul_f32_e32 v8, v3, v3
	v_fmac_f32_e32 v8, v2, v2
	v_fmac_f32_e32 v8, v4, v4
	;; [unrolled: 1-line block ×3, first 2 shown]
	v_bfrev_b32_e32 v10, 0.5
	s_load_dwordx2 s[34:35], s[4:5], 0x18
	v_mov_b32_dpp v9, v8 quad_perm:[1,0,3,2] row_mask:0xf bank_mask:0xf
	v_add_f32_e32 v8, v8, v9
	s_nop 1
	v_mov_b32_dpp v9, v8 quad_perm:[2,3,0,1] row_mask:0xf bank_mask:0xf
	v_add_f32_e32 v8, v8, v9
	s_nop 1
	v_mov_b32_dpp v9, v8 row_half_mirror row_mask:0xf bank_mask:0xf
	v_add_f32_e32 v8, v8, v9
	s_nop 1
	v_mov_b32_dpp v9, v8 row_mirror row_mask:0xf bank_mask:0xf
	v_add_f32_e32 v8, v8, v9
	s_nop 1
	v_mov_b32_dpp v9, v8 row_bcast:15 row_mask:0xf bank_mask:0xf
	v_add_f32_e32 v8, v8, v9
	s_nop 1
	v_mov_b32_dpp v9, v8 row_bcast:31 row_mask:0xf bank_mask:0xf
	v_add_f32_e32 v9, v8, v9
	v_mbcnt_lo_u32_b32 v8, -1, 0
	v_mbcnt_hi_u32_b32 v8, -1, v8
	v_lshl_or_b32 v8, v8, 2, v10
	ds_bpermute_b32 v9, v8, v9
	s_and_saveexec_b64 s[18:19], s[0:1]
	s_cbranch_execnz .LBB302_16
; %bb.12:
	s_or_b64 exec, exec, s[18:19]
	s_mov_b64 s[18:19], -1
	s_and_b64 vcc, exec, s[2:3]
	s_cbranch_vccnz .LBB302_17
.LBB302_13:
	s_andn2_b64 vcc, exec, s[18:19]
	s_cbranch_vccz .LBB302_20
.LBB302_14:
	s_cmp_lt_i32 s12, 1
	s_cbranch_scc0 .LBB302_27
.LBB302_15:
	s_endpgm
.LBB302_16:
	v_cvt_f32_u32_e32 v10, s7
	s_mov_b32 s7, 0x800000
	s_waitcnt lgkmcnt(0)
	v_div_scale_f32 v11, s[24:25], v10, v10, v9
	v_rcp_f32_e32 v12, v11
	v_div_scale_f32 v13, vcc, v9, v10, v9
	v_fma_f32 v14, -v11, v12, 1.0
	v_fmac_f32_e32 v12, v14, v12
	v_mul_f32_e32 v14, v13, v12
	v_fma_f32 v15, -v11, v14, v13
	v_fmac_f32_e32 v14, v15, v12
	v_fma_f32 v11, -v11, v14, v13
	v_div_fmas_f32 v11, v11, v12, v14
	v_div_fixup_f32 v9, v11, v10, v9
	v_add_f32_e32 v9, s10, v9
	v_mul_f32_e32 v10, 0x4b800000, v9
	v_cmp_gt_f32_e32 vcc, s7, v9
	v_cndmask_b32_e32 v9, v9, v10, vcc
	v_rsq_f32_e32 v9, v9
	s_waitcnt vmcnt(0)
	v_cvt_f32_u32_sdwa v11, v6 dst_sel:DWORD dst_unused:UNUSED_PAD src0_sel:WORD_1
	v_cvt_f32_u32_sdwa v10, v6 dst_sel:DWORD dst_unused:UNUSED_PAD src0_sel:WORD_0
	v_cvt_f32_u32_sdwa v13, v7 dst_sel:DWORD dst_unused:UNUSED_PAD src0_sel:WORD_1
	v_cvt_f32_u32_sdwa v12, v7 dst_sel:DWORD dst_unused:UNUSED_PAD src0_sel:WORD_0
	v_mul_f32_e32 v6, 0x45800000, v9
	v_cndmask_b32_e32 v14, v9, v6, vcc
	v_mov_b32_e32 v15, v14
	;;#ASMSTART
	v_pk_mul_f32 v[2:3], v[2:3], v[14:15]
	;;#ASMEND
	;;#ASMSTART
	v_pk_mul_f32 v[4:5], v[4:5], v[14:15]
	;;#ASMEND
	v_pk_add_f32 v[6:7], v[10:11], 1.0 op_sel_hi:[1,0]
	;;#ASMSTART
	v_pk_mul_f32 v[2:3], v[2:3], v[6:7]
	;;#ASMEND
	v_pk_add_f32 v[6:7], v[12:13], 1.0 op_sel_hi:[1,0]
	;;#ASMSTART
	v_pk_mul_f32 v[4:5], v[4:5], v[6:7]
	;;#ASMEND
	s_or_b64 exec, exec, s[18:19]
	s_mov_b64 s[18:19], -1
	s_and_b64 vcc, exec, s[2:3]
	s_cbranch_vccz .LBB302_13
.LBB302_17:
	s_and_saveexec_b64 s[2:3], s[0:1]
	s_cbranch_execz .LBB302_19
; %bb.18:
	s_waitcnt lgkmcnt(0)
	s_mul_hi_i32 s19, s28, s6
	s_mul_i32 s18, s28, s6
	s_lshl_b64 s[18:19], s[18:19], 1
	s_add_u32 s24, s34, s18
	s_addc_u32 s7, s35, s19
	s_and_b32 s25, s7, 0xffff
	s_mov_b32 s7, 0x7060302
	s_mov_b32 s27, 0x20000
	s_waitcnt vmcnt(0)
	v_perm_b32 v6, v3, v2, s7
	v_perm_b32 v7, v5, v4, s7
	v_lshlrev_b32_e32 v9, 3, v0
	buffer_store_dwordx2 v[6:7], v9, s[24:27], 0 offen
	;;#ASMSTART
	s_nop 0
	;;#ASMEND
.LBB302_19:
	s_or_b64 exec, exec, s[2:3]
	s_cbranch_execnz .LBB302_14
.LBB302_20:
	s_waitcnt vmcnt(0)
	v_mov_b32_e32 v6, 0
	s_and_saveexec_b64 s[2:3], s[0:1]
	s_cbranch_execz .LBB302_22
; %bb.21:
	v_and_b32_e32 v6, 0x7fffffff, v2
	v_and_b32_e32 v7, 0x7fffffff, v3
	s_waitcnt lgkmcnt(0)
	v_mov_b32_e32 v9, 0x2edbe6ff
	;;#ASMSTART
	v_max3_f32 v6, v9, v6, v7

	;;#ASMEND
	v_and_b32_e32 v7, 0x7fffffff, v4
	v_and_b32_e32 v9, 0x7fffffff, v5
	;;#ASMSTART
	v_max3_f32 v6, v6, v7, v9

	;;#ASMEND
.LBB302_22:
	s_or_b64 exec, exec, s[2:3]
	;;#ASMSTART
	v_max_f32 v7, v6, v6 quad_perm:[1,0,3,2] row_mask:0xf bank_mask:0xf bound_ctrl:1
	;;#ASMEND
	;;#ASMSTART
	v_max_f32 v6, v7, v7 quad_perm:[2,3,0,1] row_mask:0xf bank_mask:0xf bound_ctrl:1
	;;#ASMEND
	;;#ASMSTART
	v_max_f32 v7, v6, v6 row_half_mirror row_mask:0xf bank_mask:0xf bound_ctrl:1
	;;#ASMEND
	v_mul_f32_e32 v6, 0x3b124925, v7
	v_and_b32_e32 v7, 7, v0
	v_cmp_eq_u32_e32 vcc, 0, v7
	v_cmp_gt_i32_e64 s[2:3], s11, v1
	s_and_b64 s[18:19], vcc, s[2:3]
	s_and_saveexec_b64 s[2:3], s[18:19]
	s_cbranch_execz .LBB302_24
; %bb.23:
	s_load_dwordx2 s[18:19], s[4:5], 0x8
	v_lshrrev_b32_e32 v7, 3, v0
	s_waitcnt lgkmcnt(0)
	s_mul_hi_i32 s25, s21, s6
	s_mul_i32 s24, s21, s6
	v_mad_i64_i32 v[10:11], s[22:23], s22, v7, 0
	s_lshl_b64 s[22:23], s[24:25], 2
	s_add_u32 s7, s18, s22
	s_addc_u32 s8, s19, s23
	v_lshlrev_b64 v[10:11], 2, v[10:11]
	v_mov_b32_e32 v7, s8
	v_add_co_u32_e32 v10, vcc, s7, v10
	v_addc_co_u32_e32 v11, vcc, v7, v11, vcc
	global_store_dword v[10:11], v6, off
.LBB302_24:
	s_or_b64 exec, exec, s[2:3]
	;;#ASMSTART
	v_rcp_f32 v6, v6
	;;#ASMEND
	s_and_saveexec_b64 s[2:3], s[0:1]
	s_cbranch_execz .LBB302_26
; %bb.25:
	s_load_dwordx2 s[0:1], s[4:5], 0x0
	s_waitcnt lgkmcnt(0)
	s_mul_i32 s8, s20, s6
	s_mul_hi_i32 s7, s20, s6
	v_mov_b32_e32 v7, v6
	;;#ASMSTART
	v_pk_mul_f32 v[2:3], v[2:3], v[6:7]
	;;#ASMEND
	s_add_u32 s20, s0, s8
	s_addc_u32 s0, s1, s7
	s_add_i32 s1, s11, 3
	s_ashr_i32 s7, s1, 31
	v_mov_b32_e32 v9, 0xc3e00000
	v_mov_b32_e32 v10, 0x43e00000
	;;#ASMSTART
	v_med3_f32 v2, v2, v9, v10
v_med3_f32 v3, v3, v9, v10
v_cvt_pk_fp8_f32 v11, v2, v3
	;;#ASMEND
	s_and_b32 s21, s0, 0xffff
	s_lshr_b32 s0, s7, 30
	;;#ASMSTART
	v_pk_mul_f32 v[2:3], v[4:5], v[6:7]
	;;#ASMEND
	s_add_i32 s1, s1, s0
	;;#ASMSTART
	v_med3_f32 v2, v2, v9, v10
v_med3_f32 v3, v3, v9, v10
v_cvt_pk_fp8_f32 v4, v2, v3
	;;#ASMEND
	s_mov_b32 s0, 0x5040100
	s_and_b32 s22, s1, -4
	s_mov_b32 s23, 0x20000
	v_perm_b32 v2, v4, v11, s0
	buffer_store_dword v2, v1, s[20:23], 0 offen
	;;#ASMSTART
	s_nop 0
	;;#ASMEND
.LBB302_26:
	s_or_b64 exec, exec, s[2:3]
	s_cmp_lt_i32 s12, 1
	s_cbranch_scc1 .LBB302_15
.LBB302_27:
	s_load_dword s0, s[4:5], 0x94
	s_waitcnt lgkmcnt(0)
	s_cmp_lg_u32 s0, 1
	s_cbranch_scc1 .LBB302_15
; %bb.28:
	s_lshl_b32 s0, s12, 1
	s_add_i32 s0, s0, 2
	v_cmp_gt_u32_e32 vcc, s12, v1
	s_and_b32 s18, s0, -4
	v_mov_b32_e32 v2, 0
	s_waitcnt vmcnt(0)
	v_lshlrev_b32_e32 v6, 3, v0
	v_mov_b32_e32 v3, 0
	v_mov_b32_e32 v0, 0
	;; [unrolled: 1-line block ×3, first 2 shown]
	s_barrier
	s_and_saveexec_b64 s[0:1], vcc
	s_cbranch_execz .LBB302_30
; %bb.29:
	s_mul_hi_i32 s3, s14, s6
	s_mul_i32 s2, s14, s6
	s_and_b32 s17, s17, 0xffff
	s_lshl_b64 s[2:3], s[2:3], 1
	s_add_u32 s20, s30, s2
	s_mov_b32 s19, 0x20000
	s_addc_u32 s2, s31, s3
	s_and_b32 s21, s2, 0xffff
	s_mov_b32 s22, s18
	s_mov_b32 s23, s19
	buffer_load_dwordx2 v[2:3], v6, s[20:23], 0 offen glc slc
	buffer_load_dwordx2 v[0:1], v6, s[16:19], 0 offen
.LBB302_30:
	s_or_b64 exec, exec, s[0:1]
	s_waitcnt vmcnt(1)
	v_cvt_f32_u32_sdwa v5, v3 dst_sel:DWORD dst_unused:UNUSED_PAD src0_sel:WORD_0
	v_cvt_f32_u32_sdwa v7, v2 dst_sel:DWORD dst_unused:UNUSED_PAD src0_sel:WORD_1
	v_cvt_f32_u32_sdwa v4, v3 dst_sel:DWORD dst_unused:UNUSED_PAD src0_sel:WORD_1
	v_cvt_f32_u32_sdwa v9, v2 dst_sel:DWORD dst_unused:UNUSED_PAD src0_sel:WORD_0
	v_cndmask_b32_e32 v2, 0, v5, vcc
	v_cndmask_b32_e32 v5, 0, v7, vcc
	;; [unrolled: 1-line block ×4, first 2 shown]
	v_mul_f32_e32 v7, v5, v5
	v_fmac_f32_e32 v7, v4, v4
	v_fmac_f32_e32 v7, v2, v2
	;; [unrolled: 1-line block ×3, first 2 shown]
	s_nop 1
	v_mov_b32_dpp v9, v7 quad_perm:[1,0,3,2] row_mask:0xf bank_mask:0xf
	v_add_f32_e32 v7, v7, v9
	s_nop 1
	v_mov_b32_dpp v9, v7 quad_perm:[2,3,0,1] row_mask:0xf bank_mask:0xf
	v_add_f32_e32 v7, v7, v9
	s_nop 1
	v_mov_b32_dpp v9, v7 row_half_mirror row_mask:0xf bank_mask:0xf
	v_add_f32_e32 v7, v7, v9
	s_nop 1
	v_mov_b32_dpp v9, v7 row_mirror row_mask:0xf bank_mask:0xf
	v_add_f32_e32 v7, v7, v9
	s_nop 1
	v_mov_b32_dpp v9, v7 row_bcast:15 row_mask:0xf bank_mask:0xf
	v_add_f32_e32 v7, v7, v9
	s_nop 1
	v_mov_b32_dpp v9, v7 row_bcast:31 row_mask:0xf bank_mask:0xf
	v_add_f32_e32 v7, v7, v9
	ds_bpermute_b32 v7, v8, v7
	s_and_saveexec_b64 s[0:1], vcc
	s_cbranch_execz .LBB302_15
; %bb.31:
	v_cvt_f32_u32_e32 v8, s12
	s_mov_b32 s19, 0x20000
	s_waitcnt lgkmcnt(0)
	v_div_scale_f32 v9, s[0:1], v8, v8, v7
	v_rcp_f32_e32 v10, v9
	v_div_scale_f32 v11, vcc, v7, v8, v7
	s_mov_b32 s0, 0x800000
	v_fma_f32 v12, -v9, v10, 1.0
	v_fmac_f32_e32 v10, v12, v10
	v_mul_f32_e32 v12, v11, v10
	v_fma_f32 v13, -v9, v12, v11
	v_fmac_f32_e32 v12, v13, v10
	v_fma_f32 v9, -v9, v12, v11
	v_div_fmas_f32 v9, v9, v10, v12
	v_div_fixup_f32 v7, v9, v8, v7
	v_add_f32_e32 v7, s9, v7
	v_mul_f32_e32 v8, 0x4b800000, v7
	v_cmp_gt_f32_e32 vcc, s0, v7
	v_cndmask_b32_e32 v7, v7, v8, vcc
	v_rsq_f32_e32 v7, v7
	s_waitcnt vmcnt(0)
	v_cvt_f32_u32_sdwa v9, v0 dst_sel:DWORD dst_unused:UNUSED_PAD src0_sel:WORD_1
	v_cvt_f32_u32_sdwa v8, v0 dst_sel:DWORD dst_unused:UNUSED_PAD src0_sel:WORD_0
	s_mul_hi_i32 s1, s28, s6
	s_mul_i32 s0, s28, s6
	v_cvt_f32_u32_sdwa v11, v1 dst_sel:DWORD dst_unused:UNUSED_PAD src0_sel:WORD_1
	v_mul_f32_e32 v0, 0x45800000, v7
	v_cvt_f32_u32_sdwa v10, v1 dst_sel:DWORD dst_unused:UNUSED_PAD src0_sel:WORD_0
	s_lshl_b64 s[0:1], s[0:1], 1
	v_cndmask_b32_e32 v12, v7, v0, vcc
	s_add_u32 s16, s34, s0
	v_mov_b32_e32 v13, v12
	;;#ASMSTART
	v_pk_mul_f32 v[4:5], v[4:5], v[12:13]
	;;#ASMEND
	;;#ASMSTART
	v_pk_mul_f32 v[0:1], v[2:3], v[12:13]
	;;#ASMEND
	v_pk_add_f32 v[2:3], v[8:9], 1.0 op_sel_hi:[1,0]
	s_addc_u32 s0, s35, s1
	;;#ASMSTART
	v_pk_mul_f32 v[2:3], v[4:5], v[2:3]
	;;#ASMEND
	s_and_b32 s17, s0, 0xffff
	s_mov_b32 s0, 0x7060302
	v_pk_add_f32 v[4:5], v[10:11], 1.0 op_sel_hi:[1,0]
	;;#ASMSTART
	v_pk_mul_f32 v[0:1], v[0:1], v[4:5]
	;;#ASMEND
	v_perm_b32 v2, v3, v2, s0
	v_perm_b32 v3, v1, v0, s0
	buffer_store_dwordx2 v[2:3], v6, s[16:19], 0 offen
	;;#ASMSTART
	s_nop 0
	;;#ASMEND
	s_endpgm
	.section	.rodata,"a",@progbits
	.p2align	6, 0x0
	.amdhsa_kernel _ZN5aiter35fused_qk_rmsnorm_group_quant_kernelItDB8_Li64ELi4ELi8ELb1ELb0ELb1ELb0ELb0ELb0EEEvPT0_PvPT_S6_S6_PKS5_S8_S8_S8_S8_ffiiiiiiiiiiiii
		.amdhsa_group_segment_fixed_size 0
		.amdhsa_private_segment_fixed_size 0
		.amdhsa_kernarg_size 400
		.amdhsa_user_sgpr_count 6
		.amdhsa_user_sgpr_private_segment_buffer 1
		.amdhsa_user_sgpr_dispatch_ptr 0
		.amdhsa_user_sgpr_queue_ptr 0
		.amdhsa_user_sgpr_kernarg_segment_ptr 1
		.amdhsa_user_sgpr_dispatch_id 0
		.amdhsa_user_sgpr_flat_scratch_init 0
		.amdhsa_user_sgpr_kernarg_preload_length 0
		.amdhsa_user_sgpr_kernarg_preload_offset 0
		.amdhsa_user_sgpr_private_segment_size 0
		.amdhsa_uses_dynamic_stack 0
		.amdhsa_system_sgpr_private_segment_wavefront_offset 0
		.amdhsa_system_sgpr_workgroup_id_x 1
		.amdhsa_system_sgpr_workgroup_id_y 1
		.amdhsa_system_sgpr_workgroup_id_z 0
		.amdhsa_system_sgpr_workgroup_info 0
		.amdhsa_system_vgpr_workitem_id 0
		.amdhsa_next_free_vgpr 16
		.amdhsa_next_free_sgpr 40
		.amdhsa_accum_offset 16
		.amdhsa_reserve_vcc 1
		.amdhsa_reserve_flat_scratch 0
		.amdhsa_float_round_mode_32 0
		.amdhsa_float_round_mode_16_64 0
		.amdhsa_float_denorm_mode_32 3
		.amdhsa_float_denorm_mode_16_64 3
		.amdhsa_dx10_clamp 1
		.amdhsa_ieee_mode 1
		.amdhsa_fp16_overflow 0
		.amdhsa_tg_split 0
		.amdhsa_exception_fp_ieee_invalid_op 0
		.amdhsa_exception_fp_denorm_src 0
		.amdhsa_exception_fp_ieee_div_zero 0
		.amdhsa_exception_fp_ieee_overflow 0
		.amdhsa_exception_fp_ieee_underflow 0
		.amdhsa_exception_fp_ieee_inexact 0
		.amdhsa_exception_int_div_zero 0
	.end_amdhsa_kernel
	.section	.text._ZN5aiter35fused_qk_rmsnorm_group_quant_kernelItDB8_Li64ELi4ELi8ELb1ELb0ELb1ELb0ELb0ELb0EEEvPT0_PvPT_S6_S6_PKS5_S8_S8_S8_S8_ffiiiiiiiiiiiii,"axG",@progbits,_ZN5aiter35fused_qk_rmsnorm_group_quant_kernelItDB8_Li64ELi4ELi8ELb1ELb0ELb1ELb0ELb0ELb0EEEvPT0_PvPT_S6_S6_PKS5_S8_S8_S8_S8_ffiiiiiiiiiiiii,comdat
.Lfunc_end302:
	.size	_ZN5aiter35fused_qk_rmsnorm_group_quant_kernelItDB8_Li64ELi4ELi8ELb1ELb0ELb1ELb0ELb0ELb0EEEvPT0_PvPT_S6_S6_PKS5_S8_S8_S8_S8_ffiiiiiiiiiiiii, .Lfunc_end302-_ZN5aiter35fused_qk_rmsnorm_group_quant_kernelItDB8_Li64ELi4ELi8ELb1ELb0ELb1ELb0ELb0ELb0EEEvPT0_PvPT_S6_S6_PKS5_S8_S8_S8_S8_ffiiiiiiiiiiiii
                                        ; -- End function
	.section	.AMDGPU.csdata,"",@progbits
; Kernel info:
; codeLenInByte = 2208
; NumSgprs: 44
; NumVgprs: 16
; NumAgprs: 0
; TotalNumVgprs: 16
; ScratchSize: 0
; MemoryBound: 0
; FloatMode: 240
; IeeeMode: 1
; LDSByteSize: 0 bytes/workgroup (compile time only)
; SGPRBlocks: 5
; VGPRBlocks: 1
; NumSGPRsForWavesPerEU: 44
; NumVGPRsForWavesPerEU: 16
; AccumOffset: 16
; Occupancy: 8
; WaveLimiterHint : 0
; COMPUTE_PGM_RSRC2:SCRATCH_EN: 0
; COMPUTE_PGM_RSRC2:USER_SGPR: 6
; COMPUTE_PGM_RSRC2:TRAP_HANDLER: 0
; COMPUTE_PGM_RSRC2:TGID_X_EN: 1
; COMPUTE_PGM_RSRC2:TGID_Y_EN: 1
; COMPUTE_PGM_RSRC2:TGID_Z_EN: 0
; COMPUTE_PGM_RSRC2:TIDIG_COMP_CNT: 0
; COMPUTE_PGM_RSRC3_GFX90A:ACCUM_OFFSET: 3
; COMPUTE_PGM_RSRC3_GFX90A:TG_SPLIT: 0
	.section	.text._ZN5aiter35fused_qk_rmsnorm_group_quant_kernelIDF16_DB8_Li64ELi4ELi8ELb1ELb0ELb0ELb0ELb0ELb0EEEvPT0_PvPT_S6_S6_PKS5_S8_S8_S8_S8_ffiiiiiiiiiiiii,"axG",@progbits,_ZN5aiter35fused_qk_rmsnorm_group_quant_kernelIDF16_DB8_Li64ELi4ELi8ELb1ELb0ELb0ELb0ELb0ELb0EEEvPT0_PvPT_S6_S6_PKS5_S8_S8_S8_S8_ffiiiiiiiiiiiii,comdat
	.protected	_ZN5aiter35fused_qk_rmsnorm_group_quant_kernelIDF16_DB8_Li64ELi4ELi8ELb1ELb0ELb0ELb0ELb0ELb0EEEvPT0_PvPT_S6_S6_PKS5_S8_S8_S8_S8_ffiiiiiiiiiiiii ; -- Begin function _ZN5aiter35fused_qk_rmsnorm_group_quant_kernelIDF16_DB8_Li64ELi4ELi8ELb1ELb0ELb0ELb0ELb0ELb0EEEvPT0_PvPT_S6_S6_PKS5_S8_S8_S8_S8_ffiiiiiiiiiiiii
	.globl	_ZN5aiter35fused_qk_rmsnorm_group_quant_kernelIDF16_DB8_Li64ELi4ELi8ELb1ELb0ELb0ELb0ELb0ELb0EEEvPT0_PvPT_S6_S6_PKS5_S8_S8_S8_S8_ffiiiiiiiiiiiii
	.p2align	8
	.type	_ZN5aiter35fused_qk_rmsnorm_group_quant_kernelIDF16_DB8_Li64ELi4ELi8ELb1ELb0ELb0ELb0ELb0ELb0EEEvPT0_PvPT_S6_S6_PKS5_S8_S8_S8_S8_ffiiiiiiiiiiiii,@function
_ZN5aiter35fused_qk_rmsnorm_group_quant_kernelIDF16_DB8_Li64ELi4ELi8ELb1ELb0ELb0ELb0ELb0ELb0EEEvPT0_PvPT_S6_S6_PKS5_S8_S8_S8_S8_ffiiiiiiiiiiiii: ; @_ZN5aiter35fused_qk_rmsnorm_group_quant_kernelIDF16_DB8_Li64ELi4ELi8ELb1ELb0ELb0ELb0ELb0ELb0EEEvPT0_PvPT_S6_S6_PKS5_S8_S8_S8_S8_ffiiiiiiiiiiiii
; %bb.0:
	s_load_dwordx8 s[8:15], s[4:5], 0x50
	s_waitcnt lgkmcnt(0)
	s_cmp_ge_i32 s6, s10
	s_cbranch_scc1 .LBB303_15
; %bb.1:
	s_cmp_lg_u32 s7, 0
	s_cselect_b64 s[2:3], -1, 0
	s_cmp_eq_u32 s7, 0
	s_cselect_b64 s[24:25], -1, 0
	s_and_b64 s[0:1], s[24:25], exec
	s_load_dwordx2 s[16:17], s[4:5], 0x48
	s_load_dwordx2 s[30:31], s[4:5], 0x30
	s_load_dwordx4 s[20:23], s[4:5], 0x70
	s_cselect_b32 s7, s11, s12
	s_add_i32 s0, s7, 1
	s_lshr_b32 s1, s0, 31
	s_add_i32 s0, s0, s1
	s_lshl_b32 s0, s0, 1
	v_lshlrev_b32_e32 v1, 2, v0
	s_and_b32 s26, s0, -4
	v_cmp_gt_i32_e64 s[0:1], s7, v1
	v_mov_b32_e32 v8, 0
	v_mov_b32_e32 v9, 0
	;; [unrolled: 1-line block ×4, first 2 shown]
	s_and_saveexec_b64 s[18:19], s[0:1]
	s_cbranch_execz .LBB303_3
; %bb.2:
	s_load_dwordx2 s[28:29], s[4:5], 0x28
	s_load_dwordx2 s[34:35], s[4:5], 0x40
	s_and_b64 s[36:37], s[24:25], exec
	s_cselect_b32 s10, s13, s14
	s_mov_b32 s27, 0x20000
	s_waitcnt lgkmcnt(0)
	s_cselect_b32 s13, s29, s31
	s_cselect_b32 s23, s28, s30
	s_mul_hi_i32 s29, s10, s6
	s_mul_i32 s28, s10, s6
	s_lshl_b64 s[28:29], s[28:29], 1
	s_add_u32 s36, s23, s28
	s_addc_u32 s10, s13, s29
	s_and_b64 s[24:25], s[24:25], exec
	s_cselect_b32 s24, s34, s16
	s_cselect_b32 s13, s35, s17
	v_lshlrev_b32_e32 v2, 3, v0
	s_and_b32 s37, s10, 0xffff
	s_mov_b32 s38, s26
	s_mov_b32 s39, s27
	s_and_b32 s25, s13, 0xffff
	buffer_load_dwordx2 v[10:11], v2, s[36:39], 0 offen glc slc
	buffer_load_dwordx2 v[8:9], v2, s[24:27], 0 offen
.LBB303_3:
	s_or_b64 exec, exec, s[18:19]
	s_load_dwordx2 s[28:29], s[4:5], 0x80
	s_and_b64 vcc, exec, s[2:3]
	s_cbranch_vccz .LBB303_7
; %bb.4:
	v_mov_b32_e32 v7, 0
	v_mov_b32_e32 v6, 0
	;; [unrolled: 1-line block ×4, first 2 shown]
	s_and_saveexec_b64 s[18:19], s[0:1]
	s_cbranch_execz .LBB303_6
; %bb.5:
	s_waitcnt vmcnt(1)
	v_cvt_f32_f16_sdwa v3, v10 dst_sel:DWORD dst_unused:UNUSED_PAD src0_sel:WORD_1
	v_cvt_f32_f16_e32 v2, v10
	v_cvt_f32_f16_sdwa v7, v11 dst_sel:DWORD dst_unused:UNUSED_PAD src0_sel:WORD_1
	v_cvt_f32_f16_e32 v6, v11
.LBB303_6:
	s_or_b64 exec, exec, s[18:19]
	s_mov_b32 s10, s9
	s_cbranch_execz .LBB303_8
	s_branch .LBB303_11
.LBB303_7:
                                        ; implicit-def: $vgpr7
                                        ; implicit-def: $vgpr2_vgpr3_vgpr4_vgpr5
	s_mov_b32 s10, s9
.LBB303_8:
	v_mov_b32_e32 v7, 0
	v_mov_b32_e32 v6, 0
	;; [unrolled: 1-line block ×4, first 2 shown]
	s_and_saveexec_b64 s[18:19], s[0:1]
	s_cbranch_execz .LBB303_10
; %bb.9:
	s_load_dwordx2 s[24:25], s[4:5], 0x38
	s_mul_hi_i32 s35, s15, s6
	s_mul_i32 s34, s15, s6
	s_lshl_b64 s[34:35], s[34:35], 1
	s_mov_b32 s27, 0x20000
	s_waitcnt lgkmcnt(0)
	s_add_u32 s24, s24, s34
	s_addc_u32 s10, s25, s35
	s_and_b32 s25, s10, 0xffff
	v_lshlrev_b32_e32 v14, 3, v0
	buffer_load_dwordx2 v[2:3], v14, s[24:27], 0 offen glc slc
	s_waitcnt vmcnt(2)
	v_cvt_f32_f16_sdwa v5, v10 dst_sel:DWORD dst_unused:UNUSED_PAD src0_sel:WORD_1
	v_cvt_f32_f16_e32 v4, v10
	v_cvt_f32_f16_sdwa v7, v11 dst_sel:DWORD dst_unused:UNUSED_PAD src0_sel:WORD_1
	v_cvt_f32_f16_e32 v6, v11
	s_load_dwordx2 s[24:25], s[4:5], 0x20
	s_mul_hi_i32 s35, s29, s6
	s_mul_i32 s34, s29, s6
	s_lshl_b64 s[34:35], s[34:35], 1
	s_waitcnt lgkmcnt(0)
	s_add_u32 s24, s24, s34
	s_addc_u32 s10, s25, s35
	s_and_b32 s25, s10, 0xffff
	s_waitcnt vmcnt(0)
	v_cvt_f32_f16_e32 v10, v2
	v_cvt_f32_f16_sdwa v11, v2 dst_sel:DWORD dst_unused:UNUSED_PAD src0_sel:WORD_1
	v_cvt_f32_f16_e32 v12, v3
	v_cvt_f32_f16_sdwa v13, v3 dst_sel:DWORD dst_unused:UNUSED_PAD src0_sel:WORD_1
	v_pk_add_f32 v[2:3], v[4:5], v[10:11]
	v_cvt_f16_f32_e32 v4, v3
	v_pk_add_f32 v[6:7], v[6:7], v[12:13]
	v_cvt_f16_f32_e32 v5, v7
	v_cvt_f16_f32_e32 v10, v6
	;; [unrolled: 1-line block ×3, first 2 shown]
	v_pack_b32_f16 v5, v10, v5
	v_pack_b32_f16 v4, v11, v4
	buffer_store_dwordx2 v[4:5], v14, s[24:27], 0 offen glc slc
	;;#ASMSTART
	s_nop 0
	;;#ASMEND
.LBB303_10:
	s_or_b64 exec, exec, s[18:19]
	s_mov_b32 s10, s8
.LBB303_11:
	v_mul_f32_e32 v4, v3, v3
	v_fmac_f32_e32 v4, v2, v2
	v_fmac_f32_e32 v4, v6, v6
	;; [unrolled: 1-line block ×3, first 2 shown]
	s_waitcnt vmcnt(1)
	v_bfrev_b32_e32 v10, 0.5
	s_load_dwordx2 s[34:35], s[4:5], 0x18
	v_mov_b32_dpp v5, v4 quad_perm:[1,0,3,2] row_mask:0xf bank_mask:0xf
	v_add_f32_e32 v4, v4, v5
	s_nop 1
	v_mov_b32_dpp v5, v4 quad_perm:[2,3,0,1] row_mask:0xf bank_mask:0xf
	v_add_f32_e32 v4, v4, v5
	s_nop 1
	v_mov_b32_dpp v5, v4 row_half_mirror row_mask:0xf bank_mask:0xf
	v_add_f32_e32 v4, v4, v5
	s_nop 1
	v_mov_b32_dpp v5, v4 row_mirror row_mask:0xf bank_mask:0xf
	v_add_f32_e32 v4, v4, v5
	s_nop 1
	v_mov_b32_dpp v5, v4 row_bcast:15 row_mask:0xf bank_mask:0xf
	v_add_f32_e32 v4, v4, v5
	s_nop 1
	v_mov_b32_dpp v5, v4 row_bcast:31 row_mask:0xf bank_mask:0xf
	v_add_f32_e32 v4, v4, v5
	v_mbcnt_lo_u32_b32 v5, -1, 0
	v_mbcnt_hi_u32_b32 v5, -1, v5
	v_lshl_or_b32 v10, v5, 2, v10
	ds_bpermute_b32 v4, v10, v4
	s_and_saveexec_b64 s[18:19], s[0:1]
	s_cbranch_execnz .LBB303_16
; %bb.12:
	s_or_b64 exec, exec, s[18:19]
	s_mov_b64 s[18:19], -1
	s_and_b64 vcc, exec, s[2:3]
	s_cbranch_vccnz .LBB303_17
.LBB303_13:
	s_andn2_b64 vcc, exec, s[18:19]
	s_cbranch_vccz .LBB303_20
.LBB303_14:
	s_cmp_lt_i32 s12, 1
	s_cbranch_scc0 .LBB303_27
.LBB303_15:
	s_endpgm
.LBB303_16:
	v_cvt_f32_u32_e32 v5, s7
	s_mov_b32 s7, 0x800000
	s_waitcnt lgkmcnt(0)
	v_div_scale_f32 v11, s[24:25], v5, v5, v4
	v_rcp_f32_e32 v12, v11
	v_div_scale_f32 v13, vcc, v4, v5, v4
	v_fma_f32 v14, -v11, v12, 1.0
	v_fmac_f32_e32 v12, v14, v12
	v_mul_f32_e32 v14, v13, v12
	v_fma_f32 v15, -v11, v14, v13
	v_fmac_f32_e32 v14, v15, v12
	v_fma_f32 v11, -v11, v14, v13
	v_div_fmas_f32 v11, v11, v12, v14
	v_div_fixup_f32 v4, v11, v5, v4
	v_add_f32_e32 v4, s10, v4
	v_mul_f32_e32 v5, 0x4b800000, v4
	v_cmp_gt_f32_e32 vcc, s7, v4
	v_cndmask_b32_e32 v4, v4, v5, vcc
	v_rsq_f32_e32 v11, v4
	s_waitcnt vmcnt(0)
	v_cvt_f32_f16_sdwa v5, v8 dst_sel:DWORD dst_unused:UNUSED_PAD src0_sel:WORD_1
	v_cvt_f32_f16_e32 v4, v8
	v_cvt_f32_f16_sdwa v13, v9 dst_sel:DWORD dst_unused:UNUSED_PAD src0_sel:WORD_1
	v_mul_f32_e32 v8, 0x45800000, v11
	v_cndmask_b32_e32 v14, v11, v8, vcc
	v_mov_b32_e32 v15, v14
	;;#ASMSTART
	v_pk_mul_f32 v[2:3], v[2:3], v[14:15]
	;;#ASMEND
	;;#ASMSTART
	v_pk_mul_f32 v[6:7], v[6:7], v[14:15]
	;;#ASMEND
	v_cvt_f32_f16_e32 v12, v9
	;;#ASMSTART
	v_pk_mul_f32 v[2:3], v[2:3], v[4:5]
	;;#ASMEND
	;;#ASMSTART
	v_pk_mul_f32 v[6:7], v[6:7], v[12:13]
	;;#ASMEND
	s_or_b64 exec, exec, s[18:19]
	s_mov_b64 s[18:19], -1
	s_and_b64 vcc, exec, s[2:3]
	s_cbranch_vccz .LBB303_13
.LBB303_17:
	s_and_saveexec_b64 s[2:3], s[0:1]
	s_cbranch_execz .LBB303_19
; %bb.18:
	s_waitcnt lgkmcnt(0)
	s_mul_hi_i32 s19, s28, s6
	s_mul_i32 s18, s28, s6
	v_cvt_f16_f32_e32 v4, v2
	v_cvt_f16_f32_e32 v5, v6
	s_waitcnt vmcnt(0)
	v_cvt_f16_f32_e32 v8, v7
	v_cvt_f16_f32_e32 v9, v3
	s_lshl_b64 s[18:19], s[18:19], 1
	s_add_u32 s24, s34, s18
	s_addc_u32 s7, s35, s19
	s_and_b32 s25, s7, 0xffff
	s_mov_b32 s27, 0x20000
	v_pack_b32_f16 v5, v5, v8
	v_pack_b32_f16 v4, v4, v9
	v_lshlrev_b32_e32 v8, 3, v0
	buffer_store_dwordx2 v[4:5], v8, s[24:27], 0 offen
	;;#ASMSTART
	s_nop 0
	;;#ASMEND
.LBB303_19:
	s_or_b64 exec, exec, s[2:3]
	s_cbranch_execnz .LBB303_14
.LBB303_20:
	s_waitcnt lgkmcnt(0)
	v_mov_b32_e32 v4, 0
	s_and_saveexec_b64 s[2:3], s[0:1]
	s_cbranch_execz .LBB303_22
; %bb.21:
	v_and_b32_e32 v4, 0x7fffffff, v2
	v_and_b32_e32 v5, 0x7fffffff, v3
	s_waitcnt vmcnt(0)
	v_mov_b32_e32 v8, 0x2edbe6ff
	;;#ASMSTART
	v_max3_f32 v4, v8, v4, v5

	;;#ASMEND
	v_and_b32_e32 v5, 0x7fffffff, v6
	v_and_b32_e32 v8, 0x7fffffff, v7
	;;#ASMSTART
	v_max3_f32 v4, v4, v5, v8

	;;#ASMEND
.LBB303_22:
	s_or_b64 exec, exec, s[2:3]
	;;#ASMSTART
	v_max_f32 v5, v4, v4 quad_perm:[1,0,3,2] row_mask:0xf bank_mask:0xf bound_ctrl:1
	;;#ASMEND
	;;#ASMSTART
	v_max_f32 v4, v5, v5 quad_perm:[2,3,0,1] row_mask:0xf bank_mask:0xf bound_ctrl:1
	;;#ASMEND
	;;#ASMSTART
	v_max_f32 v5, v4, v4 row_half_mirror row_mask:0xf bank_mask:0xf bound_ctrl:1
	;;#ASMEND
	v_mul_f32_e32 v4, 0x3b124925, v5
	v_and_b32_e32 v5, 7, v0
	v_cmp_eq_u32_e32 vcc, 0, v5
	v_cmp_gt_i32_e64 s[2:3], s11, v1
	s_and_b64 s[18:19], vcc, s[2:3]
	s_and_saveexec_b64 s[2:3], s[18:19]
	s_cbranch_execz .LBB303_24
; %bb.23:
	s_load_dwordx2 s[18:19], s[4:5], 0x8
	v_lshrrev_b32_e32 v5, 3, v0
	s_mul_hi_i32 s25, s21, s6
	s_mul_i32 s24, s21, s6
	s_waitcnt vmcnt(0)
	v_mad_i64_i32 v[8:9], s[22:23], s22, v5, 0
	s_lshl_b64 s[22:23], s[24:25], 2
	s_waitcnt lgkmcnt(0)
	s_add_u32 s7, s18, s22
	s_addc_u32 s8, s19, s23
	v_lshlrev_b64 v[8:9], 2, v[8:9]
	v_mov_b32_e32 v5, s8
	v_add_co_u32_e32 v8, vcc, s7, v8
	v_addc_co_u32_e32 v9, vcc, v5, v9, vcc
	global_store_dword v[8:9], v4, off
.LBB303_24:
	s_or_b64 exec, exec, s[2:3]
	;;#ASMSTART
	v_rcp_f32 v4, v4
	;;#ASMEND
	s_and_saveexec_b64 s[2:3], s[0:1]
	s_cbranch_execz .LBB303_26
; %bb.25:
	s_load_dwordx2 s[0:1], s[4:5], 0x0
	s_mul_i32 s8, s20, s6
	s_mul_hi_i32 s7, s20, s6
	v_mov_b32_e32 v5, v4
	;;#ASMSTART
	v_pk_mul_f32 v[2:3], v[2:3], v[4:5]
	;;#ASMEND
	s_waitcnt lgkmcnt(0)
	s_add_u32 s20, s0, s8
	s_addc_u32 s0, s1, s7
	s_add_i32 s1, s11, 3
	s_ashr_i32 s7, s1, 31
	s_waitcnt vmcnt(0)
	v_mov_b32_e32 v8, 0xc3e00000
	v_mov_b32_e32 v9, 0x43e00000
	;;#ASMSTART
	v_med3_f32 v2, v2, v8, v9
v_med3_f32 v3, v3, v8, v9
v_cvt_pk_fp8_f32 v11, v2, v3
	;;#ASMEND
	s_and_b32 s21, s0, 0xffff
	s_lshr_b32 s0, s7, 30
	;;#ASMSTART
	v_pk_mul_f32 v[2:3], v[6:7], v[4:5]
	;;#ASMEND
	s_add_i32 s1, s1, s0
	;;#ASMSTART
	v_med3_f32 v2, v2, v8, v9
v_med3_f32 v3, v3, v8, v9
v_cvt_pk_fp8_f32 v4, v2, v3
	;;#ASMEND
	s_mov_b32 s0, 0x5040100
	s_and_b32 s22, s1, -4
	s_mov_b32 s23, 0x20000
	v_perm_b32 v2, v4, v11, s0
	buffer_store_dword v2, v1, s[20:23], 0 offen
	;;#ASMSTART
	s_nop 0
	;;#ASMEND
.LBB303_26:
	s_or_b64 exec, exec, s[2:3]
	s_cmp_lt_i32 s12, 1
	s_cbranch_scc1 .LBB303_15
.LBB303_27:
	s_load_dword s0, s[4:5], 0x94
	s_waitcnt lgkmcnt(0)
	s_cmp_lg_u32 s0, 1
	s_cbranch_scc1 .LBB303_15
; %bb.28:
	s_lshl_b32 s0, s12, 1
	s_add_i32 s0, s0, 2
	v_cmp_gt_u32_e32 vcc, s12, v1
	s_and_b32 s18, s0, -4
	v_mov_b32_e32 v2, 0
	v_lshlrev_b32_e32 v6, 3, v0
	v_mov_b32_e32 v3, 0
	v_mov_b32_e32 v0, 0
	;; [unrolled: 1-line block ×3, first 2 shown]
	s_barrier
	s_and_saveexec_b64 s[0:1], vcc
	s_cbranch_execz .LBB303_30
; %bb.29:
	s_mul_hi_i32 s3, s14, s6
	s_mul_i32 s2, s14, s6
	s_and_b32 s17, s17, 0xffff
	s_lshl_b64 s[2:3], s[2:3], 1
	s_add_u32 s20, s30, s2
	s_mov_b32 s19, 0x20000
	s_addc_u32 s2, s31, s3
	s_and_b32 s21, s2, 0xffff
	s_mov_b32 s22, s18
	s_mov_b32 s23, s19
	buffer_load_dwordx2 v[2:3], v6, s[20:23], 0 offen glc slc
	buffer_load_dwordx2 v[0:1], v6, s[16:19], 0 offen
.LBB303_30:
	s_or_b64 exec, exec, s[0:1]
	s_waitcnt vmcnt(1)
	v_cvt_f32_f16_e32 v4, v3
	v_cvt_f32_f16_e32 v5, v2
	v_cvt_f32_f16_sdwa v7, v2 dst_sel:DWORD dst_unused:UNUSED_PAD src0_sel:WORD_1
	v_cvt_f32_f16_sdwa v3, v3 dst_sel:DWORD dst_unused:UNUSED_PAD src0_sel:WORD_1
	v_cndmask_b32_e32 v2, 0, v4, vcc
	v_cndmask_b32_e32 v4, 0, v5, vcc
	;; [unrolled: 1-line block ×3, first 2 shown]
	v_mul_f32_e32 v7, v5, v5
	v_fmac_f32_e32 v7, v4, v4
	v_cndmask_b32_e32 v3, 0, v3, vcc
	v_fmac_f32_e32 v7, v2, v2
	v_fmac_f32_e32 v7, v3, v3
	s_waitcnt vmcnt(0)
	s_nop 0
	v_mov_b32_dpp v8, v7 quad_perm:[1,0,3,2] row_mask:0xf bank_mask:0xf
	v_add_f32_e32 v7, v7, v8
	s_nop 1
	v_mov_b32_dpp v8, v7 quad_perm:[2,3,0,1] row_mask:0xf bank_mask:0xf
	v_add_f32_e32 v7, v7, v8
	s_nop 1
	v_mov_b32_dpp v8, v7 row_half_mirror row_mask:0xf bank_mask:0xf
	v_add_f32_e32 v7, v7, v8
	s_nop 1
	v_mov_b32_dpp v8, v7 row_mirror row_mask:0xf bank_mask:0xf
	v_add_f32_e32 v7, v7, v8
	s_nop 1
	v_mov_b32_dpp v8, v7 row_bcast:15 row_mask:0xf bank_mask:0xf
	v_add_f32_e32 v7, v7, v8
	s_nop 1
	v_mov_b32_dpp v8, v7 row_bcast:31 row_mask:0xf bank_mask:0xf
	v_add_f32_e32 v7, v7, v8
	ds_bpermute_b32 v7, v10, v7
	s_and_saveexec_b64 s[0:1], vcc
	s_cbranch_execz .LBB303_15
; %bb.31:
	v_cvt_f32_u32_e32 v8, s12
	s_mov_b32 s19, 0x20000
	s_waitcnt lgkmcnt(0)
	v_div_scale_f32 v9, s[0:1], v8, v8, v7
	v_rcp_f32_e32 v10, v9
	v_div_scale_f32 v11, vcc, v7, v8, v7
	s_mov_b32 s0, 0x800000
	v_fma_f32 v12, -v9, v10, 1.0
	v_fmac_f32_e32 v10, v12, v10
	v_mul_f32_e32 v12, v11, v10
	v_fma_f32 v13, -v9, v12, v11
	v_fmac_f32_e32 v12, v13, v10
	v_fma_f32 v9, -v9, v12, v11
	v_div_fmas_f32 v9, v9, v10, v12
	v_div_fixup_f32 v7, v9, v8, v7
	v_add_f32_e32 v7, s9, v7
	v_mul_f32_e32 v8, 0x4b800000, v7
	v_cmp_gt_f32_e32 vcc, s0, v7
	v_cndmask_b32_e32 v7, v7, v8, vcc
	v_rsq_f32_e32 v7, v7
	v_cvt_f32_f16_sdwa v9, v0 dst_sel:DWORD dst_unused:UNUSED_PAD src0_sel:WORD_1
	v_cvt_f32_f16_e32 v8, v0
	v_cvt_f32_f16_sdwa v11, v1 dst_sel:DWORD dst_unused:UNUSED_PAD src0_sel:WORD_1
	v_mul_f32_e32 v0, 0x45800000, v7
	v_cndmask_b32_e32 v12, v7, v0, vcc
	v_mov_b32_e32 v13, v12
	v_cvt_f32_f16_e32 v10, v1
	;;#ASMSTART
	v_pk_mul_f32 v[0:1], v[4:5], v[12:13]
	;;#ASMEND
	;;#ASMSTART
	v_pk_mul_f32 v[2:3], v[2:3], v[12:13]
	;;#ASMEND
	;; [unrolled: 3-line block ×4, first 2 shown]
	s_mul_hi_i32 s1, s28, s6
	s_mul_i32 s0, s28, s6
	v_cvt_f16_f32_e32 v0, v0
	v_cvt_f16_f32_e32 v1, v1
	;; [unrolled: 1-line block ×4, first 2 shown]
	s_lshl_b64 s[0:1], s[0:1], 1
	s_add_u32 s16, s34, s0
	s_addc_u32 s0, s35, s1
	s_and_b32 s17, s0, 0xffff
	v_pack_b32_f16 v0, v0, v1
	v_pack_b32_f16 v1, v2, v3
	buffer_store_dwordx2 v[0:1], v6, s[16:19], 0 offen
	;;#ASMSTART
	s_nop 0
	;;#ASMEND
	s_endpgm
	.section	.rodata,"a",@progbits
	.p2align	6, 0x0
	.amdhsa_kernel _ZN5aiter35fused_qk_rmsnorm_group_quant_kernelIDF16_DB8_Li64ELi4ELi8ELb1ELb0ELb0ELb0ELb0ELb0EEEvPT0_PvPT_S6_S6_PKS5_S8_S8_S8_S8_ffiiiiiiiiiiiii
		.amdhsa_group_segment_fixed_size 0
		.amdhsa_private_segment_fixed_size 0
		.amdhsa_kernarg_size 400
		.amdhsa_user_sgpr_count 6
		.amdhsa_user_sgpr_private_segment_buffer 1
		.amdhsa_user_sgpr_dispatch_ptr 0
		.amdhsa_user_sgpr_queue_ptr 0
		.amdhsa_user_sgpr_kernarg_segment_ptr 1
		.amdhsa_user_sgpr_dispatch_id 0
		.amdhsa_user_sgpr_flat_scratch_init 0
		.amdhsa_user_sgpr_kernarg_preload_length 0
		.amdhsa_user_sgpr_kernarg_preload_offset 0
		.amdhsa_user_sgpr_private_segment_size 0
		.amdhsa_uses_dynamic_stack 0
		.amdhsa_system_sgpr_private_segment_wavefront_offset 0
		.amdhsa_system_sgpr_workgroup_id_x 1
		.amdhsa_system_sgpr_workgroup_id_y 1
		.amdhsa_system_sgpr_workgroup_id_z 0
		.amdhsa_system_sgpr_workgroup_info 0
		.amdhsa_system_vgpr_workitem_id 0
		.amdhsa_next_free_vgpr 16
		.amdhsa_next_free_sgpr 40
		.amdhsa_accum_offset 16
		.amdhsa_reserve_vcc 1
		.amdhsa_reserve_flat_scratch 0
		.amdhsa_float_round_mode_32 0
		.amdhsa_float_round_mode_16_64 0
		.amdhsa_float_denorm_mode_32 3
		.amdhsa_float_denorm_mode_16_64 3
		.amdhsa_dx10_clamp 1
		.amdhsa_ieee_mode 1
		.amdhsa_fp16_overflow 0
		.amdhsa_tg_split 0
		.amdhsa_exception_fp_ieee_invalid_op 0
		.amdhsa_exception_fp_denorm_src 0
		.amdhsa_exception_fp_ieee_div_zero 0
		.amdhsa_exception_fp_ieee_overflow 0
		.amdhsa_exception_fp_ieee_underflow 0
		.amdhsa_exception_fp_ieee_inexact 0
		.amdhsa_exception_int_div_zero 0
	.end_amdhsa_kernel
	.section	.text._ZN5aiter35fused_qk_rmsnorm_group_quant_kernelIDF16_DB8_Li64ELi4ELi8ELb1ELb0ELb0ELb0ELb0ELb0EEEvPT0_PvPT_S6_S6_PKS5_S8_S8_S8_S8_ffiiiiiiiiiiiii,"axG",@progbits,_ZN5aiter35fused_qk_rmsnorm_group_quant_kernelIDF16_DB8_Li64ELi4ELi8ELb1ELb0ELb0ELb0ELb0ELb0EEEvPT0_PvPT_S6_S6_PKS5_S8_S8_S8_S8_ffiiiiiiiiiiiii,comdat
.Lfunc_end303:
	.size	_ZN5aiter35fused_qk_rmsnorm_group_quant_kernelIDF16_DB8_Li64ELi4ELi8ELb1ELb0ELb0ELb0ELb0ELb0EEEvPT0_PvPT_S6_S6_PKS5_S8_S8_S8_S8_ffiiiiiiiiiiiii, .Lfunc_end303-_ZN5aiter35fused_qk_rmsnorm_group_quant_kernelIDF16_DB8_Li64ELi4ELi8ELb1ELb0ELb0ELb0ELb0ELb0EEEvPT0_PvPT_S6_S6_PKS5_S8_S8_S8_S8_ffiiiiiiiiiiiii
                                        ; -- End function
	.section	.AMDGPU.csdata,"",@progbits
; Kernel info:
; codeLenInByte = 2124
; NumSgprs: 44
; NumVgprs: 16
; NumAgprs: 0
; TotalNumVgprs: 16
; ScratchSize: 0
; MemoryBound: 0
; FloatMode: 240
; IeeeMode: 1
; LDSByteSize: 0 bytes/workgroup (compile time only)
; SGPRBlocks: 5
; VGPRBlocks: 1
; NumSGPRsForWavesPerEU: 44
; NumVGPRsForWavesPerEU: 16
; AccumOffset: 16
; Occupancy: 8
; WaveLimiterHint : 0
; COMPUTE_PGM_RSRC2:SCRATCH_EN: 0
; COMPUTE_PGM_RSRC2:USER_SGPR: 6
; COMPUTE_PGM_RSRC2:TRAP_HANDLER: 0
; COMPUTE_PGM_RSRC2:TGID_X_EN: 1
; COMPUTE_PGM_RSRC2:TGID_Y_EN: 1
; COMPUTE_PGM_RSRC2:TGID_Z_EN: 0
; COMPUTE_PGM_RSRC2:TIDIG_COMP_CNT: 0
; COMPUTE_PGM_RSRC3_GFX90A:ACCUM_OFFSET: 3
; COMPUTE_PGM_RSRC3_GFX90A:TG_SPLIT: 0
	.section	.text._ZN5aiter35fused_qk_rmsnorm_group_quant_kernelItDB8_Li64ELi4ELi8ELb1ELb0ELb0ELb0ELb0ELb0EEEvPT0_PvPT_S6_S6_PKS5_S8_S8_S8_S8_ffiiiiiiiiiiiii,"axG",@progbits,_ZN5aiter35fused_qk_rmsnorm_group_quant_kernelItDB8_Li64ELi4ELi8ELb1ELb0ELb0ELb0ELb0ELb0EEEvPT0_PvPT_S6_S6_PKS5_S8_S8_S8_S8_ffiiiiiiiiiiiii,comdat
	.protected	_ZN5aiter35fused_qk_rmsnorm_group_quant_kernelItDB8_Li64ELi4ELi8ELb1ELb0ELb0ELb0ELb0ELb0EEEvPT0_PvPT_S6_S6_PKS5_S8_S8_S8_S8_ffiiiiiiiiiiiii ; -- Begin function _ZN5aiter35fused_qk_rmsnorm_group_quant_kernelItDB8_Li64ELi4ELi8ELb1ELb0ELb0ELb0ELb0ELb0EEEvPT0_PvPT_S6_S6_PKS5_S8_S8_S8_S8_ffiiiiiiiiiiiii
	.globl	_ZN5aiter35fused_qk_rmsnorm_group_quant_kernelItDB8_Li64ELi4ELi8ELb1ELb0ELb0ELb0ELb0ELb0EEEvPT0_PvPT_S6_S6_PKS5_S8_S8_S8_S8_ffiiiiiiiiiiiii
	.p2align	8
	.type	_ZN5aiter35fused_qk_rmsnorm_group_quant_kernelItDB8_Li64ELi4ELi8ELb1ELb0ELb0ELb0ELb0ELb0EEEvPT0_PvPT_S6_S6_PKS5_S8_S8_S8_S8_ffiiiiiiiiiiiii,@function
_ZN5aiter35fused_qk_rmsnorm_group_quant_kernelItDB8_Li64ELi4ELi8ELb1ELb0ELb0ELb0ELb0ELb0EEEvPT0_PvPT_S6_S6_PKS5_S8_S8_S8_S8_ffiiiiiiiiiiiii: ; @_ZN5aiter35fused_qk_rmsnorm_group_quant_kernelItDB8_Li64ELi4ELi8ELb1ELb0ELb0ELb0ELb0ELb0EEEvPT0_PvPT_S6_S6_PKS5_S8_S8_S8_S8_ffiiiiiiiiiiiii
; %bb.0:
	s_load_dwordx8 s[8:15], s[4:5], 0x50
	s_waitcnt lgkmcnt(0)
	s_cmp_ge_i32 s6, s10
	s_cbranch_scc1 .LBB304_15
; %bb.1:
	s_cmp_lg_u32 s7, 0
	s_cselect_b64 s[2:3], -1, 0
	s_cmp_eq_u32 s7, 0
	s_cselect_b64 s[24:25], -1, 0
	s_and_b64 s[0:1], s[24:25], exec
	s_load_dwordx2 s[16:17], s[4:5], 0x48
	s_load_dwordx2 s[30:31], s[4:5], 0x30
	s_load_dwordx4 s[20:23], s[4:5], 0x70
	s_cselect_b32 s7, s11, s12
	s_add_i32 s0, s7, 1
	s_lshr_b32 s1, s0, 31
	s_add_i32 s0, s0, s1
	s_lshl_b32 s0, s0, 1
	v_lshlrev_b32_e32 v1, 2, v0
	s_and_b32 s26, s0, -4
	v_cmp_gt_i32_e64 s[0:1], s7, v1
	v_mov_b32_e32 v6, 0
	v_mov_b32_e32 v7, 0
	;; [unrolled: 1-line block ×4, first 2 shown]
	s_and_saveexec_b64 s[18:19], s[0:1]
	s_cbranch_execz .LBB304_3
; %bb.2:
	s_load_dwordx2 s[28:29], s[4:5], 0x28
	s_load_dwordx2 s[34:35], s[4:5], 0x40
	s_and_b64 s[36:37], s[24:25], exec
	s_cselect_b32 s10, s13, s14
	s_mov_b32 s27, 0x20000
	s_waitcnt lgkmcnt(0)
	s_cselect_b32 s13, s29, s31
	s_cselect_b32 s23, s28, s30
	s_mul_hi_i32 s29, s10, s6
	s_mul_i32 s28, s10, s6
	s_lshl_b64 s[28:29], s[28:29], 1
	s_add_u32 s36, s23, s28
	s_addc_u32 s10, s13, s29
	s_and_b64 s[24:25], s[24:25], exec
	s_cselect_b32 s24, s34, s16
	s_cselect_b32 s13, s35, s17
	v_lshlrev_b32_e32 v2, 3, v0
	s_and_b32 s37, s10, 0xffff
	s_mov_b32 s38, s26
	s_mov_b32 s39, s27
	s_and_b32 s25, s13, 0xffff
	buffer_load_dwordx2 v[8:9], v2, s[36:39], 0 offen glc slc
	buffer_load_dwordx2 v[6:7], v2, s[24:27], 0 offen
.LBB304_3:
	s_or_b64 exec, exec, s[18:19]
	s_load_dwordx2 s[28:29], s[4:5], 0x80
	s_and_b64 vcc, exec, s[2:3]
	s_cbranch_vccz .LBB304_7
; %bb.4:
	s_mov_b32 s36, 0
	s_mov_b32 s37, s36
	;; [unrolled: 1-line block ×4, first 2 shown]
	v_pk_mov_b32 v[2:3], s[36:37], s[36:37] op_sel:[0,1]
	v_pk_mov_b32 v[4:5], s[38:39], s[38:39] op_sel:[0,1]
	s_and_saveexec_b64 s[18:19], s[0:1]
	s_cbranch_execz .LBB304_6
; %bb.5:
	s_waitcnt vmcnt(1)
	v_cvt_f32_u32_sdwa v3, v8 dst_sel:DWORD dst_unused:UNUSED_PAD src0_sel:WORD_1
	v_cvt_f32_u32_sdwa v2, v8 dst_sel:DWORD dst_unused:UNUSED_PAD src0_sel:WORD_0
	v_cvt_f32_u32_sdwa v5, v9 dst_sel:DWORD dst_unused:UNUSED_PAD src0_sel:WORD_1
	v_cvt_f32_u32_sdwa v4, v9 dst_sel:DWORD dst_unused:UNUSED_PAD src0_sel:WORD_0
.LBB304_6:
	s_or_b64 exec, exec, s[18:19]
	s_mov_b32 s10, s9
	s_cbranch_execz .LBB304_8
	s_branch .LBB304_11
.LBB304_7:
                                        ; implicit-def: $vgpr2_vgpr3_vgpr4_vgpr5
	s_mov_b32 s10, s9
.LBB304_8:
	s_mov_b32 s36, 0
	s_mov_b32 s37, s36
	;; [unrolled: 1-line block ×4, first 2 shown]
	v_pk_mov_b32 v[2:3], s[36:37], s[36:37] op_sel:[0,1]
	v_pk_mov_b32 v[4:5], s[38:39], s[38:39] op_sel:[0,1]
	s_and_saveexec_b64 s[18:19], s[0:1]
	s_cbranch_execz .LBB304_10
; %bb.9:
	s_load_dwordx2 s[24:25], s[4:5], 0x38
	s_mul_hi_i32 s35, s15, s6
	s_mul_i32 s34, s15, s6
	s_lshl_b64 s[34:35], s[34:35], 1
	s_mov_b32 s27, 0x20000
	s_waitcnt lgkmcnt(0)
	s_add_u32 s24, s24, s34
	s_addc_u32 s10, s25, s35
	s_and_b32 s25, s10, 0xffff
	v_lshlrev_b32_e32 v14, 3, v0
	buffer_load_dwordx2 v[2:3], v14, s[24:27], 0 offen glc slc
	s_load_dwordx2 s[24:25], s[4:5], 0x20
	s_waitcnt vmcnt(2)
	v_cvt_f32_u32_sdwa v5, v8 dst_sel:DWORD dst_unused:UNUSED_PAD src0_sel:WORD_1
	v_cvt_f32_u32_sdwa v4, v8 dst_sel:DWORD dst_unused:UNUSED_PAD src0_sel:WORD_0
	v_cvt_f32_u32_sdwa v11, v9 dst_sel:DWORD dst_unused:UNUSED_PAD src0_sel:WORD_1
	v_cvt_f32_u32_sdwa v10, v9 dst_sel:DWORD dst_unused:UNUSED_PAD src0_sel:WORD_0
	s_mul_hi_i32 s35, s29, s6
	s_mul_i32 s34, s29, s6
	s_lshl_b64 s[34:35], s[34:35], 1
	s_waitcnt lgkmcnt(0)
	s_add_u32 s24, s24, s34
	s_mov_b32 s10, 0x7060302
	s_addc_u32 s13, s25, s35
	s_and_b32 s25, s13, 0xffff
	s_waitcnt vmcnt(0)
	v_cvt_f32_u32_sdwa v9, v2 dst_sel:DWORD dst_unused:UNUSED_PAD src0_sel:WORD_1
	v_cvt_f32_u32_sdwa v8, v2 dst_sel:DWORD dst_unused:UNUSED_PAD src0_sel:WORD_0
	v_cvt_f32_u32_sdwa v13, v3 dst_sel:DWORD dst_unused:UNUSED_PAD src0_sel:WORD_1
	v_cvt_f32_u32_sdwa v12, v3 dst_sel:DWORD dst_unused:UNUSED_PAD src0_sel:WORD_0
	v_pk_add_f32 v[2:3], v[4:5], v[8:9]
	v_perm_b32 v8, v3, v2, s10
	v_pk_add_f32 v[4:5], v[10:11], v[12:13]
	v_perm_b32 v9, v5, v4, s10
	buffer_store_dwordx2 v[8:9], v14, s[24:27], 0 offen glc slc
	;;#ASMSTART
	s_nop 0
	;;#ASMEND
.LBB304_10:
	s_or_b64 exec, exec, s[18:19]
	s_mov_b32 s10, s8
.LBB304_11:
	s_waitcnt vmcnt(1)
	v_mul_f32_e32 v8, v3, v3
	v_fmac_f32_e32 v8, v2, v2
	v_fmac_f32_e32 v8, v4, v4
	;; [unrolled: 1-line block ×3, first 2 shown]
	v_bfrev_b32_e32 v10, 0.5
	s_load_dwordx2 s[34:35], s[4:5], 0x18
	v_mov_b32_dpp v9, v8 quad_perm:[1,0,3,2] row_mask:0xf bank_mask:0xf
	v_add_f32_e32 v8, v8, v9
	s_nop 1
	v_mov_b32_dpp v9, v8 quad_perm:[2,3,0,1] row_mask:0xf bank_mask:0xf
	v_add_f32_e32 v8, v8, v9
	s_nop 1
	v_mov_b32_dpp v9, v8 row_half_mirror row_mask:0xf bank_mask:0xf
	v_add_f32_e32 v8, v8, v9
	s_nop 1
	v_mov_b32_dpp v9, v8 row_mirror row_mask:0xf bank_mask:0xf
	v_add_f32_e32 v8, v8, v9
	s_nop 1
	v_mov_b32_dpp v9, v8 row_bcast:15 row_mask:0xf bank_mask:0xf
	v_add_f32_e32 v8, v8, v9
	s_nop 1
	v_mov_b32_dpp v9, v8 row_bcast:31 row_mask:0xf bank_mask:0xf
	v_add_f32_e32 v9, v8, v9
	v_mbcnt_lo_u32_b32 v8, -1, 0
	v_mbcnt_hi_u32_b32 v8, -1, v8
	v_lshl_or_b32 v8, v8, 2, v10
	ds_bpermute_b32 v9, v8, v9
	s_and_saveexec_b64 s[18:19], s[0:1]
	s_cbranch_execnz .LBB304_16
; %bb.12:
	s_or_b64 exec, exec, s[18:19]
	s_mov_b64 s[18:19], -1
	s_and_b64 vcc, exec, s[2:3]
	s_cbranch_vccnz .LBB304_17
.LBB304_13:
	s_andn2_b64 vcc, exec, s[18:19]
	s_cbranch_vccz .LBB304_20
.LBB304_14:
	s_cmp_lt_i32 s12, 1
	s_cbranch_scc0 .LBB304_27
.LBB304_15:
	s_endpgm
.LBB304_16:
	v_cvt_f32_u32_e32 v10, s7
	s_mov_b32 s7, 0x800000
	s_waitcnt lgkmcnt(0)
	v_div_scale_f32 v11, s[24:25], v10, v10, v9
	v_rcp_f32_e32 v12, v11
	v_div_scale_f32 v13, vcc, v9, v10, v9
	v_fma_f32 v14, -v11, v12, 1.0
	v_fmac_f32_e32 v12, v14, v12
	v_mul_f32_e32 v14, v13, v12
	v_fma_f32 v15, -v11, v14, v13
	v_fmac_f32_e32 v14, v15, v12
	v_fma_f32 v11, -v11, v14, v13
	v_div_fmas_f32 v11, v11, v12, v14
	v_div_fixup_f32 v9, v11, v10, v9
	v_add_f32_e32 v9, s10, v9
	v_mul_f32_e32 v10, 0x4b800000, v9
	v_cmp_gt_f32_e32 vcc, s7, v9
	v_cndmask_b32_e32 v9, v9, v10, vcc
	v_rsq_f32_e32 v9, v9
	s_waitcnt vmcnt(0)
	v_cvt_f32_u32_sdwa v11, v6 dst_sel:DWORD dst_unused:UNUSED_PAD src0_sel:WORD_1
	v_cvt_f32_u32_sdwa v10, v6 dst_sel:DWORD dst_unused:UNUSED_PAD src0_sel:WORD_0
	v_cvt_f32_u32_sdwa v13, v7 dst_sel:DWORD dst_unused:UNUSED_PAD src0_sel:WORD_1
	v_mul_f32_e32 v6, 0x45800000, v9
	v_cndmask_b32_e32 v14, v9, v6, vcc
	v_mov_b32_e32 v15, v14
	;;#ASMSTART
	v_pk_mul_f32 v[2:3], v[2:3], v[14:15]
	;;#ASMEND
	;;#ASMSTART
	v_pk_mul_f32 v[4:5], v[4:5], v[14:15]
	;;#ASMEND
	v_cvt_f32_u32_sdwa v12, v7 dst_sel:DWORD dst_unused:UNUSED_PAD src0_sel:WORD_0
	;;#ASMSTART
	v_pk_mul_f32 v[2:3], v[2:3], v[10:11]
	;;#ASMEND
	;;#ASMSTART
	v_pk_mul_f32 v[4:5], v[4:5], v[12:13]
	;;#ASMEND
	s_or_b64 exec, exec, s[18:19]
	s_mov_b64 s[18:19], -1
	s_and_b64 vcc, exec, s[2:3]
	s_cbranch_vccz .LBB304_13
.LBB304_17:
	s_and_saveexec_b64 s[2:3], s[0:1]
	s_cbranch_execz .LBB304_19
; %bb.18:
	s_waitcnt lgkmcnt(0)
	s_mul_hi_i32 s19, s28, s6
	s_mul_i32 s18, s28, s6
	s_lshl_b64 s[18:19], s[18:19], 1
	s_add_u32 s24, s34, s18
	s_addc_u32 s7, s35, s19
	s_and_b32 s25, s7, 0xffff
	s_mov_b32 s7, 0x7060302
	s_mov_b32 s27, 0x20000
	s_waitcnt vmcnt(0)
	v_perm_b32 v6, v3, v2, s7
	v_perm_b32 v7, v5, v4, s7
	v_lshlrev_b32_e32 v9, 3, v0
	buffer_store_dwordx2 v[6:7], v9, s[24:27], 0 offen
	;;#ASMSTART
	s_nop 0
	;;#ASMEND
.LBB304_19:
	s_or_b64 exec, exec, s[2:3]
	s_cbranch_execnz .LBB304_14
.LBB304_20:
	s_waitcnt vmcnt(0)
	v_mov_b32_e32 v6, 0
	s_and_saveexec_b64 s[2:3], s[0:1]
	s_cbranch_execz .LBB304_22
; %bb.21:
	v_and_b32_e32 v6, 0x7fffffff, v2
	v_and_b32_e32 v7, 0x7fffffff, v3
	s_waitcnt lgkmcnt(0)
	v_mov_b32_e32 v9, 0x2edbe6ff
	;;#ASMSTART
	v_max3_f32 v6, v9, v6, v7

	;;#ASMEND
	v_and_b32_e32 v7, 0x7fffffff, v4
	v_and_b32_e32 v9, 0x7fffffff, v5
	;;#ASMSTART
	v_max3_f32 v6, v6, v7, v9

	;;#ASMEND
.LBB304_22:
	s_or_b64 exec, exec, s[2:3]
	;;#ASMSTART
	v_max_f32 v7, v6, v6 quad_perm:[1,0,3,2] row_mask:0xf bank_mask:0xf bound_ctrl:1
	;;#ASMEND
	;;#ASMSTART
	v_max_f32 v6, v7, v7 quad_perm:[2,3,0,1] row_mask:0xf bank_mask:0xf bound_ctrl:1
	;;#ASMEND
	;;#ASMSTART
	v_max_f32 v7, v6, v6 row_half_mirror row_mask:0xf bank_mask:0xf bound_ctrl:1
	;;#ASMEND
	v_mul_f32_e32 v6, 0x3b124925, v7
	v_and_b32_e32 v7, 7, v0
	v_cmp_eq_u32_e32 vcc, 0, v7
	v_cmp_gt_i32_e64 s[2:3], s11, v1
	s_and_b64 s[18:19], vcc, s[2:3]
	s_and_saveexec_b64 s[2:3], s[18:19]
	s_cbranch_execz .LBB304_24
; %bb.23:
	s_load_dwordx2 s[18:19], s[4:5], 0x8
	v_lshrrev_b32_e32 v7, 3, v0
	s_waitcnt lgkmcnt(0)
	s_mul_hi_i32 s25, s21, s6
	s_mul_i32 s24, s21, s6
	v_mad_i64_i32 v[10:11], s[22:23], s22, v7, 0
	s_lshl_b64 s[22:23], s[24:25], 2
	s_add_u32 s7, s18, s22
	s_addc_u32 s8, s19, s23
	v_lshlrev_b64 v[10:11], 2, v[10:11]
	v_mov_b32_e32 v7, s8
	v_add_co_u32_e32 v10, vcc, s7, v10
	v_addc_co_u32_e32 v11, vcc, v7, v11, vcc
	global_store_dword v[10:11], v6, off
.LBB304_24:
	s_or_b64 exec, exec, s[2:3]
	;;#ASMSTART
	v_rcp_f32 v6, v6
	;;#ASMEND
	s_and_saveexec_b64 s[2:3], s[0:1]
	s_cbranch_execz .LBB304_26
; %bb.25:
	s_load_dwordx2 s[0:1], s[4:5], 0x0
	s_waitcnt lgkmcnt(0)
	s_mul_i32 s8, s20, s6
	s_mul_hi_i32 s7, s20, s6
	v_mov_b32_e32 v7, v6
	;;#ASMSTART
	v_pk_mul_f32 v[2:3], v[2:3], v[6:7]
	;;#ASMEND
	s_add_u32 s20, s0, s8
	s_addc_u32 s0, s1, s7
	s_add_i32 s1, s11, 3
	s_ashr_i32 s7, s1, 31
	v_mov_b32_e32 v9, 0xc3e00000
	v_mov_b32_e32 v10, 0x43e00000
	;;#ASMSTART
	v_med3_f32 v2, v2, v9, v10
v_med3_f32 v3, v3, v9, v10
v_cvt_pk_fp8_f32 v11, v2, v3
	;;#ASMEND
	s_and_b32 s21, s0, 0xffff
	s_lshr_b32 s0, s7, 30
	;;#ASMSTART
	v_pk_mul_f32 v[2:3], v[4:5], v[6:7]
	;;#ASMEND
	s_add_i32 s1, s1, s0
	;;#ASMSTART
	v_med3_f32 v2, v2, v9, v10
v_med3_f32 v3, v3, v9, v10
v_cvt_pk_fp8_f32 v4, v2, v3
	;;#ASMEND
	s_mov_b32 s0, 0x5040100
	s_and_b32 s22, s1, -4
	s_mov_b32 s23, 0x20000
	v_perm_b32 v2, v4, v11, s0
	buffer_store_dword v2, v1, s[20:23], 0 offen
	;;#ASMSTART
	s_nop 0
	;;#ASMEND
.LBB304_26:
	s_or_b64 exec, exec, s[2:3]
	s_cmp_lt_i32 s12, 1
	s_cbranch_scc1 .LBB304_15
.LBB304_27:
	s_load_dword s0, s[4:5], 0x94
	s_waitcnt lgkmcnt(0)
	s_cmp_lg_u32 s0, 1
	s_cbranch_scc1 .LBB304_15
; %bb.28:
	s_lshl_b32 s0, s12, 1
	s_add_i32 s0, s0, 2
	v_cmp_gt_u32_e32 vcc, s12, v1
	s_and_b32 s18, s0, -4
	v_mov_b32_e32 v2, 0
	s_waitcnt vmcnt(0)
	v_lshlrev_b32_e32 v6, 3, v0
	v_mov_b32_e32 v3, 0
	v_mov_b32_e32 v0, 0
	v_mov_b32_e32 v1, 0
	s_barrier
	s_and_saveexec_b64 s[0:1], vcc
	s_cbranch_execz .LBB304_30
; %bb.29:
	s_mul_hi_i32 s3, s14, s6
	s_mul_i32 s2, s14, s6
	s_and_b32 s17, s17, 0xffff
	s_lshl_b64 s[2:3], s[2:3], 1
	s_add_u32 s20, s30, s2
	s_mov_b32 s19, 0x20000
	s_addc_u32 s2, s31, s3
	s_and_b32 s21, s2, 0xffff
	s_mov_b32 s22, s18
	s_mov_b32 s23, s19
	buffer_load_dwordx2 v[2:3], v6, s[20:23], 0 offen glc slc
	buffer_load_dwordx2 v[0:1], v6, s[16:19], 0 offen
.LBB304_30:
	s_or_b64 exec, exec, s[0:1]
	s_waitcnt vmcnt(1)
	v_cvt_f32_u32_sdwa v5, v3 dst_sel:DWORD dst_unused:UNUSED_PAD src0_sel:WORD_0
	v_cvt_f32_u32_sdwa v7, v2 dst_sel:DWORD dst_unused:UNUSED_PAD src0_sel:WORD_1
	v_cvt_f32_u32_sdwa v4, v3 dst_sel:DWORD dst_unused:UNUSED_PAD src0_sel:WORD_1
	v_cvt_f32_u32_sdwa v9, v2 dst_sel:DWORD dst_unused:UNUSED_PAD src0_sel:WORD_0
	v_cndmask_b32_e32 v2, 0, v5, vcc
	v_cndmask_b32_e32 v5, 0, v7, vcc
	;; [unrolled: 1-line block ×4, first 2 shown]
	v_mul_f32_e32 v7, v5, v5
	v_fmac_f32_e32 v7, v4, v4
	v_fmac_f32_e32 v7, v2, v2
	v_fmac_f32_e32 v7, v3, v3
	s_nop 1
	v_mov_b32_dpp v9, v7 quad_perm:[1,0,3,2] row_mask:0xf bank_mask:0xf
	v_add_f32_e32 v7, v7, v9
	s_nop 1
	v_mov_b32_dpp v9, v7 quad_perm:[2,3,0,1] row_mask:0xf bank_mask:0xf
	v_add_f32_e32 v7, v7, v9
	s_nop 1
	v_mov_b32_dpp v9, v7 row_half_mirror row_mask:0xf bank_mask:0xf
	v_add_f32_e32 v7, v7, v9
	s_nop 1
	v_mov_b32_dpp v9, v7 row_mirror row_mask:0xf bank_mask:0xf
	v_add_f32_e32 v7, v7, v9
	s_nop 1
	v_mov_b32_dpp v9, v7 row_bcast:15 row_mask:0xf bank_mask:0xf
	v_add_f32_e32 v7, v7, v9
	s_nop 1
	v_mov_b32_dpp v9, v7 row_bcast:31 row_mask:0xf bank_mask:0xf
	v_add_f32_e32 v7, v7, v9
	ds_bpermute_b32 v7, v8, v7
	s_and_saveexec_b64 s[0:1], vcc
	s_cbranch_execz .LBB304_15
; %bb.31:
	v_cvt_f32_u32_e32 v8, s12
	s_mov_b32 s19, 0x20000
	s_waitcnt lgkmcnt(0)
	v_div_scale_f32 v9, s[0:1], v8, v8, v7
	v_rcp_f32_e32 v10, v9
	v_div_scale_f32 v11, vcc, v7, v8, v7
	s_mov_b32 s0, 0x800000
	v_fma_f32 v12, -v9, v10, 1.0
	v_fmac_f32_e32 v10, v12, v10
	v_mul_f32_e32 v12, v11, v10
	v_fma_f32 v13, -v9, v12, v11
	v_fmac_f32_e32 v12, v13, v10
	v_fma_f32 v9, -v9, v12, v11
	v_div_fmas_f32 v9, v9, v10, v12
	v_div_fixup_f32 v7, v9, v8, v7
	v_add_f32_e32 v7, s9, v7
	v_mul_f32_e32 v8, 0x4b800000, v7
	v_cmp_gt_f32_e32 vcc, s0, v7
	v_cndmask_b32_e32 v7, v7, v8, vcc
	v_rsq_f32_e32 v7, v7
	s_mul_hi_i32 s1, s28, s6
	s_mul_i32 s0, s28, s6
	s_waitcnt vmcnt(0)
	v_cvt_f32_u32_sdwa v9, v0 dst_sel:DWORD dst_unused:UNUSED_PAD src0_sel:WORD_1
	v_cvt_f32_u32_sdwa v8, v0 dst_sel:DWORD dst_unused:UNUSED_PAD src0_sel:WORD_0
	v_mul_f32_e32 v0, 0x45800000, v7
	s_lshl_b64 s[0:1], s[0:1], 1
	v_cndmask_b32_e32 v12, v7, v0, vcc
	s_add_u32 s16, s34, s0
	v_cvt_f32_u32_sdwa v11, v1 dst_sel:DWORD dst_unused:UNUSED_PAD src0_sel:WORD_1
	v_mov_b32_e32 v13, v12
	v_cvt_f32_u32_sdwa v10, v1 dst_sel:DWORD dst_unused:UNUSED_PAD src0_sel:WORD_0
	;;#ASMSTART
	v_pk_mul_f32 v[0:1], v[4:5], v[12:13]
	;;#ASMEND
	s_addc_u32 s0, s35, s1
	;;#ASMSTART
	v_pk_mul_f32 v[2:3], v[2:3], v[12:13]
	;;#ASMEND
	;;#ASMSTART
	v_pk_mul_f32 v[0:1], v[0:1], v[8:9]
	;;#ASMEND
	s_and_b32 s17, s0, 0xffff
	s_mov_b32 s0, 0x7060302
	;;#ASMSTART
	v_pk_mul_f32 v[2:3], v[2:3], v[10:11]
	;;#ASMEND
	v_perm_b32 v0, v1, v0, s0
	v_perm_b32 v1, v3, v2, s0
	buffer_store_dwordx2 v[0:1], v6, s[16:19], 0 offen
	;;#ASMSTART
	s_nop 0
	;;#ASMEND
	s_endpgm
	.section	.rodata,"a",@progbits
	.p2align	6, 0x0
	.amdhsa_kernel _ZN5aiter35fused_qk_rmsnorm_group_quant_kernelItDB8_Li64ELi4ELi8ELb1ELb0ELb0ELb0ELb0ELb0EEEvPT0_PvPT_S6_S6_PKS5_S8_S8_S8_S8_ffiiiiiiiiiiiii
		.amdhsa_group_segment_fixed_size 0
		.amdhsa_private_segment_fixed_size 0
		.amdhsa_kernarg_size 400
		.amdhsa_user_sgpr_count 6
		.amdhsa_user_sgpr_private_segment_buffer 1
		.amdhsa_user_sgpr_dispatch_ptr 0
		.amdhsa_user_sgpr_queue_ptr 0
		.amdhsa_user_sgpr_kernarg_segment_ptr 1
		.amdhsa_user_sgpr_dispatch_id 0
		.amdhsa_user_sgpr_flat_scratch_init 0
		.amdhsa_user_sgpr_kernarg_preload_length 0
		.amdhsa_user_sgpr_kernarg_preload_offset 0
		.amdhsa_user_sgpr_private_segment_size 0
		.amdhsa_uses_dynamic_stack 0
		.amdhsa_system_sgpr_private_segment_wavefront_offset 0
		.amdhsa_system_sgpr_workgroup_id_x 1
		.amdhsa_system_sgpr_workgroup_id_y 1
		.amdhsa_system_sgpr_workgroup_id_z 0
		.amdhsa_system_sgpr_workgroup_info 0
		.amdhsa_system_vgpr_workitem_id 0
		.amdhsa_next_free_vgpr 16
		.amdhsa_next_free_sgpr 40
		.amdhsa_accum_offset 16
		.amdhsa_reserve_vcc 1
		.amdhsa_reserve_flat_scratch 0
		.amdhsa_float_round_mode_32 0
		.amdhsa_float_round_mode_16_64 0
		.amdhsa_float_denorm_mode_32 3
		.amdhsa_float_denorm_mode_16_64 3
		.amdhsa_dx10_clamp 1
		.amdhsa_ieee_mode 1
		.amdhsa_fp16_overflow 0
		.amdhsa_tg_split 0
		.amdhsa_exception_fp_ieee_invalid_op 0
		.amdhsa_exception_fp_denorm_src 0
		.amdhsa_exception_fp_ieee_div_zero 0
		.amdhsa_exception_fp_ieee_overflow 0
		.amdhsa_exception_fp_ieee_underflow 0
		.amdhsa_exception_fp_ieee_inexact 0
		.amdhsa_exception_int_div_zero 0
	.end_amdhsa_kernel
	.section	.text._ZN5aiter35fused_qk_rmsnorm_group_quant_kernelItDB8_Li64ELi4ELi8ELb1ELb0ELb0ELb0ELb0ELb0EEEvPT0_PvPT_S6_S6_PKS5_S8_S8_S8_S8_ffiiiiiiiiiiiii,"axG",@progbits,_ZN5aiter35fused_qk_rmsnorm_group_quant_kernelItDB8_Li64ELi4ELi8ELb1ELb0ELb0ELb0ELb0ELb0EEEvPT0_PvPT_S6_S6_PKS5_S8_S8_S8_S8_ffiiiiiiiiiiiii,comdat
.Lfunc_end304:
	.size	_ZN5aiter35fused_qk_rmsnorm_group_quant_kernelItDB8_Li64ELi4ELi8ELb1ELb0ELb0ELb0ELb0ELb0EEEvPT0_PvPT_S6_S6_PKS5_S8_S8_S8_S8_ffiiiiiiiiiiiii, .Lfunc_end304-_ZN5aiter35fused_qk_rmsnorm_group_quant_kernelItDB8_Li64ELi4ELi8ELb1ELb0ELb0ELb0ELb0ELb0EEEvPT0_PvPT_S6_S6_PKS5_S8_S8_S8_S8_ffiiiiiiiiiiiii
                                        ; -- End function
	.section	.AMDGPU.csdata,"",@progbits
; Kernel info:
; codeLenInByte = 2176
; NumSgprs: 44
; NumVgprs: 16
; NumAgprs: 0
; TotalNumVgprs: 16
; ScratchSize: 0
; MemoryBound: 0
; FloatMode: 240
; IeeeMode: 1
; LDSByteSize: 0 bytes/workgroup (compile time only)
; SGPRBlocks: 5
; VGPRBlocks: 1
; NumSGPRsForWavesPerEU: 44
; NumVGPRsForWavesPerEU: 16
; AccumOffset: 16
; Occupancy: 8
; WaveLimiterHint : 0
; COMPUTE_PGM_RSRC2:SCRATCH_EN: 0
; COMPUTE_PGM_RSRC2:USER_SGPR: 6
; COMPUTE_PGM_RSRC2:TRAP_HANDLER: 0
; COMPUTE_PGM_RSRC2:TGID_X_EN: 1
; COMPUTE_PGM_RSRC2:TGID_Y_EN: 1
; COMPUTE_PGM_RSRC2:TGID_Z_EN: 0
; COMPUTE_PGM_RSRC2:TIDIG_COMP_CNT: 0
; COMPUTE_PGM_RSRC3_GFX90A:ACCUM_OFFSET: 3
; COMPUTE_PGM_RSRC3_GFX90A:TG_SPLIT: 0
	.section	.text._ZN5aiter35fused_qk_rmsnorm_group_quant_kernelIDF16_DB8_Li64ELi4ELi8ELb0ELb1ELb1ELb0ELb0ELb0EEEvPT0_PvPT_S6_S6_PKS5_S8_S8_S8_S8_ffiiiiiiiiiiiii,"axG",@progbits,_ZN5aiter35fused_qk_rmsnorm_group_quant_kernelIDF16_DB8_Li64ELi4ELi8ELb0ELb1ELb1ELb0ELb0ELb0EEEvPT0_PvPT_S6_S6_PKS5_S8_S8_S8_S8_ffiiiiiiiiiiiii,comdat
	.protected	_ZN5aiter35fused_qk_rmsnorm_group_quant_kernelIDF16_DB8_Li64ELi4ELi8ELb0ELb1ELb1ELb0ELb0ELb0EEEvPT0_PvPT_S6_S6_PKS5_S8_S8_S8_S8_ffiiiiiiiiiiiii ; -- Begin function _ZN5aiter35fused_qk_rmsnorm_group_quant_kernelIDF16_DB8_Li64ELi4ELi8ELb0ELb1ELb1ELb0ELb0ELb0EEEvPT0_PvPT_S6_S6_PKS5_S8_S8_S8_S8_ffiiiiiiiiiiiii
	.globl	_ZN5aiter35fused_qk_rmsnorm_group_quant_kernelIDF16_DB8_Li64ELi4ELi8ELb0ELb1ELb1ELb0ELb0ELb0EEEvPT0_PvPT_S6_S6_PKS5_S8_S8_S8_S8_ffiiiiiiiiiiiii
	.p2align	8
	.type	_ZN5aiter35fused_qk_rmsnorm_group_quant_kernelIDF16_DB8_Li64ELi4ELi8ELb0ELb1ELb1ELb0ELb0ELb0EEEvPT0_PvPT_S6_S6_PKS5_S8_S8_S8_S8_ffiiiiiiiiiiiii,@function
_ZN5aiter35fused_qk_rmsnorm_group_quant_kernelIDF16_DB8_Li64ELi4ELi8ELb0ELb1ELb1ELb0ELb0ELb0EEEvPT0_PvPT_S6_S6_PKS5_S8_S8_S8_S8_ffiiiiiiiiiiiii: ; @_ZN5aiter35fused_qk_rmsnorm_group_quant_kernelIDF16_DB8_Li64ELi4ELi8ELb0ELb1ELb1ELb0ELb0ELb0EEEvPT0_PvPT_S6_S6_PKS5_S8_S8_S8_S8_ffiiiiiiiiiiiii
; %bb.0:
	s_load_dwordx4 s[12:15], s[4:5], 0x50
	s_waitcnt lgkmcnt(0)
	s_cmp_ge_i32 s6, s14
	s_cbranch_scc1 .LBB305_8
; %bb.1:
	s_load_dwordx2 s[8:9], s[4:5], 0x48
	s_load_dwordx2 s[30:31], s[4:5], 0x30
	s_load_dwordx4 s[16:19], s[4:5], 0x60
	s_cmp_lg_u32 s7, 0
	s_cselect_b64 s[2:3], -1, 0
	s_cmp_eq_u32 s7, 0
	s_cselect_b64 vcc, -1, 0
	s_and_b64 s[0:1], vcc, exec
	s_waitcnt lgkmcnt(0)
	s_cselect_b32 s7, s15, s16
	s_add_i32 s0, s7, 1
	s_lshr_b32 s1, s0, 31
	s_add_i32 s0, s0, s1
	s_lshl_b32 s0, s0, 1
	v_lshlrev_b32_e32 v1, 2, v0
	s_and_b32 s22, s0, -4
	v_cmp_gt_i32_e64 s[0:1], s7, v1
	v_mov_b32_e32 v6, 0
	v_mov_b32_e32 v7, 0
	;; [unrolled: 1-line block ×4, first 2 shown]
	s_and_saveexec_b64 s[10:11], s[0:1]
	s_cbranch_execz .LBB305_3
; %bb.2:
	s_load_dwordx2 s[20:21], s[4:5], 0x28
	s_load_dwordx2 s[26:27], s[4:5], 0x40
	s_and_b64 s[24:25], vcc, exec
	s_cselect_b32 s14, s17, s18
	s_mov_b32 s23, 0x20000
	s_waitcnt lgkmcnt(0)
	s_cselect_b32 s17, s21, s31
	s_cselect_b32 s19, s20, s30
	s_mul_hi_i32 s21, s14, s6
	s_mul_i32 s20, s14, s6
	s_lshl_b64 s[20:21], s[20:21], 1
	s_add_u32 s24, s19, s20
	s_addc_u32 s14, s17, s21
	s_and_b64 s[20:21], vcc, exec
	s_cselect_b32 s20, s26, s8
	s_cselect_b32 s17, s27, s9
	v_lshlrev_b32_e32 v4, 3, v0
	s_and_b32 s25, s14, 0xffff
	s_mov_b32 s26, s22
	s_mov_b32 s27, s23
	s_and_b32 s21, s17, 0xffff
	buffer_load_dwordx2 v[2:3], v4, s[24:27], 0 offen glc slc
	buffer_load_dwordx2 v[6:7], v4, s[20:23], 0 offen
.LBB305_3:
	s_or_b64 exec, exec, s[10:11]
	s_waitcnt vmcnt(1)
	v_cvt_f32_f16_e32 v4, v3
	v_cvt_f32_f16_e32 v5, v2
	v_cvt_f32_f16_sdwa v8, v2 dst_sel:DWORD dst_unused:UNUSED_PAD src0_sel:WORD_1
	v_cvt_f32_f16_sdwa v3, v3 dst_sel:DWORD dst_unused:UNUSED_PAD src0_sel:WORD_1
	v_cndmask_b32_e64 v2, 0, v4, s[0:1]
	v_cndmask_b32_e64 v4, 0, v5, s[0:1]
	;; [unrolled: 1-line block ×3, first 2 shown]
	v_mul_f32_e32 v8, v5, v5
	v_fmac_f32_e32 v8, v4, v4
	v_cndmask_b32_e64 v3, 0, v3, s[0:1]
	v_fmac_f32_e32 v8, v2, v2
	v_fmac_f32_e32 v8, v3, v3
	v_bfrev_b32_e32 v10, 0.5
	s_load_dwordx2 s[28:29], s[4:5], 0x18
	v_mov_b32_dpp v9, v8 quad_perm:[1,0,3,2] row_mask:0xf bank_mask:0xf
	v_add_f32_e32 v8, v8, v9
	s_nop 1
	v_mov_b32_dpp v9, v8 quad_perm:[2,3,0,1] row_mask:0xf bank_mask:0xf
	v_add_f32_e32 v8, v8, v9
	s_nop 1
	v_mov_b32_dpp v9, v8 row_half_mirror row_mask:0xf bank_mask:0xf
	v_add_f32_e32 v8, v8, v9
	s_nop 1
	v_mov_b32_dpp v9, v8 row_mirror row_mask:0xf bank_mask:0xf
	v_add_f32_e32 v8, v8, v9
	s_nop 1
	v_mov_b32_dpp v9, v8 row_bcast:15 row_mask:0xf bank_mask:0xf
	v_add_f32_e32 v8, v8, v9
	s_nop 1
	v_mov_b32_dpp v9, v8 row_bcast:31 row_mask:0xf bank_mask:0xf
	v_add_f32_e32 v9, v8, v9
	v_mbcnt_lo_u32_b32 v8, -1, 0
	v_mbcnt_hi_u32_b32 v8, -1, v8
	v_lshl_or_b32 v8, v8, 2, v10
	ds_bpermute_b32 v9, v8, v9
	s_and_saveexec_b64 s[10:11], s[0:1]
	s_cbranch_execz .LBB305_5
; %bb.4:
	v_cvt_f32_u32_e32 v10, s7
	v_mov_b32_e32 v11, s13
	v_mov_b32_e32 v12, s12
	v_cndmask_b32_e32 v11, v11, v12, vcc
	s_waitcnt lgkmcnt(0)
	v_div_scale_f32 v13, s[20:21], v10, v10, v9
	v_rcp_f32_e32 v14, v13
	v_div_scale_f32 v12, vcc, v9, v10, v9
	s_mov_b32 s7, 0x800000
	v_fma_f32 v15, -v13, v14, 1.0
	v_fmac_f32_e32 v14, v15, v14
	v_mul_f32_e32 v15, v12, v14
	v_fma_f32 v16, -v13, v15, v12
	v_fmac_f32_e32 v15, v16, v14
	v_fma_f32 v12, -v13, v15, v12
	v_div_fmas_f32 v12, v12, v14, v15
	v_div_fixup_f32 v9, v12, v10, v9
	v_add_f32_e32 v9, v11, v9
	v_mul_f32_e32 v10, 0x4b800000, v9
	v_cmp_gt_f32_e32 vcc, s7, v9
	v_cndmask_b32_e32 v9, v9, v10, vcc
	v_rsq_f32_e32 v9, v9
	s_waitcnt vmcnt(0)
	v_cvt_f32_f16_sdwa v13, v6 dst_sel:DWORD dst_unused:UNUSED_PAD src0_sel:WORD_1
	v_cvt_f32_f16_e32 v12, v6
	v_cvt_f32_f16_sdwa v15, v7 dst_sel:DWORD dst_unused:UNUSED_PAD src0_sel:WORD_1
	v_cvt_f32_f16_e32 v14, v7
	v_mul_f32_e32 v10, 0x45800000, v9
	v_cndmask_b32_e32 v10, v9, v10, vcc
	v_mov_b32_e32 v11, v10
	;;#ASMSTART
	v_pk_mul_f32 v[4:5], v[4:5], v[10:11]
	;;#ASMEND
	;;#ASMSTART
	v_pk_mul_f32 v[2:3], v[2:3], v[10:11]
	;;#ASMEND
	v_pk_add_f32 v[6:7], v[12:13], 1.0 op_sel_hi:[1,0]
	;;#ASMSTART
	v_pk_mul_f32 v[4:5], v[4:5], v[6:7]
	;;#ASMEND
	v_pk_add_f32 v[6:7], v[14:15], 1.0 op_sel_hi:[1,0]
	;;#ASMSTART
	v_pk_mul_f32 v[2:3], v[2:3], v[6:7]
	;;#ASMEND
.LBB305_5:
	s_or_b64 exec, exec, s[10:11]
	s_load_dword s7, s[4:5], 0x80
	s_mov_b64 s[10:11], -1
	s_and_b64 vcc, exec, s[2:3]
	s_cbranch_vccnz .LBB305_9
; %bb.6:
	s_andn2_b64 vcc, exec, s[10:11]
	s_cbranch_vccz .LBB305_12
.LBB305_7:
	s_cmp_lt_i32 s16, 1
	s_cbranch_scc0 .LBB305_21
.LBB305_8:
	s_endpgm
.LBB305_9:
	s_and_saveexec_b64 s[2:3], s[0:1]
	s_cbranch_execz .LBB305_11
; %bb.10:
	s_waitcnt lgkmcnt(0)
	s_mul_hi_i32 s11, s7, s6
	s_mul_i32 s10, s7, s6
	s_waitcnt vmcnt(0)
	v_cvt_f16_f32_e32 v6, v4
	v_cvt_f16_f32_e32 v7, v2
	;; [unrolled: 1-line block ×4, first 2 shown]
	s_lshl_b64 s[10:11], s[10:11], 1
	s_add_u32 s20, s28, s10
	s_addc_u32 s10, s29, s11
	s_and_b32 s21, s10, 0xffff
	s_mov_b32 s23, 0x20000
	v_pack_b32_f16 v7, v7, v9
	v_pack_b32_f16 v6, v6, v10
	v_lshlrev_b32_e32 v9, 3, v0
	buffer_store_dwordx2 v[6:7], v9, s[20:23], 0 offen
	;;#ASMSTART
	s_nop 0
	;;#ASMEND
.LBB305_11:
	s_or_b64 exec, exec, s[2:3]
	s_cbranch_execnz .LBB305_7
.LBB305_12:
	s_load_dwordx4 s[24:27], s[4:5], 0x70
	s_waitcnt vmcnt(0)
	v_mov_b32_e32 v6, 0
	s_and_saveexec_b64 s[2:3], s[0:1]
	s_cbranch_execz .LBB305_14
; %bb.13:
	s_load_dwordx2 s[10:11], s[4:5], 0x10
	s_waitcnt lgkmcnt(0)
	s_mul_hi_i32 s21, s27, s6
	s_mul_i32 s20, s27, s6
	v_cvt_f16_f32_e32 v6, v4
	v_cvt_f16_f32_e32 v7, v2
	;; [unrolled: 1-line block ×4, first 2 shown]
	s_lshl_b64 s[20:21], s[20:21], 1
	s_add_u32 s20, s10, s20
	s_addc_u32 s10, s11, s21
	s_and_b32 s21, s10, 0xffff
	s_mov_b32 s23, 0x20000
	v_pack_b32_f16 v7, v7, v9
	v_pack_b32_f16 v6, v6, v10
	v_lshlrev_b32_e32 v9, 3, v0
	buffer_store_dwordx2 v[6:7], v9, s[20:23], 0 offen
	v_mov_b32_e32 v6, 0x2edbe6ff
	;;#ASMSTART
	s_nop 0
	;;#ASMEND
.LBB305_14:
	s_or_b64 exec, exec, s[2:3]
	s_and_saveexec_b64 s[2:3], s[0:1]
	s_cbranch_execz .LBB305_16
; %bb.15:
	v_and_b32_e32 v7, 0x7fffffff, v4
	s_waitcnt lgkmcnt(0)
	v_and_b32_e32 v9, 0x7fffffff, v5
	;;#ASMSTART
	v_max3_f32 v6, v6, v7, v9

	;;#ASMEND
	v_and_b32_e32 v7, 0x7fffffff, v2
	v_and_b32_e32 v9, 0x7fffffff, v3
	;;#ASMSTART
	v_max3_f32 v6, v6, v7, v9

	;;#ASMEND
.LBB305_16:
	s_or_b64 exec, exec, s[2:3]
	;;#ASMSTART
	v_max_f32 v7, v6, v6 quad_perm:[1,0,3,2] row_mask:0xf bank_mask:0xf bound_ctrl:1
	;;#ASMEND
	;;#ASMSTART
	v_max_f32 v6, v7, v7 quad_perm:[2,3,0,1] row_mask:0xf bank_mask:0xf bound_ctrl:1
	;;#ASMEND
	;;#ASMSTART
	v_max_f32 v7, v6, v6 row_half_mirror row_mask:0xf bank_mask:0xf bound_ctrl:1
	;;#ASMEND
	v_mul_f32_e32 v6, 0x3b124925, v7
	v_and_b32_e32 v7, 7, v0
	v_cmp_eq_u32_e32 vcc, 0, v7
	v_cmp_gt_i32_e64 s[2:3], s15, v1
	s_and_b64 s[10:11], vcc, s[2:3]
	s_and_saveexec_b64 s[2:3], s[10:11]
	s_cbranch_execz .LBB305_18
; %bb.17:
	s_load_dwordx2 s[10:11], s[4:5], 0x8
	s_waitcnt lgkmcnt(0)
	s_mul_hi_i32 s21, s25, s6
	s_mul_i32 s20, s25, s6
	v_lshrrev_b32_e32 v7, 3, v0
	s_lshl_b64 s[20:21], s[20:21], 2
	v_mad_i64_i32 v[10:11], s[22:23], s26, v7, 0
	s_add_u32 s10, s10, s20
	s_addc_u32 s11, s11, s21
	v_lshlrev_b64 v[10:11], 2, v[10:11]
	v_mov_b32_e32 v7, s11
	v_add_co_u32_e32 v10, vcc, s10, v10
	v_addc_co_u32_e32 v11, vcc, v7, v11, vcc
	global_store_dword v[10:11], v6, off
.LBB305_18:
	s_or_b64 exec, exec, s[2:3]
	;;#ASMSTART
	v_rcp_f32 v6, v6
	;;#ASMEND
	s_and_saveexec_b64 s[2:3], s[0:1]
	s_cbranch_execz .LBB305_20
; %bb.19:
	s_load_dwordx2 s[0:1], s[4:5], 0x0
	s_waitcnt lgkmcnt(0)
	s_mul_i32 s11, s24, s6
	s_mul_hi_i32 s10, s24, s6
	v_mov_b32_e32 v7, v6
	;;#ASMSTART
	v_pk_mul_f32 v[4:5], v[4:5], v[6:7]
	;;#ASMEND
	s_add_u32 s20, s0, s11
	s_addc_u32 s0, s1, s10
	s_add_i32 s1, s15, 3
	s_ashr_i32 s10, s1, 31
	s_and_b32 s21, s0, 0xffff
	s_lshr_b32 s0, s10, 30
	v_mov_b32_e32 v9, 0xc3e00000
	v_mov_b32_e32 v10, 0x43e00000
	;;#ASMSTART
	v_med3_f32 v4, v4, v9, v10
v_med3_f32 v5, v5, v9, v10
v_cvt_pk_fp8_f32 v11, v4, v5
	;;#ASMEND
	;;#ASMSTART
	v_pk_mul_f32 v[2:3], v[2:3], v[6:7]
	;;#ASMEND
	s_add_i32 s1, s1, s0
	;;#ASMSTART
	v_med3_f32 v2, v2, v9, v10
v_med3_f32 v3, v3, v9, v10
v_cvt_pk_fp8_f32 v4, v2, v3
	;;#ASMEND
	s_mov_b32 s0, 0x5040100
	s_and_b32 s22, s1, -4
	s_mov_b32 s23, 0x20000
	v_perm_b32 v2, v4, v11, s0
	buffer_store_dword v2, v1, s[20:23], 0 offen
	;;#ASMSTART
	s_nop 0
	;;#ASMEND
.LBB305_20:
	s_or_b64 exec, exec, s[2:3]
	s_cmp_lt_i32 s16, 1
	s_cbranch_scc1 .LBB305_8
.LBB305_21:
	s_load_dword s0, s[4:5], 0x94
	s_waitcnt lgkmcnt(0)
	s_cmp_lg_u32 s0, 1
	s_cbranch_scc1 .LBB305_8
; %bb.22:
	s_lshl_b32 s0, s16, 1
	s_add_i32 s0, s0, 2
	v_cmp_gt_u32_e32 vcc, s16, v1
	s_and_b32 s10, s0, -4
	v_mov_b32_e32 v2, 0
	s_waitcnt vmcnt(0)
	v_lshlrev_b32_e32 v6, 3, v0
	v_mov_b32_e32 v3, 0
	v_mov_b32_e32 v0, 0
	;; [unrolled: 1-line block ×3, first 2 shown]
	s_barrier
	s_and_saveexec_b64 s[0:1], vcc
	s_cbranch_execz .LBB305_24
; %bb.23:
	s_mul_hi_i32 s3, s18, s6
	s_mul_i32 s2, s18, s6
	s_and_b32 s9, s9, 0xffff
	s_lshl_b64 s[2:3], s[2:3], 1
	s_add_u32 s20, s30, s2
	s_mov_b32 s11, 0x20000
	s_addc_u32 s2, s31, s3
	s_and_b32 s21, s2, 0xffff
	s_mov_b32 s22, s10
	s_mov_b32 s23, s11
	buffer_load_dwordx2 v[2:3], v6, s[20:23], 0 offen glc slc
	buffer_load_dwordx2 v[0:1], v6, s[8:11], 0 offen
.LBB305_24:
	s_or_b64 exec, exec, s[0:1]
	s_waitcnt vmcnt(1)
	v_cvt_f32_f16_e32 v4, v3
	v_cvt_f32_f16_e32 v5, v2
	v_cvt_f32_f16_sdwa v7, v2 dst_sel:DWORD dst_unused:UNUSED_PAD src0_sel:WORD_1
	v_cvt_f32_f16_sdwa v3, v3 dst_sel:DWORD dst_unused:UNUSED_PAD src0_sel:WORD_1
	v_cndmask_b32_e32 v2, 0, v4, vcc
	v_cndmask_b32_e32 v4, 0, v5, vcc
	;; [unrolled: 1-line block ×3, first 2 shown]
	v_mul_f32_e32 v7, v5, v5
	v_fmac_f32_e32 v7, v4, v4
	v_cndmask_b32_e32 v3, 0, v3, vcc
	v_fmac_f32_e32 v7, v2, v2
	v_fmac_f32_e32 v7, v3, v3
	s_nop 1
	v_mov_b32_dpp v9, v7 quad_perm:[1,0,3,2] row_mask:0xf bank_mask:0xf
	v_add_f32_e32 v7, v7, v9
	s_nop 1
	v_mov_b32_dpp v9, v7 quad_perm:[2,3,0,1] row_mask:0xf bank_mask:0xf
	v_add_f32_e32 v7, v7, v9
	s_nop 1
	v_mov_b32_dpp v9, v7 row_half_mirror row_mask:0xf bank_mask:0xf
	v_add_f32_e32 v7, v7, v9
	s_nop 1
	v_mov_b32_dpp v9, v7 row_mirror row_mask:0xf bank_mask:0xf
	v_add_f32_e32 v7, v7, v9
	s_nop 1
	v_mov_b32_dpp v9, v7 row_bcast:15 row_mask:0xf bank_mask:0xf
	v_add_f32_e32 v7, v7, v9
	s_nop 1
	v_mov_b32_dpp v9, v7 row_bcast:31 row_mask:0xf bank_mask:0xf
	v_add_f32_e32 v7, v7, v9
	ds_bpermute_b32 v7, v8, v7
	s_and_saveexec_b64 s[0:1], vcc
	s_cbranch_execz .LBB305_8
; %bb.25:
	v_cvt_f32_u32_e32 v8, s16
	s_mov_b32 s11, 0x20000
	s_waitcnt lgkmcnt(0)
	v_div_scale_f32 v9, s[0:1], v8, v8, v7
	v_rcp_f32_e32 v10, v9
	v_div_scale_f32 v11, vcc, v7, v8, v7
	s_mov_b32 s0, 0x800000
	v_fma_f32 v12, -v9, v10, 1.0
	v_fmac_f32_e32 v10, v12, v10
	v_mul_f32_e32 v12, v11, v10
	v_fma_f32 v13, -v9, v12, v11
	v_fmac_f32_e32 v12, v13, v10
	v_fma_f32 v9, -v9, v12, v11
	v_div_fmas_f32 v9, v9, v10, v12
	v_div_fixup_f32 v7, v9, v8, v7
	v_add_f32_e32 v7, s13, v7
	v_mul_f32_e32 v8, 0x4b800000, v7
	v_cmp_gt_f32_e32 vcc, s0, v7
	v_cndmask_b32_e32 v7, v7, v8, vcc
	v_rsq_f32_e32 v7, v7
	s_waitcnt vmcnt(0)
	v_cvt_f32_f16_sdwa v9, v0 dst_sel:DWORD dst_unused:UNUSED_PAD src0_sel:WORD_1
	v_cvt_f32_f16_e32 v8, v0
	v_cvt_f32_f16_sdwa v11, v1 dst_sel:DWORD dst_unused:UNUSED_PAD src0_sel:WORD_1
	v_cvt_f32_f16_e32 v10, v1
	v_mul_f32_e32 v0, 0x45800000, v7
	v_cndmask_b32_e32 v12, v7, v0, vcc
	v_mov_b32_e32 v13, v12
	;;#ASMSTART
	v_pk_mul_f32 v[4:5], v[4:5], v[12:13]
	;;#ASMEND
	;;#ASMSTART
	v_pk_mul_f32 v[0:1], v[2:3], v[12:13]
	;;#ASMEND
	v_pk_add_f32 v[2:3], v[8:9], 1.0 op_sel_hi:[1,0]
	;;#ASMSTART
	v_pk_mul_f32 v[2:3], v[4:5], v[2:3]
	;;#ASMEND
	v_pk_add_f32 v[4:5], v[10:11], 1.0 op_sel_hi:[1,0]
	;;#ASMSTART
	v_pk_mul_f32 v[0:1], v[0:1], v[4:5]
	;;#ASMEND
	s_mul_hi_i32 s1, s7, s6
	s_mul_i32 s0, s7, s6
	v_cvt_f16_f32_e32 v2, v2
	v_cvt_f16_f32_e32 v3, v3
	;; [unrolled: 1-line block ×4, first 2 shown]
	s_lshl_b64 s[0:1], s[0:1], 1
	s_add_u32 s8, s28, s0
	s_addc_u32 s0, s29, s1
	s_and_b32 s9, s0, 0xffff
	v_pack_b32_f16 v0, v2, v3
	v_pack_b32_f16 v1, v4, v1
	buffer_store_dwordx2 v[0:1], v6, s[8:11], 0 offen
	;;#ASMSTART
	s_nop 0
	;;#ASMEND
	s_endpgm
	.section	.rodata,"a",@progbits
	.p2align	6, 0x0
	.amdhsa_kernel _ZN5aiter35fused_qk_rmsnorm_group_quant_kernelIDF16_DB8_Li64ELi4ELi8ELb0ELb1ELb1ELb0ELb0ELb0EEEvPT0_PvPT_S6_S6_PKS5_S8_S8_S8_S8_ffiiiiiiiiiiiii
		.amdhsa_group_segment_fixed_size 0
		.amdhsa_private_segment_fixed_size 0
		.amdhsa_kernarg_size 400
		.amdhsa_user_sgpr_count 6
		.amdhsa_user_sgpr_private_segment_buffer 1
		.amdhsa_user_sgpr_dispatch_ptr 0
		.amdhsa_user_sgpr_queue_ptr 0
		.amdhsa_user_sgpr_kernarg_segment_ptr 1
		.amdhsa_user_sgpr_dispatch_id 0
		.amdhsa_user_sgpr_flat_scratch_init 0
		.amdhsa_user_sgpr_kernarg_preload_length 0
		.amdhsa_user_sgpr_kernarg_preload_offset 0
		.amdhsa_user_sgpr_private_segment_size 0
		.amdhsa_uses_dynamic_stack 0
		.amdhsa_system_sgpr_private_segment_wavefront_offset 0
		.amdhsa_system_sgpr_workgroup_id_x 1
		.amdhsa_system_sgpr_workgroup_id_y 1
		.amdhsa_system_sgpr_workgroup_id_z 0
		.amdhsa_system_sgpr_workgroup_info 0
		.amdhsa_system_vgpr_workitem_id 0
		.amdhsa_next_free_vgpr 17
		.amdhsa_next_free_sgpr 32
		.amdhsa_accum_offset 20
		.amdhsa_reserve_vcc 1
		.amdhsa_reserve_flat_scratch 0
		.amdhsa_float_round_mode_32 0
		.amdhsa_float_round_mode_16_64 0
		.amdhsa_float_denorm_mode_32 3
		.amdhsa_float_denorm_mode_16_64 3
		.amdhsa_dx10_clamp 1
		.amdhsa_ieee_mode 1
		.amdhsa_fp16_overflow 0
		.amdhsa_tg_split 0
		.amdhsa_exception_fp_ieee_invalid_op 0
		.amdhsa_exception_fp_denorm_src 0
		.amdhsa_exception_fp_ieee_div_zero 0
		.amdhsa_exception_fp_ieee_overflow 0
		.amdhsa_exception_fp_ieee_underflow 0
		.amdhsa_exception_fp_ieee_inexact 0
		.amdhsa_exception_int_div_zero 0
	.end_amdhsa_kernel
	.section	.text._ZN5aiter35fused_qk_rmsnorm_group_quant_kernelIDF16_DB8_Li64ELi4ELi8ELb0ELb1ELb1ELb0ELb0ELb0EEEvPT0_PvPT_S6_S6_PKS5_S8_S8_S8_S8_ffiiiiiiiiiiiii,"axG",@progbits,_ZN5aiter35fused_qk_rmsnorm_group_quant_kernelIDF16_DB8_Li64ELi4ELi8ELb0ELb1ELb1ELb0ELb0ELb0EEEvPT0_PvPT_S6_S6_PKS5_S8_S8_S8_S8_ffiiiiiiiiiiiii,comdat
.Lfunc_end305:
	.size	_ZN5aiter35fused_qk_rmsnorm_group_quant_kernelIDF16_DB8_Li64ELi4ELi8ELb0ELb1ELb1ELb0ELb0ELb0EEEvPT0_PvPT_S6_S6_PKS5_S8_S8_S8_S8_ffiiiiiiiiiiiii, .Lfunc_end305-_ZN5aiter35fused_qk_rmsnorm_group_quant_kernelIDF16_DB8_Li64ELi4ELi8ELb0ELb1ELb1ELb0ELb0ELb0EEEvPT0_PvPT_S6_S6_PKS5_S8_S8_S8_S8_ffiiiiiiiiiiiii
                                        ; -- End function
	.section	.AMDGPU.csdata,"",@progbits
; Kernel info:
; codeLenInByte = 1996
; NumSgprs: 36
; NumVgprs: 17
; NumAgprs: 0
; TotalNumVgprs: 17
; ScratchSize: 0
; MemoryBound: 0
; FloatMode: 240
; IeeeMode: 1
; LDSByteSize: 0 bytes/workgroup (compile time only)
; SGPRBlocks: 4
; VGPRBlocks: 2
; NumSGPRsForWavesPerEU: 36
; NumVGPRsForWavesPerEU: 17
; AccumOffset: 20
; Occupancy: 8
; WaveLimiterHint : 0
; COMPUTE_PGM_RSRC2:SCRATCH_EN: 0
; COMPUTE_PGM_RSRC2:USER_SGPR: 6
; COMPUTE_PGM_RSRC2:TRAP_HANDLER: 0
; COMPUTE_PGM_RSRC2:TGID_X_EN: 1
; COMPUTE_PGM_RSRC2:TGID_Y_EN: 1
; COMPUTE_PGM_RSRC2:TGID_Z_EN: 0
; COMPUTE_PGM_RSRC2:TIDIG_COMP_CNT: 0
; COMPUTE_PGM_RSRC3_GFX90A:ACCUM_OFFSET: 4
; COMPUTE_PGM_RSRC3_GFX90A:TG_SPLIT: 0
	.section	.text._ZN5aiter35fused_qk_rmsnorm_group_quant_kernelItDB8_Li64ELi4ELi8ELb0ELb1ELb1ELb0ELb0ELb0EEEvPT0_PvPT_S6_S6_PKS5_S8_S8_S8_S8_ffiiiiiiiiiiiii,"axG",@progbits,_ZN5aiter35fused_qk_rmsnorm_group_quant_kernelItDB8_Li64ELi4ELi8ELb0ELb1ELb1ELb0ELb0ELb0EEEvPT0_PvPT_S6_S6_PKS5_S8_S8_S8_S8_ffiiiiiiiiiiiii,comdat
	.protected	_ZN5aiter35fused_qk_rmsnorm_group_quant_kernelItDB8_Li64ELi4ELi8ELb0ELb1ELb1ELb0ELb0ELb0EEEvPT0_PvPT_S6_S6_PKS5_S8_S8_S8_S8_ffiiiiiiiiiiiii ; -- Begin function _ZN5aiter35fused_qk_rmsnorm_group_quant_kernelItDB8_Li64ELi4ELi8ELb0ELb1ELb1ELb0ELb0ELb0EEEvPT0_PvPT_S6_S6_PKS5_S8_S8_S8_S8_ffiiiiiiiiiiiii
	.globl	_ZN5aiter35fused_qk_rmsnorm_group_quant_kernelItDB8_Li64ELi4ELi8ELb0ELb1ELb1ELb0ELb0ELb0EEEvPT0_PvPT_S6_S6_PKS5_S8_S8_S8_S8_ffiiiiiiiiiiiii
	.p2align	8
	.type	_ZN5aiter35fused_qk_rmsnorm_group_quant_kernelItDB8_Li64ELi4ELi8ELb0ELb1ELb1ELb0ELb0ELb0EEEvPT0_PvPT_S6_S6_PKS5_S8_S8_S8_S8_ffiiiiiiiiiiiii,@function
_ZN5aiter35fused_qk_rmsnorm_group_quant_kernelItDB8_Li64ELi4ELi8ELb0ELb1ELb1ELb0ELb0ELb0EEEvPT0_PvPT_S6_S6_PKS5_S8_S8_S8_S8_ffiiiiiiiiiiiii: ; @_ZN5aiter35fused_qk_rmsnorm_group_quant_kernelItDB8_Li64ELi4ELi8ELb0ELb1ELb1ELb0ELb0ELb0EEEvPT0_PvPT_S6_S6_PKS5_S8_S8_S8_S8_ffiiiiiiiiiiiii
; %bb.0:
	s_load_dwordx4 s[12:15], s[4:5], 0x50
	s_waitcnt lgkmcnt(0)
	s_cmp_ge_i32 s6, s14
	s_cbranch_scc1 .LBB306_8
; %bb.1:
	s_load_dwordx2 s[8:9], s[4:5], 0x48
	s_load_dwordx2 s[30:31], s[4:5], 0x30
	s_load_dwordx4 s[16:19], s[4:5], 0x60
	s_cmp_lg_u32 s7, 0
	s_cselect_b64 s[2:3], -1, 0
	s_cmp_eq_u32 s7, 0
	s_cselect_b64 vcc, -1, 0
	s_and_b64 s[0:1], vcc, exec
	s_waitcnt lgkmcnt(0)
	s_cselect_b32 s7, s15, s16
	s_add_i32 s0, s7, 1
	s_lshr_b32 s1, s0, 31
	s_add_i32 s0, s0, s1
	s_lshl_b32 s0, s0, 1
	v_lshlrev_b32_e32 v1, 2, v0
	s_and_b32 s22, s0, -4
	v_cmp_gt_i32_e64 s[0:1], s7, v1
	v_mov_b32_e32 v6, 0
	v_mov_b32_e32 v7, 0
	;; [unrolled: 1-line block ×4, first 2 shown]
	s_and_saveexec_b64 s[10:11], s[0:1]
	s_cbranch_execz .LBB306_3
; %bb.2:
	s_load_dwordx2 s[20:21], s[4:5], 0x28
	s_load_dwordx2 s[26:27], s[4:5], 0x40
	s_and_b64 s[24:25], vcc, exec
	s_cselect_b32 s14, s17, s18
	s_mov_b32 s23, 0x20000
	s_waitcnt lgkmcnt(0)
	s_cselect_b32 s17, s21, s31
	s_cselect_b32 s19, s20, s30
	s_mul_hi_i32 s21, s14, s6
	s_mul_i32 s20, s14, s6
	s_lshl_b64 s[20:21], s[20:21], 1
	s_add_u32 s24, s19, s20
	s_addc_u32 s14, s17, s21
	s_and_b64 s[20:21], vcc, exec
	s_cselect_b32 s20, s26, s8
	s_cselect_b32 s17, s27, s9
	v_lshlrev_b32_e32 v4, 3, v0
	s_and_b32 s25, s14, 0xffff
	s_mov_b32 s26, s22
	s_mov_b32 s27, s23
	s_and_b32 s21, s17, 0xffff
	buffer_load_dwordx2 v[2:3], v4, s[24:27], 0 offen glc slc
	buffer_load_dwordx2 v[6:7], v4, s[20:23], 0 offen
.LBB306_3:
	s_or_b64 exec, exec, s[10:11]
	s_waitcnt vmcnt(1)
	v_cvt_f32_u32_sdwa v5, v3 dst_sel:DWORD dst_unused:UNUSED_PAD src0_sel:WORD_0
	v_cvt_f32_u32_sdwa v8, v2 dst_sel:DWORD dst_unused:UNUSED_PAD src0_sel:WORD_1
	v_cvt_f32_u32_sdwa v4, v3 dst_sel:DWORD dst_unused:UNUSED_PAD src0_sel:WORD_1
	v_cvt_f32_u32_sdwa v9, v2 dst_sel:DWORD dst_unused:UNUSED_PAD src0_sel:WORD_0
	v_cndmask_b32_e64 v2, 0, v5, s[0:1]
	v_cndmask_b32_e64 v5, 0, v8, s[0:1]
	;; [unrolled: 1-line block ×4, first 2 shown]
	v_mul_f32_e32 v8, v5, v5
	v_fmac_f32_e32 v8, v4, v4
	v_fmac_f32_e32 v8, v2, v2
	;; [unrolled: 1-line block ×3, first 2 shown]
	v_bfrev_b32_e32 v10, 0.5
	s_load_dwordx2 s[28:29], s[4:5], 0x18
	v_mov_b32_dpp v9, v8 quad_perm:[1,0,3,2] row_mask:0xf bank_mask:0xf
	v_add_f32_e32 v8, v8, v9
	s_nop 1
	v_mov_b32_dpp v9, v8 quad_perm:[2,3,0,1] row_mask:0xf bank_mask:0xf
	v_add_f32_e32 v8, v8, v9
	s_nop 1
	v_mov_b32_dpp v9, v8 row_half_mirror row_mask:0xf bank_mask:0xf
	v_add_f32_e32 v8, v8, v9
	s_nop 1
	v_mov_b32_dpp v9, v8 row_mirror row_mask:0xf bank_mask:0xf
	v_add_f32_e32 v8, v8, v9
	s_nop 1
	v_mov_b32_dpp v9, v8 row_bcast:15 row_mask:0xf bank_mask:0xf
	v_add_f32_e32 v8, v8, v9
	s_nop 1
	v_mov_b32_dpp v9, v8 row_bcast:31 row_mask:0xf bank_mask:0xf
	v_add_f32_e32 v9, v8, v9
	v_mbcnt_lo_u32_b32 v8, -1, 0
	v_mbcnt_hi_u32_b32 v8, -1, v8
	v_lshl_or_b32 v8, v8, 2, v10
	ds_bpermute_b32 v9, v8, v9
	s_and_saveexec_b64 s[10:11], s[0:1]
	s_cbranch_execz .LBB306_5
; %bb.4:
	v_cvt_f32_u32_e32 v10, s7
	v_mov_b32_e32 v11, s13
	v_mov_b32_e32 v12, s12
	v_cndmask_b32_e32 v11, v11, v12, vcc
	s_waitcnt lgkmcnt(0)
	v_div_scale_f32 v13, s[20:21], v10, v10, v9
	v_rcp_f32_e32 v14, v13
	v_div_scale_f32 v12, vcc, v9, v10, v9
	s_mov_b32 s7, 0x800000
	v_fma_f32 v15, -v13, v14, 1.0
	v_fmac_f32_e32 v14, v15, v14
	v_mul_f32_e32 v15, v12, v14
	v_fma_f32 v16, -v13, v15, v12
	v_fmac_f32_e32 v15, v16, v14
	v_fma_f32 v12, -v13, v15, v12
	v_div_fmas_f32 v12, v12, v14, v15
	v_div_fixup_f32 v9, v12, v10, v9
	v_add_f32_e32 v9, v11, v9
	v_mul_f32_e32 v10, 0x4b800000, v9
	v_cmp_gt_f32_e32 vcc, s7, v9
	v_cndmask_b32_e32 v9, v9, v10, vcc
	v_rsq_f32_e32 v9, v9
	s_waitcnt vmcnt(0)
	v_cvt_f32_u32_sdwa v13, v6 dst_sel:DWORD dst_unused:UNUSED_PAD src0_sel:WORD_1
	v_cvt_f32_u32_sdwa v12, v6 dst_sel:DWORD dst_unused:UNUSED_PAD src0_sel:WORD_0
	v_cvt_f32_u32_sdwa v15, v7 dst_sel:DWORD dst_unused:UNUSED_PAD src0_sel:WORD_1
	v_cvt_f32_u32_sdwa v14, v7 dst_sel:DWORD dst_unused:UNUSED_PAD src0_sel:WORD_0
	v_mul_f32_e32 v10, 0x45800000, v9
	v_cndmask_b32_e32 v10, v9, v10, vcc
	v_mov_b32_e32 v11, v10
	;;#ASMSTART
	v_pk_mul_f32 v[4:5], v[4:5], v[10:11]
	;;#ASMEND
	;;#ASMSTART
	v_pk_mul_f32 v[2:3], v[2:3], v[10:11]
	;;#ASMEND
	v_pk_add_f32 v[6:7], v[12:13], 1.0 op_sel_hi:[1,0]
	;;#ASMSTART
	v_pk_mul_f32 v[4:5], v[4:5], v[6:7]
	;;#ASMEND
	v_pk_add_f32 v[6:7], v[14:15], 1.0 op_sel_hi:[1,0]
	;;#ASMSTART
	v_pk_mul_f32 v[2:3], v[2:3], v[6:7]
	;;#ASMEND
.LBB306_5:
	s_or_b64 exec, exec, s[10:11]
	s_load_dword s7, s[4:5], 0x80
	s_mov_b64 s[10:11], -1
	s_and_b64 vcc, exec, s[2:3]
	s_cbranch_vccnz .LBB306_9
; %bb.6:
	s_andn2_b64 vcc, exec, s[10:11]
	s_cbranch_vccz .LBB306_12
.LBB306_7:
	s_cmp_lt_i32 s16, 1
	s_cbranch_scc0 .LBB306_21
.LBB306_8:
	s_endpgm
.LBB306_9:
	s_and_saveexec_b64 s[2:3], s[0:1]
	s_cbranch_execz .LBB306_11
; %bb.10:
	s_waitcnt lgkmcnt(0)
	s_mul_hi_i32 s11, s7, s6
	s_mul_i32 s10, s7, s6
	s_lshl_b64 s[10:11], s[10:11], 1
	s_add_u32 s20, s28, s10
	s_addc_u32 s10, s29, s11
	s_and_b32 s21, s10, 0xffff
	s_mov_b32 s10, 0x7060302
	s_mov_b32 s23, 0x20000
	s_waitcnt vmcnt(0)
	v_perm_b32 v6, v5, v4, s10
	v_perm_b32 v7, v3, v2, s10
	v_lshlrev_b32_e32 v9, 3, v0
	buffer_store_dwordx2 v[6:7], v9, s[20:23], 0 offen
	;;#ASMSTART
	s_nop 0
	;;#ASMEND
.LBB306_11:
	s_or_b64 exec, exec, s[2:3]
	s_cbranch_execnz .LBB306_7
.LBB306_12:
	s_load_dwordx4 s[24:27], s[4:5], 0x70
	s_waitcnt vmcnt(0)
	v_mov_b32_e32 v6, 0
	s_and_saveexec_b64 s[2:3], s[0:1]
	s_cbranch_execz .LBB306_14
; %bb.13:
	s_load_dwordx2 s[10:11], s[4:5], 0x10
	s_waitcnt lgkmcnt(0)
	s_mul_hi_i32 s21, s27, s6
	s_mul_i32 s20, s27, s6
	s_lshl_b64 s[20:21], s[20:21], 1
	s_mov_b32 s23, 0x20000
	s_add_u32 s20, s10, s20
	s_addc_u32 s10, s11, s21
	s_and_b32 s21, s10, 0xffff
	s_mov_b32 s10, 0x7060302
	v_perm_b32 v6, v5, v4, s10
	v_perm_b32 v7, v3, v2, s10
	v_lshlrev_b32_e32 v9, 3, v0
	buffer_store_dwordx2 v[6:7], v9, s[20:23], 0 offen
	v_mov_b32_e32 v6, 0x2edbe6ff
	;;#ASMSTART
	s_nop 0
	;;#ASMEND
.LBB306_14:
	s_or_b64 exec, exec, s[2:3]
	s_and_saveexec_b64 s[2:3], s[0:1]
	s_cbranch_execz .LBB306_16
; %bb.15:
	v_and_b32_e32 v7, 0x7fffffff, v4
	s_waitcnt lgkmcnt(0)
	v_and_b32_e32 v9, 0x7fffffff, v5
	;;#ASMSTART
	v_max3_f32 v6, v6, v7, v9

	;;#ASMEND
	v_and_b32_e32 v7, 0x7fffffff, v2
	v_and_b32_e32 v9, 0x7fffffff, v3
	;;#ASMSTART
	v_max3_f32 v6, v6, v7, v9

	;;#ASMEND
.LBB306_16:
	s_or_b64 exec, exec, s[2:3]
	;;#ASMSTART
	v_max_f32 v7, v6, v6 quad_perm:[1,0,3,2] row_mask:0xf bank_mask:0xf bound_ctrl:1
	;;#ASMEND
	;;#ASMSTART
	v_max_f32 v6, v7, v7 quad_perm:[2,3,0,1] row_mask:0xf bank_mask:0xf bound_ctrl:1
	;;#ASMEND
	;;#ASMSTART
	v_max_f32 v7, v6, v6 row_half_mirror row_mask:0xf bank_mask:0xf bound_ctrl:1
	;;#ASMEND
	v_mul_f32_e32 v6, 0x3b124925, v7
	v_and_b32_e32 v7, 7, v0
	v_cmp_eq_u32_e32 vcc, 0, v7
	v_cmp_gt_i32_e64 s[2:3], s15, v1
	s_and_b64 s[10:11], vcc, s[2:3]
	s_and_saveexec_b64 s[2:3], s[10:11]
	s_cbranch_execz .LBB306_18
; %bb.17:
	s_load_dwordx2 s[10:11], s[4:5], 0x8
	s_waitcnt lgkmcnt(0)
	s_mul_hi_i32 s21, s25, s6
	s_mul_i32 s20, s25, s6
	v_lshrrev_b32_e32 v7, 3, v0
	s_lshl_b64 s[20:21], s[20:21], 2
	v_mad_i64_i32 v[10:11], s[22:23], s26, v7, 0
	s_add_u32 s10, s10, s20
	s_addc_u32 s11, s11, s21
	v_lshlrev_b64 v[10:11], 2, v[10:11]
	v_mov_b32_e32 v7, s11
	v_add_co_u32_e32 v10, vcc, s10, v10
	v_addc_co_u32_e32 v11, vcc, v7, v11, vcc
	global_store_dword v[10:11], v6, off
.LBB306_18:
	s_or_b64 exec, exec, s[2:3]
	;;#ASMSTART
	v_rcp_f32 v6, v6
	;;#ASMEND
	s_and_saveexec_b64 s[2:3], s[0:1]
	s_cbranch_execz .LBB306_20
; %bb.19:
	s_load_dwordx2 s[0:1], s[4:5], 0x0
	s_waitcnt lgkmcnt(0)
	s_mul_i32 s11, s24, s6
	s_mul_hi_i32 s10, s24, s6
	v_mov_b32_e32 v7, v6
	;;#ASMSTART
	v_pk_mul_f32 v[4:5], v[4:5], v[6:7]
	;;#ASMEND
	s_add_u32 s20, s0, s11
	s_addc_u32 s0, s1, s10
	s_add_i32 s1, s15, 3
	s_ashr_i32 s10, s1, 31
	s_and_b32 s21, s0, 0xffff
	s_lshr_b32 s0, s10, 30
	v_mov_b32_e32 v9, 0xc3e00000
	v_mov_b32_e32 v10, 0x43e00000
	;;#ASMSTART
	v_med3_f32 v4, v4, v9, v10
v_med3_f32 v5, v5, v9, v10
v_cvt_pk_fp8_f32 v11, v4, v5
	;;#ASMEND
	;;#ASMSTART
	v_pk_mul_f32 v[2:3], v[2:3], v[6:7]
	;;#ASMEND
	s_add_i32 s1, s1, s0
	;;#ASMSTART
	v_med3_f32 v2, v2, v9, v10
v_med3_f32 v3, v3, v9, v10
v_cvt_pk_fp8_f32 v4, v2, v3
	;;#ASMEND
	s_mov_b32 s0, 0x5040100
	s_and_b32 s22, s1, -4
	s_mov_b32 s23, 0x20000
	v_perm_b32 v2, v4, v11, s0
	buffer_store_dword v2, v1, s[20:23], 0 offen
	;;#ASMSTART
	s_nop 0
	;;#ASMEND
.LBB306_20:
	s_or_b64 exec, exec, s[2:3]
	s_cmp_lt_i32 s16, 1
	s_cbranch_scc1 .LBB306_8
.LBB306_21:
	s_load_dword s0, s[4:5], 0x94
	s_waitcnt lgkmcnt(0)
	s_cmp_lg_u32 s0, 1
	s_cbranch_scc1 .LBB306_8
; %bb.22:
	s_lshl_b32 s0, s16, 1
	s_add_i32 s0, s0, 2
	v_cmp_gt_u32_e32 vcc, s16, v1
	s_and_b32 s10, s0, -4
	v_mov_b32_e32 v2, 0
	s_waitcnt vmcnt(0)
	v_lshlrev_b32_e32 v6, 3, v0
	v_mov_b32_e32 v3, 0
	v_mov_b32_e32 v0, 0
	;; [unrolled: 1-line block ×3, first 2 shown]
	s_barrier
	s_and_saveexec_b64 s[0:1], vcc
	s_cbranch_execz .LBB306_24
; %bb.23:
	s_mul_hi_i32 s3, s18, s6
	s_mul_i32 s2, s18, s6
	s_and_b32 s9, s9, 0xffff
	s_lshl_b64 s[2:3], s[2:3], 1
	s_add_u32 s20, s30, s2
	s_mov_b32 s11, 0x20000
	s_addc_u32 s2, s31, s3
	s_and_b32 s21, s2, 0xffff
	s_mov_b32 s22, s10
	s_mov_b32 s23, s11
	buffer_load_dwordx2 v[2:3], v6, s[20:23], 0 offen glc slc
	buffer_load_dwordx2 v[0:1], v6, s[8:11], 0 offen
.LBB306_24:
	s_or_b64 exec, exec, s[0:1]
	s_waitcnt vmcnt(1)
	v_cvt_f32_u32_sdwa v5, v3 dst_sel:DWORD dst_unused:UNUSED_PAD src0_sel:WORD_0
	v_cvt_f32_u32_sdwa v7, v2 dst_sel:DWORD dst_unused:UNUSED_PAD src0_sel:WORD_1
	v_cvt_f32_u32_sdwa v4, v3 dst_sel:DWORD dst_unused:UNUSED_PAD src0_sel:WORD_1
	v_cvt_f32_u32_sdwa v9, v2 dst_sel:DWORD dst_unused:UNUSED_PAD src0_sel:WORD_0
	v_cndmask_b32_e32 v2, 0, v5, vcc
	v_cndmask_b32_e32 v5, 0, v7, vcc
	;; [unrolled: 1-line block ×4, first 2 shown]
	v_mul_f32_e32 v7, v5, v5
	v_fmac_f32_e32 v7, v4, v4
	v_fmac_f32_e32 v7, v2, v2
	;; [unrolled: 1-line block ×3, first 2 shown]
	s_nop 1
	v_mov_b32_dpp v9, v7 quad_perm:[1,0,3,2] row_mask:0xf bank_mask:0xf
	v_add_f32_e32 v7, v7, v9
	s_nop 1
	v_mov_b32_dpp v9, v7 quad_perm:[2,3,0,1] row_mask:0xf bank_mask:0xf
	v_add_f32_e32 v7, v7, v9
	s_nop 1
	v_mov_b32_dpp v9, v7 row_half_mirror row_mask:0xf bank_mask:0xf
	v_add_f32_e32 v7, v7, v9
	s_nop 1
	v_mov_b32_dpp v9, v7 row_mirror row_mask:0xf bank_mask:0xf
	v_add_f32_e32 v7, v7, v9
	s_nop 1
	v_mov_b32_dpp v9, v7 row_bcast:15 row_mask:0xf bank_mask:0xf
	v_add_f32_e32 v7, v7, v9
	s_nop 1
	v_mov_b32_dpp v9, v7 row_bcast:31 row_mask:0xf bank_mask:0xf
	v_add_f32_e32 v7, v7, v9
	ds_bpermute_b32 v7, v8, v7
	s_and_saveexec_b64 s[0:1], vcc
	s_cbranch_execz .LBB306_8
; %bb.25:
	v_cvt_f32_u32_e32 v8, s16
	s_mov_b32 s11, 0x20000
	s_waitcnt lgkmcnt(0)
	v_div_scale_f32 v9, s[0:1], v8, v8, v7
	v_rcp_f32_e32 v10, v9
	v_div_scale_f32 v11, vcc, v7, v8, v7
	s_mov_b32 s0, 0x800000
	v_fma_f32 v12, -v9, v10, 1.0
	v_fmac_f32_e32 v10, v12, v10
	v_mul_f32_e32 v12, v11, v10
	v_fma_f32 v13, -v9, v12, v11
	v_fmac_f32_e32 v12, v13, v10
	v_fma_f32 v9, -v9, v12, v11
	v_div_fmas_f32 v9, v9, v10, v12
	v_div_fixup_f32 v7, v9, v8, v7
	v_add_f32_e32 v7, s13, v7
	v_mul_f32_e32 v8, 0x4b800000, v7
	v_cmp_gt_f32_e32 vcc, s0, v7
	v_cndmask_b32_e32 v7, v7, v8, vcc
	v_rsq_f32_e32 v7, v7
	s_waitcnt vmcnt(0)
	v_cvt_f32_u32_sdwa v9, v0 dst_sel:DWORD dst_unused:UNUSED_PAD src0_sel:WORD_1
	v_cvt_f32_u32_sdwa v8, v0 dst_sel:DWORD dst_unused:UNUSED_PAD src0_sel:WORD_0
	s_mul_hi_i32 s1, s7, s6
	s_mul_i32 s0, s7, s6
	v_cvt_f32_u32_sdwa v11, v1 dst_sel:DWORD dst_unused:UNUSED_PAD src0_sel:WORD_1
	v_mul_f32_e32 v0, 0x45800000, v7
	v_cvt_f32_u32_sdwa v10, v1 dst_sel:DWORD dst_unused:UNUSED_PAD src0_sel:WORD_0
	s_lshl_b64 s[0:1], s[0:1], 1
	v_cndmask_b32_e32 v12, v7, v0, vcc
	s_add_u32 s8, s28, s0
	v_mov_b32_e32 v13, v12
	;;#ASMSTART
	v_pk_mul_f32 v[4:5], v[4:5], v[12:13]
	;;#ASMEND
	;;#ASMSTART
	v_pk_mul_f32 v[0:1], v[2:3], v[12:13]
	;;#ASMEND
	v_pk_add_f32 v[2:3], v[8:9], 1.0 op_sel_hi:[1,0]
	s_addc_u32 s0, s29, s1
	;;#ASMSTART
	v_pk_mul_f32 v[2:3], v[4:5], v[2:3]
	;;#ASMEND
	s_and_b32 s9, s0, 0xffff
	s_mov_b32 s0, 0x7060302
	v_pk_add_f32 v[4:5], v[10:11], 1.0 op_sel_hi:[1,0]
	;;#ASMSTART
	v_pk_mul_f32 v[0:1], v[0:1], v[4:5]
	;;#ASMEND
	v_perm_b32 v2, v3, v2, s0
	v_perm_b32 v3, v1, v0, s0
	buffer_store_dwordx2 v[2:3], v6, s[8:11], 0 offen
	;;#ASMSTART
	s_nop 0
	;;#ASMEND
	s_endpgm
	.section	.rodata,"a",@progbits
	.p2align	6, 0x0
	.amdhsa_kernel _ZN5aiter35fused_qk_rmsnorm_group_quant_kernelItDB8_Li64ELi4ELi8ELb0ELb1ELb1ELb0ELb0ELb0EEEvPT0_PvPT_S6_S6_PKS5_S8_S8_S8_S8_ffiiiiiiiiiiiii
		.amdhsa_group_segment_fixed_size 0
		.amdhsa_private_segment_fixed_size 0
		.amdhsa_kernarg_size 400
		.amdhsa_user_sgpr_count 6
		.amdhsa_user_sgpr_private_segment_buffer 1
		.amdhsa_user_sgpr_dispatch_ptr 0
		.amdhsa_user_sgpr_queue_ptr 0
		.amdhsa_user_sgpr_kernarg_segment_ptr 1
		.amdhsa_user_sgpr_dispatch_id 0
		.amdhsa_user_sgpr_flat_scratch_init 0
		.amdhsa_user_sgpr_kernarg_preload_length 0
		.amdhsa_user_sgpr_kernarg_preload_offset 0
		.amdhsa_user_sgpr_private_segment_size 0
		.amdhsa_uses_dynamic_stack 0
		.amdhsa_system_sgpr_private_segment_wavefront_offset 0
		.amdhsa_system_sgpr_workgroup_id_x 1
		.amdhsa_system_sgpr_workgroup_id_y 1
		.amdhsa_system_sgpr_workgroup_id_z 0
		.amdhsa_system_sgpr_workgroup_info 0
		.amdhsa_system_vgpr_workitem_id 0
		.amdhsa_next_free_vgpr 17
		.amdhsa_next_free_sgpr 32
		.amdhsa_accum_offset 20
		.amdhsa_reserve_vcc 1
		.amdhsa_reserve_flat_scratch 0
		.amdhsa_float_round_mode_32 0
		.amdhsa_float_round_mode_16_64 0
		.amdhsa_float_denorm_mode_32 3
		.amdhsa_float_denorm_mode_16_64 3
		.amdhsa_dx10_clamp 1
		.amdhsa_ieee_mode 1
		.amdhsa_fp16_overflow 0
		.amdhsa_tg_split 0
		.amdhsa_exception_fp_ieee_invalid_op 0
		.amdhsa_exception_fp_denorm_src 0
		.amdhsa_exception_fp_ieee_div_zero 0
		.amdhsa_exception_fp_ieee_overflow 0
		.amdhsa_exception_fp_ieee_underflow 0
		.amdhsa_exception_fp_ieee_inexact 0
		.amdhsa_exception_int_div_zero 0
	.end_amdhsa_kernel
	.section	.text._ZN5aiter35fused_qk_rmsnorm_group_quant_kernelItDB8_Li64ELi4ELi8ELb0ELb1ELb1ELb0ELb0ELb0EEEvPT0_PvPT_S6_S6_PKS5_S8_S8_S8_S8_ffiiiiiiiiiiiii,"axG",@progbits,_ZN5aiter35fused_qk_rmsnorm_group_quant_kernelItDB8_Li64ELi4ELi8ELb0ELb1ELb1ELb0ELb0ELb0EEEvPT0_PvPT_S6_S6_PKS5_S8_S8_S8_S8_ffiiiiiiiiiiiii,comdat
.Lfunc_end306:
	.size	_ZN5aiter35fused_qk_rmsnorm_group_quant_kernelItDB8_Li64ELi4ELi8ELb0ELb1ELb1ELb0ELb0ELb0EEEvPT0_PvPT_S6_S6_PKS5_S8_S8_S8_S8_ffiiiiiiiiiiiii, .Lfunc_end306-_ZN5aiter35fused_qk_rmsnorm_group_quant_kernelItDB8_Li64ELi4ELi8ELb0ELb1ELb1ELb0ELb0ELb0EEEvPT0_PvPT_S6_S6_PKS5_S8_S8_S8_S8_ffiiiiiiiiiiiii
                                        ; -- End function
	.section	.AMDGPU.csdata,"",@progbits
; Kernel info:
; codeLenInByte = 2004
; NumSgprs: 36
; NumVgprs: 17
; NumAgprs: 0
; TotalNumVgprs: 17
; ScratchSize: 0
; MemoryBound: 0
; FloatMode: 240
; IeeeMode: 1
; LDSByteSize: 0 bytes/workgroup (compile time only)
; SGPRBlocks: 4
; VGPRBlocks: 2
; NumSGPRsForWavesPerEU: 36
; NumVGPRsForWavesPerEU: 17
; AccumOffset: 20
; Occupancy: 8
; WaveLimiterHint : 0
; COMPUTE_PGM_RSRC2:SCRATCH_EN: 0
; COMPUTE_PGM_RSRC2:USER_SGPR: 6
; COMPUTE_PGM_RSRC2:TRAP_HANDLER: 0
; COMPUTE_PGM_RSRC2:TGID_X_EN: 1
; COMPUTE_PGM_RSRC2:TGID_Y_EN: 1
; COMPUTE_PGM_RSRC2:TGID_Z_EN: 0
; COMPUTE_PGM_RSRC2:TIDIG_COMP_CNT: 0
; COMPUTE_PGM_RSRC3_GFX90A:ACCUM_OFFSET: 4
; COMPUTE_PGM_RSRC3_GFX90A:TG_SPLIT: 0
	.section	.text._ZN5aiter35fused_qk_rmsnorm_group_quant_kernelIDF16_DB8_Li64ELi4ELi8ELb0ELb1ELb0ELb0ELb0ELb0EEEvPT0_PvPT_S6_S6_PKS5_S8_S8_S8_S8_ffiiiiiiiiiiiii,"axG",@progbits,_ZN5aiter35fused_qk_rmsnorm_group_quant_kernelIDF16_DB8_Li64ELi4ELi8ELb0ELb1ELb0ELb0ELb0ELb0EEEvPT0_PvPT_S6_S6_PKS5_S8_S8_S8_S8_ffiiiiiiiiiiiii,comdat
	.protected	_ZN5aiter35fused_qk_rmsnorm_group_quant_kernelIDF16_DB8_Li64ELi4ELi8ELb0ELb1ELb0ELb0ELb0ELb0EEEvPT0_PvPT_S6_S6_PKS5_S8_S8_S8_S8_ffiiiiiiiiiiiii ; -- Begin function _ZN5aiter35fused_qk_rmsnorm_group_quant_kernelIDF16_DB8_Li64ELi4ELi8ELb0ELb1ELb0ELb0ELb0ELb0EEEvPT0_PvPT_S6_S6_PKS5_S8_S8_S8_S8_ffiiiiiiiiiiiii
	.globl	_ZN5aiter35fused_qk_rmsnorm_group_quant_kernelIDF16_DB8_Li64ELi4ELi8ELb0ELb1ELb0ELb0ELb0ELb0EEEvPT0_PvPT_S6_S6_PKS5_S8_S8_S8_S8_ffiiiiiiiiiiiii
	.p2align	8
	.type	_ZN5aiter35fused_qk_rmsnorm_group_quant_kernelIDF16_DB8_Li64ELi4ELi8ELb0ELb1ELb0ELb0ELb0ELb0EEEvPT0_PvPT_S6_S6_PKS5_S8_S8_S8_S8_ffiiiiiiiiiiiii,@function
_ZN5aiter35fused_qk_rmsnorm_group_quant_kernelIDF16_DB8_Li64ELi4ELi8ELb0ELb1ELb0ELb0ELb0ELb0EEEvPT0_PvPT_S6_S6_PKS5_S8_S8_S8_S8_ffiiiiiiiiiiiii: ; @_ZN5aiter35fused_qk_rmsnorm_group_quant_kernelIDF16_DB8_Li64ELi4ELi8ELb0ELb1ELb0ELb0ELb0ELb0EEEvPT0_PvPT_S6_S6_PKS5_S8_S8_S8_S8_ffiiiiiiiiiiiii
; %bb.0:
	s_load_dwordx4 s[12:15], s[4:5], 0x50
	s_waitcnt lgkmcnt(0)
	s_cmp_ge_i32 s6, s14
	s_cbranch_scc1 .LBB307_8
; %bb.1:
	s_load_dwordx2 s[8:9], s[4:5], 0x48
	s_load_dwordx2 s[30:31], s[4:5], 0x30
	s_load_dwordx4 s[16:19], s[4:5], 0x60
	s_cmp_lg_u32 s7, 0
	s_cselect_b64 s[2:3], -1, 0
	s_cmp_eq_u32 s7, 0
	s_cselect_b64 vcc, -1, 0
	s_and_b64 s[0:1], vcc, exec
	s_waitcnt lgkmcnt(0)
	s_cselect_b32 s7, s15, s16
	s_add_i32 s0, s7, 1
	s_lshr_b32 s1, s0, 31
	s_add_i32 s0, s0, s1
	s_lshl_b32 s0, s0, 1
	v_lshlrev_b32_e32 v1, 2, v0
	s_and_b32 s22, s0, -4
	v_cmp_gt_i32_e64 s[0:1], s7, v1
	v_mov_b32_e32 v6, 0
	v_mov_b32_e32 v7, 0
	;; [unrolled: 1-line block ×4, first 2 shown]
	s_and_saveexec_b64 s[10:11], s[0:1]
	s_cbranch_execz .LBB307_3
; %bb.2:
	s_load_dwordx2 s[20:21], s[4:5], 0x28
	s_load_dwordx2 s[26:27], s[4:5], 0x40
	s_and_b64 s[24:25], vcc, exec
	s_cselect_b32 s14, s17, s18
	s_mov_b32 s23, 0x20000
	s_waitcnt lgkmcnt(0)
	s_cselect_b32 s17, s21, s31
	s_cselect_b32 s19, s20, s30
	s_mul_hi_i32 s21, s14, s6
	s_mul_i32 s20, s14, s6
	s_lshl_b64 s[20:21], s[20:21], 1
	s_add_u32 s24, s19, s20
	s_addc_u32 s14, s17, s21
	s_and_b64 s[20:21], vcc, exec
	s_cselect_b32 s20, s26, s8
	s_cselect_b32 s17, s27, s9
	v_lshlrev_b32_e32 v4, 3, v0
	s_and_b32 s25, s14, 0xffff
	s_mov_b32 s26, s22
	s_mov_b32 s27, s23
	s_and_b32 s21, s17, 0xffff
	buffer_load_dwordx2 v[2:3], v4, s[24:27], 0 offen glc slc
	buffer_load_dwordx2 v[6:7], v4, s[20:23], 0 offen
.LBB307_3:
	s_or_b64 exec, exec, s[10:11]
	s_waitcnt vmcnt(1)
	v_cvt_f32_f16_e32 v4, v3
	v_cvt_f32_f16_e32 v5, v2
	v_cvt_f32_f16_sdwa v8, v2 dst_sel:DWORD dst_unused:UNUSED_PAD src0_sel:WORD_1
	v_cvt_f32_f16_sdwa v3, v3 dst_sel:DWORD dst_unused:UNUSED_PAD src0_sel:WORD_1
	v_cndmask_b32_e64 v2, 0, v4, s[0:1]
	v_cndmask_b32_e64 v4, 0, v5, s[0:1]
	;; [unrolled: 1-line block ×3, first 2 shown]
	v_mul_f32_e32 v8, v5, v5
	v_fmac_f32_e32 v8, v4, v4
	v_cndmask_b32_e64 v3, 0, v3, s[0:1]
	v_fmac_f32_e32 v8, v2, v2
	v_fmac_f32_e32 v8, v3, v3
	v_bfrev_b32_e32 v10, 0.5
	s_load_dwordx2 s[28:29], s[4:5], 0x18
	v_mov_b32_dpp v9, v8 quad_perm:[1,0,3,2] row_mask:0xf bank_mask:0xf
	v_add_f32_e32 v8, v8, v9
	s_nop 1
	v_mov_b32_dpp v9, v8 quad_perm:[2,3,0,1] row_mask:0xf bank_mask:0xf
	v_add_f32_e32 v8, v8, v9
	s_nop 1
	v_mov_b32_dpp v9, v8 row_half_mirror row_mask:0xf bank_mask:0xf
	v_add_f32_e32 v8, v8, v9
	s_nop 1
	v_mov_b32_dpp v9, v8 row_mirror row_mask:0xf bank_mask:0xf
	v_add_f32_e32 v8, v8, v9
	s_nop 1
	v_mov_b32_dpp v9, v8 row_bcast:15 row_mask:0xf bank_mask:0xf
	v_add_f32_e32 v8, v8, v9
	s_nop 1
	v_mov_b32_dpp v9, v8 row_bcast:31 row_mask:0xf bank_mask:0xf
	v_add_f32_e32 v9, v8, v9
	v_mbcnt_lo_u32_b32 v8, -1, 0
	v_mbcnt_hi_u32_b32 v8, -1, v8
	v_lshl_or_b32 v8, v8, 2, v10
	ds_bpermute_b32 v9, v8, v9
	s_and_saveexec_b64 s[10:11], s[0:1]
	s_cbranch_execz .LBB307_5
; %bb.4:
	v_cvt_f32_u32_e32 v10, s7
	v_mov_b32_e32 v11, s13
	v_mov_b32_e32 v12, s12
	v_cndmask_b32_e32 v11, v11, v12, vcc
	s_waitcnt lgkmcnt(0)
	v_div_scale_f32 v13, s[20:21], v10, v10, v9
	v_rcp_f32_e32 v14, v13
	v_div_scale_f32 v12, vcc, v9, v10, v9
	s_mov_b32 s7, 0x800000
	v_fma_f32 v15, -v13, v14, 1.0
	v_fmac_f32_e32 v14, v15, v14
	v_mul_f32_e32 v15, v12, v14
	v_fma_f32 v16, -v13, v15, v12
	v_fmac_f32_e32 v15, v16, v14
	v_fma_f32 v12, -v13, v15, v12
	v_div_fmas_f32 v12, v12, v14, v15
	v_div_fixup_f32 v9, v12, v10, v9
	v_add_f32_e32 v9, v11, v9
	v_mul_f32_e32 v10, 0x4b800000, v9
	v_cmp_gt_f32_e32 vcc, s7, v9
	v_cndmask_b32_e32 v9, v9, v10, vcc
	v_rsq_f32_e32 v9, v9
	s_waitcnt vmcnt(0)
	v_cvt_f32_f16_sdwa v13, v6 dst_sel:DWORD dst_unused:UNUSED_PAD src0_sel:WORD_1
	v_cvt_f32_f16_e32 v12, v6
	v_cvt_f32_f16_sdwa v15, v7 dst_sel:DWORD dst_unused:UNUSED_PAD src0_sel:WORD_1
	v_mul_f32_e32 v10, 0x45800000, v9
	v_cndmask_b32_e32 v10, v9, v10, vcc
	v_mov_b32_e32 v11, v10
	;;#ASMSTART
	v_pk_mul_f32 v[4:5], v[4:5], v[10:11]
	;;#ASMEND
	;;#ASMSTART
	v_pk_mul_f32 v[2:3], v[2:3], v[10:11]
	;;#ASMEND
	v_cvt_f32_f16_e32 v14, v7
	;;#ASMSTART
	v_pk_mul_f32 v[4:5], v[4:5], v[12:13]
	;;#ASMEND
	;;#ASMSTART
	v_pk_mul_f32 v[2:3], v[2:3], v[14:15]
	;;#ASMEND
.LBB307_5:
	s_or_b64 exec, exec, s[10:11]
	s_load_dword s7, s[4:5], 0x80
	s_mov_b64 s[10:11], -1
	s_and_b64 vcc, exec, s[2:3]
	s_cbranch_vccnz .LBB307_9
; %bb.6:
	s_andn2_b64 vcc, exec, s[10:11]
	s_cbranch_vccz .LBB307_12
.LBB307_7:
	s_cmp_lt_i32 s16, 1
	s_cbranch_scc0 .LBB307_21
.LBB307_8:
	s_endpgm
.LBB307_9:
	s_and_saveexec_b64 s[2:3], s[0:1]
	s_cbranch_execz .LBB307_11
; %bb.10:
	s_waitcnt lgkmcnt(0)
	s_mul_hi_i32 s11, s7, s6
	s_mul_i32 s10, s7, s6
	s_waitcnt vmcnt(0)
	v_cvt_f16_f32_e32 v6, v4
	v_cvt_f16_f32_e32 v7, v2
	v_cvt_f16_f32_e32 v9, v3
	v_cvt_f16_f32_e32 v10, v5
	s_lshl_b64 s[10:11], s[10:11], 1
	s_add_u32 s20, s28, s10
	s_addc_u32 s10, s29, s11
	s_and_b32 s21, s10, 0xffff
	s_mov_b32 s23, 0x20000
	v_pack_b32_f16 v7, v7, v9
	v_pack_b32_f16 v6, v6, v10
	v_lshlrev_b32_e32 v9, 3, v0
	buffer_store_dwordx2 v[6:7], v9, s[20:23], 0 offen
	;;#ASMSTART
	s_nop 0
	;;#ASMEND
.LBB307_11:
	s_or_b64 exec, exec, s[2:3]
	s_cbranch_execnz .LBB307_7
.LBB307_12:
	s_load_dwordx4 s[24:27], s[4:5], 0x70
	s_waitcnt vmcnt(0)
	v_mov_b32_e32 v6, 0
	s_and_saveexec_b64 s[2:3], s[0:1]
	s_cbranch_execz .LBB307_14
; %bb.13:
	s_load_dwordx2 s[10:11], s[4:5], 0x10
	s_waitcnt lgkmcnt(0)
	s_mul_hi_i32 s21, s27, s6
	s_mul_i32 s20, s27, s6
	v_cvt_f16_f32_e32 v6, v4
	v_cvt_f16_f32_e32 v7, v2
	;; [unrolled: 1-line block ×4, first 2 shown]
	s_lshl_b64 s[20:21], s[20:21], 1
	s_add_u32 s20, s10, s20
	s_addc_u32 s10, s11, s21
	s_and_b32 s21, s10, 0xffff
	s_mov_b32 s23, 0x20000
	v_pack_b32_f16 v7, v7, v9
	v_pack_b32_f16 v6, v6, v10
	v_lshlrev_b32_e32 v9, 3, v0
	buffer_store_dwordx2 v[6:7], v9, s[20:23], 0 offen
	v_mov_b32_e32 v6, 0x2edbe6ff
	;;#ASMSTART
	s_nop 0
	;;#ASMEND
.LBB307_14:
	s_or_b64 exec, exec, s[2:3]
	s_and_saveexec_b64 s[2:3], s[0:1]
	s_cbranch_execz .LBB307_16
; %bb.15:
	v_and_b32_e32 v7, 0x7fffffff, v4
	s_waitcnt lgkmcnt(0)
	v_and_b32_e32 v9, 0x7fffffff, v5
	;;#ASMSTART
	v_max3_f32 v6, v6, v7, v9

	;;#ASMEND
	v_and_b32_e32 v7, 0x7fffffff, v2
	v_and_b32_e32 v9, 0x7fffffff, v3
	;;#ASMSTART
	v_max3_f32 v6, v6, v7, v9

	;;#ASMEND
.LBB307_16:
	s_or_b64 exec, exec, s[2:3]
	;;#ASMSTART
	v_max_f32 v7, v6, v6 quad_perm:[1,0,3,2] row_mask:0xf bank_mask:0xf bound_ctrl:1
	;;#ASMEND
	;;#ASMSTART
	v_max_f32 v6, v7, v7 quad_perm:[2,3,0,1] row_mask:0xf bank_mask:0xf bound_ctrl:1
	;;#ASMEND
	;;#ASMSTART
	v_max_f32 v7, v6, v6 row_half_mirror row_mask:0xf bank_mask:0xf bound_ctrl:1
	;;#ASMEND
	v_mul_f32_e32 v6, 0x3b124925, v7
	v_and_b32_e32 v7, 7, v0
	v_cmp_eq_u32_e32 vcc, 0, v7
	v_cmp_gt_i32_e64 s[2:3], s15, v1
	s_and_b64 s[10:11], vcc, s[2:3]
	s_and_saveexec_b64 s[2:3], s[10:11]
	s_cbranch_execz .LBB307_18
; %bb.17:
	s_load_dwordx2 s[10:11], s[4:5], 0x8
	s_waitcnt lgkmcnt(0)
	s_mul_hi_i32 s21, s25, s6
	s_mul_i32 s20, s25, s6
	v_lshrrev_b32_e32 v7, 3, v0
	s_lshl_b64 s[20:21], s[20:21], 2
	v_mad_i64_i32 v[10:11], s[22:23], s26, v7, 0
	s_add_u32 s10, s10, s20
	s_addc_u32 s11, s11, s21
	v_lshlrev_b64 v[10:11], 2, v[10:11]
	v_mov_b32_e32 v7, s11
	v_add_co_u32_e32 v10, vcc, s10, v10
	v_addc_co_u32_e32 v11, vcc, v7, v11, vcc
	global_store_dword v[10:11], v6, off
.LBB307_18:
	s_or_b64 exec, exec, s[2:3]
	;;#ASMSTART
	v_rcp_f32 v6, v6
	;;#ASMEND
	s_and_saveexec_b64 s[2:3], s[0:1]
	s_cbranch_execz .LBB307_20
; %bb.19:
	s_load_dwordx2 s[0:1], s[4:5], 0x0
	s_waitcnt lgkmcnt(0)
	s_mul_i32 s11, s24, s6
	s_mul_hi_i32 s10, s24, s6
	v_mov_b32_e32 v7, v6
	;;#ASMSTART
	v_pk_mul_f32 v[4:5], v[4:5], v[6:7]
	;;#ASMEND
	s_add_u32 s20, s0, s11
	s_addc_u32 s0, s1, s10
	s_add_i32 s1, s15, 3
	s_ashr_i32 s10, s1, 31
	s_and_b32 s21, s0, 0xffff
	s_lshr_b32 s0, s10, 30
	v_mov_b32_e32 v9, 0xc3e00000
	v_mov_b32_e32 v10, 0x43e00000
	;;#ASMSTART
	v_med3_f32 v4, v4, v9, v10
v_med3_f32 v5, v5, v9, v10
v_cvt_pk_fp8_f32 v11, v4, v5
	;;#ASMEND
	;;#ASMSTART
	v_pk_mul_f32 v[2:3], v[2:3], v[6:7]
	;;#ASMEND
	s_add_i32 s1, s1, s0
	;;#ASMSTART
	v_med3_f32 v2, v2, v9, v10
v_med3_f32 v3, v3, v9, v10
v_cvt_pk_fp8_f32 v4, v2, v3
	;;#ASMEND
	s_mov_b32 s0, 0x5040100
	s_and_b32 s22, s1, -4
	s_mov_b32 s23, 0x20000
	v_perm_b32 v2, v4, v11, s0
	buffer_store_dword v2, v1, s[20:23], 0 offen
	;;#ASMSTART
	s_nop 0
	;;#ASMEND
.LBB307_20:
	s_or_b64 exec, exec, s[2:3]
	s_cmp_lt_i32 s16, 1
	s_cbranch_scc1 .LBB307_8
.LBB307_21:
	s_load_dword s0, s[4:5], 0x94
	s_waitcnt lgkmcnt(0)
	s_cmp_lg_u32 s0, 1
	s_cbranch_scc1 .LBB307_8
; %bb.22:
	s_lshl_b32 s0, s16, 1
	s_add_i32 s0, s0, 2
	v_cmp_gt_u32_e32 vcc, s16, v1
	s_and_b32 s10, s0, -4
	v_mov_b32_e32 v2, 0
	s_waitcnt vmcnt(0)
	v_lshlrev_b32_e32 v6, 3, v0
	v_mov_b32_e32 v3, 0
	v_mov_b32_e32 v0, 0
	;; [unrolled: 1-line block ×3, first 2 shown]
	s_barrier
	s_and_saveexec_b64 s[0:1], vcc
	s_cbranch_execz .LBB307_24
; %bb.23:
	s_mul_hi_i32 s3, s18, s6
	s_mul_i32 s2, s18, s6
	s_and_b32 s9, s9, 0xffff
	s_lshl_b64 s[2:3], s[2:3], 1
	s_add_u32 s20, s30, s2
	s_mov_b32 s11, 0x20000
	s_addc_u32 s2, s31, s3
	s_and_b32 s21, s2, 0xffff
	s_mov_b32 s22, s10
	s_mov_b32 s23, s11
	buffer_load_dwordx2 v[2:3], v6, s[20:23], 0 offen glc slc
	buffer_load_dwordx2 v[0:1], v6, s[8:11], 0 offen
.LBB307_24:
	s_or_b64 exec, exec, s[0:1]
	s_waitcnt vmcnt(1)
	v_cvt_f32_f16_e32 v4, v3
	v_cvt_f32_f16_e32 v5, v2
	v_cvt_f32_f16_sdwa v7, v2 dst_sel:DWORD dst_unused:UNUSED_PAD src0_sel:WORD_1
	v_cvt_f32_f16_sdwa v3, v3 dst_sel:DWORD dst_unused:UNUSED_PAD src0_sel:WORD_1
	v_cndmask_b32_e32 v2, 0, v4, vcc
	v_cndmask_b32_e32 v4, 0, v5, vcc
	;; [unrolled: 1-line block ×3, first 2 shown]
	v_mul_f32_e32 v7, v5, v5
	v_fmac_f32_e32 v7, v4, v4
	v_cndmask_b32_e32 v3, 0, v3, vcc
	v_fmac_f32_e32 v7, v2, v2
	v_fmac_f32_e32 v7, v3, v3
	s_nop 1
	v_mov_b32_dpp v9, v7 quad_perm:[1,0,3,2] row_mask:0xf bank_mask:0xf
	v_add_f32_e32 v7, v7, v9
	s_nop 1
	v_mov_b32_dpp v9, v7 quad_perm:[2,3,0,1] row_mask:0xf bank_mask:0xf
	v_add_f32_e32 v7, v7, v9
	s_nop 1
	v_mov_b32_dpp v9, v7 row_half_mirror row_mask:0xf bank_mask:0xf
	v_add_f32_e32 v7, v7, v9
	s_nop 1
	v_mov_b32_dpp v9, v7 row_mirror row_mask:0xf bank_mask:0xf
	v_add_f32_e32 v7, v7, v9
	s_nop 1
	v_mov_b32_dpp v9, v7 row_bcast:15 row_mask:0xf bank_mask:0xf
	v_add_f32_e32 v7, v7, v9
	s_nop 1
	v_mov_b32_dpp v9, v7 row_bcast:31 row_mask:0xf bank_mask:0xf
	v_add_f32_e32 v7, v7, v9
	ds_bpermute_b32 v7, v8, v7
	s_and_saveexec_b64 s[0:1], vcc
	s_cbranch_execz .LBB307_8
; %bb.25:
	v_cvt_f32_u32_e32 v8, s16
	s_mov_b32 s11, 0x20000
	s_waitcnt lgkmcnt(0)
	v_div_scale_f32 v9, s[0:1], v8, v8, v7
	v_rcp_f32_e32 v10, v9
	v_div_scale_f32 v11, vcc, v7, v8, v7
	s_mov_b32 s0, 0x800000
	v_fma_f32 v12, -v9, v10, 1.0
	v_fmac_f32_e32 v10, v12, v10
	v_mul_f32_e32 v12, v11, v10
	v_fma_f32 v13, -v9, v12, v11
	v_fmac_f32_e32 v12, v13, v10
	v_fma_f32 v9, -v9, v12, v11
	v_div_fmas_f32 v9, v9, v10, v12
	v_div_fixup_f32 v7, v9, v8, v7
	v_add_f32_e32 v7, s13, v7
	v_mul_f32_e32 v8, 0x4b800000, v7
	v_cmp_gt_f32_e32 vcc, s0, v7
	v_cndmask_b32_e32 v7, v7, v8, vcc
	v_rsq_f32_e32 v7, v7
	s_waitcnt vmcnt(0)
	v_cvt_f32_f16_sdwa v9, v0 dst_sel:DWORD dst_unused:UNUSED_PAD src0_sel:WORD_1
	v_cvt_f32_f16_e32 v8, v0
	v_cvt_f32_f16_sdwa v11, v1 dst_sel:DWORD dst_unused:UNUSED_PAD src0_sel:WORD_1
	v_mul_f32_e32 v0, 0x45800000, v7
	v_cndmask_b32_e32 v12, v7, v0, vcc
	v_mov_b32_e32 v13, v12
	v_cvt_f32_f16_e32 v10, v1
	;;#ASMSTART
	v_pk_mul_f32 v[0:1], v[4:5], v[12:13]
	;;#ASMEND
	;;#ASMSTART
	v_pk_mul_f32 v[2:3], v[2:3], v[12:13]
	;;#ASMEND
	;; [unrolled: 3-line block ×4, first 2 shown]
	s_mul_hi_i32 s1, s7, s6
	s_mul_i32 s0, s7, s6
	v_cvt_f16_f32_e32 v0, v0
	v_cvt_f16_f32_e32 v1, v1
	;; [unrolled: 1-line block ×4, first 2 shown]
	s_lshl_b64 s[0:1], s[0:1], 1
	s_add_u32 s8, s28, s0
	s_addc_u32 s0, s29, s1
	s_and_b32 s9, s0, 0xffff
	v_pack_b32_f16 v0, v0, v1
	v_pack_b32_f16 v1, v2, v3
	buffer_store_dwordx2 v[0:1], v6, s[8:11], 0 offen
	;;#ASMSTART
	s_nop 0
	;;#ASMEND
	s_endpgm
	.section	.rodata,"a",@progbits
	.p2align	6, 0x0
	.amdhsa_kernel _ZN5aiter35fused_qk_rmsnorm_group_quant_kernelIDF16_DB8_Li64ELi4ELi8ELb0ELb1ELb0ELb0ELb0ELb0EEEvPT0_PvPT_S6_S6_PKS5_S8_S8_S8_S8_ffiiiiiiiiiiiii
		.amdhsa_group_segment_fixed_size 0
		.amdhsa_private_segment_fixed_size 0
		.amdhsa_kernarg_size 400
		.amdhsa_user_sgpr_count 6
		.amdhsa_user_sgpr_private_segment_buffer 1
		.amdhsa_user_sgpr_dispatch_ptr 0
		.amdhsa_user_sgpr_queue_ptr 0
		.amdhsa_user_sgpr_kernarg_segment_ptr 1
		.amdhsa_user_sgpr_dispatch_id 0
		.amdhsa_user_sgpr_flat_scratch_init 0
		.amdhsa_user_sgpr_kernarg_preload_length 0
		.amdhsa_user_sgpr_kernarg_preload_offset 0
		.amdhsa_user_sgpr_private_segment_size 0
		.amdhsa_uses_dynamic_stack 0
		.amdhsa_system_sgpr_private_segment_wavefront_offset 0
		.amdhsa_system_sgpr_workgroup_id_x 1
		.amdhsa_system_sgpr_workgroup_id_y 1
		.amdhsa_system_sgpr_workgroup_id_z 0
		.amdhsa_system_sgpr_workgroup_info 0
		.amdhsa_system_vgpr_workitem_id 0
		.amdhsa_next_free_vgpr 17
		.amdhsa_next_free_sgpr 32
		.amdhsa_accum_offset 20
		.amdhsa_reserve_vcc 1
		.amdhsa_reserve_flat_scratch 0
		.amdhsa_float_round_mode_32 0
		.amdhsa_float_round_mode_16_64 0
		.amdhsa_float_denorm_mode_32 3
		.amdhsa_float_denorm_mode_16_64 3
		.amdhsa_dx10_clamp 1
		.amdhsa_ieee_mode 1
		.amdhsa_fp16_overflow 0
		.amdhsa_tg_split 0
		.amdhsa_exception_fp_ieee_invalid_op 0
		.amdhsa_exception_fp_denorm_src 0
		.amdhsa_exception_fp_ieee_div_zero 0
		.amdhsa_exception_fp_ieee_overflow 0
		.amdhsa_exception_fp_ieee_underflow 0
		.amdhsa_exception_fp_ieee_inexact 0
		.amdhsa_exception_int_div_zero 0
	.end_amdhsa_kernel
	.section	.text._ZN5aiter35fused_qk_rmsnorm_group_quant_kernelIDF16_DB8_Li64ELi4ELi8ELb0ELb1ELb0ELb0ELb0ELb0EEEvPT0_PvPT_S6_S6_PKS5_S8_S8_S8_S8_ffiiiiiiiiiiiii,"axG",@progbits,_ZN5aiter35fused_qk_rmsnorm_group_quant_kernelIDF16_DB8_Li64ELi4ELi8ELb0ELb1ELb0ELb0ELb0ELb0EEEvPT0_PvPT_S6_S6_PKS5_S8_S8_S8_S8_ffiiiiiiiiiiiii,comdat
.Lfunc_end307:
	.size	_ZN5aiter35fused_qk_rmsnorm_group_quant_kernelIDF16_DB8_Li64ELi4ELi8ELb0ELb1ELb0ELb0ELb0ELb0EEEvPT0_PvPT_S6_S6_PKS5_S8_S8_S8_S8_ffiiiiiiiiiiiii, .Lfunc_end307-_ZN5aiter35fused_qk_rmsnorm_group_quant_kernelIDF16_DB8_Li64ELi4ELi8ELb0ELb1ELb0ELb0ELb0ELb0EEEvPT0_PvPT_S6_S6_PKS5_S8_S8_S8_S8_ffiiiiiiiiiiiii
                                        ; -- End function
	.section	.AMDGPU.csdata,"",@progbits
; Kernel info:
; codeLenInByte = 1964
; NumSgprs: 36
; NumVgprs: 17
; NumAgprs: 0
; TotalNumVgprs: 17
; ScratchSize: 0
; MemoryBound: 0
; FloatMode: 240
; IeeeMode: 1
; LDSByteSize: 0 bytes/workgroup (compile time only)
; SGPRBlocks: 4
; VGPRBlocks: 2
; NumSGPRsForWavesPerEU: 36
; NumVGPRsForWavesPerEU: 17
; AccumOffset: 20
; Occupancy: 8
; WaveLimiterHint : 0
; COMPUTE_PGM_RSRC2:SCRATCH_EN: 0
; COMPUTE_PGM_RSRC2:USER_SGPR: 6
; COMPUTE_PGM_RSRC2:TRAP_HANDLER: 0
; COMPUTE_PGM_RSRC2:TGID_X_EN: 1
; COMPUTE_PGM_RSRC2:TGID_Y_EN: 1
; COMPUTE_PGM_RSRC2:TGID_Z_EN: 0
; COMPUTE_PGM_RSRC2:TIDIG_COMP_CNT: 0
; COMPUTE_PGM_RSRC3_GFX90A:ACCUM_OFFSET: 4
; COMPUTE_PGM_RSRC3_GFX90A:TG_SPLIT: 0
	.section	.text._ZN5aiter35fused_qk_rmsnorm_group_quant_kernelItDB8_Li64ELi4ELi8ELb0ELb1ELb0ELb0ELb0ELb0EEEvPT0_PvPT_S6_S6_PKS5_S8_S8_S8_S8_ffiiiiiiiiiiiii,"axG",@progbits,_ZN5aiter35fused_qk_rmsnorm_group_quant_kernelItDB8_Li64ELi4ELi8ELb0ELb1ELb0ELb0ELb0ELb0EEEvPT0_PvPT_S6_S6_PKS5_S8_S8_S8_S8_ffiiiiiiiiiiiii,comdat
	.protected	_ZN5aiter35fused_qk_rmsnorm_group_quant_kernelItDB8_Li64ELi4ELi8ELb0ELb1ELb0ELb0ELb0ELb0EEEvPT0_PvPT_S6_S6_PKS5_S8_S8_S8_S8_ffiiiiiiiiiiiii ; -- Begin function _ZN5aiter35fused_qk_rmsnorm_group_quant_kernelItDB8_Li64ELi4ELi8ELb0ELb1ELb0ELb0ELb0ELb0EEEvPT0_PvPT_S6_S6_PKS5_S8_S8_S8_S8_ffiiiiiiiiiiiii
	.globl	_ZN5aiter35fused_qk_rmsnorm_group_quant_kernelItDB8_Li64ELi4ELi8ELb0ELb1ELb0ELb0ELb0ELb0EEEvPT0_PvPT_S6_S6_PKS5_S8_S8_S8_S8_ffiiiiiiiiiiiii
	.p2align	8
	.type	_ZN5aiter35fused_qk_rmsnorm_group_quant_kernelItDB8_Li64ELi4ELi8ELb0ELb1ELb0ELb0ELb0ELb0EEEvPT0_PvPT_S6_S6_PKS5_S8_S8_S8_S8_ffiiiiiiiiiiiii,@function
_ZN5aiter35fused_qk_rmsnorm_group_quant_kernelItDB8_Li64ELi4ELi8ELb0ELb1ELb0ELb0ELb0ELb0EEEvPT0_PvPT_S6_S6_PKS5_S8_S8_S8_S8_ffiiiiiiiiiiiii: ; @_ZN5aiter35fused_qk_rmsnorm_group_quant_kernelItDB8_Li64ELi4ELi8ELb0ELb1ELb0ELb0ELb0ELb0EEEvPT0_PvPT_S6_S6_PKS5_S8_S8_S8_S8_ffiiiiiiiiiiiii
; %bb.0:
	s_load_dwordx4 s[12:15], s[4:5], 0x50
	s_waitcnt lgkmcnt(0)
	s_cmp_ge_i32 s6, s14
	s_cbranch_scc1 .LBB308_8
; %bb.1:
	s_load_dwordx2 s[8:9], s[4:5], 0x48
	s_load_dwordx2 s[30:31], s[4:5], 0x30
	s_load_dwordx4 s[16:19], s[4:5], 0x60
	s_cmp_lg_u32 s7, 0
	s_cselect_b64 s[2:3], -1, 0
	s_cmp_eq_u32 s7, 0
	s_cselect_b64 vcc, -1, 0
	s_and_b64 s[0:1], vcc, exec
	s_waitcnt lgkmcnt(0)
	s_cselect_b32 s7, s15, s16
	s_add_i32 s0, s7, 1
	s_lshr_b32 s1, s0, 31
	s_add_i32 s0, s0, s1
	s_lshl_b32 s0, s0, 1
	v_lshlrev_b32_e32 v1, 2, v0
	s_and_b32 s22, s0, -4
	v_cmp_gt_i32_e64 s[0:1], s7, v1
	v_mov_b32_e32 v6, 0
	v_mov_b32_e32 v7, 0
	;; [unrolled: 1-line block ×4, first 2 shown]
	s_and_saveexec_b64 s[10:11], s[0:1]
	s_cbranch_execz .LBB308_3
; %bb.2:
	s_load_dwordx2 s[20:21], s[4:5], 0x28
	s_load_dwordx2 s[26:27], s[4:5], 0x40
	s_and_b64 s[24:25], vcc, exec
	s_cselect_b32 s14, s17, s18
	s_mov_b32 s23, 0x20000
	s_waitcnt lgkmcnt(0)
	s_cselect_b32 s17, s21, s31
	s_cselect_b32 s19, s20, s30
	s_mul_hi_i32 s21, s14, s6
	s_mul_i32 s20, s14, s6
	s_lshl_b64 s[20:21], s[20:21], 1
	s_add_u32 s24, s19, s20
	s_addc_u32 s14, s17, s21
	s_and_b64 s[20:21], vcc, exec
	s_cselect_b32 s20, s26, s8
	s_cselect_b32 s17, s27, s9
	v_lshlrev_b32_e32 v4, 3, v0
	s_and_b32 s25, s14, 0xffff
	s_mov_b32 s26, s22
	s_mov_b32 s27, s23
	s_and_b32 s21, s17, 0xffff
	buffer_load_dwordx2 v[2:3], v4, s[24:27], 0 offen glc slc
	buffer_load_dwordx2 v[6:7], v4, s[20:23], 0 offen
.LBB308_3:
	s_or_b64 exec, exec, s[10:11]
	s_waitcnt vmcnt(1)
	v_cvt_f32_u32_sdwa v5, v3 dst_sel:DWORD dst_unused:UNUSED_PAD src0_sel:WORD_0
	v_cvt_f32_u32_sdwa v8, v2 dst_sel:DWORD dst_unused:UNUSED_PAD src0_sel:WORD_1
	v_cvt_f32_u32_sdwa v4, v3 dst_sel:DWORD dst_unused:UNUSED_PAD src0_sel:WORD_1
	v_cvt_f32_u32_sdwa v9, v2 dst_sel:DWORD dst_unused:UNUSED_PAD src0_sel:WORD_0
	v_cndmask_b32_e64 v2, 0, v5, s[0:1]
	v_cndmask_b32_e64 v5, 0, v8, s[0:1]
	;; [unrolled: 1-line block ×4, first 2 shown]
	v_mul_f32_e32 v8, v5, v5
	v_fmac_f32_e32 v8, v4, v4
	v_fmac_f32_e32 v8, v2, v2
	;; [unrolled: 1-line block ×3, first 2 shown]
	v_bfrev_b32_e32 v10, 0.5
	s_load_dwordx2 s[28:29], s[4:5], 0x18
	v_mov_b32_dpp v9, v8 quad_perm:[1,0,3,2] row_mask:0xf bank_mask:0xf
	v_add_f32_e32 v8, v8, v9
	s_nop 1
	v_mov_b32_dpp v9, v8 quad_perm:[2,3,0,1] row_mask:0xf bank_mask:0xf
	v_add_f32_e32 v8, v8, v9
	s_nop 1
	v_mov_b32_dpp v9, v8 row_half_mirror row_mask:0xf bank_mask:0xf
	v_add_f32_e32 v8, v8, v9
	s_nop 1
	v_mov_b32_dpp v9, v8 row_mirror row_mask:0xf bank_mask:0xf
	v_add_f32_e32 v8, v8, v9
	s_nop 1
	v_mov_b32_dpp v9, v8 row_bcast:15 row_mask:0xf bank_mask:0xf
	v_add_f32_e32 v8, v8, v9
	s_nop 1
	v_mov_b32_dpp v9, v8 row_bcast:31 row_mask:0xf bank_mask:0xf
	v_add_f32_e32 v9, v8, v9
	v_mbcnt_lo_u32_b32 v8, -1, 0
	v_mbcnt_hi_u32_b32 v8, -1, v8
	v_lshl_or_b32 v8, v8, 2, v10
	ds_bpermute_b32 v9, v8, v9
	s_and_saveexec_b64 s[10:11], s[0:1]
	s_cbranch_execz .LBB308_5
; %bb.4:
	v_cvt_f32_u32_e32 v10, s7
	v_mov_b32_e32 v11, s13
	v_mov_b32_e32 v12, s12
	v_cndmask_b32_e32 v11, v11, v12, vcc
	s_waitcnt lgkmcnt(0)
	v_div_scale_f32 v13, s[20:21], v10, v10, v9
	v_rcp_f32_e32 v14, v13
	v_div_scale_f32 v12, vcc, v9, v10, v9
	s_mov_b32 s7, 0x800000
	v_fma_f32 v15, -v13, v14, 1.0
	v_fmac_f32_e32 v14, v15, v14
	v_mul_f32_e32 v15, v12, v14
	v_fma_f32 v16, -v13, v15, v12
	v_fmac_f32_e32 v15, v16, v14
	v_fma_f32 v12, -v13, v15, v12
	v_div_fmas_f32 v12, v12, v14, v15
	v_div_fixup_f32 v9, v12, v10, v9
	v_add_f32_e32 v9, v11, v9
	v_mul_f32_e32 v10, 0x4b800000, v9
	v_cmp_gt_f32_e32 vcc, s7, v9
	v_cndmask_b32_e32 v9, v9, v10, vcc
	v_rsq_f32_e32 v9, v9
	s_waitcnt vmcnt(0)
	v_cvt_f32_u32_sdwa v13, v6 dst_sel:DWORD dst_unused:UNUSED_PAD src0_sel:WORD_1
	v_cvt_f32_u32_sdwa v12, v6 dst_sel:DWORD dst_unused:UNUSED_PAD src0_sel:WORD_0
	v_cvt_f32_u32_sdwa v15, v7 dst_sel:DWORD dst_unused:UNUSED_PAD src0_sel:WORD_1
	v_mul_f32_e32 v10, 0x45800000, v9
	v_cndmask_b32_e32 v10, v9, v10, vcc
	v_mov_b32_e32 v11, v10
	;;#ASMSTART
	v_pk_mul_f32 v[4:5], v[4:5], v[10:11]
	;;#ASMEND
	;;#ASMSTART
	v_pk_mul_f32 v[2:3], v[2:3], v[10:11]
	;;#ASMEND
	v_cvt_f32_u32_sdwa v14, v7 dst_sel:DWORD dst_unused:UNUSED_PAD src0_sel:WORD_0
	;;#ASMSTART
	v_pk_mul_f32 v[4:5], v[4:5], v[12:13]
	;;#ASMEND
	;;#ASMSTART
	v_pk_mul_f32 v[2:3], v[2:3], v[14:15]
	;;#ASMEND
.LBB308_5:
	s_or_b64 exec, exec, s[10:11]
	s_load_dword s7, s[4:5], 0x80
	s_mov_b64 s[10:11], -1
	s_and_b64 vcc, exec, s[2:3]
	s_cbranch_vccnz .LBB308_9
; %bb.6:
	s_andn2_b64 vcc, exec, s[10:11]
	s_cbranch_vccz .LBB308_12
.LBB308_7:
	s_cmp_lt_i32 s16, 1
	s_cbranch_scc0 .LBB308_21
.LBB308_8:
	s_endpgm
.LBB308_9:
	s_and_saveexec_b64 s[2:3], s[0:1]
	s_cbranch_execz .LBB308_11
; %bb.10:
	s_waitcnt lgkmcnt(0)
	s_mul_hi_i32 s11, s7, s6
	s_mul_i32 s10, s7, s6
	s_lshl_b64 s[10:11], s[10:11], 1
	s_add_u32 s20, s28, s10
	s_addc_u32 s10, s29, s11
	s_and_b32 s21, s10, 0xffff
	s_mov_b32 s10, 0x7060302
	s_mov_b32 s23, 0x20000
	s_waitcnt vmcnt(0)
	v_perm_b32 v6, v5, v4, s10
	v_perm_b32 v7, v3, v2, s10
	v_lshlrev_b32_e32 v9, 3, v0
	buffer_store_dwordx2 v[6:7], v9, s[20:23], 0 offen
	;;#ASMSTART
	s_nop 0
	;;#ASMEND
.LBB308_11:
	s_or_b64 exec, exec, s[2:3]
	s_cbranch_execnz .LBB308_7
.LBB308_12:
	s_load_dwordx4 s[24:27], s[4:5], 0x70
	s_waitcnt vmcnt(0)
	v_mov_b32_e32 v6, 0
	s_and_saveexec_b64 s[2:3], s[0:1]
	s_cbranch_execz .LBB308_14
; %bb.13:
	s_load_dwordx2 s[10:11], s[4:5], 0x10
	s_waitcnt lgkmcnt(0)
	s_mul_hi_i32 s21, s27, s6
	s_mul_i32 s20, s27, s6
	s_lshl_b64 s[20:21], s[20:21], 1
	s_mov_b32 s23, 0x20000
	s_add_u32 s20, s10, s20
	s_addc_u32 s10, s11, s21
	s_and_b32 s21, s10, 0xffff
	s_mov_b32 s10, 0x7060302
	v_perm_b32 v6, v5, v4, s10
	v_perm_b32 v7, v3, v2, s10
	v_lshlrev_b32_e32 v9, 3, v0
	buffer_store_dwordx2 v[6:7], v9, s[20:23], 0 offen
	v_mov_b32_e32 v6, 0x2edbe6ff
	;;#ASMSTART
	s_nop 0
	;;#ASMEND
.LBB308_14:
	s_or_b64 exec, exec, s[2:3]
	s_and_saveexec_b64 s[2:3], s[0:1]
	s_cbranch_execz .LBB308_16
; %bb.15:
	v_and_b32_e32 v7, 0x7fffffff, v4
	s_waitcnt lgkmcnt(0)
	v_and_b32_e32 v9, 0x7fffffff, v5
	;;#ASMSTART
	v_max3_f32 v6, v6, v7, v9

	;;#ASMEND
	v_and_b32_e32 v7, 0x7fffffff, v2
	v_and_b32_e32 v9, 0x7fffffff, v3
	;;#ASMSTART
	v_max3_f32 v6, v6, v7, v9

	;;#ASMEND
.LBB308_16:
	s_or_b64 exec, exec, s[2:3]
	;;#ASMSTART
	v_max_f32 v7, v6, v6 quad_perm:[1,0,3,2] row_mask:0xf bank_mask:0xf bound_ctrl:1
	;;#ASMEND
	;;#ASMSTART
	v_max_f32 v6, v7, v7 quad_perm:[2,3,0,1] row_mask:0xf bank_mask:0xf bound_ctrl:1
	;;#ASMEND
	;;#ASMSTART
	v_max_f32 v7, v6, v6 row_half_mirror row_mask:0xf bank_mask:0xf bound_ctrl:1
	;;#ASMEND
	v_mul_f32_e32 v6, 0x3b124925, v7
	v_and_b32_e32 v7, 7, v0
	v_cmp_eq_u32_e32 vcc, 0, v7
	v_cmp_gt_i32_e64 s[2:3], s15, v1
	s_and_b64 s[10:11], vcc, s[2:3]
	s_and_saveexec_b64 s[2:3], s[10:11]
	s_cbranch_execz .LBB308_18
; %bb.17:
	s_load_dwordx2 s[10:11], s[4:5], 0x8
	s_waitcnt lgkmcnt(0)
	s_mul_hi_i32 s21, s25, s6
	s_mul_i32 s20, s25, s6
	v_lshrrev_b32_e32 v7, 3, v0
	s_lshl_b64 s[20:21], s[20:21], 2
	v_mad_i64_i32 v[10:11], s[22:23], s26, v7, 0
	s_add_u32 s10, s10, s20
	s_addc_u32 s11, s11, s21
	v_lshlrev_b64 v[10:11], 2, v[10:11]
	v_mov_b32_e32 v7, s11
	v_add_co_u32_e32 v10, vcc, s10, v10
	v_addc_co_u32_e32 v11, vcc, v7, v11, vcc
	global_store_dword v[10:11], v6, off
.LBB308_18:
	s_or_b64 exec, exec, s[2:3]
	;;#ASMSTART
	v_rcp_f32 v6, v6
	;;#ASMEND
	s_and_saveexec_b64 s[2:3], s[0:1]
	s_cbranch_execz .LBB308_20
; %bb.19:
	s_load_dwordx2 s[0:1], s[4:5], 0x0
	s_waitcnt lgkmcnt(0)
	s_mul_i32 s11, s24, s6
	s_mul_hi_i32 s10, s24, s6
	v_mov_b32_e32 v7, v6
	;;#ASMSTART
	v_pk_mul_f32 v[4:5], v[4:5], v[6:7]
	;;#ASMEND
	s_add_u32 s20, s0, s11
	s_addc_u32 s0, s1, s10
	s_add_i32 s1, s15, 3
	s_ashr_i32 s10, s1, 31
	s_and_b32 s21, s0, 0xffff
	s_lshr_b32 s0, s10, 30
	v_mov_b32_e32 v9, 0xc3e00000
	v_mov_b32_e32 v10, 0x43e00000
	;;#ASMSTART
	v_med3_f32 v4, v4, v9, v10
v_med3_f32 v5, v5, v9, v10
v_cvt_pk_fp8_f32 v11, v4, v5
	;;#ASMEND
	;;#ASMSTART
	v_pk_mul_f32 v[2:3], v[2:3], v[6:7]
	;;#ASMEND
	s_add_i32 s1, s1, s0
	;;#ASMSTART
	v_med3_f32 v2, v2, v9, v10
v_med3_f32 v3, v3, v9, v10
v_cvt_pk_fp8_f32 v4, v2, v3
	;;#ASMEND
	s_mov_b32 s0, 0x5040100
	s_and_b32 s22, s1, -4
	s_mov_b32 s23, 0x20000
	v_perm_b32 v2, v4, v11, s0
	buffer_store_dword v2, v1, s[20:23], 0 offen
	;;#ASMSTART
	s_nop 0
	;;#ASMEND
.LBB308_20:
	s_or_b64 exec, exec, s[2:3]
	s_cmp_lt_i32 s16, 1
	s_cbranch_scc1 .LBB308_8
.LBB308_21:
	s_load_dword s0, s[4:5], 0x94
	s_waitcnt lgkmcnt(0)
	s_cmp_lg_u32 s0, 1
	s_cbranch_scc1 .LBB308_8
; %bb.22:
	s_lshl_b32 s0, s16, 1
	s_add_i32 s0, s0, 2
	v_cmp_gt_u32_e32 vcc, s16, v1
	s_and_b32 s10, s0, -4
	v_mov_b32_e32 v2, 0
	s_waitcnt vmcnt(0)
	v_lshlrev_b32_e32 v6, 3, v0
	v_mov_b32_e32 v3, 0
	v_mov_b32_e32 v0, 0
	;; [unrolled: 1-line block ×3, first 2 shown]
	s_barrier
	s_and_saveexec_b64 s[0:1], vcc
	s_cbranch_execz .LBB308_24
; %bb.23:
	s_mul_hi_i32 s3, s18, s6
	s_mul_i32 s2, s18, s6
	s_and_b32 s9, s9, 0xffff
	s_lshl_b64 s[2:3], s[2:3], 1
	s_add_u32 s20, s30, s2
	s_mov_b32 s11, 0x20000
	s_addc_u32 s2, s31, s3
	s_and_b32 s21, s2, 0xffff
	s_mov_b32 s22, s10
	s_mov_b32 s23, s11
	buffer_load_dwordx2 v[2:3], v6, s[20:23], 0 offen glc slc
	buffer_load_dwordx2 v[0:1], v6, s[8:11], 0 offen
.LBB308_24:
	s_or_b64 exec, exec, s[0:1]
	s_waitcnt vmcnt(1)
	v_cvt_f32_u32_sdwa v5, v3 dst_sel:DWORD dst_unused:UNUSED_PAD src0_sel:WORD_0
	v_cvt_f32_u32_sdwa v7, v2 dst_sel:DWORD dst_unused:UNUSED_PAD src0_sel:WORD_1
	v_cvt_f32_u32_sdwa v4, v3 dst_sel:DWORD dst_unused:UNUSED_PAD src0_sel:WORD_1
	v_cvt_f32_u32_sdwa v9, v2 dst_sel:DWORD dst_unused:UNUSED_PAD src0_sel:WORD_0
	v_cndmask_b32_e32 v2, 0, v5, vcc
	v_cndmask_b32_e32 v5, 0, v7, vcc
	;; [unrolled: 1-line block ×4, first 2 shown]
	v_mul_f32_e32 v7, v5, v5
	v_fmac_f32_e32 v7, v4, v4
	v_fmac_f32_e32 v7, v2, v2
	;; [unrolled: 1-line block ×3, first 2 shown]
	s_nop 1
	v_mov_b32_dpp v9, v7 quad_perm:[1,0,3,2] row_mask:0xf bank_mask:0xf
	v_add_f32_e32 v7, v7, v9
	s_nop 1
	v_mov_b32_dpp v9, v7 quad_perm:[2,3,0,1] row_mask:0xf bank_mask:0xf
	v_add_f32_e32 v7, v7, v9
	s_nop 1
	v_mov_b32_dpp v9, v7 row_half_mirror row_mask:0xf bank_mask:0xf
	v_add_f32_e32 v7, v7, v9
	s_nop 1
	v_mov_b32_dpp v9, v7 row_mirror row_mask:0xf bank_mask:0xf
	v_add_f32_e32 v7, v7, v9
	s_nop 1
	v_mov_b32_dpp v9, v7 row_bcast:15 row_mask:0xf bank_mask:0xf
	v_add_f32_e32 v7, v7, v9
	s_nop 1
	v_mov_b32_dpp v9, v7 row_bcast:31 row_mask:0xf bank_mask:0xf
	v_add_f32_e32 v7, v7, v9
	ds_bpermute_b32 v7, v8, v7
	s_and_saveexec_b64 s[0:1], vcc
	s_cbranch_execz .LBB308_8
; %bb.25:
	v_cvt_f32_u32_e32 v8, s16
	s_mov_b32 s11, 0x20000
	s_waitcnt lgkmcnt(0)
	v_div_scale_f32 v9, s[0:1], v8, v8, v7
	v_rcp_f32_e32 v10, v9
	v_div_scale_f32 v11, vcc, v7, v8, v7
	s_mov_b32 s0, 0x800000
	v_fma_f32 v12, -v9, v10, 1.0
	v_fmac_f32_e32 v10, v12, v10
	v_mul_f32_e32 v12, v11, v10
	v_fma_f32 v13, -v9, v12, v11
	v_fmac_f32_e32 v12, v13, v10
	v_fma_f32 v9, -v9, v12, v11
	v_div_fmas_f32 v9, v9, v10, v12
	v_div_fixup_f32 v7, v9, v8, v7
	v_add_f32_e32 v7, s13, v7
	v_mul_f32_e32 v8, 0x4b800000, v7
	v_cmp_gt_f32_e32 vcc, s0, v7
	v_cndmask_b32_e32 v7, v7, v8, vcc
	v_rsq_f32_e32 v7, v7
	s_mul_hi_i32 s1, s7, s6
	s_mul_i32 s0, s7, s6
	s_waitcnt vmcnt(0)
	v_cvt_f32_u32_sdwa v9, v0 dst_sel:DWORD dst_unused:UNUSED_PAD src0_sel:WORD_1
	v_cvt_f32_u32_sdwa v8, v0 dst_sel:DWORD dst_unused:UNUSED_PAD src0_sel:WORD_0
	v_mul_f32_e32 v0, 0x45800000, v7
	s_lshl_b64 s[0:1], s[0:1], 1
	v_cndmask_b32_e32 v12, v7, v0, vcc
	s_add_u32 s8, s28, s0
	v_cvt_f32_u32_sdwa v11, v1 dst_sel:DWORD dst_unused:UNUSED_PAD src0_sel:WORD_1
	v_mov_b32_e32 v13, v12
	v_cvt_f32_u32_sdwa v10, v1 dst_sel:DWORD dst_unused:UNUSED_PAD src0_sel:WORD_0
	;;#ASMSTART
	v_pk_mul_f32 v[0:1], v[4:5], v[12:13]
	;;#ASMEND
	s_addc_u32 s0, s29, s1
	;;#ASMSTART
	v_pk_mul_f32 v[2:3], v[2:3], v[12:13]
	;;#ASMEND
	;;#ASMSTART
	v_pk_mul_f32 v[0:1], v[0:1], v[8:9]
	;;#ASMEND
	s_and_b32 s9, s0, 0xffff
	s_mov_b32 s0, 0x7060302
	;;#ASMSTART
	v_pk_mul_f32 v[2:3], v[2:3], v[10:11]
	;;#ASMEND
	v_perm_b32 v0, v1, v0, s0
	v_perm_b32 v1, v3, v2, s0
	buffer_store_dwordx2 v[0:1], v6, s[8:11], 0 offen
	;;#ASMSTART
	s_nop 0
	;;#ASMEND
	s_endpgm
	.section	.rodata,"a",@progbits
	.p2align	6, 0x0
	.amdhsa_kernel _ZN5aiter35fused_qk_rmsnorm_group_quant_kernelItDB8_Li64ELi4ELi8ELb0ELb1ELb0ELb0ELb0ELb0EEEvPT0_PvPT_S6_S6_PKS5_S8_S8_S8_S8_ffiiiiiiiiiiiii
		.amdhsa_group_segment_fixed_size 0
		.amdhsa_private_segment_fixed_size 0
		.amdhsa_kernarg_size 400
		.amdhsa_user_sgpr_count 6
		.amdhsa_user_sgpr_private_segment_buffer 1
		.amdhsa_user_sgpr_dispatch_ptr 0
		.amdhsa_user_sgpr_queue_ptr 0
		.amdhsa_user_sgpr_kernarg_segment_ptr 1
		.amdhsa_user_sgpr_dispatch_id 0
		.amdhsa_user_sgpr_flat_scratch_init 0
		.amdhsa_user_sgpr_kernarg_preload_length 0
		.amdhsa_user_sgpr_kernarg_preload_offset 0
		.amdhsa_user_sgpr_private_segment_size 0
		.amdhsa_uses_dynamic_stack 0
		.amdhsa_system_sgpr_private_segment_wavefront_offset 0
		.amdhsa_system_sgpr_workgroup_id_x 1
		.amdhsa_system_sgpr_workgroup_id_y 1
		.amdhsa_system_sgpr_workgroup_id_z 0
		.amdhsa_system_sgpr_workgroup_info 0
		.amdhsa_system_vgpr_workitem_id 0
		.amdhsa_next_free_vgpr 17
		.amdhsa_next_free_sgpr 32
		.amdhsa_accum_offset 20
		.amdhsa_reserve_vcc 1
		.amdhsa_reserve_flat_scratch 0
		.amdhsa_float_round_mode_32 0
		.amdhsa_float_round_mode_16_64 0
		.amdhsa_float_denorm_mode_32 3
		.amdhsa_float_denorm_mode_16_64 3
		.amdhsa_dx10_clamp 1
		.amdhsa_ieee_mode 1
		.amdhsa_fp16_overflow 0
		.amdhsa_tg_split 0
		.amdhsa_exception_fp_ieee_invalid_op 0
		.amdhsa_exception_fp_denorm_src 0
		.amdhsa_exception_fp_ieee_div_zero 0
		.amdhsa_exception_fp_ieee_overflow 0
		.amdhsa_exception_fp_ieee_underflow 0
		.amdhsa_exception_fp_ieee_inexact 0
		.amdhsa_exception_int_div_zero 0
	.end_amdhsa_kernel
	.section	.text._ZN5aiter35fused_qk_rmsnorm_group_quant_kernelItDB8_Li64ELi4ELi8ELb0ELb1ELb0ELb0ELb0ELb0EEEvPT0_PvPT_S6_S6_PKS5_S8_S8_S8_S8_ffiiiiiiiiiiiii,"axG",@progbits,_ZN5aiter35fused_qk_rmsnorm_group_quant_kernelItDB8_Li64ELi4ELi8ELb0ELb1ELb0ELb0ELb0ELb0EEEvPT0_PvPT_S6_S6_PKS5_S8_S8_S8_S8_ffiiiiiiiiiiiii,comdat
.Lfunc_end308:
	.size	_ZN5aiter35fused_qk_rmsnorm_group_quant_kernelItDB8_Li64ELi4ELi8ELb0ELb1ELb0ELb0ELb0ELb0EEEvPT0_PvPT_S6_S6_PKS5_S8_S8_S8_S8_ffiiiiiiiiiiiii, .Lfunc_end308-_ZN5aiter35fused_qk_rmsnorm_group_quant_kernelItDB8_Li64ELi4ELi8ELb0ELb1ELb0ELb0ELb0ELb0EEEvPT0_PvPT_S6_S6_PKS5_S8_S8_S8_S8_ffiiiiiiiiiiiii
                                        ; -- End function
	.section	.AMDGPU.csdata,"",@progbits
; Kernel info:
; codeLenInByte = 1972
; NumSgprs: 36
; NumVgprs: 17
; NumAgprs: 0
; TotalNumVgprs: 17
; ScratchSize: 0
; MemoryBound: 0
; FloatMode: 240
; IeeeMode: 1
; LDSByteSize: 0 bytes/workgroup (compile time only)
; SGPRBlocks: 4
; VGPRBlocks: 2
; NumSGPRsForWavesPerEU: 36
; NumVGPRsForWavesPerEU: 17
; AccumOffset: 20
; Occupancy: 8
; WaveLimiterHint : 0
; COMPUTE_PGM_RSRC2:SCRATCH_EN: 0
; COMPUTE_PGM_RSRC2:USER_SGPR: 6
; COMPUTE_PGM_RSRC2:TRAP_HANDLER: 0
; COMPUTE_PGM_RSRC2:TGID_X_EN: 1
; COMPUTE_PGM_RSRC2:TGID_Y_EN: 1
; COMPUTE_PGM_RSRC2:TGID_Z_EN: 0
; COMPUTE_PGM_RSRC2:TIDIG_COMP_CNT: 0
; COMPUTE_PGM_RSRC3_GFX90A:ACCUM_OFFSET: 4
; COMPUTE_PGM_RSRC3_GFX90A:TG_SPLIT: 0
	.section	.text._ZN5aiter35fused_qk_rmsnorm_group_quant_kernelIDF16_DB8_Li64ELi4ELi8ELb0ELb0ELb1ELb0ELb0ELb0EEEvPT0_PvPT_S6_S6_PKS5_S8_S8_S8_S8_ffiiiiiiiiiiiii,"axG",@progbits,_ZN5aiter35fused_qk_rmsnorm_group_quant_kernelIDF16_DB8_Li64ELi4ELi8ELb0ELb0ELb1ELb0ELb0ELb0EEEvPT0_PvPT_S6_S6_PKS5_S8_S8_S8_S8_ffiiiiiiiiiiiii,comdat
	.protected	_ZN5aiter35fused_qk_rmsnorm_group_quant_kernelIDF16_DB8_Li64ELi4ELi8ELb0ELb0ELb1ELb0ELb0ELb0EEEvPT0_PvPT_S6_S6_PKS5_S8_S8_S8_S8_ffiiiiiiiiiiiii ; -- Begin function _ZN5aiter35fused_qk_rmsnorm_group_quant_kernelIDF16_DB8_Li64ELi4ELi8ELb0ELb0ELb1ELb0ELb0ELb0EEEvPT0_PvPT_S6_S6_PKS5_S8_S8_S8_S8_ffiiiiiiiiiiiii
	.globl	_ZN5aiter35fused_qk_rmsnorm_group_quant_kernelIDF16_DB8_Li64ELi4ELi8ELb0ELb0ELb1ELb0ELb0ELb0EEEvPT0_PvPT_S6_S6_PKS5_S8_S8_S8_S8_ffiiiiiiiiiiiii
	.p2align	8
	.type	_ZN5aiter35fused_qk_rmsnorm_group_quant_kernelIDF16_DB8_Li64ELi4ELi8ELb0ELb0ELb1ELb0ELb0ELb0EEEvPT0_PvPT_S6_S6_PKS5_S8_S8_S8_S8_ffiiiiiiiiiiiii,@function
_ZN5aiter35fused_qk_rmsnorm_group_quant_kernelIDF16_DB8_Li64ELi4ELi8ELb0ELb0ELb1ELb0ELb0ELb0EEEvPT0_PvPT_S6_S6_PKS5_S8_S8_S8_S8_ffiiiiiiiiiiiii: ; @_ZN5aiter35fused_qk_rmsnorm_group_quant_kernelIDF16_DB8_Li64ELi4ELi8ELb0ELb0ELb1ELb0ELb0ELb0EEEvPT0_PvPT_S6_S6_PKS5_S8_S8_S8_S8_ffiiiiiiiiiiiii
; %bb.0:
	s_load_dwordx4 s[12:15], s[4:5], 0x50
	s_waitcnt lgkmcnt(0)
	s_cmp_ge_i32 s6, s14
	s_cbranch_scc1 .LBB309_8
; %bb.1:
	s_load_dwordx2 s[8:9], s[4:5], 0x48
	s_load_dwordx2 s[26:27], s[4:5], 0x30
	s_load_dwordx4 s[16:19], s[4:5], 0x60
	s_cmp_lg_u32 s7, 0
	s_cselect_b64 s[2:3], -1, 0
	s_cmp_eq_u32 s7, 0
	s_cselect_b64 vcc, -1, 0
	s_and_b64 s[0:1], vcc, exec
	s_waitcnt lgkmcnt(0)
	s_cselect_b32 s7, s15, s16
	s_add_i32 s0, s7, 1
	s_lshr_b32 s1, s0, 31
	s_add_i32 s0, s0, s1
	s_lshl_b32 s0, s0, 1
	v_lshlrev_b32_e32 v1, 2, v0
	s_and_b32 s22, s0, -4
	v_cmp_gt_i32_e64 s[0:1], s7, v1
	v_mov_b32_e32 v6, 0
	v_mov_b32_e32 v7, 0
	v_mov_b32_e32 v2, 0
	v_mov_b32_e32 v3, 0
	s_and_saveexec_b64 s[10:11], s[0:1]
	s_cbranch_execz .LBB309_3
; %bb.2:
	s_load_dwordx2 s[20:21], s[4:5], 0x28
	s_load_dwordx2 s[24:25], s[4:5], 0x40
	s_and_b64 s[28:29], vcc, exec
	s_cselect_b32 s14, s17, s18
	s_mov_b32 s23, 0x20000
	s_waitcnt lgkmcnt(0)
	s_cselect_b32 s17, s21, s27
	s_cselect_b32 s19, s20, s26
	s_mul_hi_i32 s21, s14, s6
	s_mul_i32 s20, s14, s6
	s_lshl_b64 s[20:21], s[20:21], 1
	s_add_u32 s28, s19, s20
	s_addc_u32 s14, s17, s21
	s_and_b64 s[20:21], vcc, exec
	s_cselect_b32 s20, s24, s8
	s_cselect_b32 s17, s25, s9
	v_lshlrev_b32_e32 v4, 3, v0
	s_and_b32 s29, s14, 0xffff
	s_mov_b32 s30, s22
	s_mov_b32 s31, s23
	s_and_b32 s21, s17, 0xffff
	buffer_load_dwordx2 v[2:3], v4, s[28:31], 0 offen glc slc
	buffer_load_dwordx2 v[6:7], v4, s[20:23], 0 offen
.LBB309_3:
	s_or_b64 exec, exec, s[10:11]
	s_waitcnt vmcnt(1)
	v_cvt_f32_f16_e32 v4, v3
	v_cvt_f32_f16_e32 v5, v2
	v_cvt_f32_f16_sdwa v8, v2 dst_sel:DWORD dst_unused:UNUSED_PAD src0_sel:WORD_1
	v_cvt_f32_f16_sdwa v3, v3 dst_sel:DWORD dst_unused:UNUSED_PAD src0_sel:WORD_1
	v_cndmask_b32_e64 v2, 0, v4, s[0:1]
	v_cndmask_b32_e64 v4, 0, v5, s[0:1]
	;; [unrolled: 1-line block ×3, first 2 shown]
	v_mul_f32_e32 v8, v5, v5
	v_fmac_f32_e32 v8, v4, v4
	v_cndmask_b32_e64 v3, 0, v3, s[0:1]
	v_fmac_f32_e32 v8, v2, v2
	v_fmac_f32_e32 v8, v3, v3
	v_bfrev_b32_e32 v10, 0.5
	s_load_dwordx2 s[24:25], s[4:5], 0x18
	v_mov_b32_dpp v9, v8 quad_perm:[1,0,3,2] row_mask:0xf bank_mask:0xf
	v_add_f32_e32 v8, v8, v9
	s_nop 1
	v_mov_b32_dpp v9, v8 quad_perm:[2,3,0,1] row_mask:0xf bank_mask:0xf
	v_add_f32_e32 v8, v8, v9
	s_nop 1
	v_mov_b32_dpp v9, v8 row_half_mirror row_mask:0xf bank_mask:0xf
	v_add_f32_e32 v8, v8, v9
	s_nop 1
	v_mov_b32_dpp v9, v8 row_mirror row_mask:0xf bank_mask:0xf
	v_add_f32_e32 v8, v8, v9
	s_nop 1
	v_mov_b32_dpp v9, v8 row_bcast:15 row_mask:0xf bank_mask:0xf
	v_add_f32_e32 v8, v8, v9
	s_nop 1
	v_mov_b32_dpp v9, v8 row_bcast:31 row_mask:0xf bank_mask:0xf
	v_add_f32_e32 v9, v8, v9
	v_mbcnt_lo_u32_b32 v8, -1, 0
	v_mbcnt_hi_u32_b32 v8, -1, v8
	v_lshl_or_b32 v8, v8, 2, v10
	ds_bpermute_b32 v9, v8, v9
	s_and_saveexec_b64 s[10:11], s[0:1]
	s_cbranch_execz .LBB309_5
; %bb.4:
	v_cvt_f32_u32_e32 v10, s7
	v_mov_b32_e32 v11, s13
	v_mov_b32_e32 v12, s12
	v_cndmask_b32_e32 v11, v11, v12, vcc
	s_waitcnt lgkmcnt(0)
	v_div_scale_f32 v13, s[20:21], v10, v10, v9
	v_rcp_f32_e32 v14, v13
	v_div_scale_f32 v12, vcc, v9, v10, v9
	s_mov_b32 s7, 0x800000
	v_fma_f32 v15, -v13, v14, 1.0
	v_fmac_f32_e32 v14, v15, v14
	v_mul_f32_e32 v15, v12, v14
	v_fma_f32 v16, -v13, v15, v12
	v_fmac_f32_e32 v15, v16, v14
	v_fma_f32 v12, -v13, v15, v12
	v_div_fmas_f32 v12, v12, v14, v15
	v_div_fixup_f32 v9, v12, v10, v9
	v_add_f32_e32 v9, v11, v9
	v_mul_f32_e32 v10, 0x4b800000, v9
	v_cmp_gt_f32_e32 vcc, s7, v9
	v_cndmask_b32_e32 v9, v9, v10, vcc
	v_rsq_f32_e32 v9, v9
	s_waitcnt vmcnt(0)
	v_cvt_f32_f16_sdwa v13, v6 dst_sel:DWORD dst_unused:UNUSED_PAD src0_sel:WORD_1
	v_cvt_f32_f16_e32 v12, v6
	v_cvt_f32_f16_sdwa v15, v7 dst_sel:DWORD dst_unused:UNUSED_PAD src0_sel:WORD_1
	v_cvt_f32_f16_e32 v14, v7
	v_mul_f32_e32 v10, 0x45800000, v9
	v_cndmask_b32_e32 v10, v9, v10, vcc
	v_mov_b32_e32 v11, v10
	;;#ASMSTART
	v_pk_mul_f32 v[4:5], v[4:5], v[10:11]
	;;#ASMEND
	;;#ASMSTART
	v_pk_mul_f32 v[2:3], v[2:3], v[10:11]
	;;#ASMEND
	v_pk_add_f32 v[6:7], v[12:13], 1.0 op_sel_hi:[1,0]
	;;#ASMSTART
	v_pk_mul_f32 v[4:5], v[4:5], v[6:7]
	;;#ASMEND
	v_pk_add_f32 v[6:7], v[14:15], 1.0 op_sel_hi:[1,0]
	;;#ASMSTART
	v_pk_mul_f32 v[2:3], v[2:3], v[6:7]
	;;#ASMEND
.LBB309_5:
	s_or_b64 exec, exec, s[10:11]
	s_load_dword s7, s[4:5], 0x80
	s_mov_b64 s[10:11], -1
	s_and_b64 vcc, exec, s[2:3]
	s_cbranch_vccnz .LBB309_9
; %bb.6:
	s_andn2_b64 vcc, exec, s[10:11]
	s_cbranch_vccz .LBB309_12
.LBB309_7:
	s_cmp_lt_i32 s16, 1
	s_cbranch_scc0 .LBB309_19
.LBB309_8:
	s_endpgm
.LBB309_9:
	s_and_saveexec_b64 s[2:3], s[0:1]
	s_cbranch_execz .LBB309_11
; %bb.10:
	s_waitcnt lgkmcnt(0)
	s_mul_hi_i32 s11, s7, s6
	s_mul_i32 s10, s7, s6
	s_waitcnt vmcnt(0)
	v_cvt_f16_f32_e32 v6, v4
	v_cvt_f16_f32_e32 v7, v2
	;; [unrolled: 1-line block ×4, first 2 shown]
	s_lshl_b64 s[10:11], s[10:11], 1
	s_add_u32 s20, s24, s10
	s_addc_u32 s10, s25, s11
	s_and_b32 s21, s10, 0xffff
	s_mov_b32 s23, 0x20000
	v_pack_b32_f16 v7, v7, v9
	v_pack_b32_f16 v6, v6, v10
	v_lshlrev_b32_e32 v9, 3, v0
	buffer_store_dwordx2 v[6:7], v9, s[20:23], 0 offen
	;;#ASMSTART
	s_nop 0
	;;#ASMEND
.LBB309_11:
	s_or_b64 exec, exec, s[2:3]
	s_cbranch_execnz .LBB309_7
.LBB309_12:
	s_waitcnt vmcnt(0)
	v_mov_b32_e32 v6, 0
	s_and_saveexec_b64 s[2:3], s[0:1]
	s_cbranch_execz .LBB309_14
; %bb.13:
	v_and_b32_e32 v6, 0x7fffffff, v4
	v_and_b32_e32 v7, 0x7fffffff, v5
	s_waitcnt lgkmcnt(0)
	v_mov_b32_e32 v9, 0x2edbe6ff
	;;#ASMSTART
	v_max3_f32 v6, v9, v6, v7

	;;#ASMEND
	v_and_b32_e32 v7, 0x7fffffff, v2
	v_and_b32_e32 v9, 0x7fffffff, v3
	;;#ASMSTART
	v_max3_f32 v6, v6, v7, v9

	;;#ASMEND
.LBB309_14:
	s_or_b64 exec, exec, s[2:3]
	s_load_dwordx4 s[20:23], s[4:5], 0x70
	;;#ASMSTART
	v_max_f32 v7, v6, v6 quad_perm:[1,0,3,2] row_mask:0xf bank_mask:0xf bound_ctrl:1
	;;#ASMEND
	;;#ASMSTART
	v_max_f32 v6, v7, v7 quad_perm:[2,3,0,1] row_mask:0xf bank_mask:0xf bound_ctrl:1
	;;#ASMEND
	;;#ASMSTART
	v_max_f32 v7, v6, v6 row_half_mirror row_mask:0xf bank_mask:0xf bound_ctrl:1
	;;#ASMEND
	v_mul_f32_e32 v6, 0x3b124925, v7
	v_and_b32_e32 v7, 7, v0
	v_cmp_eq_u32_e32 vcc, 0, v7
	v_cmp_gt_i32_e64 s[2:3], s15, v1
	s_and_b64 s[10:11], vcc, s[2:3]
	s_and_saveexec_b64 s[2:3], s[10:11]
	s_cbranch_execz .LBB309_16
; %bb.15:
	s_load_dwordx2 s[10:11], s[4:5], 0x8
	v_lshrrev_b32_e32 v7, 3, v0
	s_waitcnt lgkmcnt(0)
	s_mul_hi_i32 s29, s21, s6
	s_mul_i32 s28, s21, s6
	v_mad_i64_i32 v[10:11], s[22:23], s22, v7, 0
	s_lshl_b64 s[22:23], s[28:29], 2
	s_add_u32 s10, s10, s22
	s_addc_u32 s11, s11, s23
	v_lshlrev_b64 v[10:11], 2, v[10:11]
	v_mov_b32_e32 v7, s11
	v_add_co_u32_e32 v10, vcc, s10, v10
	v_addc_co_u32_e32 v11, vcc, v7, v11, vcc
	global_store_dword v[10:11], v6, off
.LBB309_16:
	s_or_b64 exec, exec, s[2:3]
	;;#ASMSTART
	v_rcp_f32 v6, v6
	;;#ASMEND
	s_and_saveexec_b64 s[2:3], s[0:1]
	s_cbranch_execz .LBB309_18
; %bb.17:
	s_load_dwordx2 s[0:1], s[4:5], 0x0
	s_waitcnt lgkmcnt(0)
	s_mul_i32 s11, s20, s6
	s_mul_hi_i32 s10, s20, s6
	v_mov_b32_e32 v7, v6
	;;#ASMSTART
	v_pk_mul_f32 v[4:5], v[4:5], v[6:7]
	;;#ASMEND
	s_add_u32 s20, s0, s11
	s_addc_u32 s0, s1, s10
	s_add_i32 s1, s15, 3
	s_ashr_i32 s10, s1, 31
	s_and_b32 s21, s0, 0xffff
	s_lshr_b32 s0, s10, 30
	v_mov_b32_e32 v9, 0xc3e00000
	v_mov_b32_e32 v10, 0x43e00000
	;;#ASMSTART
	v_med3_f32 v4, v4, v9, v10
v_med3_f32 v5, v5, v9, v10
v_cvt_pk_fp8_f32 v11, v4, v5
	;;#ASMEND
	;;#ASMSTART
	v_pk_mul_f32 v[2:3], v[2:3], v[6:7]
	;;#ASMEND
	s_add_i32 s1, s1, s0
	;;#ASMSTART
	v_med3_f32 v2, v2, v9, v10
v_med3_f32 v3, v3, v9, v10
v_cvt_pk_fp8_f32 v4, v2, v3
	;;#ASMEND
	s_mov_b32 s0, 0x5040100
	s_and_b32 s22, s1, -4
	s_mov_b32 s23, 0x20000
	v_perm_b32 v2, v4, v11, s0
	buffer_store_dword v2, v1, s[20:23], 0 offen
	;;#ASMSTART
	s_nop 0
	;;#ASMEND
.LBB309_18:
	s_or_b64 exec, exec, s[2:3]
	s_cmp_lt_i32 s16, 1
	s_cbranch_scc1 .LBB309_8
.LBB309_19:
	s_load_dword s0, s[4:5], 0x94
	s_waitcnt lgkmcnt(0)
	s_cmp_lg_u32 s0, 1
	s_cbranch_scc1 .LBB309_8
; %bb.20:
	s_lshl_b32 s0, s16, 1
	s_add_i32 s0, s0, 2
	v_cmp_gt_u32_e32 vcc, s16, v1
	s_and_b32 s10, s0, -4
	v_mov_b32_e32 v2, 0
	s_waitcnt vmcnt(0)
	v_lshlrev_b32_e32 v6, 3, v0
	v_mov_b32_e32 v3, 0
	v_mov_b32_e32 v0, 0
	;; [unrolled: 1-line block ×3, first 2 shown]
	s_barrier
	s_and_saveexec_b64 s[0:1], vcc
	s_cbranch_execz .LBB309_22
; %bb.21:
	s_mul_hi_i32 s3, s18, s6
	s_mul_i32 s2, s18, s6
	s_and_b32 s9, s9, 0xffff
	s_lshl_b64 s[2:3], s[2:3], 1
	s_add_u32 s20, s26, s2
	s_mov_b32 s11, 0x20000
	s_addc_u32 s2, s27, s3
	s_and_b32 s21, s2, 0xffff
	s_mov_b32 s22, s10
	s_mov_b32 s23, s11
	buffer_load_dwordx2 v[2:3], v6, s[20:23], 0 offen glc slc
	buffer_load_dwordx2 v[0:1], v6, s[8:11], 0 offen
.LBB309_22:
	s_or_b64 exec, exec, s[0:1]
	s_waitcnt vmcnt(1)
	v_cvt_f32_f16_e32 v4, v3
	v_cvt_f32_f16_e32 v5, v2
	v_cvt_f32_f16_sdwa v7, v2 dst_sel:DWORD dst_unused:UNUSED_PAD src0_sel:WORD_1
	v_cvt_f32_f16_sdwa v3, v3 dst_sel:DWORD dst_unused:UNUSED_PAD src0_sel:WORD_1
	v_cndmask_b32_e32 v2, 0, v4, vcc
	v_cndmask_b32_e32 v4, 0, v5, vcc
	;; [unrolled: 1-line block ×3, first 2 shown]
	v_mul_f32_e32 v7, v5, v5
	v_fmac_f32_e32 v7, v4, v4
	v_cndmask_b32_e32 v3, 0, v3, vcc
	v_fmac_f32_e32 v7, v2, v2
	v_fmac_f32_e32 v7, v3, v3
	s_nop 1
	v_mov_b32_dpp v9, v7 quad_perm:[1,0,3,2] row_mask:0xf bank_mask:0xf
	v_add_f32_e32 v7, v7, v9
	s_nop 1
	v_mov_b32_dpp v9, v7 quad_perm:[2,3,0,1] row_mask:0xf bank_mask:0xf
	v_add_f32_e32 v7, v7, v9
	s_nop 1
	v_mov_b32_dpp v9, v7 row_half_mirror row_mask:0xf bank_mask:0xf
	v_add_f32_e32 v7, v7, v9
	s_nop 1
	v_mov_b32_dpp v9, v7 row_mirror row_mask:0xf bank_mask:0xf
	v_add_f32_e32 v7, v7, v9
	s_nop 1
	v_mov_b32_dpp v9, v7 row_bcast:15 row_mask:0xf bank_mask:0xf
	v_add_f32_e32 v7, v7, v9
	s_nop 1
	v_mov_b32_dpp v9, v7 row_bcast:31 row_mask:0xf bank_mask:0xf
	v_add_f32_e32 v7, v7, v9
	ds_bpermute_b32 v7, v8, v7
	s_and_saveexec_b64 s[0:1], vcc
	s_cbranch_execz .LBB309_8
; %bb.23:
	v_cvt_f32_u32_e32 v8, s16
	s_mov_b32 s11, 0x20000
	s_waitcnt lgkmcnt(0)
	v_div_scale_f32 v9, s[0:1], v8, v8, v7
	v_rcp_f32_e32 v10, v9
	v_div_scale_f32 v11, vcc, v7, v8, v7
	s_mov_b32 s0, 0x800000
	v_fma_f32 v12, -v9, v10, 1.0
	v_fmac_f32_e32 v10, v12, v10
	v_mul_f32_e32 v12, v11, v10
	v_fma_f32 v13, -v9, v12, v11
	v_fmac_f32_e32 v12, v13, v10
	v_fma_f32 v9, -v9, v12, v11
	v_div_fmas_f32 v9, v9, v10, v12
	v_div_fixup_f32 v7, v9, v8, v7
	v_add_f32_e32 v7, s13, v7
	v_mul_f32_e32 v8, 0x4b800000, v7
	v_cmp_gt_f32_e32 vcc, s0, v7
	v_cndmask_b32_e32 v7, v7, v8, vcc
	v_rsq_f32_e32 v7, v7
	s_waitcnt vmcnt(0)
	v_cvt_f32_f16_sdwa v9, v0 dst_sel:DWORD dst_unused:UNUSED_PAD src0_sel:WORD_1
	v_cvt_f32_f16_e32 v8, v0
	v_cvt_f32_f16_sdwa v11, v1 dst_sel:DWORD dst_unused:UNUSED_PAD src0_sel:WORD_1
	v_cvt_f32_f16_e32 v10, v1
	v_mul_f32_e32 v0, 0x45800000, v7
	v_cndmask_b32_e32 v12, v7, v0, vcc
	v_mov_b32_e32 v13, v12
	;;#ASMSTART
	v_pk_mul_f32 v[4:5], v[4:5], v[12:13]
	;;#ASMEND
	;;#ASMSTART
	v_pk_mul_f32 v[0:1], v[2:3], v[12:13]
	;;#ASMEND
	v_pk_add_f32 v[2:3], v[8:9], 1.0 op_sel_hi:[1,0]
	;;#ASMSTART
	v_pk_mul_f32 v[2:3], v[4:5], v[2:3]
	;;#ASMEND
	v_pk_add_f32 v[4:5], v[10:11], 1.0 op_sel_hi:[1,0]
	;;#ASMSTART
	v_pk_mul_f32 v[0:1], v[0:1], v[4:5]
	;;#ASMEND
	s_mul_hi_i32 s1, s7, s6
	s_mul_i32 s0, s7, s6
	v_cvt_f16_f32_e32 v2, v2
	v_cvt_f16_f32_e32 v3, v3
	;; [unrolled: 1-line block ×4, first 2 shown]
	s_lshl_b64 s[0:1], s[0:1], 1
	s_add_u32 s8, s24, s0
	s_addc_u32 s0, s25, s1
	s_and_b32 s9, s0, 0xffff
	v_pack_b32_f16 v0, v2, v3
	v_pack_b32_f16 v1, v4, v1
	buffer_store_dwordx2 v[0:1], v6, s[8:11], 0 offen
	;;#ASMSTART
	s_nop 0
	;;#ASMEND
	s_endpgm
	.section	.rodata,"a",@progbits
	.p2align	6, 0x0
	.amdhsa_kernel _ZN5aiter35fused_qk_rmsnorm_group_quant_kernelIDF16_DB8_Li64ELi4ELi8ELb0ELb0ELb1ELb0ELb0ELb0EEEvPT0_PvPT_S6_S6_PKS5_S8_S8_S8_S8_ffiiiiiiiiiiiii
		.amdhsa_group_segment_fixed_size 0
		.amdhsa_private_segment_fixed_size 0
		.amdhsa_kernarg_size 400
		.amdhsa_user_sgpr_count 6
		.amdhsa_user_sgpr_private_segment_buffer 1
		.amdhsa_user_sgpr_dispatch_ptr 0
		.amdhsa_user_sgpr_queue_ptr 0
		.amdhsa_user_sgpr_kernarg_segment_ptr 1
		.amdhsa_user_sgpr_dispatch_id 0
		.amdhsa_user_sgpr_flat_scratch_init 0
		.amdhsa_user_sgpr_kernarg_preload_length 0
		.amdhsa_user_sgpr_kernarg_preload_offset 0
		.amdhsa_user_sgpr_private_segment_size 0
		.amdhsa_uses_dynamic_stack 0
		.amdhsa_system_sgpr_private_segment_wavefront_offset 0
		.amdhsa_system_sgpr_workgroup_id_x 1
		.amdhsa_system_sgpr_workgroup_id_y 1
		.amdhsa_system_sgpr_workgroup_id_z 0
		.amdhsa_system_sgpr_workgroup_info 0
		.amdhsa_system_vgpr_workitem_id 0
		.amdhsa_next_free_vgpr 17
		.amdhsa_next_free_sgpr 32
		.amdhsa_accum_offset 20
		.amdhsa_reserve_vcc 1
		.amdhsa_reserve_flat_scratch 0
		.amdhsa_float_round_mode_32 0
		.amdhsa_float_round_mode_16_64 0
		.amdhsa_float_denorm_mode_32 3
		.amdhsa_float_denorm_mode_16_64 3
		.amdhsa_dx10_clamp 1
		.amdhsa_ieee_mode 1
		.amdhsa_fp16_overflow 0
		.amdhsa_tg_split 0
		.amdhsa_exception_fp_ieee_invalid_op 0
		.amdhsa_exception_fp_denorm_src 0
		.amdhsa_exception_fp_ieee_div_zero 0
		.amdhsa_exception_fp_ieee_overflow 0
		.amdhsa_exception_fp_ieee_underflow 0
		.amdhsa_exception_fp_ieee_inexact 0
		.amdhsa_exception_int_div_zero 0
	.end_amdhsa_kernel
	.section	.text._ZN5aiter35fused_qk_rmsnorm_group_quant_kernelIDF16_DB8_Li64ELi4ELi8ELb0ELb0ELb1ELb0ELb0ELb0EEEvPT0_PvPT_S6_S6_PKS5_S8_S8_S8_S8_ffiiiiiiiiiiiii,"axG",@progbits,_ZN5aiter35fused_qk_rmsnorm_group_quant_kernelIDF16_DB8_Li64ELi4ELi8ELb0ELb0ELb1ELb0ELb0ELb0EEEvPT0_PvPT_S6_S6_PKS5_S8_S8_S8_S8_ffiiiiiiiiiiiii,comdat
.Lfunc_end309:
	.size	_ZN5aiter35fused_qk_rmsnorm_group_quant_kernelIDF16_DB8_Li64ELi4ELi8ELb0ELb0ELb1ELb0ELb0ELb0EEEvPT0_PvPT_S6_S6_PKS5_S8_S8_S8_S8_ffiiiiiiiiiiiii, .Lfunc_end309-_ZN5aiter35fused_qk_rmsnorm_group_quant_kernelIDF16_DB8_Li64ELi4ELi8ELb0ELb0ELb1ELb0ELb0ELb0EEEvPT0_PvPT_S6_S6_PKS5_S8_S8_S8_S8_ffiiiiiiiiiiiii
                                        ; -- End function
	.section	.AMDGPU.csdata,"",@progbits
; Kernel info:
; codeLenInByte = 1884
; NumSgprs: 36
; NumVgprs: 17
; NumAgprs: 0
; TotalNumVgprs: 17
; ScratchSize: 0
; MemoryBound: 0
; FloatMode: 240
; IeeeMode: 1
; LDSByteSize: 0 bytes/workgroup (compile time only)
; SGPRBlocks: 4
; VGPRBlocks: 2
; NumSGPRsForWavesPerEU: 36
; NumVGPRsForWavesPerEU: 17
; AccumOffset: 20
; Occupancy: 8
; WaveLimiterHint : 0
; COMPUTE_PGM_RSRC2:SCRATCH_EN: 0
; COMPUTE_PGM_RSRC2:USER_SGPR: 6
; COMPUTE_PGM_RSRC2:TRAP_HANDLER: 0
; COMPUTE_PGM_RSRC2:TGID_X_EN: 1
; COMPUTE_PGM_RSRC2:TGID_Y_EN: 1
; COMPUTE_PGM_RSRC2:TGID_Z_EN: 0
; COMPUTE_PGM_RSRC2:TIDIG_COMP_CNT: 0
; COMPUTE_PGM_RSRC3_GFX90A:ACCUM_OFFSET: 4
; COMPUTE_PGM_RSRC3_GFX90A:TG_SPLIT: 0
	.section	.text._ZN5aiter35fused_qk_rmsnorm_group_quant_kernelItDB8_Li64ELi4ELi8ELb0ELb0ELb1ELb0ELb0ELb0EEEvPT0_PvPT_S6_S6_PKS5_S8_S8_S8_S8_ffiiiiiiiiiiiii,"axG",@progbits,_ZN5aiter35fused_qk_rmsnorm_group_quant_kernelItDB8_Li64ELi4ELi8ELb0ELb0ELb1ELb0ELb0ELb0EEEvPT0_PvPT_S6_S6_PKS5_S8_S8_S8_S8_ffiiiiiiiiiiiii,comdat
	.protected	_ZN5aiter35fused_qk_rmsnorm_group_quant_kernelItDB8_Li64ELi4ELi8ELb0ELb0ELb1ELb0ELb0ELb0EEEvPT0_PvPT_S6_S6_PKS5_S8_S8_S8_S8_ffiiiiiiiiiiiii ; -- Begin function _ZN5aiter35fused_qk_rmsnorm_group_quant_kernelItDB8_Li64ELi4ELi8ELb0ELb0ELb1ELb0ELb0ELb0EEEvPT0_PvPT_S6_S6_PKS5_S8_S8_S8_S8_ffiiiiiiiiiiiii
	.globl	_ZN5aiter35fused_qk_rmsnorm_group_quant_kernelItDB8_Li64ELi4ELi8ELb0ELb0ELb1ELb0ELb0ELb0EEEvPT0_PvPT_S6_S6_PKS5_S8_S8_S8_S8_ffiiiiiiiiiiiii
	.p2align	8
	.type	_ZN5aiter35fused_qk_rmsnorm_group_quant_kernelItDB8_Li64ELi4ELi8ELb0ELb0ELb1ELb0ELb0ELb0EEEvPT0_PvPT_S6_S6_PKS5_S8_S8_S8_S8_ffiiiiiiiiiiiii,@function
_ZN5aiter35fused_qk_rmsnorm_group_quant_kernelItDB8_Li64ELi4ELi8ELb0ELb0ELb1ELb0ELb0ELb0EEEvPT0_PvPT_S6_S6_PKS5_S8_S8_S8_S8_ffiiiiiiiiiiiii: ; @_ZN5aiter35fused_qk_rmsnorm_group_quant_kernelItDB8_Li64ELi4ELi8ELb0ELb0ELb1ELb0ELb0ELb0EEEvPT0_PvPT_S6_S6_PKS5_S8_S8_S8_S8_ffiiiiiiiiiiiii
; %bb.0:
	s_load_dwordx4 s[12:15], s[4:5], 0x50
	s_waitcnt lgkmcnt(0)
	s_cmp_ge_i32 s6, s14
	s_cbranch_scc1 .LBB310_8
; %bb.1:
	s_load_dwordx2 s[8:9], s[4:5], 0x48
	s_load_dwordx2 s[26:27], s[4:5], 0x30
	s_load_dwordx4 s[16:19], s[4:5], 0x60
	s_cmp_lg_u32 s7, 0
	s_cselect_b64 s[2:3], -1, 0
	s_cmp_eq_u32 s7, 0
	s_cselect_b64 vcc, -1, 0
	s_and_b64 s[0:1], vcc, exec
	s_waitcnt lgkmcnt(0)
	s_cselect_b32 s7, s15, s16
	s_add_i32 s0, s7, 1
	s_lshr_b32 s1, s0, 31
	s_add_i32 s0, s0, s1
	s_lshl_b32 s0, s0, 1
	v_lshlrev_b32_e32 v1, 2, v0
	s_and_b32 s22, s0, -4
	v_cmp_gt_i32_e64 s[0:1], s7, v1
	v_mov_b32_e32 v6, 0
	v_mov_b32_e32 v7, 0
	;; [unrolled: 1-line block ×4, first 2 shown]
	s_and_saveexec_b64 s[10:11], s[0:1]
	s_cbranch_execz .LBB310_3
; %bb.2:
	s_load_dwordx2 s[20:21], s[4:5], 0x28
	s_load_dwordx2 s[24:25], s[4:5], 0x40
	s_and_b64 s[28:29], vcc, exec
	s_cselect_b32 s14, s17, s18
	s_mov_b32 s23, 0x20000
	s_waitcnt lgkmcnt(0)
	s_cselect_b32 s17, s21, s27
	s_cselect_b32 s19, s20, s26
	s_mul_hi_i32 s21, s14, s6
	s_mul_i32 s20, s14, s6
	s_lshl_b64 s[20:21], s[20:21], 1
	s_add_u32 s28, s19, s20
	s_addc_u32 s14, s17, s21
	s_and_b64 s[20:21], vcc, exec
	s_cselect_b32 s20, s24, s8
	s_cselect_b32 s17, s25, s9
	v_lshlrev_b32_e32 v4, 3, v0
	s_and_b32 s29, s14, 0xffff
	s_mov_b32 s30, s22
	s_mov_b32 s31, s23
	s_and_b32 s21, s17, 0xffff
	buffer_load_dwordx2 v[2:3], v4, s[28:31], 0 offen glc slc
	buffer_load_dwordx2 v[6:7], v4, s[20:23], 0 offen
.LBB310_3:
	s_or_b64 exec, exec, s[10:11]
	s_waitcnt vmcnt(1)
	v_cvt_f32_u32_sdwa v5, v3 dst_sel:DWORD dst_unused:UNUSED_PAD src0_sel:WORD_0
	v_cvt_f32_u32_sdwa v8, v2 dst_sel:DWORD dst_unused:UNUSED_PAD src0_sel:WORD_1
	v_cvt_f32_u32_sdwa v4, v3 dst_sel:DWORD dst_unused:UNUSED_PAD src0_sel:WORD_1
	v_cvt_f32_u32_sdwa v9, v2 dst_sel:DWORD dst_unused:UNUSED_PAD src0_sel:WORD_0
	v_cndmask_b32_e64 v2, 0, v5, s[0:1]
	v_cndmask_b32_e64 v5, 0, v8, s[0:1]
	;; [unrolled: 1-line block ×4, first 2 shown]
	v_mul_f32_e32 v8, v5, v5
	v_fmac_f32_e32 v8, v4, v4
	v_fmac_f32_e32 v8, v2, v2
	v_fmac_f32_e32 v8, v3, v3
	v_bfrev_b32_e32 v10, 0.5
	s_load_dwordx2 s[24:25], s[4:5], 0x18
	v_mov_b32_dpp v9, v8 quad_perm:[1,0,3,2] row_mask:0xf bank_mask:0xf
	v_add_f32_e32 v8, v8, v9
	s_nop 1
	v_mov_b32_dpp v9, v8 quad_perm:[2,3,0,1] row_mask:0xf bank_mask:0xf
	v_add_f32_e32 v8, v8, v9
	s_nop 1
	v_mov_b32_dpp v9, v8 row_half_mirror row_mask:0xf bank_mask:0xf
	v_add_f32_e32 v8, v8, v9
	s_nop 1
	v_mov_b32_dpp v9, v8 row_mirror row_mask:0xf bank_mask:0xf
	v_add_f32_e32 v8, v8, v9
	s_nop 1
	v_mov_b32_dpp v9, v8 row_bcast:15 row_mask:0xf bank_mask:0xf
	v_add_f32_e32 v8, v8, v9
	s_nop 1
	v_mov_b32_dpp v9, v8 row_bcast:31 row_mask:0xf bank_mask:0xf
	v_add_f32_e32 v9, v8, v9
	v_mbcnt_lo_u32_b32 v8, -1, 0
	v_mbcnt_hi_u32_b32 v8, -1, v8
	v_lshl_or_b32 v8, v8, 2, v10
	ds_bpermute_b32 v9, v8, v9
	s_and_saveexec_b64 s[10:11], s[0:1]
	s_cbranch_execz .LBB310_5
; %bb.4:
	v_cvt_f32_u32_e32 v10, s7
	v_mov_b32_e32 v11, s13
	v_mov_b32_e32 v12, s12
	v_cndmask_b32_e32 v11, v11, v12, vcc
	s_waitcnt lgkmcnt(0)
	v_div_scale_f32 v13, s[20:21], v10, v10, v9
	v_rcp_f32_e32 v14, v13
	v_div_scale_f32 v12, vcc, v9, v10, v9
	s_mov_b32 s7, 0x800000
	v_fma_f32 v15, -v13, v14, 1.0
	v_fmac_f32_e32 v14, v15, v14
	v_mul_f32_e32 v15, v12, v14
	v_fma_f32 v16, -v13, v15, v12
	v_fmac_f32_e32 v15, v16, v14
	v_fma_f32 v12, -v13, v15, v12
	v_div_fmas_f32 v12, v12, v14, v15
	v_div_fixup_f32 v9, v12, v10, v9
	v_add_f32_e32 v9, v11, v9
	v_mul_f32_e32 v10, 0x4b800000, v9
	v_cmp_gt_f32_e32 vcc, s7, v9
	v_cndmask_b32_e32 v9, v9, v10, vcc
	v_rsq_f32_e32 v9, v9
	s_waitcnt vmcnt(0)
	v_cvt_f32_u32_sdwa v13, v6 dst_sel:DWORD dst_unused:UNUSED_PAD src0_sel:WORD_1
	v_cvt_f32_u32_sdwa v12, v6 dst_sel:DWORD dst_unused:UNUSED_PAD src0_sel:WORD_0
	v_cvt_f32_u32_sdwa v15, v7 dst_sel:DWORD dst_unused:UNUSED_PAD src0_sel:WORD_1
	v_cvt_f32_u32_sdwa v14, v7 dst_sel:DWORD dst_unused:UNUSED_PAD src0_sel:WORD_0
	v_mul_f32_e32 v10, 0x45800000, v9
	v_cndmask_b32_e32 v10, v9, v10, vcc
	v_mov_b32_e32 v11, v10
	;;#ASMSTART
	v_pk_mul_f32 v[4:5], v[4:5], v[10:11]
	;;#ASMEND
	;;#ASMSTART
	v_pk_mul_f32 v[2:3], v[2:3], v[10:11]
	;;#ASMEND
	v_pk_add_f32 v[6:7], v[12:13], 1.0 op_sel_hi:[1,0]
	;;#ASMSTART
	v_pk_mul_f32 v[4:5], v[4:5], v[6:7]
	;;#ASMEND
	v_pk_add_f32 v[6:7], v[14:15], 1.0 op_sel_hi:[1,0]
	;;#ASMSTART
	v_pk_mul_f32 v[2:3], v[2:3], v[6:7]
	;;#ASMEND
.LBB310_5:
	s_or_b64 exec, exec, s[10:11]
	s_load_dword s7, s[4:5], 0x80
	s_mov_b64 s[10:11], -1
	s_and_b64 vcc, exec, s[2:3]
	s_cbranch_vccnz .LBB310_9
; %bb.6:
	s_andn2_b64 vcc, exec, s[10:11]
	s_cbranch_vccz .LBB310_12
.LBB310_7:
	s_cmp_lt_i32 s16, 1
	s_cbranch_scc0 .LBB310_19
.LBB310_8:
	s_endpgm
.LBB310_9:
	s_and_saveexec_b64 s[2:3], s[0:1]
	s_cbranch_execz .LBB310_11
; %bb.10:
	s_waitcnt lgkmcnt(0)
	s_mul_hi_i32 s11, s7, s6
	s_mul_i32 s10, s7, s6
	s_lshl_b64 s[10:11], s[10:11], 1
	s_add_u32 s20, s24, s10
	s_addc_u32 s10, s25, s11
	s_and_b32 s21, s10, 0xffff
	s_mov_b32 s10, 0x7060302
	s_mov_b32 s23, 0x20000
	s_waitcnt vmcnt(0)
	v_perm_b32 v6, v5, v4, s10
	v_perm_b32 v7, v3, v2, s10
	v_lshlrev_b32_e32 v9, 3, v0
	buffer_store_dwordx2 v[6:7], v9, s[20:23], 0 offen
	;;#ASMSTART
	s_nop 0
	;;#ASMEND
.LBB310_11:
	s_or_b64 exec, exec, s[2:3]
	s_cbranch_execnz .LBB310_7
.LBB310_12:
	s_waitcnt vmcnt(0)
	v_mov_b32_e32 v6, 0
	s_and_saveexec_b64 s[2:3], s[0:1]
	s_cbranch_execz .LBB310_14
; %bb.13:
	v_and_b32_e32 v6, 0x7fffffff, v4
	v_and_b32_e32 v7, 0x7fffffff, v5
	s_waitcnt lgkmcnt(0)
	v_mov_b32_e32 v9, 0x2edbe6ff
	;;#ASMSTART
	v_max3_f32 v6, v9, v6, v7

	;;#ASMEND
	v_and_b32_e32 v7, 0x7fffffff, v2
	v_and_b32_e32 v9, 0x7fffffff, v3
	;;#ASMSTART
	v_max3_f32 v6, v6, v7, v9

	;;#ASMEND
.LBB310_14:
	s_or_b64 exec, exec, s[2:3]
	s_load_dwordx4 s[20:23], s[4:5], 0x70
	;;#ASMSTART
	v_max_f32 v7, v6, v6 quad_perm:[1,0,3,2] row_mask:0xf bank_mask:0xf bound_ctrl:1
	;;#ASMEND
	;;#ASMSTART
	v_max_f32 v6, v7, v7 quad_perm:[2,3,0,1] row_mask:0xf bank_mask:0xf bound_ctrl:1
	;;#ASMEND
	;;#ASMSTART
	v_max_f32 v7, v6, v6 row_half_mirror row_mask:0xf bank_mask:0xf bound_ctrl:1
	;;#ASMEND
	v_mul_f32_e32 v6, 0x3b124925, v7
	v_and_b32_e32 v7, 7, v0
	v_cmp_eq_u32_e32 vcc, 0, v7
	v_cmp_gt_i32_e64 s[2:3], s15, v1
	s_and_b64 s[10:11], vcc, s[2:3]
	s_and_saveexec_b64 s[2:3], s[10:11]
	s_cbranch_execz .LBB310_16
; %bb.15:
	s_load_dwordx2 s[10:11], s[4:5], 0x8
	v_lshrrev_b32_e32 v7, 3, v0
	s_waitcnt lgkmcnt(0)
	s_mul_hi_i32 s29, s21, s6
	s_mul_i32 s28, s21, s6
	v_mad_i64_i32 v[10:11], s[22:23], s22, v7, 0
	s_lshl_b64 s[22:23], s[28:29], 2
	s_add_u32 s10, s10, s22
	s_addc_u32 s11, s11, s23
	v_lshlrev_b64 v[10:11], 2, v[10:11]
	v_mov_b32_e32 v7, s11
	v_add_co_u32_e32 v10, vcc, s10, v10
	v_addc_co_u32_e32 v11, vcc, v7, v11, vcc
	global_store_dword v[10:11], v6, off
.LBB310_16:
	s_or_b64 exec, exec, s[2:3]
	;;#ASMSTART
	v_rcp_f32 v6, v6
	;;#ASMEND
	s_and_saveexec_b64 s[2:3], s[0:1]
	s_cbranch_execz .LBB310_18
; %bb.17:
	s_load_dwordx2 s[0:1], s[4:5], 0x0
	s_waitcnt lgkmcnt(0)
	s_mul_i32 s11, s20, s6
	s_mul_hi_i32 s10, s20, s6
	v_mov_b32_e32 v7, v6
	;;#ASMSTART
	v_pk_mul_f32 v[4:5], v[4:5], v[6:7]
	;;#ASMEND
	s_add_u32 s20, s0, s11
	s_addc_u32 s0, s1, s10
	s_add_i32 s1, s15, 3
	s_ashr_i32 s10, s1, 31
	s_and_b32 s21, s0, 0xffff
	s_lshr_b32 s0, s10, 30
	v_mov_b32_e32 v9, 0xc3e00000
	v_mov_b32_e32 v10, 0x43e00000
	;;#ASMSTART
	v_med3_f32 v4, v4, v9, v10
v_med3_f32 v5, v5, v9, v10
v_cvt_pk_fp8_f32 v11, v4, v5
	;;#ASMEND
	;;#ASMSTART
	v_pk_mul_f32 v[2:3], v[2:3], v[6:7]
	;;#ASMEND
	s_add_i32 s1, s1, s0
	;;#ASMSTART
	v_med3_f32 v2, v2, v9, v10
v_med3_f32 v3, v3, v9, v10
v_cvt_pk_fp8_f32 v4, v2, v3
	;;#ASMEND
	s_mov_b32 s0, 0x5040100
	s_and_b32 s22, s1, -4
	s_mov_b32 s23, 0x20000
	v_perm_b32 v2, v4, v11, s0
	buffer_store_dword v2, v1, s[20:23], 0 offen
	;;#ASMSTART
	s_nop 0
	;;#ASMEND
.LBB310_18:
	s_or_b64 exec, exec, s[2:3]
	s_cmp_lt_i32 s16, 1
	s_cbranch_scc1 .LBB310_8
.LBB310_19:
	s_load_dword s0, s[4:5], 0x94
	s_waitcnt lgkmcnt(0)
	s_cmp_lg_u32 s0, 1
	s_cbranch_scc1 .LBB310_8
; %bb.20:
	s_lshl_b32 s0, s16, 1
	s_add_i32 s0, s0, 2
	v_cmp_gt_u32_e32 vcc, s16, v1
	s_and_b32 s10, s0, -4
	v_mov_b32_e32 v2, 0
	s_waitcnt vmcnt(0)
	v_lshlrev_b32_e32 v6, 3, v0
	v_mov_b32_e32 v3, 0
	v_mov_b32_e32 v0, 0
	;; [unrolled: 1-line block ×3, first 2 shown]
	s_barrier
	s_and_saveexec_b64 s[0:1], vcc
	s_cbranch_execz .LBB310_22
; %bb.21:
	s_mul_hi_i32 s3, s18, s6
	s_mul_i32 s2, s18, s6
	s_and_b32 s9, s9, 0xffff
	s_lshl_b64 s[2:3], s[2:3], 1
	s_add_u32 s20, s26, s2
	s_mov_b32 s11, 0x20000
	s_addc_u32 s2, s27, s3
	s_and_b32 s21, s2, 0xffff
	s_mov_b32 s22, s10
	s_mov_b32 s23, s11
	buffer_load_dwordx2 v[2:3], v6, s[20:23], 0 offen glc slc
	buffer_load_dwordx2 v[0:1], v6, s[8:11], 0 offen
.LBB310_22:
	s_or_b64 exec, exec, s[0:1]
	s_waitcnt vmcnt(1)
	v_cvt_f32_u32_sdwa v5, v3 dst_sel:DWORD dst_unused:UNUSED_PAD src0_sel:WORD_0
	v_cvt_f32_u32_sdwa v7, v2 dst_sel:DWORD dst_unused:UNUSED_PAD src0_sel:WORD_1
	v_cvt_f32_u32_sdwa v4, v3 dst_sel:DWORD dst_unused:UNUSED_PAD src0_sel:WORD_1
	v_cvt_f32_u32_sdwa v9, v2 dst_sel:DWORD dst_unused:UNUSED_PAD src0_sel:WORD_0
	v_cndmask_b32_e32 v2, 0, v5, vcc
	v_cndmask_b32_e32 v5, 0, v7, vcc
	;; [unrolled: 1-line block ×4, first 2 shown]
	v_mul_f32_e32 v7, v5, v5
	v_fmac_f32_e32 v7, v4, v4
	v_fmac_f32_e32 v7, v2, v2
	;; [unrolled: 1-line block ×3, first 2 shown]
	s_nop 1
	v_mov_b32_dpp v9, v7 quad_perm:[1,0,3,2] row_mask:0xf bank_mask:0xf
	v_add_f32_e32 v7, v7, v9
	s_nop 1
	v_mov_b32_dpp v9, v7 quad_perm:[2,3,0,1] row_mask:0xf bank_mask:0xf
	v_add_f32_e32 v7, v7, v9
	s_nop 1
	v_mov_b32_dpp v9, v7 row_half_mirror row_mask:0xf bank_mask:0xf
	v_add_f32_e32 v7, v7, v9
	s_nop 1
	v_mov_b32_dpp v9, v7 row_mirror row_mask:0xf bank_mask:0xf
	v_add_f32_e32 v7, v7, v9
	s_nop 1
	v_mov_b32_dpp v9, v7 row_bcast:15 row_mask:0xf bank_mask:0xf
	v_add_f32_e32 v7, v7, v9
	s_nop 1
	v_mov_b32_dpp v9, v7 row_bcast:31 row_mask:0xf bank_mask:0xf
	v_add_f32_e32 v7, v7, v9
	ds_bpermute_b32 v7, v8, v7
	s_and_saveexec_b64 s[0:1], vcc
	s_cbranch_execz .LBB310_8
; %bb.23:
	v_cvt_f32_u32_e32 v8, s16
	s_mov_b32 s11, 0x20000
	s_waitcnt lgkmcnt(0)
	v_div_scale_f32 v9, s[0:1], v8, v8, v7
	v_rcp_f32_e32 v10, v9
	v_div_scale_f32 v11, vcc, v7, v8, v7
	s_mov_b32 s0, 0x800000
	v_fma_f32 v12, -v9, v10, 1.0
	v_fmac_f32_e32 v10, v12, v10
	v_mul_f32_e32 v12, v11, v10
	v_fma_f32 v13, -v9, v12, v11
	v_fmac_f32_e32 v12, v13, v10
	v_fma_f32 v9, -v9, v12, v11
	v_div_fmas_f32 v9, v9, v10, v12
	v_div_fixup_f32 v7, v9, v8, v7
	v_add_f32_e32 v7, s13, v7
	v_mul_f32_e32 v8, 0x4b800000, v7
	v_cmp_gt_f32_e32 vcc, s0, v7
	v_cndmask_b32_e32 v7, v7, v8, vcc
	v_rsq_f32_e32 v7, v7
	s_waitcnt vmcnt(0)
	v_cvt_f32_u32_sdwa v9, v0 dst_sel:DWORD dst_unused:UNUSED_PAD src0_sel:WORD_1
	v_cvt_f32_u32_sdwa v8, v0 dst_sel:DWORD dst_unused:UNUSED_PAD src0_sel:WORD_0
	s_mul_hi_i32 s1, s7, s6
	s_mul_i32 s0, s7, s6
	v_cvt_f32_u32_sdwa v11, v1 dst_sel:DWORD dst_unused:UNUSED_PAD src0_sel:WORD_1
	v_mul_f32_e32 v0, 0x45800000, v7
	v_cvt_f32_u32_sdwa v10, v1 dst_sel:DWORD dst_unused:UNUSED_PAD src0_sel:WORD_0
	s_lshl_b64 s[0:1], s[0:1], 1
	v_cndmask_b32_e32 v12, v7, v0, vcc
	s_add_u32 s8, s24, s0
	v_mov_b32_e32 v13, v12
	;;#ASMSTART
	v_pk_mul_f32 v[4:5], v[4:5], v[12:13]
	;;#ASMEND
	;;#ASMSTART
	v_pk_mul_f32 v[0:1], v[2:3], v[12:13]
	;;#ASMEND
	v_pk_add_f32 v[2:3], v[8:9], 1.0 op_sel_hi:[1,0]
	s_addc_u32 s0, s25, s1
	;;#ASMSTART
	v_pk_mul_f32 v[2:3], v[4:5], v[2:3]
	;;#ASMEND
	s_and_b32 s9, s0, 0xffff
	s_mov_b32 s0, 0x7060302
	v_pk_add_f32 v[4:5], v[10:11], 1.0 op_sel_hi:[1,0]
	;;#ASMSTART
	v_pk_mul_f32 v[0:1], v[0:1], v[4:5]
	;;#ASMEND
	v_perm_b32 v2, v3, v2, s0
	v_perm_b32 v3, v1, v0, s0
	buffer_store_dwordx2 v[2:3], v6, s[8:11], 0 offen
	;;#ASMSTART
	s_nop 0
	;;#ASMEND
	s_endpgm
	.section	.rodata,"a",@progbits
	.p2align	6, 0x0
	.amdhsa_kernel _ZN5aiter35fused_qk_rmsnorm_group_quant_kernelItDB8_Li64ELi4ELi8ELb0ELb0ELb1ELb0ELb0ELb0EEEvPT0_PvPT_S6_S6_PKS5_S8_S8_S8_S8_ffiiiiiiiiiiiii
		.amdhsa_group_segment_fixed_size 0
		.amdhsa_private_segment_fixed_size 0
		.amdhsa_kernarg_size 400
		.amdhsa_user_sgpr_count 6
		.amdhsa_user_sgpr_private_segment_buffer 1
		.amdhsa_user_sgpr_dispatch_ptr 0
		.amdhsa_user_sgpr_queue_ptr 0
		.amdhsa_user_sgpr_kernarg_segment_ptr 1
		.amdhsa_user_sgpr_dispatch_id 0
		.amdhsa_user_sgpr_flat_scratch_init 0
		.amdhsa_user_sgpr_kernarg_preload_length 0
		.amdhsa_user_sgpr_kernarg_preload_offset 0
		.amdhsa_user_sgpr_private_segment_size 0
		.amdhsa_uses_dynamic_stack 0
		.amdhsa_system_sgpr_private_segment_wavefront_offset 0
		.amdhsa_system_sgpr_workgroup_id_x 1
		.amdhsa_system_sgpr_workgroup_id_y 1
		.amdhsa_system_sgpr_workgroup_id_z 0
		.amdhsa_system_sgpr_workgroup_info 0
		.amdhsa_system_vgpr_workitem_id 0
		.amdhsa_next_free_vgpr 17
		.amdhsa_next_free_sgpr 32
		.amdhsa_accum_offset 20
		.amdhsa_reserve_vcc 1
		.amdhsa_reserve_flat_scratch 0
		.amdhsa_float_round_mode_32 0
		.amdhsa_float_round_mode_16_64 0
		.amdhsa_float_denorm_mode_32 3
		.amdhsa_float_denorm_mode_16_64 3
		.amdhsa_dx10_clamp 1
		.amdhsa_ieee_mode 1
		.amdhsa_fp16_overflow 0
		.amdhsa_tg_split 0
		.amdhsa_exception_fp_ieee_invalid_op 0
		.amdhsa_exception_fp_denorm_src 0
		.amdhsa_exception_fp_ieee_div_zero 0
		.amdhsa_exception_fp_ieee_overflow 0
		.amdhsa_exception_fp_ieee_underflow 0
		.amdhsa_exception_fp_ieee_inexact 0
		.amdhsa_exception_int_div_zero 0
	.end_amdhsa_kernel
	.section	.text._ZN5aiter35fused_qk_rmsnorm_group_quant_kernelItDB8_Li64ELi4ELi8ELb0ELb0ELb1ELb0ELb0ELb0EEEvPT0_PvPT_S6_S6_PKS5_S8_S8_S8_S8_ffiiiiiiiiiiiii,"axG",@progbits,_ZN5aiter35fused_qk_rmsnorm_group_quant_kernelItDB8_Li64ELi4ELi8ELb0ELb0ELb1ELb0ELb0ELb0EEEvPT0_PvPT_S6_S6_PKS5_S8_S8_S8_S8_ffiiiiiiiiiiiii,comdat
.Lfunc_end310:
	.size	_ZN5aiter35fused_qk_rmsnorm_group_quant_kernelItDB8_Li64ELi4ELi8ELb0ELb0ELb1ELb0ELb0ELb0EEEvPT0_PvPT_S6_S6_PKS5_S8_S8_S8_S8_ffiiiiiiiiiiiii, .Lfunc_end310-_ZN5aiter35fused_qk_rmsnorm_group_quant_kernelItDB8_Li64ELi4ELi8ELb0ELb0ELb1ELb0ELb0ELb0EEEvPT0_PvPT_S6_S6_PKS5_S8_S8_S8_S8_ffiiiiiiiiiiiii
                                        ; -- End function
	.section	.AMDGPU.csdata,"",@progbits
; Kernel info:
; codeLenInByte = 1900
; NumSgprs: 36
; NumVgprs: 17
; NumAgprs: 0
; TotalNumVgprs: 17
; ScratchSize: 0
; MemoryBound: 0
; FloatMode: 240
; IeeeMode: 1
; LDSByteSize: 0 bytes/workgroup (compile time only)
; SGPRBlocks: 4
; VGPRBlocks: 2
; NumSGPRsForWavesPerEU: 36
; NumVGPRsForWavesPerEU: 17
; AccumOffset: 20
; Occupancy: 8
; WaveLimiterHint : 0
; COMPUTE_PGM_RSRC2:SCRATCH_EN: 0
; COMPUTE_PGM_RSRC2:USER_SGPR: 6
; COMPUTE_PGM_RSRC2:TRAP_HANDLER: 0
; COMPUTE_PGM_RSRC2:TGID_X_EN: 1
; COMPUTE_PGM_RSRC2:TGID_Y_EN: 1
; COMPUTE_PGM_RSRC2:TGID_Z_EN: 0
; COMPUTE_PGM_RSRC2:TIDIG_COMP_CNT: 0
; COMPUTE_PGM_RSRC3_GFX90A:ACCUM_OFFSET: 4
; COMPUTE_PGM_RSRC3_GFX90A:TG_SPLIT: 0
	.section	.text._ZN5aiter35fused_qk_rmsnorm_group_quant_kernelIDF16_DB8_Li64ELi4ELi8ELb0ELb0ELb0ELb0ELb0ELb0EEEvPT0_PvPT_S6_S6_PKS5_S8_S8_S8_S8_ffiiiiiiiiiiiii,"axG",@progbits,_ZN5aiter35fused_qk_rmsnorm_group_quant_kernelIDF16_DB8_Li64ELi4ELi8ELb0ELb0ELb0ELb0ELb0ELb0EEEvPT0_PvPT_S6_S6_PKS5_S8_S8_S8_S8_ffiiiiiiiiiiiii,comdat
	.protected	_ZN5aiter35fused_qk_rmsnorm_group_quant_kernelIDF16_DB8_Li64ELi4ELi8ELb0ELb0ELb0ELb0ELb0ELb0EEEvPT0_PvPT_S6_S6_PKS5_S8_S8_S8_S8_ffiiiiiiiiiiiii ; -- Begin function _ZN5aiter35fused_qk_rmsnorm_group_quant_kernelIDF16_DB8_Li64ELi4ELi8ELb0ELb0ELb0ELb0ELb0ELb0EEEvPT0_PvPT_S6_S6_PKS5_S8_S8_S8_S8_ffiiiiiiiiiiiii
	.globl	_ZN5aiter35fused_qk_rmsnorm_group_quant_kernelIDF16_DB8_Li64ELi4ELi8ELb0ELb0ELb0ELb0ELb0ELb0EEEvPT0_PvPT_S6_S6_PKS5_S8_S8_S8_S8_ffiiiiiiiiiiiii
	.p2align	8
	.type	_ZN5aiter35fused_qk_rmsnorm_group_quant_kernelIDF16_DB8_Li64ELi4ELi8ELb0ELb0ELb0ELb0ELb0ELb0EEEvPT0_PvPT_S6_S6_PKS5_S8_S8_S8_S8_ffiiiiiiiiiiiii,@function
_ZN5aiter35fused_qk_rmsnorm_group_quant_kernelIDF16_DB8_Li64ELi4ELi8ELb0ELb0ELb0ELb0ELb0ELb0EEEvPT0_PvPT_S6_S6_PKS5_S8_S8_S8_S8_ffiiiiiiiiiiiii: ; @_ZN5aiter35fused_qk_rmsnorm_group_quant_kernelIDF16_DB8_Li64ELi4ELi8ELb0ELb0ELb0ELb0ELb0ELb0EEEvPT0_PvPT_S6_S6_PKS5_S8_S8_S8_S8_ffiiiiiiiiiiiii
; %bb.0:
	s_load_dwordx4 s[12:15], s[4:5], 0x50
	s_waitcnt lgkmcnt(0)
	s_cmp_ge_i32 s6, s14
	s_cbranch_scc1 .LBB311_8
; %bb.1:
	s_load_dwordx2 s[8:9], s[4:5], 0x48
	s_load_dwordx2 s[26:27], s[4:5], 0x30
	s_load_dwordx4 s[16:19], s[4:5], 0x60
	s_cmp_lg_u32 s7, 0
	s_cselect_b64 s[2:3], -1, 0
	s_cmp_eq_u32 s7, 0
	s_cselect_b64 vcc, -1, 0
	s_and_b64 s[0:1], vcc, exec
	s_waitcnt lgkmcnt(0)
	s_cselect_b32 s7, s15, s16
	s_add_i32 s0, s7, 1
	s_lshr_b32 s1, s0, 31
	s_add_i32 s0, s0, s1
	s_lshl_b32 s0, s0, 1
	v_lshlrev_b32_e32 v1, 2, v0
	s_and_b32 s22, s0, -4
	v_cmp_gt_i32_e64 s[0:1], s7, v1
	v_mov_b32_e32 v6, 0
	v_mov_b32_e32 v7, 0
	;; [unrolled: 1-line block ×4, first 2 shown]
	s_and_saveexec_b64 s[10:11], s[0:1]
	s_cbranch_execz .LBB311_3
; %bb.2:
	s_load_dwordx2 s[20:21], s[4:5], 0x28
	s_load_dwordx2 s[24:25], s[4:5], 0x40
	s_and_b64 s[28:29], vcc, exec
	s_cselect_b32 s14, s17, s18
	s_mov_b32 s23, 0x20000
	s_waitcnt lgkmcnt(0)
	s_cselect_b32 s17, s21, s27
	s_cselect_b32 s19, s20, s26
	s_mul_hi_i32 s21, s14, s6
	s_mul_i32 s20, s14, s6
	s_lshl_b64 s[20:21], s[20:21], 1
	s_add_u32 s28, s19, s20
	s_addc_u32 s14, s17, s21
	s_and_b64 s[20:21], vcc, exec
	s_cselect_b32 s20, s24, s8
	s_cselect_b32 s17, s25, s9
	v_lshlrev_b32_e32 v4, 3, v0
	s_and_b32 s29, s14, 0xffff
	s_mov_b32 s30, s22
	s_mov_b32 s31, s23
	s_and_b32 s21, s17, 0xffff
	buffer_load_dwordx2 v[2:3], v4, s[28:31], 0 offen glc slc
	buffer_load_dwordx2 v[6:7], v4, s[20:23], 0 offen
.LBB311_3:
	s_or_b64 exec, exec, s[10:11]
	s_waitcnt vmcnt(1)
	v_cvt_f32_f16_e32 v4, v3
	v_cvt_f32_f16_e32 v5, v2
	v_cvt_f32_f16_sdwa v8, v2 dst_sel:DWORD dst_unused:UNUSED_PAD src0_sel:WORD_1
	v_cvt_f32_f16_sdwa v3, v3 dst_sel:DWORD dst_unused:UNUSED_PAD src0_sel:WORD_1
	v_cndmask_b32_e64 v2, 0, v4, s[0:1]
	v_cndmask_b32_e64 v4, 0, v5, s[0:1]
	;; [unrolled: 1-line block ×3, first 2 shown]
	v_mul_f32_e32 v8, v5, v5
	v_fmac_f32_e32 v8, v4, v4
	v_cndmask_b32_e64 v3, 0, v3, s[0:1]
	v_fmac_f32_e32 v8, v2, v2
	v_fmac_f32_e32 v8, v3, v3
	v_bfrev_b32_e32 v10, 0.5
	s_load_dwordx2 s[24:25], s[4:5], 0x18
	v_mov_b32_dpp v9, v8 quad_perm:[1,0,3,2] row_mask:0xf bank_mask:0xf
	v_add_f32_e32 v8, v8, v9
	s_nop 1
	v_mov_b32_dpp v9, v8 quad_perm:[2,3,0,1] row_mask:0xf bank_mask:0xf
	v_add_f32_e32 v8, v8, v9
	s_nop 1
	v_mov_b32_dpp v9, v8 row_half_mirror row_mask:0xf bank_mask:0xf
	v_add_f32_e32 v8, v8, v9
	s_nop 1
	v_mov_b32_dpp v9, v8 row_mirror row_mask:0xf bank_mask:0xf
	v_add_f32_e32 v8, v8, v9
	s_nop 1
	v_mov_b32_dpp v9, v8 row_bcast:15 row_mask:0xf bank_mask:0xf
	v_add_f32_e32 v8, v8, v9
	s_nop 1
	v_mov_b32_dpp v9, v8 row_bcast:31 row_mask:0xf bank_mask:0xf
	v_add_f32_e32 v9, v8, v9
	v_mbcnt_lo_u32_b32 v8, -1, 0
	v_mbcnt_hi_u32_b32 v8, -1, v8
	v_lshl_or_b32 v8, v8, 2, v10
	ds_bpermute_b32 v9, v8, v9
	s_and_saveexec_b64 s[10:11], s[0:1]
	s_cbranch_execz .LBB311_5
; %bb.4:
	v_cvt_f32_u32_e32 v10, s7
	v_mov_b32_e32 v11, s13
	v_mov_b32_e32 v12, s12
	v_cndmask_b32_e32 v11, v11, v12, vcc
	s_waitcnt lgkmcnt(0)
	v_div_scale_f32 v13, s[20:21], v10, v10, v9
	v_rcp_f32_e32 v14, v13
	v_div_scale_f32 v12, vcc, v9, v10, v9
	s_mov_b32 s7, 0x800000
	v_fma_f32 v15, -v13, v14, 1.0
	v_fmac_f32_e32 v14, v15, v14
	v_mul_f32_e32 v15, v12, v14
	v_fma_f32 v16, -v13, v15, v12
	v_fmac_f32_e32 v15, v16, v14
	v_fma_f32 v12, -v13, v15, v12
	v_div_fmas_f32 v12, v12, v14, v15
	v_div_fixup_f32 v9, v12, v10, v9
	v_add_f32_e32 v9, v11, v9
	v_mul_f32_e32 v10, 0x4b800000, v9
	v_cmp_gt_f32_e32 vcc, s7, v9
	v_cndmask_b32_e32 v9, v9, v10, vcc
	v_rsq_f32_e32 v9, v9
	s_waitcnt vmcnt(0)
	v_cvt_f32_f16_sdwa v13, v6 dst_sel:DWORD dst_unused:UNUSED_PAD src0_sel:WORD_1
	v_cvt_f32_f16_e32 v12, v6
	v_cvt_f32_f16_sdwa v15, v7 dst_sel:DWORD dst_unused:UNUSED_PAD src0_sel:WORD_1
	v_mul_f32_e32 v10, 0x45800000, v9
	v_cndmask_b32_e32 v10, v9, v10, vcc
	v_mov_b32_e32 v11, v10
	;;#ASMSTART
	v_pk_mul_f32 v[4:5], v[4:5], v[10:11]
	;;#ASMEND
	;;#ASMSTART
	v_pk_mul_f32 v[2:3], v[2:3], v[10:11]
	;;#ASMEND
	v_cvt_f32_f16_e32 v14, v7
	;;#ASMSTART
	v_pk_mul_f32 v[4:5], v[4:5], v[12:13]
	;;#ASMEND
	;;#ASMSTART
	v_pk_mul_f32 v[2:3], v[2:3], v[14:15]
	;;#ASMEND
.LBB311_5:
	s_or_b64 exec, exec, s[10:11]
	s_load_dword s7, s[4:5], 0x80
	s_mov_b64 s[10:11], -1
	s_and_b64 vcc, exec, s[2:3]
	s_cbranch_vccnz .LBB311_9
; %bb.6:
	s_andn2_b64 vcc, exec, s[10:11]
	s_cbranch_vccz .LBB311_12
.LBB311_7:
	s_cmp_lt_i32 s16, 1
	s_cbranch_scc0 .LBB311_19
.LBB311_8:
	s_endpgm
.LBB311_9:
	s_and_saveexec_b64 s[2:3], s[0:1]
	s_cbranch_execz .LBB311_11
; %bb.10:
	s_waitcnt lgkmcnt(0)
	s_mul_hi_i32 s11, s7, s6
	s_mul_i32 s10, s7, s6
	s_waitcnt vmcnt(0)
	v_cvt_f16_f32_e32 v6, v4
	v_cvt_f16_f32_e32 v7, v2
	;; [unrolled: 1-line block ×4, first 2 shown]
	s_lshl_b64 s[10:11], s[10:11], 1
	s_add_u32 s20, s24, s10
	s_addc_u32 s10, s25, s11
	s_and_b32 s21, s10, 0xffff
	s_mov_b32 s23, 0x20000
	v_pack_b32_f16 v7, v7, v9
	v_pack_b32_f16 v6, v6, v10
	v_lshlrev_b32_e32 v9, 3, v0
	buffer_store_dwordx2 v[6:7], v9, s[20:23], 0 offen
	;;#ASMSTART
	s_nop 0
	;;#ASMEND
.LBB311_11:
	s_or_b64 exec, exec, s[2:3]
	s_cbranch_execnz .LBB311_7
.LBB311_12:
	s_waitcnt vmcnt(0)
	v_mov_b32_e32 v6, 0
	s_and_saveexec_b64 s[2:3], s[0:1]
	s_cbranch_execz .LBB311_14
; %bb.13:
	v_and_b32_e32 v6, 0x7fffffff, v4
	v_and_b32_e32 v7, 0x7fffffff, v5
	s_waitcnt lgkmcnt(0)
	v_mov_b32_e32 v9, 0x2edbe6ff
	;;#ASMSTART
	v_max3_f32 v6, v9, v6, v7

	;;#ASMEND
	v_and_b32_e32 v7, 0x7fffffff, v2
	v_and_b32_e32 v9, 0x7fffffff, v3
	;;#ASMSTART
	v_max3_f32 v6, v6, v7, v9

	;;#ASMEND
.LBB311_14:
	s_or_b64 exec, exec, s[2:3]
	s_load_dwordx4 s[20:23], s[4:5], 0x70
	;;#ASMSTART
	v_max_f32 v7, v6, v6 quad_perm:[1,0,3,2] row_mask:0xf bank_mask:0xf bound_ctrl:1
	;;#ASMEND
	;;#ASMSTART
	v_max_f32 v6, v7, v7 quad_perm:[2,3,0,1] row_mask:0xf bank_mask:0xf bound_ctrl:1
	;;#ASMEND
	;;#ASMSTART
	v_max_f32 v7, v6, v6 row_half_mirror row_mask:0xf bank_mask:0xf bound_ctrl:1
	;;#ASMEND
	v_mul_f32_e32 v6, 0x3b124925, v7
	v_and_b32_e32 v7, 7, v0
	v_cmp_eq_u32_e32 vcc, 0, v7
	v_cmp_gt_i32_e64 s[2:3], s15, v1
	s_and_b64 s[10:11], vcc, s[2:3]
	s_and_saveexec_b64 s[2:3], s[10:11]
	s_cbranch_execz .LBB311_16
; %bb.15:
	s_load_dwordx2 s[10:11], s[4:5], 0x8
	v_lshrrev_b32_e32 v7, 3, v0
	s_waitcnt lgkmcnt(0)
	s_mul_hi_i32 s29, s21, s6
	s_mul_i32 s28, s21, s6
	v_mad_i64_i32 v[10:11], s[22:23], s22, v7, 0
	s_lshl_b64 s[22:23], s[28:29], 2
	s_add_u32 s10, s10, s22
	s_addc_u32 s11, s11, s23
	v_lshlrev_b64 v[10:11], 2, v[10:11]
	v_mov_b32_e32 v7, s11
	v_add_co_u32_e32 v10, vcc, s10, v10
	v_addc_co_u32_e32 v11, vcc, v7, v11, vcc
	global_store_dword v[10:11], v6, off
.LBB311_16:
	s_or_b64 exec, exec, s[2:3]
	;;#ASMSTART
	v_rcp_f32 v6, v6
	;;#ASMEND
	s_and_saveexec_b64 s[2:3], s[0:1]
	s_cbranch_execz .LBB311_18
; %bb.17:
	s_load_dwordx2 s[0:1], s[4:5], 0x0
	s_waitcnt lgkmcnt(0)
	s_mul_i32 s11, s20, s6
	s_mul_hi_i32 s10, s20, s6
	v_mov_b32_e32 v7, v6
	;;#ASMSTART
	v_pk_mul_f32 v[4:5], v[4:5], v[6:7]
	;;#ASMEND
	s_add_u32 s20, s0, s11
	s_addc_u32 s0, s1, s10
	s_add_i32 s1, s15, 3
	s_ashr_i32 s10, s1, 31
	s_and_b32 s21, s0, 0xffff
	s_lshr_b32 s0, s10, 30
	v_mov_b32_e32 v9, 0xc3e00000
	v_mov_b32_e32 v10, 0x43e00000
	;;#ASMSTART
	v_med3_f32 v4, v4, v9, v10
v_med3_f32 v5, v5, v9, v10
v_cvt_pk_fp8_f32 v11, v4, v5
	;;#ASMEND
	;;#ASMSTART
	v_pk_mul_f32 v[2:3], v[2:3], v[6:7]
	;;#ASMEND
	s_add_i32 s1, s1, s0
	;;#ASMSTART
	v_med3_f32 v2, v2, v9, v10
v_med3_f32 v3, v3, v9, v10
v_cvt_pk_fp8_f32 v4, v2, v3
	;;#ASMEND
	s_mov_b32 s0, 0x5040100
	s_and_b32 s22, s1, -4
	s_mov_b32 s23, 0x20000
	v_perm_b32 v2, v4, v11, s0
	buffer_store_dword v2, v1, s[20:23], 0 offen
	;;#ASMSTART
	s_nop 0
	;;#ASMEND
.LBB311_18:
	s_or_b64 exec, exec, s[2:3]
	s_cmp_lt_i32 s16, 1
	s_cbranch_scc1 .LBB311_8
.LBB311_19:
	s_load_dword s0, s[4:5], 0x94
	s_waitcnt lgkmcnt(0)
	s_cmp_lg_u32 s0, 1
	s_cbranch_scc1 .LBB311_8
; %bb.20:
	s_lshl_b32 s0, s16, 1
	s_add_i32 s0, s0, 2
	v_cmp_gt_u32_e32 vcc, s16, v1
	s_and_b32 s10, s0, -4
	v_mov_b32_e32 v2, 0
	s_waitcnt vmcnt(0)
	v_lshlrev_b32_e32 v6, 3, v0
	v_mov_b32_e32 v3, 0
	v_mov_b32_e32 v0, 0
	;; [unrolled: 1-line block ×3, first 2 shown]
	s_barrier
	s_and_saveexec_b64 s[0:1], vcc
	s_cbranch_execz .LBB311_22
; %bb.21:
	s_mul_hi_i32 s3, s18, s6
	s_mul_i32 s2, s18, s6
	s_and_b32 s9, s9, 0xffff
	s_lshl_b64 s[2:3], s[2:3], 1
	s_add_u32 s20, s26, s2
	s_mov_b32 s11, 0x20000
	s_addc_u32 s2, s27, s3
	s_and_b32 s21, s2, 0xffff
	s_mov_b32 s22, s10
	s_mov_b32 s23, s11
	buffer_load_dwordx2 v[2:3], v6, s[20:23], 0 offen glc slc
	buffer_load_dwordx2 v[0:1], v6, s[8:11], 0 offen
.LBB311_22:
	s_or_b64 exec, exec, s[0:1]
	s_waitcnt vmcnt(1)
	v_cvt_f32_f16_e32 v4, v3
	v_cvt_f32_f16_e32 v5, v2
	v_cvt_f32_f16_sdwa v7, v2 dst_sel:DWORD dst_unused:UNUSED_PAD src0_sel:WORD_1
	v_cvt_f32_f16_sdwa v3, v3 dst_sel:DWORD dst_unused:UNUSED_PAD src0_sel:WORD_1
	v_cndmask_b32_e32 v2, 0, v4, vcc
	v_cndmask_b32_e32 v4, 0, v5, vcc
	;; [unrolled: 1-line block ×3, first 2 shown]
	v_mul_f32_e32 v7, v5, v5
	v_fmac_f32_e32 v7, v4, v4
	v_cndmask_b32_e32 v3, 0, v3, vcc
	v_fmac_f32_e32 v7, v2, v2
	v_fmac_f32_e32 v7, v3, v3
	s_nop 1
	v_mov_b32_dpp v9, v7 quad_perm:[1,0,3,2] row_mask:0xf bank_mask:0xf
	v_add_f32_e32 v7, v7, v9
	s_nop 1
	v_mov_b32_dpp v9, v7 quad_perm:[2,3,0,1] row_mask:0xf bank_mask:0xf
	v_add_f32_e32 v7, v7, v9
	s_nop 1
	v_mov_b32_dpp v9, v7 row_half_mirror row_mask:0xf bank_mask:0xf
	v_add_f32_e32 v7, v7, v9
	s_nop 1
	v_mov_b32_dpp v9, v7 row_mirror row_mask:0xf bank_mask:0xf
	v_add_f32_e32 v7, v7, v9
	s_nop 1
	v_mov_b32_dpp v9, v7 row_bcast:15 row_mask:0xf bank_mask:0xf
	v_add_f32_e32 v7, v7, v9
	s_nop 1
	v_mov_b32_dpp v9, v7 row_bcast:31 row_mask:0xf bank_mask:0xf
	v_add_f32_e32 v7, v7, v9
	ds_bpermute_b32 v7, v8, v7
	s_and_saveexec_b64 s[0:1], vcc
	s_cbranch_execz .LBB311_8
; %bb.23:
	v_cvt_f32_u32_e32 v8, s16
	s_mov_b32 s11, 0x20000
	s_waitcnt lgkmcnt(0)
	v_div_scale_f32 v9, s[0:1], v8, v8, v7
	v_rcp_f32_e32 v10, v9
	v_div_scale_f32 v11, vcc, v7, v8, v7
	s_mov_b32 s0, 0x800000
	v_fma_f32 v12, -v9, v10, 1.0
	v_fmac_f32_e32 v10, v12, v10
	v_mul_f32_e32 v12, v11, v10
	v_fma_f32 v13, -v9, v12, v11
	v_fmac_f32_e32 v12, v13, v10
	v_fma_f32 v9, -v9, v12, v11
	v_div_fmas_f32 v9, v9, v10, v12
	v_div_fixup_f32 v7, v9, v8, v7
	v_add_f32_e32 v7, s13, v7
	v_mul_f32_e32 v8, 0x4b800000, v7
	v_cmp_gt_f32_e32 vcc, s0, v7
	v_cndmask_b32_e32 v7, v7, v8, vcc
	v_rsq_f32_e32 v7, v7
	s_waitcnt vmcnt(0)
	v_cvt_f32_f16_sdwa v9, v0 dst_sel:DWORD dst_unused:UNUSED_PAD src0_sel:WORD_1
	v_cvt_f32_f16_e32 v8, v0
	v_cvt_f32_f16_sdwa v11, v1 dst_sel:DWORD dst_unused:UNUSED_PAD src0_sel:WORD_1
	v_mul_f32_e32 v0, 0x45800000, v7
	v_cndmask_b32_e32 v12, v7, v0, vcc
	v_mov_b32_e32 v13, v12
	v_cvt_f32_f16_e32 v10, v1
	;;#ASMSTART
	v_pk_mul_f32 v[0:1], v[4:5], v[12:13]
	;;#ASMEND
	;;#ASMSTART
	v_pk_mul_f32 v[2:3], v[2:3], v[12:13]
	;;#ASMEND
	;; [unrolled: 3-line block ×4, first 2 shown]
	s_mul_hi_i32 s1, s7, s6
	s_mul_i32 s0, s7, s6
	v_cvt_f16_f32_e32 v0, v0
	v_cvt_f16_f32_e32 v1, v1
	;; [unrolled: 1-line block ×4, first 2 shown]
	s_lshl_b64 s[0:1], s[0:1], 1
	s_add_u32 s8, s24, s0
	s_addc_u32 s0, s25, s1
	s_and_b32 s9, s0, 0xffff
	v_pack_b32_f16 v0, v0, v1
	v_pack_b32_f16 v1, v2, v3
	buffer_store_dwordx2 v[0:1], v6, s[8:11], 0 offen
	;;#ASMSTART
	s_nop 0
	;;#ASMEND
	s_endpgm
	.section	.rodata,"a",@progbits
	.p2align	6, 0x0
	.amdhsa_kernel _ZN5aiter35fused_qk_rmsnorm_group_quant_kernelIDF16_DB8_Li64ELi4ELi8ELb0ELb0ELb0ELb0ELb0ELb0EEEvPT0_PvPT_S6_S6_PKS5_S8_S8_S8_S8_ffiiiiiiiiiiiii
		.amdhsa_group_segment_fixed_size 0
		.amdhsa_private_segment_fixed_size 0
		.amdhsa_kernarg_size 400
		.amdhsa_user_sgpr_count 6
		.amdhsa_user_sgpr_private_segment_buffer 1
		.amdhsa_user_sgpr_dispatch_ptr 0
		.amdhsa_user_sgpr_queue_ptr 0
		.amdhsa_user_sgpr_kernarg_segment_ptr 1
		.amdhsa_user_sgpr_dispatch_id 0
		.amdhsa_user_sgpr_flat_scratch_init 0
		.amdhsa_user_sgpr_kernarg_preload_length 0
		.amdhsa_user_sgpr_kernarg_preload_offset 0
		.amdhsa_user_sgpr_private_segment_size 0
		.amdhsa_uses_dynamic_stack 0
		.amdhsa_system_sgpr_private_segment_wavefront_offset 0
		.amdhsa_system_sgpr_workgroup_id_x 1
		.amdhsa_system_sgpr_workgroup_id_y 1
		.amdhsa_system_sgpr_workgroup_id_z 0
		.amdhsa_system_sgpr_workgroup_info 0
		.amdhsa_system_vgpr_workitem_id 0
		.amdhsa_next_free_vgpr 17
		.amdhsa_next_free_sgpr 32
		.amdhsa_accum_offset 20
		.amdhsa_reserve_vcc 1
		.amdhsa_reserve_flat_scratch 0
		.amdhsa_float_round_mode_32 0
		.amdhsa_float_round_mode_16_64 0
		.amdhsa_float_denorm_mode_32 3
		.amdhsa_float_denorm_mode_16_64 3
		.amdhsa_dx10_clamp 1
		.amdhsa_ieee_mode 1
		.amdhsa_fp16_overflow 0
		.amdhsa_tg_split 0
		.amdhsa_exception_fp_ieee_invalid_op 0
		.amdhsa_exception_fp_denorm_src 0
		.amdhsa_exception_fp_ieee_div_zero 0
		.amdhsa_exception_fp_ieee_overflow 0
		.amdhsa_exception_fp_ieee_underflow 0
		.amdhsa_exception_fp_ieee_inexact 0
		.amdhsa_exception_int_div_zero 0
	.end_amdhsa_kernel
	.section	.text._ZN5aiter35fused_qk_rmsnorm_group_quant_kernelIDF16_DB8_Li64ELi4ELi8ELb0ELb0ELb0ELb0ELb0ELb0EEEvPT0_PvPT_S6_S6_PKS5_S8_S8_S8_S8_ffiiiiiiiiiiiii,"axG",@progbits,_ZN5aiter35fused_qk_rmsnorm_group_quant_kernelIDF16_DB8_Li64ELi4ELi8ELb0ELb0ELb0ELb0ELb0ELb0EEEvPT0_PvPT_S6_S6_PKS5_S8_S8_S8_S8_ffiiiiiiiiiiiii,comdat
.Lfunc_end311:
	.size	_ZN5aiter35fused_qk_rmsnorm_group_quant_kernelIDF16_DB8_Li64ELi4ELi8ELb0ELb0ELb0ELb0ELb0ELb0EEEvPT0_PvPT_S6_S6_PKS5_S8_S8_S8_S8_ffiiiiiiiiiiiii, .Lfunc_end311-_ZN5aiter35fused_qk_rmsnorm_group_quant_kernelIDF16_DB8_Li64ELi4ELi8ELb0ELb0ELb0ELb0ELb0ELb0EEEvPT0_PvPT_S6_S6_PKS5_S8_S8_S8_S8_ffiiiiiiiiiiiii
                                        ; -- End function
	.section	.AMDGPU.csdata,"",@progbits
; Kernel info:
; codeLenInByte = 1852
; NumSgprs: 36
; NumVgprs: 17
; NumAgprs: 0
; TotalNumVgprs: 17
; ScratchSize: 0
; MemoryBound: 0
; FloatMode: 240
; IeeeMode: 1
; LDSByteSize: 0 bytes/workgroup (compile time only)
; SGPRBlocks: 4
; VGPRBlocks: 2
; NumSGPRsForWavesPerEU: 36
; NumVGPRsForWavesPerEU: 17
; AccumOffset: 20
; Occupancy: 8
; WaveLimiterHint : 0
; COMPUTE_PGM_RSRC2:SCRATCH_EN: 0
; COMPUTE_PGM_RSRC2:USER_SGPR: 6
; COMPUTE_PGM_RSRC2:TRAP_HANDLER: 0
; COMPUTE_PGM_RSRC2:TGID_X_EN: 1
; COMPUTE_PGM_RSRC2:TGID_Y_EN: 1
; COMPUTE_PGM_RSRC2:TGID_Z_EN: 0
; COMPUTE_PGM_RSRC2:TIDIG_COMP_CNT: 0
; COMPUTE_PGM_RSRC3_GFX90A:ACCUM_OFFSET: 4
; COMPUTE_PGM_RSRC3_GFX90A:TG_SPLIT: 0
	.section	.text._ZN5aiter35fused_qk_rmsnorm_group_quant_kernelItDB8_Li64ELi4ELi8ELb0ELb0ELb0ELb0ELb0ELb0EEEvPT0_PvPT_S6_S6_PKS5_S8_S8_S8_S8_ffiiiiiiiiiiiii,"axG",@progbits,_ZN5aiter35fused_qk_rmsnorm_group_quant_kernelItDB8_Li64ELi4ELi8ELb0ELb0ELb0ELb0ELb0ELb0EEEvPT0_PvPT_S6_S6_PKS5_S8_S8_S8_S8_ffiiiiiiiiiiiii,comdat
	.protected	_ZN5aiter35fused_qk_rmsnorm_group_quant_kernelItDB8_Li64ELi4ELi8ELb0ELb0ELb0ELb0ELb0ELb0EEEvPT0_PvPT_S6_S6_PKS5_S8_S8_S8_S8_ffiiiiiiiiiiiii ; -- Begin function _ZN5aiter35fused_qk_rmsnorm_group_quant_kernelItDB8_Li64ELi4ELi8ELb0ELb0ELb0ELb0ELb0ELb0EEEvPT0_PvPT_S6_S6_PKS5_S8_S8_S8_S8_ffiiiiiiiiiiiii
	.globl	_ZN5aiter35fused_qk_rmsnorm_group_quant_kernelItDB8_Li64ELi4ELi8ELb0ELb0ELb0ELb0ELb0ELb0EEEvPT0_PvPT_S6_S6_PKS5_S8_S8_S8_S8_ffiiiiiiiiiiiii
	.p2align	8
	.type	_ZN5aiter35fused_qk_rmsnorm_group_quant_kernelItDB8_Li64ELi4ELi8ELb0ELb0ELb0ELb0ELb0ELb0EEEvPT0_PvPT_S6_S6_PKS5_S8_S8_S8_S8_ffiiiiiiiiiiiii,@function
_ZN5aiter35fused_qk_rmsnorm_group_quant_kernelItDB8_Li64ELi4ELi8ELb0ELb0ELb0ELb0ELb0ELb0EEEvPT0_PvPT_S6_S6_PKS5_S8_S8_S8_S8_ffiiiiiiiiiiiii: ; @_ZN5aiter35fused_qk_rmsnorm_group_quant_kernelItDB8_Li64ELi4ELi8ELb0ELb0ELb0ELb0ELb0ELb0EEEvPT0_PvPT_S6_S6_PKS5_S8_S8_S8_S8_ffiiiiiiiiiiiii
; %bb.0:
	s_load_dwordx4 s[12:15], s[4:5], 0x50
	s_waitcnt lgkmcnt(0)
	s_cmp_ge_i32 s6, s14
	s_cbranch_scc1 .LBB312_8
; %bb.1:
	s_load_dwordx2 s[8:9], s[4:5], 0x48
	s_load_dwordx2 s[26:27], s[4:5], 0x30
	s_load_dwordx4 s[16:19], s[4:5], 0x60
	s_cmp_lg_u32 s7, 0
	s_cselect_b64 s[2:3], -1, 0
	s_cmp_eq_u32 s7, 0
	s_cselect_b64 vcc, -1, 0
	s_and_b64 s[0:1], vcc, exec
	s_waitcnt lgkmcnt(0)
	s_cselect_b32 s7, s15, s16
	s_add_i32 s0, s7, 1
	s_lshr_b32 s1, s0, 31
	s_add_i32 s0, s0, s1
	s_lshl_b32 s0, s0, 1
	v_lshlrev_b32_e32 v1, 2, v0
	s_and_b32 s22, s0, -4
	v_cmp_gt_i32_e64 s[0:1], s7, v1
	v_mov_b32_e32 v6, 0
	v_mov_b32_e32 v7, 0
	;; [unrolled: 1-line block ×4, first 2 shown]
	s_and_saveexec_b64 s[10:11], s[0:1]
	s_cbranch_execz .LBB312_3
; %bb.2:
	s_load_dwordx2 s[20:21], s[4:5], 0x28
	s_load_dwordx2 s[24:25], s[4:5], 0x40
	s_and_b64 s[28:29], vcc, exec
	s_cselect_b32 s14, s17, s18
	s_mov_b32 s23, 0x20000
	s_waitcnt lgkmcnt(0)
	s_cselect_b32 s17, s21, s27
	s_cselect_b32 s19, s20, s26
	s_mul_hi_i32 s21, s14, s6
	s_mul_i32 s20, s14, s6
	s_lshl_b64 s[20:21], s[20:21], 1
	s_add_u32 s28, s19, s20
	s_addc_u32 s14, s17, s21
	s_and_b64 s[20:21], vcc, exec
	s_cselect_b32 s20, s24, s8
	s_cselect_b32 s17, s25, s9
	v_lshlrev_b32_e32 v4, 3, v0
	s_and_b32 s29, s14, 0xffff
	s_mov_b32 s30, s22
	s_mov_b32 s31, s23
	s_and_b32 s21, s17, 0xffff
	buffer_load_dwordx2 v[2:3], v4, s[28:31], 0 offen glc slc
	buffer_load_dwordx2 v[6:7], v4, s[20:23], 0 offen
.LBB312_3:
	s_or_b64 exec, exec, s[10:11]
	s_waitcnt vmcnt(1)
	v_cvt_f32_u32_sdwa v5, v3 dst_sel:DWORD dst_unused:UNUSED_PAD src0_sel:WORD_0
	v_cvt_f32_u32_sdwa v8, v2 dst_sel:DWORD dst_unused:UNUSED_PAD src0_sel:WORD_1
	v_cvt_f32_u32_sdwa v4, v3 dst_sel:DWORD dst_unused:UNUSED_PAD src0_sel:WORD_1
	v_cvt_f32_u32_sdwa v9, v2 dst_sel:DWORD dst_unused:UNUSED_PAD src0_sel:WORD_0
	v_cndmask_b32_e64 v2, 0, v5, s[0:1]
	v_cndmask_b32_e64 v5, 0, v8, s[0:1]
	v_cndmask_b32_e64 v3, 0, v4, s[0:1]
	v_cndmask_b32_e64 v4, 0, v9, s[0:1]
	v_mul_f32_e32 v8, v5, v5
	v_fmac_f32_e32 v8, v4, v4
	v_fmac_f32_e32 v8, v2, v2
	;; [unrolled: 1-line block ×3, first 2 shown]
	v_bfrev_b32_e32 v10, 0.5
	s_load_dwordx2 s[24:25], s[4:5], 0x18
	v_mov_b32_dpp v9, v8 quad_perm:[1,0,3,2] row_mask:0xf bank_mask:0xf
	v_add_f32_e32 v8, v8, v9
	s_nop 1
	v_mov_b32_dpp v9, v8 quad_perm:[2,3,0,1] row_mask:0xf bank_mask:0xf
	v_add_f32_e32 v8, v8, v9
	s_nop 1
	v_mov_b32_dpp v9, v8 row_half_mirror row_mask:0xf bank_mask:0xf
	v_add_f32_e32 v8, v8, v9
	s_nop 1
	v_mov_b32_dpp v9, v8 row_mirror row_mask:0xf bank_mask:0xf
	v_add_f32_e32 v8, v8, v9
	s_nop 1
	v_mov_b32_dpp v9, v8 row_bcast:15 row_mask:0xf bank_mask:0xf
	v_add_f32_e32 v8, v8, v9
	s_nop 1
	v_mov_b32_dpp v9, v8 row_bcast:31 row_mask:0xf bank_mask:0xf
	v_add_f32_e32 v9, v8, v9
	v_mbcnt_lo_u32_b32 v8, -1, 0
	v_mbcnt_hi_u32_b32 v8, -1, v8
	v_lshl_or_b32 v8, v8, 2, v10
	ds_bpermute_b32 v9, v8, v9
	s_and_saveexec_b64 s[10:11], s[0:1]
	s_cbranch_execz .LBB312_5
; %bb.4:
	v_cvt_f32_u32_e32 v10, s7
	v_mov_b32_e32 v11, s13
	v_mov_b32_e32 v12, s12
	v_cndmask_b32_e32 v11, v11, v12, vcc
	s_waitcnt lgkmcnt(0)
	v_div_scale_f32 v13, s[20:21], v10, v10, v9
	v_rcp_f32_e32 v14, v13
	v_div_scale_f32 v12, vcc, v9, v10, v9
	s_mov_b32 s7, 0x800000
	v_fma_f32 v15, -v13, v14, 1.0
	v_fmac_f32_e32 v14, v15, v14
	v_mul_f32_e32 v15, v12, v14
	v_fma_f32 v16, -v13, v15, v12
	v_fmac_f32_e32 v15, v16, v14
	v_fma_f32 v12, -v13, v15, v12
	v_div_fmas_f32 v12, v12, v14, v15
	v_div_fixup_f32 v9, v12, v10, v9
	v_add_f32_e32 v9, v11, v9
	v_mul_f32_e32 v10, 0x4b800000, v9
	v_cmp_gt_f32_e32 vcc, s7, v9
	v_cndmask_b32_e32 v9, v9, v10, vcc
	v_rsq_f32_e32 v9, v9
	s_waitcnt vmcnt(0)
	v_cvt_f32_u32_sdwa v13, v6 dst_sel:DWORD dst_unused:UNUSED_PAD src0_sel:WORD_1
	v_cvt_f32_u32_sdwa v12, v6 dst_sel:DWORD dst_unused:UNUSED_PAD src0_sel:WORD_0
	v_cvt_f32_u32_sdwa v15, v7 dst_sel:DWORD dst_unused:UNUSED_PAD src0_sel:WORD_1
	v_mul_f32_e32 v10, 0x45800000, v9
	v_cndmask_b32_e32 v10, v9, v10, vcc
	v_mov_b32_e32 v11, v10
	;;#ASMSTART
	v_pk_mul_f32 v[4:5], v[4:5], v[10:11]
	;;#ASMEND
	;;#ASMSTART
	v_pk_mul_f32 v[2:3], v[2:3], v[10:11]
	;;#ASMEND
	v_cvt_f32_u32_sdwa v14, v7 dst_sel:DWORD dst_unused:UNUSED_PAD src0_sel:WORD_0
	;;#ASMSTART
	v_pk_mul_f32 v[4:5], v[4:5], v[12:13]
	;;#ASMEND
	;;#ASMSTART
	v_pk_mul_f32 v[2:3], v[2:3], v[14:15]
	;;#ASMEND
.LBB312_5:
	s_or_b64 exec, exec, s[10:11]
	s_load_dword s7, s[4:5], 0x80
	s_mov_b64 s[10:11], -1
	s_and_b64 vcc, exec, s[2:3]
	s_cbranch_vccnz .LBB312_9
; %bb.6:
	s_andn2_b64 vcc, exec, s[10:11]
	s_cbranch_vccz .LBB312_12
.LBB312_7:
	s_cmp_lt_i32 s16, 1
	s_cbranch_scc0 .LBB312_19
.LBB312_8:
	s_endpgm
.LBB312_9:
	s_and_saveexec_b64 s[2:3], s[0:1]
	s_cbranch_execz .LBB312_11
; %bb.10:
	s_waitcnt lgkmcnt(0)
	s_mul_hi_i32 s11, s7, s6
	s_mul_i32 s10, s7, s6
	s_lshl_b64 s[10:11], s[10:11], 1
	s_add_u32 s20, s24, s10
	s_addc_u32 s10, s25, s11
	s_and_b32 s21, s10, 0xffff
	s_mov_b32 s10, 0x7060302
	s_mov_b32 s23, 0x20000
	s_waitcnt vmcnt(0)
	v_perm_b32 v6, v5, v4, s10
	v_perm_b32 v7, v3, v2, s10
	v_lshlrev_b32_e32 v9, 3, v0
	buffer_store_dwordx2 v[6:7], v9, s[20:23], 0 offen
	;;#ASMSTART
	s_nop 0
	;;#ASMEND
.LBB312_11:
	s_or_b64 exec, exec, s[2:3]
	s_cbranch_execnz .LBB312_7
.LBB312_12:
	s_waitcnt vmcnt(0)
	v_mov_b32_e32 v6, 0
	s_and_saveexec_b64 s[2:3], s[0:1]
	s_cbranch_execz .LBB312_14
; %bb.13:
	v_and_b32_e32 v6, 0x7fffffff, v4
	v_and_b32_e32 v7, 0x7fffffff, v5
	s_waitcnt lgkmcnt(0)
	v_mov_b32_e32 v9, 0x2edbe6ff
	;;#ASMSTART
	v_max3_f32 v6, v9, v6, v7

	;;#ASMEND
	v_and_b32_e32 v7, 0x7fffffff, v2
	v_and_b32_e32 v9, 0x7fffffff, v3
	;;#ASMSTART
	v_max3_f32 v6, v6, v7, v9

	;;#ASMEND
.LBB312_14:
	s_or_b64 exec, exec, s[2:3]
	s_load_dwordx4 s[20:23], s[4:5], 0x70
	;;#ASMSTART
	v_max_f32 v7, v6, v6 quad_perm:[1,0,3,2] row_mask:0xf bank_mask:0xf bound_ctrl:1
	;;#ASMEND
	;;#ASMSTART
	v_max_f32 v6, v7, v7 quad_perm:[2,3,0,1] row_mask:0xf bank_mask:0xf bound_ctrl:1
	;;#ASMEND
	;;#ASMSTART
	v_max_f32 v7, v6, v6 row_half_mirror row_mask:0xf bank_mask:0xf bound_ctrl:1
	;;#ASMEND
	v_mul_f32_e32 v6, 0x3b124925, v7
	v_and_b32_e32 v7, 7, v0
	v_cmp_eq_u32_e32 vcc, 0, v7
	v_cmp_gt_i32_e64 s[2:3], s15, v1
	s_and_b64 s[10:11], vcc, s[2:3]
	s_and_saveexec_b64 s[2:3], s[10:11]
	s_cbranch_execz .LBB312_16
; %bb.15:
	s_load_dwordx2 s[10:11], s[4:5], 0x8
	v_lshrrev_b32_e32 v7, 3, v0
	s_waitcnt lgkmcnt(0)
	s_mul_hi_i32 s29, s21, s6
	s_mul_i32 s28, s21, s6
	v_mad_i64_i32 v[10:11], s[22:23], s22, v7, 0
	s_lshl_b64 s[22:23], s[28:29], 2
	s_add_u32 s10, s10, s22
	s_addc_u32 s11, s11, s23
	v_lshlrev_b64 v[10:11], 2, v[10:11]
	v_mov_b32_e32 v7, s11
	v_add_co_u32_e32 v10, vcc, s10, v10
	v_addc_co_u32_e32 v11, vcc, v7, v11, vcc
	global_store_dword v[10:11], v6, off
.LBB312_16:
	s_or_b64 exec, exec, s[2:3]
	;;#ASMSTART
	v_rcp_f32 v6, v6
	;;#ASMEND
	s_and_saveexec_b64 s[2:3], s[0:1]
	s_cbranch_execz .LBB312_18
; %bb.17:
	s_load_dwordx2 s[0:1], s[4:5], 0x0
	s_waitcnt lgkmcnt(0)
	s_mul_i32 s11, s20, s6
	s_mul_hi_i32 s10, s20, s6
	v_mov_b32_e32 v7, v6
	;;#ASMSTART
	v_pk_mul_f32 v[4:5], v[4:5], v[6:7]
	;;#ASMEND
	s_add_u32 s20, s0, s11
	s_addc_u32 s0, s1, s10
	s_add_i32 s1, s15, 3
	s_ashr_i32 s10, s1, 31
	s_and_b32 s21, s0, 0xffff
	s_lshr_b32 s0, s10, 30
	v_mov_b32_e32 v9, 0xc3e00000
	v_mov_b32_e32 v10, 0x43e00000
	;;#ASMSTART
	v_med3_f32 v4, v4, v9, v10
v_med3_f32 v5, v5, v9, v10
v_cvt_pk_fp8_f32 v11, v4, v5
	;;#ASMEND
	;;#ASMSTART
	v_pk_mul_f32 v[2:3], v[2:3], v[6:7]
	;;#ASMEND
	s_add_i32 s1, s1, s0
	;;#ASMSTART
	v_med3_f32 v2, v2, v9, v10
v_med3_f32 v3, v3, v9, v10
v_cvt_pk_fp8_f32 v4, v2, v3
	;;#ASMEND
	s_mov_b32 s0, 0x5040100
	s_and_b32 s22, s1, -4
	s_mov_b32 s23, 0x20000
	v_perm_b32 v2, v4, v11, s0
	buffer_store_dword v2, v1, s[20:23], 0 offen
	;;#ASMSTART
	s_nop 0
	;;#ASMEND
.LBB312_18:
	s_or_b64 exec, exec, s[2:3]
	s_cmp_lt_i32 s16, 1
	s_cbranch_scc1 .LBB312_8
.LBB312_19:
	s_load_dword s0, s[4:5], 0x94
	s_waitcnt lgkmcnt(0)
	s_cmp_lg_u32 s0, 1
	s_cbranch_scc1 .LBB312_8
; %bb.20:
	s_lshl_b32 s0, s16, 1
	s_add_i32 s0, s0, 2
	v_cmp_gt_u32_e32 vcc, s16, v1
	s_and_b32 s10, s0, -4
	v_mov_b32_e32 v2, 0
	s_waitcnt vmcnt(0)
	v_lshlrev_b32_e32 v6, 3, v0
	v_mov_b32_e32 v3, 0
	v_mov_b32_e32 v0, 0
	;; [unrolled: 1-line block ×3, first 2 shown]
	s_barrier
	s_and_saveexec_b64 s[0:1], vcc
	s_cbranch_execz .LBB312_22
; %bb.21:
	s_mul_hi_i32 s3, s18, s6
	s_mul_i32 s2, s18, s6
	s_and_b32 s9, s9, 0xffff
	s_lshl_b64 s[2:3], s[2:3], 1
	s_add_u32 s20, s26, s2
	s_mov_b32 s11, 0x20000
	s_addc_u32 s2, s27, s3
	s_and_b32 s21, s2, 0xffff
	s_mov_b32 s22, s10
	s_mov_b32 s23, s11
	buffer_load_dwordx2 v[2:3], v6, s[20:23], 0 offen glc slc
	buffer_load_dwordx2 v[0:1], v6, s[8:11], 0 offen
.LBB312_22:
	s_or_b64 exec, exec, s[0:1]
	s_waitcnt vmcnt(1)
	v_cvt_f32_u32_sdwa v5, v3 dst_sel:DWORD dst_unused:UNUSED_PAD src0_sel:WORD_0
	v_cvt_f32_u32_sdwa v7, v2 dst_sel:DWORD dst_unused:UNUSED_PAD src0_sel:WORD_1
	v_cvt_f32_u32_sdwa v4, v3 dst_sel:DWORD dst_unused:UNUSED_PAD src0_sel:WORD_1
	v_cvt_f32_u32_sdwa v9, v2 dst_sel:DWORD dst_unused:UNUSED_PAD src0_sel:WORD_0
	v_cndmask_b32_e32 v2, 0, v5, vcc
	v_cndmask_b32_e32 v5, 0, v7, vcc
	;; [unrolled: 1-line block ×4, first 2 shown]
	v_mul_f32_e32 v7, v5, v5
	v_fmac_f32_e32 v7, v4, v4
	v_fmac_f32_e32 v7, v2, v2
	;; [unrolled: 1-line block ×3, first 2 shown]
	s_nop 1
	v_mov_b32_dpp v9, v7 quad_perm:[1,0,3,2] row_mask:0xf bank_mask:0xf
	v_add_f32_e32 v7, v7, v9
	s_nop 1
	v_mov_b32_dpp v9, v7 quad_perm:[2,3,0,1] row_mask:0xf bank_mask:0xf
	v_add_f32_e32 v7, v7, v9
	s_nop 1
	v_mov_b32_dpp v9, v7 row_half_mirror row_mask:0xf bank_mask:0xf
	v_add_f32_e32 v7, v7, v9
	s_nop 1
	v_mov_b32_dpp v9, v7 row_mirror row_mask:0xf bank_mask:0xf
	v_add_f32_e32 v7, v7, v9
	s_nop 1
	v_mov_b32_dpp v9, v7 row_bcast:15 row_mask:0xf bank_mask:0xf
	v_add_f32_e32 v7, v7, v9
	s_nop 1
	v_mov_b32_dpp v9, v7 row_bcast:31 row_mask:0xf bank_mask:0xf
	v_add_f32_e32 v7, v7, v9
	ds_bpermute_b32 v7, v8, v7
	s_and_saveexec_b64 s[0:1], vcc
	s_cbranch_execz .LBB312_8
; %bb.23:
	v_cvt_f32_u32_e32 v8, s16
	s_mov_b32 s11, 0x20000
	s_waitcnt lgkmcnt(0)
	v_div_scale_f32 v9, s[0:1], v8, v8, v7
	v_rcp_f32_e32 v10, v9
	v_div_scale_f32 v11, vcc, v7, v8, v7
	s_mov_b32 s0, 0x800000
	v_fma_f32 v12, -v9, v10, 1.0
	v_fmac_f32_e32 v10, v12, v10
	v_mul_f32_e32 v12, v11, v10
	v_fma_f32 v13, -v9, v12, v11
	v_fmac_f32_e32 v12, v13, v10
	v_fma_f32 v9, -v9, v12, v11
	v_div_fmas_f32 v9, v9, v10, v12
	v_div_fixup_f32 v7, v9, v8, v7
	v_add_f32_e32 v7, s13, v7
	v_mul_f32_e32 v8, 0x4b800000, v7
	v_cmp_gt_f32_e32 vcc, s0, v7
	v_cndmask_b32_e32 v7, v7, v8, vcc
	v_rsq_f32_e32 v7, v7
	s_mul_hi_i32 s1, s7, s6
	s_mul_i32 s0, s7, s6
	s_waitcnt vmcnt(0)
	v_cvt_f32_u32_sdwa v9, v0 dst_sel:DWORD dst_unused:UNUSED_PAD src0_sel:WORD_1
	v_cvt_f32_u32_sdwa v8, v0 dst_sel:DWORD dst_unused:UNUSED_PAD src0_sel:WORD_0
	v_mul_f32_e32 v0, 0x45800000, v7
	s_lshl_b64 s[0:1], s[0:1], 1
	v_cndmask_b32_e32 v12, v7, v0, vcc
	s_add_u32 s8, s24, s0
	v_cvt_f32_u32_sdwa v11, v1 dst_sel:DWORD dst_unused:UNUSED_PAD src0_sel:WORD_1
	v_mov_b32_e32 v13, v12
	v_cvt_f32_u32_sdwa v10, v1 dst_sel:DWORD dst_unused:UNUSED_PAD src0_sel:WORD_0
	;;#ASMSTART
	v_pk_mul_f32 v[0:1], v[4:5], v[12:13]
	;;#ASMEND
	s_addc_u32 s0, s25, s1
	;;#ASMSTART
	v_pk_mul_f32 v[2:3], v[2:3], v[12:13]
	;;#ASMEND
	;;#ASMSTART
	v_pk_mul_f32 v[0:1], v[0:1], v[8:9]
	;;#ASMEND
	s_and_b32 s9, s0, 0xffff
	s_mov_b32 s0, 0x7060302
	;;#ASMSTART
	v_pk_mul_f32 v[2:3], v[2:3], v[10:11]
	;;#ASMEND
	v_perm_b32 v0, v1, v0, s0
	v_perm_b32 v1, v3, v2, s0
	buffer_store_dwordx2 v[0:1], v6, s[8:11], 0 offen
	;;#ASMSTART
	s_nop 0
	;;#ASMEND
	s_endpgm
	.section	.rodata,"a",@progbits
	.p2align	6, 0x0
	.amdhsa_kernel _ZN5aiter35fused_qk_rmsnorm_group_quant_kernelItDB8_Li64ELi4ELi8ELb0ELb0ELb0ELb0ELb0ELb0EEEvPT0_PvPT_S6_S6_PKS5_S8_S8_S8_S8_ffiiiiiiiiiiiii
		.amdhsa_group_segment_fixed_size 0
		.amdhsa_private_segment_fixed_size 0
		.amdhsa_kernarg_size 400
		.amdhsa_user_sgpr_count 6
		.amdhsa_user_sgpr_private_segment_buffer 1
		.amdhsa_user_sgpr_dispatch_ptr 0
		.amdhsa_user_sgpr_queue_ptr 0
		.amdhsa_user_sgpr_kernarg_segment_ptr 1
		.amdhsa_user_sgpr_dispatch_id 0
		.amdhsa_user_sgpr_flat_scratch_init 0
		.amdhsa_user_sgpr_kernarg_preload_length 0
		.amdhsa_user_sgpr_kernarg_preload_offset 0
		.amdhsa_user_sgpr_private_segment_size 0
		.amdhsa_uses_dynamic_stack 0
		.amdhsa_system_sgpr_private_segment_wavefront_offset 0
		.amdhsa_system_sgpr_workgroup_id_x 1
		.amdhsa_system_sgpr_workgroup_id_y 1
		.amdhsa_system_sgpr_workgroup_id_z 0
		.amdhsa_system_sgpr_workgroup_info 0
		.amdhsa_system_vgpr_workitem_id 0
		.amdhsa_next_free_vgpr 17
		.amdhsa_next_free_sgpr 32
		.amdhsa_accum_offset 20
		.amdhsa_reserve_vcc 1
		.amdhsa_reserve_flat_scratch 0
		.amdhsa_float_round_mode_32 0
		.amdhsa_float_round_mode_16_64 0
		.amdhsa_float_denorm_mode_32 3
		.amdhsa_float_denorm_mode_16_64 3
		.amdhsa_dx10_clamp 1
		.amdhsa_ieee_mode 1
		.amdhsa_fp16_overflow 0
		.amdhsa_tg_split 0
		.amdhsa_exception_fp_ieee_invalid_op 0
		.amdhsa_exception_fp_denorm_src 0
		.amdhsa_exception_fp_ieee_div_zero 0
		.amdhsa_exception_fp_ieee_overflow 0
		.amdhsa_exception_fp_ieee_underflow 0
		.amdhsa_exception_fp_ieee_inexact 0
		.amdhsa_exception_int_div_zero 0
	.end_amdhsa_kernel
	.section	.text._ZN5aiter35fused_qk_rmsnorm_group_quant_kernelItDB8_Li64ELi4ELi8ELb0ELb0ELb0ELb0ELb0ELb0EEEvPT0_PvPT_S6_S6_PKS5_S8_S8_S8_S8_ffiiiiiiiiiiiii,"axG",@progbits,_ZN5aiter35fused_qk_rmsnorm_group_quant_kernelItDB8_Li64ELi4ELi8ELb0ELb0ELb0ELb0ELb0ELb0EEEvPT0_PvPT_S6_S6_PKS5_S8_S8_S8_S8_ffiiiiiiiiiiiii,comdat
.Lfunc_end312:
	.size	_ZN5aiter35fused_qk_rmsnorm_group_quant_kernelItDB8_Li64ELi4ELi8ELb0ELb0ELb0ELb0ELb0ELb0EEEvPT0_PvPT_S6_S6_PKS5_S8_S8_S8_S8_ffiiiiiiiiiiiii, .Lfunc_end312-_ZN5aiter35fused_qk_rmsnorm_group_quant_kernelItDB8_Li64ELi4ELi8ELb0ELb0ELb0ELb0ELb0ELb0EEEvPT0_PvPT_S6_S6_PKS5_S8_S8_S8_S8_ffiiiiiiiiiiiii
                                        ; -- End function
	.section	.AMDGPU.csdata,"",@progbits
; Kernel info:
; codeLenInByte = 1868
; NumSgprs: 36
; NumVgprs: 17
; NumAgprs: 0
; TotalNumVgprs: 17
; ScratchSize: 0
; MemoryBound: 0
; FloatMode: 240
; IeeeMode: 1
; LDSByteSize: 0 bytes/workgroup (compile time only)
; SGPRBlocks: 4
; VGPRBlocks: 2
; NumSGPRsForWavesPerEU: 36
; NumVGPRsForWavesPerEU: 17
; AccumOffset: 20
; Occupancy: 8
; WaveLimiterHint : 0
; COMPUTE_PGM_RSRC2:SCRATCH_EN: 0
; COMPUTE_PGM_RSRC2:USER_SGPR: 6
; COMPUTE_PGM_RSRC2:TRAP_HANDLER: 0
; COMPUTE_PGM_RSRC2:TGID_X_EN: 1
; COMPUTE_PGM_RSRC2:TGID_Y_EN: 1
; COMPUTE_PGM_RSRC2:TGID_Z_EN: 0
; COMPUTE_PGM_RSRC2:TIDIG_COMP_CNT: 0
; COMPUTE_PGM_RSRC3_GFX90A:ACCUM_OFFSET: 4
; COMPUTE_PGM_RSRC3_GFX90A:TG_SPLIT: 0
	.section	.text._ZN5aiter35fused_qk_rmsnorm_group_quant_kernelIDF16_DB8_Li128ELi8ELi16ELb1ELb1ELb1ELb1ELb0ELb0EEEvPT0_PvPT_S6_S6_PKS5_S8_S8_S8_S8_ffiiiiiiiiiiiii,"axG",@progbits,_ZN5aiter35fused_qk_rmsnorm_group_quant_kernelIDF16_DB8_Li128ELi8ELi16ELb1ELb1ELb1ELb1ELb0ELb0EEEvPT0_PvPT_S6_S6_PKS5_S8_S8_S8_S8_ffiiiiiiiiiiiii,comdat
	.protected	_ZN5aiter35fused_qk_rmsnorm_group_quant_kernelIDF16_DB8_Li128ELi8ELi16ELb1ELb1ELb1ELb1ELb0ELb0EEEvPT0_PvPT_S6_S6_PKS5_S8_S8_S8_S8_ffiiiiiiiiiiiii ; -- Begin function _ZN5aiter35fused_qk_rmsnorm_group_quant_kernelIDF16_DB8_Li128ELi8ELi16ELb1ELb1ELb1ELb1ELb0ELb0EEEvPT0_PvPT_S6_S6_PKS5_S8_S8_S8_S8_ffiiiiiiiiiiiii
	.globl	_ZN5aiter35fused_qk_rmsnorm_group_quant_kernelIDF16_DB8_Li128ELi8ELi16ELb1ELb1ELb1ELb1ELb0ELb0EEEvPT0_PvPT_S6_S6_PKS5_S8_S8_S8_S8_ffiiiiiiiiiiiii
	.p2align	8
	.type	_ZN5aiter35fused_qk_rmsnorm_group_quant_kernelIDF16_DB8_Li128ELi8ELi16ELb1ELb1ELb1ELb1ELb0ELb0EEEvPT0_PvPT_S6_S6_PKS5_S8_S8_S8_S8_ffiiiiiiiiiiiii,@function
_ZN5aiter35fused_qk_rmsnorm_group_quant_kernelIDF16_DB8_Li128ELi8ELi16ELb1ELb1ELb1ELb1ELb0ELb0EEEvPT0_PvPT_S6_S6_PKS5_S8_S8_S8_S8_ffiiiiiiiiiiiii: ; @_ZN5aiter35fused_qk_rmsnorm_group_quant_kernelIDF16_DB8_Li128ELi8ELi16ELb1ELb1ELb1ELb1ELb0ELb0EEEvPT0_PvPT_S6_S6_PKS5_S8_S8_S8_S8_ffiiiiiiiiiiiii
; %bb.0:
	s_load_dwordx8 s[12:19], s[4:5], 0x50
	s_waitcnt lgkmcnt(0)
	s_cmp_ge_i32 s6, s14
	s_cbranch_scc1 .LBB313_17
; %bb.1:
	s_cmp_lg_u32 s7, 0
	s_cselect_b64 s[22:23], -1, 0
	s_cmp_eq_u32 s7, 0
	s_cselect_b64 s[2:3], -1, 0
	s_and_b64 s[0:1], s[2:3], exec
	s_cselect_b32 s7, s15, s16
	s_load_dwordx2 s[10:11], s[4:5], 0x30
	s_load_dwordx2 s[20:21], s[4:5], 0x48
	s_add_i32 s0, s7, 1
	s_lshr_b32 s1, s0, 31
	s_add_i32 s0, s0, s1
	s_lshl_b32 s0, s0, 1
	v_lshlrev_b32_e32 v1, 3, v0
	s_and_b32 s30, s0, -4
	v_cmp_gt_i32_e64 s[0:1], s7, v1
	v_mov_b32_e32 v2, 0
	v_mov_b32_e32 v3, 0
	v_mov_b32_e32 v4, 0
	v_mov_b32_e32 v5, 0
	v_mov_b32_e32 v6, 0
	v_mov_b32_e32 v7, 0
	v_mov_b32_e32 v8, 0
	v_mov_b32_e32 v9, 0
	s_and_saveexec_b64 s[8:9], s[0:1]
	s_cbranch_execz .LBB313_3
; %bb.2:
	s_load_dwordx2 s[14:15], s[4:5], 0x28
	s_load_dwordx2 s[26:27], s[4:5], 0x40
	s_and_b64 s[24:25], s[2:3], exec
	s_cselect_b32 s17, s17, s18
	s_mov_b32 s31, 0x20000
	s_waitcnt lgkmcnt(0)
	s_cselect_b32 s25, s15, s11
	s_cselect_b32 s24, s14, s10
	s_mul_hi_i32 s15, s17, s6
	s_mul_i32 s14, s17, s6
	s_lshl_b64 s[14:15], s[14:15], 1
	s_add_u32 s24, s24, s14
	s_addc_u32 s17, s25, s15
	s_and_b64 s[14:15], s[2:3], exec
	s_cselect_b32 s28, s26, s20
	s_cselect_b32 s14, s27, s21
	v_lshlrev_b32_e32 v10, 4, v0
	s_and_b32 s25, s17, 0xffff
	s_mov_b32 s26, s30
	s_mov_b32 s27, s31
	s_and_b32 s29, s14, 0xffff
	buffer_load_dwordx4 v[6:9], v10, s[24:27], 0 offen glc slc
	buffer_load_dwordx4 v[2:5], v10, s[28:31], 0 offen
.LBB313_3:
	s_or_b64 exec, exec, s[8:9]
	s_load_dwordx4 s[24:27], s[4:5], 0x7c
	s_and_b64 vcc, exec, s[22:23]
	s_cbranch_vccz .LBB313_7
; %bb.4:
	v_mov_b32_e32 v11, 0
	v_mov_b32_e32 v10, 0
	;; [unrolled: 1-line block ×8, first 2 shown]
	s_and_saveexec_b64 s[8:9], s[0:1]
	s_cbranch_execz .LBB313_6
; %bb.5:
	s_waitcnt vmcnt(1)
	v_cvt_f32_f16_sdwa v13, v6 dst_sel:DWORD dst_unused:UNUSED_PAD src0_sel:WORD_1
	v_cvt_f32_f16_e32 v12, v6
	v_cvt_f32_f16_sdwa v17, v7 dst_sel:DWORD dst_unused:UNUSED_PAD src0_sel:WORD_1
	v_cvt_f32_f16_e32 v16, v7
	;; [unrolled: 2-line block ×4, first 2 shown]
.LBB313_6:
	s_or_b64 exec, exec, s[8:9]
	s_cbranch_execz .LBB313_8
	s_branch .LBB313_11
.LBB313_7:
                                        ; implicit-def: $vgpr11
                                        ; implicit-def: $vgpr15
                                        ; implicit-def: $vgpr17
                                        ; implicit-def: $vgpr13
.LBB313_8:
	v_mov_b32_e32 v11, 0
	v_mov_b32_e32 v10, 0
	v_mov_b32_e32 v15, 0
	v_mov_b32_e32 v14, 0
	v_mov_b32_e32 v17, 0
	v_mov_b32_e32 v16, 0
	v_mov_b32_e32 v13, 0
	v_mov_b32_e32 v12, 0
	s_and_saveexec_b64 s[8:9], s[0:1]
	s_cbranch_execz .LBB313_10
; %bb.9:
	s_load_dwordx2 s[14:15], s[4:5], 0x38
	s_mul_hi_i32 s29, s19, s6
	s_mul_i32 s28, s19, s6
	s_lshl_b64 s[28:29], s[28:29], 1
	s_mov_b32 s31, 0x20000
	s_waitcnt lgkmcnt(0)
	s_add_u32 s28, s14, s28
	s_addc_u32 s14, s15, s29
	s_and_b32 s29, s14, 0xffff
	v_lshlrev_b32_e32 v24, 4, v0
	buffer_load_dwordx4 v[10:13], v24, s[28:31], 0 offen glc slc
	s_waitcnt vmcnt(2)
	v_cvt_f32_f16_sdwa v15, v6 dst_sel:DWORD dst_unused:UNUSED_PAD src0_sel:WORD_1
	v_cvt_f32_f16_e32 v14, v6
	v_cvt_f32_f16_sdwa v17, v7 dst_sel:DWORD dst_unused:UNUSED_PAD src0_sel:WORD_1
	v_cvt_f32_f16_e32 v16, v7
	;; [unrolled: 2-line block ×4, first 2 shown]
	s_load_dwordx2 s[14:15], s[4:5], 0x20
	s_mul_hi_i32 s27, s26, s6
	s_mul_i32 s26, s26, s6
	s_lshl_b64 s[26:27], s[26:27], 1
	s_waitcnt lgkmcnt(0)
	s_add_u32 s28, s14, s26
	s_addc_u32 s14, s15, s27
	s_and_b32 s29, s14, 0xffff
	s_waitcnt vmcnt(0)
	v_cvt_f32_f16_e32 v8, v10
	v_cvt_f32_f16_sdwa v9, v10 dst_sel:DWORD dst_unused:UNUSED_PAD src0_sel:WORD_1
	v_cvt_f32_f16_e32 v10, v11
	v_cvt_f32_f16_sdwa v11, v11 dst_sel:DWORD dst_unused:UNUSED_PAD src0_sel:WORD_1
	;; [unrolled: 2-line block ×4, first 2 shown]
	v_pk_add_f32 v[12:13], v[14:15], v[8:9]
	v_pk_add_f32 v[16:17], v[16:17], v[10:11]
	;; [unrolled: 1-line block ×4, first 2 shown]
	v_cvt_f16_f32_e32 v6, v13
	v_cvt_f16_f32_e32 v7, v17
	;; [unrolled: 1-line block ×8, first 2 shown]
	v_pack_b32_f16 v9, v18, v9
	v_pack_b32_f16 v8, v19, v8
	;; [unrolled: 1-line block ×4, first 2 shown]
	buffer_store_dwordx4 v[6:9], v24, s[28:31], 0 offen glc slc
	;;#ASMSTART
	s_nop 0
	;;#ASMEND
.LBB313_10:
	s_or_b64 exec, exec, s[8:9]
.LBB313_11:
	s_waitcnt vmcnt(1)
	v_mul_f32_e32 v6, v13, v13
	v_fmac_f32_e32 v6, v12, v12
	v_fmac_f32_e32 v6, v16, v16
	;; [unrolled: 1-line block ×7, first 2 shown]
	v_and_b32_e32 v8, 63, v0
	v_cmp_eq_u32_e64 s[8:9], 63, v8
	v_mov_b32_dpp v7, v6 quad_perm:[1,0,3,2] row_mask:0xf bank_mask:0xf
	v_add_f32_e32 v6, v6, v7
	s_nop 1
	v_mov_b32_dpp v7, v6 quad_perm:[2,3,0,1] row_mask:0xf bank_mask:0xf
	v_add_f32_e32 v6, v6, v7
	s_nop 1
	v_mov_b32_dpp v7, v6 row_half_mirror row_mask:0xf bank_mask:0xf
	v_add_f32_e32 v6, v6, v7
	s_nop 1
	v_mov_b32_dpp v7, v6 row_mirror row_mask:0xf bank_mask:0xf
	v_add_f32_e32 v6, v6, v7
	s_nop 1
	v_mov_b32_dpp v7, v6 row_bcast:15 row_mask:0xf bank_mask:0xf
	v_add_f32_e32 v6, v6, v7
	s_nop 1
	v_mov_b32_dpp v7, v6 row_bcast:31 row_mask:0xf bank_mask:0xf
	s_and_saveexec_b64 s[14:15], s[8:9]
	s_cbranch_execz .LBB313_13
; %bb.12:
	v_add_f32_e32 v6, v6, v7
	v_lshrrev_b32_e32 v7, 4, v0
	v_and_b32_e32 v7, 60, v7
	ds_write_b32 v7, v6 offset:8
.LBB313_13:
	s_or_b64 exec, exec, s[14:15]
	v_and_b32_e32 v6, 1, v0
	v_lshlrev_b32_e32 v18, 2, v6
	s_waitcnt lgkmcnt(0)
	s_barrier
	ds_read_b32 v6, v18 offset:8
	s_load_dwordx2 s[14:15], s[4:5], 0x18
	s_waitcnt lgkmcnt(0)
	v_mov_b32_dpp v7, v6 quad_perm:[1,0,3,2] row_mask:0xf bank_mask:0xf
	s_and_saveexec_b64 s[26:27], s[0:1]
	s_cbranch_execnz .LBB313_18
; %bb.14:
	s_or_b64 exec, exec, s[26:27]
	s_mov_b64 s[2:3], -1
	s_and_b64 vcc, exec, s[22:23]
	s_cbranch_vccnz .LBB313_19
.LBB313_15:
	s_andn2_b64 vcc, exec, s[2:3]
	s_cbranch_vccz .LBB313_22
.LBB313_16:
	s_cmp_lt_i32 s16, 1
	s_cbranch_scc0 .LBB313_25
.LBB313_17:
	s_endpgm
.LBB313_18:
	v_cvt_f32_u32_e32 v8, s7
	v_add_f32_e32 v6, v6, v7
	v_mov_b32_e32 v19, s13
	v_mov_b32_e32 v20, s12
	v_div_scale_f32 v7, s[28:29], v8, v8, v6
	v_rcp_f32_e32 v9, v7
	v_cndmask_b32_e64 v19, v19, v20, s[2:3]
	s_mov_b32 s2, 0x800000
	v_fma_f32 v20, -v7, v9, 1.0
	v_fmac_f32_e32 v9, v20, v9
	v_div_scale_f32 v20, vcc, v6, v8, v6
	v_mul_f32_e32 v21, v20, v9
	v_fma_f32 v22, -v7, v21, v20
	v_fmac_f32_e32 v21, v22, v9
	v_fma_f32 v7, -v7, v21, v20
	v_div_fmas_f32 v7, v7, v9, v21
	v_div_fixup_f32 v6, v7, v8, v6
	v_add_f32_e32 v6, v19, v6
	v_mul_f32_e32 v7, 0x4b800000, v6
	v_cmp_gt_f32_e32 vcc, s2, v6
	v_cndmask_b32_e32 v6, v6, v7, vcc
	v_rsq_f32_e32 v6, v6
	s_waitcnt vmcnt(0)
	v_cvt_f32_f16_sdwa v21, v3 dst_sel:DWORD dst_unused:UNUSED_PAD src0_sel:WORD_1
	v_cvt_f32_f16_e32 v20, v3
	v_mul_f32_e32 v7, 0x45800000, v6
	v_cndmask_b32_e32 v6, v6, v7, vcc
	v_mov_b32_e32 v7, v6
	;;#ASMSTART
	v_pk_mul_f32 v[8:9], v[12:13], v[6:7]
	;;#ASMEND
	v_cvt_f32_f16_sdwa v13, v2 dst_sel:DWORD dst_unused:UNUSED_PAD src0_sel:WORD_1
	v_cvt_f32_f16_e32 v12, v2
	;;#ASMSTART
	v_pk_mul_f32 v[16:17], v[16:17], v[6:7]
	;;#ASMEND
	;;#ASMSTART
	v_pk_mul_f32 v[14:15], v[14:15], v[6:7]
	;;#ASMEND
	;; [unrolled: 3-line block ×3, first 2 shown]
	v_pk_add_f32 v[6:7], v[12:13], 1.0 op_sel_hi:[1,0]
	;;#ASMSTART
	v_pk_mul_f32 v[12:13], v[8:9], v[6:7]
	;;#ASMEND
	v_cvt_f32_f16_sdwa v9, v4 dst_sel:DWORD dst_unused:UNUSED_PAD src0_sel:WORD_1
	v_cvt_f32_f16_e32 v8, v4
	v_cvt_f32_f16_sdwa v11, v5 dst_sel:DWORD dst_unused:UNUSED_PAD src0_sel:WORD_1
	v_cvt_f32_f16_e32 v10, v5
	v_pk_add_f32 v[6:7], v[20:21], 1.0 op_sel_hi:[1,0]
	v_pk_add_f32 v[4:5], v[8:9], 1.0 op_sel_hi:[1,0]
	;;#ASMSTART
	v_pk_mul_f32 v[16:17], v[16:17], v[6:7]
	;;#ASMEND
	;;#ASMSTART
	v_pk_mul_f32 v[14:15], v[14:15], v[4:5]
	;;#ASMEND
	v_pk_add_f32 v[4:5], v[10:11], 1.0 op_sel_hi:[1,0]
	;;#ASMSTART
	v_pk_mul_f32 v[10:11], v[2:3], v[4:5]
	;;#ASMEND
	s_or_b64 exec, exec, s[26:27]
	s_mov_b64 s[2:3], -1
	s_and_b64 vcc, exec, s[22:23]
	s_cbranch_vccz .LBB313_15
.LBB313_19:
	s_and_saveexec_b64 s[2:3], s[0:1]
	s_cbranch_execz .LBB313_21
; %bb.20:
	s_mul_hi_i32 s23, s25, s6
	s_mul_i32 s22, s25, s6
	s_waitcnt vmcnt(0)
	v_cvt_f16_f32_e32 v2, v12
	v_cvt_f16_f32_e32 v3, v16
	;; [unrolled: 1-line block ×8, first 2 shown]
	s_lshl_b64 s[22:23], s[22:23], 1
	s_add_u32 s28, s14, s22
	s_addc_u32 s7, s15, s23
	s_and_b32 s29, s7, 0xffff
	s_mov_b32 s31, 0x20000
	v_pack_b32_f16 v5, v5, v6
	v_pack_b32_f16 v4, v4, v7
	;; [unrolled: 1-line block ×4, first 2 shown]
	v_lshlrev_b32_e32 v6, 4, v0
	buffer_store_dwordx4 v[2:5], v6, s[28:31], 0 offen
	;;#ASMSTART
	s_nop 0
	;;#ASMEND
.LBB313_21:
	s_or_b64 exec, exec, s[2:3]
	s_cbranch_execnz .LBB313_16
.LBB313_22:
	s_and_saveexec_b64 s[2:3], s[0:1]
	s_cbranch_execz .LBB313_24
; %bb.23:
	s_load_dwordx2 s[0:1], s[4:5], 0x10
	s_mul_hi_i32 s23, s24, s6
	s_mul_i32 s22, s24, s6
	s_waitcnt vmcnt(0)
	v_cvt_f16_f32_e32 v2, v12
	v_cvt_f16_f32_e32 v3, v16
	;; [unrolled: 1-line block ×8, first 2 shown]
	s_lshl_b64 s[22:23], s[22:23], 1
	s_waitcnt lgkmcnt(0)
	s_add_u32 s28, s0, s22
	s_addc_u32 s0, s1, s23
	s_mov_b32 s31, 0x20000
	s_and_b32 s29, s0, 0xffff
	v_pack_b32_f16 v5, v5, v6
	v_pack_b32_f16 v4, v4, v7
	;; [unrolled: 1-line block ×4, first 2 shown]
	v_lshlrev_b32_e32 v6, 4, v0
	buffer_store_dwordx4 v[2:5], v6, s[28:31], 0 offen
	;;#ASMSTART
	s_nop 0
	;;#ASMEND
.LBB313_24:
	s_or_b64 exec, exec, s[2:3]
	s_cmp_lt_i32 s16, 1
	s_cbranch_scc1 .LBB313_17
.LBB313_25:
	s_load_dword s0, s[4:5], 0x94
	s_waitcnt lgkmcnt(0)
	s_cmp_lg_u32 s0, 1
	s_cbranch_scc1 .LBB313_17
; %bb.26:
	s_lshl_b32 s0, s16, 1
	s_add_i32 s0, s0, 2
	v_cmp_gt_u32_e32 vcc, s16, v1
	s_and_b32 s22, s0, -4
	v_mov_b32_e32 v10, 0
	v_lshlrev_b32_e32 v1, 4, v0
	v_mov_b32_e32 v6, 0
	v_mov_b32_e32 v7, 0
	;; [unrolled: 1-line block ×4, first 2 shown]
	s_waitcnt vmcnt(0)
	v_mov_b32_e32 v2, 0
	v_mov_b32_e32 v3, 0
	;; [unrolled: 1-line block ×4, first 2 shown]
	s_barrier
	s_and_saveexec_b64 s[0:1], vcc
	s_cbranch_execz .LBB313_28
; %bb.27:
	s_mul_hi_i32 s3, s18, s6
	s_mul_i32 s2, s18, s6
	s_and_b32 s21, s21, 0xffff
	s_lshl_b64 s[2:3], s[2:3], 1
	s_add_u32 s28, s10, s2
	s_mov_b32 s23, 0x20000
	s_addc_u32 s2, s11, s3
	s_and_b32 s29, s2, 0xffff
	s_mov_b32 s30, s22
	s_mov_b32 s31, s23
	buffer_load_dwordx4 v[6:9], v1, s[28:31], 0 offen glc slc
	buffer_load_dwordx4 v[2:5], v1, s[20:23], 0 offen
.LBB313_28:
	s_or_b64 exec, exec, s[0:1]
	v_mov_b32_e32 v11, 0
	v_mov_b32_e32 v16, 0
	;; [unrolled: 1-line block ×7, first 2 shown]
	s_and_saveexec_b64 s[0:1], vcc
	s_cbranch_execz .LBB313_30
; %bb.29:
	s_waitcnt vmcnt(1)
	v_cvt_f32_f16_sdwa v11, v6 dst_sel:DWORD dst_unused:UNUSED_PAD src0_sel:WORD_1
	v_cvt_f32_f16_e32 v10, v6
	v_cvt_f32_f16_sdwa v17, v7 dst_sel:DWORD dst_unused:UNUSED_PAD src0_sel:WORD_1
	v_cvt_f32_f16_e32 v16, v7
	v_cvt_f32_f16_sdwa v15, v8 dst_sel:DWORD dst_unused:UNUSED_PAD src0_sel:WORD_1
	v_cvt_f32_f16_e32 v14, v8
	v_cvt_f32_f16_sdwa v13, v9 dst_sel:DWORD dst_unused:UNUSED_PAD src0_sel:WORD_1
	v_cvt_f32_f16_e32 v12, v9
.LBB313_30:
	s_or_b64 exec, exec, s[0:1]
	s_waitcnt vmcnt(1)
	v_mul_f32_e32 v6, v11, v11
	v_fmac_f32_e32 v6, v10, v10
	v_fmac_f32_e32 v6, v16, v16
	;; [unrolled: 1-line block ×7, first 2 shown]
	s_nop 1
	v_mov_b32_dpp v7, v6 quad_perm:[1,0,3,2] row_mask:0xf bank_mask:0xf
	v_add_f32_e32 v6, v6, v7
	s_nop 1
	v_mov_b32_dpp v7, v6 quad_perm:[2,3,0,1] row_mask:0xf bank_mask:0xf
	v_add_f32_e32 v6, v6, v7
	s_nop 1
	v_mov_b32_dpp v7, v6 row_half_mirror row_mask:0xf bank_mask:0xf
	v_add_f32_e32 v6, v6, v7
	s_nop 1
	v_mov_b32_dpp v7, v6 row_mirror row_mask:0xf bank_mask:0xf
	v_add_f32_e32 v6, v6, v7
	s_nop 1
	v_mov_b32_dpp v7, v6 row_bcast:15 row_mask:0xf bank_mask:0xf
	v_add_f32_e32 v6, v6, v7
	s_nop 1
	v_mov_b32_dpp v7, v6 row_bcast:31 row_mask:0xf bank_mask:0xf
	s_and_saveexec_b64 s[0:1], s[8:9]
	s_cbranch_execz .LBB313_32
; %bb.31:
	v_lshrrev_b32_e32 v0, 4, v0
	v_add_f32_e32 v6, v6, v7
	v_and_b32_e32 v0, 60, v0
	ds_write_b32 v0, v6
.LBB313_32:
	s_or_b64 exec, exec, s[0:1]
	s_waitcnt lgkmcnt(0)
	s_barrier
	ds_read_b32 v0, v18
	s_waitcnt lgkmcnt(0)
	s_nop 0
	v_mov_b32_dpp v6, v0 quad_perm:[1,0,3,2] row_mask:0xf bank_mask:0xf
	s_and_saveexec_b64 s[0:1], vcc
	s_cbranch_execz .LBB313_17
; %bb.33:
	v_cvt_f32_u32_e32 v7, s16
	v_add_f32_e32 v0, v0, v6
	s_mov_b32 s23, 0x20000
	v_div_scale_f32 v6, s[0:1], v7, v7, v0
	v_rcp_f32_e32 v8, v6
	v_div_scale_f32 v9, vcc, v0, v7, v0
	s_mov_b32 s0, 0x800000
	v_fma_f32 v18, -v6, v8, 1.0
	v_fmac_f32_e32 v8, v18, v8
	v_mul_f32_e32 v18, v9, v8
	v_fma_f32 v19, -v6, v18, v9
	v_fmac_f32_e32 v18, v19, v8
	v_fma_f32 v6, -v6, v18, v9
	v_div_fmas_f32 v6, v6, v8, v18
	v_div_fixup_f32 v0, v6, v7, v0
	v_add_f32_e32 v0, s13, v0
	v_mul_f32_e32 v6, 0x4b800000, v0
	v_cmp_gt_f32_e32 vcc, s0, v0
	v_cndmask_b32_e32 v0, v0, v6, vcc
	v_rsq_f32_e32 v0, v0
	s_waitcnt vmcnt(0)
	v_cvt_f32_f16_sdwa v19, v3 dst_sel:DWORD dst_unused:UNUSED_PAD src0_sel:WORD_1
	v_cvt_f32_f16_e32 v18, v3
	s_mul_hi_i32 s1, s25, s6
	v_mul_f32_e32 v6, 0x45800000, v0
	v_cndmask_b32_e32 v6, v0, v6, vcc
	v_mov_b32_e32 v7, v6
	;;#ASMSTART
	v_pk_mul_f32 v[8:9], v[10:11], v[6:7]
	;;#ASMEND
	;;#ASMSTART
	v_pk_mul_f32 v[10:11], v[16:17], v[6:7]
	;;#ASMEND
	v_cvt_f32_f16_sdwa v17, v2 dst_sel:DWORD dst_unused:UNUSED_PAD src0_sel:WORD_1
	v_cvt_f32_f16_e32 v16, v2
	;;#ASMSTART
	v_pk_mul_f32 v[14:15], v[14:15], v[6:7]
	;;#ASMEND
	;;#ASMSTART
	v_pk_mul_f32 v[2:3], v[12:13], v[6:7]
	;;#ASMEND
	v_cvt_f32_f16_sdwa v13, v4 dst_sel:DWORD dst_unused:UNUSED_PAD src0_sel:WORD_1
	v_cvt_f32_f16_e32 v12, v4
	v_pk_add_f32 v[6:7], v[16:17], 1.0 op_sel_hi:[1,0]
	v_cvt_f32_f16_sdwa v17, v5 dst_sel:DWORD dst_unused:UNUSED_PAD src0_sel:WORD_1
	v_cvt_f32_f16_e32 v16, v5
	;;#ASMSTART
	v_pk_mul_f32 v[6:7], v[8:9], v[6:7]
	;;#ASMEND
	v_pk_add_f32 v[8:9], v[18:19], 1.0 op_sel_hi:[1,0]
	;;#ASMSTART
	v_pk_mul_f32 v[4:5], v[10:11], v[8:9]
	;;#ASMEND
	v_pk_add_f32 v[8:9], v[12:13], 1.0 op_sel_hi:[1,0]
	;; [unrolled: 4-line block ×3, first 2 shown]
	;;#ASMSTART
	v_pk_mul_f32 v[2:3], v[2:3], v[10:11]
	;;#ASMEND
	s_mul_i32 s0, s25, s6
	v_cvt_f16_f32_e32 v0, v6
	v_cvt_f16_f32_e32 v6, v7
	;; [unrolled: 1-line block ×8, first 2 shown]
	s_lshl_b64 s[0:1], s[0:1], 1
	s_add_u32 s20, s14, s0
	s_addc_u32 s0, s15, s1
	s_and_b32 s21, s0, 0xffff
	v_pack_b32_f16 v2, v0, v6
	v_pack_b32_f16 v3, v4, v5
	;; [unrolled: 1-line block ×4, first 2 shown]
	buffer_store_dwordx4 v[2:5], v1, s[20:23], 0 offen
	;;#ASMSTART
	s_nop 0
	;;#ASMEND
	s_endpgm
	.section	.rodata,"a",@progbits
	.p2align	6, 0x0
	.amdhsa_kernel _ZN5aiter35fused_qk_rmsnorm_group_quant_kernelIDF16_DB8_Li128ELi8ELi16ELb1ELb1ELb1ELb1ELb0ELb0EEEvPT0_PvPT_S6_S6_PKS5_S8_S8_S8_S8_ffiiiiiiiiiiiii
		.amdhsa_group_segment_fixed_size 16
		.amdhsa_private_segment_fixed_size 0
		.amdhsa_kernarg_size 400
		.amdhsa_user_sgpr_count 6
		.amdhsa_user_sgpr_private_segment_buffer 1
		.amdhsa_user_sgpr_dispatch_ptr 0
		.amdhsa_user_sgpr_queue_ptr 0
		.amdhsa_user_sgpr_kernarg_segment_ptr 1
		.amdhsa_user_sgpr_dispatch_id 0
		.amdhsa_user_sgpr_flat_scratch_init 0
		.amdhsa_user_sgpr_kernarg_preload_length 0
		.amdhsa_user_sgpr_kernarg_preload_offset 0
		.amdhsa_user_sgpr_private_segment_size 0
		.amdhsa_uses_dynamic_stack 0
		.amdhsa_system_sgpr_private_segment_wavefront_offset 0
		.amdhsa_system_sgpr_workgroup_id_x 1
		.amdhsa_system_sgpr_workgroup_id_y 1
		.amdhsa_system_sgpr_workgroup_id_z 0
		.amdhsa_system_sgpr_workgroup_info 0
		.amdhsa_system_vgpr_workitem_id 0
		.amdhsa_next_free_vgpr 25
		.amdhsa_next_free_sgpr 32
		.amdhsa_accum_offset 28
		.amdhsa_reserve_vcc 1
		.amdhsa_reserve_flat_scratch 0
		.amdhsa_float_round_mode_32 0
		.amdhsa_float_round_mode_16_64 0
		.amdhsa_float_denorm_mode_32 3
		.amdhsa_float_denorm_mode_16_64 3
		.amdhsa_dx10_clamp 1
		.amdhsa_ieee_mode 1
		.amdhsa_fp16_overflow 0
		.amdhsa_tg_split 0
		.amdhsa_exception_fp_ieee_invalid_op 0
		.amdhsa_exception_fp_denorm_src 0
		.amdhsa_exception_fp_ieee_div_zero 0
		.amdhsa_exception_fp_ieee_overflow 0
		.amdhsa_exception_fp_ieee_underflow 0
		.amdhsa_exception_fp_ieee_inexact 0
		.amdhsa_exception_int_div_zero 0
	.end_amdhsa_kernel
	.section	.text._ZN5aiter35fused_qk_rmsnorm_group_quant_kernelIDF16_DB8_Li128ELi8ELi16ELb1ELb1ELb1ELb1ELb0ELb0EEEvPT0_PvPT_S6_S6_PKS5_S8_S8_S8_S8_ffiiiiiiiiiiiii,"axG",@progbits,_ZN5aiter35fused_qk_rmsnorm_group_quant_kernelIDF16_DB8_Li128ELi8ELi16ELb1ELb1ELb1ELb1ELb0ELb0EEEvPT0_PvPT_S6_S6_PKS5_S8_S8_S8_S8_ffiiiiiiiiiiiii,comdat
.Lfunc_end313:
	.size	_ZN5aiter35fused_qk_rmsnorm_group_quant_kernelIDF16_DB8_Li128ELi8ELi16ELb1ELb1ELb1ELb1ELb0ELb0EEEvPT0_PvPT_S6_S6_PKS5_S8_S8_S8_S8_ffiiiiiiiiiiiii, .Lfunc_end313-_ZN5aiter35fused_qk_rmsnorm_group_quant_kernelIDF16_DB8_Li128ELi8ELi16ELb1ELb1ELb1ELb1ELb0ELb0EEEvPT0_PvPT_S6_S6_PKS5_S8_S8_S8_S8_ffiiiiiiiiiiiii
                                        ; -- End function
	.section	.AMDGPU.csdata,"",@progbits
; Kernel info:
; codeLenInByte = 2448
; NumSgprs: 36
; NumVgprs: 25
; NumAgprs: 0
; TotalNumVgprs: 25
; ScratchSize: 0
; MemoryBound: 0
; FloatMode: 240
; IeeeMode: 1
; LDSByteSize: 16 bytes/workgroup (compile time only)
; SGPRBlocks: 4
; VGPRBlocks: 3
; NumSGPRsForWavesPerEU: 36
; NumVGPRsForWavesPerEU: 25
; AccumOffset: 28
; Occupancy: 8
; WaveLimiterHint : 0
; COMPUTE_PGM_RSRC2:SCRATCH_EN: 0
; COMPUTE_PGM_RSRC2:USER_SGPR: 6
; COMPUTE_PGM_RSRC2:TRAP_HANDLER: 0
; COMPUTE_PGM_RSRC2:TGID_X_EN: 1
; COMPUTE_PGM_RSRC2:TGID_Y_EN: 1
; COMPUTE_PGM_RSRC2:TGID_Z_EN: 0
; COMPUTE_PGM_RSRC2:TIDIG_COMP_CNT: 0
; COMPUTE_PGM_RSRC3_GFX90A:ACCUM_OFFSET: 6
; COMPUTE_PGM_RSRC3_GFX90A:TG_SPLIT: 0
	.section	.text._ZN5aiter35fused_qk_rmsnorm_group_quant_kernelItDB8_Li128ELi8ELi16ELb1ELb1ELb1ELb1ELb0ELb0EEEvPT0_PvPT_S6_S6_PKS5_S8_S8_S8_S8_ffiiiiiiiiiiiii,"axG",@progbits,_ZN5aiter35fused_qk_rmsnorm_group_quant_kernelItDB8_Li128ELi8ELi16ELb1ELb1ELb1ELb1ELb0ELb0EEEvPT0_PvPT_S6_S6_PKS5_S8_S8_S8_S8_ffiiiiiiiiiiiii,comdat
	.protected	_ZN5aiter35fused_qk_rmsnorm_group_quant_kernelItDB8_Li128ELi8ELi16ELb1ELb1ELb1ELb1ELb0ELb0EEEvPT0_PvPT_S6_S6_PKS5_S8_S8_S8_S8_ffiiiiiiiiiiiii ; -- Begin function _ZN5aiter35fused_qk_rmsnorm_group_quant_kernelItDB8_Li128ELi8ELi16ELb1ELb1ELb1ELb1ELb0ELb0EEEvPT0_PvPT_S6_S6_PKS5_S8_S8_S8_S8_ffiiiiiiiiiiiii
	.globl	_ZN5aiter35fused_qk_rmsnorm_group_quant_kernelItDB8_Li128ELi8ELi16ELb1ELb1ELb1ELb1ELb0ELb0EEEvPT0_PvPT_S6_S6_PKS5_S8_S8_S8_S8_ffiiiiiiiiiiiii
	.p2align	8
	.type	_ZN5aiter35fused_qk_rmsnorm_group_quant_kernelItDB8_Li128ELi8ELi16ELb1ELb1ELb1ELb1ELb0ELb0EEEvPT0_PvPT_S6_S6_PKS5_S8_S8_S8_S8_ffiiiiiiiiiiiii,@function
_ZN5aiter35fused_qk_rmsnorm_group_quant_kernelItDB8_Li128ELi8ELi16ELb1ELb1ELb1ELb1ELb0ELb0EEEvPT0_PvPT_S6_S6_PKS5_S8_S8_S8_S8_ffiiiiiiiiiiiii: ; @_ZN5aiter35fused_qk_rmsnorm_group_quant_kernelItDB8_Li128ELi8ELi16ELb1ELb1ELb1ELb1ELb0ELb0EEEvPT0_PvPT_S6_S6_PKS5_S8_S8_S8_S8_ffiiiiiiiiiiiii
; %bb.0:
	s_load_dwordx8 s[12:19], s[4:5], 0x50
	s_waitcnt lgkmcnt(0)
	s_cmp_ge_i32 s6, s14
	s_cbranch_scc1 .LBB314_17
; %bb.1:
	s_cmp_lg_u32 s7, 0
	s_cselect_b64 s[22:23], -1, 0
	s_cmp_eq_u32 s7, 0
	s_cselect_b64 s[8:9], -1, 0
	s_and_b64 s[0:1], s[8:9], exec
	s_cselect_b32 s7, s15, s16
	s_load_dwordx2 s[10:11], s[4:5], 0x30
	s_load_dwordx2 s[20:21], s[4:5], 0x48
	s_add_i32 s0, s7, 1
	s_lshr_b32 s1, s0, 31
	s_add_i32 s0, s0, s1
	s_lshl_b32 s0, s0, 1
	v_lshlrev_b32_e32 v1, 3, v0
	s_and_b32 s30, s0, -4
	v_cmp_gt_i32_e64 s[0:1], s7, v1
	v_mov_b32_e32 v10, 0
	v_mov_b32_e32 v11, 0
	v_mov_b32_e32 v12, 0
	v_mov_b32_e32 v13, 0
	v_mov_b32_e32 v14, 0
	v_mov_b32_e32 v15, 0
	v_mov_b32_e32 v16, 0
	v_mov_b32_e32 v17, 0
	s_and_saveexec_b64 s[2:3], s[0:1]
	s_cbranch_execz .LBB314_3
; %bb.2:
	s_load_dwordx2 s[14:15], s[4:5], 0x28
	s_load_dwordx2 s[26:27], s[4:5], 0x40
	s_and_b64 s[24:25], s[8:9], exec
	s_cselect_b32 s17, s17, s18
	s_mov_b32 s31, 0x20000
	s_waitcnt lgkmcnt(0)
	s_cselect_b32 s25, s15, s11
	s_cselect_b32 s24, s14, s10
	s_mul_hi_i32 s15, s17, s6
	s_mul_i32 s14, s17, s6
	s_lshl_b64 s[14:15], s[14:15], 1
	s_add_u32 s24, s24, s14
	s_addc_u32 s17, s25, s15
	s_and_b64 s[14:15], s[8:9], exec
	s_cselect_b32 s28, s26, s20
	s_cselect_b32 s14, s27, s21
	v_lshlrev_b32_e32 v2, 4, v0
	s_and_b32 s25, s17, 0xffff
	s_mov_b32 s26, s30
	s_mov_b32 s27, s31
	s_and_b32 s29, s14, 0xffff
	buffer_load_dwordx4 v[14:17], v2, s[24:27], 0 offen glc slc
	buffer_load_dwordx4 v[10:13], v2, s[28:31], 0 offen
.LBB314_3:
	s_or_b64 exec, exec, s[2:3]
	s_load_dwordx4 s[24:27], s[4:5], 0x7c
	s_and_b64 vcc, exec, s[22:23]
	s_cbranch_vccz .LBB314_7
; %bb.4:
	s_mov_b32 s36, 0
	s_mov_b32 s37, s36
	;; [unrolled: 1-line block ×8, first 2 shown]
	v_pk_mov_b32 v[2:3], s[36:37], s[36:37] op_sel:[0,1]
	v_pk_mov_b32 v[4:5], s[38:39], s[38:39] op_sel:[0,1]
	v_pk_mov_b32 v[6:7], s[40:41], s[40:41] op_sel:[0,1]
	v_pk_mov_b32 v[8:9], s[42:43], s[42:43] op_sel:[0,1]
	s_and_saveexec_b64 s[2:3], s[0:1]
	s_cbranch_execz .LBB314_6
; %bb.5:
	s_waitcnt vmcnt(1)
	v_cvt_f32_u32_sdwa v3, v14 dst_sel:DWORD dst_unused:UNUSED_PAD src0_sel:WORD_1
	v_cvt_f32_u32_sdwa v2, v14 dst_sel:DWORD dst_unused:UNUSED_PAD src0_sel:WORD_0
	v_cvt_f32_u32_sdwa v5, v15 dst_sel:DWORD dst_unused:UNUSED_PAD src0_sel:WORD_1
	v_cvt_f32_u32_sdwa v4, v15 dst_sel:DWORD dst_unused:UNUSED_PAD src0_sel:WORD_0
	;; [unrolled: 2-line block ×4, first 2 shown]
.LBB314_6:
	s_or_b64 exec, exec, s[2:3]
	s_cbranch_execz .LBB314_8
	s_branch .LBB314_11
.LBB314_7:
                                        ; implicit-def: $vgpr2_vgpr3_vgpr4_vgpr5_vgpr6_vgpr7_vgpr8_vgpr9
.LBB314_8:
	s_mov_b32 s36, 0
	s_mov_b32 s37, s36
	;; [unrolled: 1-line block ×8, first 2 shown]
	v_pk_mov_b32 v[2:3], s[36:37], s[36:37] op_sel:[0,1]
	v_pk_mov_b32 v[4:5], s[38:39], s[38:39] op_sel:[0,1]
	;; [unrolled: 1-line block ×4, first 2 shown]
	s_and_saveexec_b64 s[2:3], s[0:1]
	s_cbranch_execz .LBB314_10
; %bb.9:
	s_load_dwordx2 s[14:15], s[4:5], 0x38
	s_mul_hi_i32 s29, s19, s6
	s_mul_i32 s28, s19, s6
	s_lshl_b64 s[28:29], s[28:29], 1
	s_mov_b32 s31, 0x20000
	s_waitcnt lgkmcnt(0)
	s_add_u32 s28, s14, s28
	s_addc_u32 s14, s15, s29
	s_and_b32 s29, s14, 0xffff
	v_lshlrev_b32_e32 v26, 4, v0
	buffer_load_dwordx4 v[2:5], v26, s[28:31], 0 offen glc slc
	s_load_dwordx2 s[14:15], s[4:5], 0x20
	s_waitcnt vmcnt(2)
	v_cvt_f32_u32_sdwa v7, v14 dst_sel:DWORD dst_unused:UNUSED_PAD src0_sel:WORD_1
	v_cvt_f32_u32_sdwa v6, v14 dst_sel:DWORD dst_unused:UNUSED_PAD src0_sel:WORD_0
	v_cvt_f32_u32_sdwa v9, v15 dst_sel:DWORD dst_unused:UNUSED_PAD src0_sel:WORD_1
	v_cvt_f32_u32_sdwa v8, v15 dst_sel:DWORD dst_unused:UNUSED_PAD src0_sel:WORD_0
	;; [unrolled: 2-line block ×4, first 2 shown]
	s_mul_hi_i32 s27, s26, s6
	s_mul_i32 s26, s26, s6
	s_lshl_b64 s[26:27], s[26:27], 1
	s_waitcnt lgkmcnt(0)
	s_add_u32 s28, s14, s26
	s_mov_b32 s17, 0x7060302
	s_addc_u32 s14, s15, s27
	s_and_b32 s29, s14, 0xffff
	s_waitcnt vmcnt(0)
	v_cvt_f32_u32_sdwa v17, v2 dst_sel:DWORD dst_unused:UNUSED_PAD src0_sel:WORD_1
	v_cvt_f32_u32_sdwa v16, v2 dst_sel:DWORD dst_unused:UNUSED_PAD src0_sel:WORD_0
	v_cvt_f32_u32_sdwa v21, v3 dst_sel:DWORD dst_unused:UNUSED_PAD src0_sel:WORD_1
	v_cvt_f32_u32_sdwa v20, v3 dst_sel:DWORD dst_unused:UNUSED_PAD src0_sel:WORD_0
	;; [unrolled: 2-line block ×4, first 2 shown]
	v_pk_add_f32 v[2:3], v[6:7], v[16:17]
	v_pk_add_f32 v[4:5], v[8:9], v[20:21]
	v_pk_add_f32 v[6:7], v[14:15], v[22:23]
	v_pk_add_f32 v[8:9], v[18:19], v[24:25]
	v_perm_b32 v17, v9, v8, s17
	v_perm_b32 v16, v7, v6, s17
	;; [unrolled: 1-line block ×4, first 2 shown]
	buffer_store_dwordx4 v[14:17], v26, s[28:31], 0 offen glc slc
	;;#ASMSTART
	s_nop 0
	;;#ASMEND
.LBB314_10:
	s_or_b64 exec, exec, s[2:3]
.LBB314_11:
	s_waitcnt vmcnt(1)
	v_mul_f32_e32 v14, v3, v3
	v_fmac_f32_e32 v14, v2, v2
	v_fmac_f32_e32 v14, v4, v4
	;; [unrolled: 1-line block ×7, first 2 shown]
	v_and_b32_e32 v16, 63, v0
	v_cmp_eq_u32_e64 s[2:3], 63, v16
	v_mov_b32_dpp v15, v14 quad_perm:[1,0,3,2] row_mask:0xf bank_mask:0xf
	v_add_f32_e32 v14, v14, v15
	s_nop 1
	v_mov_b32_dpp v15, v14 quad_perm:[2,3,0,1] row_mask:0xf bank_mask:0xf
	v_add_f32_e32 v14, v14, v15
	s_nop 1
	v_mov_b32_dpp v15, v14 row_half_mirror row_mask:0xf bank_mask:0xf
	v_add_f32_e32 v14, v14, v15
	s_nop 1
	v_mov_b32_dpp v15, v14 row_mirror row_mask:0xf bank_mask:0xf
	v_add_f32_e32 v14, v14, v15
	s_nop 1
	v_mov_b32_dpp v15, v14 row_bcast:15 row_mask:0xf bank_mask:0xf
	v_add_f32_e32 v14, v14, v15
	s_nop 1
	v_mov_b32_dpp v15, v14 row_bcast:31 row_mask:0xf bank_mask:0xf
	s_and_saveexec_b64 s[14:15], s[2:3]
	s_cbranch_execz .LBB314_13
; %bb.12:
	v_add_f32_e32 v14, v14, v15
	v_lshrrev_b32_e32 v15, 4, v0
	v_and_b32_e32 v15, 60, v15
	ds_write_b32 v15, v14 offset:8
.LBB314_13:
	s_or_b64 exec, exec, s[14:15]
	v_and_b32_e32 v14, 1, v0
	v_lshlrev_b32_e32 v14, 2, v14
	s_waitcnt lgkmcnt(0)
	s_barrier
	ds_read_b32 v15, v14 offset:8
	s_load_dwordx2 s[14:15], s[4:5], 0x18
	s_waitcnt lgkmcnt(0)
	v_mov_b32_dpp v16, v15 quad_perm:[1,0,3,2] row_mask:0xf bank_mask:0xf
	s_and_saveexec_b64 s[26:27], s[0:1]
	s_cbranch_execnz .LBB314_18
; %bb.14:
	s_or_b64 exec, exec, s[26:27]
	s_mov_b64 s[8:9], -1
	s_and_b64 vcc, exec, s[22:23]
	s_cbranch_vccnz .LBB314_19
.LBB314_15:
	s_andn2_b64 vcc, exec, s[8:9]
	s_cbranch_vccz .LBB314_22
.LBB314_16:
	s_cmp_lt_i32 s16, 1
	s_cbranch_scc0 .LBB314_25
.LBB314_17:
	s_endpgm
.LBB314_18:
	v_cvt_f32_u32_e32 v17, s7
	v_add_f32_e32 v15, v15, v16
	v_mov_b32_e32 v19, s13
	v_mov_b32_e32 v20, s12
	v_div_scale_f32 v16, s[28:29], v17, v17, v15
	v_rcp_f32_e32 v18, v16
	v_cndmask_b32_e64 v19, v19, v20, s[8:9]
	s_mov_b32 s7, 0x800000
	v_fma_f32 v20, -v16, v18, 1.0
	v_fmac_f32_e32 v18, v20, v18
	v_div_scale_f32 v20, vcc, v15, v17, v15
	v_mul_f32_e32 v21, v20, v18
	v_fma_f32 v22, -v16, v21, v20
	v_fmac_f32_e32 v21, v22, v18
	v_fma_f32 v16, -v16, v21, v20
	v_div_fmas_f32 v16, v16, v18, v21
	v_div_fixup_f32 v15, v16, v17, v15
	v_add_f32_e32 v15, v19, v15
	v_mul_f32_e32 v16, 0x4b800000, v15
	v_cmp_gt_f32_e32 vcc, s7, v15
	v_cndmask_b32_e32 v15, v15, v16, vcc
	v_rsq_f32_e32 v15, v15
	s_waitcnt vmcnt(0)
	v_cvt_f32_u32_sdwa v19, v10 dst_sel:DWORD dst_unused:UNUSED_PAD src0_sel:WORD_1
	v_cvt_f32_u32_sdwa v18, v10 dst_sel:DWORD dst_unused:UNUSED_PAD src0_sel:WORD_0
	v_cvt_f32_u32_sdwa v21, v11 dst_sel:DWORD dst_unused:UNUSED_PAD src0_sel:WORD_1
	v_mul_f32_e32 v16, 0x45800000, v15
	v_cndmask_b32_e32 v16, v15, v16, vcc
	v_mov_b32_e32 v17, v16
	v_cvt_f32_u32_sdwa v20, v11 dst_sel:DWORD dst_unused:UNUSED_PAD src0_sel:WORD_0
	;;#ASMSTART
	v_pk_mul_f32 v[2:3], v[2:3], v[16:17]
	;;#ASMEND
	;;#ASMSTART
	v_pk_mul_f32 v[4:5], v[4:5], v[16:17]
	;;#ASMEND
	;; [unrolled: 3-line block ×4, first 2 shown]
	v_cvt_f32_u32_sdwa v17, v12 dst_sel:DWORD dst_unused:UNUSED_PAD src0_sel:WORD_1
	v_cvt_f32_u32_sdwa v16, v12 dst_sel:DWORD dst_unused:UNUSED_PAD src0_sel:WORD_0
	v_pk_add_f32 v[10:11], v[18:19], 1.0 op_sel_hi:[1,0]
	v_cvt_f32_u32_sdwa v19, v13 dst_sel:DWORD dst_unused:UNUSED_PAD src0_sel:WORD_1
	v_cvt_f32_u32_sdwa v18, v13 dst_sel:DWORD dst_unused:UNUSED_PAD src0_sel:WORD_0
	;;#ASMSTART
	v_pk_mul_f32 v[2:3], v[2:3], v[10:11]
	;;#ASMEND
	v_pk_add_f32 v[10:11], v[20:21], 1.0 op_sel_hi:[1,0]
	;;#ASMSTART
	v_pk_mul_f32 v[4:5], v[4:5], v[10:11]
	;;#ASMEND
	v_pk_add_f32 v[10:11], v[16:17], 1.0 op_sel_hi:[1,0]
	;; [unrolled: 4-line block ×3, first 2 shown]
	;;#ASMSTART
	v_pk_mul_f32 v[8:9], v[8:9], v[10:11]
	;;#ASMEND
	s_or_b64 exec, exec, s[26:27]
	s_mov_b64 s[8:9], -1
	s_and_b64 vcc, exec, s[22:23]
	s_cbranch_vccz .LBB314_15
.LBB314_19:
	s_and_saveexec_b64 s[8:9], s[0:1]
	s_cbranch_execz .LBB314_21
; %bb.20:
	s_mul_hi_i32 s23, s25, s6
	s_mul_i32 s22, s25, s6
	s_lshl_b64 s[22:23], s[22:23], 1
	s_add_u32 s28, s14, s22
	s_addc_u32 s7, s15, s23
	s_and_b32 s29, s7, 0xffff
	s_mov_b32 s7, 0x7060302
	s_mov_b32 s31, 0x20000
	s_waitcnt vmcnt(0)
	v_perm_b32 v10, v3, v2, s7
	v_perm_b32 v11, v5, v4, s7
	;; [unrolled: 1-line block ×4, first 2 shown]
	v_lshlrev_b32_e32 v15, 4, v0
	buffer_store_dwordx4 v[10:13], v15, s[28:31], 0 offen
	;;#ASMSTART
	s_nop 0
	;;#ASMEND
.LBB314_21:
	s_or_b64 exec, exec, s[8:9]
	s_cbranch_execnz .LBB314_16
.LBB314_22:
	s_and_saveexec_b64 s[8:9], s[0:1]
	s_cbranch_execz .LBB314_24
; %bb.23:
	s_load_dwordx2 s[0:1], s[4:5], 0x10
	s_mul_hi_i32 s23, s24, s6
	s_mul_i32 s22, s24, s6
	s_lshl_b64 s[22:23], s[22:23], 1
	s_mov_b32 s31, 0x20000
	s_waitcnt lgkmcnt(0)
	s_add_u32 s28, s0, s22
	s_addc_u32 s0, s1, s23
	s_and_b32 s29, s0, 0xffff
	s_mov_b32 s0, 0x7060302
	v_perm_b32 v2, v3, v2, s0
	v_perm_b32 v3, v5, v4, s0
	;; [unrolled: 1-line block ×4, first 2 shown]
	v_lshlrev_b32_e32 v6, 4, v0
	buffer_store_dwordx4 v[2:5], v6, s[28:31], 0 offen
	;;#ASMSTART
	s_nop 0
	;;#ASMEND
.LBB314_24:
	s_or_b64 exec, exec, s[8:9]
	s_cmp_lt_i32 s16, 1
	s_cbranch_scc1 .LBB314_17
.LBB314_25:
	s_load_dword s0, s[4:5], 0x94
	s_waitcnt lgkmcnt(0)
	s_cmp_lg_u32 s0, 1
	s_cbranch_scc1 .LBB314_17
; %bb.26:
	s_lshl_b32 s0, s16, 1
	s_add_i32 s0, s0, 2
	v_cmp_gt_u32_e32 vcc, s16, v1
	s_and_b32 s22, s0, -4
	v_mov_b32_e32 v6, 0
	v_lshlrev_b32_e32 v1, 4, v0
	v_mov_b32_e32 v7, 0
	v_mov_b32_e32 v8, 0
	;; [unrolled: 1-line block ×7, first 2 shown]
	s_barrier
	s_and_saveexec_b64 s[0:1], vcc
	s_cbranch_execz .LBB314_28
; %bb.27:
	s_mul_hi_i32 s5, s18, s6
	s_mul_i32 s4, s18, s6
	s_and_b32 s21, s21, 0xffff
	s_lshl_b64 s[4:5], s[4:5], 1
	s_add_u32 s8, s10, s4
	s_mov_b32 s23, 0x20000
	s_addc_u32 s4, s11, s5
	s_and_b32 s9, s4, 0xffff
	s_mov_b32 s10, s22
	s_mov_b32 s11, s23
	buffer_load_dwordx4 v[6:9], v1, s[8:11], 0 offen glc slc
	buffer_load_dwordx4 v[2:5], v1, s[20:23], 0 offen
.LBB314_28:
	s_or_b64 exec, exec, s[0:1]
	s_waitcnt vmcnt(0)
	v_cvt_f32_u32_sdwa v13, v6 dst_sel:DWORD dst_unused:UNUSED_PAD src0_sel:WORD_1
	v_cvt_f32_u32_sdwa v12, v6 dst_sel:DWORD dst_unused:UNUSED_PAD src0_sel:WORD_0
	v_cvt_f32_u32_sdwa v6, v9 dst_sel:DWORD dst_unused:UNUSED_PAD src0_sel:WORD_1
	v_cvt_f32_u32_sdwa v9, v9 dst_sel:DWORD dst_unused:UNUSED_PAD src0_sel:WORD_0
	;; [unrolled: 2-line block ×4, first 2 shown]
	v_cndmask_b32_e32 v13, 0, v13, vcc
	v_cndmask_b32_e32 v7, 0, v6, vcc
	v_cndmask_b32_e32 v6, 0, v9, vcc
	v_cndmask_b32_e32 v9, 0, v15, vcc
	v_cndmask_b32_e32 v12, 0, v12, vcc
	v_mul_f32_e32 v15, v13, v13
	v_cndmask_b32_e32 v10, 0, v10, vcc
	v_fmac_f32_e32 v15, v12, v12
	v_cndmask_b32_e32 v11, 0, v11, vcc
	v_fmac_f32_e32 v15, v10, v10
	v_cndmask_b32_e32 v8, 0, v8, vcc
	v_fmac_f32_e32 v15, v11, v11
	v_fmac_f32_e32 v15, v8, v8
	v_fmac_f32_e32 v15, v9, v9
	v_fmac_f32_e32 v15, v6, v6
	v_fmac_f32_e32 v15, v7, v7
	s_nop 1
	v_mov_b32_dpp v16, v15 quad_perm:[1,0,3,2] row_mask:0xf bank_mask:0xf
	v_add_f32_e32 v15, v15, v16
	s_nop 1
	v_mov_b32_dpp v16, v15 quad_perm:[2,3,0,1] row_mask:0xf bank_mask:0xf
	v_add_f32_e32 v15, v15, v16
	s_nop 1
	v_mov_b32_dpp v16, v15 row_half_mirror row_mask:0xf bank_mask:0xf
	v_add_f32_e32 v15, v15, v16
	s_nop 1
	v_mov_b32_dpp v16, v15 row_mirror row_mask:0xf bank_mask:0xf
	v_add_f32_e32 v15, v15, v16
	s_nop 1
	v_mov_b32_dpp v16, v15 row_bcast:15 row_mask:0xf bank_mask:0xf
	v_add_f32_e32 v15, v15, v16
	s_nop 1
	v_mov_b32_dpp v16, v15 row_bcast:31 row_mask:0xf bank_mask:0xf
	s_and_saveexec_b64 s[0:1], s[2:3]
	s_cbranch_execz .LBB314_30
; %bb.29:
	v_lshrrev_b32_e32 v0, 4, v0
	v_add_f32_e32 v15, v15, v16
	v_and_b32_e32 v0, 60, v0
	ds_write_b32 v0, v15
.LBB314_30:
	s_or_b64 exec, exec, s[0:1]
	s_waitcnt lgkmcnt(0)
	s_barrier
	ds_read_b32 v0, v14
	s_waitcnt lgkmcnt(0)
	s_nop 0
	v_mov_b32_dpp v14, v0 quad_perm:[1,0,3,2] row_mask:0xf bank_mask:0xf
	s_and_saveexec_b64 s[0:1], vcc
	s_cbranch_execz .LBB314_17
; %bb.31:
	v_cvt_f32_u32_e32 v15, s16
	v_add_f32_e32 v0, v0, v14
	s_mov_b32 s23, 0x20000
	v_div_scale_f32 v14, s[0:1], v15, v15, v0
	v_rcp_f32_e32 v16, v14
	v_div_scale_f32 v17, vcc, v0, v15, v0
	s_mov_b32 s0, 0x800000
	v_fma_f32 v18, -v14, v16, 1.0
	v_fmac_f32_e32 v16, v18, v16
	v_mul_f32_e32 v18, v17, v16
	v_fma_f32 v19, -v14, v18, v17
	v_fmac_f32_e32 v18, v19, v16
	v_fma_f32 v14, -v14, v18, v17
	v_div_fmas_f32 v14, v14, v16, v18
	v_div_fixup_f32 v0, v14, v15, v0
	v_add_f32_e32 v0, s13, v0
	v_mul_f32_e32 v14, 0x4b800000, v0
	v_cmp_gt_f32_e32 vcc, s0, v0
	v_cndmask_b32_e32 v0, v0, v14, vcc
	v_rsq_f32_e32 v0, v0
	v_cvt_f32_u32_sdwa v17, v2 dst_sel:DWORD dst_unused:UNUSED_PAD src0_sel:WORD_1
	v_cvt_f32_u32_sdwa v16, v2 dst_sel:DWORD dst_unused:UNUSED_PAD src0_sel:WORD_0
	v_cvt_f32_u32_sdwa v19, v3 dst_sel:DWORD dst_unused:UNUSED_PAD src0_sel:WORD_1
	v_mul_f32_e32 v14, 0x45800000, v0
	v_cndmask_b32_e32 v14, v0, v14, vcc
	v_mov_b32_e32 v15, v14
	;;#ASMSTART
	v_pk_mul_f32 v[12:13], v[12:13], v[14:15]
	;;#ASMEND
	;;#ASMSTART
	v_pk_mul_f32 v[10:11], v[10:11], v[14:15]
	;;#ASMEND
	;; [unrolled: 3-line block ×3, first 2 shown]
	v_cvt_f32_u32_sdwa v18, v3 dst_sel:DWORD dst_unused:UNUSED_PAD src0_sel:WORD_0
	;;#ASMSTART
	v_pk_mul_f32 v[2:3], v[6:7], v[14:15]
	;;#ASMEND
	v_cvt_f32_u32_sdwa v15, v4 dst_sel:DWORD dst_unused:UNUSED_PAD src0_sel:WORD_1
	v_cvt_f32_u32_sdwa v14, v4 dst_sel:DWORD dst_unused:UNUSED_PAD src0_sel:WORD_0
	v_pk_add_f32 v[6:7], v[16:17], 1.0 op_sel_hi:[1,0]
	v_cvt_f32_u32_sdwa v17, v5 dst_sel:DWORD dst_unused:UNUSED_PAD src0_sel:WORD_1
	v_cvt_f32_u32_sdwa v16, v5 dst_sel:DWORD dst_unused:UNUSED_PAD src0_sel:WORD_0
	s_mul_hi_i32 s1, s25, s6
	s_mul_i32 s0, s25, s6
	s_lshl_b64 s[0:1], s[0:1], 1
	s_add_u32 s20, s14, s0
	;;#ASMSTART
	v_pk_mul_f32 v[6:7], v[12:13], v[6:7]
	;;#ASMEND
	v_pk_add_f32 v[12:13], v[18:19], 1.0 op_sel_hi:[1,0]
	;;#ASMSTART
	v_pk_mul_f32 v[4:5], v[10:11], v[12:13]
	;;#ASMEND
	v_pk_add_f32 v[10:11], v[14:15], 1.0 op_sel_hi:[1,0]
	s_addc_u32 s0, s15, s1
	;;#ASMSTART
	v_pk_mul_f32 v[8:9], v[8:9], v[10:11]
	;;#ASMEND
	v_pk_add_f32 v[10:11], v[16:17], 1.0 op_sel_hi:[1,0]
	s_and_b32 s21, s0, 0xffff
	s_mov_b32 s0, 0x7060302
	;;#ASMSTART
	v_pk_mul_f32 v[10:11], v[2:3], v[10:11]
	;;#ASMEND
	v_perm_b32 v2, v7, v6, s0
	v_perm_b32 v3, v5, v4, s0
	;; [unrolled: 1-line block ×4, first 2 shown]
	buffer_store_dwordx4 v[2:5], v1, s[20:23], 0 offen
	;;#ASMSTART
	s_nop 0
	;;#ASMEND
	s_endpgm
	.section	.rodata,"a",@progbits
	.p2align	6, 0x0
	.amdhsa_kernel _ZN5aiter35fused_qk_rmsnorm_group_quant_kernelItDB8_Li128ELi8ELi16ELb1ELb1ELb1ELb1ELb0ELb0EEEvPT0_PvPT_S6_S6_PKS5_S8_S8_S8_S8_ffiiiiiiiiiiiii
		.amdhsa_group_segment_fixed_size 16
		.amdhsa_private_segment_fixed_size 0
		.amdhsa_kernarg_size 400
		.amdhsa_user_sgpr_count 6
		.amdhsa_user_sgpr_private_segment_buffer 1
		.amdhsa_user_sgpr_dispatch_ptr 0
		.amdhsa_user_sgpr_queue_ptr 0
		.amdhsa_user_sgpr_kernarg_segment_ptr 1
		.amdhsa_user_sgpr_dispatch_id 0
		.amdhsa_user_sgpr_flat_scratch_init 0
		.amdhsa_user_sgpr_kernarg_preload_length 0
		.amdhsa_user_sgpr_kernarg_preload_offset 0
		.amdhsa_user_sgpr_private_segment_size 0
		.amdhsa_uses_dynamic_stack 0
		.amdhsa_system_sgpr_private_segment_wavefront_offset 0
		.amdhsa_system_sgpr_workgroup_id_x 1
		.amdhsa_system_sgpr_workgroup_id_y 1
		.amdhsa_system_sgpr_workgroup_id_z 0
		.amdhsa_system_sgpr_workgroup_info 0
		.amdhsa_system_vgpr_workitem_id 0
		.amdhsa_next_free_vgpr 27
		.amdhsa_next_free_sgpr 44
		.amdhsa_accum_offset 28
		.amdhsa_reserve_vcc 1
		.amdhsa_reserve_flat_scratch 0
		.amdhsa_float_round_mode_32 0
		.amdhsa_float_round_mode_16_64 0
		.amdhsa_float_denorm_mode_32 3
		.amdhsa_float_denorm_mode_16_64 3
		.amdhsa_dx10_clamp 1
		.amdhsa_ieee_mode 1
		.amdhsa_fp16_overflow 0
		.amdhsa_tg_split 0
		.amdhsa_exception_fp_ieee_invalid_op 0
		.amdhsa_exception_fp_denorm_src 0
		.amdhsa_exception_fp_ieee_div_zero 0
		.amdhsa_exception_fp_ieee_overflow 0
		.amdhsa_exception_fp_ieee_underflow 0
		.amdhsa_exception_fp_ieee_inexact 0
		.amdhsa_exception_int_div_zero 0
	.end_amdhsa_kernel
	.section	.text._ZN5aiter35fused_qk_rmsnorm_group_quant_kernelItDB8_Li128ELi8ELi16ELb1ELb1ELb1ELb1ELb0ELb0EEEvPT0_PvPT_S6_S6_PKS5_S8_S8_S8_S8_ffiiiiiiiiiiiii,"axG",@progbits,_ZN5aiter35fused_qk_rmsnorm_group_quant_kernelItDB8_Li128ELi8ELi16ELb1ELb1ELb1ELb1ELb0ELb0EEEvPT0_PvPT_S6_S6_PKS5_S8_S8_S8_S8_ffiiiiiiiiiiiii,comdat
.Lfunc_end314:
	.size	_ZN5aiter35fused_qk_rmsnorm_group_quant_kernelItDB8_Li128ELi8ELi16ELb1ELb1ELb1ELb1ELb0ELb0EEEvPT0_PvPT_S6_S6_PKS5_S8_S8_S8_S8_ffiiiiiiiiiiiii, .Lfunc_end314-_ZN5aiter35fused_qk_rmsnorm_group_quant_kernelItDB8_Li128ELi8ELi16ELb1ELb1ELb1ELb1ELb0ELb0EEEvPT0_PvPT_S6_S6_PKS5_S8_S8_S8_S8_ffiiiiiiiiiiiii
                                        ; -- End function
	.section	.AMDGPU.csdata,"",@progbits
; Kernel info:
; codeLenInByte = 2484
; NumSgprs: 48
; NumVgprs: 27
; NumAgprs: 0
; TotalNumVgprs: 27
; ScratchSize: 0
; MemoryBound: 0
; FloatMode: 240
; IeeeMode: 1
; LDSByteSize: 16 bytes/workgroup (compile time only)
; SGPRBlocks: 5
; VGPRBlocks: 3
; NumSGPRsForWavesPerEU: 48
; NumVGPRsForWavesPerEU: 27
; AccumOffset: 28
; Occupancy: 8
; WaveLimiterHint : 0
; COMPUTE_PGM_RSRC2:SCRATCH_EN: 0
; COMPUTE_PGM_RSRC2:USER_SGPR: 6
; COMPUTE_PGM_RSRC2:TRAP_HANDLER: 0
; COMPUTE_PGM_RSRC2:TGID_X_EN: 1
; COMPUTE_PGM_RSRC2:TGID_Y_EN: 1
; COMPUTE_PGM_RSRC2:TGID_Z_EN: 0
; COMPUTE_PGM_RSRC2:TIDIG_COMP_CNT: 0
; COMPUTE_PGM_RSRC3_GFX90A:ACCUM_OFFSET: 6
; COMPUTE_PGM_RSRC3_GFX90A:TG_SPLIT: 0
	.section	.text._ZN5aiter35fused_qk_rmsnorm_group_quant_kernelIDF16_N4opus5fp4_tELi128ELi8ELi16ELb1ELb1ELb1ELb1ELb0ELb0EEEvPT0_PvPT_S7_S7_PKS6_S9_S9_S9_S9_ffiiiiiiiiiiiii,"axG",@progbits,_ZN5aiter35fused_qk_rmsnorm_group_quant_kernelIDF16_N4opus5fp4_tELi128ELi8ELi16ELb1ELb1ELb1ELb1ELb0ELb0EEEvPT0_PvPT_S7_S7_PKS6_S9_S9_S9_S9_ffiiiiiiiiiiiii,comdat
	.protected	_ZN5aiter35fused_qk_rmsnorm_group_quant_kernelIDF16_N4opus5fp4_tELi128ELi8ELi16ELb1ELb1ELb1ELb1ELb0ELb0EEEvPT0_PvPT_S7_S7_PKS6_S9_S9_S9_S9_ffiiiiiiiiiiiii ; -- Begin function _ZN5aiter35fused_qk_rmsnorm_group_quant_kernelIDF16_N4opus5fp4_tELi128ELi8ELi16ELb1ELb1ELb1ELb1ELb0ELb0EEEvPT0_PvPT_S7_S7_PKS6_S9_S9_S9_S9_ffiiiiiiiiiiiii
	.globl	_ZN5aiter35fused_qk_rmsnorm_group_quant_kernelIDF16_N4opus5fp4_tELi128ELi8ELi16ELb1ELb1ELb1ELb1ELb0ELb0EEEvPT0_PvPT_S7_S7_PKS6_S9_S9_S9_S9_ffiiiiiiiiiiiii
	.p2align	8
	.type	_ZN5aiter35fused_qk_rmsnorm_group_quant_kernelIDF16_N4opus5fp4_tELi128ELi8ELi16ELb1ELb1ELb1ELb1ELb0ELb0EEEvPT0_PvPT_S7_S7_PKS6_S9_S9_S9_S9_ffiiiiiiiiiiiii,@function
_ZN5aiter35fused_qk_rmsnorm_group_quant_kernelIDF16_N4opus5fp4_tELi128ELi8ELi16ELb1ELb1ELb1ELb1ELb0ELb0EEEvPT0_PvPT_S7_S7_PKS6_S9_S9_S9_S9_ffiiiiiiiiiiiii: ; @_ZN5aiter35fused_qk_rmsnorm_group_quant_kernelIDF16_N4opus5fp4_tELi128ELi8ELi16ELb1ELb1ELb1ELb1ELb0ELb0EEEvPT0_PvPT_S7_S7_PKS6_S9_S9_S9_S9_ffiiiiiiiiiiiii
; %bb.0:
	s_load_dwordx8 s[12:19], s[4:5], 0x50
	s_waitcnt lgkmcnt(0)
	s_cmp_ge_i32 s6, s14
	s_cbranch_scc1 .LBB315_17
; %bb.1:
	s_cmp_lg_u32 s7, 0
	s_cselect_b64 s[22:23], -1, 0
	s_cmp_eq_u32 s7, 0
	s_cselect_b64 s[2:3], -1, 0
	s_and_b64 s[0:1], s[2:3], exec
	s_cselect_b32 s7, s15, s16
	s_load_dwordx2 s[10:11], s[4:5], 0x30
	s_load_dwordx2 s[20:21], s[4:5], 0x48
	s_add_i32 s0, s7, 1
	s_lshr_b32 s1, s0, 31
	s_add_i32 s0, s0, s1
	s_lshl_b32 s0, s0, 1
	v_lshlrev_b32_e32 v1, 3, v0
	s_and_b32 s30, s0, -4
	v_cmp_gt_i32_e64 s[0:1], s7, v1
	v_mov_b32_e32 v2, 0
	v_mov_b32_e32 v3, 0
	;; [unrolled: 1-line block ×8, first 2 shown]
	s_and_saveexec_b64 s[8:9], s[0:1]
	s_cbranch_execz .LBB315_3
; %bb.2:
	s_load_dwordx2 s[14:15], s[4:5], 0x28
	s_load_dwordx2 s[26:27], s[4:5], 0x40
	s_and_b64 s[24:25], s[2:3], exec
	s_cselect_b32 s17, s17, s18
	s_mov_b32 s31, 0x20000
	s_waitcnt lgkmcnt(0)
	s_cselect_b32 s25, s15, s11
	s_cselect_b32 s24, s14, s10
	s_mul_hi_i32 s15, s17, s6
	s_mul_i32 s14, s17, s6
	s_lshl_b64 s[14:15], s[14:15], 1
	s_add_u32 s24, s24, s14
	s_addc_u32 s17, s25, s15
	s_and_b64 s[14:15], s[2:3], exec
	s_cselect_b32 s28, s26, s20
	s_cselect_b32 s14, s27, s21
	v_lshlrev_b32_e32 v10, 4, v0
	s_and_b32 s25, s17, 0xffff
	s_mov_b32 s26, s30
	s_mov_b32 s27, s31
	s_and_b32 s29, s14, 0xffff
	buffer_load_dwordx4 v[6:9], v10, s[24:27], 0 offen glc slc
	buffer_load_dwordx4 v[2:5], v10, s[28:31], 0 offen
.LBB315_3:
	s_or_b64 exec, exec, s[8:9]
	s_load_dwordx4 s[24:27], s[4:5], 0x7c
	s_and_b64 vcc, exec, s[22:23]
	s_cbranch_vccz .LBB315_7
; %bb.4:
	v_mov_b32_e32 v11, 0
	v_mov_b32_e32 v10, 0
	;; [unrolled: 1-line block ×8, first 2 shown]
	s_and_saveexec_b64 s[8:9], s[0:1]
	s_cbranch_execz .LBB315_6
; %bb.5:
	s_waitcnt vmcnt(1)
	v_cvt_f32_f16_sdwa v13, v6 dst_sel:DWORD dst_unused:UNUSED_PAD src0_sel:WORD_1
	v_cvt_f32_f16_e32 v12, v6
	v_cvt_f32_f16_sdwa v17, v7 dst_sel:DWORD dst_unused:UNUSED_PAD src0_sel:WORD_1
	v_cvt_f32_f16_e32 v16, v7
	;; [unrolled: 2-line block ×4, first 2 shown]
.LBB315_6:
	s_or_b64 exec, exec, s[8:9]
	s_cbranch_execz .LBB315_8
	s_branch .LBB315_11
.LBB315_7:
                                        ; implicit-def: $vgpr11
                                        ; implicit-def: $vgpr15
                                        ; implicit-def: $vgpr17
                                        ; implicit-def: $vgpr13
.LBB315_8:
	v_mov_b32_e32 v11, 0
	v_mov_b32_e32 v10, 0
	;; [unrolled: 1-line block ×8, first 2 shown]
	s_and_saveexec_b64 s[8:9], s[0:1]
	s_cbranch_execz .LBB315_10
; %bb.9:
	s_load_dwordx2 s[14:15], s[4:5], 0x38
	s_mul_hi_i32 s29, s19, s6
	s_mul_i32 s28, s19, s6
	s_lshl_b64 s[28:29], s[28:29], 1
	s_mov_b32 s31, 0x20000
	s_waitcnt lgkmcnt(0)
	s_add_u32 s28, s14, s28
	s_addc_u32 s14, s15, s29
	s_and_b32 s29, s14, 0xffff
	v_lshlrev_b32_e32 v24, 4, v0
	buffer_load_dwordx4 v[10:13], v24, s[28:31], 0 offen glc slc
	s_waitcnt vmcnt(2)
	v_cvt_f32_f16_sdwa v15, v6 dst_sel:DWORD dst_unused:UNUSED_PAD src0_sel:WORD_1
	v_cvt_f32_f16_e32 v14, v6
	v_cvt_f32_f16_sdwa v17, v7 dst_sel:DWORD dst_unused:UNUSED_PAD src0_sel:WORD_1
	v_cvt_f32_f16_e32 v16, v7
	;; [unrolled: 2-line block ×4, first 2 shown]
	s_load_dwordx2 s[14:15], s[4:5], 0x20
	s_mul_hi_i32 s27, s26, s6
	s_mul_i32 s26, s26, s6
	s_lshl_b64 s[26:27], s[26:27], 1
	s_waitcnt lgkmcnt(0)
	s_add_u32 s28, s14, s26
	s_addc_u32 s14, s15, s27
	s_and_b32 s29, s14, 0xffff
	s_waitcnt vmcnt(0)
	v_cvt_f32_f16_e32 v8, v10
	v_cvt_f32_f16_sdwa v9, v10 dst_sel:DWORD dst_unused:UNUSED_PAD src0_sel:WORD_1
	v_cvt_f32_f16_e32 v10, v11
	v_cvt_f32_f16_sdwa v11, v11 dst_sel:DWORD dst_unused:UNUSED_PAD src0_sel:WORD_1
	;; [unrolled: 2-line block ×4, first 2 shown]
	v_pk_add_f32 v[12:13], v[14:15], v[8:9]
	v_pk_add_f32 v[16:17], v[16:17], v[10:11]
	;; [unrolled: 1-line block ×4, first 2 shown]
	v_cvt_f16_f32_e32 v6, v13
	v_cvt_f16_f32_e32 v7, v17
	;; [unrolled: 1-line block ×8, first 2 shown]
	v_pack_b32_f16 v9, v18, v9
	v_pack_b32_f16 v8, v19, v8
	;; [unrolled: 1-line block ×4, first 2 shown]
	buffer_store_dwordx4 v[6:9], v24, s[28:31], 0 offen glc slc
	;;#ASMSTART
	s_nop 0
	;;#ASMEND
.LBB315_10:
	s_or_b64 exec, exec, s[8:9]
.LBB315_11:
	s_waitcnt vmcnt(1)
	v_mul_f32_e32 v6, v13, v13
	v_fmac_f32_e32 v6, v12, v12
	v_fmac_f32_e32 v6, v16, v16
	;; [unrolled: 1-line block ×7, first 2 shown]
	v_and_b32_e32 v8, 63, v0
	v_cmp_eq_u32_e64 s[8:9], 63, v8
	v_mov_b32_dpp v7, v6 quad_perm:[1,0,3,2] row_mask:0xf bank_mask:0xf
	v_add_f32_e32 v6, v6, v7
	s_nop 1
	v_mov_b32_dpp v7, v6 quad_perm:[2,3,0,1] row_mask:0xf bank_mask:0xf
	v_add_f32_e32 v6, v6, v7
	s_nop 1
	v_mov_b32_dpp v7, v6 row_half_mirror row_mask:0xf bank_mask:0xf
	v_add_f32_e32 v6, v6, v7
	s_nop 1
	v_mov_b32_dpp v7, v6 row_mirror row_mask:0xf bank_mask:0xf
	v_add_f32_e32 v6, v6, v7
	s_nop 1
	v_mov_b32_dpp v7, v6 row_bcast:15 row_mask:0xf bank_mask:0xf
	v_add_f32_e32 v6, v6, v7
	s_nop 1
	v_mov_b32_dpp v7, v6 row_bcast:31 row_mask:0xf bank_mask:0xf
	s_and_saveexec_b64 s[14:15], s[8:9]
	s_cbranch_execz .LBB315_13
; %bb.12:
	v_add_f32_e32 v6, v6, v7
	v_lshrrev_b32_e32 v7, 4, v0
	v_and_b32_e32 v7, 60, v7
	ds_write_b32 v7, v6 offset:8
.LBB315_13:
	s_or_b64 exec, exec, s[14:15]
	v_and_b32_e32 v6, 1, v0
	v_lshlrev_b32_e32 v18, 2, v6
	s_waitcnt lgkmcnt(0)
	s_barrier
	ds_read_b32 v6, v18 offset:8
	s_load_dwordx2 s[14:15], s[4:5], 0x18
	s_waitcnt lgkmcnt(0)
	v_mov_b32_dpp v7, v6 quad_perm:[1,0,3,2] row_mask:0xf bank_mask:0xf
	s_and_saveexec_b64 s[26:27], s[0:1]
	s_cbranch_execnz .LBB315_18
; %bb.14:
	s_or_b64 exec, exec, s[26:27]
	s_mov_b64 s[2:3], -1
	s_and_b64 vcc, exec, s[22:23]
	s_cbranch_vccnz .LBB315_19
.LBB315_15:
	s_andn2_b64 vcc, exec, s[2:3]
	s_cbranch_vccz .LBB315_22
.LBB315_16:
	s_cmp_lt_i32 s16, 1
	s_cbranch_scc0 .LBB315_25
.LBB315_17:
	s_endpgm
.LBB315_18:
	v_cvt_f32_u32_e32 v8, s7
	v_add_f32_e32 v6, v6, v7
	v_mov_b32_e32 v19, s13
	v_mov_b32_e32 v20, s12
	v_div_scale_f32 v7, s[28:29], v8, v8, v6
	v_rcp_f32_e32 v9, v7
	v_cndmask_b32_e64 v19, v19, v20, s[2:3]
	s_mov_b32 s2, 0x800000
	v_fma_f32 v20, -v7, v9, 1.0
	v_fmac_f32_e32 v9, v20, v9
	v_div_scale_f32 v20, vcc, v6, v8, v6
	v_mul_f32_e32 v21, v20, v9
	v_fma_f32 v22, -v7, v21, v20
	v_fmac_f32_e32 v21, v22, v9
	v_fma_f32 v7, -v7, v21, v20
	v_div_fmas_f32 v7, v7, v9, v21
	v_div_fixup_f32 v6, v7, v8, v6
	v_add_f32_e32 v6, v19, v6
	v_mul_f32_e32 v7, 0x4b800000, v6
	v_cmp_gt_f32_e32 vcc, s2, v6
	v_cndmask_b32_e32 v6, v6, v7, vcc
	v_rsq_f32_e32 v6, v6
	s_waitcnt vmcnt(0)
	v_cvt_f32_f16_sdwa v21, v3 dst_sel:DWORD dst_unused:UNUSED_PAD src0_sel:WORD_1
	v_cvt_f32_f16_e32 v20, v3
	v_mul_f32_e32 v7, 0x45800000, v6
	v_cndmask_b32_e32 v6, v6, v7, vcc
	v_mov_b32_e32 v7, v6
	;;#ASMSTART
	v_pk_mul_f32 v[8:9], v[12:13], v[6:7]
	;;#ASMEND
	v_cvt_f32_f16_sdwa v13, v2 dst_sel:DWORD dst_unused:UNUSED_PAD src0_sel:WORD_1
	v_cvt_f32_f16_e32 v12, v2
	;;#ASMSTART
	v_pk_mul_f32 v[16:17], v[16:17], v[6:7]
	;;#ASMEND
	;;#ASMSTART
	v_pk_mul_f32 v[14:15], v[14:15], v[6:7]
	;;#ASMEND
	;; [unrolled: 3-line block ×3, first 2 shown]
	v_pk_add_f32 v[6:7], v[12:13], 1.0 op_sel_hi:[1,0]
	;;#ASMSTART
	v_pk_mul_f32 v[12:13], v[8:9], v[6:7]
	;;#ASMEND
	v_cvt_f32_f16_sdwa v9, v4 dst_sel:DWORD dst_unused:UNUSED_PAD src0_sel:WORD_1
	v_cvt_f32_f16_e32 v8, v4
	v_cvt_f32_f16_sdwa v11, v5 dst_sel:DWORD dst_unused:UNUSED_PAD src0_sel:WORD_1
	v_cvt_f32_f16_e32 v10, v5
	v_pk_add_f32 v[6:7], v[20:21], 1.0 op_sel_hi:[1,0]
	v_pk_add_f32 v[4:5], v[8:9], 1.0 op_sel_hi:[1,0]
	;;#ASMSTART
	v_pk_mul_f32 v[16:17], v[16:17], v[6:7]
	;;#ASMEND
	;;#ASMSTART
	v_pk_mul_f32 v[14:15], v[14:15], v[4:5]
	;;#ASMEND
	v_pk_add_f32 v[4:5], v[10:11], 1.0 op_sel_hi:[1,0]
	;;#ASMSTART
	v_pk_mul_f32 v[10:11], v[2:3], v[4:5]
	;;#ASMEND
	s_or_b64 exec, exec, s[26:27]
	s_mov_b64 s[2:3], -1
	s_and_b64 vcc, exec, s[22:23]
	s_cbranch_vccz .LBB315_15
.LBB315_19:
	s_and_saveexec_b64 s[2:3], s[0:1]
	s_cbranch_execz .LBB315_21
; %bb.20:
	s_mul_hi_i32 s23, s25, s6
	s_mul_i32 s22, s25, s6
	s_waitcnt vmcnt(0)
	v_cvt_f16_f32_e32 v2, v12
	v_cvt_f16_f32_e32 v3, v16
	;; [unrolled: 1-line block ×8, first 2 shown]
	s_lshl_b64 s[22:23], s[22:23], 1
	s_add_u32 s28, s14, s22
	s_addc_u32 s7, s15, s23
	s_and_b32 s29, s7, 0xffff
	s_mov_b32 s31, 0x20000
	v_pack_b32_f16 v5, v5, v6
	v_pack_b32_f16 v4, v4, v7
	v_pack_b32_f16 v3, v3, v8
	v_pack_b32_f16 v2, v2, v9
	v_lshlrev_b32_e32 v6, 4, v0
	buffer_store_dwordx4 v[2:5], v6, s[28:31], 0 offen
	;;#ASMSTART
	s_nop 0
	;;#ASMEND
.LBB315_21:
	s_or_b64 exec, exec, s[2:3]
	s_cbranch_execnz .LBB315_16
.LBB315_22:
	s_and_saveexec_b64 s[2:3], s[0:1]
	s_cbranch_execz .LBB315_24
; %bb.23:
	s_load_dwordx2 s[0:1], s[4:5], 0x10
	s_mul_hi_i32 s23, s24, s6
	s_mul_i32 s22, s24, s6
	s_waitcnt vmcnt(0)
	v_cvt_f16_f32_e32 v2, v12
	v_cvt_f16_f32_e32 v3, v16
	;; [unrolled: 1-line block ×8, first 2 shown]
	s_lshl_b64 s[22:23], s[22:23], 1
	s_waitcnt lgkmcnt(0)
	s_add_u32 s28, s0, s22
	s_addc_u32 s0, s1, s23
	s_mov_b32 s31, 0x20000
	s_and_b32 s29, s0, 0xffff
	v_pack_b32_f16 v5, v5, v6
	v_pack_b32_f16 v4, v4, v7
	;; [unrolled: 1-line block ×4, first 2 shown]
	v_lshlrev_b32_e32 v6, 4, v0
	buffer_store_dwordx4 v[2:5], v6, s[28:31], 0 offen
	;;#ASMSTART
	s_nop 0
	;;#ASMEND
.LBB315_24:
	s_or_b64 exec, exec, s[2:3]
	s_cmp_lt_i32 s16, 1
	s_cbranch_scc1 .LBB315_17
.LBB315_25:
	s_load_dword s0, s[4:5], 0x94
	s_waitcnt lgkmcnt(0)
	s_cmp_lg_u32 s0, 1
	s_cbranch_scc1 .LBB315_17
; %bb.26:
	s_lshl_b32 s0, s16, 1
	s_add_i32 s0, s0, 2
	v_cmp_gt_u32_e32 vcc, s16, v1
	s_and_b32 s22, s0, -4
	v_mov_b32_e32 v10, 0
	v_lshlrev_b32_e32 v1, 4, v0
	v_mov_b32_e32 v6, 0
	v_mov_b32_e32 v7, 0
	v_mov_b32_e32 v8, 0
	v_mov_b32_e32 v9, 0
	s_waitcnt vmcnt(0)
	v_mov_b32_e32 v2, 0
	v_mov_b32_e32 v3, 0
	;; [unrolled: 1-line block ×4, first 2 shown]
	s_barrier
	s_and_saveexec_b64 s[0:1], vcc
	s_cbranch_execz .LBB315_28
; %bb.27:
	s_mul_hi_i32 s3, s18, s6
	s_mul_i32 s2, s18, s6
	s_and_b32 s21, s21, 0xffff
	s_lshl_b64 s[2:3], s[2:3], 1
	s_add_u32 s28, s10, s2
	s_mov_b32 s23, 0x20000
	s_addc_u32 s2, s11, s3
	s_and_b32 s29, s2, 0xffff
	s_mov_b32 s30, s22
	s_mov_b32 s31, s23
	buffer_load_dwordx4 v[6:9], v1, s[28:31], 0 offen glc slc
	buffer_load_dwordx4 v[2:5], v1, s[20:23], 0 offen
.LBB315_28:
	s_or_b64 exec, exec, s[0:1]
	v_mov_b32_e32 v11, 0
	v_mov_b32_e32 v16, 0
	;; [unrolled: 1-line block ×7, first 2 shown]
	s_and_saveexec_b64 s[0:1], vcc
	s_cbranch_execz .LBB315_30
; %bb.29:
	s_waitcnt vmcnt(1)
	v_cvt_f32_f16_sdwa v11, v6 dst_sel:DWORD dst_unused:UNUSED_PAD src0_sel:WORD_1
	v_cvt_f32_f16_e32 v10, v6
	v_cvt_f32_f16_sdwa v17, v7 dst_sel:DWORD dst_unused:UNUSED_PAD src0_sel:WORD_1
	v_cvt_f32_f16_e32 v16, v7
	;; [unrolled: 2-line block ×4, first 2 shown]
.LBB315_30:
	s_or_b64 exec, exec, s[0:1]
	s_waitcnt vmcnt(1)
	v_mul_f32_e32 v6, v11, v11
	v_fmac_f32_e32 v6, v10, v10
	v_fmac_f32_e32 v6, v16, v16
	;; [unrolled: 1-line block ×7, first 2 shown]
	s_nop 1
	v_mov_b32_dpp v7, v6 quad_perm:[1,0,3,2] row_mask:0xf bank_mask:0xf
	v_add_f32_e32 v6, v6, v7
	s_nop 1
	v_mov_b32_dpp v7, v6 quad_perm:[2,3,0,1] row_mask:0xf bank_mask:0xf
	v_add_f32_e32 v6, v6, v7
	s_nop 1
	v_mov_b32_dpp v7, v6 row_half_mirror row_mask:0xf bank_mask:0xf
	v_add_f32_e32 v6, v6, v7
	s_nop 1
	v_mov_b32_dpp v7, v6 row_mirror row_mask:0xf bank_mask:0xf
	v_add_f32_e32 v6, v6, v7
	s_nop 1
	v_mov_b32_dpp v7, v6 row_bcast:15 row_mask:0xf bank_mask:0xf
	v_add_f32_e32 v6, v6, v7
	s_nop 1
	v_mov_b32_dpp v7, v6 row_bcast:31 row_mask:0xf bank_mask:0xf
	s_and_saveexec_b64 s[0:1], s[8:9]
	s_cbranch_execz .LBB315_32
; %bb.31:
	v_lshrrev_b32_e32 v0, 4, v0
	v_add_f32_e32 v6, v6, v7
	v_and_b32_e32 v0, 60, v0
	ds_write_b32 v0, v6
.LBB315_32:
	s_or_b64 exec, exec, s[0:1]
	s_waitcnt lgkmcnt(0)
	s_barrier
	ds_read_b32 v0, v18
	s_waitcnt lgkmcnt(0)
	s_nop 0
	v_mov_b32_dpp v6, v0 quad_perm:[1,0,3,2] row_mask:0xf bank_mask:0xf
	s_and_saveexec_b64 s[0:1], vcc
	s_cbranch_execz .LBB315_17
; %bb.33:
	v_cvt_f32_u32_e32 v7, s16
	v_add_f32_e32 v0, v0, v6
	s_mov_b32 s23, 0x20000
	v_div_scale_f32 v6, s[0:1], v7, v7, v0
	v_rcp_f32_e32 v8, v6
	v_div_scale_f32 v9, vcc, v0, v7, v0
	s_mov_b32 s0, 0x800000
	v_fma_f32 v18, -v6, v8, 1.0
	v_fmac_f32_e32 v8, v18, v8
	v_mul_f32_e32 v18, v9, v8
	v_fma_f32 v19, -v6, v18, v9
	v_fmac_f32_e32 v18, v19, v8
	v_fma_f32 v6, -v6, v18, v9
	v_div_fmas_f32 v6, v6, v8, v18
	v_div_fixup_f32 v0, v6, v7, v0
	v_add_f32_e32 v0, s13, v0
	v_mul_f32_e32 v6, 0x4b800000, v0
	v_cmp_gt_f32_e32 vcc, s0, v0
	v_cndmask_b32_e32 v0, v0, v6, vcc
	v_rsq_f32_e32 v0, v0
	s_waitcnt vmcnt(0)
	v_cvt_f32_f16_sdwa v19, v3 dst_sel:DWORD dst_unused:UNUSED_PAD src0_sel:WORD_1
	v_cvt_f32_f16_e32 v18, v3
	s_mul_hi_i32 s1, s25, s6
	v_mul_f32_e32 v6, 0x45800000, v0
	v_cndmask_b32_e32 v6, v0, v6, vcc
	v_mov_b32_e32 v7, v6
	;;#ASMSTART
	v_pk_mul_f32 v[8:9], v[10:11], v[6:7]
	;;#ASMEND
	;;#ASMSTART
	v_pk_mul_f32 v[10:11], v[16:17], v[6:7]
	;;#ASMEND
	v_cvt_f32_f16_sdwa v17, v2 dst_sel:DWORD dst_unused:UNUSED_PAD src0_sel:WORD_1
	v_cvt_f32_f16_e32 v16, v2
	;;#ASMSTART
	v_pk_mul_f32 v[14:15], v[14:15], v[6:7]
	;;#ASMEND
	;;#ASMSTART
	v_pk_mul_f32 v[2:3], v[12:13], v[6:7]
	;;#ASMEND
	v_cvt_f32_f16_sdwa v13, v4 dst_sel:DWORD dst_unused:UNUSED_PAD src0_sel:WORD_1
	v_cvt_f32_f16_e32 v12, v4
	v_pk_add_f32 v[6:7], v[16:17], 1.0 op_sel_hi:[1,0]
	v_cvt_f32_f16_sdwa v17, v5 dst_sel:DWORD dst_unused:UNUSED_PAD src0_sel:WORD_1
	v_cvt_f32_f16_e32 v16, v5
	;;#ASMSTART
	v_pk_mul_f32 v[6:7], v[8:9], v[6:7]
	;;#ASMEND
	v_pk_add_f32 v[8:9], v[18:19], 1.0 op_sel_hi:[1,0]
	;;#ASMSTART
	v_pk_mul_f32 v[4:5], v[10:11], v[8:9]
	;;#ASMEND
	v_pk_add_f32 v[8:9], v[12:13], 1.0 op_sel_hi:[1,0]
	;; [unrolled: 4-line block ×3, first 2 shown]
	;;#ASMSTART
	v_pk_mul_f32 v[2:3], v[2:3], v[10:11]
	;;#ASMEND
	s_mul_i32 s0, s25, s6
	v_cvt_f16_f32_e32 v0, v6
	v_cvt_f16_f32_e32 v6, v7
	;; [unrolled: 1-line block ×8, first 2 shown]
	s_lshl_b64 s[0:1], s[0:1], 1
	s_add_u32 s20, s14, s0
	s_addc_u32 s0, s15, s1
	s_and_b32 s21, s0, 0xffff
	v_pack_b32_f16 v2, v0, v6
	v_pack_b32_f16 v3, v4, v5
	;; [unrolled: 1-line block ×4, first 2 shown]
	buffer_store_dwordx4 v[2:5], v1, s[20:23], 0 offen
	;;#ASMSTART
	s_nop 0
	;;#ASMEND
	s_endpgm
	.section	.rodata,"a",@progbits
	.p2align	6, 0x0
	.amdhsa_kernel _ZN5aiter35fused_qk_rmsnorm_group_quant_kernelIDF16_N4opus5fp4_tELi128ELi8ELi16ELb1ELb1ELb1ELb1ELb0ELb0EEEvPT0_PvPT_S7_S7_PKS6_S9_S9_S9_S9_ffiiiiiiiiiiiii
		.amdhsa_group_segment_fixed_size 16
		.amdhsa_private_segment_fixed_size 0
		.amdhsa_kernarg_size 400
		.amdhsa_user_sgpr_count 6
		.amdhsa_user_sgpr_private_segment_buffer 1
		.amdhsa_user_sgpr_dispatch_ptr 0
		.amdhsa_user_sgpr_queue_ptr 0
		.amdhsa_user_sgpr_kernarg_segment_ptr 1
		.amdhsa_user_sgpr_dispatch_id 0
		.amdhsa_user_sgpr_flat_scratch_init 0
		.amdhsa_user_sgpr_kernarg_preload_length 0
		.amdhsa_user_sgpr_kernarg_preload_offset 0
		.amdhsa_user_sgpr_private_segment_size 0
		.amdhsa_uses_dynamic_stack 0
		.amdhsa_system_sgpr_private_segment_wavefront_offset 0
		.amdhsa_system_sgpr_workgroup_id_x 1
		.amdhsa_system_sgpr_workgroup_id_y 1
		.amdhsa_system_sgpr_workgroup_id_z 0
		.amdhsa_system_sgpr_workgroup_info 0
		.amdhsa_system_vgpr_workitem_id 0
		.amdhsa_next_free_vgpr 25
		.amdhsa_next_free_sgpr 32
		.amdhsa_accum_offset 28
		.amdhsa_reserve_vcc 1
		.amdhsa_reserve_flat_scratch 0
		.amdhsa_float_round_mode_32 0
		.amdhsa_float_round_mode_16_64 0
		.amdhsa_float_denorm_mode_32 3
		.amdhsa_float_denorm_mode_16_64 3
		.amdhsa_dx10_clamp 1
		.amdhsa_ieee_mode 1
		.amdhsa_fp16_overflow 0
		.amdhsa_tg_split 0
		.amdhsa_exception_fp_ieee_invalid_op 0
		.amdhsa_exception_fp_denorm_src 0
		.amdhsa_exception_fp_ieee_div_zero 0
		.amdhsa_exception_fp_ieee_overflow 0
		.amdhsa_exception_fp_ieee_underflow 0
		.amdhsa_exception_fp_ieee_inexact 0
		.amdhsa_exception_int_div_zero 0
	.end_amdhsa_kernel
	.section	.text._ZN5aiter35fused_qk_rmsnorm_group_quant_kernelIDF16_N4opus5fp4_tELi128ELi8ELi16ELb1ELb1ELb1ELb1ELb0ELb0EEEvPT0_PvPT_S7_S7_PKS6_S9_S9_S9_S9_ffiiiiiiiiiiiii,"axG",@progbits,_ZN5aiter35fused_qk_rmsnorm_group_quant_kernelIDF16_N4opus5fp4_tELi128ELi8ELi16ELb1ELb1ELb1ELb1ELb0ELb0EEEvPT0_PvPT_S7_S7_PKS6_S9_S9_S9_S9_ffiiiiiiiiiiiii,comdat
.Lfunc_end315:
	.size	_ZN5aiter35fused_qk_rmsnorm_group_quant_kernelIDF16_N4opus5fp4_tELi128ELi8ELi16ELb1ELb1ELb1ELb1ELb0ELb0EEEvPT0_PvPT_S7_S7_PKS6_S9_S9_S9_S9_ffiiiiiiiiiiiii, .Lfunc_end315-_ZN5aiter35fused_qk_rmsnorm_group_quant_kernelIDF16_N4opus5fp4_tELi128ELi8ELi16ELb1ELb1ELb1ELb1ELb0ELb0EEEvPT0_PvPT_S7_S7_PKS6_S9_S9_S9_S9_ffiiiiiiiiiiiii
                                        ; -- End function
	.section	.AMDGPU.csdata,"",@progbits
; Kernel info:
; codeLenInByte = 2448
; NumSgprs: 36
; NumVgprs: 25
; NumAgprs: 0
; TotalNumVgprs: 25
; ScratchSize: 0
; MemoryBound: 0
; FloatMode: 240
; IeeeMode: 1
; LDSByteSize: 16 bytes/workgroup (compile time only)
; SGPRBlocks: 4
; VGPRBlocks: 3
; NumSGPRsForWavesPerEU: 36
; NumVGPRsForWavesPerEU: 25
; AccumOffset: 28
; Occupancy: 8
; WaveLimiterHint : 0
; COMPUTE_PGM_RSRC2:SCRATCH_EN: 0
; COMPUTE_PGM_RSRC2:USER_SGPR: 6
; COMPUTE_PGM_RSRC2:TRAP_HANDLER: 0
; COMPUTE_PGM_RSRC2:TGID_X_EN: 1
; COMPUTE_PGM_RSRC2:TGID_Y_EN: 1
; COMPUTE_PGM_RSRC2:TGID_Z_EN: 0
; COMPUTE_PGM_RSRC2:TIDIG_COMP_CNT: 0
; COMPUTE_PGM_RSRC3_GFX90A:ACCUM_OFFSET: 6
; COMPUTE_PGM_RSRC3_GFX90A:TG_SPLIT: 0
	.section	.text._ZN5aiter35fused_qk_rmsnorm_group_quant_kernelItN4opus5fp4_tELi128ELi8ELi16ELb1ELb1ELb1ELb1ELb0ELb0EEEvPT0_PvPT_S7_S7_PKS6_S9_S9_S9_S9_ffiiiiiiiiiiiii,"axG",@progbits,_ZN5aiter35fused_qk_rmsnorm_group_quant_kernelItN4opus5fp4_tELi128ELi8ELi16ELb1ELb1ELb1ELb1ELb0ELb0EEEvPT0_PvPT_S7_S7_PKS6_S9_S9_S9_S9_ffiiiiiiiiiiiii,comdat
	.protected	_ZN5aiter35fused_qk_rmsnorm_group_quant_kernelItN4opus5fp4_tELi128ELi8ELi16ELb1ELb1ELb1ELb1ELb0ELb0EEEvPT0_PvPT_S7_S7_PKS6_S9_S9_S9_S9_ffiiiiiiiiiiiii ; -- Begin function _ZN5aiter35fused_qk_rmsnorm_group_quant_kernelItN4opus5fp4_tELi128ELi8ELi16ELb1ELb1ELb1ELb1ELb0ELb0EEEvPT0_PvPT_S7_S7_PKS6_S9_S9_S9_S9_ffiiiiiiiiiiiii
	.globl	_ZN5aiter35fused_qk_rmsnorm_group_quant_kernelItN4opus5fp4_tELi128ELi8ELi16ELb1ELb1ELb1ELb1ELb0ELb0EEEvPT0_PvPT_S7_S7_PKS6_S9_S9_S9_S9_ffiiiiiiiiiiiii
	.p2align	8
	.type	_ZN5aiter35fused_qk_rmsnorm_group_quant_kernelItN4opus5fp4_tELi128ELi8ELi16ELb1ELb1ELb1ELb1ELb0ELb0EEEvPT0_PvPT_S7_S7_PKS6_S9_S9_S9_S9_ffiiiiiiiiiiiii,@function
_ZN5aiter35fused_qk_rmsnorm_group_quant_kernelItN4opus5fp4_tELi128ELi8ELi16ELb1ELb1ELb1ELb1ELb0ELb0EEEvPT0_PvPT_S7_S7_PKS6_S9_S9_S9_S9_ffiiiiiiiiiiiii: ; @_ZN5aiter35fused_qk_rmsnorm_group_quant_kernelItN4opus5fp4_tELi128ELi8ELi16ELb1ELb1ELb1ELb1ELb0ELb0EEEvPT0_PvPT_S7_S7_PKS6_S9_S9_S9_S9_ffiiiiiiiiiiiii
; %bb.0:
	s_load_dwordx8 s[12:19], s[4:5], 0x50
	s_waitcnt lgkmcnt(0)
	s_cmp_ge_i32 s6, s14
	s_cbranch_scc1 .LBB316_17
; %bb.1:
	s_cmp_lg_u32 s7, 0
	s_cselect_b64 s[22:23], -1, 0
	s_cmp_eq_u32 s7, 0
	s_cselect_b64 s[8:9], -1, 0
	s_and_b64 s[0:1], s[8:9], exec
	s_cselect_b32 s7, s15, s16
	s_load_dwordx2 s[10:11], s[4:5], 0x30
	s_load_dwordx2 s[20:21], s[4:5], 0x48
	s_add_i32 s0, s7, 1
	s_lshr_b32 s1, s0, 31
	s_add_i32 s0, s0, s1
	s_lshl_b32 s0, s0, 1
	v_lshlrev_b32_e32 v1, 3, v0
	s_and_b32 s30, s0, -4
	v_cmp_gt_i32_e64 s[0:1], s7, v1
	v_mov_b32_e32 v10, 0
	v_mov_b32_e32 v11, 0
	;; [unrolled: 1-line block ×8, first 2 shown]
	s_and_saveexec_b64 s[2:3], s[0:1]
	s_cbranch_execz .LBB316_3
; %bb.2:
	s_load_dwordx2 s[14:15], s[4:5], 0x28
	s_load_dwordx2 s[26:27], s[4:5], 0x40
	s_and_b64 s[24:25], s[8:9], exec
	s_cselect_b32 s17, s17, s18
	s_mov_b32 s31, 0x20000
	s_waitcnt lgkmcnt(0)
	s_cselect_b32 s25, s15, s11
	s_cselect_b32 s24, s14, s10
	s_mul_hi_i32 s15, s17, s6
	s_mul_i32 s14, s17, s6
	s_lshl_b64 s[14:15], s[14:15], 1
	s_add_u32 s24, s24, s14
	s_addc_u32 s17, s25, s15
	s_and_b64 s[14:15], s[8:9], exec
	s_cselect_b32 s28, s26, s20
	s_cselect_b32 s14, s27, s21
	v_lshlrev_b32_e32 v2, 4, v0
	s_and_b32 s25, s17, 0xffff
	s_mov_b32 s26, s30
	s_mov_b32 s27, s31
	s_and_b32 s29, s14, 0xffff
	buffer_load_dwordx4 v[14:17], v2, s[24:27], 0 offen glc slc
	buffer_load_dwordx4 v[10:13], v2, s[28:31], 0 offen
.LBB316_3:
	s_or_b64 exec, exec, s[2:3]
	s_load_dwordx4 s[24:27], s[4:5], 0x7c
	s_and_b64 vcc, exec, s[22:23]
	s_cbranch_vccz .LBB316_7
; %bb.4:
	s_mov_b32 s36, 0
	s_mov_b32 s37, s36
	;; [unrolled: 1-line block ×8, first 2 shown]
	v_pk_mov_b32 v[2:3], s[36:37], s[36:37] op_sel:[0,1]
	v_pk_mov_b32 v[4:5], s[38:39], s[38:39] op_sel:[0,1]
	;; [unrolled: 1-line block ×4, first 2 shown]
	s_and_saveexec_b64 s[2:3], s[0:1]
	s_cbranch_execz .LBB316_6
; %bb.5:
	s_waitcnt vmcnt(1)
	v_cvt_f32_u32_sdwa v3, v14 dst_sel:DWORD dst_unused:UNUSED_PAD src0_sel:WORD_1
	v_cvt_f32_u32_sdwa v2, v14 dst_sel:DWORD dst_unused:UNUSED_PAD src0_sel:WORD_0
	v_cvt_f32_u32_sdwa v5, v15 dst_sel:DWORD dst_unused:UNUSED_PAD src0_sel:WORD_1
	v_cvt_f32_u32_sdwa v4, v15 dst_sel:DWORD dst_unused:UNUSED_PAD src0_sel:WORD_0
	;; [unrolled: 2-line block ×4, first 2 shown]
.LBB316_6:
	s_or_b64 exec, exec, s[2:3]
	s_cbranch_execz .LBB316_8
	s_branch .LBB316_11
.LBB316_7:
                                        ; implicit-def: $vgpr2_vgpr3_vgpr4_vgpr5_vgpr6_vgpr7_vgpr8_vgpr9
.LBB316_8:
	s_mov_b32 s36, 0
	s_mov_b32 s37, s36
	;; [unrolled: 1-line block ×8, first 2 shown]
	v_pk_mov_b32 v[2:3], s[36:37], s[36:37] op_sel:[0,1]
	v_pk_mov_b32 v[4:5], s[38:39], s[38:39] op_sel:[0,1]
	;; [unrolled: 1-line block ×4, first 2 shown]
	s_and_saveexec_b64 s[2:3], s[0:1]
	s_cbranch_execz .LBB316_10
; %bb.9:
	s_load_dwordx2 s[14:15], s[4:5], 0x38
	s_mul_hi_i32 s29, s19, s6
	s_mul_i32 s28, s19, s6
	s_lshl_b64 s[28:29], s[28:29], 1
	s_mov_b32 s31, 0x20000
	s_waitcnt lgkmcnt(0)
	s_add_u32 s28, s14, s28
	s_addc_u32 s14, s15, s29
	s_and_b32 s29, s14, 0xffff
	v_lshlrev_b32_e32 v26, 4, v0
	buffer_load_dwordx4 v[2:5], v26, s[28:31], 0 offen glc slc
	s_load_dwordx2 s[14:15], s[4:5], 0x20
	s_waitcnt vmcnt(2)
	v_cvt_f32_u32_sdwa v7, v14 dst_sel:DWORD dst_unused:UNUSED_PAD src0_sel:WORD_1
	v_cvt_f32_u32_sdwa v6, v14 dst_sel:DWORD dst_unused:UNUSED_PAD src0_sel:WORD_0
	v_cvt_f32_u32_sdwa v9, v15 dst_sel:DWORD dst_unused:UNUSED_PAD src0_sel:WORD_1
	v_cvt_f32_u32_sdwa v8, v15 dst_sel:DWORD dst_unused:UNUSED_PAD src0_sel:WORD_0
	;; [unrolled: 2-line block ×4, first 2 shown]
	s_mul_hi_i32 s27, s26, s6
	s_mul_i32 s26, s26, s6
	s_lshl_b64 s[26:27], s[26:27], 1
	s_waitcnt lgkmcnt(0)
	s_add_u32 s28, s14, s26
	s_mov_b32 s17, 0x7060302
	s_addc_u32 s14, s15, s27
	s_and_b32 s29, s14, 0xffff
	s_waitcnt vmcnt(0)
	v_cvt_f32_u32_sdwa v17, v2 dst_sel:DWORD dst_unused:UNUSED_PAD src0_sel:WORD_1
	v_cvt_f32_u32_sdwa v16, v2 dst_sel:DWORD dst_unused:UNUSED_PAD src0_sel:WORD_0
	v_cvt_f32_u32_sdwa v21, v3 dst_sel:DWORD dst_unused:UNUSED_PAD src0_sel:WORD_1
	v_cvt_f32_u32_sdwa v20, v3 dst_sel:DWORD dst_unused:UNUSED_PAD src0_sel:WORD_0
	;; [unrolled: 2-line block ×4, first 2 shown]
	v_pk_add_f32 v[2:3], v[6:7], v[16:17]
	v_pk_add_f32 v[4:5], v[8:9], v[20:21]
	;; [unrolled: 1-line block ×4, first 2 shown]
	v_perm_b32 v17, v9, v8, s17
	v_perm_b32 v16, v7, v6, s17
	v_perm_b32 v15, v5, v4, s17
	v_perm_b32 v14, v3, v2, s17
	buffer_store_dwordx4 v[14:17], v26, s[28:31], 0 offen glc slc
	;;#ASMSTART
	s_nop 0
	;;#ASMEND
.LBB316_10:
	s_or_b64 exec, exec, s[2:3]
.LBB316_11:
	s_waitcnt vmcnt(1)
	v_mul_f32_e32 v14, v3, v3
	v_fmac_f32_e32 v14, v2, v2
	v_fmac_f32_e32 v14, v4, v4
	;; [unrolled: 1-line block ×7, first 2 shown]
	v_and_b32_e32 v16, 63, v0
	v_cmp_eq_u32_e64 s[2:3], 63, v16
	v_mov_b32_dpp v15, v14 quad_perm:[1,0,3,2] row_mask:0xf bank_mask:0xf
	v_add_f32_e32 v14, v14, v15
	s_nop 1
	v_mov_b32_dpp v15, v14 quad_perm:[2,3,0,1] row_mask:0xf bank_mask:0xf
	v_add_f32_e32 v14, v14, v15
	s_nop 1
	v_mov_b32_dpp v15, v14 row_half_mirror row_mask:0xf bank_mask:0xf
	v_add_f32_e32 v14, v14, v15
	s_nop 1
	v_mov_b32_dpp v15, v14 row_mirror row_mask:0xf bank_mask:0xf
	v_add_f32_e32 v14, v14, v15
	s_nop 1
	v_mov_b32_dpp v15, v14 row_bcast:15 row_mask:0xf bank_mask:0xf
	v_add_f32_e32 v14, v14, v15
	s_nop 1
	v_mov_b32_dpp v15, v14 row_bcast:31 row_mask:0xf bank_mask:0xf
	s_and_saveexec_b64 s[14:15], s[2:3]
	s_cbranch_execz .LBB316_13
; %bb.12:
	v_add_f32_e32 v14, v14, v15
	v_lshrrev_b32_e32 v15, 4, v0
	v_and_b32_e32 v15, 60, v15
	ds_write_b32 v15, v14 offset:8
.LBB316_13:
	s_or_b64 exec, exec, s[14:15]
	v_and_b32_e32 v14, 1, v0
	v_lshlrev_b32_e32 v14, 2, v14
	s_waitcnt lgkmcnt(0)
	s_barrier
	ds_read_b32 v15, v14 offset:8
	s_load_dwordx2 s[14:15], s[4:5], 0x18
	s_waitcnt lgkmcnt(0)
	v_mov_b32_dpp v16, v15 quad_perm:[1,0,3,2] row_mask:0xf bank_mask:0xf
	s_and_saveexec_b64 s[26:27], s[0:1]
	s_cbranch_execnz .LBB316_18
; %bb.14:
	s_or_b64 exec, exec, s[26:27]
	s_mov_b64 s[8:9], -1
	s_and_b64 vcc, exec, s[22:23]
	s_cbranch_vccnz .LBB316_19
.LBB316_15:
	s_andn2_b64 vcc, exec, s[8:9]
	s_cbranch_vccz .LBB316_22
.LBB316_16:
	s_cmp_lt_i32 s16, 1
	s_cbranch_scc0 .LBB316_25
.LBB316_17:
	s_endpgm
.LBB316_18:
	v_cvt_f32_u32_e32 v17, s7
	v_add_f32_e32 v15, v15, v16
	v_mov_b32_e32 v19, s13
	v_mov_b32_e32 v20, s12
	v_div_scale_f32 v16, s[28:29], v17, v17, v15
	v_rcp_f32_e32 v18, v16
	v_cndmask_b32_e64 v19, v19, v20, s[8:9]
	s_mov_b32 s7, 0x800000
	v_fma_f32 v20, -v16, v18, 1.0
	v_fmac_f32_e32 v18, v20, v18
	v_div_scale_f32 v20, vcc, v15, v17, v15
	v_mul_f32_e32 v21, v20, v18
	v_fma_f32 v22, -v16, v21, v20
	v_fmac_f32_e32 v21, v22, v18
	v_fma_f32 v16, -v16, v21, v20
	v_div_fmas_f32 v16, v16, v18, v21
	v_div_fixup_f32 v15, v16, v17, v15
	v_add_f32_e32 v15, v19, v15
	v_mul_f32_e32 v16, 0x4b800000, v15
	v_cmp_gt_f32_e32 vcc, s7, v15
	v_cndmask_b32_e32 v15, v15, v16, vcc
	v_rsq_f32_e32 v15, v15
	s_waitcnt vmcnt(0)
	v_cvt_f32_u32_sdwa v19, v10 dst_sel:DWORD dst_unused:UNUSED_PAD src0_sel:WORD_1
	v_cvt_f32_u32_sdwa v18, v10 dst_sel:DWORD dst_unused:UNUSED_PAD src0_sel:WORD_0
	v_cvt_f32_u32_sdwa v21, v11 dst_sel:DWORD dst_unused:UNUSED_PAD src0_sel:WORD_1
	v_mul_f32_e32 v16, 0x45800000, v15
	v_cndmask_b32_e32 v16, v15, v16, vcc
	v_mov_b32_e32 v17, v16
	v_cvt_f32_u32_sdwa v20, v11 dst_sel:DWORD dst_unused:UNUSED_PAD src0_sel:WORD_0
	;;#ASMSTART
	v_pk_mul_f32 v[2:3], v[2:3], v[16:17]
	;;#ASMEND
	;;#ASMSTART
	v_pk_mul_f32 v[4:5], v[4:5], v[16:17]
	;;#ASMEND
	;; [unrolled: 3-line block ×4, first 2 shown]
	v_cvt_f32_u32_sdwa v17, v12 dst_sel:DWORD dst_unused:UNUSED_PAD src0_sel:WORD_1
	v_cvt_f32_u32_sdwa v16, v12 dst_sel:DWORD dst_unused:UNUSED_PAD src0_sel:WORD_0
	v_pk_add_f32 v[10:11], v[18:19], 1.0 op_sel_hi:[1,0]
	v_cvt_f32_u32_sdwa v19, v13 dst_sel:DWORD dst_unused:UNUSED_PAD src0_sel:WORD_1
	v_cvt_f32_u32_sdwa v18, v13 dst_sel:DWORD dst_unused:UNUSED_PAD src0_sel:WORD_0
	;;#ASMSTART
	v_pk_mul_f32 v[2:3], v[2:3], v[10:11]
	;;#ASMEND
	v_pk_add_f32 v[10:11], v[20:21], 1.0 op_sel_hi:[1,0]
	;;#ASMSTART
	v_pk_mul_f32 v[4:5], v[4:5], v[10:11]
	;;#ASMEND
	v_pk_add_f32 v[10:11], v[16:17], 1.0 op_sel_hi:[1,0]
	;; [unrolled: 4-line block ×3, first 2 shown]
	;;#ASMSTART
	v_pk_mul_f32 v[8:9], v[8:9], v[10:11]
	;;#ASMEND
	s_or_b64 exec, exec, s[26:27]
	s_mov_b64 s[8:9], -1
	s_and_b64 vcc, exec, s[22:23]
	s_cbranch_vccz .LBB316_15
.LBB316_19:
	s_and_saveexec_b64 s[8:9], s[0:1]
	s_cbranch_execz .LBB316_21
; %bb.20:
	s_mul_hi_i32 s23, s25, s6
	s_mul_i32 s22, s25, s6
	s_lshl_b64 s[22:23], s[22:23], 1
	s_add_u32 s28, s14, s22
	s_addc_u32 s7, s15, s23
	s_and_b32 s29, s7, 0xffff
	s_mov_b32 s7, 0x7060302
	s_mov_b32 s31, 0x20000
	s_waitcnt vmcnt(0)
	v_perm_b32 v10, v3, v2, s7
	v_perm_b32 v11, v5, v4, s7
	;; [unrolled: 1-line block ×4, first 2 shown]
	v_lshlrev_b32_e32 v15, 4, v0
	buffer_store_dwordx4 v[10:13], v15, s[28:31], 0 offen
	;;#ASMSTART
	s_nop 0
	;;#ASMEND
.LBB316_21:
	s_or_b64 exec, exec, s[8:9]
	s_cbranch_execnz .LBB316_16
.LBB316_22:
	s_and_saveexec_b64 s[8:9], s[0:1]
	s_cbranch_execz .LBB316_24
; %bb.23:
	s_load_dwordx2 s[0:1], s[4:5], 0x10
	s_mul_hi_i32 s23, s24, s6
	s_mul_i32 s22, s24, s6
	s_lshl_b64 s[22:23], s[22:23], 1
	s_mov_b32 s31, 0x20000
	s_waitcnt lgkmcnt(0)
	s_add_u32 s28, s0, s22
	s_addc_u32 s0, s1, s23
	s_and_b32 s29, s0, 0xffff
	s_mov_b32 s0, 0x7060302
	v_perm_b32 v2, v3, v2, s0
	v_perm_b32 v3, v5, v4, s0
	;; [unrolled: 1-line block ×4, first 2 shown]
	v_lshlrev_b32_e32 v6, 4, v0
	buffer_store_dwordx4 v[2:5], v6, s[28:31], 0 offen
	;;#ASMSTART
	s_nop 0
	;;#ASMEND
.LBB316_24:
	s_or_b64 exec, exec, s[8:9]
	s_cmp_lt_i32 s16, 1
	s_cbranch_scc1 .LBB316_17
.LBB316_25:
	s_load_dword s0, s[4:5], 0x94
	s_waitcnt lgkmcnt(0)
	s_cmp_lg_u32 s0, 1
	s_cbranch_scc1 .LBB316_17
; %bb.26:
	s_lshl_b32 s0, s16, 1
	s_add_i32 s0, s0, 2
	v_cmp_gt_u32_e32 vcc, s16, v1
	s_and_b32 s22, s0, -4
	v_mov_b32_e32 v6, 0
	v_lshlrev_b32_e32 v1, 4, v0
	v_mov_b32_e32 v7, 0
	v_mov_b32_e32 v8, 0
	;; [unrolled: 1-line block ×7, first 2 shown]
	s_barrier
	s_and_saveexec_b64 s[0:1], vcc
	s_cbranch_execz .LBB316_28
; %bb.27:
	s_mul_hi_i32 s5, s18, s6
	s_mul_i32 s4, s18, s6
	s_and_b32 s21, s21, 0xffff
	s_lshl_b64 s[4:5], s[4:5], 1
	s_add_u32 s8, s10, s4
	s_mov_b32 s23, 0x20000
	s_addc_u32 s4, s11, s5
	s_and_b32 s9, s4, 0xffff
	s_mov_b32 s10, s22
	s_mov_b32 s11, s23
	buffer_load_dwordx4 v[6:9], v1, s[8:11], 0 offen glc slc
	buffer_load_dwordx4 v[2:5], v1, s[20:23], 0 offen
.LBB316_28:
	s_or_b64 exec, exec, s[0:1]
	s_waitcnt vmcnt(0)
	v_cvt_f32_u32_sdwa v13, v6 dst_sel:DWORD dst_unused:UNUSED_PAD src0_sel:WORD_1
	v_cvt_f32_u32_sdwa v12, v6 dst_sel:DWORD dst_unused:UNUSED_PAD src0_sel:WORD_0
	v_cvt_f32_u32_sdwa v6, v9 dst_sel:DWORD dst_unused:UNUSED_PAD src0_sel:WORD_1
	v_cvt_f32_u32_sdwa v9, v9 dst_sel:DWORD dst_unused:UNUSED_PAD src0_sel:WORD_0
	;; [unrolled: 2-line block ×4, first 2 shown]
	v_cndmask_b32_e32 v13, 0, v13, vcc
	v_cndmask_b32_e32 v7, 0, v6, vcc
	;; [unrolled: 1-line block ×5, first 2 shown]
	v_mul_f32_e32 v15, v13, v13
	v_cndmask_b32_e32 v10, 0, v10, vcc
	v_fmac_f32_e32 v15, v12, v12
	v_cndmask_b32_e32 v11, 0, v11, vcc
	v_fmac_f32_e32 v15, v10, v10
	;; [unrolled: 2-line block ×3, first 2 shown]
	v_fmac_f32_e32 v15, v8, v8
	v_fmac_f32_e32 v15, v9, v9
	;; [unrolled: 1-line block ×4, first 2 shown]
	s_nop 1
	v_mov_b32_dpp v16, v15 quad_perm:[1,0,3,2] row_mask:0xf bank_mask:0xf
	v_add_f32_e32 v15, v15, v16
	s_nop 1
	v_mov_b32_dpp v16, v15 quad_perm:[2,3,0,1] row_mask:0xf bank_mask:0xf
	v_add_f32_e32 v15, v15, v16
	s_nop 1
	v_mov_b32_dpp v16, v15 row_half_mirror row_mask:0xf bank_mask:0xf
	v_add_f32_e32 v15, v15, v16
	s_nop 1
	v_mov_b32_dpp v16, v15 row_mirror row_mask:0xf bank_mask:0xf
	v_add_f32_e32 v15, v15, v16
	s_nop 1
	v_mov_b32_dpp v16, v15 row_bcast:15 row_mask:0xf bank_mask:0xf
	v_add_f32_e32 v15, v15, v16
	s_nop 1
	v_mov_b32_dpp v16, v15 row_bcast:31 row_mask:0xf bank_mask:0xf
	s_and_saveexec_b64 s[0:1], s[2:3]
	s_cbranch_execz .LBB316_30
; %bb.29:
	v_lshrrev_b32_e32 v0, 4, v0
	v_add_f32_e32 v15, v15, v16
	v_and_b32_e32 v0, 60, v0
	ds_write_b32 v0, v15
.LBB316_30:
	s_or_b64 exec, exec, s[0:1]
	s_waitcnt lgkmcnt(0)
	s_barrier
	ds_read_b32 v0, v14
	s_waitcnt lgkmcnt(0)
	s_nop 0
	v_mov_b32_dpp v14, v0 quad_perm:[1,0,3,2] row_mask:0xf bank_mask:0xf
	s_and_saveexec_b64 s[0:1], vcc
	s_cbranch_execz .LBB316_17
; %bb.31:
	v_cvt_f32_u32_e32 v15, s16
	v_add_f32_e32 v0, v0, v14
	s_mov_b32 s23, 0x20000
	v_div_scale_f32 v14, s[0:1], v15, v15, v0
	v_rcp_f32_e32 v16, v14
	v_div_scale_f32 v17, vcc, v0, v15, v0
	s_mov_b32 s0, 0x800000
	v_fma_f32 v18, -v14, v16, 1.0
	v_fmac_f32_e32 v16, v18, v16
	v_mul_f32_e32 v18, v17, v16
	v_fma_f32 v19, -v14, v18, v17
	v_fmac_f32_e32 v18, v19, v16
	v_fma_f32 v14, -v14, v18, v17
	v_div_fmas_f32 v14, v14, v16, v18
	v_div_fixup_f32 v0, v14, v15, v0
	v_add_f32_e32 v0, s13, v0
	v_mul_f32_e32 v14, 0x4b800000, v0
	v_cmp_gt_f32_e32 vcc, s0, v0
	v_cndmask_b32_e32 v0, v0, v14, vcc
	v_rsq_f32_e32 v0, v0
	v_cvt_f32_u32_sdwa v17, v2 dst_sel:DWORD dst_unused:UNUSED_PAD src0_sel:WORD_1
	v_cvt_f32_u32_sdwa v16, v2 dst_sel:DWORD dst_unused:UNUSED_PAD src0_sel:WORD_0
	v_cvt_f32_u32_sdwa v19, v3 dst_sel:DWORD dst_unused:UNUSED_PAD src0_sel:WORD_1
	v_mul_f32_e32 v14, 0x45800000, v0
	v_cndmask_b32_e32 v14, v0, v14, vcc
	v_mov_b32_e32 v15, v14
	;;#ASMSTART
	v_pk_mul_f32 v[12:13], v[12:13], v[14:15]
	;;#ASMEND
	;;#ASMSTART
	v_pk_mul_f32 v[10:11], v[10:11], v[14:15]
	;;#ASMEND
	;; [unrolled: 3-line block ×3, first 2 shown]
	v_cvt_f32_u32_sdwa v18, v3 dst_sel:DWORD dst_unused:UNUSED_PAD src0_sel:WORD_0
	;;#ASMSTART
	v_pk_mul_f32 v[2:3], v[6:7], v[14:15]
	;;#ASMEND
	v_cvt_f32_u32_sdwa v15, v4 dst_sel:DWORD dst_unused:UNUSED_PAD src0_sel:WORD_1
	v_cvt_f32_u32_sdwa v14, v4 dst_sel:DWORD dst_unused:UNUSED_PAD src0_sel:WORD_0
	v_pk_add_f32 v[6:7], v[16:17], 1.0 op_sel_hi:[1,0]
	v_cvt_f32_u32_sdwa v17, v5 dst_sel:DWORD dst_unused:UNUSED_PAD src0_sel:WORD_1
	v_cvt_f32_u32_sdwa v16, v5 dst_sel:DWORD dst_unused:UNUSED_PAD src0_sel:WORD_0
	s_mul_hi_i32 s1, s25, s6
	s_mul_i32 s0, s25, s6
	s_lshl_b64 s[0:1], s[0:1], 1
	s_add_u32 s20, s14, s0
	;;#ASMSTART
	v_pk_mul_f32 v[6:7], v[12:13], v[6:7]
	;;#ASMEND
	v_pk_add_f32 v[12:13], v[18:19], 1.0 op_sel_hi:[1,0]
	;;#ASMSTART
	v_pk_mul_f32 v[4:5], v[10:11], v[12:13]
	;;#ASMEND
	v_pk_add_f32 v[10:11], v[14:15], 1.0 op_sel_hi:[1,0]
	s_addc_u32 s0, s15, s1
	;;#ASMSTART
	v_pk_mul_f32 v[8:9], v[8:9], v[10:11]
	;;#ASMEND
	v_pk_add_f32 v[10:11], v[16:17], 1.0 op_sel_hi:[1,0]
	s_and_b32 s21, s0, 0xffff
	s_mov_b32 s0, 0x7060302
	;;#ASMSTART
	v_pk_mul_f32 v[10:11], v[2:3], v[10:11]
	;;#ASMEND
	v_perm_b32 v2, v7, v6, s0
	v_perm_b32 v3, v5, v4, s0
	;; [unrolled: 1-line block ×4, first 2 shown]
	buffer_store_dwordx4 v[2:5], v1, s[20:23], 0 offen
	;;#ASMSTART
	s_nop 0
	;;#ASMEND
	s_endpgm
	.section	.rodata,"a",@progbits
	.p2align	6, 0x0
	.amdhsa_kernel _ZN5aiter35fused_qk_rmsnorm_group_quant_kernelItN4opus5fp4_tELi128ELi8ELi16ELb1ELb1ELb1ELb1ELb0ELb0EEEvPT0_PvPT_S7_S7_PKS6_S9_S9_S9_S9_ffiiiiiiiiiiiii
		.amdhsa_group_segment_fixed_size 16
		.amdhsa_private_segment_fixed_size 0
		.amdhsa_kernarg_size 400
		.amdhsa_user_sgpr_count 6
		.amdhsa_user_sgpr_private_segment_buffer 1
		.amdhsa_user_sgpr_dispatch_ptr 0
		.amdhsa_user_sgpr_queue_ptr 0
		.amdhsa_user_sgpr_kernarg_segment_ptr 1
		.amdhsa_user_sgpr_dispatch_id 0
		.amdhsa_user_sgpr_flat_scratch_init 0
		.amdhsa_user_sgpr_kernarg_preload_length 0
		.amdhsa_user_sgpr_kernarg_preload_offset 0
		.amdhsa_user_sgpr_private_segment_size 0
		.amdhsa_uses_dynamic_stack 0
		.amdhsa_system_sgpr_private_segment_wavefront_offset 0
		.amdhsa_system_sgpr_workgroup_id_x 1
		.amdhsa_system_sgpr_workgroup_id_y 1
		.amdhsa_system_sgpr_workgroup_id_z 0
		.amdhsa_system_sgpr_workgroup_info 0
		.amdhsa_system_vgpr_workitem_id 0
		.amdhsa_next_free_vgpr 27
		.amdhsa_next_free_sgpr 44
		.amdhsa_accum_offset 28
		.amdhsa_reserve_vcc 1
		.amdhsa_reserve_flat_scratch 0
		.amdhsa_float_round_mode_32 0
		.amdhsa_float_round_mode_16_64 0
		.amdhsa_float_denorm_mode_32 3
		.amdhsa_float_denorm_mode_16_64 3
		.amdhsa_dx10_clamp 1
		.amdhsa_ieee_mode 1
		.amdhsa_fp16_overflow 0
		.amdhsa_tg_split 0
		.amdhsa_exception_fp_ieee_invalid_op 0
		.amdhsa_exception_fp_denorm_src 0
		.amdhsa_exception_fp_ieee_div_zero 0
		.amdhsa_exception_fp_ieee_overflow 0
		.amdhsa_exception_fp_ieee_underflow 0
		.amdhsa_exception_fp_ieee_inexact 0
		.amdhsa_exception_int_div_zero 0
	.end_amdhsa_kernel
	.section	.text._ZN5aiter35fused_qk_rmsnorm_group_quant_kernelItN4opus5fp4_tELi128ELi8ELi16ELb1ELb1ELb1ELb1ELb0ELb0EEEvPT0_PvPT_S7_S7_PKS6_S9_S9_S9_S9_ffiiiiiiiiiiiii,"axG",@progbits,_ZN5aiter35fused_qk_rmsnorm_group_quant_kernelItN4opus5fp4_tELi128ELi8ELi16ELb1ELb1ELb1ELb1ELb0ELb0EEEvPT0_PvPT_S7_S7_PKS6_S9_S9_S9_S9_ffiiiiiiiiiiiii,comdat
.Lfunc_end316:
	.size	_ZN5aiter35fused_qk_rmsnorm_group_quant_kernelItN4opus5fp4_tELi128ELi8ELi16ELb1ELb1ELb1ELb1ELb0ELb0EEEvPT0_PvPT_S7_S7_PKS6_S9_S9_S9_S9_ffiiiiiiiiiiiii, .Lfunc_end316-_ZN5aiter35fused_qk_rmsnorm_group_quant_kernelItN4opus5fp4_tELi128ELi8ELi16ELb1ELb1ELb1ELb1ELb0ELb0EEEvPT0_PvPT_S7_S7_PKS6_S9_S9_S9_S9_ffiiiiiiiiiiiii
                                        ; -- End function
	.section	.AMDGPU.csdata,"",@progbits
; Kernel info:
; codeLenInByte = 2484
; NumSgprs: 48
; NumVgprs: 27
; NumAgprs: 0
; TotalNumVgprs: 27
; ScratchSize: 0
; MemoryBound: 0
; FloatMode: 240
; IeeeMode: 1
; LDSByteSize: 16 bytes/workgroup (compile time only)
; SGPRBlocks: 5
; VGPRBlocks: 3
; NumSGPRsForWavesPerEU: 48
; NumVGPRsForWavesPerEU: 27
; AccumOffset: 28
; Occupancy: 8
; WaveLimiterHint : 0
; COMPUTE_PGM_RSRC2:SCRATCH_EN: 0
; COMPUTE_PGM_RSRC2:USER_SGPR: 6
; COMPUTE_PGM_RSRC2:TRAP_HANDLER: 0
; COMPUTE_PGM_RSRC2:TGID_X_EN: 1
; COMPUTE_PGM_RSRC2:TGID_Y_EN: 1
; COMPUTE_PGM_RSRC2:TGID_Z_EN: 0
; COMPUTE_PGM_RSRC2:TIDIG_COMP_CNT: 0
; COMPUTE_PGM_RSRC3_GFX90A:ACCUM_OFFSET: 6
; COMPUTE_PGM_RSRC3_GFX90A:TG_SPLIT: 0
	.section	.text._ZN5aiter35fused_qk_rmsnorm_group_quant_kernelIDF16_DB8_Li128ELi8ELi16ELb1ELb1ELb0ELb1ELb0ELb0EEEvPT0_PvPT_S6_S6_PKS5_S8_S8_S8_S8_ffiiiiiiiiiiiii,"axG",@progbits,_ZN5aiter35fused_qk_rmsnorm_group_quant_kernelIDF16_DB8_Li128ELi8ELi16ELb1ELb1ELb0ELb1ELb0ELb0EEEvPT0_PvPT_S6_S6_PKS5_S8_S8_S8_S8_ffiiiiiiiiiiiii,comdat
	.protected	_ZN5aiter35fused_qk_rmsnorm_group_quant_kernelIDF16_DB8_Li128ELi8ELi16ELb1ELb1ELb0ELb1ELb0ELb0EEEvPT0_PvPT_S6_S6_PKS5_S8_S8_S8_S8_ffiiiiiiiiiiiii ; -- Begin function _ZN5aiter35fused_qk_rmsnorm_group_quant_kernelIDF16_DB8_Li128ELi8ELi16ELb1ELb1ELb0ELb1ELb0ELb0EEEvPT0_PvPT_S6_S6_PKS5_S8_S8_S8_S8_ffiiiiiiiiiiiii
	.globl	_ZN5aiter35fused_qk_rmsnorm_group_quant_kernelIDF16_DB8_Li128ELi8ELi16ELb1ELb1ELb0ELb1ELb0ELb0EEEvPT0_PvPT_S6_S6_PKS5_S8_S8_S8_S8_ffiiiiiiiiiiiii
	.p2align	8
	.type	_ZN5aiter35fused_qk_rmsnorm_group_quant_kernelIDF16_DB8_Li128ELi8ELi16ELb1ELb1ELb0ELb1ELb0ELb0EEEvPT0_PvPT_S6_S6_PKS5_S8_S8_S8_S8_ffiiiiiiiiiiiii,@function
_ZN5aiter35fused_qk_rmsnorm_group_quant_kernelIDF16_DB8_Li128ELi8ELi16ELb1ELb1ELb0ELb1ELb0ELb0EEEvPT0_PvPT_S6_S6_PKS5_S8_S8_S8_S8_ffiiiiiiiiiiiii: ; @_ZN5aiter35fused_qk_rmsnorm_group_quant_kernelIDF16_DB8_Li128ELi8ELi16ELb1ELb1ELb0ELb1ELb0ELb0EEEvPT0_PvPT_S6_S6_PKS5_S8_S8_S8_S8_ffiiiiiiiiiiiii
; %bb.0:
	s_load_dwordx8 s[12:19], s[4:5], 0x50
	s_waitcnt lgkmcnt(0)
	s_cmp_ge_i32 s6, s14
	s_cbranch_scc1 .LBB317_17
; %bb.1:
	s_cmp_lg_u32 s7, 0
	s_cselect_b64 s[22:23], -1, 0
	s_cmp_eq_u32 s7, 0
	s_cselect_b64 s[2:3], -1, 0
	s_and_b64 s[0:1], s[2:3], exec
	s_cselect_b32 s7, s15, s16
	s_load_dwordx2 s[10:11], s[4:5], 0x30
	s_load_dwordx2 s[20:21], s[4:5], 0x48
	s_add_i32 s0, s7, 1
	s_lshr_b32 s1, s0, 31
	s_add_i32 s0, s0, s1
	s_lshl_b32 s0, s0, 1
	v_lshlrev_b32_e32 v1, 3, v0
	s_and_b32 s30, s0, -4
	v_cmp_gt_i32_e64 s[0:1], s7, v1
	v_mov_b32_e32 v2, 0
	v_mov_b32_e32 v3, 0
	;; [unrolled: 1-line block ×8, first 2 shown]
	s_and_saveexec_b64 s[8:9], s[0:1]
	s_cbranch_execz .LBB317_3
; %bb.2:
	s_load_dwordx2 s[14:15], s[4:5], 0x28
	s_load_dwordx2 s[26:27], s[4:5], 0x40
	s_and_b64 s[24:25], s[2:3], exec
	s_cselect_b32 s17, s17, s18
	s_mov_b32 s31, 0x20000
	s_waitcnt lgkmcnt(0)
	s_cselect_b32 s25, s15, s11
	s_cselect_b32 s24, s14, s10
	s_mul_hi_i32 s15, s17, s6
	s_mul_i32 s14, s17, s6
	s_lshl_b64 s[14:15], s[14:15], 1
	s_add_u32 s24, s24, s14
	s_addc_u32 s17, s25, s15
	s_and_b64 s[14:15], s[2:3], exec
	s_cselect_b32 s28, s26, s20
	s_cselect_b32 s14, s27, s21
	v_lshlrev_b32_e32 v10, 4, v0
	s_and_b32 s25, s17, 0xffff
	s_mov_b32 s26, s30
	s_mov_b32 s27, s31
	s_and_b32 s29, s14, 0xffff
	buffer_load_dwordx4 v[6:9], v10, s[24:27], 0 offen glc slc
	buffer_load_dwordx4 v[2:5], v10, s[28:31], 0 offen
.LBB317_3:
	s_or_b64 exec, exec, s[8:9]
	s_load_dwordx4 s[24:27], s[4:5], 0x7c
	s_and_b64 vcc, exec, s[22:23]
	s_cbranch_vccz .LBB317_7
; %bb.4:
	v_mov_b32_e32 v11, 0
	v_mov_b32_e32 v10, 0
	v_mov_b32_e32 v13, 0
	v_mov_b32_e32 v12, 0
	v_mov_b32_e32 v15, 0
	v_mov_b32_e32 v14, 0
	v_mov_b32_e32 v17, 0
	v_mov_b32_e32 v16, 0
	s_and_saveexec_b64 s[8:9], s[0:1]
	s_cbranch_execz .LBB317_6
; %bb.5:
	s_waitcnt vmcnt(1)
	v_cvt_f32_f16_sdwa v17, v6 dst_sel:DWORD dst_unused:UNUSED_PAD src0_sel:WORD_1
	v_cvt_f32_f16_e32 v16, v6
	v_cvt_f32_f16_sdwa v15, v7 dst_sel:DWORD dst_unused:UNUSED_PAD src0_sel:WORD_1
	v_cvt_f32_f16_e32 v14, v7
	;; [unrolled: 2-line block ×4, first 2 shown]
.LBB317_6:
	s_or_b64 exec, exec, s[8:9]
	s_cbranch_execz .LBB317_8
	s_branch .LBB317_11
.LBB317_7:
                                        ; implicit-def: $vgpr11
                                        ; implicit-def: $vgpr13
                                        ; implicit-def: $vgpr15
                                        ; implicit-def: $vgpr17
.LBB317_8:
	v_mov_b32_e32 v11, 0
	v_mov_b32_e32 v10, 0
	;; [unrolled: 1-line block ×8, first 2 shown]
	s_and_saveexec_b64 s[8:9], s[0:1]
	s_cbranch_execz .LBB317_10
; %bb.9:
	s_load_dwordx2 s[14:15], s[4:5], 0x38
	s_mul_hi_i32 s29, s19, s6
	s_mul_i32 s28, s19, s6
	s_lshl_b64 s[28:29], s[28:29], 1
	s_mov_b32 s31, 0x20000
	s_waitcnt lgkmcnt(0)
	s_add_u32 s28, s14, s28
	s_addc_u32 s14, s15, s29
	s_and_b32 s29, s14, 0xffff
	v_lshlrev_b32_e32 v26, 4, v0
	buffer_load_dwordx4 v[10:13], v26, s[28:31], 0 offen glc slc
	s_waitcnt vmcnt(2)
	v_cvt_f32_f16_sdwa v15, v6 dst_sel:DWORD dst_unused:UNUSED_PAD src0_sel:WORD_1
	v_cvt_f32_f16_e32 v14, v6
	v_cvt_f32_f16_sdwa v19, v7 dst_sel:DWORD dst_unused:UNUSED_PAD src0_sel:WORD_1
	v_cvt_f32_f16_e32 v18, v7
	;; [unrolled: 2-line block ×4, first 2 shown]
	s_load_dwordx2 s[14:15], s[4:5], 0x20
	s_mul_hi_i32 s27, s26, s6
	s_mul_i32 s26, s26, s6
	s_lshl_b64 s[26:27], s[26:27], 1
	s_waitcnt lgkmcnt(0)
	s_add_u32 s28, s14, s26
	s_addc_u32 s14, s15, s27
	s_and_b32 s29, s14, 0xffff
	s_waitcnt vmcnt(0)
	v_cvt_f32_f16_e32 v8, v10
	v_cvt_f32_f16_sdwa v9, v10 dst_sel:DWORD dst_unused:UNUSED_PAD src0_sel:WORD_1
	v_cvt_f32_f16_e32 v10, v11
	v_cvt_f32_f16_sdwa v11, v11 dst_sel:DWORD dst_unused:UNUSED_PAD src0_sel:WORD_1
	v_cvt_f32_f16_e32 v22, v12
	v_cvt_f32_f16_sdwa v23, v12 dst_sel:DWORD dst_unused:UNUSED_PAD src0_sel:WORD_1
	v_cvt_f32_f16_e32 v24, v13
	v_cvt_f32_f16_sdwa v25, v13 dst_sel:DWORD dst_unused:UNUSED_PAD src0_sel:WORD_1
	v_pk_add_f32 v[16:17], v[14:15], v[8:9]
	v_pk_add_f32 v[14:15], v[18:19], v[10:11]
	;; [unrolled: 1-line block ×4, first 2 shown]
	v_cvt_f16_f32_e32 v6, v17
	v_cvt_f16_f32_e32 v7, v15
	v_cvt_f16_f32_e32 v8, v13
	v_cvt_f16_f32_e32 v9, v11
	v_cvt_f16_f32_e32 v18, v10
	v_cvt_f16_f32_e32 v19, v12
	v_cvt_f16_f32_e32 v20, v14
	v_cvt_f16_f32_e32 v21, v16
	v_pack_b32_f16 v9, v18, v9
	v_pack_b32_f16 v8, v19, v8
	;; [unrolled: 1-line block ×4, first 2 shown]
	buffer_store_dwordx4 v[6:9], v26, s[28:31], 0 offen glc slc
	;;#ASMSTART
	s_nop 0
	;;#ASMEND
.LBB317_10:
	s_or_b64 exec, exec, s[8:9]
.LBB317_11:
	s_waitcnt vmcnt(1)
	v_mul_f32_e32 v6, v17, v17
	v_fmac_f32_e32 v6, v16, v16
	v_fmac_f32_e32 v6, v14, v14
	;; [unrolled: 1-line block ×7, first 2 shown]
	v_and_b32_e32 v8, 63, v0
	v_cmp_eq_u32_e64 s[8:9], 63, v8
	v_mov_b32_dpp v7, v6 quad_perm:[1,0,3,2] row_mask:0xf bank_mask:0xf
	v_add_f32_e32 v6, v6, v7
	s_nop 1
	v_mov_b32_dpp v7, v6 quad_perm:[2,3,0,1] row_mask:0xf bank_mask:0xf
	v_add_f32_e32 v6, v6, v7
	s_nop 1
	v_mov_b32_dpp v7, v6 row_half_mirror row_mask:0xf bank_mask:0xf
	v_add_f32_e32 v6, v6, v7
	s_nop 1
	v_mov_b32_dpp v7, v6 row_mirror row_mask:0xf bank_mask:0xf
	v_add_f32_e32 v6, v6, v7
	s_nop 1
	v_mov_b32_dpp v7, v6 row_bcast:15 row_mask:0xf bank_mask:0xf
	v_add_f32_e32 v6, v6, v7
	s_nop 1
	v_mov_b32_dpp v7, v6 row_bcast:31 row_mask:0xf bank_mask:0xf
	s_and_saveexec_b64 s[14:15], s[8:9]
	s_cbranch_execz .LBB317_13
; %bb.12:
	v_add_f32_e32 v6, v6, v7
	v_lshrrev_b32_e32 v7, 4, v0
	v_and_b32_e32 v7, 60, v7
	ds_write_b32 v7, v6 offset:8
.LBB317_13:
	s_or_b64 exec, exec, s[14:15]
	v_and_b32_e32 v6, 1, v0
	v_lshlrev_b32_e32 v18, 2, v6
	s_waitcnt lgkmcnt(0)
	s_barrier
	ds_read_b32 v6, v18 offset:8
	s_load_dwordx2 s[14:15], s[4:5], 0x18
	s_waitcnt lgkmcnt(0)
	v_mov_b32_dpp v7, v6 quad_perm:[1,0,3,2] row_mask:0xf bank_mask:0xf
	s_and_saveexec_b64 s[26:27], s[0:1]
	s_cbranch_execnz .LBB317_18
; %bb.14:
	s_or_b64 exec, exec, s[26:27]
	s_mov_b64 s[2:3], -1
	s_and_b64 vcc, exec, s[22:23]
	s_cbranch_vccnz .LBB317_19
.LBB317_15:
	s_andn2_b64 vcc, exec, s[2:3]
	s_cbranch_vccz .LBB317_22
.LBB317_16:
	s_cmp_lt_i32 s16, 1
	s_cbranch_scc0 .LBB317_25
.LBB317_17:
	s_endpgm
.LBB317_18:
	v_cvt_f32_u32_e32 v8, s7
	v_add_f32_e32 v6, v6, v7
	v_mov_b32_e32 v19, s13
	v_mov_b32_e32 v20, s12
	v_div_scale_f32 v7, s[28:29], v8, v8, v6
	v_rcp_f32_e32 v9, v7
	v_cndmask_b32_e64 v19, v19, v20, s[2:3]
	s_mov_b32 s2, 0x800000
	s_waitcnt vmcnt(0)
	v_cvt_f32_f16_sdwa v23, v5 dst_sel:DWORD dst_unused:UNUSED_PAD src0_sel:WORD_1
	v_fma_f32 v20, -v7, v9, 1.0
	v_fmac_f32_e32 v9, v20, v9
	v_div_scale_f32 v20, vcc, v6, v8, v6
	v_mul_f32_e32 v21, v20, v9
	v_fma_f32 v22, -v7, v21, v20
	v_fmac_f32_e32 v21, v22, v9
	v_fma_f32 v7, -v7, v21, v20
	v_div_fmas_f32 v7, v7, v9, v21
	v_div_fixup_f32 v6, v7, v8, v6
	v_add_f32_e32 v6, v19, v6
	v_mul_f32_e32 v7, 0x4b800000, v6
	v_cmp_gt_f32_e32 vcc, s2, v6
	v_cndmask_b32_e32 v6, v6, v7, vcc
	v_rsq_f32_e32 v6, v6
	v_cvt_f32_f16_sdwa v21, v3 dst_sel:DWORD dst_unused:UNUSED_PAD src0_sel:WORD_1
	v_cvt_f32_f16_e32 v20, v3
	v_cvt_f32_f16_sdwa v3, v4 dst_sel:DWORD dst_unused:UNUSED_PAD src0_sel:WORD_1
	v_mul_f32_e32 v7, 0x45800000, v6
	v_cndmask_b32_e32 v6, v6, v7, vcc
	v_mov_b32_e32 v7, v6
	;;#ASMSTART
	v_pk_mul_f32 v[8:9], v[16:17], v[6:7]
	;;#ASMEND
	;;#ASMSTART
	v_pk_mul_f32 v[14:15], v[14:15], v[6:7]
	;;#ASMEND
	;; [unrolled: 3-line block ×4, first 2 shown]
	v_cvt_f32_f16_sdwa v11, v2 dst_sel:DWORD dst_unused:UNUSED_PAD src0_sel:WORD_1
	v_cvt_f32_f16_e32 v10, v2
	v_cvt_f32_f16_e32 v2, v4
	;; [unrolled: 1-line block ×3, first 2 shown]
	;;#ASMSTART
	v_pk_mul_f32 v[16:17], v[8:9], v[10:11]
	;;#ASMEND
	;;#ASMSTART
	v_pk_mul_f32 v[14:15], v[14:15], v[20:21]
	;;#ASMEND
	;; [unrolled: 3-line block ×4, first 2 shown]
	s_or_b64 exec, exec, s[26:27]
	s_mov_b64 s[2:3], -1
	s_and_b64 vcc, exec, s[22:23]
	s_cbranch_vccz .LBB317_15
.LBB317_19:
	s_and_saveexec_b64 s[2:3], s[0:1]
	s_cbranch_execz .LBB317_21
; %bb.20:
	s_mul_hi_i32 s23, s25, s6
	s_mul_i32 s22, s25, s6
	s_waitcnt vmcnt(0)
	v_cvt_f16_f32_e32 v2, v16
	v_cvt_f16_f32_e32 v3, v14
	;; [unrolled: 1-line block ×8, first 2 shown]
	s_lshl_b64 s[22:23], s[22:23], 1
	s_add_u32 s28, s14, s22
	s_addc_u32 s7, s15, s23
	s_and_b32 s29, s7, 0xffff
	s_mov_b32 s31, 0x20000
	v_pack_b32_f16 v5, v5, v6
	v_pack_b32_f16 v4, v4, v7
	;; [unrolled: 1-line block ×4, first 2 shown]
	v_lshlrev_b32_e32 v6, 4, v0
	buffer_store_dwordx4 v[2:5], v6, s[28:31], 0 offen
	;;#ASMSTART
	s_nop 0
	;;#ASMEND
.LBB317_21:
	s_or_b64 exec, exec, s[2:3]
	s_cbranch_execnz .LBB317_16
.LBB317_22:
	s_and_saveexec_b64 s[2:3], s[0:1]
	s_cbranch_execz .LBB317_24
; %bb.23:
	s_load_dwordx2 s[0:1], s[4:5], 0x10
	s_mul_hi_i32 s23, s24, s6
	s_mul_i32 s22, s24, s6
	s_waitcnt vmcnt(0)
	v_cvt_f16_f32_e32 v2, v16
	v_cvt_f16_f32_e32 v3, v14
	;; [unrolled: 1-line block ×8, first 2 shown]
	s_lshl_b64 s[22:23], s[22:23], 1
	s_waitcnt lgkmcnt(0)
	s_add_u32 s28, s0, s22
	s_addc_u32 s0, s1, s23
	s_mov_b32 s31, 0x20000
	s_and_b32 s29, s0, 0xffff
	v_pack_b32_f16 v5, v5, v6
	v_pack_b32_f16 v4, v4, v7
	;; [unrolled: 1-line block ×4, first 2 shown]
	v_lshlrev_b32_e32 v6, 4, v0
	buffer_store_dwordx4 v[2:5], v6, s[28:31], 0 offen
	;;#ASMSTART
	s_nop 0
	;;#ASMEND
.LBB317_24:
	s_or_b64 exec, exec, s[2:3]
	s_cmp_lt_i32 s16, 1
	s_cbranch_scc1 .LBB317_17
.LBB317_25:
	s_load_dword s0, s[4:5], 0x94
	s_waitcnt lgkmcnt(0)
	s_cmp_lg_u32 s0, 1
	s_cbranch_scc1 .LBB317_17
; %bb.26:
	s_lshl_b32 s0, s16, 1
	s_add_i32 s0, s0, 2
	v_cmp_gt_u32_e32 vcc, s16, v1
	s_and_b32 s22, s0, -4
	v_mov_b32_e32 v10, 0
	v_lshlrev_b32_e32 v1, 4, v0
	v_mov_b32_e32 v6, 0
	v_mov_b32_e32 v7, 0
	;; [unrolled: 1-line block ×4, first 2 shown]
	s_waitcnt vmcnt(0)
	v_mov_b32_e32 v2, 0
	v_mov_b32_e32 v3, 0
	;; [unrolled: 1-line block ×4, first 2 shown]
	s_barrier
	s_and_saveexec_b64 s[0:1], vcc
	s_cbranch_execz .LBB317_28
; %bb.27:
	s_mul_hi_i32 s3, s18, s6
	s_mul_i32 s2, s18, s6
	s_and_b32 s21, s21, 0xffff
	s_lshl_b64 s[2:3], s[2:3], 1
	s_add_u32 s28, s10, s2
	s_mov_b32 s23, 0x20000
	s_addc_u32 s2, s11, s3
	s_and_b32 s29, s2, 0xffff
	s_mov_b32 s30, s22
	s_mov_b32 s31, s23
	buffer_load_dwordx4 v[6:9], v1, s[28:31], 0 offen glc slc
	buffer_load_dwordx4 v[2:5], v1, s[20:23], 0 offen
.LBB317_28:
	s_or_b64 exec, exec, s[0:1]
	v_mov_b32_e32 v11, 0
	v_mov_b32_e32 v16, 0
	;; [unrolled: 1-line block ×7, first 2 shown]
	s_and_saveexec_b64 s[0:1], vcc
	s_cbranch_execz .LBB317_30
; %bb.29:
	s_waitcnt vmcnt(1)
	v_cvt_f32_f16_sdwa v11, v6 dst_sel:DWORD dst_unused:UNUSED_PAD src0_sel:WORD_1
	v_cvt_f32_f16_e32 v10, v6
	v_cvt_f32_f16_sdwa v17, v7 dst_sel:DWORD dst_unused:UNUSED_PAD src0_sel:WORD_1
	v_cvt_f32_f16_e32 v16, v7
	;; [unrolled: 2-line block ×4, first 2 shown]
.LBB317_30:
	s_or_b64 exec, exec, s[0:1]
	s_waitcnt vmcnt(1)
	v_mul_f32_e32 v6, v11, v11
	v_fmac_f32_e32 v6, v10, v10
	v_fmac_f32_e32 v6, v16, v16
	;; [unrolled: 1-line block ×7, first 2 shown]
	s_nop 1
	v_mov_b32_dpp v7, v6 quad_perm:[1,0,3,2] row_mask:0xf bank_mask:0xf
	v_add_f32_e32 v6, v6, v7
	s_nop 1
	v_mov_b32_dpp v7, v6 quad_perm:[2,3,0,1] row_mask:0xf bank_mask:0xf
	v_add_f32_e32 v6, v6, v7
	s_nop 1
	v_mov_b32_dpp v7, v6 row_half_mirror row_mask:0xf bank_mask:0xf
	v_add_f32_e32 v6, v6, v7
	s_nop 1
	v_mov_b32_dpp v7, v6 row_mirror row_mask:0xf bank_mask:0xf
	v_add_f32_e32 v6, v6, v7
	s_nop 1
	v_mov_b32_dpp v7, v6 row_bcast:15 row_mask:0xf bank_mask:0xf
	v_add_f32_e32 v6, v6, v7
	s_nop 1
	v_mov_b32_dpp v7, v6 row_bcast:31 row_mask:0xf bank_mask:0xf
	s_and_saveexec_b64 s[0:1], s[8:9]
	s_cbranch_execz .LBB317_32
; %bb.31:
	v_lshrrev_b32_e32 v0, 4, v0
	v_add_f32_e32 v6, v6, v7
	v_and_b32_e32 v0, 60, v0
	ds_write_b32 v0, v6
.LBB317_32:
	s_or_b64 exec, exec, s[0:1]
	s_waitcnt lgkmcnt(0)
	s_barrier
	ds_read_b32 v0, v18
	s_waitcnt lgkmcnt(0)
	s_nop 0
	v_mov_b32_dpp v6, v0 quad_perm:[1,0,3,2] row_mask:0xf bank_mask:0xf
	s_and_saveexec_b64 s[0:1], vcc
	s_cbranch_execz .LBB317_17
; %bb.33:
	v_cvt_f32_u32_e32 v7, s16
	v_add_f32_e32 v0, v0, v6
	s_mov_b32 s23, 0x20000
	v_div_scale_f32 v6, s[0:1], v7, v7, v0
	v_rcp_f32_e32 v8, v6
	v_div_scale_f32 v9, vcc, v0, v7, v0
	s_mov_b32 s0, 0x800000
	v_fma_f32 v18, -v6, v8, 1.0
	v_fmac_f32_e32 v8, v18, v8
	v_mul_f32_e32 v18, v9, v8
	v_fma_f32 v19, -v6, v18, v9
	v_fmac_f32_e32 v18, v19, v8
	v_fma_f32 v6, -v6, v18, v9
	v_div_fmas_f32 v6, v6, v8, v18
	v_div_fixup_f32 v0, v6, v7, v0
	v_add_f32_e32 v0, s13, v0
	v_mul_f32_e32 v6, 0x4b800000, v0
	v_cmp_gt_f32_e32 vcc, s0, v0
	v_cndmask_b32_e32 v0, v0, v6, vcc
	v_rsq_f32_e32 v0, v0
	s_waitcnt vmcnt(0)
	v_cvt_f32_f16_sdwa v19, v5 dst_sel:DWORD dst_unused:UNUSED_PAD src0_sel:WORD_1
	v_cvt_f32_f16_e32 v18, v5
	s_mul_hi_i32 s1, s25, s6
	v_mul_f32_e32 v6, 0x45800000, v0
	v_cndmask_b32_e32 v6, v0, v6, vcc
	v_mov_b32_e32 v7, v6
	;;#ASMSTART
	v_pk_mul_f32 v[8:9], v[10:11], v[6:7]
	;;#ASMEND
	;;#ASMSTART
	v_pk_mul_f32 v[10:11], v[16:17], v[6:7]
	;;#ASMEND
	;; [unrolled: 3-line block ×4, first 2 shown]
	v_cvt_f32_f16_sdwa v13, v2 dst_sel:DWORD dst_unused:UNUSED_PAD src0_sel:WORD_1
	v_cvt_f32_f16_e32 v12, v2
	v_cvt_f32_f16_sdwa v17, v3 dst_sel:DWORD dst_unused:UNUSED_PAD src0_sel:WORD_1
	v_cvt_f32_f16_e32 v16, v3
	;; [unrolled: 2-line block ×3, first 2 shown]
	;;#ASMSTART
	v_pk_mul_f32 v[4:5], v[8:9], v[12:13]
	;;#ASMEND
	;;#ASMSTART
	v_pk_mul_f32 v[8:9], v[10:11], v[16:17]
	;;#ASMEND
	;; [unrolled: 3-line block ×4, first 2 shown]
	s_mul_i32 s0, s25, s6
	v_cvt_f16_f32_e32 v0, v4
	v_cvt_f16_f32_e32 v4, v5
	;; [unrolled: 1-line block ×8, first 2 shown]
	s_lshl_b64 s[0:1], s[0:1], 1
	s_add_u32 s20, s14, s0
	s_addc_u32 s0, s15, s1
	s_and_b32 s21, s0, 0xffff
	v_pack_b32_f16 v2, v0, v4
	v_pack_b32_f16 v3, v5, v8
	v_pack_b32_f16 v4, v9, v10
	v_pack_b32_f16 v5, v6, v7
	buffer_store_dwordx4 v[2:5], v1, s[20:23], 0 offen
	;;#ASMSTART
	s_nop 0
	;;#ASMEND
	s_endpgm
	.section	.rodata,"a",@progbits
	.p2align	6, 0x0
	.amdhsa_kernel _ZN5aiter35fused_qk_rmsnorm_group_quant_kernelIDF16_DB8_Li128ELi8ELi16ELb1ELb1ELb0ELb1ELb0ELb0EEEvPT0_PvPT_S6_S6_PKS5_S8_S8_S8_S8_ffiiiiiiiiiiiii
		.amdhsa_group_segment_fixed_size 16
		.amdhsa_private_segment_fixed_size 0
		.amdhsa_kernarg_size 400
		.amdhsa_user_sgpr_count 6
		.amdhsa_user_sgpr_private_segment_buffer 1
		.amdhsa_user_sgpr_dispatch_ptr 0
		.amdhsa_user_sgpr_queue_ptr 0
		.amdhsa_user_sgpr_kernarg_segment_ptr 1
		.amdhsa_user_sgpr_dispatch_id 0
		.amdhsa_user_sgpr_flat_scratch_init 0
		.amdhsa_user_sgpr_kernarg_preload_length 0
		.amdhsa_user_sgpr_kernarg_preload_offset 0
		.amdhsa_user_sgpr_private_segment_size 0
		.amdhsa_uses_dynamic_stack 0
		.amdhsa_system_sgpr_private_segment_wavefront_offset 0
		.amdhsa_system_sgpr_workgroup_id_x 1
		.amdhsa_system_sgpr_workgroup_id_y 1
		.amdhsa_system_sgpr_workgroup_id_z 0
		.amdhsa_system_sgpr_workgroup_info 0
		.amdhsa_system_vgpr_workitem_id 0
		.amdhsa_next_free_vgpr 27
		.amdhsa_next_free_sgpr 32
		.amdhsa_accum_offset 28
		.amdhsa_reserve_vcc 1
		.amdhsa_reserve_flat_scratch 0
		.amdhsa_float_round_mode_32 0
		.amdhsa_float_round_mode_16_64 0
		.amdhsa_float_denorm_mode_32 3
		.amdhsa_float_denorm_mode_16_64 3
		.amdhsa_dx10_clamp 1
		.amdhsa_ieee_mode 1
		.amdhsa_fp16_overflow 0
		.amdhsa_tg_split 0
		.amdhsa_exception_fp_ieee_invalid_op 0
		.amdhsa_exception_fp_denorm_src 0
		.amdhsa_exception_fp_ieee_div_zero 0
		.amdhsa_exception_fp_ieee_overflow 0
		.amdhsa_exception_fp_ieee_underflow 0
		.amdhsa_exception_fp_ieee_inexact 0
		.amdhsa_exception_int_div_zero 0
	.end_amdhsa_kernel
	.section	.text._ZN5aiter35fused_qk_rmsnorm_group_quant_kernelIDF16_DB8_Li128ELi8ELi16ELb1ELb1ELb0ELb1ELb0ELb0EEEvPT0_PvPT_S6_S6_PKS5_S8_S8_S8_S8_ffiiiiiiiiiiiii,"axG",@progbits,_ZN5aiter35fused_qk_rmsnorm_group_quant_kernelIDF16_DB8_Li128ELi8ELi16ELb1ELb1ELb0ELb1ELb0ELb0EEEvPT0_PvPT_S6_S6_PKS5_S8_S8_S8_S8_ffiiiiiiiiiiiii,comdat
.Lfunc_end317:
	.size	_ZN5aiter35fused_qk_rmsnorm_group_quant_kernelIDF16_DB8_Li128ELi8ELi16ELb1ELb1ELb0ELb1ELb0ELb0EEEvPT0_PvPT_S6_S6_PKS5_S8_S8_S8_S8_ffiiiiiiiiiiiii, .Lfunc_end317-_ZN5aiter35fused_qk_rmsnorm_group_quant_kernelIDF16_DB8_Li128ELi8ELi16ELb1ELb1ELb0ELb1ELb0ELb0EEEvPT0_PvPT_S6_S6_PKS5_S8_S8_S8_S8_ffiiiiiiiiiiiii
                                        ; -- End function
	.section	.AMDGPU.csdata,"",@progbits
; Kernel info:
; codeLenInByte = 2384
; NumSgprs: 36
; NumVgprs: 27
; NumAgprs: 0
; TotalNumVgprs: 27
; ScratchSize: 0
; MemoryBound: 0
; FloatMode: 240
; IeeeMode: 1
; LDSByteSize: 16 bytes/workgroup (compile time only)
; SGPRBlocks: 4
; VGPRBlocks: 3
; NumSGPRsForWavesPerEU: 36
; NumVGPRsForWavesPerEU: 27
; AccumOffset: 28
; Occupancy: 8
; WaveLimiterHint : 0
; COMPUTE_PGM_RSRC2:SCRATCH_EN: 0
; COMPUTE_PGM_RSRC2:USER_SGPR: 6
; COMPUTE_PGM_RSRC2:TRAP_HANDLER: 0
; COMPUTE_PGM_RSRC2:TGID_X_EN: 1
; COMPUTE_PGM_RSRC2:TGID_Y_EN: 1
; COMPUTE_PGM_RSRC2:TGID_Z_EN: 0
; COMPUTE_PGM_RSRC2:TIDIG_COMP_CNT: 0
; COMPUTE_PGM_RSRC3_GFX90A:ACCUM_OFFSET: 6
; COMPUTE_PGM_RSRC3_GFX90A:TG_SPLIT: 0
	.section	.text._ZN5aiter35fused_qk_rmsnorm_group_quant_kernelItDB8_Li128ELi8ELi16ELb1ELb1ELb0ELb1ELb0ELb0EEEvPT0_PvPT_S6_S6_PKS5_S8_S8_S8_S8_ffiiiiiiiiiiiii,"axG",@progbits,_ZN5aiter35fused_qk_rmsnorm_group_quant_kernelItDB8_Li128ELi8ELi16ELb1ELb1ELb0ELb1ELb0ELb0EEEvPT0_PvPT_S6_S6_PKS5_S8_S8_S8_S8_ffiiiiiiiiiiiii,comdat
	.protected	_ZN5aiter35fused_qk_rmsnorm_group_quant_kernelItDB8_Li128ELi8ELi16ELb1ELb1ELb0ELb1ELb0ELb0EEEvPT0_PvPT_S6_S6_PKS5_S8_S8_S8_S8_ffiiiiiiiiiiiii ; -- Begin function _ZN5aiter35fused_qk_rmsnorm_group_quant_kernelItDB8_Li128ELi8ELi16ELb1ELb1ELb0ELb1ELb0ELb0EEEvPT0_PvPT_S6_S6_PKS5_S8_S8_S8_S8_ffiiiiiiiiiiiii
	.globl	_ZN5aiter35fused_qk_rmsnorm_group_quant_kernelItDB8_Li128ELi8ELi16ELb1ELb1ELb0ELb1ELb0ELb0EEEvPT0_PvPT_S6_S6_PKS5_S8_S8_S8_S8_ffiiiiiiiiiiiii
	.p2align	8
	.type	_ZN5aiter35fused_qk_rmsnorm_group_quant_kernelItDB8_Li128ELi8ELi16ELb1ELb1ELb0ELb1ELb0ELb0EEEvPT0_PvPT_S6_S6_PKS5_S8_S8_S8_S8_ffiiiiiiiiiiiii,@function
_ZN5aiter35fused_qk_rmsnorm_group_quant_kernelItDB8_Li128ELi8ELi16ELb1ELb1ELb0ELb1ELb0ELb0EEEvPT0_PvPT_S6_S6_PKS5_S8_S8_S8_S8_ffiiiiiiiiiiiii: ; @_ZN5aiter35fused_qk_rmsnorm_group_quant_kernelItDB8_Li128ELi8ELi16ELb1ELb1ELb0ELb1ELb0ELb0EEEvPT0_PvPT_S6_S6_PKS5_S8_S8_S8_S8_ffiiiiiiiiiiiii
; %bb.0:
	s_load_dwordx8 s[12:19], s[4:5], 0x50
	s_waitcnt lgkmcnt(0)
	s_cmp_ge_i32 s6, s14
	s_cbranch_scc1 .LBB318_17
; %bb.1:
	s_cmp_lg_u32 s7, 0
	s_cselect_b64 s[22:23], -1, 0
	s_cmp_eq_u32 s7, 0
	s_cselect_b64 s[8:9], -1, 0
	s_and_b64 s[0:1], s[8:9], exec
	s_cselect_b32 s7, s15, s16
	s_load_dwordx2 s[10:11], s[4:5], 0x30
	s_load_dwordx2 s[20:21], s[4:5], 0x48
	s_add_i32 s0, s7, 1
	s_lshr_b32 s1, s0, 31
	s_add_i32 s0, s0, s1
	s_lshl_b32 s0, s0, 1
	v_lshlrev_b32_e32 v1, 3, v0
	s_and_b32 s30, s0, -4
	v_cmp_gt_i32_e64 s[0:1], s7, v1
	v_mov_b32_e32 v10, 0
	v_mov_b32_e32 v11, 0
	;; [unrolled: 1-line block ×8, first 2 shown]
	s_and_saveexec_b64 s[2:3], s[0:1]
	s_cbranch_execz .LBB318_3
; %bb.2:
	s_load_dwordx2 s[14:15], s[4:5], 0x28
	s_load_dwordx2 s[26:27], s[4:5], 0x40
	s_and_b64 s[24:25], s[8:9], exec
	s_cselect_b32 s17, s17, s18
	s_mov_b32 s31, 0x20000
	s_waitcnt lgkmcnt(0)
	s_cselect_b32 s25, s15, s11
	s_cselect_b32 s24, s14, s10
	s_mul_hi_i32 s15, s17, s6
	s_mul_i32 s14, s17, s6
	s_lshl_b64 s[14:15], s[14:15], 1
	s_add_u32 s24, s24, s14
	s_addc_u32 s17, s25, s15
	s_and_b64 s[14:15], s[8:9], exec
	s_cselect_b32 s28, s26, s20
	s_cselect_b32 s14, s27, s21
	v_lshlrev_b32_e32 v2, 4, v0
	s_and_b32 s25, s17, 0xffff
	s_mov_b32 s26, s30
	s_mov_b32 s27, s31
	s_and_b32 s29, s14, 0xffff
	buffer_load_dwordx4 v[14:17], v2, s[24:27], 0 offen glc slc
	buffer_load_dwordx4 v[10:13], v2, s[28:31], 0 offen
.LBB318_3:
	s_or_b64 exec, exec, s[2:3]
	s_load_dwordx4 s[24:27], s[4:5], 0x7c
	s_and_b64 vcc, exec, s[22:23]
	s_cbranch_vccz .LBB318_7
; %bb.4:
	s_mov_b32 s36, 0
	s_mov_b32 s37, s36
	;; [unrolled: 1-line block ×8, first 2 shown]
	v_pk_mov_b32 v[2:3], s[36:37], s[36:37] op_sel:[0,1]
	v_pk_mov_b32 v[4:5], s[38:39], s[38:39] op_sel:[0,1]
	;; [unrolled: 1-line block ×4, first 2 shown]
	s_and_saveexec_b64 s[2:3], s[0:1]
	s_cbranch_execz .LBB318_6
; %bb.5:
	s_waitcnt vmcnt(1)
	v_cvt_f32_u32_sdwa v3, v14 dst_sel:DWORD dst_unused:UNUSED_PAD src0_sel:WORD_1
	v_cvt_f32_u32_sdwa v2, v14 dst_sel:DWORD dst_unused:UNUSED_PAD src0_sel:WORD_0
	v_cvt_f32_u32_sdwa v5, v15 dst_sel:DWORD dst_unused:UNUSED_PAD src0_sel:WORD_1
	v_cvt_f32_u32_sdwa v4, v15 dst_sel:DWORD dst_unused:UNUSED_PAD src0_sel:WORD_0
	;; [unrolled: 2-line block ×4, first 2 shown]
.LBB318_6:
	s_or_b64 exec, exec, s[2:3]
	s_cbranch_execz .LBB318_8
	s_branch .LBB318_11
.LBB318_7:
                                        ; implicit-def: $vgpr2_vgpr3_vgpr4_vgpr5_vgpr6_vgpr7_vgpr8_vgpr9
.LBB318_8:
	s_mov_b32 s36, 0
	s_mov_b32 s37, s36
	;; [unrolled: 1-line block ×8, first 2 shown]
	v_pk_mov_b32 v[2:3], s[36:37], s[36:37] op_sel:[0,1]
	v_pk_mov_b32 v[4:5], s[38:39], s[38:39] op_sel:[0,1]
	;; [unrolled: 1-line block ×4, first 2 shown]
	s_and_saveexec_b64 s[2:3], s[0:1]
	s_cbranch_execz .LBB318_10
; %bb.9:
	s_load_dwordx2 s[14:15], s[4:5], 0x38
	s_mul_hi_i32 s29, s19, s6
	s_mul_i32 s28, s19, s6
	s_lshl_b64 s[28:29], s[28:29], 1
	s_mov_b32 s31, 0x20000
	s_waitcnt lgkmcnt(0)
	s_add_u32 s28, s14, s28
	s_addc_u32 s14, s15, s29
	s_and_b32 s29, s14, 0xffff
	v_lshlrev_b32_e32 v26, 4, v0
	buffer_load_dwordx4 v[2:5], v26, s[28:31], 0 offen glc slc
	s_load_dwordx2 s[14:15], s[4:5], 0x20
	s_waitcnt vmcnt(2)
	v_cvt_f32_u32_sdwa v7, v14 dst_sel:DWORD dst_unused:UNUSED_PAD src0_sel:WORD_1
	v_cvt_f32_u32_sdwa v6, v14 dst_sel:DWORD dst_unused:UNUSED_PAD src0_sel:WORD_0
	v_cvt_f32_u32_sdwa v9, v15 dst_sel:DWORD dst_unused:UNUSED_PAD src0_sel:WORD_1
	v_cvt_f32_u32_sdwa v8, v15 dst_sel:DWORD dst_unused:UNUSED_PAD src0_sel:WORD_0
	;; [unrolled: 2-line block ×4, first 2 shown]
	s_mul_hi_i32 s27, s26, s6
	s_mul_i32 s26, s26, s6
	s_lshl_b64 s[26:27], s[26:27], 1
	s_waitcnt lgkmcnt(0)
	s_add_u32 s28, s14, s26
	s_mov_b32 s17, 0x7060302
	s_addc_u32 s14, s15, s27
	s_and_b32 s29, s14, 0xffff
	s_waitcnt vmcnt(0)
	v_cvt_f32_u32_sdwa v17, v2 dst_sel:DWORD dst_unused:UNUSED_PAD src0_sel:WORD_1
	v_cvt_f32_u32_sdwa v16, v2 dst_sel:DWORD dst_unused:UNUSED_PAD src0_sel:WORD_0
	v_cvt_f32_u32_sdwa v21, v3 dst_sel:DWORD dst_unused:UNUSED_PAD src0_sel:WORD_1
	v_cvt_f32_u32_sdwa v20, v3 dst_sel:DWORD dst_unused:UNUSED_PAD src0_sel:WORD_0
	;; [unrolled: 2-line block ×4, first 2 shown]
	v_pk_add_f32 v[2:3], v[6:7], v[16:17]
	v_pk_add_f32 v[4:5], v[8:9], v[20:21]
	v_pk_add_f32 v[6:7], v[14:15], v[22:23]
	v_pk_add_f32 v[8:9], v[18:19], v[24:25]
	v_perm_b32 v17, v9, v8, s17
	v_perm_b32 v16, v7, v6, s17
	;; [unrolled: 1-line block ×4, first 2 shown]
	buffer_store_dwordx4 v[14:17], v26, s[28:31], 0 offen glc slc
	;;#ASMSTART
	s_nop 0
	;;#ASMEND
.LBB318_10:
	s_or_b64 exec, exec, s[2:3]
.LBB318_11:
	s_waitcnt vmcnt(1)
	v_mul_f32_e32 v14, v3, v3
	v_fmac_f32_e32 v14, v2, v2
	v_fmac_f32_e32 v14, v4, v4
	;; [unrolled: 1-line block ×7, first 2 shown]
	v_and_b32_e32 v16, 63, v0
	v_cmp_eq_u32_e64 s[2:3], 63, v16
	v_mov_b32_dpp v15, v14 quad_perm:[1,0,3,2] row_mask:0xf bank_mask:0xf
	v_add_f32_e32 v14, v14, v15
	s_nop 1
	v_mov_b32_dpp v15, v14 quad_perm:[2,3,0,1] row_mask:0xf bank_mask:0xf
	v_add_f32_e32 v14, v14, v15
	s_nop 1
	v_mov_b32_dpp v15, v14 row_half_mirror row_mask:0xf bank_mask:0xf
	v_add_f32_e32 v14, v14, v15
	s_nop 1
	v_mov_b32_dpp v15, v14 row_mirror row_mask:0xf bank_mask:0xf
	v_add_f32_e32 v14, v14, v15
	s_nop 1
	v_mov_b32_dpp v15, v14 row_bcast:15 row_mask:0xf bank_mask:0xf
	v_add_f32_e32 v14, v14, v15
	s_nop 1
	v_mov_b32_dpp v15, v14 row_bcast:31 row_mask:0xf bank_mask:0xf
	s_and_saveexec_b64 s[14:15], s[2:3]
	s_cbranch_execz .LBB318_13
; %bb.12:
	v_add_f32_e32 v14, v14, v15
	v_lshrrev_b32_e32 v15, 4, v0
	v_and_b32_e32 v15, 60, v15
	ds_write_b32 v15, v14 offset:8
.LBB318_13:
	s_or_b64 exec, exec, s[14:15]
	v_and_b32_e32 v14, 1, v0
	v_lshlrev_b32_e32 v14, 2, v14
	s_waitcnt lgkmcnt(0)
	s_barrier
	ds_read_b32 v15, v14 offset:8
	s_load_dwordx2 s[14:15], s[4:5], 0x18
	s_waitcnt lgkmcnt(0)
	v_mov_b32_dpp v16, v15 quad_perm:[1,0,3,2] row_mask:0xf bank_mask:0xf
	s_and_saveexec_b64 s[26:27], s[0:1]
	s_cbranch_execnz .LBB318_18
; %bb.14:
	s_or_b64 exec, exec, s[26:27]
	s_mov_b64 s[8:9], -1
	s_and_b64 vcc, exec, s[22:23]
	s_cbranch_vccnz .LBB318_19
.LBB318_15:
	s_andn2_b64 vcc, exec, s[8:9]
	s_cbranch_vccz .LBB318_22
.LBB318_16:
	s_cmp_lt_i32 s16, 1
	s_cbranch_scc0 .LBB318_25
.LBB318_17:
	s_endpgm
.LBB318_18:
	v_cvt_f32_u32_e32 v17, s7
	v_add_f32_e32 v15, v15, v16
	v_mov_b32_e32 v19, s13
	v_mov_b32_e32 v20, s12
	v_div_scale_f32 v16, s[28:29], v17, v17, v15
	v_rcp_f32_e32 v18, v16
	v_cndmask_b32_e64 v19, v19, v20, s[8:9]
	s_mov_b32 s7, 0x800000
	v_fma_f32 v20, -v16, v18, 1.0
	v_fmac_f32_e32 v18, v20, v18
	v_div_scale_f32 v20, vcc, v15, v17, v15
	v_mul_f32_e32 v21, v20, v18
	v_fma_f32 v22, -v16, v21, v20
	v_fmac_f32_e32 v21, v22, v18
	v_fma_f32 v16, -v16, v21, v20
	v_div_fmas_f32 v16, v16, v18, v21
	v_div_fixup_f32 v15, v16, v17, v15
	v_add_f32_e32 v15, v19, v15
	v_mul_f32_e32 v16, 0x4b800000, v15
	v_cmp_gt_f32_e32 vcc, s7, v15
	v_cndmask_b32_e32 v15, v15, v16, vcc
	v_rsq_f32_e32 v15, v15
	s_waitcnt vmcnt(0)
	v_cvt_f32_u32_sdwa v19, v11 dst_sel:DWORD dst_unused:UNUSED_PAD src0_sel:WORD_1
	v_cvt_f32_u32_sdwa v18, v11 dst_sel:DWORD dst_unused:UNUSED_PAD src0_sel:WORD_0
	v_cvt_f32_u32_sdwa v11, v12 dst_sel:DWORD dst_unused:UNUSED_PAD src0_sel:WORD_1
	v_mul_f32_e32 v16, 0x45800000, v15
	v_cndmask_b32_e32 v16, v15, v16, vcc
	v_mov_b32_e32 v17, v16
	;;#ASMSTART
	v_pk_mul_f32 v[2:3], v[2:3], v[16:17]
	;;#ASMEND
	;;#ASMSTART
	v_pk_mul_f32 v[4:5], v[4:5], v[16:17]
	;;#ASMEND
	;; [unrolled: 3-line block ×4, first 2 shown]
	v_cvt_f32_u32_sdwa v17, v10 dst_sel:DWORD dst_unused:UNUSED_PAD src0_sel:WORD_1
	v_cvt_f32_u32_sdwa v16, v10 dst_sel:DWORD dst_unused:UNUSED_PAD src0_sel:WORD_0
	v_cvt_f32_u32_sdwa v10, v12 dst_sel:DWORD dst_unused:UNUSED_PAD src0_sel:WORD_0
	v_cvt_f32_u32_sdwa v21, v13 dst_sel:DWORD dst_unused:UNUSED_PAD src0_sel:WORD_1
	v_cvt_f32_u32_sdwa v20, v13 dst_sel:DWORD dst_unused:UNUSED_PAD src0_sel:WORD_0
	;;#ASMSTART
	v_pk_mul_f32 v[2:3], v[2:3], v[16:17]
	;;#ASMEND
	;;#ASMSTART
	v_pk_mul_f32 v[4:5], v[4:5], v[18:19]
	;;#ASMEND
	;; [unrolled: 3-line block ×4, first 2 shown]
	s_or_b64 exec, exec, s[26:27]
	s_mov_b64 s[8:9], -1
	s_and_b64 vcc, exec, s[22:23]
	s_cbranch_vccz .LBB318_15
.LBB318_19:
	s_and_saveexec_b64 s[8:9], s[0:1]
	s_cbranch_execz .LBB318_21
; %bb.20:
	s_mul_hi_i32 s23, s25, s6
	s_mul_i32 s22, s25, s6
	s_lshl_b64 s[22:23], s[22:23], 1
	s_add_u32 s28, s14, s22
	s_addc_u32 s7, s15, s23
	s_and_b32 s29, s7, 0xffff
	s_mov_b32 s7, 0x7060302
	s_mov_b32 s31, 0x20000
	s_waitcnt vmcnt(0)
	v_perm_b32 v10, v3, v2, s7
	v_perm_b32 v11, v5, v4, s7
	;; [unrolled: 1-line block ×4, first 2 shown]
	v_lshlrev_b32_e32 v15, 4, v0
	buffer_store_dwordx4 v[10:13], v15, s[28:31], 0 offen
	;;#ASMSTART
	s_nop 0
	;;#ASMEND
.LBB318_21:
	s_or_b64 exec, exec, s[8:9]
	s_cbranch_execnz .LBB318_16
.LBB318_22:
	s_and_saveexec_b64 s[8:9], s[0:1]
	s_cbranch_execz .LBB318_24
; %bb.23:
	s_load_dwordx2 s[0:1], s[4:5], 0x10
	s_mul_hi_i32 s23, s24, s6
	s_mul_i32 s22, s24, s6
	s_lshl_b64 s[22:23], s[22:23], 1
	s_mov_b32 s31, 0x20000
	s_waitcnt lgkmcnt(0)
	s_add_u32 s28, s0, s22
	s_addc_u32 s0, s1, s23
	s_and_b32 s29, s0, 0xffff
	s_mov_b32 s0, 0x7060302
	v_perm_b32 v2, v3, v2, s0
	v_perm_b32 v3, v5, v4, s0
	;; [unrolled: 1-line block ×4, first 2 shown]
	v_lshlrev_b32_e32 v6, 4, v0
	buffer_store_dwordx4 v[2:5], v6, s[28:31], 0 offen
	;;#ASMSTART
	s_nop 0
	;;#ASMEND
.LBB318_24:
	s_or_b64 exec, exec, s[8:9]
	s_cmp_lt_i32 s16, 1
	s_cbranch_scc1 .LBB318_17
.LBB318_25:
	s_load_dword s0, s[4:5], 0x94
	s_waitcnt lgkmcnt(0)
	s_cmp_lg_u32 s0, 1
	s_cbranch_scc1 .LBB318_17
; %bb.26:
	s_lshl_b32 s0, s16, 1
	s_add_i32 s0, s0, 2
	v_cmp_gt_u32_e32 vcc, s16, v1
	s_and_b32 s22, s0, -4
	v_mov_b32_e32 v6, 0
	v_lshlrev_b32_e32 v1, 4, v0
	v_mov_b32_e32 v7, 0
	v_mov_b32_e32 v8, 0
	;; [unrolled: 1-line block ×7, first 2 shown]
	s_barrier
	s_and_saveexec_b64 s[0:1], vcc
	s_cbranch_execz .LBB318_28
; %bb.27:
	s_mul_hi_i32 s5, s18, s6
	s_mul_i32 s4, s18, s6
	s_and_b32 s21, s21, 0xffff
	s_lshl_b64 s[4:5], s[4:5], 1
	s_add_u32 s8, s10, s4
	s_mov_b32 s23, 0x20000
	s_addc_u32 s4, s11, s5
	s_and_b32 s9, s4, 0xffff
	s_mov_b32 s10, s22
	s_mov_b32 s11, s23
	buffer_load_dwordx4 v[6:9], v1, s[8:11], 0 offen glc slc
	buffer_load_dwordx4 v[2:5], v1, s[20:23], 0 offen
.LBB318_28:
	s_or_b64 exec, exec, s[0:1]
	s_waitcnt vmcnt(0)
	v_cvt_f32_u32_sdwa v13, v6 dst_sel:DWORD dst_unused:UNUSED_PAD src0_sel:WORD_1
	v_cvt_f32_u32_sdwa v12, v6 dst_sel:DWORD dst_unused:UNUSED_PAD src0_sel:WORD_0
	v_cvt_f32_u32_sdwa v6, v9 dst_sel:DWORD dst_unused:UNUSED_PAD src0_sel:WORD_1
	v_cvt_f32_u32_sdwa v9, v9 dst_sel:DWORD dst_unused:UNUSED_PAD src0_sel:WORD_0
	;; [unrolled: 2-line block ×4, first 2 shown]
	v_cndmask_b32_e32 v13, 0, v13, vcc
	v_cndmask_b32_e32 v7, 0, v6, vcc
	;; [unrolled: 1-line block ×5, first 2 shown]
	v_mul_f32_e32 v15, v13, v13
	v_cndmask_b32_e32 v10, 0, v10, vcc
	v_fmac_f32_e32 v15, v12, v12
	v_cndmask_b32_e32 v11, 0, v11, vcc
	v_fmac_f32_e32 v15, v10, v10
	;; [unrolled: 2-line block ×3, first 2 shown]
	v_fmac_f32_e32 v15, v8, v8
	v_fmac_f32_e32 v15, v9, v9
	v_fmac_f32_e32 v15, v6, v6
	v_fmac_f32_e32 v15, v7, v7
	s_nop 1
	v_mov_b32_dpp v16, v15 quad_perm:[1,0,3,2] row_mask:0xf bank_mask:0xf
	v_add_f32_e32 v15, v15, v16
	s_nop 1
	v_mov_b32_dpp v16, v15 quad_perm:[2,3,0,1] row_mask:0xf bank_mask:0xf
	v_add_f32_e32 v15, v15, v16
	s_nop 1
	v_mov_b32_dpp v16, v15 row_half_mirror row_mask:0xf bank_mask:0xf
	v_add_f32_e32 v15, v15, v16
	s_nop 1
	v_mov_b32_dpp v16, v15 row_mirror row_mask:0xf bank_mask:0xf
	v_add_f32_e32 v15, v15, v16
	s_nop 1
	v_mov_b32_dpp v16, v15 row_bcast:15 row_mask:0xf bank_mask:0xf
	v_add_f32_e32 v15, v15, v16
	s_nop 1
	v_mov_b32_dpp v16, v15 row_bcast:31 row_mask:0xf bank_mask:0xf
	s_and_saveexec_b64 s[0:1], s[2:3]
	s_cbranch_execz .LBB318_30
; %bb.29:
	v_lshrrev_b32_e32 v0, 4, v0
	v_add_f32_e32 v15, v15, v16
	v_and_b32_e32 v0, 60, v0
	ds_write_b32 v0, v15
.LBB318_30:
	s_or_b64 exec, exec, s[0:1]
	s_waitcnt lgkmcnt(0)
	s_barrier
	ds_read_b32 v0, v14
	s_waitcnt lgkmcnt(0)
	s_nop 0
	v_mov_b32_dpp v14, v0 quad_perm:[1,0,3,2] row_mask:0xf bank_mask:0xf
	s_and_saveexec_b64 s[0:1], vcc
	s_cbranch_execz .LBB318_17
; %bb.31:
	v_cvt_f32_u32_e32 v15, s16
	v_add_f32_e32 v0, v0, v14
	s_mov_b32 s23, 0x20000
	v_div_scale_f32 v14, s[0:1], v15, v15, v0
	v_rcp_f32_e32 v16, v14
	v_div_scale_f32 v17, vcc, v0, v15, v0
	s_mov_b32 s0, 0x800000
	v_fma_f32 v18, -v14, v16, 1.0
	v_fmac_f32_e32 v16, v18, v16
	v_mul_f32_e32 v18, v17, v16
	v_fma_f32 v19, -v14, v18, v17
	v_fmac_f32_e32 v18, v19, v16
	v_fma_f32 v14, -v14, v18, v17
	v_div_fmas_f32 v14, v14, v16, v18
	v_div_fixup_f32 v0, v14, v15, v0
	v_add_f32_e32 v0, s13, v0
	v_mul_f32_e32 v14, 0x4b800000, v0
	v_cmp_gt_f32_e32 vcc, s0, v0
	v_cndmask_b32_e32 v0, v0, v14, vcc
	v_rsq_f32_e32 v0, v0
	s_mul_hi_i32 s1, s25, s6
	s_mul_i32 s0, s25, s6
	s_lshl_b64 s[0:1], s[0:1], 1
	v_mul_f32_e32 v14, 0x45800000, v0
	v_cndmask_b32_e32 v14, v0, v14, vcc
	s_add_u32 s20, s14, s0
	v_mov_b32_e32 v15, v14
	s_addc_u32 s0, s15, s1
	;;#ASMSTART
	v_pk_mul_f32 v[12:13], v[12:13], v[14:15]
	;;#ASMEND
	;;#ASMSTART
	v_pk_mul_f32 v[10:11], v[10:11], v[14:15]
	;;#ASMEND
	;; [unrolled: 3-line block ×4, first 2 shown]
	v_cvt_f32_u32_sdwa v15, v2 dst_sel:DWORD dst_unused:UNUSED_PAD src0_sel:WORD_1
	v_cvt_f32_u32_sdwa v14, v2 dst_sel:DWORD dst_unused:UNUSED_PAD src0_sel:WORD_0
	v_cvt_f32_u32_sdwa v17, v3 dst_sel:DWORD dst_unused:UNUSED_PAD src0_sel:WORD_1
	v_cvt_f32_u32_sdwa v16, v3 dst_sel:DWORD dst_unused:UNUSED_PAD src0_sel:WORD_0
	;; [unrolled: 2-line block ×4, first 2 shown]
	;;#ASMSTART
	v_pk_mul_f32 v[4:5], v[12:13], v[14:15]
	;;#ASMEND
	s_and_b32 s21, s0, 0xffff
	s_mov_b32 s0, 0x7060302
	;;#ASMSTART
	v_pk_mul_f32 v[10:11], v[10:11], v[16:17]
	;;#ASMEND
	;;#ASMSTART
	v_pk_mul_f32 v[8:9], v[8:9], v[2:3]
	;;#ASMEND
	;; [unrolled: 3-line block ×3, first 2 shown]
	v_perm_b32 v2, v5, v4, s0
	v_perm_b32 v3, v11, v10, s0
	;; [unrolled: 1-line block ×4, first 2 shown]
	buffer_store_dwordx4 v[2:5], v1, s[20:23], 0 offen
	;;#ASMSTART
	s_nop 0
	;;#ASMEND
	s_endpgm
	.section	.rodata,"a",@progbits
	.p2align	6, 0x0
	.amdhsa_kernel _ZN5aiter35fused_qk_rmsnorm_group_quant_kernelItDB8_Li128ELi8ELi16ELb1ELb1ELb0ELb1ELb0ELb0EEEvPT0_PvPT_S6_S6_PKS5_S8_S8_S8_S8_ffiiiiiiiiiiiii
		.amdhsa_group_segment_fixed_size 16
		.amdhsa_private_segment_fixed_size 0
		.amdhsa_kernarg_size 400
		.amdhsa_user_sgpr_count 6
		.amdhsa_user_sgpr_private_segment_buffer 1
		.amdhsa_user_sgpr_dispatch_ptr 0
		.amdhsa_user_sgpr_queue_ptr 0
		.amdhsa_user_sgpr_kernarg_segment_ptr 1
		.amdhsa_user_sgpr_dispatch_id 0
		.amdhsa_user_sgpr_flat_scratch_init 0
		.amdhsa_user_sgpr_kernarg_preload_length 0
		.amdhsa_user_sgpr_kernarg_preload_offset 0
		.amdhsa_user_sgpr_private_segment_size 0
		.amdhsa_uses_dynamic_stack 0
		.amdhsa_system_sgpr_private_segment_wavefront_offset 0
		.amdhsa_system_sgpr_workgroup_id_x 1
		.amdhsa_system_sgpr_workgroup_id_y 1
		.amdhsa_system_sgpr_workgroup_id_z 0
		.amdhsa_system_sgpr_workgroup_info 0
		.amdhsa_system_vgpr_workitem_id 0
		.amdhsa_next_free_vgpr 27
		.amdhsa_next_free_sgpr 44
		.amdhsa_accum_offset 28
		.amdhsa_reserve_vcc 1
		.amdhsa_reserve_flat_scratch 0
		.amdhsa_float_round_mode_32 0
		.amdhsa_float_round_mode_16_64 0
		.amdhsa_float_denorm_mode_32 3
		.amdhsa_float_denorm_mode_16_64 3
		.amdhsa_dx10_clamp 1
		.amdhsa_ieee_mode 1
		.amdhsa_fp16_overflow 0
		.amdhsa_tg_split 0
		.amdhsa_exception_fp_ieee_invalid_op 0
		.amdhsa_exception_fp_denorm_src 0
		.amdhsa_exception_fp_ieee_div_zero 0
		.amdhsa_exception_fp_ieee_overflow 0
		.amdhsa_exception_fp_ieee_underflow 0
		.amdhsa_exception_fp_ieee_inexact 0
		.amdhsa_exception_int_div_zero 0
	.end_amdhsa_kernel
	.section	.text._ZN5aiter35fused_qk_rmsnorm_group_quant_kernelItDB8_Li128ELi8ELi16ELb1ELb1ELb0ELb1ELb0ELb0EEEvPT0_PvPT_S6_S6_PKS5_S8_S8_S8_S8_ffiiiiiiiiiiiii,"axG",@progbits,_ZN5aiter35fused_qk_rmsnorm_group_quant_kernelItDB8_Li128ELi8ELi16ELb1ELb1ELb0ELb1ELb0ELb0EEEvPT0_PvPT_S6_S6_PKS5_S8_S8_S8_S8_ffiiiiiiiiiiiii,comdat
.Lfunc_end318:
	.size	_ZN5aiter35fused_qk_rmsnorm_group_quant_kernelItDB8_Li128ELi8ELi16ELb1ELb1ELb0ELb1ELb0ELb0EEEvPT0_PvPT_S6_S6_PKS5_S8_S8_S8_S8_ffiiiiiiiiiiiii, .Lfunc_end318-_ZN5aiter35fused_qk_rmsnorm_group_quant_kernelItDB8_Li128ELi8ELi16ELb1ELb1ELb0ELb1ELb0ELb0EEEvPT0_PvPT_S6_S6_PKS5_S8_S8_S8_S8_ffiiiiiiiiiiiii
                                        ; -- End function
	.section	.AMDGPU.csdata,"",@progbits
; Kernel info:
; codeLenInByte = 2420
; NumSgprs: 48
; NumVgprs: 27
; NumAgprs: 0
; TotalNumVgprs: 27
; ScratchSize: 0
; MemoryBound: 0
; FloatMode: 240
; IeeeMode: 1
; LDSByteSize: 16 bytes/workgroup (compile time only)
; SGPRBlocks: 5
; VGPRBlocks: 3
; NumSGPRsForWavesPerEU: 48
; NumVGPRsForWavesPerEU: 27
; AccumOffset: 28
; Occupancy: 8
; WaveLimiterHint : 0
; COMPUTE_PGM_RSRC2:SCRATCH_EN: 0
; COMPUTE_PGM_RSRC2:USER_SGPR: 6
; COMPUTE_PGM_RSRC2:TRAP_HANDLER: 0
; COMPUTE_PGM_RSRC2:TGID_X_EN: 1
; COMPUTE_PGM_RSRC2:TGID_Y_EN: 1
; COMPUTE_PGM_RSRC2:TGID_Z_EN: 0
; COMPUTE_PGM_RSRC2:TIDIG_COMP_CNT: 0
; COMPUTE_PGM_RSRC3_GFX90A:ACCUM_OFFSET: 6
; COMPUTE_PGM_RSRC3_GFX90A:TG_SPLIT: 0
	.section	.text._ZN5aiter35fused_qk_rmsnorm_group_quant_kernelIDF16_N4opus5fp4_tELi128ELi8ELi16ELb1ELb1ELb0ELb1ELb0ELb0EEEvPT0_PvPT_S7_S7_PKS6_S9_S9_S9_S9_ffiiiiiiiiiiiii,"axG",@progbits,_ZN5aiter35fused_qk_rmsnorm_group_quant_kernelIDF16_N4opus5fp4_tELi128ELi8ELi16ELb1ELb1ELb0ELb1ELb0ELb0EEEvPT0_PvPT_S7_S7_PKS6_S9_S9_S9_S9_ffiiiiiiiiiiiii,comdat
	.protected	_ZN5aiter35fused_qk_rmsnorm_group_quant_kernelIDF16_N4opus5fp4_tELi128ELi8ELi16ELb1ELb1ELb0ELb1ELb0ELb0EEEvPT0_PvPT_S7_S7_PKS6_S9_S9_S9_S9_ffiiiiiiiiiiiii ; -- Begin function _ZN5aiter35fused_qk_rmsnorm_group_quant_kernelIDF16_N4opus5fp4_tELi128ELi8ELi16ELb1ELb1ELb0ELb1ELb0ELb0EEEvPT0_PvPT_S7_S7_PKS6_S9_S9_S9_S9_ffiiiiiiiiiiiii
	.globl	_ZN5aiter35fused_qk_rmsnorm_group_quant_kernelIDF16_N4opus5fp4_tELi128ELi8ELi16ELb1ELb1ELb0ELb1ELb0ELb0EEEvPT0_PvPT_S7_S7_PKS6_S9_S9_S9_S9_ffiiiiiiiiiiiii
	.p2align	8
	.type	_ZN5aiter35fused_qk_rmsnorm_group_quant_kernelIDF16_N4opus5fp4_tELi128ELi8ELi16ELb1ELb1ELb0ELb1ELb0ELb0EEEvPT0_PvPT_S7_S7_PKS6_S9_S9_S9_S9_ffiiiiiiiiiiiii,@function
_ZN5aiter35fused_qk_rmsnorm_group_quant_kernelIDF16_N4opus5fp4_tELi128ELi8ELi16ELb1ELb1ELb0ELb1ELb0ELb0EEEvPT0_PvPT_S7_S7_PKS6_S9_S9_S9_S9_ffiiiiiiiiiiiii: ; @_ZN5aiter35fused_qk_rmsnorm_group_quant_kernelIDF16_N4opus5fp4_tELi128ELi8ELi16ELb1ELb1ELb0ELb1ELb0ELb0EEEvPT0_PvPT_S7_S7_PKS6_S9_S9_S9_S9_ffiiiiiiiiiiiii
; %bb.0:
	s_load_dwordx8 s[12:19], s[4:5], 0x50
	s_waitcnt lgkmcnt(0)
	s_cmp_ge_i32 s6, s14
	s_cbranch_scc1 .LBB319_17
; %bb.1:
	s_cmp_lg_u32 s7, 0
	s_cselect_b64 s[22:23], -1, 0
	s_cmp_eq_u32 s7, 0
	s_cselect_b64 s[2:3], -1, 0
	s_and_b64 s[0:1], s[2:3], exec
	s_cselect_b32 s7, s15, s16
	s_load_dwordx2 s[10:11], s[4:5], 0x30
	s_load_dwordx2 s[20:21], s[4:5], 0x48
	s_add_i32 s0, s7, 1
	s_lshr_b32 s1, s0, 31
	s_add_i32 s0, s0, s1
	s_lshl_b32 s0, s0, 1
	v_lshlrev_b32_e32 v1, 3, v0
	s_and_b32 s30, s0, -4
	v_cmp_gt_i32_e64 s[0:1], s7, v1
	v_mov_b32_e32 v2, 0
	v_mov_b32_e32 v3, 0
	;; [unrolled: 1-line block ×8, first 2 shown]
	s_and_saveexec_b64 s[8:9], s[0:1]
	s_cbranch_execz .LBB319_3
; %bb.2:
	s_load_dwordx2 s[14:15], s[4:5], 0x28
	s_load_dwordx2 s[26:27], s[4:5], 0x40
	s_and_b64 s[24:25], s[2:3], exec
	s_cselect_b32 s17, s17, s18
	s_mov_b32 s31, 0x20000
	s_waitcnt lgkmcnt(0)
	s_cselect_b32 s25, s15, s11
	s_cselect_b32 s24, s14, s10
	s_mul_hi_i32 s15, s17, s6
	s_mul_i32 s14, s17, s6
	s_lshl_b64 s[14:15], s[14:15], 1
	s_add_u32 s24, s24, s14
	s_addc_u32 s17, s25, s15
	s_and_b64 s[14:15], s[2:3], exec
	s_cselect_b32 s28, s26, s20
	s_cselect_b32 s14, s27, s21
	v_lshlrev_b32_e32 v10, 4, v0
	s_and_b32 s25, s17, 0xffff
	s_mov_b32 s26, s30
	s_mov_b32 s27, s31
	s_and_b32 s29, s14, 0xffff
	buffer_load_dwordx4 v[6:9], v10, s[24:27], 0 offen glc slc
	buffer_load_dwordx4 v[2:5], v10, s[28:31], 0 offen
.LBB319_3:
	s_or_b64 exec, exec, s[8:9]
	s_load_dwordx4 s[24:27], s[4:5], 0x7c
	s_and_b64 vcc, exec, s[22:23]
	s_cbranch_vccz .LBB319_7
; %bb.4:
	v_mov_b32_e32 v11, 0
	v_mov_b32_e32 v10, 0
	;; [unrolled: 1-line block ×8, first 2 shown]
	s_and_saveexec_b64 s[8:9], s[0:1]
	s_cbranch_execz .LBB319_6
; %bb.5:
	s_waitcnt vmcnt(1)
	v_cvt_f32_f16_sdwa v17, v6 dst_sel:DWORD dst_unused:UNUSED_PAD src0_sel:WORD_1
	v_cvt_f32_f16_e32 v16, v6
	v_cvt_f32_f16_sdwa v15, v7 dst_sel:DWORD dst_unused:UNUSED_PAD src0_sel:WORD_1
	v_cvt_f32_f16_e32 v14, v7
	;; [unrolled: 2-line block ×4, first 2 shown]
.LBB319_6:
	s_or_b64 exec, exec, s[8:9]
	s_cbranch_execz .LBB319_8
	s_branch .LBB319_11
.LBB319_7:
                                        ; implicit-def: $vgpr11
                                        ; implicit-def: $vgpr13
                                        ; implicit-def: $vgpr15
                                        ; implicit-def: $vgpr17
.LBB319_8:
	v_mov_b32_e32 v11, 0
	v_mov_b32_e32 v10, 0
	;; [unrolled: 1-line block ×8, first 2 shown]
	s_and_saveexec_b64 s[8:9], s[0:1]
	s_cbranch_execz .LBB319_10
; %bb.9:
	s_load_dwordx2 s[14:15], s[4:5], 0x38
	s_mul_hi_i32 s29, s19, s6
	s_mul_i32 s28, s19, s6
	s_lshl_b64 s[28:29], s[28:29], 1
	s_mov_b32 s31, 0x20000
	s_waitcnt lgkmcnt(0)
	s_add_u32 s28, s14, s28
	s_addc_u32 s14, s15, s29
	s_and_b32 s29, s14, 0xffff
	v_lshlrev_b32_e32 v26, 4, v0
	buffer_load_dwordx4 v[10:13], v26, s[28:31], 0 offen glc slc
	s_waitcnt vmcnt(2)
	v_cvt_f32_f16_sdwa v15, v6 dst_sel:DWORD dst_unused:UNUSED_PAD src0_sel:WORD_1
	v_cvt_f32_f16_e32 v14, v6
	v_cvt_f32_f16_sdwa v19, v7 dst_sel:DWORD dst_unused:UNUSED_PAD src0_sel:WORD_1
	v_cvt_f32_f16_e32 v18, v7
	v_cvt_f32_f16_sdwa v7, v8 dst_sel:DWORD dst_unused:UNUSED_PAD src0_sel:WORD_1
	v_cvt_f32_f16_e32 v6, v8
	v_cvt_f32_f16_sdwa v21, v9 dst_sel:DWORD dst_unused:UNUSED_PAD src0_sel:WORD_1
	v_cvt_f32_f16_e32 v20, v9
	s_load_dwordx2 s[14:15], s[4:5], 0x20
	s_mul_hi_i32 s27, s26, s6
	s_mul_i32 s26, s26, s6
	s_lshl_b64 s[26:27], s[26:27], 1
	s_waitcnt lgkmcnt(0)
	s_add_u32 s28, s14, s26
	s_addc_u32 s14, s15, s27
	s_and_b32 s29, s14, 0xffff
	s_waitcnt vmcnt(0)
	v_cvt_f32_f16_e32 v8, v10
	v_cvt_f32_f16_sdwa v9, v10 dst_sel:DWORD dst_unused:UNUSED_PAD src0_sel:WORD_1
	v_cvt_f32_f16_e32 v10, v11
	v_cvt_f32_f16_sdwa v11, v11 dst_sel:DWORD dst_unused:UNUSED_PAD src0_sel:WORD_1
	v_cvt_f32_f16_e32 v22, v12
	v_cvt_f32_f16_sdwa v23, v12 dst_sel:DWORD dst_unused:UNUSED_PAD src0_sel:WORD_1
	v_cvt_f32_f16_e32 v24, v13
	v_cvt_f32_f16_sdwa v25, v13 dst_sel:DWORD dst_unused:UNUSED_PAD src0_sel:WORD_1
	v_pk_add_f32 v[16:17], v[14:15], v[8:9]
	v_pk_add_f32 v[14:15], v[18:19], v[10:11]
	v_pk_add_f32 v[12:13], v[6:7], v[22:23]
	v_pk_add_f32 v[10:11], v[20:21], v[24:25]
	v_cvt_f16_f32_e32 v6, v17
	v_cvt_f16_f32_e32 v7, v15
	v_cvt_f16_f32_e32 v8, v13
	v_cvt_f16_f32_e32 v9, v11
	v_cvt_f16_f32_e32 v18, v10
	v_cvt_f16_f32_e32 v19, v12
	v_cvt_f16_f32_e32 v20, v14
	v_cvt_f16_f32_e32 v21, v16
	v_pack_b32_f16 v9, v18, v9
	v_pack_b32_f16 v8, v19, v8
	;; [unrolled: 1-line block ×4, first 2 shown]
	buffer_store_dwordx4 v[6:9], v26, s[28:31], 0 offen glc slc
	;;#ASMSTART
	s_nop 0
	;;#ASMEND
.LBB319_10:
	s_or_b64 exec, exec, s[8:9]
.LBB319_11:
	s_waitcnt vmcnt(1)
	v_mul_f32_e32 v6, v17, v17
	v_fmac_f32_e32 v6, v16, v16
	v_fmac_f32_e32 v6, v14, v14
	;; [unrolled: 1-line block ×7, first 2 shown]
	v_and_b32_e32 v8, 63, v0
	v_cmp_eq_u32_e64 s[8:9], 63, v8
	v_mov_b32_dpp v7, v6 quad_perm:[1,0,3,2] row_mask:0xf bank_mask:0xf
	v_add_f32_e32 v6, v6, v7
	s_nop 1
	v_mov_b32_dpp v7, v6 quad_perm:[2,3,0,1] row_mask:0xf bank_mask:0xf
	v_add_f32_e32 v6, v6, v7
	s_nop 1
	v_mov_b32_dpp v7, v6 row_half_mirror row_mask:0xf bank_mask:0xf
	v_add_f32_e32 v6, v6, v7
	s_nop 1
	v_mov_b32_dpp v7, v6 row_mirror row_mask:0xf bank_mask:0xf
	v_add_f32_e32 v6, v6, v7
	s_nop 1
	v_mov_b32_dpp v7, v6 row_bcast:15 row_mask:0xf bank_mask:0xf
	v_add_f32_e32 v6, v6, v7
	s_nop 1
	v_mov_b32_dpp v7, v6 row_bcast:31 row_mask:0xf bank_mask:0xf
	s_and_saveexec_b64 s[14:15], s[8:9]
	s_cbranch_execz .LBB319_13
; %bb.12:
	v_add_f32_e32 v6, v6, v7
	v_lshrrev_b32_e32 v7, 4, v0
	v_and_b32_e32 v7, 60, v7
	ds_write_b32 v7, v6 offset:8
.LBB319_13:
	s_or_b64 exec, exec, s[14:15]
	v_and_b32_e32 v6, 1, v0
	v_lshlrev_b32_e32 v18, 2, v6
	s_waitcnt lgkmcnt(0)
	s_barrier
	ds_read_b32 v6, v18 offset:8
	s_load_dwordx2 s[14:15], s[4:5], 0x18
	s_waitcnt lgkmcnt(0)
	v_mov_b32_dpp v7, v6 quad_perm:[1,0,3,2] row_mask:0xf bank_mask:0xf
	s_and_saveexec_b64 s[26:27], s[0:1]
	s_cbranch_execnz .LBB319_18
; %bb.14:
	s_or_b64 exec, exec, s[26:27]
	s_mov_b64 s[2:3], -1
	s_and_b64 vcc, exec, s[22:23]
	s_cbranch_vccnz .LBB319_19
.LBB319_15:
	s_andn2_b64 vcc, exec, s[2:3]
	s_cbranch_vccz .LBB319_22
.LBB319_16:
	s_cmp_lt_i32 s16, 1
	s_cbranch_scc0 .LBB319_25
.LBB319_17:
	s_endpgm
.LBB319_18:
	v_cvt_f32_u32_e32 v8, s7
	v_add_f32_e32 v6, v6, v7
	v_mov_b32_e32 v19, s13
	v_mov_b32_e32 v20, s12
	v_div_scale_f32 v7, s[28:29], v8, v8, v6
	v_rcp_f32_e32 v9, v7
	v_cndmask_b32_e64 v19, v19, v20, s[2:3]
	s_mov_b32 s2, 0x800000
	s_waitcnt vmcnt(0)
	v_cvt_f32_f16_sdwa v23, v5 dst_sel:DWORD dst_unused:UNUSED_PAD src0_sel:WORD_1
	v_fma_f32 v20, -v7, v9, 1.0
	v_fmac_f32_e32 v9, v20, v9
	v_div_scale_f32 v20, vcc, v6, v8, v6
	v_mul_f32_e32 v21, v20, v9
	v_fma_f32 v22, -v7, v21, v20
	v_fmac_f32_e32 v21, v22, v9
	v_fma_f32 v7, -v7, v21, v20
	v_div_fmas_f32 v7, v7, v9, v21
	v_div_fixup_f32 v6, v7, v8, v6
	v_add_f32_e32 v6, v19, v6
	v_mul_f32_e32 v7, 0x4b800000, v6
	v_cmp_gt_f32_e32 vcc, s2, v6
	v_cndmask_b32_e32 v6, v6, v7, vcc
	v_rsq_f32_e32 v6, v6
	v_cvt_f32_f16_sdwa v21, v3 dst_sel:DWORD dst_unused:UNUSED_PAD src0_sel:WORD_1
	v_cvt_f32_f16_e32 v20, v3
	v_cvt_f32_f16_sdwa v3, v4 dst_sel:DWORD dst_unused:UNUSED_PAD src0_sel:WORD_1
	v_mul_f32_e32 v7, 0x45800000, v6
	v_cndmask_b32_e32 v6, v6, v7, vcc
	v_mov_b32_e32 v7, v6
	;;#ASMSTART
	v_pk_mul_f32 v[8:9], v[16:17], v[6:7]
	;;#ASMEND
	;;#ASMSTART
	v_pk_mul_f32 v[14:15], v[14:15], v[6:7]
	;;#ASMEND
	;; [unrolled: 3-line block ×4, first 2 shown]
	v_cvt_f32_f16_sdwa v11, v2 dst_sel:DWORD dst_unused:UNUSED_PAD src0_sel:WORD_1
	v_cvt_f32_f16_e32 v10, v2
	v_cvt_f32_f16_e32 v2, v4
	;; [unrolled: 1-line block ×3, first 2 shown]
	;;#ASMSTART
	v_pk_mul_f32 v[16:17], v[8:9], v[10:11]
	;;#ASMEND
	;;#ASMSTART
	v_pk_mul_f32 v[14:15], v[14:15], v[20:21]
	;;#ASMEND
	;; [unrolled: 3-line block ×4, first 2 shown]
	s_or_b64 exec, exec, s[26:27]
	s_mov_b64 s[2:3], -1
	s_and_b64 vcc, exec, s[22:23]
	s_cbranch_vccz .LBB319_15
.LBB319_19:
	s_and_saveexec_b64 s[2:3], s[0:1]
	s_cbranch_execz .LBB319_21
; %bb.20:
	s_mul_hi_i32 s23, s25, s6
	s_mul_i32 s22, s25, s6
	s_waitcnt vmcnt(0)
	v_cvt_f16_f32_e32 v2, v16
	v_cvt_f16_f32_e32 v3, v14
	;; [unrolled: 1-line block ×8, first 2 shown]
	s_lshl_b64 s[22:23], s[22:23], 1
	s_add_u32 s28, s14, s22
	s_addc_u32 s7, s15, s23
	s_and_b32 s29, s7, 0xffff
	s_mov_b32 s31, 0x20000
	v_pack_b32_f16 v5, v5, v6
	v_pack_b32_f16 v4, v4, v7
	;; [unrolled: 1-line block ×4, first 2 shown]
	v_lshlrev_b32_e32 v6, 4, v0
	buffer_store_dwordx4 v[2:5], v6, s[28:31], 0 offen
	;;#ASMSTART
	s_nop 0
	;;#ASMEND
.LBB319_21:
	s_or_b64 exec, exec, s[2:3]
	s_cbranch_execnz .LBB319_16
.LBB319_22:
	s_and_saveexec_b64 s[2:3], s[0:1]
	s_cbranch_execz .LBB319_24
; %bb.23:
	s_load_dwordx2 s[0:1], s[4:5], 0x10
	s_mul_hi_i32 s23, s24, s6
	s_mul_i32 s22, s24, s6
	s_waitcnt vmcnt(0)
	v_cvt_f16_f32_e32 v2, v16
	v_cvt_f16_f32_e32 v3, v14
	;; [unrolled: 1-line block ×8, first 2 shown]
	s_lshl_b64 s[22:23], s[22:23], 1
	s_waitcnt lgkmcnt(0)
	s_add_u32 s28, s0, s22
	s_addc_u32 s0, s1, s23
	s_mov_b32 s31, 0x20000
	s_and_b32 s29, s0, 0xffff
	v_pack_b32_f16 v5, v5, v6
	v_pack_b32_f16 v4, v4, v7
	;; [unrolled: 1-line block ×4, first 2 shown]
	v_lshlrev_b32_e32 v6, 4, v0
	buffer_store_dwordx4 v[2:5], v6, s[28:31], 0 offen
	;;#ASMSTART
	s_nop 0
	;;#ASMEND
.LBB319_24:
	s_or_b64 exec, exec, s[2:3]
	s_cmp_lt_i32 s16, 1
	s_cbranch_scc1 .LBB319_17
.LBB319_25:
	s_load_dword s0, s[4:5], 0x94
	s_waitcnt lgkmcnt(0)
	s_cmp_lg_u32 s0, 1
	s_cbranch_scc1 .LBB319_17
; %bb.26:
	s_lshl_b32 s0, s16, 1
	s_add_i32 s0, s0, 2
	v_cmp_gt_u32_e32 vcc, s16, v1
	s_and_b32 s22, s0, -4
	v_mov_b32_e32 v10, 0
	v_lshlrev_b32_e32 v1, 4, v0
	v_mov_b32_e32 v6, 0
	v_mov_b32_e32 v7, 0
	;; [unrolled: 1-line block ×4, first 2 shown]
	s_waitcnt vmcnt(0)
	v_mov_b32_e32 v2, 0
	v_mov_b32_e32 v3, 0
	;; [unrolled: 1-line block ×4, first 2 shown]
	s_barrier
	s_and_saveexec_b64 s[0:1], vcc
	s_cbranch_execz .LBB319_28
; %bb.27:
	s_mul_hi_i32 s3, s18, s6
	s_mul_i32 s2, s18, s6
	s_and_b32 s21, s21, 0xffff
	s_lshl_b64 s[2:3], s[2:3], 1
	s_add_u32 s28, s10, s2
	s_mov_b32 s23, 0x20000
	s_addc_u32 s2, s11, s3
	s_and_b32 s29, s2, 0xffff
	s_mov_b32 s30, s22
	s_mov_b32 s31, s23
	buffer_load_dwordx4 v[6:9], v1, s[28:31], 0 offen glc slc
	buffer_load_dwordx4 v[2:5], v1, s[20:23], 0 offen
.LBB319_28:
	s_or_b64 exec, exec, s[0:1]
	v_mov_b32_e32 v11, 0
	v_mov_b32_e32 v16, 0
	;; [unrolled: 1-line block ×7, first 2 shown]
	s_and_saveexec_b64 s[0:1], vcc
	s_cbranch_execz .LBB319_30
; %bb.29:
	s_waitcnt vmcnt(1)
	v_cvt_f32_f16_sdwa v11, v6 dst_sel:DWORD dst_unused:UNUSED_PAD src0_sel:WORD_1
	v_cvt_f32_f16_e32 v10, v6
	v_cvt_f32_f16_sdwa v17, v7 dst_sel:DWORD dst_unused:UNUSED_PAD src0_sel:WORD_1
	v_cvt_f32_f16_e32 v16, v7
	;; [unrolled: 2-line block ×4, first 2 shown]
.LBB319_30:
	s_or_b64 exec, exec, s[0:1]
	s_waitcnt vmcnt(1)
	v_mul_f32_e32 v6, v11, v11
	v_fmac_f32_e32 v6, v10, v10
	v_fmac_f32_e32 v6, v16, v16
	;; [unrolled: 1-line block ×7, first 2 shown]
	s_nop 1
	v_mov_b32_dpp v7, v6 quad_perm:[1,0,3,2] row_mask:0xf bank_mask:0xf
	v_add_f32_e32 v6, v6, v7
	s_nop 1
	v_mov_b32_dpp v7, v6 quad_perm:[2,3,0,1] row_mask:0xf bank_mask:0xf
	v_add_f32_e32 v6, v6, v7
	s_nop 1
	v_mov_b32_dpp v7, v6 row_half_mirror row_mask:0xf bank_mask:0xf
	v_add_f32_e32 v6, v6, v7
	s_nop 1
	v_mov_b32_dpp v7, v6 row_mirror row_mask:0xf bank_mask:0xf
	v_add_f32_e32 v6, v6, v7
	s_nop 1
	v_mov_b32_dpp v7, v6 row_bcast:15 row_mask:0xf bank_mask:0xf
	v_add_f32_e32 v6, v6, v7
	s_nop 1
	v_mov_b32_dpp v7, v6 row_bcast:31 row_mask:0xf bank_mask:0xf
	s_and_saveexec_b64 s[0:1], s[8:9]
	s_cbranch_execz .LBB319_32
; %bb.31:
	v_lshrrev_b32_e32 v0, 4, v0
	v_add_f32_e32 v6, v6, v7
	v_and_b32_e32 v0, 60, v0
	ds_write_b32 v0, v6
.LBB319_32:
	s_or_b64 exec, exec, s[0:1]
	s_waitcnt lgkmcnt(0)
	s_barrier
	ds_read_b32 v0, v18
	s_waitcnt lgkmcnt(0)
	s_nop 0
	v_mov_b32_dpp v6, v0 quad_perm:[1,0,3,2] row_mask:0xf bank_mask:0xf
	s_and_saveexec_b64 s[0:1], vcc
	s_cbranch_execz .LBB319_17
; %bb.33:
	v_cvt_f32_u32_e32 v7, s16
	v_add_f32_e32 v0, v0, v6
	s_mov_b32 s23, 0x20000
	v_div_scale_f32 v6, s[0:1], v7, v7, v0
	v_rcp_f32_e32 v8, v6
	v_div_scale_f32 v9, vcc, v0, v7, v0
	s_mov_b32 s0, 0x800000
	v_fma_f32 v18, -v6, v8, 1.0
	v_fmac_f32_e32 v8, v18, v8
	v_mul_f32_e32 v18, v9, v8
	v_fma_f32 v19, -v6, v18, v9
	v_fmac_f32_e32 v18, v19, v8
	v_fma_f32 v6, -v6, v18, v9
	v_div_fmas_f32 v6, v6, v8, v18
	v_div_fixup_f32 v0, v6, v7, v0
	v_add_f32_e32 v0, s13, v0
	v_mul_f32_e32 v6, 0x4b800000, v0
	v_cmp_gt_f32_e32 vcc, s0, v0
	v_cndmask_b32_e32 v0, v0, v6, vcc
	v_rsq_f32_e32 v0, v0
	s_waitcnt vmcnt(0)
	v_cvt_f32_f16_sdwa v19, v5 dst_sel:DWORD dst_unused:UNUSED_PAD src0_sel:WORD_1
	v_cvt_f32_f16_e32 v18, v5
	s_mul_hi_i32 s1, s25, s6
	v_mul_f32_e32 v6, 0x45800000, v0
	v_cndmask_b32_e32 v6, v0, v6, vcc
	v_mov_b32_e32 v7, v6
	;;#ASMSTART
	v_pk_mul_f32 v[8:9], v[10:11], v[6:7]
	;;#ASMEND
	;;#ASMSTART
	v_pk_mul_f32 v[10:11], v[16:17], v[6:7]
	;;#ASMEND
	;; [unrolled: 3-line block ×4, first 2 shown]
	v_cvt_f32_f16_sdwa v13, v2 dst_sel:DWORD dst_unused:UNUSED_PAD src0_sel:WORD_1
	v_cvt_f32_f16_e32 v12, v2
	v_cvt_f32_f16_sdwa v17, v3 dst_sel:DWORD dst_unused:UNUSED_PAD src0_sel:WORD_1
	v_cvt_f32_f16_e32 v16, v3
	;; [unrolled: 2-line block ×3, first 2 shown]
	;;#ASMSTART
	v_pk_mul_f32 v[4:5], v[8:9], v[12:13]
	;;#ASMEND
	;;#ASMSTART
	v_pk_mul_f32 v[8:9], v[10:11], v[16:17]
	;;#ASMEND
	;; [unrolled: 3-line block ×4, first 2 shown]
	s_mul_i32 s0, s25, s6
	v_cvt_f16_f32_e32 v0, v4
	v_cvt_f16_f32_e32 v4, v5
	;; [unrolled: 1-line block ×8, first 2 shown]
	s_lshl_b64 s[0:1], s[0:1], 1
	s_add_u32 s20, s14, s0
	s_addc_u32 s0, s15, s1
	s_and_b32 s21, s0, 0xffff
	v_pack_b32_f16 v2, v0, v4
	v_pack_b32_f16 v3, v5, v8
	;; [unrolled: 1-line block ×4, first 2 shown]
	buffer_store_dwordx4 v[2:5], v1, s[20:23], 0 offen
	;;#ASMSTART
	s_nop 0
	;;#ASMEND
	s_endpgm
	.section	.rodata,"a",@progbits
	.p2align	6, 0x0
	.amdhsa_kernel _ZN5aiter35fused_qk_rmsnorm_group_quant_kernelIDF16_N4opus5fp4_tELi128ELi8ELi16ELb1ELb1ELb0ELb1ELb0ELb0EEEvPT0_PvPT_S7_S7_PKS6_S9_S9_S9_S9_ffiiiiiiiiiiiii
		.amdhsa_group_segment_fixed_size 16
		.amdhsa_private_segment_fixed_size 0
		.amdhsa_kernarg_size 400
		.amdhsa_user_sgpr_count 6
		.amdhsa_user_sgpr_private_segment_buffer 1
		.amdhsa_user_sgpr_dispatch_ptr 0
		.amdhsa_user_sgpr_queue_ptr 0
		.amdhsa_user_sgpr_kernarg_segment_ptr 1
		.amdhsa_user_sgpr_dispatch_id 0
		.amdhsa_user_sgpr_flat_scratch_init 0
		.amdhsa_user_sgpr_kernarg_preload_length 0
		.amdhsa_user_sgpr_kernarg_preload_offset 0
		.amdhsa_user_sgpr_private_segment_size 0
		.amdhsa_uses_dynamic_stack 0
		.amdhsa_system_sgpr_private_segment_wavefront_offset 0
		.amdhsa_system_sgpr_workgroup_id_x 1
		.amdhsa_system_sgpr_workgroup_id_y 1
		.amdhsa_system_sgpr_workgroup_id_z 0
		.amdhsa_system_sgpr_workgroup_info 0
		.amdhsa_system_vgpr_workitem_id 0
		.amdhsa_next_free_vgpr 27
		.amdhsa_next_free_sgpr 32
		.amdhsa_accum_offset 28
		.amdhsa_reserve_vcc 1
		.amdhsa_reserve_flat_scratch 0
		.amdhsa_float_round_mode_32 0
		.amdhsa_float_round_mode_16_64 0
		.amdhsa_float_denorm_mode_32 3
		.amdhsa_float_denorm_mode_16_64 3
		.amdhsa_dx10_clamp 1
		.amdhsa_ieee_mode 1
		.amdhsa_fp16_overflow 0
		.amdhsa_tg_split 0
		.amdhsa_exception_fp_ieee_invalid_op 0
		.amdhsa_exception_fp_denorm_src 0
		.amdhsa_exception_fp_ieee_div_zero 0
		.amdhsa_exception_fp_ieee_overflow 0
		.amdhsa_exception_fp_ieee_underflow 0
		.amdhsa_exception_fp_ieee_inexact 0
		.amdhsa_exception_int_div_zero 0
	.end_amdhsa_kernel
	.section	.text._ZN5aiter35fused_qk_rmsnorm_group_quant_kernelIDF16_N4opus5fp4_tELi128ELi8ELi16ELb1ELb1ELb0ELb1ELb0ELb0EEEvPT0_PvPT_S7_S7_PKS6_S9_S9_S9_S9_ffiiiiiiiiiiiii,"axG",@progbits,_ZN5aiter35fused_qk_rmsnorm_group_quant_kernelIDF16_N4opus5fp4_tELi128ELi8ELi16ELb1ELb1ELb0ELb1ELb0ELb0EEEvPT0_PvPT_S7_S7_PKS6_S9_S9_S9_S9_ffiiiiiiiiiiiii,comdat
.Lfunc_end319:
	.size	_ZN5aiter35fused_qk_rmsnorm_group_quant_kernelIDF16_N4opus5fp4_tELi128ELi8ELi16ELb1ELb1ELb0ELb1ELb0ELb0EEEvPT0_PvPT_S7_S7_PKS6_S9_S9_S9_S9_ffiiiiiiiiiiiii, .Lfunc_end319-_ZN5aiter35fused_qk_rmsnorm_group_quant_kernelIDF16_N4opus5fp4_tELi128ELi8ELi16ELb1ELb1ELb0ELb1ELb0ELb0EEEvPT0_PvPT_S7_S7_PKS6_S9_S9_S9_S9_ffiiiiiiiiiiiii
                                        ; -- End function
	.section	.AMDGPU.csdata,"",@progbits
; Kernel info:
; codeLenInByte = 2384
; NumSgprs: 36
; NumVgprs: 27
; NumAgprs: 0
; TotalNumVgprs: 27
; ScratchSize: 0
; MemoryBound: 0
; FloatMode: 240
; IeeeMode: 1
; LDSByteSize: 16 bytes/workgroup (compile time only)
; SGPRBlocks: 4
; VGPRBlocks: 3
; NumSGPRsForWavesPerEU: 36
; NumVGPRsForWavesPerEU: 27
; AccumOffset: 28
; Occupancy: 8
; WaveLimiterHint : 0
; COMPUTE_PGM_RSRC2:SCRATCH_EN: 0
; COMPUTE_PGM_RSRC2:USER_SGPR: 6
; COMPUTE_PGM_RSRC2:TRAP_HANDLER: 0
; COMPUTE_PGM_RSRC2:TGID_X_EN: 1
; COMPUTE_PGM_RSRC2:TGID_Y_EN: 1
; COMPUTE_PGM_RSRC2:TGID_Z_EN: 0
; COMPUTE_PGM_RSRC2:TIDIG_COMP_CNT: 0
; COMPUTE_PGM_RSRC3_GFX90A:ACCUM_OFFSET: 6
; COMPUTE_PGM_RSRC3_GFX90A:TG_SPLIT: 0
	.section	.text._ZN5aiter35fused_qk_rmsnorm_group_quant_kernelItN4opus5fp4_tELi128ELi8ELi16ELb1ELb1ELb0ELb1ELb0ELb0EEEvPT0_PvPT_S7_S7_PKS6_S9_S9_S9_S9_ffiiiiiiiiiiiii,"axG",@progbits,_ZN5aiter35fused_qk_rmsnorm_group_quant_kernelItN4opus5fp4_tELi128ELi8ELi16ELb1ELb1ELb0ELb1ELb0ELb0EEEvPT0_PvPT_S7_S7_PKS6_S9_S9_S9_S9_ffiiiiiiiiiiiii,comdat
	.protected	_ZN5aiter35fused_qk_rmsnorm_group_quant_kernelItN4opus5fp4_tELi128ELi8ELi16ELb1ELb1ELb0ELb1ELb0ELb0EEEvPT0_PvPT_S7_S7_PKS6_S9_S9_S9_S9_ffiiiiiiiiiiiii ; -- Begin function _ZN5aiter35fused_qk_rmsnorm_group_quant_kernelItN4opus5fp4_tELi128ELi8ELi16ELb1ELb1ELb0ELb1ELb0ELb0EEEvPT0_PvPT_S7_S7_PKS6_S9_S9_S9_S9_ffiiiiiiiiiiiii
	.globl	_ZN5aiter35fused_qk_rmsnorm_group_quant_kernelItN4opus5fp4_tELi128ELi8ELi16ELb1ELb1ELb0ELb1ELb0ELb0EEEvPT0_PvPT_S7_S7_PKS6_S9_S9_S9_S9_ffiiiiiiiiiiiii
	.p2align	8
	.type	_ZN5aiter35fused_qk_rmsnorm_group_quant_kernelItN4opus5fp4_tELi128ELi8ELi16ELb1ELb1ELb0ELb1ELb0ELb0EEEvPT0_PvPT_S7_S7_PKS6_S9_S9_S9_S9_ffiiiiiiiiiiiii,@function
_ZN5aiter35fused_qk_rmsnorm_group_quant_kernelItN4opus5fp4_tELi128ELi8ELi16ELb1ELb1ELb0ELb1ELb0ELb0EEEvPT0_PvPT_S7_S7_PKS6_S9_S9_S9_S9_ffiiiiiiiiiiiii: ; @_ZN5aiter35fused_qk_rmsnorm_group_quant_kernelItN4opus5fp4_tELi128ELi8ELi16ELb1ELb1ELb0ELb1ELb0ELb0EEEvPT0_PvPT_S7_S7_PKS6_S9_S9_S9_S9_ffiiiiiiiiiiiii
; %bb.0:
	s_load_dwordx8 s[12:19], s[4:5], 0x50
	s_waitcnt lgkmcnt(0)
	s_cmp_ge_i32 s6, s14
	s_cbranch_scc1 .LBB320_17
; %bb.1:
	s_cmp_lg_u32 s7, 0
	s_cselect_b64 s[22:23], -1, 0
	s_cmp_eq_u32 s7, 0
	s_cselect_b64 s[8:9], -1, 0
	s_and_b64 s[0:1], s[8:9], exec
	s_cselect_b32 s7, s15, s16
	s_load_dwordx2 s[10:11], s[4:5], 0x30
	s_load_dwordx2 s[20:21], s[4:5], 0x48
	s_add_i32 s0, s7, 1
	s_lshr_b32 s1, s0, 31
	s_add_i32 s0, s0, s1
	s_lshl_b32 s0, s0, 1
	v_lshlrev_b32_e32 v1, 3, v0
	s_and_b32 s30, s0, -4
	v_cmp_gt_i32_e64 s[0:1], s7, v1
	v_mov_b32_e32 v10, 0
	v_mov_b32_e32 v11, 0
	;; [unrolled: 1-line block ×8, first 2 shown]
	s_and_saveexec_b64 s[2:3], s[0:1]
	s_cbranch_execz .LBB320_3
; %bb.2:
	s_load_dwordx2 s[14:15], s[4:5], 0x28
	s_load_dwordx2 s[26:27], s[4:5], 0x40
	s_and_b64 s[24:25], s[8:9], exec
	s_cselect_b32 s17, s17, s18
	s_mov_b32 s31, 0x20000
	s_waitcnt lgkmcnt(0)
	s_cselect_b32 s25, s15, s11
	s_cselect_b32 s24, s14, s10
	s_mul_hi_i32 s15, s17, s6
	s_mul_i32 s14, s17, s6
	s_lshl_b64 s[14:15], s[14:15], 1
	s_add_u32 s24, s24, s14
	s_addc_u32 s17, s25, s15
	s_and_b64 s[14:15], s[8:9], exec
	s_cselect_b32 s28, s26, s20
	s_cselect_b32 s14, s27, s21
	v_lshlrev_b32_e32 v2, 4, v0
	s_and_b32 s25, s17, 0xffff
	s_mov_b32 s26, s30
	s_mov_b32 s27, s31
	s_and_b32 s29, s14, 0xffff
	buffer_load_dwordx4 v[14:17], v2, s[24:27], 0 offen glc slc
	buffer_load_dwordx4 v[10:13], v2, s[28:31], 0 offen
.LBB320_3:
	s_or_b64 exec, exec, s[2:3]
	s_load_dwordx4 s[24:27], s[4:5], 0x7c
	s_and_b64 vcc, exec, s[22:23]
	s_cbranch_vccz .LBB320_7
; %bb.4:
	s_mov_b32 s36, 0
	s_mov_b32 s37, s36
	;; [unrolled: 1-line block ×8, first 2 shown]
	v_pk_mov_b32 v[2:3], s[36:37], s[36:37] op_sel:[0,1]
	v_pk_mov_b32 v[4:5], s[38:39], s[38:39] op_sel:[0,1]
	;; [unrolled: 1-line block ×4, first 2 shown]
	s_and_saveexec_b64 s[2:3], s[0:1]
	s_cbranch_execz .LBB320_6
; %bb.5:
	s_waitcnt vmcnt(1)
	v_cvt_f32_u32_sdwa v3, v14 dst_sel:DWORD dst_unused:UNUSED_PAD src0_sel:WORD_1
	v_cvt_f32_u32_sdwa v2, v14 dst_sel:DWORD dst_unused:UNUSED_PAD src0_sel:WORD_0
	v_cvt_f32_u32_sdwa v5, v15 dst_sel:DWORD dst_unused:UNUSED_PAD src0_sel:WORD_1
	v_cvt_f32_u32_sdwa v4, v15 dst_sel:DWORD dst_unused:UNUSED_PAD src0_sel:WORD_0
	v_cvt_f32_u32_sdwa v7, v16 dst_sel:DWORD dst_unused:UNUSED_PAD src0_sel:WORD_1
	v_cvt_f32_u32_sdwa v6, v16 dst_sel:DWORD dst_unused:UNUSED_PAD src0_sel:WORD_0
	v_cvt_f32_u32_sdwa v9, v17 dst_sel:DWORD dst_unused:UNUSED_PAD src0_sel:WORD_1
	v_cvt_f32_u32_sdwa v8, v17 dst_sel:DWORD dst_unused:UNUSED_PAD src0_sel:WORD_0
.LBB320_6:
	s_or_b64 exec, exec, s[2:3]
	s_cbranch_execz .LBB320_8
	s_branch .LBB320_11
.LBB320_7:
                                        ; implicit-def: $vgpr2_vgpr3_vgpr4_vgpr5_vgpr6_vgpr7_vgpr8_vgpr9
.LBB320_8:
	s_mov_b32 s36, 0
	s_mov_b32 s37, s36
	;; [unrolled: 1-line block ×8, first 2 shown]
	v_pk_mov_b32 v[2:3], s[36:37], s[36:37] op_sel:[0,1]
	v_pk_mov_b32 v[4:5], s[38:39], s[38:39] op_sel:[0,1]
	;; [unrolled: 1-line block ×4, first 2 shown]
	s_and_saveexec_b64 s[2:3], s[0:1]
	s_cbranch_execz .LBB320_10
; %bb.9:
	s_load_dwordx2 s[14:15], s[4:5], 0x38
	s_mul_hi_i32 s29, s19, s6
	s_mul_i32 s28, s19, s6
	s_lshl_b64 s[28:29], s[28:29], 1
	s_mov_b32 s31, 0x20000
	s_waitcnt lgkmcnt(0)
	s_add_u32 s28, s14, s28
	s_addc_u32 s14, s15, s29
	s_and_b32 s29, s14, 0xffff
	v_lshlrev_b32_e32 v26, 4, v0
	buffer_load_dwordx4 v[2:5], v26, s[28:31], 0 offen glc slc
	s_load_dwordx2 s[14:15], s[4:5], 0x20
	s_waitcnt vmcnt(2)
	v_cvt_f32_u32_sdwa v7, v14 dst_sel:DWORD dst_unused:UNUSED_PAD src0_sel:WORD_1
	v_cvt_f32_u32_sdwa v6, v14 dst_sel:DWORD dst_unused:UNUSED_PAD src0_sel:WORD_0
	v_cvt_f32_u32_sdwa v9, v15 dst_sel:DWORD dst_unused:UNUSED_PAD src0_sel:WORD_1
	v_cvt_f32_u32_sdwa v8, v15 dst_sel:DWORD dst_unused:UNUSED_PAD src0_sel:WORD_0
	;; [unrolled: 2-line block ×4, first 2 shown]
	s_mul_hi_i32 s27, s26, s6
	s_mul_i32 s26, s26, s6
	s_lshl_b64 s[26:27], s[26:27], 1
	s_waitcnt lgkmcnt(0)
	s_add_u32 s28, s14, s26
	s_mov_b32 s17, 0x7060302
	s_addc_u32 s14, s15, s27
	s_and_b32 s29, s14, 0xffff
	s_waitcnt vmcnt(0)
	v_cvt_f32_u32_sdwa v17, v2 dst_sel:DWORD dst_unused:UNUSED_PAD src0_sel:WORD_1
	v_cvt_f32_u32_sdwa v16, v2 dst_sel:DWORD dst_unused:UNUSED_PAD src0_sel:WORD_0
	v_cvt_f32_u32_sdwa v21, v3 dst_sel:DWORD dst_unused:UNUSED_PAD src0_sel:WORD_1
	v_cvt_f32_u32_sdwa v20, v3 dst_sel:DWORD dst_unused:UNUSED_PAD src0_sel:WORD_0
	;; [unrolled: 2-line block ×4, first 2 shown]
	v_pk_add_f32 v[2:3], v[6:7], v[16:17]
	v_pk_add_f32 v[4:5], v[8:9], v[20:21]
	;; [unrolled: 1-line block ×4, first 2 shown]
	v_perm_b32 v17, v9, v8, s17
	v_perm_b32 v16, v7, v6, s17
	;; [unrolled: 1-line block ×4, first 2 shown]
	buffer_store_dwordx4 v[14:17], v26, s[28:31], 0 offen glc slc
	;;#ASMSTART
	s_nop 0
	;;#ASMEND
.LBB320_10:
	s_or_b64 exec, exec, s[2:3]
.LBB320_11:
	s_waitcnt vmcnt(1)
	v_mul_f32_e32 v14, v3, v3
	v_fmac_f32_e32 v14, v2, v2
	v_fmac_f32_e32 v14, v4, v4
	;; [unrolled: 1-line block ×7, first 2 shown]
	v_and_b32_e32 v16, 63, v0
	v_cmp_eq_u32_e64 s[2:3], 63, v16
	v_mov_b32_dpp v15, v14 quad_perm:[1,0,3,2] row_mask:0xf bank_mask:0xf
	v_add_f32_e32 v14, v14, v15
	s_nop 1
	v_mov_b32_dpp v15, v14 quad_perm:[2,3,0,1] row_mask:0xf bank_mask:0xf
	v_add_f32_e32 v14, v14, v15
	s_nop 1
	v_mov_b32_dpp v15, v14 row_half_mirror row_mask:0xf bank_mask:0xf
	v_add_f32_e32 v14, v14, v15
	s_nop 1
	v_mov_b32_dpp v15, v14 row_mirror row_mask:0xf bank_mask:0xf
	v_add_f32_e32 v14, v14, v15
	s_nop 1
	v_mov_b32_dpp v15, v14 row_bcast:15 row_mask:0xf bank_mask:0xf
	v_add_f32_e32 v14, v14, v15
	s_nop 1
	v_mov_b32_dpp v15, v14 row_bcast:31 row_mask:0xf bank_mask:0xf
	s_and_saveexec_b64 s[14:15], s[2:3]
	s_cbranch_execz .LBB320_13
; %bb.12:
	v_add_f32_e32 v14, v14, v15
	v_lshrrev_b32_e32 v15, 4, v0
	v_and_b32_e32 v15, 60, v15
	ds_write_b32 v15, v14 offset:8
.LBB320_13:
	s_or_b64 exec, exec, s[14:15]
	v_and_b32_e32 v14, 1, v0
	v_lshlrev_b32_e32 v14, 2, v14
	s_waitcnt lgkmcnt(0)
	s_barrier
	ds_read_b32 v15, v14 offset:8
	s_load_dwordx2 s[14:15], s[4:5], 0x18
	s_waitcnt lgkmcnt(0)
	v_mov_b32_dpp v16, v15 quad_perm:[1,0,3,2] row_mask:0xf bank_mask:0xf
	s_and_saveexec_b64 s[26:27], s[0:1]
	s_cbranch_execnz .LBB320_18
; %bb.14:
	s_or_b64 exec, exec, s[26:27]
	s_mov_b64 s[8:9], -1
	s_and_b64 vcc, exec, s[22:23]
	s_cbranch_vccnz .LBB320_19
.LBB320_15:
	s_andn2_b64 vcc, exec, s[8:9]
	s_cbranch_vccz .LBB320_22
.LBB320_16:
	s_cmp_lt_i32 s16, 1
	s_cbranch_scc0 .LBB320_25
.LBB320_17:
	s_endpgm
.LBB320_18:
	v_cvt_f32_u32_e32 v17, s7
	v_add_f32_e32 v15, v15, v16
	v_mov_b32_e32 v19, s13
	v_mov_b32_e32 v20, s12
	v_div_scale_f32 v16, s[28:29], v17, v17, v15
	v_rcp_f32_e32 v18, v16
	v_cndmask_b32_e64 v19, v19, v20, s[8:9]
	s_mov_b32 s7, 0x800000
	v_fma_f32 v20, -v16, v18, 1.0
	v_fmac_f32_e32 v18, v20, v18
	v_div_scale_f32 v20, vcc, v15, v17, v15
	v_mul_f32_e32 v21, v20, v18
	v_fma_f32 v22, -v16, v21, v20
	v_fmac_f32_e32 v21, v22, v18
	v_fma_f32 v16, -v16, v21, v20
	v_div_fmas_f32 v16, v16, v18, v21
	v_div_fixup_f32 v15, v16, v17, v15
	v_add_f32_e32 v15, v19, v15
	v_mul_f32_e32 v16, 0x4b800000, v15
	v_cmp_gt_f32_e32 vcc, s7, v15
	v_cndmask_b32_e32 v15, v15, v16, vcc
	v_rsq_f32_e32 v15, v15
	s_waitcnt vmcnt(0)
	v_cvt_f32_u32_sdwa v19, v11 dst_sel:DWORD dst_unused:UNUSED_PAD src0_sel:WORD_1
	v_cvt_f32_u32_sdwa v18, v11 dst_sel:DWORD dst_unused:UNUSED_PAD src0_sel:WORD_0
	v_cvt_f32_u32_sdwa v11, v12 dst_sel:DWORD dst_unused:UNUSED_PAD src0_sel:WORD_1
	v_mul_f32_e32 v16, 0x45800000, v15
	v_cndmask_b32_e32 v16, v15, v16, vcc
	v_mov_b32_e32 v17, v16
	;;#ASMSTART
	v_pk_mul_f32 v[2:3], v[2:3], v[16:17]
	;;#ASMEND
	;;#ASMSTART
	v_pk_mul_f32 v[4:5], v[4:5], v[16:17]
	;;#ASMEND
	;; [unrolled: 3-line block ×4, first 2 shown]
	v_cvt_f32_u32_sdwa v17, v10 dst_sel:DWORD dst_unused:UNUSED_PAD src0_sel:WORD_1
	v_cvt_f32_u32_sdwa v16, v10 dst_sel:DWORD dst_unused:UNUSED_PAD src0_sel:WORD_0
	v_cvt_f32_u32_sdwa v10, v12 dst_sel:DWORD dst_unused:UNUSED_PAD src0_sel:WORD_0
	v_cvt_f32_u32_sdwa v21, v13 dst_sel:DWORD dst_unused:UNUSED_PAD src0_sel:WORD_1
	v_cvt_f32_u32_sdwa v20, v13 dst_sel:DWORD dst_unused:UNUSED_PAD src0_sel:WORD_0
	;;#ASMSTART
	v_pk_mul_f32 v[2:3], v[2:3], v[16:17]
	;;#ASMEND
	;;#ASMSTART
	v_pk_mul_f32 v[4:5], v[4:5], v[18:19]
	;;#ASMEND
	;; [unrolled: 3-line block ×4, first 2 shown]
	s_or_b64 exec, exec, s[26:27]
	s_mov_b64 s[8:9], -1
	s_and_b64 vcc, exec, s[22:23]
	s_cbranch_vccz .LBB320_15
.LBB320_19:
	s_and_saveexec_b64 s[8:9], s[0:1]
	s_cbranch_execz .LBB320_21
; %bb.20:
	s_mul_hi_i32 s23, s25, s6
	s_mul_i32 s22, s25, s6
	s_lshl_b64 s[22:23], s[22:23], 1
	s_add_u32 s28, s14, s22
	s_addc_u32 s7, s15, s23
	s_and_b32 s29, s7, 0xffff
	s_mov_b32 s7, 0x7060302
	s_mov_b32 s31, 0x20000
	s_waitcnt vmcnt(0)
	v_perm_b32 v10, v3, v2, s7
	v_perm_b32 v11, v5, v4, s7
	;; [unrolled: 1-line block ×4, first 2 shown]
	v_lshlrev_b32_e32 v15, 4, v0
	buffer_store_dwordx4 v[10:13], v15, s[28:31], 0 offen
	;;#ASMSTART
	s_nop 0
	;;#ASMEND
.LBB320_21:
	s_or_b64 exec, exec, s[8:9]
	s_cbranch_execnz .LBB320_16
.LBB320_22:
	s_and_saveexec_b64 s[8:9], s[0:1]
	s_cbranch_execz .LBB320_24
; %bb.23:
	s_load_dwordx2 s[0:1], s[4:5], 0x10
	s_mul_hi_i32 s23, s24, s6
	s_mul_i32 s22, s24, s6
	s_lshl_b64 s[22:23], s[22:23], 1
	s_mov_b32 s31, 0x20000
	s_waitcnt lgkmcnt(0)
	s_add_u32 s28, s0, s22
	s_addc_u32 s0, s1, s23
	s_and_b32 s29, s0, 0xffff
	s_mov_b32 s0, 0x7060302
	v_perm_b32 v2, v3, v2, s0
	v_perm_b32 v3, v5, v4, s0
	;; [unrolled: 1-line block ×4, first 2 shown]
	v_lshlrev_b32_e32 v6, 4, v0
	buffer_store_dwordx4 v[2:5], v6, s[28:31], 0 offen
	;;#ASMSTART
	s_nop 0
	;;#ASMEND
.LBB320_24:
	s_or_b64 exec, exec, s[8:9]
	s_cmp_lt_i32 s16, 1
	s_cbranch_scc1 .LBB320_17
.LBB320_25:
	s_load_dword s0, s[4:5], 0x94
	s_waitcnt lgkmcnt(0)
	s_cmp_lg_u32 s0, 1
	s_cbranch_scc1 .LBB320_17
; %bb.26:
	s_lshl_b32 s0, s16, 1
	s_add_i32 s0, s0, 2
	v_cmp_gt_u32_e32 vcc, s16, v1
	s_and_b32 s22, s0, -4
	v_mov_b32_e32 v6, 0
	v_lshlrev_b32_e32 v1, 4, v0
	v_mov_b32_e32 v7, 0
	v_mov_b32_e32 v8, 0
	;; [unrolled: 1-line block ×7, first 2 shown]
	s_barrier
	s_and_saveexec_b64 s[0:1], vcc
	s_cbranch_execz .LBB320_28
; %bb.27:
	s_mul_hi_i32 s5, s18, s6
	s_mul_i32 s4, s18, s6
	s_and_b32 s21, s21, 0xffff
	s_lshl_b64 s[4:5], s[4:5], 1
	s_add_u32 s8, s10, s4
	s_mov_b32 s23, 0x20000
	s_addc_u32 s4, s11, s5
	s_and_b32 s9, s4, 0xffff
	s_mov_b32 s10, s22
	s_mov_b32 s11, s23
	buffer_load_dwordx4 v[6:9], v1, s[8:11], 0 offen glc slc
	buffer_load_dwordx4 v[2:5], v1, s[20:23], 0 offen
.LBB320_28:
	s_or_b64 exec, exec, s[0:1]
	s_waitcnt vmcnt(0)
	v_cvt_f32_u32_sdwa v13, v6 dst_sel:DWORD dst_unused:UNUSED_PAD src0_sel:WORD_1
	v_cvt_f32_u32_sdwa v12, v6 dst_sel:DWORD dst_unused:UNUSED_PAD src0_sel:WORD_0
	v_cvt_f32_u32_sdwa v6, v9 dst_sel:DWORD dst_unused:UNUSED_PAD src0_sel:WORD_1
	v_cvt_f32_u32_sdwa v9, v9 dst_sel:DWORD dst_unused:UNUSED_PAD src0_sel:WORD_0
	;; [unrolled: 2-line block ×4, first 2 shown]
	v_cndmask_b32_e32 v13, 0, v13, vcc
	v_cndmask_b32_e32 v7, 0, v6, vcc
	;; [unrolled: 1-line block ×5, first 2 shown]
	v_mul_f32_e32 v15, v13, v13
	v_cndmask_b32_e32 v10, 0, v10, vcc
	v_fmac_f32_e32 v15, v12, v12
	v_cndmask_b32_e32 v11, 0, v11, vcc
	v_fmac_f32_e32 v15, v10, v10
	;; [unrolled: 2-line block ×3, first 2 shown]
	v_fmac_f32_e32 v15, v8, v8
	v_fmac_f32_e32 v15, v9, v9
	;; [unrolled: 1-line block ×4, first 2 shown]
	s_nop 1
	v_mov_b32_dpp v16, v15 quad_perm:[1,0,3,2] row_mask:0xf bank_mask:0xf
	v_add_f32_e32 v15, v15, v16
	s_nop 1
	v_mov_b32_dpp v16, v15 quad_perm:[2,3,0,1] row_mask:0xf bank_mask:0xf
	v_add_f32_e32 v15, v15, v16
	s_nop 1
	v_mov_b32_dpp v16, v15 row_half_mirror row_mask:0xf bank_mask:0xf
	v_add_f32_e32 v15, v15, v16
	s_nop 1
	v_mov_b32_dpp v16, v15 row_mirror row_mask:0xf bank_mask:0xf
	v_add_f32_e32 v15, v15, v16
	s_nop 1
	v_mov_b32_dpp v16, v15 row_bcast:15 row_mask:0xf bank_mask:0xf
	v_add_f32_e32 v15, v15, v16
	s_nop 1
	v_mov_b32_dpp v16, v15 row_bcast:31 row_mask:0xf bank_mask:0xf
	s_and_saveexec_b64 s[0:1], s[2:3]
	s_cbranch_execz .LBB320_30
; %bb.29:
	v_lshrrev_b32_e32 v0, 4, v0
	v_add_f32_e32 v15, v15, v16
	v_and_b32_e32 v0, 60, v0
	ds_write_b32 v0, v15
.LBB320_30:
	s_or_b64 exec, exec, s[0:1]
	s_waitcnt lgkmcnt(0)
	s_barrier
	ds_read_b32 v0, v14
	s_waitcnt lgkmcnt(0)
	s_nop 0
	v_mov_b32_dpp v14, v0 quad_perm:[1,0,3,2] row_mask:0xf bank_mask:0xf
	s_and_saveexec_b64 s[0:1], vcc
	s_cbranch_execz .LBB320_17
; %bb.31:
	v_cvt_f32_u32_e32 v15, s16
	v_add_f32_e32 v0, v0, v14
	s_mov_b32 s23, 0x20000
	v_div_scale_f32 v14, s[0:1], v15, v15, v0
	v_rcp_f32_e32 v16, v14
	v_div_scale_f32 v17, vcc, v0, v15, v0
	s_mov_b32 s0, 0x800000
	v_fma_f32 v18, -v14, v16, 1.0
	v_fmac_f32_e32 v16, v18, v16
	v_mul_f32_e32 v18, v17, v16
	v_fma_f32 v19, -v14, v18, v17
	v_fmac_f32_e32 v18, v19, v16
	v_fma_f32 v14, -v14, v18, v17
	v_div_fmas_f32 v14, v14, v16, v18
	v_div_fixup_f32 v0, v14, v15, v0
	v_add_f32_e32 v0, s13, v0
	v_mul_f32_e32 v14, 0x4b800000, v0
	v_cmp_gt_f32_e32 vcc, s0, v0
	v_cndmask_b32_e32 v0, v0, v14, vcc
	v_rsq_f32_e32 v0, v0
	s_mul_hi_i32 s1, s25, s6
	s_mul_i32 s0, s25, s6
	s_lshl_b64 s[0:1], s[0:1], 1
	v_mul_f32_e32 v14, 0x45800000, v0
	v_cndmask_b32_e32 v14, v0, v14, vcc
	s_add_u32 s20, s14, s0
	v_mov_b32_e32 v15, v14
	s_addc_u32 s0, s15, s1
	;;#ASMSTART
	v_pk_mul_f32 v[12:13], v[12:13], v[14:15]
	;;#ASMEND
	;;#ASMSTART
	v_pk_mul_f32 v[10:11], v[10:11], v[14:15]
	;;#ASMEND
	;; [unrolled: 3-line block ×4, first 2 shown]
	v_cvt_f32_u32_sdwa v15, v2 dst_sel:DWORD dst_unused:UNUSED_PAD src0_sel:WORD_1
	v_cvt_f32_u32_sdwa v14, v2 dst_sel:DWORD dst_unused:UNUSED_PAD src0_sel:WORD_0
	v_cvt_f32_u32_sdwa v17, v3 dst_sel:DWORD dst_unused:UNUSED_PAD src0_sel:WORD_1
	v_cvt_f32_u32_sdwa v16, v3 dst_sel:DWORD dst_unused:UNUSED_PAD src0_sel:WORD_0
	;; [unrolled: 2-line block ×4, first 2 shown]
	;;#ASMSTART
	v_pk_mul_f32 v[4:5], v[12:13], v[14:15]
	;;#ASMEND
	s_and_b32 s21, s0, 0xffff
	s_mov_b32 s0, 0x7060302
	;;#ASMSTART
	v_pk_mul_f32 v[10:11], v[10:11], v[16:17]
	;;#ASMEND
	;;#ASMSTART
	v_pk_mul_f32 v[8:9], v[8:9], v[2:3]
	;;#ASMEND
	;; [unrolled: 3-line block ×3, first 2 shown]
	v_perm_b32 v2, v5, v4, s0
	v_perm_b32 v3, v11, v10, s0
	;; [unrolled: 1-line block ×4, first 2 shown]
	buffer_store_dwordx4 v[2:5], v1, s[20:23], 0 offen
	;;#ASMSTART
	s_nop 0
	;;#ASMEND
	s_endpgm
	.section	.rodata,"a",@progbits
	.p2align	6, 0x0
	.amdhsa_kernel _ZN5aiter35fused_qk_rmsnorm_group_quant_kernelItN4opus5fp4_tELi128ELi8ELi16ELb1ELb1ELb0ELb1ELb0ELb0EEEvPT0_PvPT_S7_S7_PKS6_S9_S9_S9_S9_ffiiiiiiiiiiiii
		.amdhsa_group_segment_fixed_size 16
		.amdhsa_private_segment_fixed_size 0
		.amdhsa_kernarg_size 400
		.amdhsa_user_sgpr_count 6
		.amdhsa_user_sgpr_private_segment_buffer 1
		.amdhsa_user_sgpr_dispatch_ptr 0
		.amdhsa_user_sgpr_queue_ptr 0
		.amdhsa_user_sgpr_kernarg_segment_ptr 1
		.amdhsa_user_sgpr_dispatch_id 0
		.amdhsa_user_sgpr_flat_scratch_init 0
		.amdhsa_user_sgpr_kernarg_preload_length 0
		.amdhsa_user_sgpr_kernarg_preload_offset 0
		.amdhsa_user_sgpr_private_segment_size 0
		.amdhsa_uses_dynamic_stack 0
		.amdhsa_system_sgpr_private_segment_wavefront_offset 0
		.amdhsa_system_sgpr_workgroup_id_x 1
		.amdhsa_system_sgpr_workgroup_id_y 1
		.amdhsa_system_sgpr_workgroup_id_z 0
		.amdhsa_system_sgpr_workgroup_info 0
		.amdhsa_system_vgpr_workitem_id 0
		.amdhsa_next_free_vgpr 27
		.amdhsa_next_free_sgpr 44
		.amdhsa_accum_offset 28
		.amdhsa_reserve_vcc 1
		.amdhsa_reserve_flat_scratch 0
		.amdhsa_float_round_mode_32 0
		.amdhsa_float_round_mode_16_64 0
		.amdhsa_float_denorm_mode_32 3
		.amdhsa_float_denorm_mode_16_64 3
		.amdhsa_dx10_clamp 1
		.amdhsa_ieee_mode 1
		.amdhsa_fp16_overflow 0
		.amdhsa_tg_split 0
		.amdhsa_exception_fp_ieee_invalid_op 0
		.amdhsa_exception_fp_denorm_src 0
		.amdhsa_exception_fp_ieee_div_zero 0
		.amdhsa_exception_fp_ieee_overflow 0
		.amdhsa_exception_fp_ieee_underflow 0
		.amdhsa_exception_fp_ieee_inexact 0
		.amdhsa_exception_int_div_zero 0
	.end_amdhsa_kernel
	.section	.text._ZN5aiter35fused_qk_rmsnorm_group_quant_kernelItN4opus5fp4_tELi128ELi8ELi16ELb1ELb1ELb0ELb1ELb0ELb0EEEvPT0_PvPT_S7_S7_PKS6_S9_S9_S9_S9_ffiiiiiiiiiiiii,"axG",@progbits,_ZN5aiter35fused_qk_rmsnorm_group_quant_kernelItN4opus5fp4_tELi128ELi8ELi16ELb1ELb1ELb0ELb1ELb0ELb0EEEvPT0_PvPT_S7_S7_PKS6_S9_S9_S9_S9_ffiiiiiiiiiiiii,comdat
.Lfunc_end320:
	.size	_ZN5aiter35fused_qk_rmsnorm_group_quant_kernelItN4opus5fp4_tELi128ELi8ELi16ELb1ELb1ELb0ELb1ELb0ELb0EEEvPT0_PvPT_S7_S7_PKS6_S9_S9_S9_S9_ffiiiiiiiiiiiii, .Lfunc_end320-_ZN5aiter35fused_qk_rmsnorm_group_quant_kernelItN4opus5fp4_tELi128ELi8ELi16ELb1ELb1ELb0ELb1ELb0ELb0EEEvPT0_PvPT_S7_S7_PKS6_S9_S9_S9_S9_ffiiiiiiiiiiiii
                                        ; -- End function
	.section	.AMDGPU.csdata,"",@progbits
; Kernel info:
; codeLenInByte = 2420
; NumSgprs: 48
; NumVgprs: 27
; NumAgprs: 0
; TotalNumVgprs: 27
; ScratchSize: 0
; MemoryBound: 0
; FloatMode: 240
; IeeeMode: 1
; LDSByteSize: 16 bytes/workgroup (compile time only)
; SGPRBlocks: 5
; VGPRBlocks: 3
; NumSGPRsForWavesPerEU: 48
; NumVGPRsForWavesPerEU: 27
; AccumOffset: 28
; Occupancy: 8
; WaveLimiterHint : 0
; COMPUTE_PGM_RSRC2:SCRATCH_EN: 0
; COMPUTE_PGM_RSRC2:USER_SGPR: 6
; COMPUTE_PGM_RSRC2:TRAP_HANDLER: 0
; COMPUTE_PGM_RSRC2:TGID_X_EN: 1
; COMPUTE_PGM_RSRC2:TGID_Y_EN: 1
; COMPUTE_PGM_RSRC2:TGID_Z_EN: 0
; COMPUTE_PGM_RSRC2:TIDIG_COMP_CNT: 0
; COMPUTE_PGM_RSRC3_GFX90A:ACCUM_OFFSET: 6
; COMPUTE_PGM_RSRC3_GFX90A:TG_SPLIT: 0
	.section	.text._ZN5aiter35fused_qk_rmsnorm_group_quant_kernelIDF16_DB8_Li128ELi8ELi16ELb0ELb1ELb1ELb1ELb0ELb0EEEvPT0_PvPT_S6_S6_PKS5_S8_S8_S8_S8_ffiiiiiiiiiiiii,"axG",@progbits,_ZN5aiter35fused_qk_rmsnorm_group_quant_kernelIDF16_DB8_Li128ELi8ELi16ELb0ELb1ELb1ELb1ELb0ELb0EEEvPT0_PvPT_S6_S6_PKS5_S8_S8_S8_S8_ffiiiiiiiiiiiii,comdat
	.protected	_ZN5aiter35fused_qk_rmsnorm_group_quant_kernelIDF16_DB8_Li128ELi8ELi16ELb0ELb1ELb1ELb1ELb0ELb0EEEvPT0_PvPT_S6_S6_PKS5_S8_S8_S8_S8_ffiiiiiiiiiiiii ; -- Begin function _ZN5aiter35fused_qk_rmsnorm_group_quant_kernelIDF16_DB8_Li128ELi8ELi16ELb0ELb1ELb1ELb1ELb0ELb0EEEvPT0_PvPT_S6_S6_PKS5_S8_S8_S8_S8_ffiiiiiiiiiiiii
	.globl	_ZN5aiter35fused_qk_rmsnorm_group_quant_kernelIDF16_DB8_Li128ELi8ELi16ELb0ELb1ELb1ELb1ELb0ELb0EEEvPT0_PvPT_S6_S6_PKS5_S8_S8_S8_S8_ffiiiiiiiiiiiii
	.p2align	8
	.type	_ZN5aiter35fused_qk_rmsnorm_group_quant_kernelIDF16_DB8_Li128ELi8ELi16ELb0ELb1ELb1ELb1ELb0ELb0EEEvPT0_PvPT_S6_S6_PKS5_S8_S8_S8_S8_ffiiiiiiiiiiiii,@function
_ZN5aiter35fused_qk_rmsnorm_group_quant_kernelIDF16_DB8_Li128ELi8ELi16ELb0ELb1ELb1ELb1ELb0ELb0EEEvPT0_PvPT_S6_S6_PKS5_S8_S8_S8_S8_ffiiiiiiiiiiiii: ; @_ZN5aiter35fused_qk_rmsnorm_group_quant_kernelIDF16_DB8_Li128ELi8ELi16ELb0ELb1ELb1ELb1ELb0ELb0EEEvPT0_PvPT_S6_S6_PKS5_S8_S8_S8_S8_ffiiiiiiiiiiiii
; %bb.0:
	s_load_dwordx4 s[12:15], s[4:5], 0x50
	s_waitcnt lgkmcnt(0)
	s_cmp_ge_i32 s6, s14
	s_cbranch_scc1 .LBB321_12
; %bb.1:
	s_load_dwordx2 s[24:25], s[4:5], 0x30
	s_load_dwordx2 s[8:9], s[4:5], 0x48
	s_load_dwordx4 s[16:19], s[4:5], 0x60
	s_cmp_lg_u32 s7, 0
	s_cselect_b64 s[10:11], -1, 0
	s_cmp_eq_u32 s7, 0
	s_cselect_b64 vcc, -1, 0
	s_and_b64 s[0:1], vcc, exec
	s_waitcnt lgkmcnt(0)
	s_cselect_b32 s7, s15, s16
	s_add_i32 s0, s7, 1
	s_lshr_b32 s1, s0, 31
	s_add_i32 s0, s0, s1
	s_lshl_b32 s0, s0, 1
	v_lshlrev_b32_e32 v1, 3, v0
	s_and_b32 s22, s0, -4
	v_cmp_gt_i32_e64 s[2:3], s7, v1
	v_mov_b32_e32 v10, 0
	v_mov_b32_e32 v2, 0
	;; [unrolled: 1-line block ×9, first 2 shown]
	s_and_saveexec_b64 s[0:1], s[2:3]
	s_cbranch_execz .LBB321_3
; %bb.2:
	s_load_dwordx2 s[14:15], s[4:5], 0x28
	s_load_dwordx2 s[20:21], s[4:5], 0x40
	s_and_b64 s[26:27], vcc, exec
	s_cselect_b32 s17, s17, s18
	v_lshlrev_b32_e32 v11, 4, v0
	s_waitcnt lgkmcnt(0)
	s_cselect_b32 s19, s15, s25
	s_cselect_b32 s23, s14, s24
	s_mul_hi_i32 s15, s17, s6
	s_mul_i32 s14, s17, s6
	s_lshl_b64 s[14:15], s[14:15], 1
	s_add_u32 s28, s23, s14
	s_addc_u32 s17, s19, s15
	s_and_b64 s[14:15], vcc, exec
	s_mov_b32 s23, 0x20000
	s_cselect_b32 s20, s20, s8
	s_cselect_b32 s14, s21, s9
	s_and_b32 s29, s17, 0xffff
	s_mov_b32 s30, s22
	s_mov_b32 s31, s23
	s_and_b32 s21, s14, 0xffff
	buffer_load_dwordx4 v[6:9], v11, s[28:31], 0 offen glc slc
	buffer_load_dwordx4 v[2:5], v11, s[20:23], 0 offen
.LBB321_3:
	s_or_b64 exec, exec, s[0:1]
	v_mov_b32_e32 v11, 0
	v_mov_b32_e32 v14, 0
	;; [unrolled: 1-line block ×7, first 2 shown]
	s_and_saveexec_b64 s[0:1], s[2:3]
	s_cbranch_execz .LBB321_5
; %bb.4:
	s_waitcnt vmcnt(1)
	v_cvt_f32_f16_sdwa v11, v6 dst_sel:DWORD dst_unused:UNUSED_PAD src0_sel:WORD_1
	v_cvt_f32_f16_e32 v10, v6
	v_cvt_f32_f16_sdwa v15, v7 dst_sel:DWORD dst_unused:UNUSED_PAD src0_sel:WORD_1
	v_cvt_f32_f16_e32 v14, v7
	;; [unrolled: 2-line block ×4, first 2 shown]
.LBB321_5:
	s_or_b64 exec, exec, s[0:1]
	s_waitcnt vmcnt(1)
	v_mul_f32_e32 v6, v11, v11
	v_fmac_f32_e32 v6, v10, v10
	v_fmac_f32_e32 v6, v14, v14
	;; [unrolled: 1-line block ×7, first 2 shown]
	v_and_b32_e32 v8, 63, v0
	v_cmp_eq_u32_e64 s[0:1], 63, v8
	v_mov_b32_dpp v7, v6 quad_perm:[1,0,3,2] row_mask:0xf bank_mask:0xf
	v_add_f32_e32 v6, v6, v7
	s_nop 1
	v_mov_b32_dpp v7, v6 quad_perm:[2,3,0,1] row_mask:0xf bank_mask:0xf
	v_add_f32_e32 v6, v6, v7
	s_nop 1
	v_mov_b32_dpp v7, v6 row_half_mirror row_mask:0xf bank_mask:0xf
	v_add_f32_e32 v6, v6, v7
	s_nop 1
	v_mov_b32_dpp v7, v6 row_mirror row_mask:0xf bank_mask:0xf
	v_add_f32_e32 v6, v6, v7
	s_nop 1
	v_mov_b32_dpp v7, v6 row_bcast:15 row_mask:0xf bank_mask:0xf
	v_add_f32_e32 v6, v6, v7
	s_nop 1
	v_mov_b32_dpp v7, v6 row_bcast:31 row_mask:0xf bank_mask:0xf
	s_and_saveexec_b64 s[14:15], s[0:1]
	s_cbranch_execz .LBB321_7
; %bb.6:
	v_add_f32_e32 v6, v6, v7
	v_lshrrev_b32_e32 v7, 4, v0
	v_and_b32_e32 v7, 60, v7
	ds_write_b32 v7, v6 offset:8
.LBB321_7:
	s_or_b64 exec, exec, s[14:15]
	v_and_b32_e32 v6, 1, v0
	v_lshlrev_b32_e32 v18, 2, v6
	s_waitcnt lgkmcnt(0)
	s_barrier
	ds_read_b32 v6, v18 offset:8
	s_load_dwordx2 s[14:15], s[4:5], 0x18
	s_waitcnt lgkmcnt(0)
	v_mov_b32_dpp v7, v6 quad_perm:[1,0,3,2] row_mask:0xf bank_mask:0xf
	s_and_saveexec_b64 s[20:21], s[2:3]
	s_cbranch_execz .LBB321_9
; %bb.8:
	v_cvt_f32_u32_e32 v8, s7
	v_add_f32_e32 v6, v6, v7
	v_mov_b32_e32 v19, s13
	v_mov_b32_e32 v20, s12
	v_div_scale_f32 v7, s[26:27], v8, v8, v6
	v_rcp_f32_e32 v9, v7
	v_cndmask_b32_e32 v19, v19, v20, vcc
	s_mov_b32 s7, 0x800000
	v_fma_f32 v20, -v7, v9, 1.0
	v_fmac_f32_e32 v9, v20, v9
	v_div_scale_f32 v20, vcc, v6, v8, v6
	v_mul_f32_e32 v21, v20, v9
	v_fma_f32 v22, -v7, v21, v20
	v_fmac_f32_e32 v21, v22, v9
	v_fma_f32 v7, -v7, v21, v20
	v_div_fmas_f32 v7, v7, v9, v21
	v_div_fixup_f32 v6, v7, v8, v6
	v_add_f32_e32 v6, v19, v6
	v_mul_f32_e32 v7, 0x4b800000, v6
	v_cmp_gt_f32_e32 vcc, s7, v6
	v_cndmask_b32_e32 v6, v6, v7, vcc
	v_rsq_f32_e32 v6, v6
	s_waitcnt vmcnt(0)
	v_cvt_f32_f16_sdwa v21, v3 dst_sel:DWORD dst_unused:UNUSED_PAD src0_sel:WORD_1
	v_cvt_f32_f16_e32 v20, v3
	v_mul_f32_e32 v7, 0x45800000, v6
	v_cndmask_b32_e32 v6, v6, v7, vcc
	v_mov_b32_e32 v7, v6
	;;#ASMSTART
	v_pk_mul_f32 v[8:9], v[10:11], v[6:7]
	;;#ASMEND
	v_cvt_f32_f16_sdwa v11, v2 dst_sel:DWORD dst_unused:UNUSED_PAD src0_sel:WORD_1
	v_cvt_f32_f16_e32 v10, v2
	;;#ASMSTART
	v_pk_mul_f32 v[14:15], v[14:15], v[6:7]
	;;#ASMEND
	;;#ASMSTART
	v_pk_mul_f32 v[16:17], v[16:17], v[6:7]
	;;#ASMEND
	;; [unrolled: 3-line block ×3, first 2 shown]
	v_pk_add_f32 v[6:7], v[10:11], 1.0 op_sel_hi:[1,0]
	;;#ASMSTART
	v_pk_mul_f32 v[10:11], v[8:9], v[6:7]
	;;#ASMEND
	v_cvt_f32_f16_sdwa v9, v4 dst_sel:DWORD dst_unused:UNUSED_PAD src0_sel:WORD_1
	v_cvt_f32_f16_e32 v8, v4
	v_cvt_f32_f16_sdwa v13, v5 dst_sel:DWORD dst_unused:UNUSED_PAD src0_sel:WORD_1
	v_cvt_f32_f16_e32 v12, v5
	v_pk_add_f32 v[6:7], v[20:21], 1.0 op_sel_hi:[1,0]
	v_pk_add_f32 v[4:5], v[8:9], 1.0 op_sel_hi:[1,0]
	;;#ASMSTART
	v_pk_mul_f32 v[14:15], v[14:15], v[6:7]
	;;#ASMEND
	;;#ASMSTART
	v_pk_mul_f32 v[16:17], v[16:17], v[4:5]
	;;#ASMEND
	v_pk_add_f32 v[4:5], v[12:13], 1.0 op_sel_hi:[1,0]
	;;#ASMSTART
	v_pk_mul_f32 v[12:13], v[2:3], v[4:5]
	;;#ASMEND
.LBB321_9:
	s_or_b64 exec, exec, s[20:21]
	s_load_dwordx2 s[26:27], s[4:5], 0x7c
	s_mov_b64 s[20:21], -1
	s_and_b64 vcc, exec, s[10:11]
	s_cbranch_vccnz .LBB321_13
; %bb.10:
	s_andn2_b64 vcc, exec, s[20:21]
	s_cbranch_vccz .LBB321_16
.LBB321_11:
	s_cmp_lt_i32 s16, 1
	s_cbranch_scc0 .LBB321_19
.LBB321_12:
	s_endpgm
.LBB321_13:
	s_and_saveexec_b64 s[10:11], s[2:3]
	s_cbranch_execz .LBB321_15
; %bb.14:
	s_waitcnt lgkmcnt(0)
	s_mul_hi_i32 s21, s27, s6
	s_mul_i32 s20, s27, s6
	s_waitcnt vmcnt(0)
	v_cvt_f16_f32_e32 v2, v10
	v_cvt_f16_f32_e32 v3, v14
	;; [unrolled: 1-line block ×8, first 2 shown]
	s_lshl_b64 s[20:21], s[20:21], 1
	s_add_u32 s20, s14, s20
	s_addc_u32 s7, s15, s21
	s_and_b32 s21, s7, 0xffff
	s_mov_b32 s23, 0x20000
	v_pack_b32_f16 v5, v5, v6
	v_pack_b32_f16 v4, v4, v7
	;; [unrolled: 1-line block ×4, first 2 shown]
	v_lshlrev_b32_e32 v6, 4, v0
	buffer_store_dwordx4 v[2:5], v6, s[20:23], 0 offen
	;;#ASMSTART
	s_nop 0
	;;#ASMEND
.LBB321_15:
	s_or_b64 exec, exec, s[10:11]
	s_cbranch_execnz .LBB321_11
.LBB321_16:
	s_and_saveexec_b64 s[10:11], s[2:3]
	s_cbranch_execz .LBB321_18
; %bb.17:
	s_load_dwordx2 s[2:3], s[4:5], 0x10
	s_waitcnt lgkmcnt(0)
	s_mul_hi_i32 s21, s26, s6
	s_mul_i32 s20, s26, s6
	s_waitcnt vmcnt(0)
	v_cvt_f16_f32_e32 v2, v10
	v_cvt_f16_f32_e32 v3, v14
	;; [unrolled: 1-line block ×8, first 2 shown]
	s_lshl_b64 s[20:21], s[20:21], 1
	s_add_u32 s20, s2, s20
	s_addc_u32 s2, s3, s21
	s_mov_b32 s23, 0x20000
	s_and_b32 s21, s2, 0xffff
	v_pack_b32_f16 v5, v5, v6
	v_pack_b32_f16 v4, v4, v7
	;; [unrolled: 1-line block ×4, first 2 shown]
	v_lshlrev_b32_e32 v6, 4, v0
	buffer_store_dwordx4 v[2:5], v6, s[20:23], 0 offen
	;;#ASMSTART
	s_nop 0
	;;#ASMEND
.LBB321_18:
	s_or_b64 exec, exec, s[10:11]
	s_cmp_lt_i32 s16, 1
	s_cbranch_scc1 .LBB321_12
.LBB321_19:
	s_load_dword s2, s[4:5], 0x94
	s_waitcnt lgkmcnt(0)
	s_cmp_lg_u32 s2, 1
	s_cbranch_scc1 .LBB321_12
; %bb.20:
	s_lshl_b32 s2, s16, 1
	s_add_i32 s2, s2, 2
	v_cmp_gt_u32_e32 vcc, s16, v1
	s_and_b32 s10, s2, -4
	v_mov_b32_e32 v10, 0
	v_lshlrev_b32_e32 v1, 4, v0
	v_mov_b32_e32 v6, 0
	v_mov_b32_e32 v7, 0
	;; [unrolled: 1-line block ×4, first 2 shown]
	s_waitcnt vmcnt(0)
	v_mov_b32_e32 v2, 0
	v_mov_b32_e32 v3, 0
	;; [unrolled: 1-line block ×4, first 2 shown]
	s_barrier
	s_and_saveexec_b64 s[2:3], vcc
	s_cbranch_execz .LBB321_22
; %bb.21:
	s_mul_hi_i32 s5, s18, s6
	s_mul_i32 s4, s18, s6
	s_and_b32 s9, s9, 0xffff
	s_lshl_b64 s[4:5], s[4:5], 1
	s_add_u32 s20, s24, s4
	s_mov_b32 s11, 0x20000
	s_addc_u32 s4, s25, s5
	s_and_b32 s21, s4, 0xffff
	s_mov_b32 s22, s10
	s_mov_b32 s23, s11
	buffer_load_dwordx4 v[6:9], v1, s[20:23], 0 offen glc slc
	buffer_load_dwordx4 v[2:5], v1, s[8:11], 0 offen
.LBB321_22:
	s_or_b64 exec, exec, s[2:3]
	v_mov_b32_e32 v11, 0
	v_mov_b32_e32 v16, 0
	;; [unrolled: 1-line block ×7, first 2 shown]
	s_and_saveexec_b64 s[2:3], vcc
	s_cbranch_execz .LBB321_24
; %bb.23:
	s_waitcnt vmcnt(1)
	v_cvt_f32_f16_sdwa v11, v6 dst_sel:DWORD dst_unused:UNUSED_PAD src0_sel:WORD_1
	v_cvt_f32_f16_e32 v10, v6
	v_cvt_f32_f16_sdwa v17, v7 dst_sel:DWORD dst_unused:UNUSED_PAD src0_sel:WORD_1
	v_cvt_f32_f16_e32 v16, v7
	;; [unrolled: 2-line block ×4, first 2 shown]
.LBB321_24:
	s_or_b64 exec, exec, s[2:3]
	s_waitcnt vmcnt(1)
	v_mul_f32_e32 v6, v11, v11
	v_fmac_f32_e32 v6, v10, v10
	v_fmac_f32_e32 v6, v16, v16
	;; [unrolled: 1-line block ×7, first 2 shown]
	s_nop 1
	v_mov_b32_dpp v7, v6 quad_perm:[1,0,3,2] row_mask:0xf bank_mask:0xf
	v_add_f32_e32 v6, v6, v7
	s_nop 1
	v_mov_b32_dpp v7, v6 quad_perm:[2,3,0,1] row_mask:0xf bank_mask:0xf
	v_add_f32_e32 v6, v6, v7
	s_nop 1
	v_mov_b32_dpp v7, v6 row_half_mirror row_mask:0xf bank_mask:0xf
	v_add_f32_e32 v6, v6, v7
	s_nop 1
	v_mov_b32_dpp v7, v6 row_mirror row_mask:0xf bank_mask:0xf
	v_add_f32_e32 v6, v6, v7
	s_nop 1
	v_mov_b32_dpp v7, v6 row_bcast:15 row_mask:0xf bank_mask:0xf
	v_add_f32_e32 v6, v6, v7
	s_nop 1
	v_mov_b32_dpp v7, v6 row_bcast:31 row_mask:0xf bank_mask:0xf
	s_and_saveexec_b64 s[2:3], s[0:1]
	s_cbranch_execz .LBB321_26
; %bb.25:
	v_lshrrev_b32_e32 v0, 4, v0
	v_add_f32_e32 v6, v6, v7
	v_and_b32_e32 v0, 60, v0
	ds_write_b32 v0, v6
.LBB321_26:
	s_or_b64 exec, exec, s[2:3]
	s_waitcnt lgkmcnt(0)
	s_barrier
	ds_read_b32 v0, v18
	s_waitcnt lgkmcnt(0)
	s_nop 0
	v_mov_b32_dpp v6, v0 quad_perm:[1,0,3,2] row_mask:0xf bank_mask:0xf
	s_and_saveexec_b64 s[0:1], vcc
	s_cbranch_execz .LBB321_12
; %bb.27:
	v_cvt_f32_u32_e32 v7, s16
	v_add_f32_e32 v0, v0, v6
	s_mov_b32 s11, 0x20000
	v_div_scale_f32 v6, s[0:1], v7, v7, v0
	v_rcp_f32_e32 v8, v6
	v_div_scale_f32 v9, vcc, v0, v7, v0
	s_mov_b32 s0, 0x800000
	v_fma_f32 v18, -v6, v8, 1.0
	v_fmac_f32_e32 v8, v18, v8
	v_mul_f32_e32 v18, v9, v8
	v_fma_f32 v19, -v6, v18, v9
	v_fmac_f32_e32 v18, v19, v8
	v_fma_f32 v6, -v6, v18, v9
	v_div_fmas_f32 v6, v6, v8, v18
	v_div_fixup_f32 v0, v6, v7, v0
	v_add_f32_e32 v0, s13, v0
	v_mul_f32_e32 v6, 0x4b800000, v0
	v_cmp_gt_f32_e32 vcc, s0, v0
	v_cndmask_b32_e32 v0, v0, v6, vcc
	v_rsq_f32_e32 v0, v0
	s_waitcnt vmcnt(0)
	v_cvt_f32_f16_sdwa v19, v3 dst_sel:DWORD dst_unused:UNUSED_PAD src0_sel:WORD_1
	v_cvt_f32_f16_e32 v18, v3
	s_mul_hi_i32 s1, s27, s6
	v_mul_f32_e32 v6, 0x45800000, v0
	v_cndmask_b32_e32 v6, v0, v6, vcc
	v_mov_b32_e32 v7, v6
	;;#ASMSTART
	v_pk_mul_f32 v[8:9], v[10:11], v[6:7]
	;;#ASMEND
	;;#ASMSTART
	v_pk_mul_f32 v[10:11], v[16:17], v[6:7]
	;;#ASMEND
	v_cvt_f32_f16_sdwa v17, v2 dst_sel:DWORD dst_unused:UNUSED_PAD src0_sel:WORD_1
	v_cvt_f32_f16_e32 v16, v2
	;;#ASMSTART
	v_pk_mul_f32 v[14:15], v[14:15], v[6:7]
	;;#ASMEND
	;;#ASMSTART
	v_pk_mul_f32 v[2:3], v[12:13], v[6:7]
	;;#ASMEND
	v_cvt_f32_f16_sdwa v13, v4 dst_sel:DWORD dst_unused:UNUSED_PAD src0_sel:WORD_1
	v_cvt_f32_f16_e32 v12, v4
	v_pk_add_f32 v[6:7], v[16:17], 1.0 op_sel_hi:[1,0]
	v_cvt_f32_f16_sdwa v17, v5 dst_sel:DWORD dst_unused:UNUSED_PAD src0_sel:WORD_1
	v_cvt_f32_f16_e32 v16, v5
	;;#ASMSTART
	v_pk_mul_f32 v[6:7], v[8:9], v[6:7]
	;;#ASMEND
	v_pk_add_f32 v[8:9], v[18:19], 1.0 op_sel_hi:[1,0]
	;;#ASMSTART
	v_pk_mul_f32 v[4:5], v[10:11], v[8:9]
	;;#ASMEND
	v_pk_add_f32 v[8:9], v[12:13], 1.0 op_sel_hi:[1,0]
	;; [unrolled: 4-line block ×3, first 2 shown]
	;;#ASMSTART
	v_pk_mul_f32 v[2:3], v[2:3], v[10:11]
	;;#ASMEND
	s_mul_i32 s0, s27, s6
	v_cvt_f16_f32_e32 v0, v6
	v_cvt_f16_f32_e32 v6, v7
	;; [unrolled: 1-line block ×8, first 2 shown]
	s_lshl_b64 s[0:1], s[0:1], 1
	s_add_u32 s8, s14, s0
	s_addc_u32 s0, s15, s1
	s_and_b32 s9, s0, 0xffff
	v_pack_b32_f16 v2, v0, v6
	v_pack_b32_f16 v3, v4, v5
	;; [unrolled: 1-line block ×4, first 2 shown]
	buffer_store_dwordx4 v[2:5], v1, s[8:11], 0 offen
	;;#ASMSTART
	s_nop 0
	;;#ASMEND
	s_endpgm
	.section	.rodata,"a",@progbits
	.p2align	6, 0x0
	.amdhsa_kernel _ZN5aiter35fused_qk_rmsnorm_group_quant_kernelIDF16_DB8_Li128ELi8ELi16ELb0ELb1ELb1ELb1ELb0ELb0EEEvPT0_PvPT_S6_S6_PKS5_S8_S8_S8_S8_ffiiiiiiiiiiiii
		.amdhsa_group_segment_fixed_size 16
		.amdhsa_private_segment_fixed_size 0
		.amdhsa_kernarg_size 400
		.amdhsa_user_sgpr_count 6
		.amdhsa_user_sgpr_private_segment_buffer 1
		.amdhsa_user_sgpr_dispatch_ptr 0
		.amdhsa_user_sgpr_queue_ptr 0
		.amdhsa_user_sgpr_kernarg_segment_ptr 1
		.amdhsa_user_sgpr_dispatch_id 0
		.amdhsa_user_sgpr_flat_scratch_init 0
		.amdhsa_user_sgpr_kernarg_preload_length 0
		.amdhsa_user_sgpr_kernarg_preload_offset 0
		.amdhsa_user_sgpr_private_segment_size 0
		.amdhsa_uses_dynamic_stack 0
		.amdhsa_system_sgpr_private_segment_wavefront_offset 0
		.amdhsa_system_sgpr_workgroup_id_x 1
		.amdhsa_system_sgpr_workgroup_id_y 1
		.amdhsa_system_sgpr_workgroup_id_z 0
		.amdhsa_system_sgpr_workgroup_info 0
		.amdhsa_system_vgpr_workitem_id 0
		.amdhsa_next_free_vgpr 23
		.amdhsa_next_free_sgpr 32
		.amdhsa_accum_offset 24
		.amdhsa_reserve_vcc 1
		.amdhsa_reserve_flat_scratch 0
		.amdhsa_float_round_mode_32 0
		.amdhsa_float_round_mode_16_64 0
		.amdhsa_float_denorm_mode_32 3
		.amdhsa_float_denorm_mode_16_64 3
		.amdhsa_dx10_clamp 1
		.amdhsa_ieee_mode 1
		.amdhsa_fp16_overflow 0
		.amdhsa_tg_split 0
		.amdhsa_exception_fp_ieee_invalid_op 0
		.amdhsa_exception_fp_denorm_src 0
		.amdhsa_exception_fp_ieee_div_zero 0
		.amdhsa_exception_fp_ieee_overflow 0
		.amdhsa_exception_fp_ieee_underflow 0
		.amdhsa_exception_fp_ieee_inexact 0
		.amdhsa_exception_int_div_zero 0
	.end_amdhsa_kernel
	.section	.text._ZN5aiter35fused_qk_rmsnorm_group_quant_kernelIDF16_DB8_Li128ELi8ELi16ELb0ELb1ELb1ELb1ELb0ELb0EEEvPT0_PvPT_S6_S6_PKS5_S8_S8_S8_S8_ffiiiiiiiiiiiii,"axG",@progbits,_ZN5aiter35fused_qk_rmsnorm_group_quant_kernelIDF16_DB8_Li128ELi8ELi16ELb0ELb1ELb1ELb1ELb0ELb0EEEvPT0_PvPT_S6_S6_PKS5_S8_S8_S8_S8_ffiiiiiiiiiiiii,comdat
.Lfunc_end321:
	.size	_ZN5aiter35fused_qk_rmsnorm_group_quant_kernelIDF16_DB8_Li128ELi8ELi16ELb0ELb1ELb1ELb1ELb0ELb0EEEvPT0_PvPT_S6_S6_PKS5_S8_S8_S8_S8_ffiiiiiiiiiiiii, .Lfunc_end321-_ZN5aiter35fused_qk_rmsnorm_group_quant_kernelIDF16_DB8_Li128ELi8ELi16ELb0ELb1ELb1ELb1ELb0ELb0EEEvPT0_PvPT_S6_S6_PKS5_S8_S8_S8_S8_ffiiiiiiiiiiiii
                                        ; -- End function
	.section	.AMDGPU.csdata,"",@progbits
; Kernel info:
; codeLenInByte = 2068
; NumSgprs: 36
; NumVgprs: 23
; NumAgprs: 0
; TotalNumVgprs: 23
; ScratchSize: 0
; MemoryBound: 0
; FloatMode: 240
; IeeeMode: 1
; LDSByteSize: 16 bytes/workgroup (compile time only)
; SGPRBlocks: 4
; VGPRBlocks: 2
; NumSGPRsForWavesPerEU: 36
; NumVGPRsForWavesPerEU: 23
; AccumOffset: 24
; Occupancy: 8
; WaveLimiterHint : 0
; COMPUTE_PGM_RSRC2:SCRATCH_EN: 0
; COMPUTE_PGM_RSRC2:USER_SGPR: 6
; COMPUTE_PGM_RSRC2:TRAP_HANDLER: 0
; COMPUTE_PGM_RSRC2:TGID_X_EN: 1
; COMPUTE_PGM_RSRC2:TGID_Y_EN: 1
; COMPUTE_PGM_RSRC2:TGID_Z_EN: 0
; COMPUTE_PGM_RSRC2:TIDIG_COMP_CNT: 0
; COMPUTE_PGM_RSRC3_GFX90A:ACCUM_OFFSET: 5
; COMPUTE_PGM_RSRC3_GFX90A:TG_SPLIT: 0
	.section	.text._ZN5aiter35fused_qk_rmsnorm_group_quant_kernelItDB8_Li128ELi8ELi16ELb0ELb1ELb1ELb1ELb0ELb0EEEvPT0_PvPT_S6_S6_PKS5_S8_S8_S8_S8_ffiiiiiiiiiiiii,"axG",@progbits,_ZN5aiter35fused_qk_rmsnorm_group_quant_kernelItDB8_Li128ELi8ELi16ELb0ELb1ELb1ELb1ELb0ELb0EEEvPT0_PvPT_S6_S6_PKS5_S8_S8_S8_S8_ffiiiiiiiiiiiii,comdat
	.protected	_ZN5aiter35fused_qk_rmsnorm_group_quant_kernelItDB8_Li128ELi8ELi16ELb0ELb1ELb1ELb1ELb0ELb0EEEvPT0_PvPT_S6_S6_PKS5_S8_S8_S8_S8_ffiiiiiiiiiiiii ; -- Begin function _ZN5aiter35fused_qk_rmsnorm_group_quant_kernelItDB8_Li128ELi8ELi16ELb0ELb1ELb1ELb1ELb0ELb0EEEvPT0_PvPT_S6_S6_PKS5_S8_S8_S8_S8_ffiiiiiiiiiiiii
	.globl	_ZN5aiter35fused_qk_rmsnorm_group_quant_kernelItDB8_Li128ELi8ELi16ELb0ELb1ELb1ELb1ELb0ELb0EEEvPT0_PvPT_S6_S6_PKS5_S8_S8_S8_S8_ffiiiiiiiiiiiii
	.p2align	8
	.type	_ZN5aiter35fused_qk_rmsnorm_group_quant_kernelItDB8_Li128ELi8ELi16ELb0ELb1ELb1ELb1ELb0ELb0EEEvPT0_PvPT_S6_S6_PKS5_S8_S8_S8_S8_ffiiiiiiiiiiiii,@function
_ZN5aiter35fused_qk_rmsnorm_group_quant_kernelItDB8_Li128ELi8ELi16ELb0ELb1ELb1ELb1ELb0ELb0EEEvPT0_PvPT_S6_S6_PKS5_S8_S8_S8_S8_ffiiiiiiiiiiiii: ; @_ZN5aiter35fused_qk_rmsnorm_group_quant_kernelItDB8_Li128ELi8ELi16ELb0ELb1ELb1ELb1ELb0ELb0EEEvPT0_PvPT_S6_S6_PKS5_S8_S8_S8_S8_ffiiiiiiiiiiiii
; %bb.0:
	s_load_dwordx4 s[12:15], s[4:5], 0x50
	s_waitcnt lgkmcnt(0)
	s_cmp_ge_i32 s6, s14
	s_cbranch_scc1 .LBB322_10
; %bb.1:
	s_load_dwordx2 s[24:25], s[4:5], 0x30
	s_load_dwordx2 s[8:9], s[4:5], 0x48
	s_load_dwordx4 s[16:19], s[4:5], 0x60
	s_cmp_lg_u32 s7, 0
	s_cselect_b64 s[10:11], -1, 0
	s_cmp_eq_u32 s7, 0
	s_cselect_b64 vcc, -1, 0
	s_and_b64 s[0:1], vcc, exec
	s_waitcnt lgkmcnt(0)
	s_cselect_b32 s7, s15, s16
	s_add_i32 s0, s7, 1
	s_lshr_b32 s1, s0, 31
	s_add_i32 s0, s0, s1
	s_lshl_b32 s0, s0, 1
	v_lshlrev_b32_e32 v1, 3, v0
	s_and_b32 s22, s0, -4
	v_cmp_gt_i32_e64 s[2:3], s7, v1
	v_mov_b32_e32 v2, 0
	v_mov_b32_e32 v3, 0
	;; [unrolled: 1-line block ×8, first 2 shown]
	s_and_saveexec_b64 s[0:1], s[2:3]
	s_cbranch_execz .LBB322_3
; %bb.2:
	s_load_dwordx2 s[14:15], s[4:5], 0x28
	s_load_dwordx2 s[20:21], s[4:5], 0x40
	s_and_b64 s[26:27], vcc, exec
	s_cselect_b32 s17, s17, s18
	v_lshlrev_b32_e32 v10, 4, v0
	s_waitcnt lgkmcnt(0)
	s_cselect_b32 s19, s15, s25
	s_cselect_b32 s23, s14, s24
	s_mul_hi_i32 s15, s17, s6
	s_mul_i32 s14, s17, s6
	s_lshl_b64 s[14:15], s[14:15], 1
	s_add_u32 s28, s23, s14
	s_addc_u32 s17, s19, s15
	s_and_b64 s[14:15], vcc, exec
	s_mov_b32 s23, 0x20000
	s_cselect_b32 s20, s20, s8
	s_cselect_b32 s14, s21, s9
	s_and_b32 s29, s17, 0xffff
	s_mov_b32 s30, s22
	s_mov_b32 s31, s23
	s_and_b32 s21, s14, 0xffff
	buffer_load_dwordx4 v[6:9], v10, s[28:31], 0 offen glc slc
	buffer_load_dwordx4 v[2:5], v10, s[20:23], 0 offen
.LBB322_3:
	s_or_b64 exec, exec, s[0:1]
	s_waitcnt vmcnt(1)
	v_cvt_f32_u32_sdwa v14, v6 dst_sel:DWORD dst_unused:UNUSED_PAD src0_sel:WORD_0
	v_cvt_f32_u32_sdwa v15, v6 dst_sel:DWORD dst_unused:UNUSED_PAD src0_sel:WORD_1
	v_cvt_f32_u32_sdwa v6, v9 dst_sel:DWORD dst_unused:UNUSED_PAD src0_sel:WORD_1
	v_cvt_f32_u32_sdwa v9, v9 dst_sel:DWORD dst_unused:UNUSED_PAD src0_sel:WORD_0
	v_cvt_f32_u32_sdwa v10, v8 dst_sel:DWORD dst_unused:UNUSED_PAD src0_sel:WORD_1
	v_cvt_f32_u32_sdwa v8, v8 dst_sel:DWORD dst_unused:UNUSED_PAD src0_sel:WORD_0
	v_cvt_f32_u32_sdwa v12, v7 dst_sel:DWORD dst_unused:UNUSED_PAD src0_sel:WORD_0
	v_cvt_f32_u32_sdwa v13, v7 dst_sel:DWORD dst_unused:UNUSED_PAD src0_sel:WORD_1
	v_cndmask_b32_e64 v7, 0, v6, s[2:3]
	v_cndmask_b32_e64 v6, 0, v9, s[2:3]
	;; [unrolled: 1-line block ×6, first 2 shown]
	v_mul_f32_e32 v14, v9, v9
	v_cndmask_b32_e64 v12, 0, v12, s[2:3]
	v_fmac_f32_e32 v14, v8, v8
	v_cndmask_b32_e64 v13, 0, v13, s[2:3]
	v_fmac_f32_e32 v14, v12, v12
	v_fmac_f32_e32 v14, v13, v13
	;; [unrolled: 1-line block ×6, first 2 shown]
	v_and_b32_e32 v16, 63, v0
	v_cmp_eq_u32_e64 s[0:1], 63, v16
	v_mov_b32_dpp v15, v14 quad_perm:[1,0,3,2] row_mask:0xf bank_mask:0xf
	v_add_f32_e32 v14, v14, v15
	s_nop 1
	v_mov_b32_dpp v15, v14 quad_perm:[2,3,0,1] row_mask:0xf bank_mask:0xf
	v_add_f32_e32 v14, v14, v15
	s_nop 1
	v_mov_b32_dpp v15, v14 row_half_mirror row_mask:0xf bank_mask:0xf
	v_add_f32_e32 v14, v14, v15
	s_nop 1
	v_mov_b32_dpp v15, v14 row_mirror row_mask:0xf bank_mask:0xf
	v_add_f32_e32 v14, v14, v15
	s_nop 1
	v_mov_b32_dpp v15, v14 row_bcast:15 row_mask:0xf bank_mask:0xf
	v_add_f32_e32 v14, v14, v15
	s_nop 1
	v_mov_b32_dpp v15, v14 row_bcast:31 row_mask:0xf bank_mask:0xf
	s_and_saveexec_b64 s[14:15], s[0:1]
	s_cbranch_execz .LBB322_5
; %bb.4:
	v_add_f32_e32 v14, v14, v15
	v_lshrrev_b32_e32 v15, 4, v0
	v_and_b32_e32 v15, 60, v15
	ds_write_b32 v15, v14 offset:8
.LBB322_5:
	s_or_b64 exec, exec, s[14:15]
	v_and_b32_e32 v14, 1, v0
	v_lshlrev_b32_e32 v14, 2, v14
	s_waitcnt lgkmcnt(0)
	s_barrier
	ds_read_b32 v15, v14 offset:8
	s_load_dwordx2 s[14:15], s[4:5], 0x18
	s_waitcnt lgkmcnt(0)
	v_mov_b32_dpp v16, v15 quad_perm:[1,0,3,2] row_mask:0xf bank_mask:0xf
	s_and_saveexec_b64 s[20:21], s[2:3]
	s_cbranch_execz .LBB322_7
; %bb.6:
	v_cvt_f32_u32_e32 v17, s7
	v_add_f32_e32 v15, v15, v16
	v_mov_b32_e32 v19, s13
	v_mov_b32_e32 v20, s12
	v_div_scale_f32 v16, s[26:27], v17, v17, v15
	v_rcp_f32_e32 v18, v16
	v_cndmask_b32_e32 v19, v19, v20, vcc
	s_mov_b32 s7, 0x800000
	v_fma_f32 v20, -v16, v18, 1.0
	v_fmac_f32_e32 v18, v20, v18
	v_div_scale_f32 v20, vcc, v15, v17, v15
	v_mul_f32_e32 v21, v20, v18
	v_fma_f32 v22, -v16, v21, v20
	v_fmac_f32_e32 v21, v22, v18
	v_fma_f32 v16, -v16, v21, v20
	v_div_fmas_f32 v16, v16, v18, v21
	v_div_fixup_f32 v15, v16, v17, v15
	v_add_f32_e32 v15, v19, v15
	v_mul_f32_e32 v16, 0x4b800000, v15
	v_cmp_gt_f32_e32 vcc, s7, v15
	v_cndmask_b32_e32 v15, v15, v16, vcc
	v_rsq_f32_e32 v15, v15
	s_waitcnt vmcnt(0)
	v_cvt_f32_u32_sdwa v19, v2 dst_sel:DWORD dst_unused:UNUSED_PAD src0_sel:WORD_1
	v_cvt_f32_u32_sdwa v18, v2 dst_sel:DWORD dst_unused:UNUSED_PAD src0_sel:WORD_0
	v_cvt_f32_u32_sdwa v21, v3 dst_sel:DWORD dst_unused:UNUSED_PAD src0_sel:WORD_1
	v_mul_f32_e32 v16, 0x45800000, v15
	v_cndmask_b32_e32 v16, v15, v16, vcc
	v_mov_b32_e32 v17, v16
	;;#ASMSTART
	v_pk_mul_f32 v[8:9], v[8:9], v[16:17]
	;;#ASMEND
	;;#ASMSTART
	v_pk_mul_f32 v[12:13], v[12:13], v[16:17]
	;;#ASMEND
	;; [unrolled: 3-line block ×3, first 2 shown]
	v_cvt_f32_u32_sdwa v20, v3 dst_sel:DWORD dst_unused:UNUSED_PAD src0_sel:WORD_0
	;;#ASMSTART
	v_pk_mul_f32 v[2:3], v[6:7], v[16:17]
	;;#ASMEND
	v_cvt_f32_u32_sdwa v17, v4 dst_sel:DWORD dst_unused:UNUSED_PAD src0_sel:WORD_1
	v_cvt_f32_u32_sdwa v16, v4 dst_sel:DWORD dst_unused:UNUSED_PAD src0_sel:WORD_0
	v_pk_add_f32 v[6:7], v[18:19], 1.0 op_sel_hi:[1,0]
	v_cvt_f32_u32_sdwa v19, v5 dst_sel:DWORD dst_unused:UNUSED_PAD src0_sel:WORD_1
	v_cvt_f32_u32_sdwa v18, v5 dst_sel:DWORD dst_unused:UNUSED_PAD src0_sel:WORD_0
	;;#ASMSTART
	v_pk_mul_f32 v[8:9], v[8:9], v[6:7]
	;;#ASMEND
	v_pk_add_f32 v[6:7], v[20:21], 1.0 op_sel_hi:[1,0]
	v_pk_add_f32 v[4:5], v[16:17], 1.0 op_sel_hi:[1,0]
	;;#ASMSTART
	v_pk_mul_f32 v[12:13], v[12:13], v[6:7]
	;;#ASMEND
	;;#ASMSTART
	v_pk_mul_f32 v[10:11], v[10:11], v[4:5]
	;;#ASMEND
	v_pk_add_f32 v[4:5], v[18:19], 1.0 op_sel_hi:[1,0]
	;;#ASMSTART
	v_pk_mul_f32 v[6:7], v[2:3], v[4:5]
	;;#ASMEND
.LBB322_7:
	s_or_b64 exec, exec, s[20:21]
	s_load_dwordx2 s[26:27], s[4:5], 0x7c
	s_mov_b64 s[20:21], -1
	s_and_b64 vcc, exec, s[10:11]
	s_cbranch_vccnz .LBB322_11
; %bb.8:
	s_andn2_b64 vcc, exec, s[20:21]
	s_cbranch_vccz .LBB322_14
.LBB322_9:
	s_cmp_lt_i32 s16, 1
	s_cbranch_scc0 .LBB322_17
.LBB322_10:
	s_endpgm
.LBB322_11:
	s_and_saveexec_b64 s[10:11], s[2:3]
	s_cbranch_execz .LBB322_13
; %bb.12:
	s_waitcnt lgkmcnt(0)
	s_mul_hi_i32 s21, s27, s6
	s_mul_i32 s20, s27, s6
	s_lshl_b64 s[20:21], s[20:21], 1
	s_add_u32 s20, s14, s20
	s_addc_u32 s7, s15, s21
	s_and_b32 s21, s7, 0xffff
	s_mov_b32 s7, 0x7060302
	s_mov_b32 s23, 0x20000
	s_waitcnt vmcnt(0)
	v_perm_b32 v2, v9, v8, s7
	v_perm_b32 v3, v13, v12, s7
	;; [unrolled: 1-line block ×4, first 2 shown]
	v_lshlrev_b32_e32 v15, 4, v0
	buffer_store_dwordx4 v[2:5], v15, s[20:23], 0 offen
	;;#ASMSTART
	s_nop 0
	;;#ASMEND
.LBB322_13:
	s_or_b64 exec, exec, s[10:11]
	s_cbranch_execnz .LBB322_9
.LBB322_14:
	s_and_saveexec_b64 s[10:11], s[2:3]
	s_cbranch_execz .LBB322_16
; %bb.15:
	s_load_dwordx2 s[2:3], s[4:5], 0x10
	s_waitcnt lgkmcnt(0)
	s_mul_hi_i32 s21, s26, s6
	s_mul_i32 s20, s26, s6
	s_lshl_b64 s[20:21], s[20:21], 1
	s_mov_b32 s23, 0x20000
	s_add_u32 s20, s2, s20
	s_addc_u32 s2, s3, s21
	s_and_b32 s21, s2, 0xffff
	s_mov_b32 s2, 0x7060302
	s_waitcnt vmcnt(0)
	v_perm_b32 v2, v9, v8, s2
	v_perm_b32 v3, v13, v12, s2
	;; [unrolled: 1-line block ×4, first 2 shown]
	v_lshlrev_b32_e32 v6, 4, v0
	buffer_store_dwordx4 v[2:5], v6, s[20:23], 0 offen
	;;#ASMSTART
	s_nop 0
	;;#ASMEND
.LBB322_16:
	s_or_b64 exec, exec, s[10:11]
	s_cmp_lt_i32 s16, 1
	s_cbranch_scc1 .LBB322_10
.LBB322_17:
	s_load_dword s2, s[4:5], 0x94
	s_waitcnt lgkmcnt(0)
	s_cmp_lg_u32 s2, 1
	s_cbranch_scc1 .LBB322_10
; %bb.18:
	s_lshl_b32 s2, s16, 1
	s_add_i32 s2, s2, 2
	v_cmp_gt_u32_e32 vcc, s16, v1
	s_and_b32 s10, s2, -4
	v_mov_b32_e32 v6, 0
	v_lshlrev_b32_e32 v1, 4, v0
	v_mov_b32_e32 v7, 0
	v_mov_b32_e32 v8, 0
	;; [unrolled: 1-line block ×3, first 2 shown]
	s_waitcnt vmcnt(0)
	v_mov_b32_e32 v2, 0
	v_mov_b32_e32 v3, 0
	;; [unrolled: 1-line block ×4, first 2 shown]
	s_barrier
	s_and_saveexec_b64 s[2:3], vcc
	s_cbranch_execz .LBB322_20
; %bb.19:
	s_mul_hi_i32 s5, s18, s6
	s_mul_i32 s4, s18, s6
	s_and_b32 s9, s9, 0xffff
	s_lshl_b64 s[4:5], s[4:5], 1
	s_add_u32 s20, s24, s4
	s_mov_b32 s11, 0x20000
	s_addc_u32 s4, s25, s5
	s_and_b32 s21, s4, 0xffff
	s_mov_b32 s22, s10
	s_mov_b32 s23, s11
	buffer_load_dwordx4 v[6:9], v1, s[20:23], 0 offen glc slc
	buffer_load_dwordx4 v[2:5], v1, s[8:11], 0 offen
.LBB322_20:
	s_or_b64 exec, exec, s[2:3]
	s_waitcnt vmcnt(1)
	v_cvt_f32_u32_sdwa v13, v6 dst_sel:DWORD dst_unused:UNUSED_PAD src0_sel:WORD_1
	v_cvt_f32_u32_sdwa v12, v6 dst_sel:DWORD dst_unused:UNUSED_PAD src0_sel:WORD_0
	v_cvt_f32_u32_sdwa v6, v9 dst_sel:DWORD dst_unused:UNUSED_PAD src0_sel:WORD_1
	v_cvt_f32_u32_sdwa v9, v9 dst_sel:DWORD dst_unused:UNUSED_PAD src0_sel:WORD_0
	;; [unrolled: 2-line block ×4, first 2 shown]
	v_cndmask_b32_e32 v13, 0, v13, vcc
	v_cndmask_b32_e32 v7, 0, v6, vcc
	;; [unrolled: 1-line block ×5, first 2 shown]
	v_mul_f32_e32 v15, v13, v13
	v_cndmask_b32_e32 v10, 0, v10, vcc
	v_fmac_f32_e32 v15, v12, v12
	v_cndmask_b32_e32 v11, 0, v11, vcc
	v_fmac_f32_e32 v15, v10, v10
	;; [unrolled: 2-line block ×3, first 2 shown]
	v_fmac_f32_e32 v15, v8, v8
	v_fmac_f32_e32 v15, v9, v9
	;; [unrolled: 1-line block ×4, first 2 shown]
	s_nop 1
	v_mov_b32_dpp v16, v15 quad_perm:[1,0,3,2] row_mask:0xf bank_mask:0xf
	v_add_f32_e32 v15, v15, v16
	s_nop 1
	v_mov_b32_dpp v16, v15 quad_perm:[2,3,0,1] row_mask:0xf bank_mask:0xf
	v_add_f32_e32 v15, v15, v16
	s_nop 1
	v_mov_b32_dpp v16, v15 row_half_mirror row_mask:0xf bank_mask:0xf
	v_add_f32_e32 v15, v15, v16
	s_nop 1
	v_mov_b32_dpp v16, v15 row_mirror row_mask:0xf bank_mask:0xf
	v_add_f32_e32 v15, v15, v16
	s_nop 1
	v_mov_b32_dpp v16, v15 row_bcast:15 row_mask:0xf bank_mask:0xf
	v_add_f32_e32 v15, v15, v16
	s_nop 1
	v_mov_b32_dpp v16, v15 row_bcast:31 row_mask:0xf bank_mask:0xf
	s_and_saveexec_b64 s[2:3], s[0:1]
	s_cbranch_execz .LBB322_22
; %bb.21:
	v_lshrrev_b32_e32 v0, 4, v0
	v_add_f32_e32 v15, v15, v16
	v_and_b32_e32 v0, 60, v0
	ds_write_b32 v0, v15
.LBB322_22:
	s_or_b64 exec, exec, s[2:3]
	s_waitcnt lgkmcnt(0)
	s_barrier
	ds_read_b32 v0, v14
	s_waitcnt lgkmcnt(0)
	s_nop 0
	v_mov_b32_dpp v14, v0 quad_perm:[1,0,3,2] row_mask:0xf bank_mask:0xf
	s_and_saveexec_b64 s[0:1], vcc
	s_cbranch_execz .LBB322_10
; %bb.23:
	v_cvt_f32_u32_e32 v15, s16
	v_add_f32_e32 v0, v0, v14
	s_mov_b32 s11, 0x20000
	v_div_scale_f32 v14, s[0:1], v15, v15, v0
	v_rcp_f32_e32 v16, v14
	v_div_scale_f32 v17, vcc, v0, v15, v0
	s_mov_b32 s0, 0x800000
	v_fma_f32 v18, -v14, v16, 1.0
	v_fmac_f32_e32 v16, v18, v16
	v_mul_f32_e32 v18, v17, v16
	v_fma_f32 v19, -v14, v18, v17
	v_fmac_f32_e32 v18, v19, v16
	v_fma_f32 v14, -v14, v18, v17
	v_div_fmas_f32 v14, v14, v16, v18
	v_div_fixup_f32 v0, v14, v15, v0
	v_add_f32_e32 v0, s13, v0
	v_mul_f32_e32 v14, 0x4b800000, v0
	v_cmp_gt_f32_e32 vcc, s0, v0
	v_cndmask_b32_e32 v0, v0, v14, vcc
	v_rsq_f32_e32 v0, v0
	s_waitcnt vmcnt(0)
	v_cvt_f32_u32_sdwa v17, v2 dst_sel:DWORD dst_unused:UNUSED_PAD src0_sel:WORD_1
	v_cvt_f32_u32_sdwa v16, v2 dst_sel:DWORD dst_unused:UNUSED_PAD src0_sel:WORD_0
	v_cvt_f32_u32_sdwa v19, v3 dst_sel:DWORD dst_unused:UNUSED_PAD src0_sel:WORD_1
	v_mul_f32_e32 v14, 0x45800000, v0
	v_cndmask_b32_e32 v14, v0, v14, vcc
	v_mov_b32_e32 v15, v14
	;;#ASMSTART
	v_pk_mul_f32 v[12:13], v[12:13], v[14:15]
	;;#ASMEND
	;;#ASMSTART
	v_pk_mul_f32 v[10:11], v[10:11], v[14:15]
	;;#ASMEND
	;; [unrolled: 3-line block ×3, first 2 shown]
	v_cvt_f32_u32_sdwa v18, v3 dst_sel:DWORD dst_unused:UNUSED_PAD src0_sel:WORD_0
	;;#ASMSTART
	v_pk_mul_f32 v[2:3], v[6:7], v[14:15]
	;;#ASMEND
	v_cvt_f32_u32_sdwa v15, v4 dst_sel:DWORD dst_unused:UNUSED_PAD src0_sel:WORD_1
	v_cvt_f32_u32_sdwa v14, v4 dst_sel:DWORD dst_unused:UNUSED_PAD src0_sel:WORD_0
	v_pk_add_f32 v[6:7], v[16:17], 1.0 op_sel_hi:[1,0]
	v_cvt_f32_u32_sdwa v17, v5 dst_sel:DWORD dst_unused:UNUSED_PAD src0_sel:WORD_1
	v_cvt_f32_u32_sdwa v16, v5 dst_sel:DWORD dst_unused:UNUSED_PAD src0_sel:WORD_0
	s_mul_hi_i32 s1, s27, s6
	s_mul_i32 s0, s27, s6
	s_lshl_b64 s[0:1], s[0:1], 1
	s_add_u32 s8, s14, s0
	;;#ASMSTART
	v_pk_mul_f32 v[6:7], v[12:13], v[6:7]
	;;#ASMEND
	v_pk_add_f32 v[12:13], v[18:19], 1.0 op_sel_hi:[1,0]
	;;#ASMSTART
	v_pk_mul_f32 v[4:5], v[10:11], v[12:13]
	;;#ASMEND
	v_pk_add_f32 v[10:11], v[14:15], 1.0 op_sel_hi:[1,0]
	s_addc_u32 s0, s15, s1
	;;#ASMSTART
	v_pk_mul_f32 v[8:9], v[8:9], v[10:11]
	;;#ASMEND
	v_pk_add_f32 v[10:11], v[16:17], 1.0 op_sel_hi:[1,0]
	s_and_b32 s9, s0, 0xffff
	s_mov_b32 s0, 0x7060302
	;;#ASMSTART
	v_pk_mul_f32 v[10:11], v[2:3], v[10:11]
	;;#ASMEND
	v_perm_b32 v2, v7, v6, s0
	v_perm_b32 v3, v5, v4, s0
	;; [unrolled: 1-line block ×4, first 2 shown]
	buffer_store_dwordx4 v[2:5], v1, s[8:11], 0 offen
	;;#ASMSTART
	s_nop 0
	;;#ASMEND
	s_endpgm
	.section	.rodata,"a",@progbits
	.p2align	6, 0x0
	.amdhsa_kernel _ZN5aiter35fused_qk_rmsnorm_group_quant_kernelItDB8_Li128ELi8ELi16ELb0ELb1ELb1ELb1ELb0ELb0EEEvPT0_PvPT_S6_S6_PKS5_S8_S8_S8_S8_ffiiiiiiiiiiiii
		.amdhsa_group_segment_fixed_size 16
		.amdhsa_private_segment_fixed_size 0
		.amdhsa_kernarg_size 400
		.amdhsa_user_sgpr_count 6
		.amdhsa_user_sgpr_private_segment_buffer 1
		.amdhsa_user_sgpr_dispatch_ptr 0
		.amdhsa_user_sgpr_queue_ptr 0
		.amdhsa_user_sgpr_kernarg_segment_ptr 1
		.amdhsa_user_sgpr_dispatch_id 0
		.amdhsa_user_sgpr_flat_scratch_init 0
		.amdhsa_user_sgpr_kernarg_preload_length 0
		.amdhsa_user_sgpr_kernarg_preload_offset 0
		.amdhsa_user_sgpr_private_segment_size 0
		.amdhsa_uses_dynamic_stack 0
		.amdhsa_system_sgpr_private_segment_wavefront_offset 0
		.amdhsa_system_sgpr_workgroup_id_x 1
		.amdhsa_system_sgpr_workgroup_id_y 1
		.amdhsa_system_sgpr_workgroup_id_z 0
		.amdhsa_system_sgpr_workgroup_info 0
		.amdhsa_system_vgpr_workitem_id 0
		.amdhsa_next_free_vgpr 23
		.amdhsa_next_free_sgpr 32
		.amdhsa_accum_offset 24
		.amdhsa_reserve_vcc 1
		.amdhsa_reserve_flat_scratch 0
		.amdhsa_float_round_mode_32 0
		.amdhsa_float_round_mode_16_64 0
		.amdhsa_float_denorm_mode_32 3
		.amdhsa_float_denorm_mode_16_64 3
		.amdhsa_dx10_clamp 1
		.amdhsa_ieee_mode 1
		.amdhsa_fp16_overflow 0
		.amdhsa_tg_split 0
		.amdhsa_exception_fp_ieee_invalid_op 0
		.amdhsa_exception_fp_denorm_src 0
		.amdhsa_exception_fp_ieee_div_zero 0
		.amdhsa_exception_fp_ieee_overflow 0
		.amdhsa_exception_fp_ieee_underflow 0
		.amdhsa_exception_fp_ieee_inexact 0
		.amdhsa_exception_int_div_zero 0
	.end_amdhsa_kernel
	.section	.text._ZN5aiter35fused_qk_rmsnorm_group_quant_kernelItDB8_Li128ELi8ELi16ELb0ELb1ELb1ELb1ELb0ELb0EEEvPT0_PvPT_S6_S6_PKS5_S8_S8_S8_S8_ffiiiiiiiiiiiii,"axG",@progbits,_ZN5aiter35fused_qk_rmsnorm_group_quant_kernelItDB8_Li128ELi8ELi16ELb0ELb1ELb1ELb1ELb0ELb0EEEvPT0_PvPT_S6_S6_PKS5_S8_S8_S8_S8_ffiiiiiiiiiiiii,comdat
.Lfunc_end322:
	.size	_ZN5aiter35fused_qk_rmsnorm_group_quant_kernelItDB8_Li128ELi8ELi16ELb0ELb1ELb1ELb1ELb0ELb0EEEvPT0_PvPT_S6_S6_PKS5_S8_S8_S8_S8_ffiiiiiiiiiiiii, .Lfunc_end322-_ZN5aiter35fused_qk_rmsnorm_group_quant_kernelItDB8_Li128ELi8ELi16ELb0ELb1ELb1ELb1ELb0ELb0EEEvPT0_PvPT_S6_S6_PKS5_S8_S8_S8_S8_ffiiiiiiiiiiiii
                                        ; -- End function
	.section	.AMDGPU.csdata,"",@progbits
; Kernel info:
; codeLenInByte = 2060
; NumSgprs: 36
; NumVgprs: 23
; NumAgprs: 0
; TotalNumVgprs: 23
; ScratchSize: 0
; MemoryBound: 0
; FloatMode: 240
; IeeeMode: 1
; LDSByteSize: 16 bytes/workgroup (compile time only)
; SGPRBlocks: 4
; VGPRBlocks: 2
; NumSGPRsForWavesPerEU: 36
; NumVGPRsForWavesPerEU: 23
; AccumOffset: 24
; Occupancy: 8
; WaveLimiterHint : 0
; COMPUTE_PGM_RSRC2:SCRATCH_EN: 0
; COMPUTE_PGM_RSRC2:USER_SGPR: 6
; COMPUTE_PGM_RSRC2:TRAP_HANDLER: 0
; COMPUTE_PGM_RSRC2:TGID_X_EN: 1
; COMPUTE_PGM_RSRC2:TGID_Y_EN: 1
; COMPUTE_PGM_RSRC2:TGID_Z_EN: 0
; COMPUTE_PGM_RSRC2:TIDIG_COMP_CNT: 0
; COMPUTE_PGM_RSRC3_GFX90A:ACCUM_OFFSET: 5
; COMPUTE_PGM_RSRC3_GFX90A:TG_SPLIT: 0
	.section	.text._ZN5aiter35fused_qk_rmsnorm_group_quant_kernelIDF16_N4opus5fp4_tELi128ELi8ELi16ELb0ELb1ELb1ELb1ELb0ELb0EEEvPT0_PvPT_S7_S7_PKS6_S9_S9_S9_S9_ffiiiiiiiiiiiii,"axG",@progbits,_ZN5aiter35fused_qk_rmsnorm_group_quant_kernelIDF16_N4opus5fp4_tELi128ELi8ELi16ELb0ELb1ELb1ELb1ELb0ELb0EEEvPT0_PvPT_S7_S7_PKS6_S9_S9_S9_S9_ffiiiiiiiiiiiii,comdat
	.protected	_ZN5aiter35fused_qk_rmsnorm_group_quant_kernelIDF16_N4opus5fp4_tELi128ELi8ELi16ELb0ELb1ELb1ELb1ELb0ELb0EEEvPT0_PvPT_S7_S7_PKS6_S9_S9_S9_S9_ffiiiiiiiiiiiii ; -- Begin function _ZN5aiter35fused_qk_rmsnorm_group_quant_kernelIDF16_N4opus5fp4_tELi128ELi8ELi16ELb0ELb1ELb1ELb1ELb0ELb0EEEvPT0_PvPT_S7_S7_PKS6_S9_S9_S9_S9_ffiiiiiiiiiiiii
	.globl	_ZN5aiter35fused_qk_rmsnorm_group_quant_kernelIDF16_N4opus5fp4_tELi128ELi8ELi16ELb0ELb1ELb1ELb1ELb0ELb0EEEvPT0_PvPT_S7_S7_PKS6_S9_S9_S9_S9_ffiiiiiiiiiiiii
	.p2align	8
	.type	_ZN5aiter35fused_qk_rmsnorm_group_quant_kernelIDF16_N4opus5fp4_tELi128ELi8ELi16ELb0ELb1ELb1ELb1ELb0ELb0EEEvPT0_PvPT_S7_S7_PKS6_S9_S9_S9_S9_ffiiiiiiiiiiiii,@function
_ZN5aiter35fused_qk_rmsnorm_group_quant_kernelIDF16_N4opus5fp4_tELi128ELi8ELi16ELb0ELb1ELb1ELb1ELb0ELb0EEEvPT0_PvPT_S7_S7_PKS6_S9_S9_S9_S9_ffiiiiiiiiiiiii: ; @_ZN5aiter35fused_qk_rmsnorm_group_quant_kernelIDF16_N4opus5fp4_tELi128ELi8ELi16ELb0ELb1ELb1ELb1ELb0ELb0EEEvPT0_PvPT_S7_S7_PKS6_S9_S9_S9_S9_ffiiiiiiiiiiiii
; %bb.0:
	s_load_dwordx4 s[12:15], s[4:5], 0x50
	s_waitcnt lgkmcnt(0)
	s_cmp_ge_i32 s6, s14
	s_cbranch_scc1 .LBB323_12
; %bb.1:
	s_load_dwordx2 s[24:25], s[4:5], 0x30
	s_load_dwordx2 s[8:9], s[4:5], 0x48
	s_load_dwordx4 s[16:19], s[4:5], 0x60
	s_cmp_lg_u32 s7, 0
	s_cselect_b64 s[10:11], -1, 0
	s_cmp_eq_u32 s7, 0
	s_cselect_b64 vcc, -1, 0
	s_and_b64 s[0:1], vcc, exec
	s_waitcnt lgkmcnt(0)
	s_cselect_b32 s7, s15, s16
	s_add_i32 s0, s7, 1
	s_lshr_b32 s1, s0, 31
	s_add_i32 s0, s0, s1
	s_lshl_b32 s0, s0, 1
	v_lshlrev_b32_e32 v1, 3, v0
	s_and_b32 s22, s0, -4
	v_cmp_gt_i32_e64 s[2:3], s7, v1
	v_mov_b32_e32 v10, 0
	v_mov_b32_e32 v2, 0
	;; [unrolled: 1-line block ×9, first 2 shown]
	s_and_saveexec_b64 s[0:1], s[2:3]
	s_cbranch_execz .LBB323_3
; %bb.2:
	s_load_dwordx2 s[14:15], s[4:5], 0x28
	s_load_dwordx2 s[20:21], s[4:5], 0x40
	s_and_b64 s[26:27], vcc, exec
	s_cselect_b32 s17, s17, s18
	v_lshlrev_b32_e32 v11, 4, v0
	s_waitcnt lgkmcnt(0)
	s_cselect_b32 s19, s15, s25
	s_cselect_b32 s23, s14, s24
	s_mul_hi_i32 s15, s17, s6
	s_mul_i32 s14, s17, s6
	s_lshl_b64 s[14:15], s[14:15], 1
	s_add_u32 s28, s23, s14
	s_addc_u32 s17, s19, s15
	s_and_b64 s[14:15], vcc, exec
	s_mov_b32 s23, 0x20000
	s_cselect_b32 s20, s20, s8
	s_cselect_b32 s14, s21, s9
	s_and_b32 s29, s17, 0xffff
	s_mov_b32 s30, s22
	s_mov_b32 s31, s23
	s_and_b32 s21, s14, 0xffff
	buffer_load_dwordx4 v[6:9], v11, s[28:31], 0 offen glc slc
	buffer_load_dwordx4 v[2:5], v11, s[20:23], 0 offen
.LBB323_3:
	s_or_b64 exec, exec, s[0:1]
	v_mov_b32_e32 v11, 0
	v_mov_b32_e32 v14, 0
	;; [unrolled: 1-line block ×7, first 2 shown]
	s_and_saveexec_b64 s[0:1], s[2:3]
	s_cbranch_execz .LBB323_5
; %bb.4:
	s_waitcnt vmcnt(1)
	v_cvt_f32_f16_sdwa v11, v6 dst_sel:DWORD dst_unused:UNUSED_PAD src0_sel:WORD_1
	v_cvt_f32_f16_e32 v10, v6
	v_cvt_f32_f16_sdwa v15, v7 dst_sel:DWORD dst_unused:UNUSED_PAD src0_sel:WORD_1
	v_cvt_f32_f16_e32 v14, v7
	;; [unrolled: 2-line block ×4, first 2 shown]
.LBB323_5:
	s_or_b64 exec, exec, s[0:1]
	s_waitcnt vmcnt(1)
	v_mul_f32_e32 v6, v11, v11
	v_fmac_f32_e32 v6, v10, v10
	v_fmac_f32_e32 v6, v14, v14
	;; [unrolled: 1-line block ×7, first 2 shown]
	v_and_b32_e32 v8, 63, v0
	v_cmp_eq_u32_e64 s[0:1], 63, v8
	v_mov_b32_dpp v7, v6 quad_perm:[1,0,3,2] row_mask:0xf bank_mask:0xf
	v_add_f32_e32 v6, v6, v7
	s_nop 1
	v_mov_b32_dpp v7, v6 quad_perm:[2,3,0,1] row_mask:0xf bank_mask:0xf
	v_add_f32_e32 v6, v6, v7
	s_nop 1
	v_mov_b32_dpp v7, v6 row_half_mirror row_mask:0xf bank_mask:0xf
	v_add_f32_e32 v6, v6, v7
	s_nop 1
	v_mov_b32_dpp v7, v6 row_mirror row_mask:0xf bank_mask:0xf
	v_add_f32_e32 v6, v6, v7
	s_nop 1
	v_mov_b32_dpp v7, v6 row_bcast:15 row_mask:0xf bank_mask:0xf
	v_add_f32_e32 v6, v6, v7
	s_nop 1
	v_mov_b32_dpp v7, v6 row_bcast:31 row_mask:0xf bank_mask:0xf
	s_and_saveexec_b64 s[14:15], s[0:1]
	s_cbranch_execz .LBB323_7
; %bb.6:
	v_add_f32_e32 v6, v6, v7
	v_lshrrev_b32_e32 v7, 4, v0
	v_and_b32_e32 v7, 60, v7
	ds_write_b32 v7, v6 offset:8
.LBB323_7:
	s_or_b64 exec, exec, s[14:15]
	v_and_b32_e32 v6, 1, v0
	v_lshlrev_b32_e32 v18, 2, v6
	s_waitcnt lgkmcnt(0)
	s_barrier
	ds_read_b32 v6, v18 offset:8
	s_load_dwordx2 s[14:15], s[4:5], 0x18
	s_waitcnt lgkmcnt(0)
	v_mov_b32_dpp v7, v6 quad_perm:[1,0,3,2] row_mask:0xf bank_mask:0xf
	s_and_saveexec_b64 s[20:21], s[2:3]
	s_cbranch_execz .LBB323_9
; %bb.8:
	v_cvt_f32_u32_e32 v8, s7
	v_add_f32_e32 v6, v6, v7
	v_mov_b32_e32 v19, s13
	v_mov_b32_e32 v20, s12
	v_div_scale_f32 v7, s[26:27], v8, v8, v6
	v_rcp_f32_e32 v9, v7
	v_cndmask_b32_e32 v19, v19, v20, vcc
	s_mov_b32 s7, 0x800000
	v_fma_f32 v20, -v7, v9, 1.0
	v_fmac_f32_e32 v9, v20, v9
	v_div_scale_f32 v20, vcc, v6, v8, v6
	v_mul_f32_e32 v21, v20, v9
	v_fma_f32 v22, -v7, v21, v20
	v_fmac_f32_e32 v21, v22, v9
	v_fma_f32 v7, -v7, v21, v20
	v_div_fmas_f32 v7, v7, v9, v21
	v_div_fixup_f32 v6, v7, v8, v6
	v_add_f32_e32 v6, v19, v6
	v_mul_f32_e32 v7, 0x4b800000, v6
	v_cmp_gt_f32_e32 vcc, s7, v6
	v_cndmask_b32_e32 v6, v6, v7, vcc
	v_rsq_f32_e32 v6, v6
	s_waitcnt vmcnt(0)
	v_cvt_f32_f16_sdwa v21, v3 dst_sel:DWORD dst_unused:UNUSED_PAD src0_sel:WORD_1
	v_cvt_f32_f16_e32 v20, v3
	v_mul_f32_e32 v7, 0x45800000, v6
	v_cndmask_b32_e32 v6, v6, v7, vcc
	v_mov_b32_e32 v7, v6
	;;#ASMSTART
	v_pk_mul_f32 v[8:9], v[10:11], v[6:7]
	;;#ASMEND
	v_cvt_f32_f16_sdwa v11, v2 dst_sel:DWORD dst_unused:UNUSED_PAD src0_sel:WORD_1
	v_cvt_f32_f16_e32 v10, v2
	;;#ASMSTART
	v_pk_mul_f32 v[14:15], v[14:15], v[6:7]
	;;#ASMEND
	;;#ASMSTART
	v_pk_mul_f32 v[16:17], v[16:17], v[6:7]
	;;#ASMEND
	;;#ASMSTART
	v_pk_mul_f32 v[2:3], v[12:13], v[6:7]
	;;#ASMEND
	v_pk_add_f32 v[6:7], v[10:11], 1.0 op_sel_hi:[1,0]
	;;#ASMSTART
	v_pk_mul_f32 v[10:11], v[8:9], v[6:7]
	;;#ASMEND
	v_cvt_f32_f16_sdwa v9, v4 dst_sel:DWORD dst_unused:UNUSED_PAD src0_sel:WORD_1
	v_cvt_f32_f16_e32 v8, v4
	v_cvt_f32_f16_sdwa v13, v5 dst_sel:DWORD dst_unused:UNUSED_PAD src0_sel:WORD_1
	v_cvt_f32_f16_e32 v12, v5
	v_pk_add_f32 v[6:7], v[20:21], 1.0 op_sel_hi:[1,0]
	v_pk_add_f32 v[4:5], v[8:9], 1.0 op_sel_hi:[1,0]
	;;#ASMSTART
	v_pk_mul_f32 v[14:15], v[14:15], v[6:7]
	;;#ASMEND
	;;#ASMSTART
	v_pk_mul_f32 v[16:17], v[16:17], v[4:5]
	;;#ASMEND
	v_pk_add_f32 v[4:5], v[12:13], 1.0 op_sel_hi:[1,0]
	;;#ASMSTART
	v_pk_mul_f32 v[12:13], v[2:3], v[4:5]
	;;#ASMEND
.LBB323_9:
	s_or_b64 exec, exec, s[20:21]
	s_load_dwordx2 s[26:27], s[4:5], 0x7c
	s_mov_b64 s[20:21], -1
	s_and_b64 vcc, exec, s[10:11]
	s_cbranch_vccnz .LBB323_13
; %bb.10:
	s_andn2_b64 vcc, exec, s[20:21]
	s_cbranch_vccz .LBB323_16
.LBB323_11:
	s_cmp_lt_i32 s16, 1
	s_cbranch_scc0 .LBB323_19
.LBB323_12:
	s_endpgm
.LBB323_13:
	s_and_saveexec_b64 s[10:11], s[2:3]
	s_cbranch_execz .LBB323_15
; %bb.14:
	s_waitcnt lgkmcnt(0)
	s_mul_hi_i32 s21, s27, s6
	s_mul_i32 s20, s27, s6
	s_waitcnt vmcnt(0)
	v_cvt_f16_f32_e32 v2, v10
	v_cvt_f16_f32_e32 v3, v14
	;; [unrolled: 1-line block ×8, first 2 shown]
	s_lshl_b64 s[20:21], s[20:21], 1
	s_add_u32 s20, s14, s20
	s_addc_u32 s7, s15, s21
	s_and_b32 s21, s7, 0xffff
	s_mov_b32 s23, 0x20000
	v_pack_b32_f16 v5, v5, v6
	v_pack_b32_f16 v4, v4, v7
	;; [unrolled: 1-line block ×4, first 2 shown]
	v_lshlrev_b32_e32 v6, 4, v0
	buffer_store_dwordx4 v[2:5], v6, s[20:23], 0 offen
	;;#ASMSTART
	s_nop 0
	;;#ASMEND
.LBB323_15:
	s_or_b64 exec, exec, s[10:11]
	s_cbranch_execnz .LBB323_11
.LBB323_16:
	s_and_saveexec_b64 s[10:11], s[2:3]
	s_cbranch_execz .LBB323_18
; %bb.17:
	s_load_dwordx2 s[2:3], s[4:5], 0x10
	s_waitcnt lgkmcnt(0)
	s_mul_hi_i32 s21, s26, s6
	s_mul_i32 s20, s26, s6
	s_waitcnt vmcnt(0)
	v_cvt_f16_f32_e32 v2, v10
	v_cvt_f16_f32_e32 v3, v14
	;; [unrolled: 1-line block ×8, first 2 shown]
	s_lshl_b64 s[20:21], s[20:21], 1
	s_add_u32 s20, s2, s20
	s_addc_u32 s2, s3, s21
	s_mov_b32 s23, 0x20000
	s_and_b32 s21, s2, 0xffff
	v_pack_b32_f16 v5, v5, v6
	v_pack_b32_f16 v4, v4, v7
	;; [unrolled: 1-line block ×4, first 2 shown]
	v_lshlrev_b32_e32 v6, 4, v0
	buffer_store_dwordx4 v[2:5], v6, s[20:23], 0 offen
	;;#ASMSTART
	s_nop 0
	;;#ASMEND
.LBB323_18:
	s_or_b64 exec, exec, s[10:11]
	s_cmp_lt_i32 s16, 1
	s_cbranch_scc1 .LBB323_12
.LBB323_19:
	s_load_dword s2, s[4:5], 0x94
	s_waitcnt lgkmcnt(0)
	s_cmp_lg_u32 s2, 1
	s_cbranch_scc1 .LBB323_12
; %bb.20:
	s_lshl_b32 s2, s16, 1
	s_add_i32 s2, s2, 2
	v_cmp_gt_u32_e32 vcc, s16, v1
	s_and_b32 s10, s2, -4
	v_mov_b32_e32 v10, 0
	v_lshlrev_b32_e32 v1, 4, v0
	v_mov_b32_e32 v6, 0
	v_mov_b32_e32 v7, 0
	;; [unrolled: 1-line block ×4, first 2 shown]
	s_waitcnt vmcnt(0)
	v_mov_b32_e32 v2, 0
	v_mov_b32_e32 v3, 0
	;; [unrolled: 1-line block ×4, first 2 shown]
	s_barrier
	s_and_saveexec_b64 s[2:3], vcc
	s_cbranch_execz .LBB323_22
; %bb.21:
	s_mul_hi_i32 s5, s18, s6
	s_mul_i32 s4, s18, s6
	s_and_b32 s9, s9, 0xffff
	s_lshl_b64 s[4:5], s[4:5], 1
	s_add_u32 s20, s24, s4
	s_mov_b32 s11, 0x20000
	s_addc_u32 s4, s25, s5
	s_and_b32 s21, s4, 0xffff
	s_mov_b32 s22, s10
	s_mov_b32 s23, s11
	buffer_load_dwordx4 v[6:9], v1, s[20:23], 0 offen glc slc
	buffer_load_dwordx4 v[2:5], v1, s[8:11], 0 offen
.LBB323_22:
	s_or_b64 exec, exec, s[2:3]
	v_mov_b32_e32 v11, 0
	v_mov_b32_e32 v16, 0
	;; [unrolled: 1-line block ×7, first 2 shown]
	s_and_saveexec_b64 s[2:3], vcc
	s_cbranch_execz .LBB323_24
; %bb.23:
	s_waitcnt vmcnt(1)
	v_cvt_f32_f16_sdwa v11, v6 dst_sel:DWORD dst_unused:UNUSED_PAD src0_sel:WORD_1
	v_cvt_f32_f16_e32 v10, v6
	v_cvt_f32_f16_sdwa v17, v7 dst_sel:DWORD dst_unused:UNUSED_PAD src0_sel:WORD_1
	v_cvt_f32_f16_e32 v16, v7
	;; [unrolled: 2-line block ×4, first 2 shown]
.LBB323_24:
	s_or_b64 exec, exec, s[2:3]
	s_waitcnt vmcnt(1)
	v_mul_f32_e32 v6, v11, v11
	v_fmac_f32_e32 v6, v10, v10
	v_fmac_f32_e32 v6, v16, v16
	;; [unrolled: 1-line block ×7, first 2 shown]
	s_nop 1
	v_mov_b32_dpp v7, v6 quad_perm:[1,0,3,2] row_mask:0xf bank_mask:0xf
	v_add_f32_e32 v6, v6, v7
	s_nop 1
	v_mov_b32_dpp v7, v6 quad_perm:[2,3,0,1] row_mask:0xf bank_mask:0xf
	v_add_f32_e32 v6, v6, v7
	s_nop 1
	v_mov_b32_dpp v7, v6 row_half_mirror row_mask:0xf bank_mask:0xf
	v_add_f32_e32 v6, v6, v7
	s_nop 1
	v_mov_b32_dpp v7, v6 row_mirror row_mask:0xf bank_mask:0xf
	v_add_f32_e32 v6, v6, v7
	s_nop 1
	v_mov_b32_dpp v7, v6 row_bcast:15 row_mask:0xf bank_mask:0xf
	v_add_f32_e32 v6, v6, v7
	s_nop 1
	v_mov_b32_dpp v7, v6 row_bcast:31 row_mask:0xf bank_mask:0xf
	s_and_saveexec_b64 s[2:3], s[0:1]
	s_cbranch_execz .LBB323_26
; %bb.25:
	v_lshrrev_b32_e32 v0, 4, v0
	v_add_f32_e32 v6, v6, v7
	v_and_b32_e32 v0, 60, v0
	ds_write_b32 v0, v6
.LBB323_26:
	s_or_b64 exec, exec, s[2:3]
	s_waitcnt lgkmcnt(0)
	s_barrier
	ds_read_b32 v0, v18
	s_waitcnt lgkmcnt(0)
	s_nop 0
	v_mov_b32_dpp v6, v0 quad_perm:[1,0,3,2] row_mask:0xf bank_mask:0xf
	s_and_saveexec_b64 s[0:1], vcc
	s_cbranch_execz .LBB323_12
; %bb.27:
	v_cvt_f32_u32_e32 v7, s16
	v_add_f32_e32 v0, v0, v6
	s_mov_b32 s11, 0x20000
	v_div_scale_f32 v6, s[0:1], v7, v7, v0
	v_rcp_f32_e32 v8, v6
	v_div_scale_f32 v9, vcc, v0, v7, v0
	s_mov_b32 s0, 0x800000
	v_fma_f32 v18, -v6, v8, 1.0
	v_fmac_f32_e32 v8, v18, v8
	v_mul_f32_e32 v18, v9, v8
	v_fma_f32 v19, -v6, v18, v9
	v_fmac_f32_e32 v18, v19, v8
	v_fma_f32 v6, -v6, v18, v9
	v_div_fmas_f32 v6, v6, v8, v18
	v_div_fixup_f32 v0, v6, v7, v0
	v_add_f32_e32 v0, s13, v0
	v_mul_f32_e32 v6, 0x4b800000, v0
	v_cmp_gt_f32_e32 vcc, s0, v0
	v_cndmask_b32_e32 v0, v0, v6, vcc
	v_rsq_f32_e32 v0, v0
	s_waitcnt vmcnt(0)
	v_cvt_f32_f16_sdwa v19, v3 dst_sel:DWORD dst_unused:UNUSED_PAD src0_sel:WORD_1
	v_cvt_f32_f16_e32 v18, v3
	s_mul_hi_i32 s1, s27, s6
	v_mul_f32_e32 v6, 0x45800000, v0
	v_cndmask_b32_e32 v6, v0, v6, vcc
	v_mov_b32_e32 v7, v6
	;;#ASMSTART
	v_pk_mul_f32 v[8:9], v[10:11], v[6:7]
	;;#ASMEND
	;;#ASMSTART
	v_pk_mul_f32 v[10:11], v[16:17], v[6:7]
	;;#ASMEND
	v_cvt_f32_f16_sdwa v17, v2 dst_sel:DWORD dst_unused:UNUSED_PAD src0_sel:WORD_1
	v_cvt_f32_f16_e32 v16, v2
	;;#ASMSTART
	v_pk_mul_f32 v[14:15], v[14:15], v[6:7]
	;;#ASMEND
	;;#ASMSTART
	v_pk_mul_f32 v[2:3], v[12:13], v[6:7]
	;;#ASMEND
	v_cvt_f32_f16_sdwa v13, v4 dst_sel:DWORD dst_unused:UNUSED_PAD src0_sel:WORD_1
	v_cvt_f32_f16_e32 v12, v4
	v_pk_add_f32 v[6:7], v[16:17], 1.0 op_sel_hi:[1,0]
	v_cvt_f32_f16_sdwa v17, v5 dst_sel:DWORD dst_unused:UNUSED_PAD src0_sel:WORD_1
	v_cvt_f32_f16_e32 v16, v5
	;;#ASMSTART
	v_pk_mul_f32 v[6:7], v[8:9], v[6:7]
	;;#ASMEND
	v_pk_add_f32 v[8:9], v[18:19], 1.0 op_sel_hi:[1,0]
	;;#ASMSTART
	v_pk_mul_f32 v[4:5], v[10:11], v[8:9]
	;;#ASMEND
	v_pk_add_f32 v[8:9], v[12:13], 1.0 op_sel_hi:[1,0]
	;;#ASMSTART
	v_pk_mul_f32 v[8:9], v[14:15], v[8:9]
	;;#ASMEND
	v_pk_add_f32 v[10:11], v[16:17], 1.0 op_sel_hi:[1,0]
	;;#ASMSTART
	v_pk_mul_f32 v[2:3], v[2:3], v[10:11]
	;;#ASMEND
	s_mul_i32 s0, s27, s6
	v_cvt_f16_f32_e32 v0, v6
	v_cvt_f16_f32_e32 v6, v7
	;; [unrolled: 1-line block ×8, first 2 shown]
	s_lshl_b64 s[0:1], s[0:1], 1
	s_add_u32 s8, s14, s0
	s_addc_u32 s0, s15, s1
	s_and_b32 s9, s0, 0xffff
	v_pack_b32_f16 v2, v0, v6
	v_pack_b32_f16 v3, v4, v5
	;; [unrolled: 1-line block ×4, first 2 shown]
	buffer_store_dwordx4 v[2:5], v1, s[8:11], 0 offen
	;;#ASMSTART
	s_nop 0
	;;#ASMEND
	s_endpgm
	.section	.rodata,"a",@progbits
	.p2align	6, 0x0
	.amdhsa_kernel _ZN5aiter35fused_qk_rmsnorm_group_quant_kernelIDF16_N4opus5fp4_tELi128ELi8ELi16ELb0ELb1ELb1ELb1ELb0ELb0EEEvPT0_PvPT_S7_S7_PKS6_S9_S9_S9_S9_ffiiiiiiiiiiiii
		.amdhsa_group_segment_fixed_size 16
		.amdhsa_private_segment_fixed_size 0
		.amdhsa_kernarg_size 400
		.amdhsa_user_sgpr_count 6
		.amdhsa_user_sgpr_private_segment_buffer 1
		.amdhsa_user_sgpr_dispatch_ptr 0
		.amdhsa_user_sgpr_queue_ptr 0
		.amdhsa_user_sgpr_kernarg_segment_ptr 1
		.amdhsa_user_sgpr_dispatch_id 0
		.amdhsa_user_sgpr_flat_scratch_init 0
		.amdhsa_user_sgpr_kernarg_preload_length 0
		.amdhsa_user_sgpr_kernarg_preload_offset 0
		.amdhsa_user_sgpr_private_segment_size 0
		.amdhsa_uses_dynamic_stack 0
		.amdhsa_system_sgpr_private_segment_wavefront_offset 0
		.amdhsa_system_sgpr_workgroup_id_x 1
		.amdhsa_system_sgpr_workgroup_id_y 1
		.amdhsa_system_sgpr_workgroup_id_z 0
		.amdhsa_system_sgpr_workgroup_info 0
		.amdhsa_system_vgpr_workitem_id 0
		.amdhsa_next_free_vgpr 23
		.amdhsa_next_free_sgpr 32
		.amdhsa_accum_offset 24
		.amdhsa_reserve_vcc 1
		.amdhsa_reserve_flat_scratch 0
		.amdhsa_float_round_mode_32 0
		.amdhsa_float_round_mode_16_64 0
		.amdhsa_float_denorm_mode_32 3
		.amdhsa_float_denorm_mode_16_64 3
		.amdhsa_dx10_clamp 1
		.amdhsa_ieee_mode 1
		.amdhsa_fp16_overflow 0
		.amdhsa_tg_split 0
		.amdhsa_exception_fp_ieee_invalid_op 0
		.amdhsa_exception_fp_denorm_src 0
		.amdhsa_exception_fp_ieee_div_zero 0
		.amdhsa_exception_fp_ieee_overflow 0
		.amdhsa_exception_fp_ieee_underflow 0
		.amdhsa_exception_fp_ieee_inexact 0
		.amdhsa_exception_int_div_zero 0
	.end_amdhsa_kernel
	.section	.text._ZN5aiter35fused_qk_rmsnorm_group_quant_kernelIDF16_N4opus5fp4_tELi128ELi8ELi16ELb0ELb1ELb1ELb1ELb0ELb0EEEvPT0_PvPT_S7_S7_PKS6_S9_S9_S9_S9_ffiiiiiiiiiiiii,"axG",@progbits,_ZN5aiter35fused_qk_rmsnorm_group_quant_kernelIDF16_N4opus5fp4_tELi128ELi8ELi16ELb0ELb1ELb1ELb1ELb0ELb0EEEvPT0_PvPT_S7_S7_PKS6_S9_S9_S9_S9_ffiiiiiiiiiiiii,comdat
.Lfunc_end323:
	.size	_ZN5aiter35fused_qk_rmsnorm_group_quant_kernelIDF16_N4opus5fp4_tELi128ELi8ELi16ELb0ELb1ELb1ELb1ELb0ELb0EEEvPT0_PvPT_S7_S7_PKS6_S9_S9_S9_S9_ffiiiiiiiiiiiii, .Lfunc_end323-_ZN5aiter35fused_qk_rmsnorm_group_quant_kernelIDF16_N4opus5fp4_tELi128ELi8ELi16ELb0ELb1ELb1ELb1ELb0ELb0EEEvPT0_PvPT_S7_S7_PKS6_S9_S9_S9_S9_ffiiiiiiiiiiiii
                                        ; -- End function
	.section	.AMDGPU.csdata,"",@progbits
; Kernel info:
; codeLenInByte = 2068
; NumSgprs: 36
; NumVgprs: 23
; NumAgprs: 0
; TotalNumVgprs: 23
; ScratchSize: 0
; MemoryBound: 0
; FloatMode: 240
; IeeeMode: 1
; LDSByteSize: 16 bytes/workgroup (compile time only)
; SGPRBlocks: 4
; VGPRBlocks: 2
; NumSGPRsForWavesPerEU: 36
; NumVGPRsForWavesPerEU: 23
; AccumOffset: 24
; Occupancy: 8
; WaveLimiterHint : 0
; COMPUTE_PGM_RSRC2:SCRATCH_EN: 0
; COMPUTE_PGM_RSRC2:USER_SGPR: 6
; COMPUTE_PGM_RSRC2:TRAP_HANDLER: 0
; COMPUTE_PGM_RSRC2:TGID_X_EN: 1
; COMPUTE_PGM_RSRC2:TGID_Y_EN: 1
; COMPUTE_PGM_RSRC2:TGID_Z_EN: 0
; COMPUTE_PGM_RSRC2:TIDIG_COMP_CNT: 0
; COMPUTE_PGM_RSRC3_GFX90A:ACCUM_OFFSET: 5
; COMPUTE_PGM_RSRC3_GFX90A:TG_SPLIT: 0
	.section	.text._ZN5aiter35fused_qk_rmsnorm_group_quant_kernelItN4opus5fp4_tELi128ELi8ELi16ELb0ELb1ELb1ELb1ELb0ELb0EEEvPT0_PvPT_S7_S7_PKS6_S9_S9_S9_S9_ffiiiiiiiiiiiii,"axG",@progbits,_ZN5aiter35fused_qk_rmsnorm_group_quant_kernelItN4opus5fp4_tELi128ELi8ELi16ELb0ELb1ELb1ELb1ELb0ELb0EEEvPT0_PvPT_S7_S7_PKS6_S9_S9_S9_S9_ffiiiiiiiiiiiii,comdat
	.protected	_ZN5aiter35fused_qk_rmsnorm_group_quant_kernelItN4opus5fp4_tELi128ELi8ELi16ELb0ELb1ELb1ELb1ELb0ELb0EEEvPT0_PvPT_S7_S7_PKS6_S9_S9_S9_S9_ffiiiiiiiiiiiii ; -- Begin function _ZN5aiter35fused_qk_rmsnorm_group_quant_kernelItN4opus5fp4_tELi128ELi8ELi16ELb0ELb1ELb1ELb1ELb0ELb0EEEvPT0_PvPT_S7_S7_PKS6_S9_S9_S9_S9_ffiiiiiiiiiiiii
	.globl	_ZN5aiter35fused_qk_rmsnorm_group_quant_kernelItN4opus5fp4_tELi128ELi8ELi16ELb0ELb1ELb1ELb1ELb0ELb0EEEvPT0_PvPT_S7_S7_PKS6_S9_S9_S9_S9_ffiiiiiiiiiiiii
	.p2align	8
	.type	_ZN5aiter35fused_qk_rmsnorm_group_quant_kernelItN4opus5fp4_tELi128ELi8ELi16ELb0ELb1ELb1ELb1ELb0ELb0EEEvPT0_PvPT_S7_S7_PKS6_S9_S9_S9_S9_ffiiiiiiiiiiiii,@function
_ZN5aiter35fused_qk_rmsnorm_group_quant_kernelItN4opus5fp4_tELi128ELi8ELi16ELb0ELb1ELb1ELb1ELb0ELb0EEEvPT0_PvPT_S7_S7_PKS6_S9_S9_S9_S9_ffiiiiiiiiiiiii: ; @_ZN5aiter35fused_qk_rmsnorm_group_quant_kernelItN4opus5fp4_tELi128ELi8ELi16ELb0ELb1ELb1ELb1ELb0ELb0EEEvPT0_PvPT_S7_S7_PKS6_S9_S9_S9_S9_ffiiiiiiiiiiiii
; %bb.0:
	s_load_dwordx4 s[12:15], s[4:5], 0x50
	s_waitcnt lgkmcnt(0)
	s_cmp_ge_i32 s6, s14
	s_cbranch_scc1 .LBB324_10
; %bb.1:
	s_load_dwordx2 s[24:25], s[4:5], 0x30
	s_load_dwordx2 s[8:9], s[4:5], 0x48
	s_load_dwordx4 s[16:19], s[4:5], 0x60
	s_cmp_lg_u32 s7, 0
	s_cselect_b64 s[10:11], -1, 0
	s_cmp_eq_u32 s7, 0
	s_cselect_b64 vcc, -1, 0
	s_and_b64 s[0:1], vcc, exec
	s_waitcnt lgkmcnt(0)
	s_cselect_b32 s7, s15, s16
	s_add_i32 s0, s7, 1
	s_lshr_b32 s1, s0, 31
	s_add_i32 s0, s0, s1
	s_lshl_b32 s0, s0, 1
	v_lshlrev_b32_e32 v1, 3, v0
	s_and_b32 s22, s0, -4
	v_cmp_gt_i32_e64 s[2:3], s7, v1
	v_mov_b32_e32 v2, 0
	v_mov_b32_e32 v3, 0
	v_mov_b32_e32 v4, 0
	v_mov_b32_e32 v5, 0
	v_mov_b32_e32 v6, 0
	v_mov_b32_e32 v7, 0
	v_mov_b32_e32 v8, 0
	v_mov_b32_e32 v9, 0
	s_and_saveexec_b64 s[0:1], s[2:3]
	s_cbranch_execz .LBB324_3
; %bb.2:
	s_load_dwordx2 s[14:15], s[4:5], 0x28
	s_load_dwordx2 s[20:21], s[4:5], 0x40
	s_and_b64 s[26:27], vcc, exec
	s_cselect_b32 s17, s17, s18
	v_lshlrev_b32_e32 v10, 4, v0
	s_waitcnt lgkmcnt(0)
	s_cselect_b32 s19, s15, s25
	s_cselect_b32 s23, s14, s24
	s_mul_hi_i32 s15, s17, s6
	s_mul_i32 s14, s17, s6
	s_lshl_b64 s[14:15], s[14:15], 1
	s_add_u32 s28, s23, s14
	s_addc_u32 s17, s19, s15
	s_and_b64 s[14:15], vcc, exec
	s_mov_b32 s23, 0x20000
	s_cselect_b32 s20, s20, s8
	s_cselect_b32 s14, s21, s9
	s_and_b32 s29, s17, 0xffff
	s_mov_b32 s30, s22
	s_mov_b32 s31, s23
	s_and_b32 s21, s14, 0xffff
	buffer_load_dwordx4 v[6:9], v10, s[28:31], 0 offen glc slc
	buffer_load_dwordx4 v[2:5], v10, s[20:23], 0 offen
.LBB324_3:
	s_or_b64 exec, exec, s[0:1]
	s_waitcnt vmcnt(1)
	v_cvt_f32_u32_sdwa v14, v6 dst_sel:DWORD dst_unused:UNUSED_PAD src0_sel:WORD_0
	v_cvt_f32_u32_sdwa v15, v6 dst_sel:DWORD dst_unused:UNUSED_PAD src0_sel:WORD_1
	v_cvt_f32_u32_sdwa v6, v9 dst_sel:DWORD dst_unused:UNUSED_PAD src0_sel:WORD_1
	v_cvt_f32_u32_sdwa v9, v9 dst_sel:DWORD dst_unused:UNUSED_PAD src0_sel:WORD_0
	v_cvt_f32_u32_sdwa v10, v8 dst_sel:DWORD dst_unused:UNUSED_PAD src0_sel:WORD_1
	v_cvt_f32_u32_sdwa v8, v8 dst_sel:DWORD dst_unused:UNUSED_PAD src0_sel:WORD_0
	v_cvt_f32_u32_sdwa v12, v7 dst_sel:DWORD dst_unused:UNUSED_PAD src0_sel:WORD_0
	v_cvt_f32_u32_sdwa v13, v7 dst_sel:DWORD dst_unused:UNUSED_PAD src0_sel:WORD_1
	v_cndmask_b32_e64 v7, 0, v6, s[2:3]
	v_cndmask_b32_e64 v6, 0, v9, s[2:3]
	;; [unrolled: 1-line block ×6, first 2 shown]
	v_mul_f32_e32 v14, v9, v9
	v_cndmask_b32_e64 v12, 0, v12, s[2:3]
	v_fmac_f32_e32 v14, v8, v8
	v_cndmask_b32_e64 v13, 0, v13, s[2:3]
	v_fmac_f32_e32 v14, v12, v12
	v_fmac_f32_e32 v14, v13, v13
	;; [unrolled: 1-line block ×6, first 2 shown]
	v_and_b32_e32 v16, 63, v0
	v_cmp_eq_u32_e64 s[0:1], 63, v16
	v_mov_b32_dpp v15, v14 quad_perm:[1,0,3,2] row_mask:0xf bank_mask:0xf
	v_add_f32_e32 v14, v14, v15
	s_nop 1
	v_mov_b32_dpp v15, v14 quad_perm:[2,3,0,1] row_mask:0xf bank_mask:0xf
	v_add_f32_e32 v14, v14, v15
	s_nop 1
	v_mov_b32_dpp v15, v14 row_half_mirror row_mask:0xf bank_mask:0xf
	v_add_f32_e32 v14, v14, v15
	s_nop 1
	v_mov_b32_dpp v15, v14 row_mirror row_mask:0xf bank_mask:0xf
	v_add_f32_e32 v14, v14, v15
	s_nop 1
	v_mov_b32_dpp v15, v14 row_bcast:15 row_mask:0xf bank_mask:0xf
	v_add_f32_e32 v14, v14, v15
	s_nop 1
	v_mov_b32_dpp v15, v14 row_bcast:31 row_mask:0xf bank_mask:0xf
	s_and_saveexec_b64 s[14:15], s[0:1]
	s_cbranch_execz .LBB324_5
; %bb.4:
	v_add_f32_e32 v14, v14, v15
	v_lshrrev_b32_e32 v15, 4, v0
	v_and_b32_e32 v15, 60, v15
	ds_write_b32 v15, v14 offset:8
.LBB324_5:
	s_or_b64 exec, exec, s[14:15]
	v_and_b32_e32 v14, 1, v0
	v_lshlrev_b32_e32 v14, 2, v14
	s_waitcnt lgkmcnt(0)
	s_barrier
	ds_read_b32 v15, v14 offset:8
	s_load_dwordx2 s[14:15], s[4:5], 0x18
	s_waitcnt lgkmcnt(0)
	v_mov_b32_dpp v16, v15 quad_perm:[1,0,3,2] row_mask:0xf bank_mask:0xf
	s_and_saveexec_b64 s[20:21], s[2:3]
	s_cbranch_execz .LBB324_7
; %bb.6:
	v_cvt_f32_u32_e32 v17, s7
	v_add_f32_e32 v15, v15, v16
	v_mov_b32_e32 v19, s13
	v_mov_b32_e32 v20, s12
	v_div_scale_f32 v16, s[26:27], v17, v17, v15
	v_rcp_f32_e32 v18, v16
	v_cndmask_b32_e32 v19, v19, v20, vcc
	s_mov_b32 s7, 0x800000
	v_fma_f32 v20, -v16, v18, 1.0
	v_fmac_f32_e32 v18, v20, v18
	v_div_scale_f32 v20, vcc, v15, v17, v15
	v_mul_f32_e32 v21, v20, v18
	v_fma_f32 v22, -v16, v21, v20
	v_fmac_f32_e32 v21, v22, v18
	v_fma_f32 v16, -v16, v21, v20
	v_div_fmas_f32 v16, v16, v18, v21
	v_div_fixup_f32 v15, v16, v17, v15
	v_add_f32_e32 v15, v19, v15
	v_mul_f32_e32 v16, 0x4b800000, v15
	v_cmp_gt_f32_e32 vcc, s7, v15
	v_cndmask_b32_e32 v15, v15, v16, vcc
	v_rsq_f32_e32 v15, v15
	s_waitcnt vmcnt(0)
	v_cvt_f32_u32_sdwa v19, v2 dst_sel:DWORD dst_unused:UNUSED_PAD src0_sel:WORD_1
	v_cvt_f32_u32_sdwa v18, v2 dst_sel:DWORD dst_unused:UNUSED_PAD src0_sel:WORD_0
	v_cvt_f32_u32_sdwa v21, v3 dst_sel:DWORD dst_unused:UNUSED_PAD src0_sel:WORD_1
	v_mul_f32_e32 v16, 0x45800000, v15
	v_cndmask_b32_e32 v16, v15, v16, vcc
	v_mov_b32_e32 v17, v16
	;;#ASMSTART
	v_pk_mul_f32 v[8:9], v[8:9], v[16:17]
	;;#ASMEND
	;;#ASMSTART
	v_pk_mul_f32 v[12:13], v[12:13], v[16:17]
	;;#ASMEND
	;; [unrolled: 3-line block ×3, first 2 shown]
	v_cvt_f32_u32_sdwa v20, v3 dst_sel:DWORD dst_unused:UNUSED_PAD src0_sel:WORD_0
	;;#ASMSTART
	v_pk_mul_f32 v[2:3], v[6:7], v[16:17]
	;;#ASMEND
	v_cvt_f32_u32_sdwa v17, v4 dst_sel:DWORD dst_unused:UNUSED_PAD src0_sel:WORD_1
	v_cvt_f32_u32_sdwa v16, v4 dst_sel:DWORD dst_unused:UNUSED_PAD src0_sel:WORD_0
	v_pk_add_f32 v[6:7], v[18:19], 1.0 op_sel_hi:[1,0]
	v_cvt_f32_u32_sdwa v19, v5 dst_sel:DWORD dst_unused:UNUSED_PAD src0_sel:WORD_1
	v_cvt_f32_u32_sdwa v18, v5 dst_sel:DWORD dst_unused:UNUSED_PAD src0_sel:WORD_0
	;;#ASMSTART
	v_pk_mul_f32 v[8:9], v[8:9], v[6:7]
	;;#ASMEND
	v_pk_add_f32 v[6:7], v[20:21], 1.0 op_sel_hi:[1,0]
	v_pk_add_f32 v[4:5], v[16:17], 1.0 op_sel_hi:[1,0]
	;;#ASMSTART
	v_pk_mul_f32 v[12:13], v[12:13], v[6:7]
	;;#ASMEND
	;;#ASMSTART
	v_pk_mul_f32 v[10:11], v[10:11], v[4:5]
	;;#ASMEND
	v_pk_add_f32 v[4:5], v[18:19], 1.0 op_sel_hi:[1,0]
	;;#ASMSTART
	v_pk_mul_f32 v[6:7], v[2:3], v[4:5]
	;;#ASMEND
.LBB324_7:
	s_or_b64 exec, exec, s[20:21]
	s_load_dwordx2 s[26:27], s[4:5], 0x7c
	s_mov_b64 s[20:21], -1
	s_and_b64 vcc, exec, s[10:11]
	s_cbranch_vccnz .LBB324_11
; %bb.8:
	s_andn2_b64 vcc, exec, s[20:21]
	s_cbranch_vccz .LBB324_14
.LBB324_9:
	s_cmp_lt_i32 s16, 1
	s_cbranch_scc0 .LBB324_17
.LBB324_10:
	s_endpgm
.LBB324_11:
	s_and_saveexec_b64 s[10:11], s[2:3]
	s_cbranch_execz .LBB324_13
; %bb.12:
	s_waitcnt lgkmcnt(0)
	s_mul_hi_i32 s21, s27, s6
	s_mul_i32 s20, s27, s6
	s_lshl_b64 s[20:21], s[20:21], 1
	s_add_u32 s20, s14, s20
	s_addc_u32 s7, s15, s21
	s_and_b32 s21, s7, 0xffff
	s_mov_b32 s7, 0x7060302
	s_mov_b32 s23, 0x20000
	s_waitcnt vmcnt(0)
	v_perm_b32 v2, v9, v8, s7
	v_perm_b32 v3, v13, v12, s7
	;; [unrolled: 1-line block ×4, first 2 shown]
	v_lshlrev_b32_e32 v15, 4, v0
	buffer_store_dwordx4 v[2:5], v15, s[20:23], 0 offen
	;;#ASMSTART
	s_nop 0
	;;#ASMEND
.LBB324_13:
	s_or_b64 exec, exec, s[10:11]
	s_cbranch_execnz .LBB324_9
.LBB324_14:
	s_and_saveexec_b64 s[10:11], s[2:3]
	s_cbranch_execz .LBB324_16
; %bb.15:
	s_load_dwordx2 s[2:3], s[4:5], 0x10
	s_waitcnt lgkmcnt(0)
	s_mul_hi_i32 s21, s26, s6
	s_mul_i32 s20, s26, s6
	s_lshl_b64 s[20:21], s[20:21], 1
	s_mov_b32 s23, 0x20000
	s_add_u32 s20, s2, s20
	s_addc_u32 s2, s3, s21
	s_and_b32 s21, s2, 0xffff
	s_mov_b32 s2, 0x7060302
	s_waitcnt vmcnt(0)
	v_perm_b32 v2, v9, v8, s2
	v_perm_b32 v3, v13, v12, s2
	;; [unrolled: 1-line block ×4, first 2 shown]
	v_lshlrev_b32_e32 v6, 4, v0
	buffer_store_dwordx4 v[2:5], v6, s[20:23], 0 offen
	;;#ASMSTART
	s_nop 0
	;;#ASMEND
.LBB324_16:
	s_or_b64 exec, exec, s[10:11]
	s_cmp_lt_i32 s16, 1
	s_cbranch_scc1 .LBB324_10
.LBB324_17:
	s_load_dword s2, s[4:5], 0x94
	s_waitcnt lgkmcnt(0)
	s_cmp_lg_u32 s2, 1
	s_cbranch_scc1 .LBB324_10
; %bb.18:
	s_lshl_b32 s2, s16, 1
	s_add_i32 s2, s2, 2
	v_cmp_gt_u32_e32 vcc, s16, v1
	s_and_b32 s10, s2, -4
	v_mov_b32_e32 v6, 0
	v_lshlrev_b32_e32 v1, 4, v0
	v_mov_b32_e32 v7, 0
	v_mov_b32_e32 v8, 0
	;; [unrolled: 1-line block ×3, first 2 shown]
	s_waitcnt vmcnt(0)
	v_mov_b32_e32 v2, 0
	v_mov_b32_e32 v3, 0
	;; [unrolled: 1-line block ×4, first 2 shown]
	s_barrier
	s_and_saveexec_b64 s[2:3], vcc
	s_cbranch_execz .LBB324_20
; %bb.19:
	s_mul_hi_i32 s5, s18, s6
	s_mul_i32 s4, s18, s6
	s_and_b32 s9, s9, 0xffff
	s_lshl_b64 s[4:5], s[4:5], 1
	s_add_u32 s20, s24, s4
	s_mov_b32 s11, 0x20000
	s_addc_u32 s4, s25, s5
	s_and_b32 s21, s4, 0xffff
	s_mov_b32 s22, s10
	s_mov_b32 s23, s11
	buffer_load_dwordx4 v[6:9], v1, s[20:23], 0 offen glc slc
	buffer_load_dwordx4 v[2:5], v1, s[8:11], 0 offen
.LBB324_20:
	s_or_b64 exec, exec, s[2:3]
	s_waitcnt vmcnt(1)
	v_cvt_f32_u32_sdwa v13, v6 dst_sel:DWORD dst_unused:UNUSED_PAD src0_sel:WORD_1
	v_cvt_f32_u32_sdwa v12, v6 dst_sel:DWORD dst_unused:UNUSED_PAD src0_sel:WORD_0
	v_cvt_f32_u32_sdwa v6, v9 dst_sel:DWORD dst_unused:UNUSED_PAD src0_sel:WORD_1
	v_cvt_f32_u32_sdwa v9, v9 dst_sel:DWORD dst_unused:UNUSED_PAD src0_sel:WORD_0
	;; [unrolled: 2-line block ×4, first 2 shown]
	v_cndmask_b32_e32 v13, 0, v13, vcc
	v_cndmask_b32_e32 v7, 0, v6, vcc
	;; [unrolled: 1-line block ×5, first 2 shown]
	v_mul_f32_e32 v15, v13, v13
	v_cndmask_b32_e32 v10, 0, v10, vcc
	v_fmac_f32_e32 v15, v12, v12
	v_cndmask_b32_e32 v11, 0, v11, vcc
	v_fmac_f32_e32 v15, v10, v10
	;; [unrolled: 2-line block ×3, first 2 shown]
	v_fmac_f32_e32 v15, v8, v8
	v_fmac_f32_e32 v15, v9, v9
	;; [unrolled: 1-line block ×4, first 2 shown]
	s_nop 1
	v_mov_b32_dpp v16, v15 quad_perm:[1,0,3,2] row_mask:0xf bank_mask:0xf
	v_add_f32_e32 v15, v15, v16
	s_nop 1
	v_mov_b32_dpp v16, v15 quad_perm:[2,3,0,1] row_mask:0xf bank_mask:0xf
	v_add_f32_e32 v15, v15, v16
	s_nop 1
	v_mov_b32_dpp v16, v15 row_half_mirror row_mask:0xf bank_mask:0xf
	v_add_f32_e32 v15, v15, v16
	s_nop 1
	v_mov_b32_dpp v16, v15 row_mirror row_mask:0xf bank_mask:0xf
	v_add_f32_e32 v15, v15, v16
	s_nop 1
	v_mov_b32_dpp v16, v15 row_bcast:15 row_mask:0xf bank_mask:0xf
	v_add_f32_e32 v15, v15, v16
	s_nop 1
	v_mov_b32_dpp v16, v15 row_bcast:31 row_mask:0xf bank_mask:0xf
	s_and_saveexec_b64 s[2:3], s[0:1]
	s_cbranch_execz .LBB324_22
; %bb.21:
	v_lshrrev_b32_e32 v0, 4, v0
	v_add_f32_e32 v15, v15, v16
	v_and_b32_e32 v0, 60, v0
	ds_write_b32 v0, v15
.LBB324_22:
	s_or_b64 exec, exec, s[2:3]
	s_waitcnt lgkmcnt(0)
	s_barrier
	ds_read_b32 v0, v14
	s_waitcnt lgkmcnt(0)
	s_nop 0
	v_mov_b32_dpp v14, v0 quad_perm:[1,0,3,2] row_mask:0xf bank_mask:0xf
	s_and_saveexec_b64 s[0:1], vcc
	s_cbranch_execz .LBB324_10
; %bb.23:
	v_cvt_f32_u32_e32 v15, s16
	v_add_f32_e32 v0, v0, v14
	s_mov_b32 s11, 0x20000
	v_div_scale_f32 v14, s[0:1], v15, v15, v0
	v_rcp_f32_e32 v16, v14
	v_div_scale_f32 v17, vcc, v0, v15, v0
	s_mov_b32 s0, 0x800000
	v_fma_f32 v18, -v14, v16, 1.0
	v_fmac_f32_e32 v16, v18, v16
	v_mul_f32_e32 v18, v17, v16
	v_fma_f32 v19, -v14, v18, v17
	v_fmac_f32_e32 v18, v19, v16
	v_fma_f32 v14, -v14, v18, v17
	v_div_fmas_f32 v14, v14, v16, v18
	v_div_fixup_f32 v0, v14, v15, v0
	v_add_f32_e32 v0, s13, v0
	v_mul_f32_e32 v14, 0x4b800000, v0
	v_cmp_gt_f32_e32 vcc, s0, v0
	v_cndmask_b32_e32 v0, v0, v14, vcc
	v_rsq_f32_e32 v0, v0
	s_waitcnt vmcnt(0)
	v_cvt_f32_u32_sdwa v17, v2 dst_sel:DWORD dst_unused:UNUSED_PAD src0_sel:WORD_1
	v_cvt_f32_u32_sdwa v16, v2 dst_sel:DWORD dst_unused:UNUSED_PAD src0_sel:WORD_0
	v_cvt_f32_u32_sdwa v19, v3 dst_sel:DWORD dst_unused:UNUSED_PAD src0_sel:WORD_1
	v_mul_f32_e32 v14, 0x45800000, v0
	v_cndmask_b32_e32 v14, v0, v14, vcc
	v_mov_b32_e32 v15, v14
	;;#ASMSTART
	v_pk_mul_f32 v[12:13], v[12:13], v[14:15]
	;;#ASMEND
	;;#ASMSTART
	v_pk_mul_f32 v[10:11], v[10:11], v[14:15]
	;;#ASMEND
	;; [unrolled: 3-line block ×3, first 2 shown]
	v_cvt_f32_u32_sdwa v18, v3 dst_sel:DWORD dst_unused:UNUSED_PAD src0_sel:WORD_0
	;;#ASMSTART
	v_pk_mul_f32 v[2:3], v[6:7], v[14:15]
	;;#ASMEND
	v_cvt_f32_u32_sdwa v15, v4 dst_sel:DWORD dst_unused:UNUSED_PAD src0_sel:WORD_1
	v_cvt_f32_u32_sdwa v14, v4 dst_sel:DWORD dst_unused:UNUSED_PAD src0_sel:WORD_0
	v_pk_add_f32 v[6:7], v[16:17], 1.0 op_sel_hi:[1,0]
	v_cvt_f32_u32_sdwa v17, v5 dst_sel:DWORD dst_unused:UNUSED_PAD src0_sel:WORD_1
	v_cvt_f32_u32_sdwa v16, v5 dst_sel:DWORD dst_unused:UNUSED_PAD src0_sel:WORD_0
	s_mul_hi_i32 s1, s27, s6
	s_mul_i32 s0, s27, s6
	s_lshl_b64 s[0:1], s[0:1], 1
	s_add_u32 s8, s14, s0
	;;#ASMSTART
	v_pk_mul_f32 v[6:7], v[12:13], v[6:7]
	;;#ASMEND
	v_pk_add_f32 v[12:13], v[18:19], 1.0 op_sel_hi:[1,0]
	;;#ASMSTART
	v_pk_mul_f32 v[4:5], v[10:11], v[12:13]
	;;#ASMEND
	v_pk_add_f32 v[10:11], v[14:15], 1.0 op_sel_hi:[1,0]
	s_addc_u32 s0, s15, s1
	;;#ASMSTART
	v_pk_mul_f32 v[8:9], v[8:9], v[10:11]
	;;#ASMEND
	v_pk_add_f32 v[10:11], v[16:17], 1.0 op_sel_hi:[1,0]
	s_and_b32 s9, s0, 0xffff
	s_mov_b32 s0, 0x7060302
	;;#ASMSTART
	v_pk_mul_f32 v[10:11], v[2:3], v[10:11]
	;;#ASMEND
	v_perm_b32 v2, v7, v6, s0
	v_perm_b32 v3, v5, v4, s0
	;; [unrolled: 1-line block ×4, first 2 shown]
	buffer_store_dwordx4 v[2:5], v1, s[8:11], 0 offen
	;;#ASMSTART
	s_nop 0
	;;#ASMEND
	s_endpgm
	.section	.rodata,"a",@progbits
	.p2align	6, 0x0
	.amdhsa_kernel _ZN5aiter35fused_qk_rmsnorm_group_quant_kernelItN4opus5fp4_tELi128ELi8ELi16ELb0ELb1ELb1ELb1ELb0ELb0EEEvPT0_PvPT_S7_S7_PKS6_S9_S9_S9_S9_ffiiiiiiiiiiiii
		.amdhsa_group_segment_fixed_size 16
		.amdhsa_private_segment_fixed_size 0
		.amdhsa_kernarg_size 400
		.amdhsa_user_sgpr_count 6
		.amdhsa_user_sgpr_private_segment_buffer 1
		.amdhsa_user_sgpr_dispatch_ptr 0
		.amdhsa_user_sgpr_queue_ptr 0
		.amdhsa_user_sgpr_kernarg_segment_ptr 1
		.amdhsa_user_sgpr_dispatch_id 0
		.amdhsa_user_sgpr_flat_scratch_init 0
		.amdhsa_user_sgpr_kernarg_preload_length 0
		.amdhsa_user_sgpr_kernarg_preload_offset 0
		.amdhsa_user_sgpr_private_segment_size 0
		.amdhsa_uses_dynamic_stack 0
		.amdhsa_system_sgpr_private_segment_wavefront_offset 0
		.amdhsa_system_sgpr_workgroup_id_x 1
		.amdhsa_system_sgpr_workgroup_id_y 1
		.amdhsa_system_sgpr_workgroup_id_z 0
		.amdhsa_system_sgpr_workgroup_info 0
		.amdhsa_system_vgpr_workitem_id 0
		.amdhsa_next_free_vgpr 23
		.amdhsa_next_free_sgpr 32
		.amdhsa_accum_offset 24
		.amdhsa_reserve_vcc 1
		.amdhsa_reserve_flat_scratch 0
		.amdhsa_float_round_mode_32 0
		.amdhsa_float_round_mode_16_64 0
		.amdhsa_float_denorm_mode_32 3
		.amdhsa_float_denorm_mode_16_64 3
		.amdhsa_dx10_clamp 1
		.amdhsa_ieee_mode 1
		.amdhsa_fp16_overflow 0
		.amdhsa_tg_split 0
		.amdhsa_exception_fp_ieee_invalid_op 0
		.amdhsa_exception_fp_denorm_src 0
		.amdhsa_exception_fp_ieee_div_zero 0
		.amdhsa_exception_fp_ieee_overflow 0
		.amdhsa_exception_fp_ieee_underflow 0
		.amdhsa_exception_fp_ieee_inexact 0
		.amdhsa_exception_int_div_zero 0
	.end_amdhsa_kernel
	.section	.text._ZN5aiter35fused_qk_rmsnorm_group_quant_kernelItN4opus5fp4_tELi128ELi8ELi16ELb0ELb1ELb1ELb1ELb0ELb0EEEvPT0_PvPT_S7_S7_PKS6_S9_S9_S9_S9_ffiiiiiiiiiiiii,"axG",@progbits,_ZN5aiter35fused_qk_rmsnorm_group_quant_kernelItN4opus5fp4_tELi128ELi8ELi16ELb0ELb1ELb1ELb1ELb0ELb0EEEvPT0_PvPT_S7_S7_PKS6_S9_S9_S9_S9_ffiiiiiiiiiiiii,comdat
.Lfunc_end324:
	.size	_ZN5aiter35fused_qk_rmsnorm_group_quant_kernelItN4opus5fp4_tELi128ELi8ELi16ELb0ELb1ELb1ELb1ELb0ELb0EEEvPT0_PvPT_S7_S7_PKS6_S9_S9_S9_S9_ffiiiiiiiiiiiii, .Lfunc_end324-_ZN5aiter35fused_qk_rmsnorm_group_quant_kernelItN4opus5fp4_tELi128ELi8ELi16ELb0ELb1ELb1ELb1ELb0ELb0EEEvPT0_PvPT_S7_S7_PKS6_S9_S9_S9_S9_ffiiiiiiiiiiiii
                                        ; -- End function
	.section	.AMDGPU.csdata,"",@progbits
; Kernel info:
; codeLenInByte = 2060
; NumSgprs: 36
; NumVgprs: 23
; NumAgprs: 0
; TotalNumVgprs: 23
; ScratchSize: 0
; MemoryBound: 0
; FloatMode: 240
; IeeeMode: 1
; LDSByteSize: 16 bytes/workgroup (compile time only)
; SGPRBlocks: 4
; VGPRBlocks: 2
; NumSGPRsForWavesPerEU: 36
; NumVGPRsForWavesPerEU: 23
; AccumOffset: 24
; Occupancy: 8
; WaveLimiterHint : 0
; COMPUTE_PGM_RSRC2:SCRATCH_EN: 0
; COMPUTE_PGM_RSRC2:USER_SGPR: 6
; COMPUTE_PGM_RSRC2:TRAP_HANDLER: 0
; COMPUTE_PGM_RSRC2:TGID_X_EN: 1
; COMPUTE_PGM_RSRC2:TGID_Y_EN: 1
; COMPUTE_PGM_RSRC2:TGID_Z_EN: 0
; COMPUTE_PGM_RSRC2:TIDIG_COMP_CNT: 0
; COMPUTE_PGM_RSRC3_GFX90A:ACCUM_OFFSET: 5
; COMPUTE_PGM_RSRC3_GFX90A:TG_SPLIT: 0
	.section	.text._ZN5aiter35fused_qk_rmsnorm_group_quant_kernelIDF16_DB8_Li128ELi8ELi16ELb0ELb1ELb0ELb1ELb0ELb0EEEvPT0_PvPT_S6_S6_PKS5_S8_S8_S8_S8_ffiiiiiiiiiiiii,"axG",@progbits,_ZN5aiter35fused_qk_rmsnorm_group_quant_kernelIDF16_DB8_Li128ELi8ELi16ELb0ELb1ELb0ELb1ELb0ELb0EEEvPT0_PvPT_S6_S6_PKS5_S8_S8_S8_S8_ffiiiiiiiiiiiii,comdat
	.protected	_ZN5aiter35fused_qk_rmsnorm_group_quant_kernelIDF16_DB8_Li128ELi8ELi16ELb0ELb1ELb0ELb1ELb0ELb0EEEvPT0_PvPT_S6_S6_PKS5_S8_S8_S8_S8_ffiiiiiiiiiiiii ; -- Begin function _ZN5aiter35fused_qk_rmsnorm_group_quant_kernelIDF16_DB8_Li128ELi8ELi16ELb0ELb1ELb0ELb1ELb0ELb0EEEvPT0_PvPT_S6_S6_PKS5_S8_S8_S8_S8_ffiiiiiiiiiiiii
	.globl	_ZN5aiter35fused_qk_rmsnorm_group_quant_kernelIDF16_DB8_Li128ELi8ELi16ELb0ELb1ELb0ELb1ELb0ELb0EEEvPT0_PvPT_S6_S6_PKS5_S8_S8_S8_S8_ffiiiiiiiiiiiii
	.p2align	8
	.type	_ZN5aiter35fused_qk_rmsnorm_group_quant_kernelIDF16_DB8_Li128ELi8ELi16ELb0ELb1ELb0ELb1ELb0ELb0EEEvPT0_PvPT_S6_S6_PKS5_S8_S8_S8_S8_ffiiiiiiiiiiiii,@function
_ZN5aiter35fused_qk_rmsnorm_group_quant_kernelIDF16_DB8_Li128ELi8ELi16ELb0ELb1ELb0ELb1ELb0ELb0EEEvPT0_PvPT_S6_S6_PKS5_S8_S8_S8_S8_ffiiiiiiiiiiiii: ; @_ZN5aiter35fused_qk_rmsnorm_group_quant_kernelIDF16_DB8_Li128ELi8ELi16ELb0ELb1ELb0ELb1ELb0ELb0EEEvPT0_PvPT_S6_S6_PKS5_S8_S8_S8_S8_ffiiiiiiiiiiiii
; %bb.0:
	s_load_dwordx4 s[12:15], s[4:5], 0x50
	s_waitcnt lgkmcnt(0)
	s_cmp_ge_i32 s6, s14
	s_cbranch_scc1 .LBB325_12
; %bb.1:
	s_load_dwordx2 s[24:25], s[4:5], 0x30
	s_load_dwordx2 s[8:9], s[4:5], 0x48
	s_load_dwordx4 s[16:19], s[4:5], 0x60
	s_cmp_lg_u32 s7, 0
	s_cselect_b64 s[10:11], -1, 0
	s_cmp_eq_u32 s7, 0
	s_cselect_b64 vcc, -1, 0
	s_and_b64 s[0:1], vcc, exec
	s_waitcnt lgkmcnt(0)
	s_cselect_b32 s7, s15, s16
	s_add_i32 s0, s7, 1
	s_lshr_b32 s1, s0, 31
	s_add_i32 s0, s0, s1
	s_lshl_b32 s0, s0, 1
	v_lshlrev_b32_e32 v1, 3, v0
	s_and_b32 s22, s0, -4
	v_cmp_gt_i32_e64 s[2:3], s7, v1
	v_mov_b32_e32 v10, 0
	v_mov_b32_e32 v2, 0
	;; [unrolled: 1-line block ×9, first 2 shown]
	s_and_saveexec_b64 s[0:1], s[2:3]
	s_cbranch_execz .LBB325_3
; %bb.2:
	s_load_dwordx2 s[14:15], s[4:5], 0x28
	s_load_dwordx2 s[20:21], s[4:5], 0x40
	s_and_b64 s[26:27], vcc, exec
	s_cselect_b32 s17, s17, s18
	v_lshlrev_b32_e32 v11, 4, v0
	s_waitcnt lgkmcnt(0)
	s_cselect_b32 s19, s15, s25
	s_cselect_b32 s23, s14, s24
	s_mul_hi_i32 s15, s17, s6
	s_mul_i32 s14, s17, s6
	s_lshl_b64 s[14:15], s[14:15], 1
	s_add_u32 s28, s23, s14
	s_addc_u32 s17, s19, s15
	s_and_b64 s[14:15], vcc, exec
	s_mov_b32 s23, 0x20000
	s_cselect_b32 s20, s20, s8
	s_cselect_b32 s14, s21, s9
	s_and_b32 s29, s17, 0xffff
	s_mov_b32 s30, s22
	s_mov_b32 s31, s23
	s_and_b32 s21, s14, 0xffff
	buffer_load_dwordx4 v[6:9], v11, s[28:31], 0 offen glc slc
	buffer_load_dwordx4 v[2:5], v11, s[20:23], 0 offen
.LBB325_3:
	s_or_b64 exec, exec, s[0:1]
	v_mov_b32_e32 v11, 0
	v_mov_b32_e32 v12, 0
	;; [unrolled: 1-line block ×7, first 2 shown]
	s_and_saveexec_b64 s[0:1], s[2:3]
	s_cbranch_execz .LBB325_5
; %bb.4:
	s_waitcnt vmcnt(1)
	v_cvt_f32_f16_sdwa v11, v6 dst_sel:DWORD dst_unused:UNUSED_PAD src0_sel:WORD_1
	v_cvt_f32_f16_e32 v10, v6
	v_cvt_f32_f16_sdwa v13, v7 dst_sel:DWORD dst_unused:UNUSED_PAD src0_sel:WORD_1
	v_cvt_f32_f16_e32 v12, v7
	v_cvt_f32_f16_sdwa v15, v8 dst_sel:DWORD dst_unused:UNUSED_PAD src0_sel:WORD_1
	v_cvt_f32_f16_e32 v14, v8
	v_cvt_f32_f16_sdwa v17, v9 dst_sel:DWORD dst_unused:UNUSED_PAD src0_sel:WORD_1
	v_cvt_f32_f16_e32 v16, v9
.LBB325_5:
	s_or_b64 exec, exec, s[0:1]
	s_waitcnt vmcnt(1)
	v_mul_f32_e32 v6, v11, v11
	v_fmac_f32_e32 v6, v10, v10
	v_fmac_f32_e32 v6, v12, v12
	;; [unrolled: 1-line block ×7, first 2 shown]
	v_and_b32_e32 v8, 63, v0
	v_cmp_eq_u32_e64 s[0:1], 63, v8
	v_mov_b32_dpp v7, v6 quad_perm:[1,0,3,2] row_mask:0xf bank_mask:0xf
	v_add_f32_e32 v6, v6, v7
	s_nop 1
	v_mov_b32_dpp v7, v6 quad_perm:[2,3,0,1] row_mask:0xf bank_mask:0xf
	v_add_f32_e32 v6, v6, v7
	s_nop 1
	v_mov_b32_dpp v7, v6 row_half_mirror row_mask:0xf bank_mask:0xf
	v_add_f32_e32 v6, v6, v7
	s_nop 1
	v_mov_b32_dpp v7, v6 row_mirror row_mask:0xf bank_mask:0xf
	v_add_f32_e32 v6, v6, v7
	s_nop 1
	v_mov_b32_dpp v7, v6 row_bcast:15 row_mask:0xf bank_mask:0xf
	v_add_f32_e32 v6, v6, v7
	s_nop 1
	v_mov_b32_dpp v7, v6 row_bcast:31 row_mask:0xf bank_mask:0xf
	s_and_saveexec_b64 s[14:15], s[0:1]
	s_cbranch_execz .LBB325_7
; %bb.6:
	v_add_f32_e32 v6, v6, v7
	v_lshrrev_b32_e32 v7, 4, v0
	v_and_b32_e32 v7, 60, v7
	ds_write_b32 v7, v6 offset:8
.LBB325_7:
	s_or_b64 exec, exec, s[14:15]
	v_and_b32_e32 v6, 1, v0
	v_lshlrev_b32_e32 v18, 2, v6
	s_waitcnt lgkmcnt(0)
	s_barrier
	ds_read_b32 v6, v18 offset:8
	s_load_dwordx2 s[14:15], s[4:5], 0x18
	s_waitcnt lgkmcnt(0)
	v_mov_b32_dpp v7, v6 quad_perm:[1,0,3,2] row_mask:0xf bank_mask:0xf
	s_and_saveexec_b64 s[20:21], s[2:3]
	s_cbranch_execz .LBB325_9
; %bb.8:
	v_cvt_f32_u32_e32 v8, s7
	v_add_f32_e32 v6, v6, v7
	v_mov_b32_e32 v19, s13
	v_mov_b32_e32 v20, s12
	v_div_scale_f32 v7, s[26:27], v8, v8, v6
	v_rcp_f32_e32 v9, v7
	v_cndmask_b32_e32 v19, v19, v20, vcc
	s_mov_b32 s7, 0x800000
	v_fma_f32 v20, -v7, v9, 1.0
	v_fmac_f32_e32 v9, v20, v9
	v_div_scale_f32 v20, vcc, v6, v8, v6
	v_mul_f32_e32 v21, v20, v9
	v_fma_f32 v22, -v7, v21, v20
	v_fmac_f32_e32 v21, v22, v9
	v_fma_f32 v7, -v7, v21, v20
	v_div_fmas_f32 v7, v7, v9, v21
	v_div_fixup_f32 v6, v7, v8, v6
	v_add_f32_e32 v6, v19, v6
	v_mul_f32_e32 v7, 0x4b800000, v6
	v_cmp_gt_f32_e32 vcc, s7, v6
	v_cndmask_b32_e32 v6, v6, v7, vcc
	v_rsq_f32_e32 v6, v6
	s_waitcnt vmcnt(0)
	v_cvt_f32_f16_sdwa v21, v5 dst_sel:DWORD dst_unused:UNUSED_PAD src0_sel:WORD_1
	v_cvt_f32_f16_e32 v20, v5
	v_mul_f32_e32 v7, 0x45800000, v6
	v_cndmask_b32_e32 v6, v6, v7, vcc
	v_mov_b32_e32 v7, v6
	;;#ASMSTART
	v_pk_mul_f32 v[8:9], v[10:11], v[6:7]
	;;#ASMEND
	;;#ASMSTART
	v_pk_mul_f32 v[12:13], v[12:13], v[6:7]
	;;#ASMEND
	;; [unrolled: 3-line block ×4, first 2 shown]
	v_cvt_f32_f16_sdwa v11, v2 dst_sel:DWORD dst_unused:UNUSED_PAD src0_sel:WORD_1
	v_cvt_f32_f16_e32 v10, v2
	v_cvt_f32_f16_sdwa v17, v3 dst_sel:DWORD dst_unused:UNUSED_PAD src0_sel:WORD_1
	v_cvt_f32_f16_e32 v16, v3
	;; [unrolled: 2-line block ×3, first 2 shown]
	;;#ASMSTART
	v_pk_mul_f32 v[10:11], v[8:9], v[10:11]
	;;#ASMEND
	;;#ASMSTART
	v_pk_mul_f32 v[12:13], v[12:13], v[16:17]
	;;#ASMEND
	;; [unrolled: 3-line block ×4, first 2 shown]
.LBB325_9:
	s_or_b64 exec, exec, s[20:21]
	s_load_dwordx2 s[26:27], s[4:5], 0x7c
	s_mov_b64 s[20:21], -1
	s_and_b64 vcc, exec, s[10:11]
	s_cbranch_vccnz .LBB325_13
; %bb.10:
	s_andn2_b64 vcc, exec, s[20:21]
	s_cbranch_vccz .LBB325_16
.LBB325_11:
	s_cmp_lt_i32 s16, 1
	s_cbranch_scc0 .LBB325_19
.LBB325_12:
	s_endpgm
.LBB325_13:
	s_and_saveexec_b64 s[10:11], s[2:3]
	s_cbranch_execz .LBB325_15
; %bb.14:
	s_waitcnt lgkmcnt(0)
	s_mul_hi_i32 s21, s27, s6
	s_mul_i32 s20, s27, s6
	s_waitcnt vmcnt(0)
	v_cvt_f16_f32_e32 v2, v10
	v_cvt_f16_f32_e32 v3, v12
	;; [unrolled: 1-line block ×8, first 2 shown]
	s_lshl_b64 s[20:21], s[20:21], 1
	s_add_u32 s20, s14, s20
	s_addc_u32 s7, s15, s21
	s_and_b32 s21, s7, 0xffff
	s_mov_b32 s23, 0x20000
	v_pack_b32_f16 v5, v5, v6
	v_pack_b32_f16 v4, v4, v7
	;; [unrolled: 1-line block ×4, first 2 shown]
	v_lshlrev_b32_e32 v6, 4, v0
	buffer_store_dwordx4 v[2:5], v6, s[20:23], 0 offen
	;;#ASMSTART
	s_nop 0
	;;#ASMEND
.LBB325_15:
	s_or_b64 exec, exec, s[10:11]
	s_cbranch_execnz .LBB325_11
.LBB325_16:
	s_and_saveexec_b64 s[10:11], s[2:3]
	s_cbranch_execz .LBB325_18
; %bb.17:
	s_load_dwordx2 s[2:3], s[4:5], 0x10
	s_waitcnt lgkmcnt(0)
	s_mul_hi_i32 s21, s26, s6
	s_mul_i32 s20, s26, s6
	s_waitcnt vmcnt(0)
	v_cvt_f16_f32_e32 v2, v10
	v_cvt_f16_f32_e32 v3, v12
	;; [unrolled: 1-line block ×8, first 2 shown]
	s_lshl_b64 s[20:21], s[20:21], 1
	s_add_u32 s20, s2, s20
	s_addc_u32 s2, s3, s21
	s_mov_b32 s23, 0x20000
	s_and_b32 s21, s2, 0xffff
	v_pack_b32_f16 v5, v5, v6
	v_pack_b32_f16 v4, v4, v7
	v_pack_b32_f16 v3, v3, v8
	v_pack_b32_f16 v2, v2, v9
	v_lshlrev_b32_e32 v6, 4, v0
	buffer_store_dwordx4 v[2:5], v6, s[20:23], 0 offen
	;;#ASMSTART
	s_nop 0
	;;#ASMEND
.LBB325_18:
	s_or_b64 exec, exec, s[10:11]
	s_cmp_lt_i32 s16, 1
	s_cbranch_scc1 .LBB325_12
.LBB325_19:
	s_load_dword s2, s[4:5], 0x94
	s_waitcnt lgkmcnt(0)
	s_cmp_lg_u32 s2, 1
	s_cbranch_scc1 .LBB325_12
; %bb.20:
	s_lshl_b32 s2, s16, 1
	s_add_i32 s2, s2, 2
	v_cmp_gt_u32_e32 vcc, s16, v1
	s_and_b32 s10, s2, -4
	v_mov_b32_e32 v10, 0
	v_lshlrev_b32_e32 v1, 4, v0
	v_mov_b32_e32 v6, 0
	v_mov_b32_e32 v7, 0
	;; [unrolled: 1-line block ×4, first 2 shown]
	s_waitcnt vmcnt(0)
	v_mov_b32_e32 v2, 0
	v_mov_b32_e32 v3, 0
	;; [unrolled: 1-line block ×4, first 2 shown]
	s_barrier
	s_and_saveexec_b64 s[2:3], vcc
	s_cbranch_execz .LBB325_22
; %bb.21:
	s_mul_hi_i32 s5, s18, s6
	s_mul_i32 s4, s18, s6
	s_and_b32 s9, s9, 0xffff
	s_lshl_b64 s[4:5], s[4:5], 1
	s_add_u32 s20, s24, s4
	s_mov_b32 s11, 0x20000
	s_addc_u32 s4, s25, s5
	s_and_b32 s21, s4, 0xffff
	s_mov_b32 s22, s10
	s_mov_b32 s23, s11
	buffer_load_dwordx4 v[6:9], v1, s[20:23], 0 offen glc slc
	buffer_load_dwordx4 v[2:5], v1, s[8:11], 0 offen
.LBB325_22:
	s_or_b64 exec, exec, s[2:3]
	v_mov_b32_e32 v11, 0
	v_mov_b32_e32 v16, 0
	;; [unrolled: 1-line block ×7, first 2 shown]
	s_and_saveexec_b64 s[2:3], vcc
	s_cbranch_execz .LBB325_24
; %bb.23:
	s_waitcnt vmcnt(1)
	v_cvt_f32_f16_sdwa v11, v6 dst_sel:DWORD dst_unused:UNUSED_PAD src0_sel:WORD_1
	v_cvt_f32_f16_e32 v10, v6
	v_cvt_f32_f16_sdwa v17, v7 dst_sel:DWORD dst_unused:UNUSED_PAD src0_sel:WORD_1
	v_cvt_f32_f16_e32 v16, v7
	v_cvt_f32_f16_sdwa v15, v8 dst_sel:DWORD dst_unused:UNUSED_PAD src0_sel:WORD_1
	v_cvt_f32_f16_e32 v14, v8
	v_cvt_f32_f16_sdwa v13, v9 dst_sel:DWORD dst_unused:UNUSED_PAD src0_sel:WORD_1
	v_cvt_f32_f16_e32 v12, v9
.LBB325_24:
	s_or_b64 exec, exec, s[2:3]
	s_waitcnt vmcnt(1)
	v_mul_f32_e32 v6, v11, v11
	v_fmac_f32_e32 v6, v10, v10
	v_fmac_f32_e32 v6, v16, v16
	;; [unrolled: 1-line block ×7, first 2 shown]
	s_nop 1
	v_mov_b32_dpp v7, v6 quad_perm:[1,0,3,2] row_mask:0xf bank_mask:0xf
	v_add_f32_e32 v6, v6, v7
	s_nop 1
	v_mov_b32_dpp v7, v6 quad_perm:[2,3,0,1] row_mask:0xf bank_mask:0xf
	v_add_f32_e32 v6, v6, v7
	s_nop 1
	v_mov_b32_dpp v7, v6 row_half_mirror row_mask:0xf bank_mask:0xf
	v_add_f32_e32 v6, v6, v7
	s_nop 1
	v_mov_b32_dpp v7, v6 row_mirror row_mask:0xf bank_mask:0xf
	v_add_f32_e32 v6, v6, v7
	s_nop 1
	v_mov_b32_dpp v7, v6 row_bcast:15 row_mask:0xf bank_mask:0xf
	v_add_f32_e32 v6, v6, v7
	s_nop 1
	v_mov_b32_dpp v7, v6 row_bcast:31 row_mask:0xf bank_mask:0xf
	s_and_saveexec_b64 s[2:3], s[0:1]
	s_cbranch_execz .LBB325_26
; %bb.25:
	v_lshrrev_b32_e32 v0, 4, v0
	v_add_f32_e32 v6, v6, v7
	v_and_b32_e32 v0, 60, v0
	ds_write_b32 v0, v6
.LBB325_26:
	s_or_b64 exec, exec, s[2:3]
	s_waitcnt lgkmcnt(0)
	s_barrier
	ds_read_b32 v0, v18
	s_waitcnt lgkmcnt(0)
	s_nop 0
	v_mov_b32_dpp v6, v0 quad_perm:[1,0,3,2] row_mask:0xf bank_mask:0xf
	s_and_saveexec_b64 s[0:1], vcc
	s_cbranch_execz .LBB325_12
; %bb.27:
	v_cvt_f32_u32_e32 v7, s16
	v_add_f32_e32 v0, v0, v6
	s_mov_b32 s11, 0x20000
	v_div_scale_f32 v6, s[0:1], v7, v7, v0
	v_rcp_f32_e32 v8, v6
	v_div_scale_f32 v9, vcc, v0, v7, v0
	s_mov_b32 s0, 0x800000
	v_fma_f32 v18, -v6, v8, 1.0
	v_fmac_f32_e32 v8, v18, v8
	v_mul_f32_e32 v18, v9, v8
	v_fma_f32 v19, -v6, v18, v9
	v_fmac_f32_e32 v18, v19, v8
	v_fma_f32 v6, -v6, v18, v9
	v_div_fmas_f32 v6, v6, v8, v18
	v_div_fixup_f32 v0, v6, v7, v0
	v_add_f32_e32 v0, s13, v0
	v_mul_f32_e32 v6, 0x4b800000, v0
	v_cmp_gt_f32_e32 vcc, s0, v0
	v_cndmask_b32_e32 v0, v0, v6, vcc
	v_rsq_f32_e32 v0, v0
	s_waitcnt vmcnt(0)
	v_cvt_f32_f16_sdwa v19, v5 dst_sel:DWORD dst_unused:UNUSED_PAD src0_sel:WORD_1
	v_cvt_f32_f16_e32 v18, v5
	s_mul_hi_i32 s1, s27, s6
	v_mul_f32_e32 v6, 0x45800000, v0
	v_cndmask_b32_e32 v6, v0, v6, vcc
	v_mov_b32_e32 v7, v6
	;;#ASMSTART
	v_pk_mul_f32 v[8:9], v[10:11], v[6:7]
	;;#ASMEND
	;;#ASMSTART
	v_pk_mul_f32 v[10:11], v[16:17], v[6:7]
	;;#ASMEND
	;; [unrolled: 3-line block ×4, first 2 shown]
	v_cvt_f32_f16_sdwa v13, v2 dst_sel:DWORD dst_unused:UNUSED_PAD src0_sel:WORD_1
	v_cvt_f32_f16_e32 v12, v2
	v_cvt_f32_f16_sdwa v17, v3 dst_sel:DWORD dst_unused:UNUSED_PAD src0_sel:WORD_1
	v_cvt_f32_f16_e32 v16, v3
	;; [unrolled: 2-line block ×3, first 2 shown]
	;;#ASMSTART
	v_pk_mul_f32 v[4:5], v[8:9], v[12:13]
	;;#ASMEND
	;;#ASMSTART
	v_pk_mul_f32 v[8:9], v[10:11], v[16:17]
	;;#ASMEND
	;; [unrolled: 3-line block ×4, first 2 shown]
	s_mul_i32 s0, s27, s6
	v_cvt_f16_f32_e32 v0, v4
	v_cvt_f16_f32_e32 v4, v5
	;; [unrolled: 1-line block ×8, first 2 shown]
	s_lshl_b64 s[0:1], s[0:1], 1
	s_add_u32 s8, s14, s0
	s_addc_u32 s0, s15, s1
	s_and_b32 s9, s0, 0xffff
	v_pack_b32_f16 v2, v0, v4
	v_pack_b32_f16 v3, v5, v8
	;; [unrolled: 1-line block ×4, first 2 shown]
	buffer_store_dwordx4 v[2:5], v1, s[8:11], 0 offen
	;;#ASMSTART
	s_nop 0
	;;#ASMEND
	s_endpgm
	.section	.rodata,"a",@progbits
	.p2align	6, 0x0
	.amdhsa_kernel _ZN5aiter35fused_qk_rmsnorm_group_quant_kernelIDF16_DB8_Li128ELi8ELi16ELb0ELb1ELb0ELb1ELb0ELb0EEEvPT0_PvPT_S6_S6_PKS5_S8_S8_S8_S8_ffiiiiiiiiiiiii
		.amdhsa_group_segment_fixed_size 16
		.amdhsa_private_segment_fixed_size 0
		.amdhsa_kernarg_size 400
		.amdhsa_user_sgpr_count 6
		.amdhsa_user_sgpr_private_segment_buffer 1
		.amdhsa_user_sgpr_dispatch_ptr 0
		.amdhsa_user_sgpr_queue_ptr 0
		.amdhsa_user_sgpr_kernarg_segment_ptr 1
		.amdhsa_user_sgpr_dispatch_id 0
		.amdhsa_user_sgpr_flat_scratch_init 0
		.amdhsa_user_sgpr_kernarg_preload_length 0
		.amdhsa_user_sgpr_kernarg_preload_offset 0
		.amdhsa_user_sgpr_private_segment_size 0
		.amdhsa_uses_dynamic_stack 0
		.amdhsa_system_sgpr_private_segment_wavefront_offset 0
		.amdhsa_system_sgpr_workgroup_id_x 1
		.amdhsa_system_sgpr_workgroup_id_y 1
		.amdhsa_system_sgpr_workgroup_id_z 0
		.amdhsa_system_sgpr_workgroup_info 0
		.amdhsa_system_vgpr_workitem_id 0
		.amdhsa_next_free_vgpr 23
		.amdhsa_next_free_sgpr 32
		.amdhsa_accum_offset 24
		.amdhsa_reserve_vcc 1
		.amdhsa_reserve_flat_scratch 0
		.amdhsa_float_round_mode_32 0
		.amdhsa_float_round_mode_16_64 0
		.amdhsa_float_denorm_mode_32 3
		.amdhsa_float_denorm_mode_16_64 3
		.amdhsa_dx10_clamp 1
		.amdhsa_ieee_mode 1
		.amdhsa_fp16_overflow 0
		.amdhsa_tg_split 0
		.amdhsa_exception_fp_ieee_invalid_op 0
		.amdhsa_exception_fp_denorm_src 0
		.amdhsa_exception_fp_ieee_div_zero 0
		.amdhsa_exception_fp_ieee_overflow 0
		.amdhsa_exception_fp_ieee_underflow 0
		.amdhsa_exception_fp_ieee_inexact 0
		.amdhsa_exception_int_div_zero 0
	.end_amdhsa_kernel
	.section	.text._ZN5aiter35fused_qk_rmsnorm_group_quant_kernelIDF16_DB8_Li128ELi8ELi16ELb0ELb1ELb0ELb1ELb0ELb0EEEvPT0_PvPT_S6_S6_PKS5_S8_S8_S8_S8_ffiiiiiiiiiiiii,"axG",@progbits,_ZN5aiter35fused_qk_rmsnorm_group_quant_kernelIDF16_DB8_Li128ELi8ELi16ELb0ELb1ELb0ELb1ELb0ELb0EEEvPT0_PvPT_S6_S6_PKS5_S8_S8_S8_S8_ffiiiiiiiiiiiii,comdat
.Lfunc_end325:
	.size	_ZN5aiter35fused_qk_rmsnorm_group_quant_kernelIDF16_DB8_Li128ELi8ELi16ELb0ELb1ELb0ELb1ELb0ELb0EEEvPT0_PvPT_S6_S6_PKS5_S8_S8_S8_S8_ffiiiiiiiiiiiii, .Lfunc_end325-_ZN5aiter35fused_qk_rmsnorm_group_quant_kernelIDF16_DB8_Li128ELi8ELi16ELb0ELb1ELb0ELb1ELb0ELb0EEEvPT0_PvPT_S6_S6_PKS5_S8_S8_S8_S8_ffiiiiiiiiiiiii
                                        ; -- End function
	.section	.AMDGPU.csdata,"",@progbits
; Kernel info:
; codeLenInByte = 2004
; NumSgprs: 36
; NumVgprs: 23
; NumAgprs: 0
; TotalNumVgprs: 23
; ScratchSize: 0
; MemoryBound: 0
; FloatMode: 240
; IeeeMode: 1
; LDSByteSize: 16 bytes/workgroup (compile time only)
; SGPRBlocks: 4
; VGPRBlocks: 2
; NumSGPRsForWavesPerEU: 36
; NumVGPRsForWavesPerEU: 23
; AccumOffset: 24
; Occupancy: 8
; WaveLimiterHint : 0
; COMPUTE_PGM_RSRC2:SCRATCH_EN: 0
; COMPUTE_PGM_RSRC2:USER_SGPR: 6
; COMPUTE_PGM_RSRC2:TRAP_HANDLER: 0
; COMPUTE_PGM_RSRC2:TGID_X_EN: 1
; COMPUTE_PGM_RSRC2:TGID_Y_EN: 1
; COMPUTE_PGM_RSRC2:TGID_Z_EN: 0
; COMPUTE_PGM_RSRC2:TIDIG_COMP_CNT: 0
; COMPUTE_PGM_RSRC3_GFX90A:ACCUM_OFFSET: 5
; COMPUTE_PGM_RSRC3_GFX90A:TG_SPLIT: 0
	.section	.text._ZN5aiter35fused_qk_rmsnorm_group_quant_kernelItDB8_Li128ELi8ELi16ELb0ELb1ELb0ELb1ELb0ELb0EEEvPT0_PvPT_S6_S6_PKS5_S8_S8_S8_S8_ffiiiiiiiiiiiii,"axG",@progbits,_ZN5aiter35fused_qk_rmsnorm_group_quant_kernelItDB8_Li128ELi8ELi16ELb0ELb1ELb0ELb1ELb0ELb0EEEvPT0_PvPT_S6_S6_PKS5_S8_S8_S8_S8_ffiiiiiiiiiiiii,comdat
	.protected	_ZN5aiter35fused_qk_rmsnorm_group_quant_kernelItDB8_Li128ELi8ELi16ELb0ELb1ELb0ELb1ELb0ELb0EEEvPT0_PvPT_S6_S6_PKS5_S8_S8_S8_S8_ffiiiiiiiiiiiii ; -- Begin function _ZN5aiter35fused_qk_rmsnorm_group_quant_kernelItDB8_Li128ELi8ELi16ELb0ELb1ELb0ELb1ELb0ELb0EEEvPT0_PvPT_S6_S6_PKS5_S8_S8_S8_S8_ffiiiiiiiiiiiii
	.globl	_ZN5aiter35fused_qk_rmsnorm_group_quant_kernelItDB8_Li128ELi8ELi16ELb0ELb1ELb0ELb1ELb0ELb0EEEvPT0_PvPT_S6_S6_PKS5_S8_S8_S8_S8_ffiiiiiiiiiiiii
	.p2align	8
	.type	_ZN5aiter35fused_qk_rmsnorm_group_quant_kernelItDB8_Li128ELi8ELi16ELb0ELb1ELb0ELb1ELb0ELb0EEEvPT0_PvPT_S6_S6_PKS5_S8_S8_S8_S8_ffiiiiiiiiiiiii,@function
_ZN5aiter35fused_qk_rmsnorm_group_quant_kernelItDB8_Li128ELi8ELi16ELb0ELb1ELb0ELb1ELb0ELb0EEEvPT0_PvPT_S6_S6_PKS5_S8_S8_S8_S8_ffiiiiiiiiiiiii: ; @_ZN5aiter35fused_qk_rmsnorm_group_quant_kernelItDB8_Li128ELi8ELi16ELb0ELb1ELb0ELb1ELb0ELb0EEEvPT0_PvPT_S6_S6_PKS5_S8_S8_S8_S8_ffiiiiiiiiiiiii
; %bb.0:
	s_load_dwordx4 s[12:15], s[4:5], 0x50
	s_waitcnt lgkmcnt(0)
	s_cmp_ge_i32 s6, s14
	s_cbranch_scc1 .LBB326_10
; %bb.1:
	s_load_dwordx2 s[24:25], s[4:5], 0x30
	s_load_dwordx2 s[8:9], s[4:5], 0x48
	s_load_dwordx4 s[16:19], s[4:5], 0x60
	s_cmp_lg_u32 s7, 0
	s_cselect_b64 s[10:11], -1, 0
	s_cmp_eq_u32 s7, 0
	s_cselect_b64 vcc, -1, 0
	s_and_b64 s[0:1], vcc, exec
	s_waitcnt lgkmcnt(0)
	s_cselect_b32 s7, s15, s16
	s_add_i32 s0, s7, 1
	s_lshr_b32 s1, s0, 31
	s_add_i32 s0, s0, s1
	s_lshl_b32 s0, s0, 1
	v_lshlrev_b32_e32 v1, 3, v0
	s_and_b32 s22, s0, -4
	v_cmp_gt_i32_e64 s[2:3], s7, v1
	v_mov_b32_e32 v2, 0
	v_mov_b32_e32 v3, 0
	;; [unrolled: 1-line block ×8, first 2 shown]
	s_and_saveexec_b64 s[0:1], s[2:3]
	s_cbranch_execz .LBB326_3
; %bb.2:
	s_load_dwordx2 s[14:15], s[4:5], 0x28
	s_load_dwordx2 s[20:21], s[4:5], 0x40
	s_and_b64 s[26:27], vcc, exec
	s_cselect_b32 s17, s17, s18
	v_lshlrev_b32_e32 v10, 4, v0
	s_waitcnt lgkmcnt(0)
	s_cselect_b32 s19, s15, s25
	s_cselect_b32 s23, s14, s24
	s_mul_hi_i32 s15, s17, s6
	s_mul_i32 s14, s17, s6
	s_lshl_b64 s[14:15], s[14:15], 1
	s_add_u32 s28, s23, s14
	s_addc_u32 s17, s19, s15
	s_and_b64 s[14:15], vcc, exec
	s_mov_b32 s23, 0x20000
	s_cselect_b32 s20, s20, s8
	s_cselect_b32 s14, s21, s9
	s_and_b32 s29, s17, 0xffff
	s_mov_b32 s30, s22
	s_mov_b32 s31, s23
	s_and_b32 s21, s14, 0xffff
	buffer_load_dwordx4 v[6:9], v10, s[28:31], 0 offen glc slc
	buffer_load_dwordx4 v[2:5], v10, s[20:23], 0 offen
.LBB326_3:
	s_or_b64 exec, exec, s[0:1]
	s_waitcnt vmcnt(1)
	v_cvt_f32_u32_sdwa v13, v6 dst_sel:DWORD dst_unused:UNUSED_PAD src0_sel:WORD_1
	v_cvt_f32_u32_sdwa v12, v6 dst_sel:DWORD dst_unused:UNUSED_PAD src0_sel:WORD_0
	v_cvt_f32_u32_sdwa v6, v9 dst_sel:DWORD dst_unused:UNUSED_PAD src0_sel:WORD_1
	v_cvt_f32_u32_sdwa v9, v9 dst_sel:DWORD dst_unused:UNUSED_PAD src0_sel:WORD_0
	v_cvt_f32_u32_sdwa v14, v8 dst_sel:DWORD dst_unused:UNUSED_PAD src0_sel:WORD_1
	v_cvt_f32_u32_sdwa v10, v7 dst_sel:DWORD dst_unused:UNUSED_PAD src0_sel:WORD_0
	v_cvt_f32_u32_sdwa v11, v7 dst_sel:DWORD dst_unused:UNUSED_PAD src0_sel:WORD_1
	v_cvt_f32_u32_sdwa v8, v8 dst_sel:DWORD dst_unused:UNUSED_PAD src0_sel:WORD_0
	v_cndmask_b32_e64 v13, 0, v13, s[2:3]
	v_cndmask_b32_e64 v7, 0, v6, s[2:3]
	;; [unrolled: 1-line block ×5, first 2 shown]
	v_mul_f32_e32 v14, v13, v13
	v_cndmask_b32_e64 v10, 0, v10, s[2:3]
	v_fmac_f32_e32 v14, v12, v12
	v_cndmask_b32_e64 v11, 0, v11, s[2:3]
	v_fmac_f32_e32 v14, v10, v10
	;; [unrolled: 2-line block ×3, first 2 shown]
	v_fmac_f32_e32 v14, v8, v8
	v_fmac_f32_e32 v14, v9, v9
	;; [unrolled: 1-line block ×4, first 2 shown]
	v_and_b32_e32 v16, 63, v0
	v_cmp_eq_u32_e64 s[0:1], 63, v16
	v_mov_b32_dpp v15, v14 quad_perm:[1,0,3,2] row_mask:0xf bank_mask:0xf
	v_add_f32_e32 v14, v14, v15
	s_nop 1
	v_mov_b32_dpp v15, v14 quad_perm:[2,3,0,1] row_mask:0xf bank_mask:0xf
	v_add_f32_e32 v14, v14, v15
	s_nop 1
	v_mov_b32_dpp v15, v14 row_half_mirror row_mask:0xf bank_mask:0xf
	v_add_f32_e32 v14, v14, v15
	s_nop 1
	v_mov_b32_dpp v15, v14 row_mirror row_mask:0xf bank_mask:0xf
	v_add_f32_e32 v14, v14, v15
	s_nop 1
	v_mov_b32_dpp v15, v14 row_bcast:15 row_mask:0xf bank_mask:0xf
	v_add_f32_e32 v14, v14, v15
	s_nop 1
	v_mov_b32_dpp v15, v14 row_bcast:31 row_mask:0xf bank_mask:0xf
	s_and_saveexec_b64 s[14:15], s[0:1]
	s_cbranch_execz .LBB326_5
; %bb.4:
	v_add_f32_e32 v14, v14, v15
	v_lshrrev_b32_e32 v15, 4, v0
	v_and_b32_e32 v15, 60, v15
	ds_write_b32 v15, v14 offset:8
.LBB326_5:
	s_or_b64 exec, exec, s[14:15]
	v_and_b32_e32 v14, 1, v0
	v_lshlrev_b32_e32 v14, 2, v14
	s_waitcnt lgkmcnt(0)
	s_barrier
	ds_read_b32 v15, v14 offset:8
	s_load_dwordx2 s[14:15], s[4:5], 0x18
	s_waitcnt lgkmcnt(0)
	v_mov_b32_dpp v16, v15 quad_perm:[1,0,3,2] row_mask:0xf bank_mask:0xf
	s_and_saveexec_b64 s[20:21], s[2:3]
	s_cbranch_execz .LBB326_7
; %bb.6:
	v_cvt_f32_u32_e32 v17, s7
	v_add_f32_e32 v15, v15, v16
	v_mov_b32_e32 v19, s13
	v_mov_b32_e32 v20, s12
	v_div_scale_f32 v16, s[26:27], v17, v17, v15
	v_rcp_f32_e32 v18, v16
	v_cndmask_b32_e32 v19, v19, v20, vcc
	s_mov_b32 s7, 0x800000
	v_fma_f32 v20, -v16, v18, 1.0
	v_fmac_f32_e32 v18, v20, v18
	v_div_scale_f32 v20, vcc, v15, v17, v15
	v_mul_f32_e32 v21, v20, v18
	v_fma_f32 v22, -v16, v21, v20
	v_fmac_f32_e32 v21, v22, v18
	v_fma_f32 v16, -v16, v21, v20
	v_div_fmas_f32 v16, v16, v18, v21
	v_div_fixup_f32 v15, v16, v17, v15
	v_add_f32_e32 v15, v19, v15
	v_mul_f32_e32 v16, 0x4b800000, v15
	v_cmp_gt_f32_e32 vcc, s7, v15
	v_cndmask_b32_e32 v15, v15, v16, vcc
	v_rsq_f32_e32 v15, v15
	s_waitcnt vmcnt(0)
	v_cvt_f32_u32_sdwa v19, v3 dst_sel:DWORD dst_unused:UNUSED_PAD src0_sel:WORD_1
	v_cvt_f32_u32_sdwa v18, v3 dst_sel:DWORD dst_unused:UNUSED_PAD src0_sel:WORD_0
	v_cvt_f32_u32_sdwa v3, v4 dst_sel:DWORD dst_unused:UNUSED_PAD src0_sel:WORD_1
	v_mul_f32_e32 v16, 0x45800000, v15
	v_cndmask_b32_e32 v16, v15, v16, vcc
	v_mov_b32_e32 v17, v16
	;;#ASMSTART
	v_pk_mul_f32 v[12:13], v[12:13], v[16:17]
	;;#ASMEND
	;;#ASMSTART
	v_pk_mul_f32 v[10:11], v[10:11], v[16:17]
	;;#ASMEND
	;; [unrolled: 3-line block ×4, first 2 shown]
	v_cvt_f32_u32_sdwa v17, v2 dst_sel:DWORD dst_unused:UNUSED_PAD src0_sel:WORD_1
	v_cvt_f32_u32_sdwa v16, v2 dst_sel:DWORD dst_unused:UNUSED_PAD src0_sel:WORD_0
	v_cvt_f32_u32_sdwa v2, v4 dst_sel:DWORD dst_unused:UNUSED_PAD src0_sel:WORD_0
	v_cvt_f32_u32_sdwa v21, v5 dst_sel:DWORD dst_unused:UNUSED_PAD src0_sel:WORD_1
	v_cvt_f32_u32_sdwa v20, v5 dst_sel:DWORD dst_unused:UNUSED_PAD src0_sel:WORD_0
	;;#ASMSTART
	v_pk_mul_f32 v[12:13], v[12:13], v[16:17]
	;;#ASMEND
	;;#ASMSTART
	v_pk_mul_f32 v[10:11], v[10:11], v[18:19]
	;;#ASMEND
	;; [unrolled: 3-line block ×4, first 2 shown]
.LBB326_7:
	s_or_b64 exec, exec, s[20:21]
	s_load_dwordx2 s[26:27], s[4:5], 0x7c
	s_mov_b64 s[20:21], -1
	s_and_b64 vcc, exec, s[10:11]
	s_cbranch_vccnz .LBB326_11
; %bb.8:
	s_andn2_b64 vcc, exec, s[20:21]
	s_cbranch_vccz .LBB326_14
.LBB326_9:
	s_cmp_lt_i32 s16, 1
	s_cbranch_scc0 .LBB326_17
.LBB326_10:
	s_endpgm
.LBB326_11:
	s_and_saveexec_b64 s[10:11], s[2:3]
	s_cbranch_execz .LBB326_13
; %bb.12:
	s_waitcnt lgkmcnt(0)
	s_mul_hi_i32 s21, s27, s6
	s_mul_i32 s20, s27, s6
	s_lshl_b64 s[20:21], s[20:21], 1
	s_add_u32 s20, s14, s20
	s_addc_u32 s7, s15, s21
	s_and_b32 s21, s7, 0xffff
	s_mov_b32 s7, 0x7060302
	s_mov_b32 s23, 0x20000
	s_waitcnt vmcnt(0)
	v_perm_b32 v2, v13, v12, s7
	v_perm_b32 v3, v11, v10, s7
	;; [unrolled: 1-line block ×4, first 2 shown]
	v_lshlrev_b32_e32 v15, 4, v0
	buffer_store_dwordx4 v[2:5], v15, s[20:23], 0 offen
	;;#ASMSTART
	s_nop 0
	;;#ASMEND
.LBB326_13:
	s_or_b64 exec, exec, s[10:11]
	s_cbranch_execnz .LBB326_9
.LBB326_14:
	s_and_saveexec_b64 s[10:11], s[2:3]
	s_cbranch_execz .LBB326_16
; %bb.15:
	s_load_dwordx2 s[2:3], s[4:5], 0x10
	s_waitcnt lgkmcnt(0)
	s_mul_hi_i32 s21, s26, s6
	s_mul_i32 s20, s26, s6
	s_lshl_b64 s[20:21], s[20:21], 1
	s_mov_b32 s23, 0x20000
	s_add_u32 s20, s2, s20
	s_addc_u32 s2, s3, s21
	s_and_b32 s21, s2, 0xffff
	s_mov_b32 s2, 0x7060302
	s_waitcnt vmcnt(0)
	v_perm_b32 v2, v13, v12, s2
	v_perm_b32 v3, v11, v10, s2
	v_perm_b32 v4, v9, v8, s2
	v_perm_b32 v5, v7, v6, s2
	v_lshlrev_b32_e32 v6, 4, v0
	buffer_store_dwordx4 v[2:5], v6, s[20:23], 0 offen
	;;#ASMSTART
	s_nop 0
	;;#ASMEND
.LBB326_16:
	s_or_b64 exec, exec, s[10:11]
	s_cmp_lt_i32 s16, 1
	s_cbranch_scc1 .LBB326_10
.LBB326_17:
	s_load_dword s2, s[4:5], 0x94
	s_waitcnt lgkmcnt(0)
	s_cmp_lg_u32 s2, 1
	s_cbranch_scc1 .LBB326_10
; %bb.18:
	s_lshl_b32 s2, s16, 1
	s_add_i32 s2, s2, 2
	v_cmp_gt_u32_e32 vcc, s16, v1
	s_and_b32 s10, s2, -4
	v_mov_b32_e32 v6, 0
	v_lshlrev_b32_e32 v1, 4, v0
	v_mov_b32_e32 v7, 0
	v_mov_b32_e32 v8, 0
	;; [unrolled: 1-line block ×3, first 2 shown]
	s_waitcnt vmcnt(0)
	v_mov_b32_e32 v2, 0
	v_mov_b32_e32 v3, 0
	v_mov_b32_e32 v4, 0
	v_mov_b32_e32 v5, 0
	s_barrier
	s_and_saveexec_b64 s[2:3], vcc
	s_cbranch_execz .LBB326_20
; %bb.19:
	s_mul_hi_i32 s5, s18, s6
	s_mul_i32 s4, s18, s6
	s_and_b32 s9, s9, 0xffff
	s_lshl_b64 s[4:5], s[4:5], 1
	s_add_u32 s20, s24, s4
	s_mov_b32 s11, 0x20000
	s_addc_u32 s4, s25, s5
	s_and_b32 s21, s4, 0xffff
	s_mov_b32 s22, s10
	s_mov_b32 s23, s11
	buffer_load_dwordx4 v[6:9], v1, s[20:23], 0 offen glc slc
	buffer_load_dwordx4 v[2:5], v1, s[8:11], 0 offen
.LBB326_20:
	s_or_b64 exec, exec, s[2:3]
	s_waitcnt vmcnt(1)
	v_cvt_f32_u32_sdwa v13, v6 dst_sel:DWORD dst_unused:UNUSED_PAD src0_sel:WORD_1
	v_cvt_f32_u32_sdwa v12, v6 dst_sel:DWORD dst_unused:UNUSED_PAD src0_sel:WORD_0
	v_cvt_f32_u32_sdwa v6, v9 dst_sel:DWORD dst_unused:UNUSED_PAD src0_sel:WORD_1
	v_cvt_f32_u32_sdwa v9, v9 dst_sel:DWORD dst_unused:UNUSED_PAD src0_sel:WORD_0
	;; [unrolled: 2-line block ×4, first 2 shown]
	v_cndmask_b32_e32 v13, 0, v13, vcc
	v_cndmask_b32_e32 v7, 0, v6, vcc
	;; [unrolled: 1-line block ×5, first 2 shown]
	v_mul_f32_e32 v15, v13, v13
	v_cndmask_b32_e32 v10, 0, v10, vcc
	v_fmac_f32_e32 v15, v12, v12
	v_cndmask_b32_e32 v11, 0, v11, vcc
	v_fmac_f32_e32 v15, v10, v10
	;; [unrolled: 2-line block ×3, first 2 shown]
	v_fmac_f32_e32 v15, v8, v8
	v_fmac_f32_e32 v15, v9, v9
	v_fmac_f32_e32 v15, v6, v6
	v_fmac_f32_e32 v15, v7, v7
	s_nop 1
	v_mov_b32_dpp v16, v15 quad_perm:[1,0,3,2] row_mask:0xf bank_mask:0xf
	v_add_f32_e32 v15, v15, v16
	s_nop 1
	v_mov_b32_dpp v16, v15 quad_perm:[2,3,0,1] row_mask:0xf bank_mask:0xf
	v_add_f32_e32 v15, v15, v16
	s_nop 1
	v_mov_b32_dpp v16, v15 row_half_mirror row_mask:0xf bank_mask:0xf
	v_add_f32_e32 v15, v15, v16
	s_nop 1
	v_mov_b32_dpp v16, v15 row_mirror row_mask:0xf bank_mask:0xf
	v_add_f32_e32 v15, v15, v16
	s_nop 1
	v_mov_b32_dpp v16, v15 row_bcast:15 row_mask:0xf bank_mask:0xf
	v_add_f32_e32 v15, v15, v16
	s_nop 1
	v_mov_b32_dpp v16, v15 row_bcast:31 row_mask:0xf bank_mask:0xf
	s_and_saveexec_b64 s[2:3], s[0:1]
	s_cbranch_execz .LBB326_22
; %bb.21:
	v_lshrrev_b32_e32 v0, 4, v0
	v_add_f32_e32 v15, v15, v16
	v_and_b32_e32 v0, 60, v0
	ds_write_b32 v0, v15
.LBB326_22:
	s_or_b64 exec, exec, s[2:3]
	s_waitcnt lgkmcnt(0)
	s_barrier
	ds_read_b32 v0, v14
	s_waitcnt lgkmcnt(0)
	s_nop 0
	v_mov_b32_dpp v14, v0 quad_perm:[1,0,3,2] row_mask:0xf bank_mask:0xf
	s_and_saveexec_b64 s[0:1], vcc
	s_cbranch_execz .LBB326_10
; %bb.23:
	v_cvt_f32_u32_e32 v15, s16
	v_add_f32_e32 v0, v0, v14
	s_mov_b32 s11, 0x20000
	v_div_scale_f32 v14, s[0:1], v15, v15, v0
	v_rcp_f32_e32 v16, v14
	v_div_scale_f32 v17, vcc, v0, v15, v0
	s_mov_b32 s0, 0x800000
	v_fma_f32 v18, -v14, v16, 1.0
	v_fmac_f32_e32 v16, v18, v16
	v_mul_f32_e32 v18, v17, v16
	v_fma_f32 v19, -v14, v18, v17
	v_fmac_f32_e32 v18, v19, v16
	v_fma_f32 v14, -v14, v18, v17
	v_div_fmas_f32 v14, v14, v16, v18
	v_div_fixup_f32 v0, v14, v15, v0
	v_add_f32_e32 v0, s13, v0
	v_mul_f32_e32 v14, 0x4b800000, v0
	v_cmp_gt_f32_e32 vcc, s0, v0
	v_cndmask_b32_e32 v0, v0, v14, vcc
	v_rsq_f32_e32 v0, v0
	s_mul_hi_i32 s1, s27, s6
	s_mul_i32 s0, s27, s6
	s_lshl_b64 s[0:1], s[0:1], 1
	v_mul_f32_e32 v14, 0x45800000, v0
	v_cndmask_b32_e32 v14, v0, v14, vcc
	s_add_u32 s8, s14, s0
	v_mov_b32_e32 v15, v14
	s_addc_u32 s0, s15, s1
	;;#ASMSTART
	v_pk_mul_f32 v[12:13], v[12:13], v[14:15]
	;;#ASMEND
	;;#ASMSTART
	v_pk_mul_f32 v[10:11], v[10:11], v[14:15]
	;;#ASMEND
	;; [unrolled: 3-line block ×4, first 2 shown]
	s_waitcnt vmcnt(0)
	v_cvt_f32_u32_sdwa v15, v2 dst_sel:DWORD dst_unused:UNUSED_PAD src0_sel:WORD_1
	v_cvt_f32_u32_sdwa v14, v2 dst_sel:DWORD dst_unused:UNUSED_PAD src0_sel:WORD_0
	v_cvt_f32_u32_sdwa v17, v3 dst_sel:DWORD dst_unused:UNUSED_PAD src0_sel:WORD_1
	v_cvt_f32_u32_sdwa v16, v3 dst_sel:DWORD dst_unused:UNUSED_PAD src0_sel:WORD_0
	;; [unrolled: 2-line block ×4, first 2 shown]
	;;#ASMSTART
	v_pk_mul_f32 v[4:5], v[12:13], v[14:15]
	;;#ASMEND
	s_and_b32 s9, s0, 0xffff
	s_mov_b32 s0, 0x7060302
	;;#ASMSTART
	v_pk_mul_f32 v[10:11], v[10:11], v[16:17]
	;;#ASMEND
	;;#ASMSTART
	v_pk_mul_f32 v[8:9], v[8:9], v[2:3]
	;;#ASMEND
	;; [unrolled: 3-line block ×3, first 2 shown]
	v_perm_b32 v2, v5, v4, s0
	v_perm_b32 v3, v11, v10, s0
	;; [unrolled: 1-line block ×4, first 2 shown]
	buffer_store_dwordx4 v[2:5], v1, s[8:11], 0 offen
	;;#ASMSTART
	s_nop 0
	;;#ASMEND
	s_endpgm
	.section	.rodata,"a",@progbits
	.p2align	6, 0x0
	.amdhsa_kernel _ZN5aiter35fused_qk_rmsnorm_group_quant_kernelItDB8_Li128ELi8ELi16ELb0ELb1ELb0ELb1ELb0ELb0EEEvPT0_PvPT_S6_S6_PKS5_S8_S8_S8_S8_ffiiiiiiiiiiiii
		.amdhsa_group_segment_fixed_size 16
		.amdhsa_private_segment_fixed_size 0
		.amdhsa_kernarg_size 400
		.amdhsa_user_sgpr_count 6
		.amdhsa_user_sgpr_private_segment_buffer 1
		.amdhsa_user_sgpr_dispatch_ptr 0
		.amdhsa_user_sgpr_queue_ptr 0
		.amdhsa_user_sgpr_kernarg_segment_ptr 1
		.amdhsa_user_sgpr_dispatch_id 0
		.amdhsa_user_sgpr_flat_scratch_init 0
		.amdhsa_user_sgpr_kernarg_preload_length 0
		.amdhsa_user_sgpr_kernarg_preload_offset 0
		.amdhsa_user_sgpr_private_segment_size 0
		.amdhsa_uses_dynamic_stack 0
		.amdhsa_system_sgpr_private_segment_wavefront_offset 0
		.amdhsa_system_sgpr_workgroup_id_x 1
		.amdhsa_system_sgpr_workgroup_id_y 1
		.amdhsa_system_sgpr_workgroup_id_z 0
		.amdhsa_system_sgpr_workgroup_info 0
		.amdhsa_system_vgpr_workitem_id 0
		.amdhsa_next_free_vgpr 23
		.amdhsa_next_free_sgpr 32
		.amdhsa_accum_offset 24
		.amdhsa_reserve_vcc 1
		.amdhsa_reserve_flat_scratch 0
		.amdhsa_float_round_mode_32 0
		.amdhsa_float_round_mode_16_64 0
		.amdhsa_float_denorm_mode_32 3
		.amdhsa_float_denorm_mode_16_64 3
		.amdhsa_dx10_clamp 1
		.amdhsa_ieee_mode 1
		.amdhsa_fp16_overflow 0
		.amdhsa_tg_split 0
		.amdhsa_exception_fp_ieee_invalid_op 0
		.amdhsa_exception_fp_denorm_src 0
		.amdhsa_exception_fp_ieee_div_zero 0
		.amdhsa_exception_fp_ieee_overflow 0
		.amdhsa_exception_fp_ieee_underflow 0
		.amdhsa_exception_fp_ieee_inexact 0
		.amdhsa_exception_int_div_zero 0
	.end_amdhsa_kernel
	.section	.text._ZN5aiter35fused_qk_rmsnorm_group_quant_kernelItDB8_Li128ELi8ELi16ELb0ELb1ELb0ELb1ELb0ELb0EEEvPT0_PvPT_S6_S6_PKS5_S8_S8_S8_S8_ffiiiiiiiiiiiii,"axG",@progbits,_ZN5aiter35fused_qk_rmsnorm_group_quant_kernelItDB8_Li128ELi8ELi16ELb0ELb1ELb0ELb1ELb0ELb0EEEvPT0_PvPT_S6_S6_PKS5_S8_S8_S8_S8_ffiiiiiiiiiiiii,comdat
.Lfunc_end326:
	.size	_ZN5aiter35fused_qk_rmsnorm_group_quant_kernelItDB8_Li128ELi8ELi16ELb0ELb1ELb0ELb1ELb0ELb0EEEvPT0_PvPT_S6_S6_PKS5_S8_S8_S8_S8_ffiiiiiiiiiiiii, .Lfunc_end326-_ZN5aiter35fused_qk_rmsnorm_group_quant_kernelItDB8_Li128ELi8ELi16ELb0ELb1ELb0ELb1ELb0ELb0EEEvPT0_PvPT_S6_S6_PKS5_S8_S8_S8_S8_ffiiiiiiiiiiiii
                                        ; -- End function
	.section	.AMDGPU.csdata,"",@progbits
; Kernel info:
; codeLenInByte = 1996
; NumSgprs: 36
; NumVgprs: 23
; NumAgprs: 0
; TotalNumVgprs: 23
; ScratchSize: 0
; MemoryBound: 0
; FloatMode: 240
; IeeeMode: 1
; LDSByteSize: 16 bytes/workgroup (compile time only)
; SGPRBlocks: 4
; VGPRBlocks: 2
; NumSGPRsForWavesPerEU: 36
; NumVGPRsForWavesPerEU: 23
; AccumOffset: 24
; Occupancy: 8
; WaveLimiterHint : 0
; COMPUTE_PGM_RSRC2:SCRATCH_EN: 0
; COMPUTE_PGM_RSRC2:USER_SGPR: 6
; COMPUTE_PGM_RSRC2:TRAP_HANDLER: 0
; COMPUTE_PGM_RSRC2:TGID_X_EN: 1
; COMPUTE_PGM_RSRC2:TGID_Y_EN: 1
; COMPUTE_PGM_RSRC2:TGID_Z_EN: 0
; COMPUTE_PGM_RSRC2:TIDIG_COMP_CNT: 0
; COMPUTE_PGM_RSRC3_GFX90A:ACCUM_OFFSET: 5
; COMPUTE_PGM_RSRC3_GFX90A:TG_SPLIT: 0
	.section	.text._ZN5aiter35fused_qk_rmsnorm_group_quant_kernelIDF16_N4opus5fp4_tELi128ELi8ELi16ELb0ELb1ELb0ELb1ELb0ELb0EEEvPT0_PvPT_S7_S7_PKS6_S9_S9_S9_S9_ffiiiiiiiiiiiii,"axG",@progbits,_ZN5aiter35fused_qk_rmsnorm_group_quant_kernelIDF16_N4opus5fp4_tELi128ELi8ELi16ELb0ELb1ELb0ELb1ELb0ELb0EEEvPT0_PvPT_S7_S7_PKS6_S9_S9_S9_S9_ffiiiiiiiiiiiii,comdat
	.protected	_ZN5aiter35fused_qk_rmsnorm_group_quant_kernelIDF16_N4opus5fp4_tELi128ELi8ELi16ELb0ELb1ELb0ELb1ELb0ELb0EEEvPT0_PvPT_S7_S7_PKS6_S9_S9_S9_S9_ffiiiiiiiiiiiii ; -- Begin function _ZN5aiter35fused_qk_rmsnorm_group_quant_kernelIDF16_N4opus5fp4_tELi128ELi8ELi16ELb0ELb1ELb0ELb1ELb0ELb0EEEvPT0_PvPT_S7_S7_PKS6_S9_S9_S9_S9_ffiiiiiiiiiiiii
	.globl	_ZN5aiter35fused_qk_rmsnorm_group_quant_kernelIDF16_N4opus5fp4_tELi128ELi8ELi16ELb0ELb1ELb0ELb1ELb0ELb0EEEvPT0_PvPT_S7_S7_PKS6_S9_S9_S9_S9_ffiiiiiiiiiiiii
	.p2align	8
	.type	_ZN5aiter35fused_qk_rmsnorm_group_quant_kernelIDF16_N4opus5fp4_tELi128ELi8ELi16ELb0ELb1ELb0ELb1ELb0ELb0EEEvPT0_PvPT_S7_S7_PKS6_S9_S9_S9_S9_ffiiiiiiiiiiiii,@function
_ZN5aiter35fused_qk_rmsnorm_group_quant_kernelIDF16_N4opus5fp4_tELi128ELi8ELi16ELb0ELb1ELb0ELb1ELb0ELb0EEEvPT0_PvPT_S7_S7_PKS6_S9_S9_S9_S9_ffiiiiiiiiiiiii: ; @_ZN5aiter35fused_qk_rmsnorm_group_quant_kernelIDF16_N4opus5fp4_tELi128ELi8ELi16ELb0ELb1ELb0ELb1ELb0ELb0EEEvPT0_PvPT_S7_S7_PKS6_S9_S9_S9_S9_ffiiiiiiiiiiiii
; %bb.0:
	s_load_dwordx4 s[12:15], s[4:5], 0x50
	s_waitcnt lgkmcnt(0)
	s_cmp_ge_i32 s6, s14
	s_cbranch_scc1 .LBB327_12
; %bb.1:
	s_load_dwordx2 s[24:25], s[4:5], 0x30
	s_load_dwordx2 s[8:9], s[4:5], 0x48
	s_load_dwordx4 s[16:19], s[4:5], 0x60
	s_cmp_lg_u32 s7, 0
	s_cselect_b64 s[10:11], -1, 0
	s_cmp_eq_u32 s7, 0
	s_cselect_b64 vcc, -1, 0
	s_and_b64 s[0:1], vcc, exec
	s_waitcnt lgkmcnt(0)
	s_cselect_b32 s7, s15, s16
	s_add_i32 s0, s7, 1
	s_lshr_b32 s1, s0, 31
	s_add_i32 s0, s0, s1
	s_lshl_b32 s0, s0, 1
	v_lshlrev_b32_e32 v1, 3, v0
	s_and_b32 s22, s0, -4
	v_cmp_gt_i32_e64 s[2:3], s7, v1
	v_mov_b32_e32 v10, 0
	v_mov_b32_e32 v2, 0
	;; [unrolled: 1-line block ×9, first 2 shown]
	s_and_saveexec_b64 s[0:1], s[2:3]
	s_cbranch_execz .LBB327_3
; %bb.2:
	s_load_dwordx2 s[14:15], s[4:5], 0x28
	s_load_dwordx2 s[20:21], s[4:5], 0x40
	s_and_b64 s[26:27], vcc, exec
	s_cselect_b32 s17, s17, s18
	v_lshlrev_b32_e32 v11, 4, v0
	s_waitcnt lgkmcnt(0)
	s_cselect_b32 s19, s15, s25
	s_cselect_b32 s23, s14, s24
	s_mul_hi_i32 s15, s17, s6
	s_mul_i32 s14, s17, s6
	s_lshl_b64 s[14:15], s[14:15], 1
	s_add_u32 s28, s23, s14
	s_addc_u32 s17, s19, s15
	s_and_b64 s[14:15], vcc, exec
	s_mov_b32 s23, 0x20000
	s_cselect_b32 s20, s20, s8
	s_cselect_b32 s14, s21, s9
	s_and_b32 s29, s17, 0xffff
	s_mov_b32 s30, s22
	s_mov_b32 s31, s23
	s_and_b32 s21, s14, 0xffff
	buffer_load_dwordx4 v[6:9], v11, s[28:31], 0 offen glc slc
	buffer_load_dwordx4 v[2:5], v11, s[20:23], 0 offen
.LBB327_3:
	s_or_b64 exec, exec, s[0:1]
	v_mov_b32_e32 v11, 0
	v_mov_b32_e32 v12, 0
	;; [unrolled: 1-line block ×7, first 2 shown]
	s_and_saveexec_b64 s[0:1], s[2:3]
	s_cbranch_execz .LBB327_5
; %bb.4:
	s_waitcnt vmcnt(1)
	v_cvt_f32_f16_sdwa v11, v6 dst_sel:DWORD dst_unused:UNUSED_PAD src0_sel:WORD_1
	v_cvt_f32_f16_e32 v10, v6
	v_cvt_f32_f16_sdwa v13, v7 dst_sel:DWORD dst_unused:UNUSED_PAD src0_sel:WORD_1
	v_cvt_f32_f16_e32 v12, v7
	;; [unrolled: 2-line block ×4, first 2 shown]
.LBB327_5:
	s_or_b64 exec, exec, s[0:1]
	s_waitcnt vmcnt(1)
	v_mul_f32_e32 v6, v11, v11
	v_fmac_f32_e32 v6, v10, v10
	v_fmac_f32_e32 v6, v12, v12
	;; [unrolled: 1-line block ×7, first 2 shown]
	v_and_b32_e32 v8, 63, v0
	v_cmp_eq_u32_e64 s[0:1], 63, v8
	v_mov_b32_dpp v7, v6 quad_perm:[1,0,3,2] row_mask:0xf bank_mask:0xf
	v_add_f32_e32 v6, v6, v7
	s_nop 1
	v_mov_b32_dpp v7, v6 quad_perm:[2,3,0,1] row_mask:0xf bank_mask:0xf
	v_add_f32_e32 v6, v6, v7
	s_nop 1
	v_mov_b32_dpp v7, v6 row_half_mirror row_mask:0xf bank_mask:0xf
	v_add_f32_e32 v6, v6, v7
	s_nop 1
	v_mov_b32_dpp v7, v6 row_mirror row_mask:0xf bank_mask:0xf
	v_add_f32_e32 v6, v6, v7
	s_nop 1
	v_mov_b32_dpp v7, v6 row_bcast:15 row_mask:0xf bank_mask:0xf
	v_add_f32_e32 v6, v6, v7
	s_nop 1
	v_mov_b32_dpp v7, v6 row_bcast:31 row_mask:0xf bank_mask:0xf
	s_and_saveexec_b64 s[14:15], s[0:1]
	s_cbranch_execz .LBB327_7
; %bb.6:
	v_add_f32_e32 v6, v6, v7
	v_lshrrev_b32_e32 v7, 4, v0
	v_and_b32_e32 v7, 60, v7
	ds_write_b32 v7, v6 offset:8
.LBB327_7:
	s_or_b64 exec, exec, s[14:15]
	v_and_b32_e32 v6, 1, v0
	v_lshlrev_b32_e32 v18, 2, v6
	s_waitcnt lgkmcnt(0)
	s_barrier
	ds_read_b32 v6, v18 offset:8
	s_load_dwordx2 s[14:15], s[4:5], 0x18
	s_waitcnt lgkmcnt(0)
	v_mov_b32_dpp v7, v6 quad_perm:[1,0,3,2] row_mask:0xf bank_mask:0xf
	s_and_saveexec_b64 s[20:21], s[2:3]
	s_cbranch_execz .LBB327_9
; %bb.8:
	v_cvt_f32_u32_e32 v8, s7
	v_add_f32_e32 v6, v6, v7
	v_mov_b32_e32 v19, s13
	v_mov_b32_e32 v20, s12
	v_div_scale_f32 v7, s[26:27], v8, v8, v6
	v_rcp_f32_e32 v9, v7
	v_cndmask_b32_e32 v19, v19, v20, vcc
	s_mov_b32 s7, 0x800000
	v_fma_f32 v20, -v7, v9, 1.0
	v_fmac_f32_e32 v9, v20, v9
	v_div_scale_f32 v20, vcc, v6, v8, v6
	v_mul_f32_e32 v21, v20, v9
	v_fma_f32 v22, -v7, v21, v20
	v_fmac_f32_e32 v21, v22, v9
	v_fma_f32 v7, -v7, v21, v20
	v_div_fmas_f32 v7, v7, v9, v21
	v_div_fixup_f32 v6, v7, v8, v6
	v_add_f32_e32 v6, v19, v6
	v_mul_f32_e32 v7, 0x4b800000, v6
	v_cmp_gt_f32_e32 vcc, s7, v6
	v_cndmask_b32_e32 v6, v6, v7, vcc
	v_rsq_f32_e32 v6, v6
	s_waitcnt vmcnt(0)
	v_cvt_f32_f16_sdwa v21, v5 dst_sel:DWORD dst_unused:UNUSED_PAD src0_sel:WORD_1
	v_cvt_f32_f16_e32 v20, v5
	v_mul_f32_e32 v7, 0x45800000, v6
	v_cndmask_b32_e32 v6, v6, v7, vcc
	v_mov_b32_e32 v7, v6
	;;#ASMSTART
	v_pk_mul_f32 v[8:9], v[10:11], v[6:7]
	;;#ASMEND
	;;#ASMSTART
	v_pk_mul_f32 v[12:13], v[12:13], v[6:7]
	;;#ASMEND
	;; [unrolled: 3-line block ×4, first 2 shown]
	v_cvt_f32_f16_sdwa v11, v2 dst_sel:DWORD dst_unused:UNUSED_PAD src0_sel:WORD_1
	v_cvt_f32_f16_e32 v10, v2
	v_cvt_f32_f16_sdwa v17, v3 dst_sel:DWORD dst_unused:UNUSED_PAD src0_sel:WORD_1
	v_cvt_f32_f16_e32 v16, v3
	;; [unrolled: 2-line block ×3, first 2 shown]
	;;#ASMSTART
	v_pk_mul_f32 v[10:11], v[8:9], v[10:11]
	;;#ASMEND
	;;#ASMSTART
	v_pk_mul_f32 v[12:13], v[12:13], v[16:17]
	;;#ASMEND
	;; [unrolled: 3-line block ×4, first 2 shown]
.LBB327_9:
	s_or_b64 exec, exec, s[20:21]
	s_load_dwordx2 s[26:27], s[4:5], 0x7c
	s_mov_b64 s[20:21], -1
	s_and_b64 vcc, exec, s[10:11]
	s_cbranch_vccnz .LBB327_13
; %bb.10:
	s_andn2_b64 vcc, exec, s[20:21]
	s_cbranch_vccz .LBB327_16
.LBB327_11:
	s_cmp_lt_i32 s16, 1
	s_cbranch_scc0 .LBB327_19
.LBB327_12:
	s_endpgm
.LBB327_13:
	s_and_saveexec_b64 s[10:11], s[2:3]
	s_cbranch_execz .LBB327_15
; %bb.14:
	s_waitcnt lgkmcnt(0)
	s_mul_hi_i32 s21, s27, s6
	s_mul_i32 s20, s27, s6
	s_waitcnt vmcnt(0)
	v_cvt_f16_f32_e32 v2, v10
	v_cvt_f16_f32_e32 v3, v12
	;; [unrolled: 1-line block ×8, first 2 shown]
	s_lshl_b64 s[20:21], s[20:21], 1
	s_add_u32 s20, s14, s20
	s_addc_u32 s7, s15, s21
	s_and_b32 s21, s7, 0xffff
	s_mov_b32 s23, 0x20000
	v_pack_b32_f16 v5, v5, v6
	v_pack_b32_f16 v4, v4, v7
	;; [unrolled: 1-line block ×4, first 2 shown]
	v_lshlrev_b32_e32 v6, 4, v0
	buffer_store_dwordx4 v[2:5], v6, s[20:23], 0 offen
	;;#ASMSTART
	s_nop 0
	;;#ASMEND
.LBB327_15:
	s_or_b64 exec, exec, s[10:11]
	s_cbranch_execnz .LBB327_11
.LBB327_16:
	s_and_saveexec_b64 s[10:11], s[2:3]
	s_cbranch_execz .LBB327_18
; %bb.17:
	s_load_dwordx2 s[2:3], s[4:5], 0x10
	s_waitcnt lgkmcnt(0)
	s_mul_hi_i32 s21, s26, s6
	s_mul_i32 s20, s26, s6
	s_waitcnt vmcnt(0)
	v_cvt_f16_f32_e32 v2, v10
	v_cvt_f16_f32_e32 v3, v12
	;; [unrolled: 1-line block ×8, first 2 shown]
	s_lshl_b64 s[20:21], s[20:21], 1
	s_add_u32 s20, s2, s20
	s_addc_u32 s2, s3, s21
	s_mov_b32 s23, 0x20000
	s_and_b32 s21, s2, 0xffff
	v_pack_b32_f16 v5, v5, v6
	v_pack_b32_f16 v4, v4, v7
	;; [unrolled: 1-line block ×4, first 2 shown]
	v_lshlrev_b32_e32 v6, 4, v0
	buffer_store_dwordx4 v[2:5], v6, s[20:23], 0 offen
	;;#ASMSTART
	s_nop 0
	;;#ASMEND
.LBB327_18:
	s_or_b64 exec, exec, s[10:11]
	s_cmp_lt_i32 s16, 1
	s_cbranch_scc1 .LBB327_12
.LBB327_19:
	s_load_dword s2, s[4:5], 0x94
	s_waitcnt lgkmcnt(0)
	s_cmp_lg_u32 s2, 1
	s_cbranch_scc1 .LBB327_12
; %bb.20:
	s_lshl_b32 s2, s16, 1
	s_add_i32 s2, s2, 2
	v_cmp_gt_u32_e32 vcc, s16, v1
	s_and_b32 s10, s2, -4
	v_mov_b32_e32 v10, 0
	v_lshlrev_b32_e32 v1, 4, v0
	v_mov_b32_e32 v6, 0
	v_mov_b32_e32 v7, 0
	;; [unrolled: 1-line block ×4, first 2 shown]
	s_waitcnt vmcnt(0)
	v_mov_b32_e32 v2, 0
	v_mov_b32_e32 v3, 0
	v_mov_b32_e32 v4, 0
	v_mov_b32_e32 v5, 0
	s_barrier
	s_and_saveexec_b64 s[2:3], vcc
	s_cbranch_execz .LBB327_22
; %bb.21:
	s_mul_hi_i32 s5, s18, s6
	s_mul_i32 s4, s18, s6
	s_and_b32 s9, s9, 0xffff
	s_lshl_b64 s[4:5], s[4:5], 1
	s_add_u32 s20, s24, s4
	s_mov_b32 s11, 0x20000
	s_addc_u32 s4, s25, s5
	s_and_b32 s21, s4, 0xffff
	s_mov_b32 s22, s10
	s_mov_b32 s23, s11
	buffer_load_dwordx4 v[6:9], v1, s[20:23], 0 offen glc slc
	buffer_load_dwordx4 v[2:5], v1, s[8:11], 0 offen
.LBB327_22:
	s_or_b64 exec, exec, s[2:3]
	v_mov_b32_e32 v11, 0
	v_mov_b32_e32 v16, 0
	;; [unrolled: 1-line block ×7, first 2 shown]
	s_and_saveexec_b64 s[2:3], vcc
	s_cbranch_execz .LBB327_24
; %bb.23:
	s_waitcnt vmcnt(1)
	v_cvt_f32_f16_sdwa v11, v6 dst_sel:DWORD dst_unused:UNUSED_PAD src0_sel:WORD_1
	v_cvt_f32_f16_e32 v10, v6
	v_cvt_f32_f16_sdwa v17, v7 dst_sel:DWORD dst_unused:UNUSED_PAD src0_sel:WORD_1
	v_cvt_f32_f16_e32 v16, v7
	;; [unrolled: 2-line block ×4, first 2 shown]
.LBB327_24:
	s_or_b64 exec, exec, s[2:3]
	s_waitcnt vmcnt(1)
	v_mul_f32_e32 v6, v11, v11
	v_fmac_f32_e32 v6, v10, v10
	v_fmac_f32_e32 v6, v16, v16
	;; [unrolled: 1-line block ×7, first 2 shown]
	s_nop 1
	v_mov_b32_dpp v7, v6 quad_perm:[1,0,3,2] row_mask:0xf bank_mask:0xf
	v_add_f32_e32 v6, v6, v7
	s_nop 1
	v_mov_b32_dpp v7, v6 quad_perm:[2,3,0,1] row_mask:0xf bank_mask:0xf
	v_add_f32_e32 v6, v6, v7
	s_nop 1
	v_mov_b32_dpp v7, v6 row_half_mirror row_mask:0xf bank_mask:0xf
	v_add_f32_e32 v6, v6, v7
	s_nop 1
	v_mov_b32_dpp v7, v6 row_mirror row_mask:0xf bank_mask:0xf
	v_add_f32_e32 v6, v6, v7
	s_nop 1
	v_mov_b32_dpp v7, v6 row_bcast:15 row_mask:0xf bank_mask:0xf
	v_add_f32_e32 v6, v6, v7
	s_nop 1
	v_mov_b32_dpp v7, v6 row_bcast:31 row_mask:0xf bank_mask:0xf
	s_and_saveexec_b64 s[2:3], s[0:1]
	s_cbranch_execz .LBB327_26
; %bb.25:
	v_lshrrev_b32_e32 v0, 4, v0
	v_add_f32_e32 v6, v6, v7
	v_and_b32_e32 v0, 60, v0
	ds_write_b32 v0, v6
.LBB327_26:
	s_or_b64 exec, exec, s[2:3]
	s_waitcnt lgkmcnt(0)
	s_barrier
	ds_read_b32 v0, v18
	s_waitcnt lgkmcnt(0)
	s_nop 0
	v_mov_b32_dpp v6, v0 quad_perm:[1,0,3,2] row_mask:0xf bank_mask:0xf
	s_and_saveexec_b64 s[0:1], vcc
	s_cbranch_execz .LBB327_12
; %bb.27:
	v_cvt_f32_u32_e32 v7, s16
	v_add_f32_e32 v0, v0, v6
	s_mov_b32 s11, 0x20000
	v_div_scale_f32 v6, s[0:1], v7, v7, v0
	v_rcp_f32_e32 v8, v6
	v_div_scale_f32 v9, vcc, v0, v7, v0
	s_mov_b32 s0, 0x800000
	v_fma_f32 v18, -v6, v8, 1.0
	v_fmac_f32_e32 v8, v18, v8
	v_mul_f32_e32 v18, v9, v8
	v_fma_f32 v19, -v6, v18, v9
	v_fmac_f32_e32 v18, v19, v8
	v_fma_f32 v6, -v6, v18, v9
	v_div_fmas_f32 v6, v6, v8, v18
	v_div_fixup_f32 v0, v6, v7, v0
	v_add_f32_e32 v0, s13, v0
	v_mul_f32_e32 v6, 0x4b800000, v0
	v_cmp_gt_f32_e32 vcc, s0, v0
	v_cndmask_b32_e32 v0, v0, v6, vcc
	v_rsq_f32_e32 v0, v0
	s_waitcnt vmcnt(0)
	v_cvt_f32_f16_sdwa v19, v5 dst_sel:DWORD dst_unused:UNUSED_PAD src0_sel:WORD_1
	v_cvt_f32_f16_e32 v18, v5
	s_mul_hi_i32 s1, s27, s6
	v_mul_f32_e32 v6, 0x45800000, v0
	v_cndmask_b32_e32 v6, v0, v6, vcc
	v_mov_b32_e32 v7, v6
	;;#ASMSTART
	v_pk_mul_f32 v[8:9], v[10:11], v[6:7]
	;;#ASMEND
	;;#ASMSTART
	v_pk_mul_f32 v[10:11], v[16:17], v[6:7]
	;;#ASMEND
	;; [unrolled: 3-line block ×4, first 2 shown]
	v_cvt_f32_f16_sdwa v13, v2 dst_sel:DWORD dst_unused:UNUSED_PAD src0_sel:WORD_1
	v_cvt_f32_f16_e32 v12, v2
	v_cvt_f32_f16_sdwa v17, v3 dst_sel:DWORD dst_unused:UNUSED_PAD src0_sel:WORD_1
	v_cvt_f32_f16_e32 v16, v3
	;; [unrolled: 2-line block ×3, first 2 shown]
	;;#ASMSTART
	v_pk_mul_f32 v[4:5], v[8:9], v[12:13]
	;;#ASMEND
	;;#ASMSTART
	v_pk_mul_f32 v[8:9], v[10:11], v[16:17]
	;;#ASMEND
	;; [unrolled: 3-line block ×4, first 2 shown]
	s_mul_i32 s0, s27, s6
	v_cvt_f16_f32_e32 v0, v4
	v_cvt_f16_f32_e32 v4, v5
	;; [unrolled: 1-line block ×8, first 2 shown]
	s_lshl_b64 s[0:1], s[0:1], 1
	s_add_u32 s8, s14, s0
	s_addc_u32 s0, s15, s1
	s_and_b32 s9, s0, 0xffff
	v_pack_b32_f16 v2, v0, v4
	v_pack_b32_f16 v3, v5, v8
	;; [unrolled: 1-line block ×4, first 2 shown]
	buffer_store_dwordx4 v[2:5], v1, s[8:11], 0 offen
	;;#ASMSTART
	s_nop 0
	;;#ASMEND
	s_endpgm
	.section	.rodata,"a",@progbits
	.p2align	6, 0x0
	.amdhsa_kernel _ZN5aiter35fused_qk_rmsnorm_group_quant_kernelIDF16_N4opus5fp4_tELi128ELi8ELi16ELb0ELb1ELb0ELb1ELb0ELb0EEEvPT0_PvPT_S7_S7_PKS6_S9_S9_S9_S9_ffiiiiiiiiiiiii
		.amdhsa_group_segment_fixed_size 16
		.amdhsa_private_segment_fixed_size 0
		.amdhsa_kernarg_size 400
		.amdhsa_user_sgpr_count 6
		.amdhsa_user_sgpr_private_segment_buffer 1
		.amdhsa_user_sgpr_dispatch_ptr 0
		.amdhsa_user_sgpr_queue_ptr 0
		.amdhsa_user_sgpr_kernarg_segment_ptr 1
		.amdhsa_user_sgpr_dispatch_id 0
		.amdhsa_user_sgpr_flat_scratch_init 0
		.amdhsa_user_sgpr_kernarg_preload_length 0
		.amdhsa_user_sgpr_kernarg_preload_offset 0
		.amdhsa_user_sgpr_private_segment_size 0
		.amdhsa_uses_dynamic_stack 0
		.amdhsa_system_sgpr_private_segment_wavefront_offset 0
		.amdhsa_system_sgpr_workgroup_id_x 1
		.amdhsa_system_sgpr_workgroup_id_y 1
		.amdhsa_system_sgpr_workgroup_id_z 0
		.amdhsa_system_sgpr_workgroup_info 0
		.amdhsa_system_vgpr_workitem_id 0
		.amdhsa_next_free_vgpr 23
		.amdhsa_next_free_sgpr 32
		.amdhsa_accum_offset 24
		.amdhsa_reserve_vcc 1
		.amdhsa_reserve_flat_scratch 0
		.amdhsa_float_round_mode_32 0
		.amdhsa_float_round_mode_16_64 0
		.amdhsa_float_denorm_mode_32 3
		.amdhsa_float_denorm_mode_16_64 3
		.amdhsa_dx10_clamp 1
		.amdhsa_ieee_mode 1
		.amdhsa_fp16_overflow 0
		.amdhsa_tg_split 0
		.amdhsa_exception_fp_ieee_invalid_op 0
		.amdhsa_exception_fp_denorm_src 0
		.amdhsa_exception_fp_ieee_div_zero 0
		.amdhsa_exception_fp_ieee_overflow 0
		.amdhsa_exception_fp_ieee_underflow 0
		.amdhsa_exception_fp_ieee_inexact 0
		.amdhsa_exception_int_div_zero 0
	.end_amdhsa_kernel
	.section	.text._ZN5aiter35fused_qk_rmsnorm_group_quant_kernelIDF16_N4opus5fp4_tELi128ELi8ELi16ELb0ELb1ELb0ELb1ELb0ELb0EEEvPT0_PvPT_S7_S7_PKS6_S9_S9_S9_S9_ffiiiiiiiiiiiii,"axG",@progbits,_ZN5aiter35fused_qk_rmsnorm_group_quant_kernelIDF16_N4opus5fp4_tELi128ELi8ELi16ELb0ELb1ELb0ELb1ELb0ELb0EEEvPT0_PvPT_S7_S7_PKS6_S9_S9_S9_S9_ffiiiiiiiiiiiii,comdat
.Lfunc_end327:
	.size	_ZN5aiter35fused_qk_rmsnorm_group_quant_kernelIDF16_N4opus5fp4_tELi128ELi8ELi16ELb0ELb1ELb0ELb1ELb0ELb0EEEvPT0_PvPT_S7_S7_PKS6_S9_S9_S9_S9_ffiiiiiiiiiiiii, .Lfunc_end327-_ZN5aiter35fused_qk_rmsnorm_group_quant_kernelIDF16_N4opus5fp4_tELi128ELi8ELi16ELb0ELb1ELb0ELb1ELb0ELb0EEEvPT0_PvPT_S7_S7_PKS6_S9_S9_S9_S9_ffiiiiiiiiiiiii
                                        ; -- End function
	.section	.AMDGPU.csdata,"",@progbits
; Kernel info:
; codeLenInByte = 2004
; NumSgprs: 36
; NumVgprs: 23
; NumAgprs: 0
; TotalNumVgprs: 23
; ScratchSize: 0
; MemoryBound: 0
; FloatMode: 240
; IeeeMode: 1
; LDSByteSize: 16 bytes/workgroup (compile time only)
; SGPRBlocks: 4
; VGPRBlocks: 2
; NumSGPRsForWavesPerEU: 36
; NumVGPRsForWavesPerEU: 23
; AccumOffset: 24
; Occupancy: 8
; WaveLimiterHint : 0
; COMPUTE_PGM_RSRC2:SCRATCH_EN: 0
; COMPUTE_PGM_RSRC2:USER_SGPR: 6
; COMPUTE_PGM_RSRC2:TRAP_HANDLER: 0
; COMPUTE_PGM_RSRC2:TGID_X_EN: 1
; COMPUTE_PGM_RSRC2:TGID_Y_EN: 1
; COMPUTE_PGM_RSRC2:TGID_Z_EN: 0
; COMPUTE_PGM_RSRC2:TIDIG_COMP_CNT: 0
; COMPUTE_PGM_RSRC3_GFX90A:ACCUM_OFFSET: 5
; COMPUTE_PGM_RSRC3_GFX90A:TG_SPLIT: 0
	.section	.text._ZN5aiter35fused_qk_rmsnorm_group_quant_kernelItN4opus5fp4_tELi128ELi8ELi16ELb0ELb1ELb0ELb1ELb0ELb0EEEvPT0_PvPT_S7_S7_PKS6_S9_S9_S9_S9_ffiiiiiiiiiiiii,"axG",@progbits,_ZN5aiter35fused_qk_rmsnorm_group_quant_kernelItN4opus5fp4_tELi128ELi8ELi16ELb0ELb1ELb0ELb1ELb0ELb0EEEvPT0_PvPT_S7_S7_PKS6_S9_S9_S9_S9_ffiiiiiiiiiiiii,comdat
	.protected	_ZN5aiter35fused_qk_rmsnorm_group_quant_kernelItN4opus5fp4_tELi128ELi8ELi16ELb0ELb1ELb0ELb1ELb0ELb0EEEvPT0_PvPT_S7_S7_PKS6_S9_S9_S9_S9_ffiiiiiiiiiiiii ; -- Begin function _ZN5aiter35fused_qk_rmsnorm_group_quant_kernelItN4opus5fp4_tELi128ELi8ELi16ELb0ELb1ELb0ELb1ELb0ELb0EEEvPT0_PvPT_S7_S7_PKS6_S9_S9_S9_S9_ffiiiiiiiiiiiii
	.globl	_ZN5aiter35fused_qk_rmsnorm_group_quant_kernelItN4opus5fp4_tELi128ELi8ELi16ELb0ELb1ELb0ELb1ELb0ELb0EEEvPT0_PvPT_S7_S7_PKS6_S9_S9_S9_S9_ffiiiiiiiiiiiii
	.p2align	8
	.type	_ZN5aiter35fused_qk_rmsnorm_group_quant_kernelItN4opus5fp4_tELi128ELi8ELi16ELb0ELb1ELb0ELb1ELb0ELb0EEEvPT0_PvPT_S7_S7_PKS6_S9_S9_S9_S9_ffiiiiiiiiiiiii,@function
_ZN5aiter35fused_qk_rmsnorm_group_quant_kernelItN4opus5fp4_tELi128ELi8ELi16ELb0ELb1ELb0ELb1ELb0ELb0EEEvPT0_PvPT_S7_S7_PKS6_S9_S9_S9_S9_ffiiiiiiiiiiiii: ; @_ZN5aiter35fused_qk_rmsnorm_group_quant_kernelItN4opus5fp4_tELi128ELi8ELi16ELb0ELb1ELb0ELb1ELb0ELb0EEEvPT0_PvPT_S7_S7_PKS6_S9_S9_S9_S9_ffiiiiiiiiiiiii
; %bb.0:
	s_load_dwordx4 s[12:15], s[4:5], 0x50
	s_waitcnt lgkmcnt(0)
	s_cmp_ge_i32 s6, s14
	s_cbranch_scc1 .LBB328_10
; %bb.1:
	s_load_dwordx2 s[24:25], s[4:5], 0x30
	s_load_dwordx2 s[8:9], s[4:5], 0x48
	s_load_dwordx4 s[16:19], s[4:5], 0x60
	s_cmp_lg_u32 s7, 0
	s_cselect_b64 s[10:11], -1, 0
	s_cmp_eq_u32 s7, 0
	s_cselect_b64 vcc, -1, 0
	s_and_b64 s[0:1], vcc, exec
	s_waitcnt lgkmcnt(0)
	s_cselect_b32 s7, s15, s16
	s_add_i32 s0, s7, 1
	s_lshr_b32 s1, s0, 31
	s_add_i32 s0, s0, s1
	s_lshl_b32 s0, s0, 1
	v_lshlrev_b32_e32 v1, 3, v0
	s_and_b32 s22, s0, -4
	v_cmp_gt_i32_e64 s[2:3], s7, v1
	v_mov_b32_e32 v2, 0
	v_mov_b32_e32 v3, 0
	;; [unrolled: 1-line block ×8, first 2 shown]
	s_and_saveexec_b64 s[0:1], s[2:3]
	s_cbranch_execz .LBB328_3
; %bb.2:
	s_load_dwordx2 s[14:15], s[4:5], 0x28
	s_load_dwordx2 s[20:21], s[4:5], 0x40
	s_and_b64 s[26:27], vcc, exec
	s_cselect_b32 s17, s17, s18
	v_lshlrev_b32_e32 v10, 4, v0
	s_waitcnt lgkmcnt(0)
	s_cselect_b32 s19, s15, s25
	s_cselect_b32 s23, s14, s24
	s_mul_hi_i32 s15, s17, s6
	s_mul_i32 s14, s17, s6
	s_lshl_b64 s[14:15], s[14:15], 1
	s_add_u32 s28, s23, s14
	s_addc_u32 s17, s19, s15
	s_and_b64 s[14:15], vcc, exec
	s_mov_b32 s23, 0x20000
	s_cselect_b32 s20, s20, s8
	s_cselect_b32 s14, s21, s9
	s_and_b32 s29, s17, 0xffff
	s_mov_b32 s30, s22
	s_mov_b32 s31, s23
	s_and_b32 s21, s14, 0xffff
	buffer_load_dwordx4 v[6:9], v10, s[28:31], 0 offen glc slc
	buffer_load_dwordx4 v[2:5], v10, s[20:23], 0 offen
.LBB328_3:
	s_or_b64 exec, exec, s[0:1]
	s_waitcnt vmcnt(1)
	v_cvt_f32_u32_sdwa v13, v6 dst_sel:DWORD dst_unused:UNUSED_PAD src0_sel:WORD_1
	v_cvt_f32_u32_sdwa v12, v6 dst_sel:DWORD dst_unused:UNUSED_PAD src0_sel:WORD_0
	v_cvt_f32_u32_sdwa v6, v9 dst_sel:DWORD dst_unused:UNUSED_PAD src0_sel:WORD_1
	v_cvt_f32_u32_sdwa v9, v9 dst_sel:DWORD dst_unused:UNUSED_PAD src0_sel:WORD_0
	;; [unrolled: 2-line block ×4, first 2 shown]
	v_cndmask_b32_e64 v13, 0, v13, s[2:3]
	v_cndmask_b32_e64 v7, 0, v6, s[2:3]
	;; [unrolled: 1-line block ×5, first 2 shown]
	v_mul_f32_e32 v14, v13, v13
	v_cndmask_b32_e64 v10, 0, v10, s[2:3]
	v_fmac_f32_e32 v14, v12, v12
	v_cndmask_b32_e64 v11, 0, v11, s[2:3]
	v_fmac_f32_e32 v14, v10, v10
	;; [unrolled: 2-line block ×3, first 2 shown]
	v_fmac_f32_e32 v14, v8, v8
	v_fmac_f32_e32 v14, v9, v9
	;; [unrolled: 1-line block ×4, first 2 shown]
	v_and_b32_e32 v16, 63, v0
	v_cmp_eq_u32_e64 s[0:1], 63, v16
	v_mov_b32_dpp v15, v14 quad_perm:[1,0,3,2] row_mask:0xf bank_mask:0xf
	v_add_f32_e32 v14, v14, v15
	s_nop 1
	v_mov_b32_dpp v15, v14 quad_perm:[2,3,0,1] row_mask:0xf bank_mask:0xf
	v_add_f32_e32 v14, v14, v15
	s_nop 1
	v_mov_b32_dpp v15, v14 row_half_mirror row_mask:0xf bank_mask:0xf
	v_add_f32_e32 v14, v14, v15
	s_nop 1
	v_mov_b32_dpp v15, v14 row_mirror row_mask:0xf bank_mask:0xf
	v_add_f32_e32 v14, v14, v15
	s_nop 1
	v_mov_b32_dpp v15, v14 row_bcast:15 row_mask:0xf bank_mask:0xf
	v_add_f32_e32 v14, v14, v15
	s_nop 1
	v_mov_b32_dpp v15, v14 row_bcast:31 row_mask:0xf bank_mask:0xf
	s_and_saveexec_b64 s[14:15], s[0:1]
	s_cbranch_execz .LBB328_5
; %bb.4:
	v_add_f32_e32 v14, v14, v15
	v_lshrrev_b32_e32 v15, 4, v0
	v_and_b32_e32 v15, 60, v15
	ds_write_b32 v15, v14 offset:8
.LBB328_5:
	s_or_b64 exec, exec, s[14:15]
	v_and_b32_e32 v14, 1, v0
	v_lshlrev_b32_e32 v14, 2, v14
	s_waitcnt lgkmcnt(0)
	s_barrier
	ds_read_b32 v15, v14 offset:8
	s_load_dwordx2 s[14:15], s[4:5], 0x18
	s_waitcnt lgkmcnt(0)
	v_mov_b32_dpp v16, v15 quad_perm:[1,0,3,2] row_mask:0xf bank_mask:0xf
	s_and_saveexec_b64 s[20:21], s[2:3]
	s_cbranch_execz .LBB328_7
; %bb.6:
	v_cvt_f32_u32_e32 v17, s7
	v_add_f32_e32 v15, v15, v16
	v_mov_b32_e32 v19, s13
	v_mov_b32_e32 v20, s12
	v_div_scale_f32 v16, s[26:27], v17, v17, v15
	v_rcp_f32_e32 v18, v16
	v_cndmask_b32_e32 v19, v19, v20, vcc
	s_mov_b32 s7, 0x800000
	v_fma_f32 v20, -v16, v18, 1.0
	v_fmac_f32_e32 v18, v20, v18
	v_div_scale_f32 v20, vcc, v15, v17, v15
	v_mul_f32_e32 v21, v20, v18
	v_fma_f32 v22, -v16, v21, v20
	v_fmac_f32_e32 v21, v22, v18
	v_fma_f32 v16, -v16, v21, v20
	v_div_fmas_f32 v16, v16, v18, v21
	v_div_fixup_f32 v15, v16, v17, v15
	v_add_f32_e32 v15, v19, v15
	v_mul_f32_e32 v16, 0x4b800000, v15
	v_cmp_gt_f32_e32 vcc, s7, v15
	v_cndmask_b32_e32 v15, v15, v16, vcc
	v_rsq_f32_e32 v15, v15
	s_waitcnt vmcnt(0)
	v_cvt_f32_u32_sdwa v19, v3 dst_sel:DWORD dst_unused:UNUSED_PAD src0_sel:WORD_1
	v_cvt_f32_u32_sdwa v18, v3 dst_sel:DWORD dst_unused:UNUSED_PAD src0_sel:WORD_0
	v_cvt_f32_u32_sdwa v3, v4 dst_sel:DWORD dst_unused:UNUSED_PAD src0_sel:WORD_1
	v_mul_f32_e32 v16, 0x45800000, v15
	v_cndmask_b32_e32 v16, v15, v16, vcc
	v_mov_b32_e32 v17, v16
	;;#ASMSTART
	v_pk_mul_f32 v[12:13], v[12:13], v[16:17]
	;;#ASMEND
	;;#ASMSTART
	v_pk_mul_f32 v[10:11], v[10:11], v[16:17]
	;;#ASMEND
	;; [unrolled: 3-line block ×4, first 2 shown]
	v_cvt_f32_u32_sdwa v17, v2 dst_sel:DWORD dst_unused:UNUSED_PAD src0_sel:WORD_1
	v_cvt_f32_u32_sdwa v16, v2 dst_sel:DWORD dst_unused:UNUSED_PAD src0_sel:WORD_0
	v_cvt_f32_u32_sdwa v2, v4 dst_sel:DWORD dst_unused:UNUSED_PAD src0_sel:WORD_0
	v_cvt_f32_u32_sdwa v21, v5 dst_sel:DWORD dst_unused:UNUSED_PAD src0_sel:WORD_1
	v_cvt_f32_u32_sdwa v20, v5 dst_sel:DWORD dst_unused:UNUSED_PAD src0_sel:WORD_0
	;;#ASMSTART
	v_pk_mul_f32 v[12:13], v[12:13], v[16:17]
	;;#ASMEND
	;;#ASMSTART
	v_pk_mul_f32 v[10:11], v[10:11], v[18:19]
	;;#ASMEND
	;; [unrolled: 3-line block ×4, first 2 shown]
.LBB328_7:
	s_or_b64 exec, exec, s[20:21]
	s_load_dwordx2 s[26:27], s[4:5], 0x7c
	s_mov_b64 s[20:21], -1
	s_and_b64 vcc, exec, s[10:11]
	s_cbranch_vccnz .LBB328_11
; %bb.8:
	s_andn2_b64 vcc, exec, s[20:21]
	s_cbranch_vccz .LBB328_14
.LBB328_9:
	s_cmp_lt_i32 s16, 1
	s_cbranch_scc0 .LBB328_17
.LBB328_10:
	s_endpgm
.LBB328_11:
	s_and_saveexec_b64 s[10:11], s[2:3]
	s_cbranch_execz .LBB328_13
; %bb.12:
	s_waitcnt lgkmcnt(0)
	s_mul_hi_i32 s21, s27, s6
	s_mul_i32 s20, s27, s6
	s_lshl_b64 s[20:21], s[20:21], 1
	s_add_u32 s20, s14, s20
	s_addc_u32 s7, s15, s21
	s_and_b32 s21, s7, 0xffff
	s_mov_b32 s7, 0x7060302
	s_mov_b32 s23, 0x20000
	s_waitcnt vmcnt(0)
	v_perm_b32 v2, v13, v12, s7
	v_perm_b32 v3, v11, v10, s7
	;; [unrolled: 1-line block ×4, first 2 shown]
	v_lshlrev_b32_e32 v15, 4, v0
	buffer_store_dwordx4 v[2:5], v15, s[20:23], 0 offen
	;;#ASMSTART
	s_nop 0
	;;#ASMEND
.LBB328_13:
	s_or_b64 exec, exec, s[10:11]
	s_cbranch_execnz .LBB328_9
.LBB328_14:
	s_and_saveexec_b64 s[10:11], s[2:3]
	s_cbranch_execz .LBB328_16
; %bb.15:
	s_load_dwordx2 s[2:3], s[4:5], 0x10
	s_waitcnt lgkmcnt(0)
	s_mul_hi_i32 s21, s26, s6
	s_mul_i32 s20, s26, s6
	s_lshl_b64 s[20:21], s[20:21], 1
	s_mov_b32 s23, 0x20000
	s_add_u32 s20, s2, s20
	s_addc_u32 s2, s3, s21
	s_and_b32 s21, s2, 0xffff
	s_mov_b32 s2, 0x7060302
	s_waitcnt vmcnt(0)
	v_perm_b32 v2, v13, v12, s2
	v_perm_b32 v3, v11, v10, s2
	;; [unrolled: 1-line block ×4, first 2 shown]
	v_lshlrev_b32_e32 v6, 4, v0
	buffer_store_dwordx4 v[2:5], v6, s[20:23], 0 offen
	;;#ASMSTART
	s_nop 0
	;;#ASMEND
.LBB328_16:
	s_or_b64 exec, exec, s[10:11]
	s_cmp_lt_i32 s16, 1
	s_cbranch_scc1 .LBB328_10
.LBB328_17:
	s_load_dword s2, s[4:5], 0x94
	s_waitcnt lgkmcnt(0)
	s_cmp_lg_u32 s2, 1
	s_cbranch_scc1 .LBB328_10
; %bb.18:
	s_lshl_b32 s2, s16, 1
	s_add_i32 s2, s2, 2
	v_cmp_gt_u32_e32 vcc, s16, v1
	s_and_b32 s10, s2, -4
	v_mov_b32_e32 v6, 0
	v_lshlrev_b32_e32 v1, 4, v0
	v_mov_b32_e32 v7, 0
	v_mov_b32_e32 v8, 0
	;; [unrolled: 1-line block ×3, first 2 shown]
	s_waitcnt vmcnt(0)
	v_mov_b32_e32 v2, 0
	v_mov_b32_e32 v3, 0
	;; [unrolled: 1-line block ×4, first 2 shown]
	s_barrier
	s_and_saveexec_b64 s[2:3], vcc
	s_cbranch_execz .LBB328_20
; %bb.19:
	s_mul_hi_i32 s5, s18, s6
	s_mul_i32 s4, s18, s6
	s_and_b32 s9, s9, 0xffff
	s_lshl_b64 s[4:5], s[4:5], 1
	s_add_u32 s20, s24, s4
	s_mov_b32 s11, 0x20000
	s_addc_u32 s4, s25, s5
	s_and_b32 s21, s4, 0xffff
	s_mov_b32 s22, s10
	s_mov_b32 s23, s11
	buffer_load_dwordx4 v[6:9], v1, s[20:23], 0 offen glc slc
	buffer_load_dwordx4 v[2:5], v1, s[8:11], 0 offen
.LBB328_20:
	s_or_b64 exec, exec, s[2:3]
	s_waitcnt vmcnt(1)
	v_cvt_f32_u32_sdwa v13, v6 dst_sel:DWORD dst_unused:UNUSED_PAD src0_sel:WORD_1
	v_cvt_f32_u32_sdwa v12, v6 dst_sel:DWORD dst_unused:UNUSED_PAD src0_sel:WORD_0
	v_cvt_f32_u32_sdwa v6, v9 dst_sel:DWORD dst_unused:UNUSED_PAD src0_sel:WORD_1
	v_cvt_f32_u32_sdwa v9, v9 dst_sel:DWORD dst_unused:UNUSED_PAD src0_sel:WORD_0
	;; [unrolled: 2-line block ×4, first 2 shown]
	v_cndmask_b32_e32 v13, 0, v13, vcc
	v_cndmask_b32_e32 v7, 0, v6, vcc
	;; [unrolled: 1-line block ×5, first 2 shown]
	v_mul_f32_e32 v15, v13, v13
	v_cndmask_b32_e32 v10, 0, v10, vcc
	v_fmac_f32_e32 v15, v12, v12
	v_cndmask_b32_e32 v11, 0, v11, vcc
	v_fmac_f32_e32 v15, v10, v10
	;; [unrolled: 2-line block ×3, first 2 shown]
	v_fmac_f32_e32 v15, v8, v8
	v_fmac_f32_e32 v15, v9, v9
	;; [unrolled: 1-line block ×4, first 2 shown]
	s_nop 1
	v_mov_b32_dpp v16, v15 quad_perm:[1,0,3,2] row_mask:0xf bank_mask:0xf
	v_add_f32_e32 v15, v15, v16
	s_nop 1
	v_mov_b32_dpp v16, v15 quad_perm:[2,3,0,1] row_mask:0xf bank_mask:0xf
	v_add_f32_e32 v15, v15, v16
	s_nop 1
	v_mov_b32_dpp v16, v15 row_half_mirror row_mask:0xf bank_mask:0xf
	v_add_f32_e32 v15, v15, v16
	s_nop 1
	v_mov_b32_dpp v16, v15 row_mirror row_mask:0xf bank_mask:0xf
	v_add_f32_e32 v15, v15, v16
	s_nop 1
	v_mov_b32_dpp v16, v15 row_bcast:15 row_mask:0xf bank_mask:0xf
	v_add_f32_e32 v15, v15, v16
	s_nop 1
	v_mov_b32_dpp v16, v15 row_bcast:31 row_mask:0xf bank_mask:0xf
	s_and_saveexec_b64 s[2:3], s[0:1]
	s_cbranch_execz .LBB328_22
; %bb.21:
	v_lshrrev_b32_e32 v0, 4, v0
	v_add_f32_e32 v15, v15, v16
	v_and_b32_e32 v0, 60, v0
	ds_write_b32 v0, v15
.LBB328_22:
	s_or_b64 exec, exec, s[2:3]
	s_waitcnt lgkmcnt(0)
	s_barrier
	ds_read_b32 v0, v14
	s_waitcnt lgkmcnt(0)
	s_nop 0
	v_mov_b32_dpp v14, v0 quad_perm:[1,0,3,2] row_mask:0xf bank_mask:0xf
	s_and_saveexec_b64 s[0:1], vcc
	s_cbranch_execz .LBB328_10
; %bb.23:
	v_cvt_f32_u32_e32 v15, s16
	v_add_f32_e32 v0, v0, v14
	s_mov_b32 s11, 0x20000
	v_div_scale_f32 v14, s[0:1], v15, v15, v0
	v_rcp_f32_e32 v16, v14
	v_div_scale_f32 v17, vcc, v0, v15, v0
	s_mov_b32 s0, 0x800000
	v_fma_f32 v18, -v14, v16, 1.0
	v_fmac_f32_e32 v16, v18, v16
	v_mul_f32_e32 v18, v17, v16
	v_fma_f32 v19, -v14, v18, v17
	v_fmac_f32_e32 v18, v19, v16
	v_fma_f32 v14, -v14, v18, v17
	v_div_fmas_f32 v14, v14, v16, v18
	v_div_fixup_f32 v0, v14, v15, v0
	v_add_f32_e32 v0, s13, v0
	v_mul_f32_e32 v14, 0x4b800000, v0
	v_cmp_gt_f32_e32 vcc, s0, v0
	v_cndmask_b32_e32 v0, v0, v14, vcc
	v_rsq_f32_e32 v0, v0
	s_mul_hi_i32 s1, s27, s6
	s_mul_i32 s0, s27, s6
	s_lshl_b64 s[0:1], s[0:1], 1
	v_mul_f32_e32 v14, 0x45800000, v0
	v_cndmask_b32_e32 v14, v0, v14, vcc
	s_add_u32 s8, s14, s0
	v_mov_b32_e32 v15, v14
	s_addc_u32 s0, s15, s1
	;;#ASMSTART
	v_pk_mul_f32 v[12:13], v[12:13], v[14:15]
	;;#ASMEND
	;;#ASMSTART
	v_pk_mul_f32 v[10:11], v[10:11], v[14:15]
	;;#ASMEND
	;; [unrolled: 3-line block ×4, first 2 shown]
	s_waitcnt vmcnt(0)
	v_cvt_f32_u32_sdwa v15, v2 dst_sel:DWORD dst_unused:UNUSED_PAD src0_sel:WORD_1
	v_cvt_f32_u32_sdwa v14, v2 dst_sel:DWORD dst_unused:UNUSED_PAD src0_sel:WORD_0
	v_cvt_f32_u32_sdwa v17, v3 dst_sel:DWORD dst_unused:UNUSED_PAD src0_sel:WORD_1
	v_cvt_f32_u32_sdwa v16, v3 dst_sel:DWORD dst_unused:UNUSED_PAD src0_sel:WORD_0
	;; [unrolled: 2-line block ×4, first 2 shown]
	;;#ASMSTART
	v_pk_mul_f32 v[4:5], v[12:13], v[14:15]
	;;#ASMEND
	s_and_b32 s9, s0, 0xffff
	s_mov_b32 s0, 0x7060302
	;;#ASMSTART
	v_pk_mul_f32 v[10:11], v[10:11], v[16:17]
	;;#ASMEND
	;;#ASMSTART
	v_pk_mul_f32 v[8:9], v[8:9], v[2:3]
	;;#ASMEND
	;; [unrolled: 3-line block ×3, first 2 shown]
	v_perm_b32 v2, v5, v4, s0
	v_perm_b32 v3, v11, v10, s0
	;; [unrolled: 1-line block ×4, first 2 shown]
	buffer_store_dwordx4 v[2:5], v1, s[8:11], 0 offen
	;;#ASMSTART
	s_nop 0
	;;#ASMEND
	s_endpgm
	.section	.rodata,"a",@progbits
	.p2align	6, 0x0
	.amdhsa_kernel _ZN5aiter35fused_qk_rmsnorm_group_quant_kernelItN4opus5fp4_tELi128ELi8ELi16ELb0ELb1ELb0ELb1ELb0ELb0EEEvPT0_PvPT_S7_S7_PKS6_S9_S9_S9_S9_ffiiiiiiiiiiiii
		.amdhsa_group_segment_fixed_size 16
		.amdhsa_private_segment_fixed_size 0
		.amdhsa_kernarg_size 400
		.amdhsa_user_sgpr_count 6
		.amdhsa_user_sgpr_private_segment_buffer 1
		.amdhsa_user_sgpr_dispatch_ptr 0
		.amdhsa_user_sgpr_queue_ptr 0
		.amdhsa_user_sgpr_kernarg_segment_ptr 1
		.amdhsa_user_sgpr_dispatch_id 0
		.amdhsa_user_sgpr_flat_scratch_init 0
		.amdhsa_user_sgpr_kernarg_preload_length 0
		.amdhsa_user_sgpr_kernarg_preload_offset 0
		.amdhsa_user_sgpr_private_segment_size 0
		.amdhsa_uses_dynamic_stack 0
		.amdhsa_system_sgpr_private_segment_wavefront_offset 0
		.amdhsa_system_sgpr_workgroup_id_x 1
		.amdhsa_system_sgpr_workgroup_id_y 1
		.amdhsa_system_sgpr_workgroup_id_z 0
		.amdhsa_system_sgpr_workgroup_info 0
		.amdhsa_system_vgpr_workitem_id 0
		.amdhsa_next_free_vgpr 23
		.amdhsa_next_free_sgpr 32
		.amdhsa_accum_offset 24
		.amdhsa_reserve_vcc 1
		.amdhsa_reserve_flat_scratch 0
		.amdhsa_float_round_mode_32 0
		.amdhsa_float_round_mode_16_64 0
		.amdhsa_float_denorm_mode_32 3
		.amdhsa_float_denorm_mode_16_64 3
		.amdhsa_dx10_clamp 1
		.amdhsa_ieee_mode 1
		.amdhsa_fp16_overflow 0
		.amdhsa_tg_split 0
		.amdhsa_exception_fp_ieee_invalid_op 0
		.amdhsa_exception_fp_denorm_src 0
		.amdhsa_exception_fp_ieee_div_zero 0
		.amdhsa_exception_fp_ieee_overflow 0
		.amdhsa_exception_fp_ieee_underflow 0
		.amdhsa_exception_fp_ieee_inexact 0
		.amdhsa_exception_int_div_zero 0
	.end_amdhsa_kernel
	.section	.text._ZN5aiter35fused_qk_rmsnorm_group_quant_kernelItN4opus5fp4_tELi128ELi8ELi16ELb0ELb1ELb0ELb1ELb0ELb0EEEvPT0_PvPT_S7_S7_PKS6_S9_S9_S9_S9_ffiiiiiiiiiiiii,"axG",@progbits,_ZN5aiter35fused_qk_rmsnorm_group_quant_kernelItN4opus5fp4_tELi128ELi8ELi16ELb0ELb1ELb0ELb1ELb0ELb0EEEvPT0_PvPT_S7_S7_PKS6_S9_S9_S9_S9_ffiiiiiiiiiiiii,comdat
.Lfunc_end328:
	.size	_ZN5aiter35fused_qk_rmsnorm_group_quant_kernelItN4opus5fp4_tELi128ELi8ELi16ELb0ELb1ELb0ELb1ELb0ELb0EEEvPT0_PvPT_S7_S7_PKS6_S9_S9_S9_S9_ffiiiiiiiiiiiii, .Lfunc_end328-_ZN5aiter35fused_qk_rmsnorm_group_quant_kernelItN4opus5fp4_tELi128ELi8ELi16ELb0ELb1ELb0ELb1ELb0ELb0EEEvPT0_PvPT_S7_S7_PKS6_S9_S9_S9_S9_ffiiiiiiiiiiiii
                                        ; -- End function
	.section	.AMDGPU.csdata,"",@progbits
; Kernel info:
; codeLenInByte = 1996
; NumSgprs: 36
; NumVgprs: 23
; NumAgprs: 0
; TotalNumVgprs: 23
; ScratchSize: 0
; MemoryBound: 0
; FloatMode: 240
; IeeeMode: 1
; LDSByteSize: 16 bytes/workgroup (compile time only)
; SGPRBlocks: 4
; VGPRBlocks: 2
; NumSGPRsForWavesPerEU: 36
; NumVGPRsForWavesPerEU: 23
; AccumOffset: 24
; Occupancy: 8
; WaveLimiterHint : 0
; COMPUTE_PGM_RSRC2:SCRATCH_EN: 0
; COMPUTE_PGM_RSRC2:USER_SGPR: 6
; COMPUTE_PGM_RSRC2:TRAP_HANDLER: 0
; COMPUTE_PGM_RSRC2:TGID_X_EN: 1
; COMPUTE_PGM_RSRC2:TGID_Y_EN: 1
; COMPUTE_PGM_RSRC2:TGID_Z_EN: 0
; COMPUTE_PGM_RSRC2:TIDIG_COMP_CNT: 0
; COMPUTE_PGM_RSRC3_GFX90A:ACCUM_OFFSET: 5
; COMPUTE_PGM_RSRC3_GFX90A:TG_SPLIT: 0
	.section	.text._ZN5aiter35fused_qk_rmsnorm_group_quant_kernelIDF16_DB8_Li128ELi8ELi16ELb1ELb1ELb1ELb0ELb0ELb0EEEvPT0_PvPT_S6_S6_PKS5_S8_S8_S8_S8_ffiiiiiiiiiiiii,"axG",@progbits,_ZN5aiter35fused_qk_rmsnorm_group_quant_kernelIDF16_DB8_Li128ELi8ELi16ELb1ELb1ELb1ELb0ELb0ELb0EEEvPT0_PvPT_S6_S6_PKS5_S8_S8_S8_S8_ffiiiiiiiiiiiii,comdat
	.protected	_ZN5aiter35fused_qk_rmsnorm_group_quant_kernelIDF16_DB8_Li128ELi8ELi16ELb1ELb1ELb1ELb0ELb0ELb0EEEvPT0_PvPT_S6_S6_PKS5_S8_S8_S8_S8_ffiiiiiiiiiiiii ; -- Begin function _ZN5aiter35fused_qk_rmsnorm_group_quant_kernelIDF16_DB8_Li128ELi8ELi16ELb1ELb1ELb1ELb0ELb0ELb0EEEvPT0_PvPT_S6_S6_PKS5_S8_S8_S8_S8_ffiiiiiiiiiiiii
	.globl	_ZN5aiter35fused_qk_rmsnorm_group_quant_kernelIDF16_DB8_Li128ELi8ELi16ELb1ELb1ELb1ELb0ELb0ELb0EEEvPT0_PvPT_S6_S6_PKS5_S8_S8_S8_S8_ffiiiiiiiiiiiii
	.p2align	8
	.type	_ZN5aiter35fused_qk_rmsnorm_group_quant_kernelIDF16_DB8_Li128ELi8ELi16ELb1ELb1ELb1ELb0ELb0ELb0EEEvPT0_PvPT_S6_S6_PKS5_S8_S8_S8_S8_ffiiiiiiiiiiiii,@function
_ZN5aiter35fused_qk_rmsnorm_group_quant_kernelIDF16_DB8_Li128ELi8ELi16ELb1ELb1ELb1ELb0ELb0ELb0EEEvPT0_PvPT_S6_S6_PKS5_S8_S8_S8_S8_ffiiiiiiiiiiiii: ; @_ZN5aiter35fused_qk_rmsnorm_group_quant_kernelIDF16_DB8_Li128ELi8ELi16ELb1ELb1ELb1ELb0ELb0ELb0EEEvPT0_PvPT_S6_S6_PKS5_S8_S8_S8_S8_ffiiiiiiiiiiiii
; %bb.0:
	s_load_dwordx8 s[20:27], s[4:5], 0x50
	s_waitcnt lgkmcnt(0)
	s_cmp_ge_i32 s6, s22
	s_cbranch_scc1 .LBB329_17
; %bb.1:
	s_cmp_lg_u32 s7, 0
	s_cselect_b64 s[10:11], -1, 0
	s_cmp_eq_u32 s7, 0
	s_cselect_b64 s[8:9], -1, 0
	s_and_b64 s[0:1], s[8:9], exec
	s_load_dwordx2 s[28:29], s[4:5], 0x48
	s_load_dwordx2 s[34:35], s[4:5], 0x30
	s_load_dwordx8 s[12:19], s[4:5], 0x70
	s_cselect_b32 s7, s23, s24
	s_add_i32 s0, s7, 1
	s_lshr_b32 s1, s0, 31
	s_add_i32 s0, s0, s1
	s_lshl_b32 s0, s0, 1
	v_lshlrev_b32_e32 v1, 3, v0
	s_and_b32 s38, s0, -4
	v_cmp_gt_i32_e64 s[0:1], s7, v1
	v_mov_b32_e32 v20, 0
	v_mov_b32_e32 v21, 0
	v_mov_b32_e32 v22, 0
	v_mov_b32_e32 v23, 0
	v_mov_b32_e32 v24, 0
	v_mov_b32_e32 v25, 0
	v_mov_b32_e32 v26, 0
	v_mov_b32_e32 v27, 0
	s_and_saveexec_b64 s[2:3], s[0:1]
	s_cbranch_execz .LBB329_3
; %bb.2:
	s_waitcnt lgkmcnt(0)
	s_load_dwordx2 s[18:19], s[4:5], 0x28
	s_load_dwordx2 s[30:31], s[4:5], 0x40
	s_and_b64 s[36:37], s[8:9], exec
	s_cselect_b32 s22, s25, s26
	s_mov_b32 s39, 0x20000
	s_waitcnt lgkmcnt(0)
	s_cselect_b32 s25, s19, s35
	s_cselect_b32 s33, s18, s34
	s_mul_hi_i32 s19, s22, s6
	s_mul_i32 s18, s22, s6
	s_lshl_b64 s[18:19], s[18:19], 1
	s_add_u32 s40, s33, s18
	s_addc_u32 s22, s25, s19
	s_and_b64 s[18:19], s[8:9], exec
	s_cselect_b32 s36, s30, s28
	s_cselect_b32 s18, s31, s29
	v_lshlrev_b32_e32 v2, 4, v0
	s_and_b32 s41, s22, 0xffff
	s_mov_b32 s42, s38
	s_mov_b32 s43, s39
	s_and_b32 s37, s18, 0xffff
	buffer_load_dwordx4 v[24:27], v2, s[40:43], 0 offen glc slc
	buffer_load_dwordx4 v[20:23], v2, s[36:39], 0 offen
.LBB329_3:
	s_or_b64 exec, exec, s[2:3]
	s_and_b64 vcc, exec, s[10:11]
	s_cbranch_vccz .LBB329_7
; %bb.4:
	v_mov_b32_e32 v29, 0
	v_mov_b32_e32 v28, 0
	;; [unrolled: 1-line block ×8, first 2 shown]
	s_and_saveexec_b64 s[2:3], s[0:1]
	s_cbranch_execz .LBB329_6
; %bb.5:
	s_waitcnt vmcnt(1)
	v_cvt_f32_f16_sdwa v11, v24 dst_sel:DWORD dst_unused:UNUSED_PAD src0_sel:WORD_1
	v_cvt_f32_f16_e32 v10, v24
	v_cvt_f32_f16_sdwa v15, v25 dst_sel:DWORD dst_unused:UNUSED_PAD src0_sel:WORD_1
	v_cvt_f32_f16_e32 v14, v25
	;; [unrolled: 2-line block ×4, first 2 shown]
.LBB329_6:
	s_or_b64 exec, exec, s[2:3]
	s_cbranch_execz .LBB329_8
	s_branch .LBB329_11
.LBB329_7:
                                        ; implicit-def: $vgpr10_vgpr11_vgpr12_vgpr13_vgpr14_vgpr15_vgpr16_vgpr17
                                        ; implicit-def: $vgpr29
                                        ; implicit-def: $vgpr12_vgpr13_vgpr14_vgpr15_vgpr16_vgpr17_vgpr18_vgpr19
                                        ; implicit-def: $vgpr2_vgpr3_vgpr4_vgpr5_vgpr6_vgpr7_vgpr8_vgpr9
.LBB329_8:
	v_mov_b32_e32 v29, 0
	v_mov_b32_e32 v28, 0
	;; [unrolled: 1-line block ×8, first 2 shown]
	s_and_saveexec_b64 s[2:3], s[0:1]
	s_cbranch_execz .LBB329_10
; %bb.9:
	s_waitcnt lgkmcnt(0)
	s_load_dwordx2 s[18:19], s[4:5], 0x38
	s_mul_hi_i32 s31, s27, s6
	s_mul_i32 s30, s27, s6
	s_lshl_b64 s[30:31], s[30:31], 1
	s_mov_b32 s39, 0x20000
	s_waitcnt lgkmcnt(0)
	s_add_u32 s36, s18, s30
	s_addc_u32 s18, s19, s31
	s_and_b32 s37, s18, 0xffff
	v_lshlrev_b32_e32 v30, 4, v0
	buffer_load_dwordx4 v[2:5], v30, s[36:39], 0 offen glc slc
	s_waitcnt vmcnt(2)
	v_cvt_f32_f16_sdwa v7, v24 dst_sel:DWORD dst_unused:UNUSED_PAD src0_sel:WORD_1
	v_cvt_f32_f16_e32 v6, v24
	v_cvt_f32_f16_sdwa v9, v25 dst_sel:DWORD dst_unused:UNUSED_PAD src0_sel:WORD_1
	v_cvt_f32_f16_e32 v8, v25
	;; [unrolled: 2-line block ×4, first 2 shown]
	s_load_dwordx2 s[18:19], s[4:5], 0x20
	s_mul_hi_i32 s31, s17, s6
	s_mul_i32 s30, s17, s6
	s_lshl_b64 s[30:31], s[30:31], 1
	s_waitcnt lgkmcnt(0)
	s_add_u32 s36, s18, s30
	s_addc_u32 s17, s19, s31
	s_and_b32 s37, s17, 0xffff
	s_waitcnt vmcnt(0)
	v_cvt_f32_f16_e32 v10, v2
	v_cvt_f32_f16_sdwa v11, v2 dst_sel:DWORD dst_unused:UNUSED_PAD src0_sel:WORD_1
	v_cvt_f32_f16_e32 v2, v3
	v_cvt_f32_f16_sdwa v3, v3 dst_sel:DWORD dst_unused:UNUSED_PAD src0_sel:WORD_1
	;; [unrolled: 2-line block ×4, first 2 shown]
	v_pk_add_f32 v[10:11], v[6:7], v[10:11]
	v_pk_add_f32 v[14:15], v[8:9], v[2:3]
	;; [unrolled: 1-line block ×4, first 2 shown]
	v_cvt_f16_f32_e32 v2, v11
	v_cvt_f16_f32_e32 v3, v15
	;; [unrolled: 1-line block ×8, first 2 shown]
	v_pack_b32_f16 v5, v8, v5
	v_pack_b32_f16 v4, v9, v4
	;; [unrolled: 1-line block ×4, first 2 shown]
	buffer_store_dwordx4 v[2:5], v30, s[36:39], 0 offen glc slc
	;;#ASMSTART
	s_nop 0
	;;#ASMEND
.LBB329_10:
	s_or_b64 exec, exec, s[2:3]
.LBB329_11:
	v_mul_f32_e32 v2, v11, v11
	v_fmac_f32_e32 v2, v10, v10
	v_fmac_f32_e32 v2, v14, v14
	;; [unrolled: 1-line block ×7, first 2 shown]
	v_and_b32_e32 v4, 63, v0
	v_cmp_eq_u32_e64 s[2:3], 63, v4
	v_mov_b32_dpp v3, v2 quad_perm:[1,0,3,2] row_mask:0xf bank_mask:0xf
	v_add_f32_e32 v2, v2, v3
	s_nop 1
	v_mov_b32_dpp v3, v2 quad_perm:[2,3,0,1] row_mask:0xf bank_mask:0xf
	v_add_f32_e32 v2, v2, v3
	s_nop 1
	v_mov_b32_dpp v3, v2 row_half_mirror row_mask:0xf bank_mask:0xf
	v_add_f32_e32 v2, v2, v3
	s_nop 1
	v_mov_b32_dpp v3, v2 row_mirror row_mask:0xf bank_mask:0xf
	v_add_f32_e32 v2, v2, v3
	s_nop 1
	v_mov_b32_dpp v3, v2 row_bcast:15 row_mask:0xf bank_mask:0xf
	v_add_f32_e32 v2, v2, v3
	s_nop 1
	v_mov_b32_dpp v3, v2 row_bcast:31 row_mask:0xf bank_mask:0xf
	s_waitcnt lgkmcnt(0)
	s_and_saveexec_b64 s[18:19], s[2:3]
	s_cbranch_execz .LBB329_13
; %bb.12:
	v_add_f32_e32 v2, v2, v3
	v_lshrrev_b32_e32 v3, 4, v0
	v_and_b32_e32 v3, 60, v3
	ds_write_b32 v3, v2 offset:8
.LBB329_13:
	s_or_b64 exec, exec, s[18:19]
	v_and_b32_e32 v2, 1, v0
	v_lshlrev_b32_e32 v18, 2, v2
	s_waitcnt lgkmcnt(0)
	s_barrier
	ds_read_b32 v2, v18 offset:8
	s_load_dwordx2 s[18:19], s[4:5], 0x18
	s_waitcnt lgkmcnt(0)
	v_mov_b32_dpp v3, v2 quad_perm:[1,0,3,2] row_mask:0xf bank_mask:0xf
	s_and_saveexec_b64 s[30:31], s[0:1]
	s_cbranch_execnz .LBB329_18
; %bb.14:
	s_or_b64 exec, exec, s[30:31]
	s_mov_b64 s[8:9], -1
	s_and_b64 vcc, exec, s[10:11]
	s_cbranch_vccnz .LBB329_19
.LBB329_15:
	s_andn2_b64 vcc, exec, s[8:9]
	s_cbranch_vccz .LBB329_22
.LBB329_16:
	s_cmp_lt_i32 s24, 1
	s_cbranch_scc0 .LBB329_31
.LBB329_17:
	s_endpgm
.LBB329_18:
	v_cvt_f32_u32_e32 v4, s7
	v_add_f32_e32 v2, v2, v3
	v_mov_b32_e32 v8, s21
	v_mov_b32_e32 v9, s20
	v_div_scale_f32 v3, s[36:37], v4, v4, v2
	v_rcp_f32_e32 v5, v3
	v_cndmask_b32_e64 v8, v8, v9, s[8:9]
	s_mov_b32 s7, 0x800000
	s_waitcnt vmcnt(0)
	v_cvt_f32_f16_sdwa v17, v23 dst_sel:DWORD dst_unused:UNUSED_PAD src0_sel:WORD_1
	v_fma_f32 v9, -v3, v5, 1.0
	v_fmac_f32_e32 v5, v9, v5
	v_div_scale_f32 v9, vcc, v2, v4, v2
	v_mul_f32_e32 v12, v9, v5
	v_fma_f32 v13, -v3, v12, v9
	v_fmac_f32_e32 v12, v13, v5
	v_fma_f32 v3, -v3, v12, v9
	v_div_fmas_f32 v3, v3, v5, v12
	v_div_fixup_f32 v2, v3, v4, v2
	v_add_f32_e32 v2, v8, v2
	v_mul_f32_e32 v3, 0x4b800000, v2
	v_cmp_gt_f32_e32 vcc, s7, v2
	v_cndmask_b32_e32 v2, v2, v3, vcc
	v_rsq_f32_e32 v2, v2
	v_cvt_f32_f16_sdwa v13, v21 dst_sel:DWORD dst_unused:UNUSED_PAD src0_sel:WORD_1
	v_cvt_f32_f16_e32 v12, v21
	v_cvt_f32_f16_e32 v16, v23
	v_mul_f32_e32 v3, 0x45800000, v2
	v_cndmask_b32_e32 v2, v2, v3, vcc
	v_mov_b32_e32 v3, v2
	;;#ASMSTART
	v_pk_mul_f32 v[4:5], v[10:11], v[2:3]
	;;#ASMEND
	v_cvt_f32_f16_sdwa v11, v20 dst_sel:DWORD dst_unused:UNUSED_PAD src0_sel:WORD_1
	v_cvt_f32_f16_e32 v10, v20
	;;#ASMSTART
	v_pk_mul_f32 v[8:9], v[14:15], v[2:3]
	;;#ASMEND
	;;#ASMSTART
	v_pk_mul_f32 v[6:7], v[6:7], v[2:3]
	;;#ASMEND
	;;#ASMSTART
	v_pk_mul_f32 v[2:3], v[28:29], v[2:3]
	;;#ASMEND
	v_pk_add_f32 v[10:11], v[10:11], 1.0 op_sel_hi:[1,0]
	;;#ASMSTART
	v_pk_mul_f32 v[10:11], v[4:5], v[10:11]
	;;#ASMEND
	v_pk_add_f32 v[4:5], v[12:13], 1.0 op_sel_hi:[1,0]
	v_cvt_f32_f16_sdwa v13, v22 dst_sel:DWORD dst_unused:UNUSED_PAD src0_sel:WORD_1
	v_cvt_f32_f16_e32 v12, v22
	;;#ASMSTART
	v_pk_mul_f32 v[14:15], v[8:9], v[4:5]
	;;#ASMEND
	v_pk_add_f32 v[4:5], v[12:13], 1.0 op_sel_hi:[1,0]
	;;#ASMSTART
	v_pk_mul_f32 v[6:7], v[6:7], v[4:5]
	;;#ASMEND
	v_pk_add_f32 v[4:5], v[16:17], 1.0 op_sel_hi:[1,0]
	;;#ASMSTART
	v_pk_mul_f32 v[28:29], v[2:3], v[4:5]
	;;#ASMEND
	s_or_b64 exec, exec, s[30:31]
	s_mov_b64 s[8:9], -1
	s_and_b64 vcc, exec, s[10:11]
	s_cbranch_vccz .LBB329_15
.LBB329_19:
	s_and_saveexec_b64 s[8:9], s[0:1]
	s_cbranch_execz .LBB329_21
; %bb.20:
	s_mul_hi_i32 s11, s16, s6
	s_mul_i32 s10, s16, s6
	v_cvt_f16_f32_e32 v2, v10
	v_cvt_f16_f32_e32 v3, v14
	;; [unrolled: 1-line block ×8, first 2 shown]
	s_lshl_b64 s[10:11], s[10:11], 1
	s_add_u32 s36, s18, s10
	s_addc_u32 s7, s19, s11
	s_and_b32 s37, s7, 0xffff
	s_mov_b32 s39, 0x20000
	v_pack_b32_f16 v5, v5, v8
	v_pack_b32_f16 v4, v4, v9
	;; [unrolled: 1-line block ×4, first 2 shown]
	v_lshlrev_b32_e32 v8, 4, v0
	buffer_store_dwordx4 v[2:5], v8, s[36:39], 0 offen
	;;#ASMSTART
	s_nop 0
	;;#ASMEND
.LBB329_21:
	s_or_b64 exec, exec, s[8:9]
	s_cbranch_execnz .LBB329_16
.LBB329_22:
	v_mov_b32_e32 v2, 0
	s_and_saveexec_b64 s[8:9], s[0:1]
	s_cbranch_execz .LBB329_24
; %bb.23:
	s_load_dwordx2 s[10:11], s[4:5], 0x10
	s_mul_hi_i32 s31, s15, s6
	s_mul_i32 s30, s15, s6
	v_cvt_f16_f32_e32 v2, v10
	v_cvt_f16_f32_e32 v3, v14
	;; [unrolled: 1-line block ×8, first 2 shown]
	s_lshl_b64 s[30:31], s[30:31], 1
	s_waitcnt lgkmcnt(0)
	s_add_u32 s36, s10, s30
	s_addc_u32 s7, s11, s31
	s_mov_b32 s39, 0x20000
	s_and_b32 s37, s7, 0xffff
	v_pack_b32_f16 v5, v5, v8
	v_pack_b32_f16 v4, v4, v9
	;; [unrolled: 1-line block ×4, first 2 shown]
	v_lshlrev_b32_e32 v8, 4, v0
	buffer_store_dwordx4 v[2:5], v8, s[36:39], 0 offen
	;;#ASMSTART
	s_nop 0
	;;#ASMEND
	s_nop 0
	v_mov_b32_e32 v2, 0x2edbe6ff
.LBB329_24:
	s_or_b64 exec, exec, s[8:9]
	s_and_saveexec_b64 s[8:9], s[0:1]
	s_cbranch_execz .LBB329_26
; %bb.25:
	v_and_b32_e32 v3, 0x7fffffff, v10
	v_and_b32_e32 v4, 0x7fffffff, v11
	;;#ASMSTART
	v_max3_f32 v2, v2, v3, v4

	;;#ASMEND
	v_and_b32_e32 v3, 0x7fffffff, v14
	v_and_b32_e32 v4, 0x7fffffff, v15
	;;#ASMSTART
	v_max3_f32 v2, v2, v3, v4

	;;#ASMEND
	;; [unrolled: 6-line block ×4, first 2 shown]
.LBB329_26:
	s_or_b64 exec, exec, s[8:9]
	;;#ASMSTART
	v_max_f32 v3, v2, v2 quad_perm:[1,0,3,2] row_mask:0xf bank_mask:0xf bound_ctrl:1
	;;#ASMEND
	;;#ASMSTART
	v_max_f32 v2, v3, v3 quad_perm:[2,3,0,1] row_mask:0xf bank_mask:0xf bound_ctrl:1
	;;#ASMEND
	;;#ASMSTART
	v_max_f32 v3, v2, v2 row_half_mirror row_mask:0xf bank_mask:0xf bound_ctrl:1
	;;#ASMEND
	;;#ASMSTART
	v_max_f32 v2, v3, v3 row_mirror row_mask:0xf bank_mask:0xf bound_ctrl:1
	;;#ASMEND
	v_and_b32_e32 v3, 15, v0
	v_cmp_eq_u32_e32 vcc, 0, v3
	v_cmp_gt_i32_e64 s[8:9], s23, v1
	v_mul_f32_e32 v2, 0x3b124925, v2
	s_and_b64 s[10:11], vcc, s[8:9]
	s_and_saveexec_b64 s[8:9], s[10:11]
	s_cbranch_execz .LBB329_28
; %bb.27:
	s_load_dwordx2 s[10:11], s[4:5], 0x8
	v_lshrrev_b32_e32 v3, 4, v0
	s_mul_hi_i32 s31, s13, s6
	s_mul_i32 s30, s13, s6
	v_mad_i64_i32 v[4:5], s[14:15], s14, v3, 0
	s_lshl_b64 s[14:15], s[30:31], 2
	s_waitcnt lgkmcnt(0)
	s_add_u32 s7, s10, s14
	s_addc_u32 s10, s11, s15
	v_lshlrev_b64 v[4:5], 2, v[4:5]
	v_mov_b32_e32 v3, s10
	v_add_co_u32_e32 v4, vcc, s7, v4
	v_addc_co_u32_e32 v5, vcc, v3, v5, vcc
	global_store_dword v[4:5], v2, off
.LBB329_28:
	s_or_b64 exec, exec, s[8:9]
	;;#ASMSTART
	v_rcp_f32 v2, v2
	;;#ASMEND
	s_and_saveexec_b64 s[14:15], s[0:1]
	s_cbranch_execz .LBB329_30
; %bb.29:
	s_load_dwordx2 s[0:1], s[4:5], 0x0
	s_mul_i32 s8, s12, s6
	v_mov_b32_e32 v3, v2
	;;#ASMSTART
	v_pk_mul_f32 v[4:5], v[10:11], v[2:3]
	;;#ASMEND
	s_mul_hi_i32 s7, s12, s6
	s_waitcnt lgkmcnt(0)
	s_add_u32 s8, s0, s8
	v_mov_b32_e32 v8, 0xc3e00000
	v_mov_b32_e32 v9, 0x43e00000
	;;#ASMSTART
	v_med3_f32 v4, v4, v8, v9
v_med3_f32 v5, v5, v8, v9
v_cvt_pk_fp8_f32 v10, v4, v5
	;;#ASMEND
	s_addc_u32 s0, s1, s7
	;;#ASMSTART
	v_pk_mul_f32 v[4:5], v[14:15], v[2:3]
	;;#ASMEND
	s_and_b32 s9, s0, 0xffff
	;;#ASMSTART
	v_med3_f32 v4, v4, v8, v9
v_med3_f32 v5, v5, v8, v9
v_cvt_pk_fp8_f32 v11, v4, v5
	;;#ASMEND
	s_mov_b32 s0, 0x5040100
	v_perm_b32 v5, v11, v10, s0
	s_movk_i32 s0, 0xff
	v_and_b32_e32 v4, 0xffffff00, v11
	v_and_b32_sdwa v10, v5, s0 dst_sel:DWORD dst_unused:UNUSED_PAD src0_sel:WORD_1 src1_sel:DWORD
	s_mov_b32 s12, 0xffff
	v_or_b32_sdwa v4, v10, v4 dst_sel:WORD_1 dst_unused:UNUSED_PAD src0_sel:DWORD src1_sel:DWORD
	s_add_i32 s1, s23, 3
	v_and_or_b32 v4, v5, s12, v4
	;;#ASMSTART
	v_pk_mul_f32 v[6:7], v[6:7], v[2:3]
	;;#ASMEND
	v_mov_b32_e32 v5, v7
	s_ashr_i32 s7, s1, 31
	;;#ASMSTART
	v_med3_f32 v6, v6, v8, v9
v_med3_f32 v5, v5, v8, v9
v_cvt_pk_fp8_f32 v7, v6, v5
	;;#ASMEND
	;;#ASMSTART
	v_pk_mul_f32 v[2:3], v[28:29], v[2:3]
	;;#ASMEND
	s_lshr_b32 s7, s7, 30
	;;#ASMSTART
	v_med3_f32 v2, v2, v8, v9
v_med3_f32 v3, v3, v8, v9
v_cvt_pk_fp8_f32 v5, v2, v3
	;;#ASMEND
	s_add_i32 s1, s1, s7
	v_lshlrev_b32_e32 v2, 16, v5
	s_and_b32 s10, s1, -4
	s_mov_b32 s11, 0x20000
	v_and_or_b32 v5, v7, s12, v2
	buffer_store_dwordx2 v[4:5], v1, s[8:11], 0 offen
	;;#ASMSTART
	s_nop 0
	;;#ASMEND
.LBB329_30:
	s_or_b64 exec, exec, s[14:15]
	s_cmp_lt_i32 s24, 1
	s_cbranch_scc1 .LBB329_17
.LBB329_31:
	s_load_dword s0, s[4:5], 0x94
	s_waitcnt lgkmcnt(0)
	s_cmp_lg_u32 s0, 1
	s_cbranch_scc1 .LBB329_17
; %bb.32:
	s_lshl_b32 s0, s24, 1
	s_add_i32 s0, s0, 2
	v_cmp_gt_u32_e32 vcc, s24, v1
	s_and_b32 s30, s0, -4
	v_mov_b32_e32 v10, 0
	v_lshlrev_b32_e32 v1, 4, v0
	v_mov_b32_e32 v6, 0
	v_mov_b32_e32 v7, 0
	;; [unrolled: 1-line block ×8, first 2 shown]
	s_barrier
	s_and_saveexec_b64 s[0:1], vcc
	s_cbranch_execz .LBB329_34
; %bb.33:
	s_mul_hi_i32 s5, s26, s6
	s_mul_i32 s4, s26, s6
	s_and_b32 s29, s29, 0xffff
	s_lshl_b64 s[4:5], s[4:5], 1
	s_add_u32 s8, s34, s4
	s_mov_b32 s31, 0x20000
	s_addc_u32 s4, s35, s5
	s_and_b32 s9, s4, 0xffff
	s_mov_b32 s10, s30
	s_mov_b32 s11, s31
	buffer_load_dwordx4 v[6:9], v1, s[8:11], 0 offen glc slc
	buffer_load_dwordx4 v[2:5], v1, s[28:31], 0 offen
.LBB329_34:
	s_or_b64 exec, exec, s[0:1]
	v_mov_b32_e32 v11, 0
	v_mov_b32_e32 v16, 0
	;; [unrolled: 1-line block ×7, first 2 shown]
	s_and_saveexec_b64 s[0:1], vcc
	s_cbranch_execz .LBB329_36
; %bb.35:
	s_waitcnt vmcnt(1)
	v_cvt_f32_f16_sdwa v11, v6 dst_sel:DWORD dst_unused:UNUSED_PAD src0_sel:WORD_1
	v_cvt_f32_f16_e32 v10, v6
	v_cvt_f32_f16_sdwa v17, v7 dst_sel:DWORD dst_unused:UNUSED_PAD src0_sel:WORD_1
	v_cvt_f32_f16_e32 v16, v7
	;; [unrolled: 2-line block ×4, first 2 shown]
.LBB329_36:
	s_or_b64 exec, exec, s[0:1]
	s_waitcnt vmcnt(1)
	v_mul_f32_e32 v6, v11, v11
	v_fmac_f32_e32 v6, v10, v10
	v_fmac_f32_e32 v6, v16, v16
	;; [unrolled: 1-line block ×7, first 2 shown]
	s_nop 1
	v_mov_b32_dpp v7, v6 quad_perm:[1,0,3,2] row_mask:0xf bank_mask:0xf
	v_add_f32_e32 v6, v6, v7
	s_nop 1
	v_mov_b32_dpp v7, v6 quad_perm:[2,3,0,1] row_mask:0xf bank_mask:0xf
	v_add_f32_e32 v6, v6, v7
	s_nop 1
	v_mov_b32_dpp v7, v6 row_half_mirror row_mask:0xf bank_mask:0xf
	v_add_f32_e32 v6, v6, v7
	s_nop 1
	v_mov_b32_dpp v7, v6 row_mirror row_mask:0xf bank_mask:0xf
	v_add_f32_e32 v6, v6, v7
	s_nop 1
	v_mov_b32_dpp v7, v6 row_bcast:15 row_mask:0xf bank_mask:0xf
	v_add_f32_e32 v6, v6, v7
	s_nop 1
	v_mov_b32_dpp v7, v6 row_bcast:31 row_mask:0xf bank_mask:0xf
	s_and_saveexec_b64 s[0:1], s[2:3]
	s_cbranch_execz .LBB329_38
; %bb.37:
	v_lshrrev_b32_e32 v0, 4, v0
	v_add_f32_e32 v6, v6, v7
	v_and_b32_e32 v0, 60, v0
	ds_write_b32 v0, v6
.LBB329_38:
	s_or_b64 exec, exec, s[0:1]
	s_waitcnt lgkmcnt(0)
	s_barrier
	ds_read_b32 v0, v18
	s_waitcnt lgkmcnt(0)
	s_nop 0
	v_mov_b32_dpp v6, v0 quad_perm:[1,0,3,2] row_mask:0xf bank_mask:0xf
	s_and_saveexec_b64 s[0:1], vcc
	s_cbranch_execz .LBB329_17
; %bb.39:
	v_cvt_f32_u32_e32 v7, s24
	v_add_f32_e32 v0, v0, v6
	s_mov_b32 s31, 0x20000
	v_div_scale_f32 v6, s[0:1], v7, v7, v0
	v_rcp_f32_e32 v8, v6
	v_div_scale_f32 v9, vcc, v0, v7, v0
	s_mov_b32 s0, 0x800000
	v_fma_f32 v18, -v6, v8, 1.0
	v_fmac_f32_e32 v8, v18, v8
	v_mul_f32_e32 v18, v9, v8
	v_fma_f32 v19, -v6, v18, v9
	v_fmac_f32_e32 v18, v19, v8
	v_fma_f32 v6, -v6, v18, v9
	v_div_fmas_f32 v6, v6, v8, v18
	v_div_fixup_f32 v0, v6, v7, v0
	v_add_f32_e32 v0, s21, v0
	v_mul_f32_e32 v6, 0x4b800000, v0
	v_cmp_gt_f32_e32 vcc, s0, v0
	v_cndmask_b32_e32 v0, v0, v6, vcc
	v_rsq_f32_e32 v0, v0
	s_waitcnt vmcnt(0)
	v_cvt_f32_f16_sdwa v19, v3 dst_sel:DWORD dst_unused:UNUSED_PAD src0_sel:WORD_1
	v_cvt_f32_f16_e32 v18, v3
	s_mul_hi_i32 s1, s16, s6
	v_mul_f32_e32 v6, 0x45800000, v0
	v_cndmask_b32_e32 v6, v0, v6, vcc
	v_mov_b32_e32 v7, v6
	;;#ASMSTART
	v_pk_mul_f32 v[8:9], v[10:11], v[6:7]
	;;#ASMEND
	;;#ASMSTART
	v_pk_mul_f32 v[10:11], v[16:17], v[6:7]
	;;#ASMEND
	v_cvt_f32_f16_sdwa v17, v2 dst_sel:DWORD dst_unused:UNUSED_PAD src0_sel:WORD_1
	v_cvt_f32_f16_e32 v16, v2
	;;#ASMSTART
	v_pk_mul_f32 v[14:15], v[14:15], v[6:7]
	;;#ASMEND
	;;#ASMSTART
	v_pk_mul_f32 v[2:3], v[12:13], v[6:7]
	;;#ASMEND
	v_cvt_f32_f16_sdwa v13, v4 dst_sel:DWORD dst_unused:UNUSED_PAD src0_sel:WORD_1
	v_cvt_f32_f16_e32 v12, v4
	v_pk_add_f32 v[6:7], v[16:17], 1.0 op_sel_hi:[1,0]
	v_cvt_f32_f16_sdwa v17, v5 dst_sel:DWORD dst_unused:UNUSED_PAD src0_sel:WORD_1
	v_cvt_f32_f16_e32 v16, v5
	;;#ASMSTART
	v_pk_mul_f32 v[6:7], v[8:9], v[6:7]
	;;#ASMEND
	v_pk_add_f32 v[8:9], v[18:19], 1.0 op_sel_hi:[1,0]
	;;#ASMSTART
	v_pk_mul_f32 v[4:5], v[10:11], v[8:9]
	;;#ASMEND
	v_pk_add_f32 v[8:9], v[12:13], 1.0 op_sel_hi:[1,0]
	;; [unrolled: 4-line block ×3, first 2 shown]
	;;#ASMSTART
	v_pk_mul_f32 v[2:3], v[2:3], v[10:11]
	;;#ASMEND
	s_mul_i32 s0, s16, s6
	v_cvt_f16_f32_e32 v0, v6
	v_cvt_f16_f32_e32 v6, v7
	;; [unrolled: 1-line block ×8, first 2 shown]
	s_lshl_b64 s[0:1], s[0:1], 1
	s_add_u32 s28, s18, s0
	s_addc_u32 s0, s19, s1
	s_and_b32 s29, s0, 0xffff
	v_pack_b32_f16 v2, v0, v6
	v_pack_b32_f16 v3, v4, v5
	;; [unrolled: 1-line block ×4, first 2 shown]
	buffer_store_dwordx4 v[2:5], v1, s[28:31], 0 offen
	;;#ASMSTART
	s_nop 0
	;;#ASMEND
	s_endpgm
	.section	.rodata,"a",@progbits
	.p2align	6, 0x0
	.amdhsa_kernel _ZN5aiter35fused_qk_rmsnorm_group_quant_kernelIDF16_DB8_Li128ELi8ELi16ELb1ELb1ELb1ELb0ELb0ELb0EEEvPT0_PvPT_S6_S6_PKS5_S8_S8_S8_S8_ffiiiiiiiiiiiii
		.amdhsa_group_segment_fixed_size 16
		.amdhsa_private_segment_fixed_size 0
		.amdhsa_kernarg_size 400
		.amdhsa_user_sgpr_count 6
		.amdhsa_user_sgpr_private_segment_buffer 1
		.amdhsa_user_sgpr_dispatch_ptr 0
		.amdhsa_user_sgpr_queue_ptr 0
		.amdhsa_user_sgpr_kernarg_segment_ptr 1
		.amdhsa_user_sgpr_dispatch_id 0
		.amdhsa_user_sgpr_flat_scratch_init 0
		.amdhsa_user_sgpr_kernarg_preload_length 0
		.amdhsa_user_sgpr_kernarg_preload_offset 0
		.amdhsa_user_sgpr_private_segment_size 0
		.amdhsa_uses_dynamic_stack 0
		.amdhsa_system_sgpr_private_segment_wavefront_offset 0
		.amdhsa_system_sgpr_workgroup_id_x 1
		.amdhsa_system_sgpr_workgroup_id_y 1
		.amdhsa_system_sgpr_workgroup_id_z 0
		.amdhsa_system_sgpr_workgroup_info 0
		.amdhsa_system_vgpr_workitem_id 0
		.amdhsa_next_free_vgpr 31
		.amdhsa_next_free_sgpr 44
		.amdhsa_accum_offset 32
		.amdhsa_reserve_vcc 1
		.amdhsa_reserve_flat_scratch 0
		.amdhsa_float_round_mode_32 0
		.amdhsa_float_round_mode_16_64 0
		.amdhsa_float_denorm_mode_32 3
		.amdhsa_float_denorm_mode_16_64 3
		.amdhsa_dx10_clamp 1
		.amdhsa_ieee_mode 1
		.amdhsa_fp16_overflow 0
		.amdhsa_tg_split 0
		.amdhsa_exception_fp_ieee_invalid_op 0
		.amdhsa_exception_fp_denorm_src 0
		.amdhsa_exception_fp_ieee_div_zero 0
		.amdhsa_exception_fp_ieee_overflow 0
		.amdhsa_exception_fp_ieee_underflow 0
		.amdhsa_exception_fp_ieee_inexact 0
		.amdhsa_exception_int_div_zero 0
	.end_amdhsa_kernel
	.section	.text._ZN5aiter35fused_qk_rmsnorm_group_quant_kernelIDF16_DB8_Li128ELi8ELi16ELb1ELb1ELb1ELb0ELb0ELb0EEEvPT0_PvPT_S6_S6_PKS5_S8_S8_S8_S8_ffiiiiiiiiiiiii,"axG",@progbits,_ZN5aiter35fused_qk_rmsnorm_group_quant_kernelIDF16_DB8_Li128ELi8ELi16ELb1ELb1ELb1ELb0ELb0ELb0EEEvPT0_PvPT_S6_S6_PKS5_S8_S8_S8_S8_ffiiiiiiiiiiiii,comdat
.Lfunc_end329:
	.size	_ZN5aiter35fused_qk_rmsnorm_group_quant_kernelIDF16_DB8_Li128ELi8ELi16ELb1ELb1ELb1ELb0ELb0ELb0EEEvPT0_PvPT_S6_S6_PKS5_S8_S8_S8_S8_ffiiiiiiiiiiiii, .Lfunc_end329-_ZN5aiter35fused_qk_rmsnorm_group_quant_kernelIDF16_DB8_Li128ELi8ELi16ELb1ELb1ELb1ELb0ELb0ELb0EEEvPT0_PvPT_S6_S6_PKS5_S8_S8_S8_S8_ffiiiiiiiiiiiii
                                        ; -- End function
	.section	.AMDGPU.csdata,"",@progbits
; Kernel info:
; codeLenInByte = 3036
; NumSgprs: 48
; NumVgprs: 31
; NumAgprs: 0
; TotalNumVgprs: 31
; ScratchSize: 0
; MemoryBound: 0
; FloatMode: 240
; IeeeMode: 1
; LDSByteSize: 16 bytes/workgroup (compile time only)
; SGPRBlocks: 5
; VGPRBlocks: 3
; NumSGPRsForWavesPerEU: 48
; NumVGPRsForWavesPerEU: 31
; AccumOffset: 32
; Occupancy: 8
; WaveLimiterHint : 0
; COMPUTE_PGM_RSRC2:SCRATCH_EN: 0
; COMPUTE_PGM_RSRC2:USER_SGPR: 6
; COMPUTE_PGM_RSRC2:TRAP_HANDLER: 0
; COMPUTE_PGM_RSRC2:TGID_X_EN: 1
; COMPUTE_PGM_RSRC2:TGID_Y_EN: 1
; COMPUTE_PGM_RSRC2:TGID_Z_EN: 0
; COMPUTE_PGM_RSRC2:TIDIG_COMP_CNT: 0
; COMPUTE_PGM_RSRC3_GFX90A:ACCUM_OFFSET: 7
; COMPUTE_PGM_RSRC3_GFX90A:TG_SPLIT: 0
	.section	.text._ZN5aiter35fused_qk_rmsnorm_group_quant_kernelItDB8_Li128ELi8ELi16ELb1ELb1ELb1ELb0ELb0ELb0EEEvPT0_PvPT_S6_S6_PKS5_S8_S8_S8_S8_ffiiiiiiiiiiiii,"axG",@progbits,_ZN5aiter35fused_qk_rmsnorm_group_quant_kernelItDB8_Li128ELi8ELi16ELb1ELb1ELb1ELb0ELb0ELb0EEEvPT0_PvPT_S6_S6_PKS5_S8_S8_S8_S8_ffiiiiiiiiiiiii,comdat
	.protected	_ZN5aiter35fused_qk_rmsnorm_group_quant_kernelItDB8_Li128ELi8ELi16ELb1ELb1ELb1ELb0ELb0ELb0EEEvPT0_PvPT_S6_S6_PKS5_S8_S8_S8_S8_ffiiiiiiiiiiiii ; -- Begin function _ZN5aiter35fused_qk_rmsnorm_group_quant_kernelItDB8_Li128ELi8ELi16ELb1ELb1ELb1ELb0ELb0ELb0EEEvPT0_PvPT_S6_S6_PKS5_S8_S8_S8_S8_ffiiiiiiiiiiiii
	.globl	_ZN5aiter35fused_qk_rmsnorm_group_quant_kernelItDB8_Li128ELi8ELi16ELb1ELb1ELb1ELb0ELb0ELb0EEEvPT0_PvPT_S6_S6_PKS5_S8_S8_S8_S8_ffiiiiiiiiiiiii
	.p2align	8
	.type	_ZN5aiter35fused_qk_rmsnorm_group_quant_kernelItDB8_Li128ELi8ELi16ELb1ELb1ELb1ELb0ELb0ELb0EEEvPT0_PvPT_S6_S6_PKS5_S8_S8_S8_S8_ffiiiiiiiiiiiii,@function
_ZN5aiter35fused_qk_rmsnorm_group_quant_kernelItDB8_Li128ELi8ELi16ELb1ELb1ELb1ELb0ELb0ELb0EEEvPT0_PvPT_S6_S6_PKS5_S8_S8_S8_S8_ffiiiiiiiiiiiii: ; @_ZN5aiter35fused_qk_rmsnorm_group_quant_kernelItDB8_Li128ELi8ELi16ELb1ELb1ELb1ELb0ELb0ELb0EEEvPT0_PvPT_S6_S6_PKS5_S8_S8_S8_S8_ffiiiiiiiiiiiii
; %bb.0:
	s_load_dwordx8 s[20:27], s[4:5], 0x50
	s_waitcnt lgkmcnt(0)
	s_cmp_ge_i32 s6, s22
	s_cbranch_scc1 .LBB330_17
; %bb.1:
	s_cmp_lg_u32 s7, 0
	s_cselect_b64 s[10:11], -1, 0
	s_cmp_eq_u32 s7, 0
	s_cselect_b64 s[8:9], -1, 0
	s_and_b64 s[0:1], s[8:9], exec
	s_load_dwordx2 s[28:29], s[4:5], 0x48
	s_load_dwordx2 s[34:35], s[4:5], 0x30
	s_load_dwordx8 s[12:19], s[4:5], 0x70
	s_cselect_b32 s7, s23, s24
	s_add_i32 s0, s7, 1
	s_lshr_b32 s1, s0, 31
	s_add_i32 s0, s0, s1
	s_lshl_b32 s0, s0, 1
	v_lshlrev_b32_e32 v1, 3, v0
	s_and_b32 s38, s0, -4
	v_cmp_gt_i32_e64 s[0:1], s7, v1
	v_mov_b32_e32 v10, 0
	v_mov_b32_e32 v11, 0
	;; [unrolled: 1-line block ×8, first 2 shown]
	s_and_saveexec_b64 s[2:3], s[0:1]
	s_cbranch_execz .LBB330_3
; %bb.2:
	s_waitcnt lgkmcnt(0)
	s_load_dwordx2 s[18:19], s[4:5], 0x28
	s_load_dwordx2 s[30:31], s[4:5], 0x40
	s_and_b64 s[36:37], s[8:9], exec
	s_cselect_b32 s22, s25, s26
	s_mov_b32 s39, 0x20000
	s_waitcnt lgkmcnt(0)
	s_cselect_b32 s25, s19, s35
	s_cselect_b32 s33, s18, s34
	s_mul_hi_i32 s19, s22, s6
	s_mul_i32 s18, s22, s6
	s_lshl_b64 s[18:19], s[18:19], 1
	s_add_u32 s40, s33, s18
	s_addc_u32 s22, s25, s19
	s_and_b64 s[18:19], s[8:9], exec
	s_cselect_b32 s36, s30, s28
	s_cselect_b32 s18, s31, s29
	v_lshlrev_b32_e32 v2, 4, v0
	s_and_b32 s41, s22, 0xffff
	s_mov_b32 s42, s38
	s_mov_b32 s43, s39
	s_and_b32 s37, s18, 0xffff
	buffer_load_dwordx4 v[14:17], v2, s[40:43], 0 offen glc slc
	buffer_load_dwordx4 v[10:13], v2, s[36:39], 0 offen
.LBB330_3:
	s_or_b64 exec, exec, s[2:3]
	s_and_b64 vcc, exec, s[10:11]
	s_cbranch_vccz .LBB330_7
; %bb.4:
	s_mov_b32 s40, 0
	s_mov_b32 s41, s40
	;; [unrolled: 1-line block ×8, first 2 shown]
	v_pk_mov_b32 v[2:3], s[40:41], s[40:41] op_sel:[0,1]
	v_pk_mov_b32 v[4:5], s[42:43], s[42:43] op_sel:[0,1]
	;; [unrolled: 1-line block ×4, first 2 shown]
	s_and_saveexec_b64 s[2:3], s[0:1]
	s_cbranch_execz .LBB330_6
; %bb.5:
	s_waitcnt vmcnt(1)
	v_cvt_f32_u32_sdwa v3, v14 dst_sel:DWORD dst_unused:UNUSED_PAD src0_sel:WORD_1
	v_cvt_f32_u32_sdwa v2, v14 dst_sel:DWORD dst_unused:UNUSED_PAD src0_sel:WORD_0
	v_cvt_f32_u32_sdwa v5, v15 dst_sel:DWORD dst_unused:UNUSED_PAD src0_sel:WORD_1
	v_cvt_f32_u32_sdwa v4, v15 dst_sel:DWORD dst_unused:UNUSED_PAD src0_sel:WORD_0
	;; [unrolled: 2-line block ×4, first 2 shown]
.LBB330_6:
	s_or_b64 exec, exec, s[2:3]
	s_cbranch_execz .LBB330_8
	s_branch .LBB330_11
.LBB330_7:
                                        ; implicit-def: $vgpr2_vgpr3_vgpr4_vgpr5_vgpr6_vgpr7_vgpr8_vgpr9
.LBB330_8:
	s_mov_b32 s40, 0
	s_mov_b32 s41, s40
	;; [unrolled: 1-line block ×8, first 2 shown]
	v_pk_mov_b32 v[2:3], s[40:41], s[40:41] op_sel:[0,1]
	v_pk_mov_b32 v[4:5], s[42:43], s[42:43] op_sel:[0,1]
	;; [unrolled: 1-line block ×4, first 2 shown]
	s_and_saveexec_b64 s[2:3], s[0:1]
	s_cbranch_execz .LBB330_10
; %bb.9:
	s_waitcnt lgkmcnt(0)
	s_load_dwordx2 s[18:19], s[4:5], 0x38
	s_mul_hi_i32 s31, s27, s6
	s_mul_i32 s30, s27, s6
	s_lshl_b64 s[30:31], s[30:31], 1
	s_mov_b32 s39, 0x20000
	s_waitcnt lgkmcnt(0)
	s_add_u32 s36, s18, s30
	s_addc_u32 s18, s19, s31
	s_and_b32 s37, s18, 0xffff
	v_lshlrev_b32_e32 v26, 4, v0
	buffer_load_dwordx4 v[2:5], v26, s[36:39], 0 offen glc slc
	s_load_dwordx2 s[18:19], s[4:5], 0x20
	s_waitcnt vmcnt(2)
	v_cvt_f32_u32_sdwa v7, v14 dst_sel:DWORD dst_unused:UNUSED_PAD src0_sel:WORD_1
	v_cvt_f32_u32_sdwa v6, v14 dst_sel:DWORD dst_unused:UNUSED_PAD src0_sel:WORD_0
	v_cvt_f32_u32_sdwa v9, v15 dst_sel:DWORD dst_unused:UNUSED_PAD src0_sel:WORD_1
	v_cvt_f32_u32_sdwa v8, v15 dst_sel:DWORD dst_unused:UNUSED_PAD src0_sel:WORD_0
	;; [unrolled: 2-line block ×4, first 2 shown]
	s_mul_hi_i32 s31, s17, s6
	s_mul_i32 s30, s17, s6
	s_lshl_b64 s[30:31], s[30:31], 1
	s_waitcnt lgkmcnt(0)
	s_add_u32 s36, s18, s30
	s_mov_b32 s17, 0x7060302
	s_addc_u32 s18, s19, s31
	s_and_b32 s37, s18, 0xffff
	s_waitcnt vmcnt(0)
	v_cvt_f32_u32_sdwa v17, v2 dst_sel:DWORD dst_unused:UNUSED_PAD src0_sel:WORD_1
	v_cvt_f32_u32_sdwa v16, v2 dst_sel:DWORD dst_unused:UNUSED_PAD src0_sel:WORD_0
	v_cvt_f32_u32_sdwa v21, v3 dst_sel:DWORD dst_unused:UNUSED_PAD src0_sel:WORD_1
	v_cvt_f32_u32_sdwa v20, v3 dst_sel:DWORD dst_unused:UNUSED_PAD src0_sel:WORD_0
	;; [unrolled: 2-line block ×4, first 2 shown]
	v_pk_add_f32 v[2:3], v[6:7], v[16:17]
	v_pk_add_f32 v[4:5], v[8:9], v[20:21]
	;; [unrolled: 1-line block ×4, first 2 shown]
	v_perm_b32 v17, v9, v8, s17
	v_perm_b32 v16, v7, v6, s17
	;; [unrolled: 1-line block ×4, first 2 shown]
	buffer_store_dwordx4 v[14:17], v26, s[36:39], 0 offen glc slc
	;;#ASMSTART
	s_nop 0
	;;#ASMEND
.LBB330_10:
	s_or_b64 exec, exec, s[2:3]
.LBB330_11:
	s_waitcnt vmcnt(1)
	v_mul_f32_e32 v14, v3, v3
	v_fmac_f32_e32 v14, v2, v2
	v_fmac_f32_e32 v14, v4, v4
	;; [unrolled: 1-line block ×7, first 2 shown]
	v_and_b32_e32 v16, 63, v0
	v_cmp_eq_u32_e64 s[2:3], 63, v16
	v_mov_b32_dpp v15, v14 quad_perm:[1,0,3,2] row_mask:0xf bank_mask:0xf
	v_add_f32_e32 v14, v14, v15
	s_nop 1
	v_mov_b32_dpp v15, v14 quad_perm:[2,3,0,1] row_mask:0xf bank_mask:0xf
	v_add_f32_e32 v14, v14, v15
	s_nop 1
	v_mov_b32_dpp v15, v14 row_half_mirror row_mask:0xf bank_mask:0xf
	v_add_f32_e32 v14, v14, v15
	s_nop 1
	v_mov_b32_dpp v15, v14 row_mirror row_mask:0xf bank_mask:0xf
	v_add_f32_e32 v14, v14, v15
	s_nop 1
	v_mov_b32_dpp v15, v14 row_bcast:15 row_mask:0xf bank_mask:0xf
	v_add_f32_e32 v14, v14, v15
	s_nop 1
	v_mov_b32_dpp v15, v14 row_bcast:31 row_mask:0xf bank_mask:0xf
	s_waitcnt lgkmcnt(0)
	s_and_saveexec_b64 s[18:19], s[2:3]
	s_cbranch_execz .LBB330_13
; %bb.12:
	v_add_f32_e32 v14, v14, v15
	v_lshrrev_b32_e32 v15, 4, v0
	v_and_b32_e32 v15, 60, v15
	ds_write_b32 v15, v14 offset:8
.LBB330_13:
	s_or_b64 exec, exec, s[18:19]
	v_and_b32_e32 v14, 1, v0
	v_lshlrev_b32_e32 v14, 2, v14
	s_waitcnt lgkmcnt(0)
	s_barrier
	ds_read_b32 v15, v14 offset:8
	s_load_dwordx2 s[18:19], s[4:5], 0x18
	s_waitcnt lgkmcnt(0)
	v_mov_b32_dpp v16, v15 quad_perm:[1,0,3,2] row_mask:0xf bank_mask:0xf
	s_and_saveexec_b64 s[30:31], s[0:1]
	s_cbranch_execnz .LBB330_18
; %bb.14:
	s_or_b64 exec, exec, s[30:31]
	s_mov_b64 s[8:9], -1
	s_and_b64 vcc, exec, s[10:11]
	s_cbranch_vccnz .LBB330_19
.LBB330_15:
	s_andn2_b64 vcc, exec, s[8:9]
	s_cbranch_vccz .LBB330_22
.LBB330_16:
	s_cmp_lt_i32 s24, 1
	s_cbranch_scc0 .LBB330_31
.LBB330_17:
	s_endpgm
.LBB330_18:
	v_cvt_f32_u32_e32 v17, s7
	v_add_f32_e32 v15, v15, v16
	v_mov_b32_e32 v19, s21
	v_mov_b32_e32 v20, s20
	v_div_scale_f32 v16, s[36:37], v17, v17, v15
	v_rcp_f32_e32 v18, v16
	v_cndmask_b32_e64 v19, v19, v20, s[8:9]
	s_mov_b32 s7, 0x800000
	v_fma_f32 v20, -v16, v18, 1.0
	v_fmac_f32_e32 v18, v20, v18
	v_div_scale_f32 v20, vcc, v15, v17, v15
	v_mul_f32_e32 v21, v20, v18
	v_fma_f32 v22, -v16, v21, v20
	v_fmac_f32_e32 v21, v22, v18
	v_fma_f32 v16, -v16, v21, v20
	v_div_fmas_f32 v16, v16, v18, v21
	v_div_fixup_f32 v15, v16, v17, v15
	v_add_f32_e32 v15, v19, v15
	v_mul_f32_e32 v16, 0x4b800000, v15
	v_cmp_gt_f32_e32 vcc, s7, v15
	v_cndmask_b32_e32 v15, v15, v16, vcc
	v_rsq_f32_e32 v15, v15
	s_waitcnt vmcnt(0)
	v_cvt_f32_u32_sdwa v19, v10 dst_sel:DWORD dst_unused:UNUSED_PAD src0_sel:WORD_1
	v_cvt_f32_u32_sdwa v18, v10 dst_sel:DWORD dst_unused:UNUSED_PAD src0_sel:WORD_0
	v_cvt_f32_u32_sdwa v21, v11 dst_sel:DWORD dst_unused:UNUSED_PAD src0_sel:WORD_1
	v_mul_f32_e32 v16, 0x45800000, v15
	v_cndmask_b32_e32 v16, v15, v16, vcc
	v_mov_b32_e32 v17, v16
	v_cvt_f32_u32_sdwa v20, v11 dst_sel:DWORD dst_unused:UNUSED_PAD src0_sel:WORD_0
	;;#ASMSTART
	v_pk_mul_f32 v[2:3], v[2:3], v[16:17]
	;;#ASMEND
	;;#ASMSTART
	v_pk_mul_f32 v[4:5], v[4:5], v[16:17]
	;;#ASMEND
	;; [unrolled: 3-line block ×4, first 2 shown]
	v_cvt_f32_u32_sdwa v17, v12 dst_sel:DWORD dst_unused:UNUSED_PAD src0_sel:WORD_1
	v_cvt_f32_u32_sdwa v16, v12 dst_sel:DWORD dst_unused:UNUSED_PAD src0_sel:WORD_0
	v_pk_add_f32 v[10:11], v[18:19], 1.0 op_sel_hi:[1,0]
	v_cvt_f32_u32_sdwa v19, v13 dst_sel:DWORD dst_unused:UNUSED_PAD src0_sel:WORD_1
	v_cvt_f32_u32_sdwa v18, v13 dst_sel:DWORD dst_unused:UNUSED_PAD src0_sel:WORD_0
	;;#ASMSTART
	v_pk_mul_f32 v[2:3], v[2:3], v[10:11]
	;;#ASMEND
	v_pk_add_f32 v[10:11], v[20:21], 1.0 op_sel_hi:[1,0]
	;;#ASMSTART
	v_pk_mul_f32 v[4:5], v[4:5], v[10:11]
	;;#ASMEND
	v_pk_add_f32 v[10:11], v[16:17], 1.0 op_sel_hi:[1,0]
	;; [unrolled: 4-line block ×3, first 2 shown]
	;;#ASMSTART
	v_pk_mul_f32 v[8:9], v[8:9], v[10:11]
	;;#ASMEND
	s_or_b64 exec, exec, s[30:31]
	s_mov_b64 s[8:9], -1
	s_and_b64 vcc, exec, s[10:11]
	s_cbranch_vccz .LBB330_15
.LBB330_19:
	s_and_saveexec_b64 s[8:9], s[0:1]
	s_cbranch_execz .LBB330_21
; %bb.20:
	s_mul_hi_i32 s11, s16, s6
	s_mul_i32 s10, s16, s6
	s_lshl_b64 s[10:11], s[10:11], 1
	s_add_u32 s36, s18, s10
	s_addc_u32 s7, s19, s11
	s_and_b32 s37, s7, 0xffff
	s_mov_b32 s7, 0x7060302
	s_mov_b32 s39, 0x20000
	s_waitcnt vmcnt(0)
	v_perm_b32 v10, v3, v2, s7
	v_perm_b32 v11, v5, v4, s7
	;; [unrolled: 1-line block ×4, first 2 shown]
	v_lshlrev_b32_e32 v15, 4, v0
	buffer_store_dwordx4 v[10:13], v15, s[36:39], 0 offen
	;;#ASMSTART
	s_nop 0
	;;#ASMEND
.LBB330_21:
	s_or_b64 exec, exec, s[8:9]
	s_cbranch_execnz .LBB330_16
.LBB330_22:
	s_waitcnt vmcnt(0)
	v_mov_b32_e32 v10, 0
	s_and_saveexec_b64 s[8:9], s[0:1]
	s_cbranch_execz .LBB330_24
; %bb.23:
	s_load_dwordx2 s[10:11], s[4:5], 0x10
	s_mul_hi_i32 s31, s15, s6
	s_mul_i32 s30, s15, s6
	s_lshl_b64 s[30:31], s[30:31], 1
	s_mov_b32 s39, 0x20000
	s_waitcnt lgkmcnt(0)
	s_add_u32 s36, s10, s30
	s_addc_u32 s7, s11, s31
	s_and_b32 s37, s7, 0xffff
	s_mov_b32 s7, 0x7060302
	v_perm_b32 v10, v3, v2, s7
	v_perm_b32 v11, v5, v4, s7
	;; [unrolled: 1-line block ×4, first 2 shown]
	v_lshlrev_b32_e32 v15, 4, v0
	buffer_store_dwordx4 v[10:13], v15, s[36:39], 0 offen
	;;#ASMSTART
	s_nop 0
	;;#ASMEND
	s_nop 0
	v_mov_b32_e32 v10, 0x2edbe6ff
.LBB330_24:
	s_or_b64 exec, exec, s[8:9]
	s_and_saveexec_b64 s[8:9], s[0:1]
	s_cbranch_execz .LBB330_26
; %bb.25:
	v_and_b32_e32 v11, 0x7fffffff, v2
	v_and_b32_e32 v12, 0x7fffffff, v3
	;;#ASMSTART
	v_max3_f32 v10, v10, v11, v12

	;;#ASMEND
	v_and_b32_e32 v11, 0x7fffffff, v4
	v_and_b32_e32 v12, 0x7fffffff, v5
	;;#ASMSTART
	v_max3_f32 v10, v10, v11, v12

	;;#ASMEND
	;; [unrolled: 6-line block ×4, first 2 shown]
.LBB330_26:
	s_or_b64 exec, exec, s[8:9]
	;;#ASMSTART
	v_max_f32 v11, v10, v10 quad_perm:[1,0,3,2] row_mask:0xf bank_mask:0xf bound_ctrl:1
	;;#ASMEND
	;;#ASMSTART
	v_max_f32 v10, v11, v11 quad_perm:[2,3,0,1] row_mask:0xf bank_mask:0xf bound_ctrl:1
	;;#ASMEND
	;;#ASMSTART
	v_max_f32 v11, v10, v10 row_half_mirror row_mask:0xf bank_mask:0xf bound_ctrl:1
	;;#ASMEND
	;;#ASMSTART
	v_max_f32 v10, v11, v11 row_mirror row_mask:0xf bank_mask:0xf bound_ctrl:1
	;;#ASMEND
	v_and_b32_e32 v11, 15, v0
	v_cmp_eq_u32_e32 vcc, 0, v11
	v_cmp_gt_i32_e64 s[8:9], s23, v1
	v_mul_f32_e32 v10, 0x3b124925, v10
	s_and_b64 s[10:11], vcc, s[8:9]
	s_and_saveexec_b64 s[8:9], s[10:11]
	s_cbranch_execz .LBB330_28
; %bb.27:
	s_load_dwordx2 s[10:11], s[4:5], 0x8
	v_lshrrev_b32_e32 v11, 4, v0
	s_mul_hi_i32 s31, s13, s6
	s_mul_i32 s30, s13, s6
	v_mad_i64_i32 v[12:13], s[14:15], s14, v11, 0
	s_lshl_b64 s[14:15], s[30:31], 2
	s_waitcnt lgkmcnt(0)
	s_add_u32 s7, s10, s14
	s_addc_u32 s10, s11, s15
	v_lshlrev_b64 v[12:13], 2, v[12:13]
	v_mov_b32_e32 v11, s10
	v_add_co_u32_e32 v12, vcc, s7, v12
	v_addc_co_u32_e32 v13, vcc, v11, v13, vcc
	global_store_dword v[12:13], v10, off
.LBB330_28:
	s_or_b64 exec, exec, s[8:9]
	;;#ASMSTART
	v_rcp_f32 v10, v10
	;;#ASMEND
	s_and_saveexec_b64 s[14:15], s[0:1]
	s_cbranch_execz .LBB330_30
; %bb.29:
	s_load_dwordx2 s[0:1], s[4:5], 0x0
	s_mul_i32 s8, s12, s6
	v_mov_b32_e32 v11, v10
	;;#ASMSTART
	v_pk_mul_f32 v[2:3], v[2:3], v[10:11]
	;;#ASMEND
	s_mul_hi_i32 s7, s12, s6
	s_waitcnt lgkmcnt(0)
	s_add_u32 s8, s0, s8
	v_mov_b32_e32 v12, 0xc3e00000
	v_mov_b32_e32 v13, 0x43e00000
	;;#ASMSTART
	v_med3_f32 v2, v2, v12, v13
v_med3_f32 v3, v3, v12, v13
v_cvt_pk_fp8_f32 v15, v2, v3
	;;#ASMEND
	s_addc_u32 s0, s1, s7
	;;#ASMSTART
	v_pk_mul_f32 v[2:3], v[4:5], v[10:11]
	;;#ASMEND
	s_and_b32 s9, s0, 0xffff
	;;#ASMSTART
	v_med3_f32 v2, v2, v12, v13
v_med3_f32 v3, v3, v12, v13
v_cvt_pk_fp8_f32 v4, v2, v3
	;;#ASMEND
	s_mov_b32 s0, 0x5040100
	v_perm_b32 v3, v4, v15, s0
	s_movk_i32 s0, 0xff
	v_and_b32_e32 v2, 0xffffff00, v4
	v_and_b32_sdwa v4, v3, s0 dst_sel:DWORD dst_unused:UNUSED_PAD src0_sel:WORD_1 src1_sel:DWORD
	s_mov_b32 s12, 0xffff
	v_or_b32_sdwa v2, v4, v2 dst_sel:WORD_1 dst_unused:UNUSED_PAD src0_sel:DWORD src1_sel:DWORD
	v_and_or_b32 v2, v3, s12, v2
	;;#ASMSTART
	v_pk_mul_f32 v[4:5], v[6:7], v[10:11]
	;;#ASMEND
	v_mov_b32_e32 v3, v4
	s_add_i32 s1, s23, 3
	;;#ASMSTART
	v_med3_f32 v3, v3, v12, v13
v_med3_f32 v5, v5, v12, v13
v_cvt_pk_fp8_f32 v6, v3, v5
	;;#ASMEND
	s_ashr_i32 s7, s1, 31
	;;#ASMSTART
	v_pk_mul_f32 v[4:5], v[8:9], v[10:11]
	;;#ASMEND
	v_mov_b32_e32 v3, v5
	s_lshr_b32 s7, s7, 30
	;;#ASMSTART
	v_med3_f32 v4, v4, v12, v13
v_med3_f32 v3, v3, v12, v13
v_cvt_pk_fp8_f32 v5, v4, v3
	;;#ASMEND
	s_add_i32 s1, s1, s7
	v_lshlrev_b32_e32 v3, 16, v5
	s_and_b32 s10, s1, -4
	s_mov_b32 s11, 0x20000
	v_and_or_b32 v3, v6, s12, v3
	buffer_store_dwordx2 v[2:3], v1, s[8:11], 0 offen
	;;#ASMSTART
	s_nop 0
	;;#ASMEND
.LBB330_30:
	s_or_b64 exec, exec, s[14:15]
	s_cmp_lt_i32 s24, 1
	s_cbranch_scc1 .LBB330_17
.LBB330_31:
	s_load_dword s0, s[4:5], 0x94
	s_waitcnt lgkmcnt(0)
	s_cmp_lg_u32 s0, 1
	s_cbranch_scc1 .LBB330_17
; %bb.32:
	s_lshl_b32 s0, s24, 1
	s_add_i32 s0, s0, 2
	v_cmp_gt_u32_e32 vcc, s24, v1
	s_and_b32 s30, s0, -4
	v_mov_b32_e32 v6, 0
	v_lshlrev_b32_e32 v1, 4, v0
	v_mov_b32_e32 v7, 0
	v_mov_b32_e32 v8, 0
	;; [unrolled: 1-line block ×7, first 2 shown]
	s_barrier
	s_and_saveexec_b64 s[0:1], vcc
	s_cbranch_execz .LBB330_34
; %bb.33:
	s_mul_hi_i32 s5, s26, s6
	s_mul_i32 s4, s26, s6
	s_and_b32 s29, s29, 0xffff
	s_lshl_b64 s[4:5], s[4:5], 1
	s_add_u32 s8, s34, s4
	s_mov_b32 s31, 0x20000
	s_addc_u32 s4, s35, s5
	s_and_b32 s9, s4, 0xffff
	s_mov_b32 s10, s30
	s_mov_b32 s11, s31
	buffer_load_dwordx4 v[6:9], v1, s[8:11], 0 offen glc slc
	buffer_load_dwordx4 v[2:5], v1, s[28:31], 0 offen
.LBB330_34:
	s_or_b64 exec, exec, s[0:1]
	s_waitcnt vmcnt(0)
	v_cvt_f32_u32_sdwa v13, v6 dst_sel:DWORD dst_unused:UNUSED_PAD src0_sel:WORD_1
	v_cvt_f32_u32_sdwa v12, v6 dst_sel:DWORD dst_unused:UNUSED_PAD src0_sel:WORD_0
	v_cvt_f32_u32_sdwa v6, v9 dst_sel:DWORD dst_unused:UNUSED_PAD src0_sel:WORD_1
	v_cvt_f32_u32_sdwa v9, v9 dst_sel:DWORD dst_unused:UNUSED_PAD src0_sel:WORD_0
	;; [unrolled: 2-line block ×4, first 2 shown]
	v_cndmask_b32_e32 v13, 0, v13, vcc
	v_cndmask_b32_e32 v7, 0, v6, vcc
	;; [unrolled: 1-line block ×5, first 2 shown]
	v_mul_f32_e32 v15, v13, v13
	v_cndmask_b32_e32 v10, 0, v10, vcc
	v_fmac_f32_e32 v15, v12, v12
	v_cndmask_b32_e32 v11, 0, v11, vcc
	v_fmac_f32_e32 v15, v10, v10
	;; [unrolled: 2-line block ×3, first 2 shown]
	v_fmac_f32_e32 v15, v8, v8
	v_fmac_f32_e32 v15, v9, v9
	;; [unrolled: 1-line block ×4, first 2 shown]
	s_nop 1
	v_mov_b32_dpp v16, v15 quad_perm:[1,0,3,2] row_mask:0xf bank_mask:0xf
	v_add_f32_e32 v15, v15, v16
	s_nop 1
	v_mov_b32_dpp v16, v15 quad_perm:[2,3,0,1] row_mask:0xf bank_mask:0xf
	v_add_f32_e32 v15, v15, v16
	s_nop 1
	v_mov_b32_dpp v16, v15 row_half_mirror row_mask:0xf bank_mask:0xf
	v_add_f32_e32 v15, v15, v16
	s_nop 1
	v_mov_b32_dpp v16, v15 row_mirror row_mask:0xf bank_mask:0xf
	v_add_f32_e32 v15, v15, v16
	s_nop 1
	v_mov_b32_dpp v16, v15 row_bcast:15 row_mask:0xf bank_mask:0xf
	v_add_f32_e32 v15, v15, v16
	s_nop 1
	v_mov_b32_dpp v16, v15 row_bcast:31 row_mask:0xf bank_mask:0xf
	s_and_saveexec_b64 s[0:1], s[2:3]
	s_cbranch_execz .LBB330_36
; %bb.35:
	v_lshrrev_b32_e32 v0, 4, v0
	v_add_f32_e32 v15, v15, v16
	v_and_b32_e32 v0, 60, v0
	ds_write_b32 v0, v15
.LBB330_36:
	s_or_b64 exec, exec, s[0:1]
	s_waitcnt lgkmcnt(0)
	s_barrier
	ds_read_b32 v0, v14
	s_waitcnt lgkmcnt(0)
	s_nop 0
	v_mov_b32_dpp v14, v0 quad_perm:[1,0,3,2] row_mask:0xf bank_mask:0xf
	s_and_saveexec_b64 s[0:1], vcc
	s_cbranch_execz .LBB330_17
; %bb.37:
	v_cvt_f32_u32_e32 v15, s24
	v_add_f32_e32 v0, v0, v14
	s_mov_b32 s31, 0x20000
	v_div_scale_f32 v14, s[0:1], v15, v15, v0
	v_rcp_f32_e32 v16, v14
	v_div_scale_f32 v17, vcc, v0, v15, v0
	s_mov_b32 s0, 0x800000
	v_fma_f32 v18, -v14, v16, 1.0
	v_fmac_f32_e32 v16, v18, v16
	v_mul_f32_e32 v18, v17, v16
	v_fma_f32 v19, -v14, v18, v17
	v_fmac_f32_e32 v18, v19, v16
	v_fma_f32 v14, -v14, v18, v17
	v_div_fmas_f32 v14, v14, v16, v18
	v_div_fixup_f32 v0, v14, v15, v0
	v_add_f32_e32 v0, s21, v0
	v_mul_f32_e32 v14, 0x4b800000, v0
	v_cmp_gt_f32_e32 vcc, s0, v0
	v_cndmask_b32_e32 v0, v0, v14, vcc
	v_rsq_f32_e32 v0, v0
	v_cvt_f32_u32_sdwa v17, v2 dst_sel:DWORD dst_unused:UNUSED_PAD src0_sel:WORD_1
	v_cvt_f32_u32_sdwa v16, v2 dst_sel:DWORD dst_unused:UNUSED_PAD src0_sel:WORD_0
	v_cvt_f32_u32_sdwa v19, v3 dst_sel:DWORD dst_unused:UNUSED_PAD src0_sel:WORD_1
	v_mul_f32_e32 v14, 0x45800000, v0
	v_cndmask_b32_e32 v14, v0, v14, vcc
	v_mov_b32_e32 v15, v14
	;;#ASMSTART
	v_pk_mul_f32 v[12:13], v[12:13], v[14:15]
	;;#ASMEND
	;;#ASMSTART
	v_pk_mul_f32 v[10:11], v[10:11], v[14:15]
	;;#ASMEND
	;; [unrolled: 3-line block ×3, first 2 shown]
	v_cvt_f32_u32_sdwa v18, v3 dst_sel:DWORD dst_unused:UNUSED_PAD src0_sel:WORD_0
	;;#ASMSTART
	v_pk_mul_f32 v[2:3], v[6:7], v[14:15]
	;;#ASMEND
	v_cvt_f32_u32_sdwa v15, v4 dst_sel:DWORD dst_unused:UNUSED_PAD src0_sel:WORD_1
	v_cvt_f32_u32_sdwa v14, v4 dst_sel:DWORD dst_unused:UNUSED_PAD src0_sel:WORD_0
	v_pk_add_f32 v[6:7], v[16:17], 1.0 op_sel_hi:[1,0]
	v_cvt_f32_u32_sdwa v17, v5 dst_sel:DWORD dst_unused:UNUSED_PAD src0_sel:WORD_1
	v_cvt_f32_u32_sdwa v16, v5 dst_sel:DWORD dst_unused:UNUSED_PAD src0_sel:WORD_0
	s_mul_hi_i32 s1, s16, s6
	s_mul_i32 s0, s16, s6
	s_lshl_b64 s[0:1], s[0:1], 1
	s_add_u32 s28, s18, s0
	;;#ASMSTART
	v_pk_mul_f32 v[6:7], v[12:13], v[6:7]
	;;#ASMEND
	v_pk_add_f32 v[12:13], v[18:19], 1.0 op_sel_hi:[1,0]
	;;#ASMSTART
	v_pk_mul_f32 v[4:5], v[10:11], v[12:13]
	;;#ASMEND
	v_pk_add_f32 v[10:11], v[14:15], 1.0 op_sel_hi:[1,0]
	s_addc_u32 s0, s19, s1
	;;#ASMSTART
	v_pk_mul_f32 v[8:9], v[8:9], v[10:11]
	;;#ASMEND
	v_pk_add_f32 v[10:11], v[16:17], 1.0 op_sel_hi:[1,0]
	s_and_b32 s29, s0, 0xffff
	s_mov_b32 s0, 0x7060302
	;;#ASMSTART
	v_pk_mul_f32 v[10:11], v[2:3], v[10:11]
	;;#ASMEND
	v_perm_b32 v2, v7, v6, s0
	v_perm_b32 v3, v5, v4, s0
	;; [unrolled: 1-line block ×4, first 2 shown]
	buffer_store_dwordx4 v[2:5], v1, s[28:31], 0 offen
	;;#ASMSTART
	s_nop 0
	;;#ASMEND
	s_endpgm
	.section	.rodata,"a",@progbits
	.p2align	6, 0x0
	.amdhsa_kernel _ZN5aiter35fused_qk_rmsnorm_group_quant_kernelItDB8_Li128ELi8ELi16ELb1ELb1ELb1ELb0ELb0ELb0EEEvPT0_PvPT_S6_S6_PKS5_S8_S8_S8_S8_ffiiiiiiiiiiiii
		.amdhsa_group_segment_fixed_size 16
		.amdhsa_private_segment_fixed_size 0
		.amdhsa_kernarg_size 400
		.amdhsa_user_sgpr_count 6
		.amdhsa_user_sgpr_private_segment_buffer 1
		.amdhsa_user_sgpr_dispatch_ptr 0
		.amdhsa_user_sgpr_queue_ptr 0
		.amdhsa_user_sgpr_kernarg_segment_ptr 1
		.amdhsa_user_sgpr_dispatch_id 0
		.amdhsa_user_sgpr_flat_scratch_init 0
		.amdhsa_user_sgpr_kernarg_preload_length 0
		.amdhsa_user_sgpr_kernarg_preload_offset 0
		.amdhsa_user_sgpr_private_segment_size 0
		.amdhsa_uses_dynamic_stack 0
		.amdhsa_system_sgpr_private_segment_wavefront_offset 0
		.amdhsa_system_sgpr_workgroup_id_x 1
		.amdhsa_system_sgpr_workgroup_id_y 1
		.amdhsa_system_sgpr_workgroup_id_z 0
		.amdhsa_system_sgpr_workgroup_info 0
		.amdhsa_system_vgpr_workitem_id 0
		.amdhsa_next_free_vgpr 27
		.amdhsa_next_free_sgpr 48
		.amdhsa_accum_offset 28
		.amdhsa_reserve_vcc 1
		.amdhsa_reserve_flat_scratch 0
		.amdhsa_float_round_mode_32 0
		.amdhsa_float_round_mode_16_64 0
		.amdhsa_float_denorm_mode_32 3
		.amdhsa_float_denorm_mode_16_64 3
		.amdhsa_dx10_clamp 1
		.amdhsa_ieee_mode 1
		.amdhsa_fp16_overflow 0
		.amdhsa_tg_split 0
		.amdhsa_exception_fp_ieee_invalid_op 0
		.amdhsa_exception_fp_denorm_src 0
		.amdhsa_exception_fp_ieee_div_zero 0
		.amdhsa_exception_fp_ieee_overflow 0
		.amdhsa_exception_fp_ieee_underflow 0
		.amdhsa_exception_fp_ieee_inexact 0
		.amdhsa_exception_int_div_zero 0
	.end_amdhsa_kernel
	.section	.text._ZN5aiter35fused_qk_rmsnorm_group_quant_kernelItDB8_Li128ELi8ELi16ELb1ELb1ELb1ELb0ELb0ELb0EEEvPT0_PvPT_S6_S6_PKS5_S8_S8_S8_S8_ffiiiiiiiiiiiii,"axG",@progbits,_ZN5aiter35fused_qk_rmsnorm_group_quant_kernelItDB8_Li128ELi8ELi16ELb1ELb1ELb1ELb0ELb0ELb0EEEvPT0_PvPT_S6_S6_PKS5_S8_S8_S8_S8_ffiiiiiiiiiiiii,comdat
.Lfunc_end330:
	.size	_ZN5aiter35fused_qk_rmsnorm_group_quant_kernelItDB8_Li128ELi8ELi16ELb1ELb1ELb1ELb0ELb0ELb0EEEvPT0_PvPT_S6_S6_PKS5_S8_S8_S8_S8_ffiiiiiiiiiiiii, .Lfunc_end330-_ZN5aiter35fused_qk_rmsnorm_group_quant_kernelItDB8_Li128ELi8ELi16ELb1ELb1ELb1ELb0ELb0ELb0EEEvPT0_PvPT_S6_S6_PKS5_S8_S8_S8_S8_ffiiiiiiiiiiiii
                                        ; -- End function
	.section	.AMDGPU.csdata,"",@progbits
; Kernel info:
; codeLenInByte = 3096
; NumSgprs: 52
; NumVgprs: 27
; NumAgprs: 0
; TotalNumVgprs: 27
; ScratchSize: 0
; MemoryBound: 0
; FloatMode: 240
; IeeeMode: 1
; LDSByteSize: 16 bytes/workgroup (compile time only)
; SGPRBlocks: 6
; VGPRBlocks: 3
; NumSGPRsForWavesPerEU: 52
; NumVGPRsForWavesPerEU: 27
; AccumOffset: 28
; Occupancy: 8
; WaveLimiterHint : 0
; COMPUTE_PGM_RSRC2:SCRATCH_EN: 0
; COMPUTE_PGM_RSRC2:USER_SGPR: 6
; COMPUTE_PGM_RSRC2:TRAP_HANDLER: 0
; COMPUTE_PGM_RSRC2:TGID_X_EN: 1
; COMPUTE_PGM_RSRC2:TGID_Y_EN: 1
; COMPUTE_PGM_RSRC2:TGID_Z_EN: 0
; COMPUTE_PGM_RSRC2:TIDIG_COMP_CNT: 0
; COMPUTE_PGM_RSRC3_GFX90A:ACCUM_OFFSET: 6
; COMPUTE_PGM_RSRC3_GFX90A:TG_SPLIT: 0
	.section	.text._ZN5aiter35fused_qk_rmsnorm_group_quant_kernelIDF16_N4opus5fp4_tELi128ELi8ELi16ELb1ELb1ELb1ELb0ELb0ELb0EEEvPT0_PvPT_S7_S7_PKS6_S9_S9_S9_S9_ffiiiiiiiiiiiii,"axG",@progbits,_ZN5aiter35fused_qk_rmsnorm_group_quant_kernelIDF16_N4opus5fp4_tELi128ELi8ELi16ELb1ELb1ELb1ELb0ELb0ELb0EEEvPT0_PvPT_S7_S7_PKS6_S9_S9_S9_S9_ffiiiiiiiiiiiii,comdat
	.protected	_ZN5aiter35fused_qk_rmsnorm_group_quant_kernelIDF16_N4opus5fp4_tELi128ELi8ELi16ELb1ELb1ELb1ELb0ELb0ELb0EEEvPT0_PvPT_S7_S7_PKS6_S9_S9_S9_S9_ffiiiiiiiiiiiii ; -- Begin function _ZN5aiter35fused_qk_rmsnorm_group_quant_kernelIDF16_N4opus5fp4_tELi128ELi8ELi16ELb1ELb1ELb1ELb0ELb0ELb0EEEvPT0_PvPT_S7_S7_PKS6_S9_S9_S9_S9_ffiiiiiiiiiiiii
	.globl	_ZN5aiter35fused_qk_rmsnorm_group_quant_kernelIDF16_N4opus5fp4_tELi128ELi8ELi16ELb1ELb1ELb1ELb0ELb0ELb0EEEvPT0_PvPT_S7_S7_PKS6_S9_S9_S9_S9_ffiiiiiiiiiiiii
	.p2align	8
	.type	_ZN5aiter35fused_qk_rmsnorm_group_quant_kernelIDF16_N4opus5fp4_tELi128ELi8ELi16ELb1ELb1ELb1ELb0ELb0ELb0EEEvPT0_PvPT_S7_S7_PKS6_S9_S9_S9_S9_ffiiiiiiiiiiiii,@function
_ZN5aiter35fused_qk_rmsnorm_group_quant_kernelIDF16_N4opus5fp4_tELi128ELi8ELi16ELb1ELb1ELb1ELb0ELb0ELb0EEEvPT0_PvPT_S7_S7_PKS6_S9_S9_S9_S9_ffiiiiiiiiiiiii: ; @_ZN5aiter35fused_qk_rmsnorm_group_quant_kernelIDF16_N4opus5fp4_tELi128ELi8ELi16ELb1ELb1ELb1ELb0ELb0ELb0EEEvPT0_PvPT_S7_S7_PKS6_S9_S9_S9_S9_ffiiiiiiiiiiiii
; %bb.0:
	s_load_dwordx8 s[20:27], s[4:5], 0x50
	s_waitcnt lgkmcnt(0)
	s_cmp_ge_i32 s6, s22
	s_cbranch_scc1 .LBB331_17
; %bb.1:
	s_cmp_lg_u32 s7, 0
	s_cselect_b64 s[30:31], -1, 0
	s_cmp_eq_u32 s7, 0
	s_cselect_b64 s[8:9], -1, 0
	s_and_b64 s[0:1], s[8:9], exec
	s_load_dwordx2 s[28:29], s[4:5], 0x48
	s_load_dwordx2 s[10:11], s[4:5], 0x30
	s_load_dwordx8 s[12:19], s[4:5], 0x70
	s_cselect_b32 s7, s23, s24
	s_add_i32 s0, s7, 1
	s_lshr_b32 s1, s0, 31
	s_add_i32 s0, s0, s1
	s_lshl_b32 s0, s0, 1
	v_lshlrev_b32_e32 v1, 3, v0
	s_and_b32 s38, s0, -4
	v_cmp_gt_i32_e64 s[0:1], s7, v1
	v_mov_b32_e32 v2, 0
	v_mov_b32_e32 v3, 0
	;; [unrolled: 1-line block ×8, first 2 shown]
	s_and_saveexec_b64 s[2:3], s[0:1]
	s_cbranch_execz .LBB331_3
; %bb.2:
	s_waitcnt lgkmcnt(0)
	s_load_dwordx2 s[18:19], s[4:5], 0x28
	s_load_dwordx2 s[34:35], s[4:5], 0x40
	s_and_b64 s[36:37], s[8:9], exec
	s_cselect_b32 s22, s25, s26
	s_mov_b32 s39, 0x20000
	s_waitcnt lgkmcnt(0)
	s_cselect_b32 s25, s19, s11
	s_cselect_b32 s33, s18, s10
	s_mul_hi_i32 s19, s22, s6
	s_mul_i32 s18, s22, s6
	s_lshl_b64 s[18:19], s[18:19], 1
	s_add_u32 s40, s33, s18
	s_addc_u32 s22, s25, s19
	s_and_b64 s[18:19], s[8:9], exec
	s_cselect_b32 s36, s34, s28
	s_cselect_b32 s18, s35, s29
	v_lshlrev_b32_e32 v10, 4, v0
	s_and_b32 s41, s22, 0xffff
	s_mov_b32 s42, s38
	s_mov_b32 s43, s39
	s_and_b32 s37, s18, 0xffff
	buffer_load_dwordx4 v[6:9], v10, s[40:43], 0 offen glc slc
	buffer_load_dwordx4 v[2:5], v10, s[36:39], 0 offen
.LBB331_3:
	s_or_b64 exec, exec, s[2:3]
	s_and_b64 vcc, exec, s[30:31]
	s_cbranch_vccz .LBB331_7
; %bb.4:
	v_mov_b32_e32 v11, 0
	v_mov_b32_e32 v10, 0
	;; [unrolled: 1-line block ×8, first 2 shown]
	s_and_saveexec_b64 s[2:3], s[0:1]
	s_cbranch_execz .LBB331_6
; %bb.5:
	s_waitcnt vmcnt(1)
	v_cvt_f32_f16_sdwa v15, v6 dst_sel:DWORD dst_unused:UNUSED_PAD src0_sel:WORD_1
	v_cvt_f32_f16_e32 v14, v6
	v_cvt_f32_f16_sdwa v17, v7 dst_sel:DWORD dst_unused:UNUSED_PAD src0_sel:WORD_1
	v_cvt_f32_f16_e32 v16, v7
	;; [unrolled: 2-line block ×4, first 2 shown]
.LBB331_6:
	s_or_b64 exec, exec, s[2:3]
	s_cbranch_execz .LBB331_8
	s_branch .LBB331_11
.LBB331_7:
                                        ; implicit-def: $vgpr11
                                        ; implicit-def: $vgpr13
                                        ; implicit-def: $vgpr17
                                        ; implicit-def: $vgpr15
.LBB331_8:
	v_mov_b32_e32 v11, 0
	v_mov_b32_e32 v10, 0
	;; [unrolled: 1-line block ×8, first 2 shown]
	s_and_saveexec_b64 s[2:3], s[0:1]
	s_cbranch_execz .LBB331_10
; %bb.9:
	s_waitcnt lgkmcnt(0)
	s_load_dwordx2 s[18:19], s[4:5], 0x38
	s_mul_hi_i32 s35, s27, s6
	s_mul_i32 s34, s27, s6
	s_lshl_b64 s[34:35], s[34:35], 1
	s_mov_b32 s39, 0x20000
	s_waitcnt lgkmcnt(0)
	s_add_u32 s36, s18, s34
	s_addc_u32 s18, s19, s35
	s_and_b32 s37, s18, 0xffff
	v_lshlrev_b32_e32 v24, 4, v0
	buffer_load_dwordx4 v[10:13], v24, s[36:39], 0 offen glc slc
	s_waitcnt vmcnt(2)
	v_cvt_f32_f16_sdwa v15, v6 dst_sel:DWORD dst_unused:UNUSED_PAD src0_sel:WORD_1
	v_cvt_f32_f16_e32 v14, v6
	v_cvt_f32_f16_sdwa v17, v7 dst_sel:DWORD dst_unused:UNUSED_PAD src0_sel:WORD_1
	v_cvt_f32_f16_e32 v16, v7
	;; [unrolled: 2-line block ×4, first 2 shown]
	s_load_dwordx2 s[18:19], s[4:5], 0x20
	s_mul_hi_i32 s35, s17, s6
	s_mul_i32 s34, s17, s6
	s_lshl_b64 s[34:35], s[34:35], 1
	s_waitcnt lgkmcnt(0)
	s_add_u32 s36, s18, s34
	s_addc_u32 s17, s19, s35
	s_and_b32 s37, s17, 0xffff
	s_waitcnt vmcnt(0)
	v_cvt_f32_f16_e32 v8, v10
	v_cvt_f32_f16_sdwa v9, v10 dst_sel:DWORD dst_unused:UNUSED_PAD src0_sel:WORD_1
	v_cvt_f32_f16_e32 v10, v11
	v_cvt_f32_f16_sdwa v11, v11 dst_sel:DWORD dst_unused:UNUSED_PAD src0_sel:WORD_1
	;; [unrolled: 2-line block ×4, first 2 shown]
	v_pk_add_f32 v[14:15], v[14:15], v[8:9]
	v_pk_add_f32 v[16:17], v[16:17], v[10:11]
	;; [unrolled: 1-line block ×4, first 2 shown]
	v_cvt_f16_f32_e32 v6, v15
	v_cvt_f16_f32_e32 v7, v17
	;; [unrolled: 1-line block ×8, first 2 shown]
	v_pack_b32_f16 v9, v18, v9
	v_pack_b32_f16 v8, v19, v8
	;; [unrolled: 1-line block ×4, first 2 shown]
	buffer_store_dwordx4 v[6:9], v24, s[36:39], 0 offen glc slc
	;;#ASMSTART
	s_nop 0
	;;#ASMEND
.LBB331_10:
	s_or_b64 exec, exec, s[2:3]
.LBB331_11:
	s_waitcnt vmcnt(1)
	v_mul_f32_e32 v6, v15, v15
	v_fmac_f32_e32 v6, v14, v14
	v_fmac_f32_e32 v6, v16, v16
	;; [unrolled: 1-line block ×7, first 2 shown]
	v_and_b32_e32 v8, 63, v0
	v_cmp_eq_u32_e64 s[2:3], 63, v8
	v_mov_b32_dpp v7, v6 quad_perm:[1,0,3,2] row_mask:0xf bank_mask:0xf
	v_add_f32_e32 v6, v6, v7
	s_nop 1
	v_mov_b32_dpp v7, v6 quad_perm:[2,3,0,1] row_mask:0xf bank_mask:0xf
	v_add_f32_e32 v6, v6, v7
	s_nop 1
	v_mov_b32_dpp v7, v6 row_half_mirror row_mask:0xf bank_mask:0xf
	v_add_f32_e32 v6, v6, v7
	s_nop 1
	v_mov_b32_dpp v7, v6 row_mirror row_mask:0xf bank_mask:0xf
	v_add_f32_e32 v6, v6, v7
	s_nop 1
	v_mov_b32_dpp v7, v6 row_bcast:15 row_mask:0xf bank_mask:0xf
	v_add_f32_e32 v6, v6, v7
	s_nop 1
	v_mov_b32_dpp v7, v6 row_bcast:31 row_mask:0xf bank_mask:0xf
	s_waitcnt lgkmcnt(0)
	s_and_saveexec_b64 s[18:19], s[2:3]
	s_cbranch_execz .LBB331_13
; %bb.12:
	v_add_f32_e32 v6, v6, v7
	v_lshrrev_b32_e32 v7, 4, v0
	v_and_b32_e32 v7, 60, v7
	ds_write_b32 v7, v6 offset:8
.LBB331_13:
	s_or_b64 exec, exec, s[18:19]
	v_and_b32_e32 v6, 1, v0
	v_lshlrev_b32_e32 v18, 2, v6
	s_waitcnt lgkmcnt(0)
	s_barrier
	ds_read_b32 v6, v18 offset:8
	s_load_dwordx2 s[18:19], s[4:5], 0x18
	s_waitcnt lgkmcnt(0)
	v_mov_b32_dpp v7, v6 quad_perm:[1,0,3,2] row_mask:0xf bank_mask:0xf
	s_and_saveexec_b64 s[34:35], s[0:1]
	s_cbranch_execnz .LBB331_18
; %bb.14:
	s_or_b64 exec, exec, s[34:35]
	s_mov_b64 s[8:9], -1
	s_and_b64 vcc, exec, s[30:31]
	s_cbranch_vccnz .LBB331_19
.LBB331_15:
	s_andn2_b64 vcc, exec, s[8:9]
	s_cbranch_vccz .LBB331_22
.LBB331_16:
	s_cmp_lt_i32 s24, 1
	s_cbranch_scc0 .LBB331_31
.LBB331_17:
	s_endpgm
.LBB331_18:
	v_cvt_f32_u32_e32 v8, s7
	v_add_f32_e32 v6, v6, v7
	v_mov_b32_e32 v19, s21
	v_mov_b32_e32 v20, s20
	v_div_scale_f32 v7, s[36:37], v8, v8, v6
	v_rcp_f32_e32 v9, v7
	v_cndmask_b32_e64 v19, v19, v20, s[8:9]
	s_mov_b32 s7, 0x800000
	v_fma_f32 v20, -v7, v9, 1.0
	v_fmac_f32_e32 v9, v20, v9
	v_div_scale_f32 v20, vcc, v6, v8, v6
	v_mul_f32_e32 v21, v20, v9
	v_fma_f32 v22, -v7, v21, v20
	v_fmac_f32_e32 v21, v22, v9
	v_fma_f32 v7, -v7, v21, v20
	v_div_fmas_f32 v7, v7, v9, v21
	v_div_fixup_f32 v6, v7, v8, v6
	v_add_f32_e32 v6, v19, v6
	v_mul_f32_e32 v7, 0x4b800000, v6
	v_cmp_gt_f32_e32 vcc, s7, v6
	v_cndmask_b32_e32 v6, v6, v7, vcc
	v_rsq_f32_e32 v6, v6
	s_waitcnt vmcnt(0)
	v_cvt_f32_f16_sdwa v21, v3 dst_sel:DWORD dst_unused:UNUSED_PAD src0_sel:WORD_1
	v_cvt_f32_f16_e32 v20, v3
	v_mul_f32_e32 v7, 0x45800000, v6
	v_cndmask_b32_e32 v6, v6, v7, vcc
	v_mov_b32_e32 v7, v6
	;;#ASMSTART
	v_pk_mul_f32 v[8:9], v[14:15], v[6:7]
	;;#ASMEND
	v_cvt_f32_f16_sdwa v15, v2 dst_sel:DWORD dst_unused:UNUSED_PAD src0_sel:WORD_1
	v_cvt_f32_f16_e32 v14, v2
	;;#ASMSTART
	v_pk_mul_f32 v[16:17], v[16:17], v[6:7]
	;;#ASMEND
	;;#ASMSTART
	v_pk_mul_f32 v[12:13], v[12:13], v[6:7]
	;;#ASMEND
	;; [unrolled: 3-line block ×3, first 2 shown]
	v_pk_add_f32 v[6:7], v[14:15], 1.0 op_sel_hi:[1,0]
	;;#ASMSTART
	v_pk_mul_f32 v[14:15], v[8:9], v[6:7]
	;;#ASMEND
	v_cvt_f32_f16_sdwa v9, v4 dst_sel:DWORD dst_unused:UNUSED_PAD src0_sel:WORD_1
	v_cvt_f32_f16_e32 v8, v4
	v_cvt_f32_f16_sdwa v11, v5 dst_sel:DWORD dst_unused:UNUSED_PAD src0_sel:WORD_1
	v_cvt_f32_f16_e32 v10, v5
	v_pk_add_f32 v[6:7], v[20:21], 1.0 op_sel_hi:[1,0]
	v_pk_add_f32 v[4:5], v[8:9], 1.0 op_sel_hi:[1,0]
	;;#ASMSTART
	v_pk_mul_f32 v[16:17], v[16:17], v[6:7]
	;;#ASMEND
	;;#ASMSTART
	v_pk_mul_f32 v[12:13], v[12:13], v[4:5]
	;;#ASMEND
	v_pk_add_f32 v[4:5], v[10:11], 1.0 op_sel_hi:[1,0]
	;;#ASMSTART
	v_pk_mul_f32 v[10:11], v[2:3], v[4:5]
	;;#ASMEND
	s_or_b64 exec, exec, s[34:35]
	s_mov_b64 s[8:9], -1
	s_and_b64 vcc, exec, s[30:31]
	s_cbranch_vccz .LBB331_15
.LBB331_19:
	s_and_saveexec_b64 s[8:9], s[0:1]
	s_cbranch_execz .LBB331_21
; %bb.20:
	s_mul_hi_i32 s31, s16, s6
	s_mul_i32 s30, s16, s6
	s_waitcnt vmcnt(0)
	v_cvt_f16_f32_e32 v2, v14
	v_cvt_f16_f32_e32 v3, v16
	;; [unrolled: 1-line block ×8, first 2 shown]
	s_lshl_b64 s[30:31], s[30:31], 1
	s_add_u32 s36, s18, s30
	s_addc_u32 s7, s19, s31
	s_and_b32 s37, s7, 0xffff
	s_mov_b32 s39, 0x20000
	v_pack_b32_f16 v5, v5, v6
	v_pack_b32_f16 v4, v4, v7
	v_pack_b32_f16 v3, v3, v8
	v_pack_b32_f16 v2, v2, v9
	v_lshlrev_b32_e32 v6, 4, v0
	buffer_store_dwordx4 v[2:5], v6, s[36:39], 0 offen
	;;#ASMSTART
	s_nop 0
	;;#ASMEND
.LBB331_21:
	s_or_b64 exec, exec, s[8:9]
	s_cbranch_execnz .LBB331_16
.LBB331_22:
	s_waitcnt vmcnt(0)
	v_mov_b32_e32 v2, 0
	s_and_saveexec_b64 s[8:9], s[0:1]
	s_cbranch_execz .LBB331_24
; %bb.23:
	s_load_dwordx2 s[30:31], s[4:5], 0x10
	s_mul_hi_i32 s35, s15, s6
	s_mul_i32 s34, s15, s6
	v_cvt_f16_f32_e32 v2, v14
	v_cvt_f16_f32_e32 v3, v16
	;; [unrolled: 1-line block ×8, first 2 shown]
	s_lshl_b64 s[34:35], s[34:35], 1
	s_waitcnt lgkmcnt(0)
	s_add_u32 s36, s30, s34
	s_addc_u32 s7, s31, s35
	s_mov_b32 s39, 0x20000
	s_and_b32 s37, s7, 0xffff
	v_pack_b32_f16 v5, v5, v6
	v_pack_b32_f16 v4, v4, v7
	;; [unrolled: 1-line block ×4, first 2 shown]
	v_lshlrev_b32_e32 v6, 4, v0
	buffer_store_dwordx4 v[2:5], v6, s[36:39], 0 offen
	;;#ASMSTART
	s_nop 0
	;;#ASMEND
	s_nop 0
	v_mov_b32_e32 v2, 0x2edbe6ff
.LBB331_24:
	s_or_b64 exec, exec, s[8:9]
	s_and_saveexec_b64 s[8:9], s[0:1]
	s_cbranch_execz .LBB331_26
; %bb.25:
	v_and_b32_e32 v3, 0x7fffffff, v14
	v_and_b32_e32 v4, 0x7fffffff, v15
	;;#ASMSTART
	v_max3_f32 v2, v2, v3, v4

	;;#ASMEND
	v_and_b32_e32 v3, 0x7fffffff, v16
	v_and_b32_e32 v4, 0x7fffffff, v17
	;;#ASMSTART
	v_max3_f32 v2, v2, v3, v4

	;;#ASMEND
	;; [unrolled: 6-line block ×4, first 2 shown]
.LBB331_26:
	s_or_b64 exec, exec, s[8:9]
	;;#ASMSTART
	v_max_f32 v3, v2, v2 quad_perm:[1,0,3,2] row_mask:0xf bank_mask:0xf bound_ctrl:1
	;;#ASMEND
	;;#ASMSTART
	v_max_f32 v2, v3, v3 quad_perm:[2,3,0,1] row_mask:0xf bank_mask:0xf bound_ctrl:1
	;;#ASMEND
	;;#ASMSTART
	v_max_f32 v3, v2, v2 row_half_mirror row_mask:0xf bank_mask:0xf bound_ctrl:1
	;;#ASMEND
	;;#ASMSTART
	v_max_f32 v2, v3, v3 row_mirror row_mask:0xf bank_mask:0xf bound_ctrl:1
	;;#ASMEND
	v_and_b32_e32 v3, 15, v0
	v_cmp_eq_u32_e32 vcc, 0, v3
	v_cmp_gt_i32_e64 s[8:9], s23, v1
	s_and_b64 s[30:31], vcc, s[8:9]
	s_and_saveexec_b64 s[8:9], s[30:31]
	s_cbranch_execz .LBB331_28
; %bb.27:
	s_load_dwordx2 s[30:31], s[4:5], 0x8
	v_mul_f32_e32 v2, 0x3e2aaaab, v2
	v_lshrrev_b32_e32 v3, 23, v2
	v_and_b32_e32 v4, 0x7f800000, v2
	v_and_b32_e32 v2, 0x7fffff, v2
	v_cmp_ne_u32_e32 vcc, 0, v2
	s_mul_hi_i32 s15, s13, s6
	s_mul_i32 s13, s13, s6
	s_mov_b32 s7, 0x7f800000
	v_addc_co_u32_e32 v2, vcc, 0, v3, vcc
	s_waitcnt lgkmcnt(0)
	s_add_u32 s30, s30, s13
	v_cmp_ne_u32_e32 vcc, s7, v4
	s_addc_u32 s31, s31, s15
	v_lshrrev_b32_e32 v5, 4, v0
	v_cndmask_b32_e32 v4, -1, v2, vcc
	v_pk_mov_b32 v[2:3], s[30:31], s[30:31] op_sel:[0,1]
	v_mad_i64_i32 v[2:3], s[14:15], s14, v5, v[2:3]
	global_store_byte v[2:3], v4, off
.LBB331_28:
	s_or_b64 exec, exec, s[8:9]
	s_and_saveexec_b64 s[8:9], s[0:1]
	s_cbranch_execz .LBB331_30
; %bb.29:
	s_load_dwordx2 s[0:1], s[4:5], 0x0
	s_mul_hi_i32 s7, s12, s6
	s_mul_i32 s12, s12, s6
	v_lshlrev_b32_e32 v2, 2, v0
	s_mov_b32 s15, 0x20000
	s_waitcnt lgkmcnt(0)
	s_add_u32 s12, s0, s12
	s_addc_u32 s0, s1, s7
	s_lshr_b32 s1, s23, 31
	s_add_i32 s1, s23, s1
	s_ashr_i32 s1, s1, 1
	s_add_i32 s1, s1, 3
	s_ashr_i32 s7, s1, 31
	s_lshr_b32 s7, s7, 30
	s_add_i32 s1, s1, s7
	s_and_b32 s14, s1, -4
	s_and_b32 s13, s0, 0xffff
	v_mov_b32_e32 v3, 0
	buffer_store_dword v3, v2, s[12:15], 0 offen
	;;#ASMSTART
	s_nop 0
	;;#ASMEND
.LBB331_30:
	s_or_b64 exec, exec, s[8:9]
	s_cmp_lt_i32 s24, 1
	s_cbranch_scc1 .LBB331_17
.LBB331_31:
	s_load_dword s0, s[4:5], 0x94
	s_waitcnt lgkmcnt(0)
	s_cmp_lg_u32 s0, 1
	s_cbranch_scc1 .LBB331_17
; %bb.32:
	s_lshl_b32 s0, s24, 1
	s_add_i32 s0, s0, 2
	v_cmp_gt_u32_e32 vcc, s24, v1
	s_and_b32 s30, s0, -4
	v_mov_b32_e32 v10, 0
	v_lshlrev_b32_e32 v1, 4, v0
	v_mov_b32_e32 v6, 0
	v_mov_b32_e32 v7, 0
	;; [unrolled: 1-line block ×4, first 2 shown]
	s_waitcnt vmcnt(0)
	v_mov_b32_e32 v2, 0
	v_mov_b32_e32 v3, 0
	;; [unrolled: 1-line block ×4, first 2 shown]
	s_barrier
	s_and_saveexec_b64 s[0:1], vcc
	s_cbranch_execz .LBB331_34
; %bb.33:
	s_mul_hi_i32 s5, s26, s6
	s_mul_i32 s4, s26, s6
	s_and_b32 s29, s29, 0xffff
	s_lshl_b64 s[4:5], s[4:5], 1
	s_add_u32 s8, s10, s4
	s_mov_b32 s31, 0x20000
	s_addc_u32 s4, s11, s5
	s_and_b32 s9, s4, 0xffff
	s_mov_b32 s10, s30
	s_mov_b32 s11, s31
	buffer_load_dwordx4 v[6:9], v1, s[8:11], 0 offen glc slc
	buffer_load_dwordx4 v[2:5], v1, s[28:31], 0 offen
.LBB331_34:
	s_or_b64 exec, exec, s[0:1]
	v_mov_b32_e32 v11, 0
	v_mov_b32_e32 v16, 0
	;; [unrolled: 1-line block ×7, first 2 shown]
	s_and_saveexec_b64 s[0:1], vcc
	s_cbranch_execz .LBB331_36
; %bb.35:
	s_waitcnt vmcnt(1)
	v_cvt_f32_f16_sdwa v11, v6 dst_sel:DWORD dst_unused:UNUSED_PAD src0_sel:WORD_1
	v_cvt_f32_f16_e32 v10, v6
	v_cvt_f32_f16_sdwa v17, v7 dst_sel:DWORD dst_unused:UNUSED_PAD src0_sel:WORD_1
	v_cvt_f32_f16_e32 v16, v7
	;; [unrolled: 2-line block ×4, first 2 shown]
.LBB331_36:
	s_or_b64 exec, exec, s[0:1]
	s_waitcnt vmcnt(1)
	v_mul_f32_e32 v6, v11, v11
	v_fmac_f32_e32 v6, v10, v10
	v_fmac_f32_e32 v6, v16, v16
	;; [unrolled: 1-line block ×7, first 2 shown]
	s_nop 1
	v_mov_b32_dpp v7, v6 quad_perm:[1,0,3,2] row_mask:0xf bank_mask:0xf
	v_add_f32_e32 v6, v6, v7
	s_nop 1
	v_mov_b32_dpp v7, v6 quad_perm:[2,3,0,1] row_mask:0xf bank_mask:0xf
	v_add_f32_e32 v6, v6, v7
	s_nop 1
	v_mov_b32_dpp v7, v6 row_half_mirror row_mask:0xf bank_mask:0xf
	v_add_f32_e32 v6, v6, v7
	s_nop 1
	v_mov_b32_dpp v7, v6 row_mirror row_mask:0xf bank_mask:0xf
	v_add_f32_e32 v6, v6, v7
	s_nop 1
	v_mov_b32_dpp v7, v6 row_bcast:15 row_mask:0xf bank_mask:0xf
	v_add_f32_e32 v6, v6, v7
	s_nop 1
	v_mov_b32_dpp v7, v6 row_bcast:31 row_mask:0xf bank_mask:0xf
	s_and_saveexec_b64 s[0:1], s[2:3]
	s_cbranch_execz .LBB331_38
; %bb.37:
	v_lshrrev_b32_e32 v0, 4, v0
	v_add_f32_e32 v6, v6, v7
	v_and_b32_e32 v0, 60, v0
	ds_write_b32 v0, v6
.LBB331_38:
	s_or_b64 exec, exec, s[0:1]
	s_waitcnt lgkmcnt(0)
	s_barrier
	ds_read_b32 v0, v18
	s_waitcnt lgkmcnt(0)
	s_nop 0
	v_mov_b32_dpp v6, v0 quad_perm:[1,0,3,2] row_mask:0xf bank_mask:0xf
	s_and_saveexec_b64 s[0:1], vcc
	s_cbranch_execz .LBB331_17
; %bb.39:
	v_cvt_f32_u32_e32 v7, s24
	v_add_f32_e32 v0, v0, v6
	s_mov_b32 s31, 0x20000
	v_div_scale_f32 v6, s[0:1], v7, v7, v0
	v_rcp_f32_e32 v8, v6
	v_div_scale_f32 v9, vcc, v0, v7, v0
	s_mov_b32 s0, 0x800000
	v_fma_f32 v18, -v6, v8, 1.0
	v_fmac_f32_e32 v8, v18, v8
	v_mul_f32_e32 v18, v9, v8
	v_fma_f32 v19, -v6, v18, v9
	v_fmac_f32_e32 v18, v19, v8
	v_fma_f32 v6, -v6, v18, v9
	v_div_fmas_f32 v6, v6, v8, v18
	v_div_fixup_f32 v0, v6, v7, v0
	v_add_f32_e32 v0, s21, v0
	v_mul_f32_e32 v6, 0x4b800000, v0
	v_cmp_gt_f32_e32 vcc, s0, v0
	v_cndmask_b32_e32 v0, v0, v6, vcc
	v_rsq_f32_e32 v0, v0
	s_waitcnt vmcnt(0)
	v_cvt_f32_f16_sdwa v19, v3 dst_sel:DWORD dst_unused:UNUSED_PAD src0_sel:WORD_1
	v_cvt_f32_f16_e32 v18, v3
	s_mul_hi_i32 s1, s16, s6
	v_mul_f32_e32 v6, 0x45800000, v0
	v_cndmask_b32_e32 v6, v0, v6, vcc
	v_mov_b32_e32 v7, v6
	;;#ASMSTART
	v_pk_mul_f32 v[8:9], v[10:11], v[6:7]
	;;#ASMEND
	;;#ASMSTART
	v_pk_mul_f32 v[10:11], v[16:17], v[6:7]
	;;#ASMEND
	v_cvt_f32_f16_sdwa v17, v2 dst_sel:DWORD dst_unused:UNUSED_PAD src0_sel:WORD_1
	v_cvt_f32_f16_e32 v16, v2
	;;#ASMSTART
	v_pk_mul_f32 v[14:15], v[14:15], v[6:7]
	;;#ASMEND
	;;#ASMSTART
	v_pk_mul_f32 v[2:3], v[12:13], v[6:7]
	;;#ASMEND
	v_cvt_f32_f16_sdwa v13, v4 dst_sel:DWORD dst_unused:UNUSED_PAD src0_sel:WORD_1
	v_cvt_f32_f16_e32 v12, v4
	v_pk_add_f32 v[6:7], v[16:17], 1.0 op_sel_hi:[1,0]
	v_cvt_f32_f16_sdwa v17, v5 dst_sel:DWORD dst_unused:UNUSED_PAD src0_sel:WORD_1
	v_cvt_f32_f16_e32 v16, v5
	;;#ASMSTART
	v_pk_mul_f32 v[6:7], v[8:9], v[6:7]
	;;#ASMEND
	v_pk_add_f32 v[8:9], v[18:19], 1.0 op_sel_hi:[1,0]
	;;#ASMSTART
	v_pk_mul_f32 v[4:5], v[10:11], v[8:9]
	;;#ASMEND
	v_pk_add_f32 v[8:9], v[12:13], 1.0 op_sel_hi:[1,0]
	;;#ASMSTART
	v_pk_mul_f32 v[8:9], v[14:15], v[8:9]
	;;#ASMEND
	v_pk_add_f32 v[10:11], v[16:17], 1.0 op_sel_hi:[1,0]
	;;#ASMSTART
	v_pk_mul_f32 v[2:3], v[2:3], v[10:11]
	;;#ASMEND
	s_mul_i32 s0, s16, s6
	v_cvt_f16_f32_e32 v0, v6
	v_cvt_f16_f32_e32 v6, v7
	;; [unrolled: 1-line block ×8, first 2 shown]
	s_lshl_b64 s[0:1], s[0:1], 1
	s_add_u32 s28, s18, s0
	s_addc_u32 s0, s19, s1
	s_and_b32 s29, s0, 0xffff
	v_pack_b32_f16 v2, v0, v6
	v_pack_b32_f16 v3, v4, v5
	;; [unrolled: 1-line block ×4, first 2 shown]
	buffer_store_dwordx4 v[2:5], v1, s[28:31], 0 offen
	;;#ASMSTART
	s_nop 0
	;;#ASMEND
	s_endpgm
	.section	.rodata,"a",@progbits
	.p2align	6, 0x0
	.amdhsa_kernel _ZN5aiter35fused_qk_rmsnorm_group_quant_kernelIDF16_N4opus5fp4_tELi128ELi8ELi16ELb1ELb1ELb1ELb0ELb0ELb0EEEvPT0_PvPT_S7_S7_PKS6_S9_S9_S9_S9_ffiiiiiiiiiiiii
		.amdhsa_group_segment_fixed_size 16
		.amdhsa_private_segment_fixed_size 0
		.amdhsa_kernarg_size 400
		.amdhsa_user_sgpr_count 6
		.amdhsa_user_sgpr_private_segment_buffer 1
		.amdhsa_user_sgpr_dispatch_ptr 0
		.amdhsa_user_sgpr_queue_ptr 0
		.amdhsa_user_sgpr_kernarg_segment_ptr 1
		.amdhsa_user_sgpr_dispatch_id 0
		.amdhsa_user_sgpr_flat_scratch_init 0
		.amdhsa_user_sgpr_kernarg_preload_length 0
		.amdhsa_user_sgpr_kernarg_preload_offset 0
		.amdhsa_user_sgpr_private_segment_size 0
		.amdhsa_uses_dynamic_stack 0
		.amdhsa_system_sgpr_private_segment_wavefront_offset 0
		.amdhsa_system_sgpr_workgroup_id_x 1
		.amdhsa_system_sgpr_workgroup_id_y 1
		.amdhsa_system_sgpr_workgroup_id_z 0
		.amdhsa_system_sgpr_workgroup_info 0
		.amdhsa_system_vgpr_workitem_id 0
		.amdhsa_next_free_vgpr 25
		.amdhsa_next_free_sgpr 44
		.amdhsa_accum_offset 28
		.amdhsa_reserve_vcc 1
		.amdhsa_reserve_flat_scratch 0
		.amdhsa_float_round_mode_32 0
		.amdhsa_float_round_mode_16_64 0
		.amdhsa_float_denorm_mode_32 3
		.amdhsa_float_denorm_mode_16_64 3
		.amdhsa_dx10_clamp 1
		.amdhsa_ieee_mode 1
		.amdhsa_fp16_overflow 0
		.amdhsa_tg_split 0
		.amdhsa_exception_fp_ieee_invalid_op 0
		.amdhsa_exception_fp_denorm_src 0
		.amdhsa_exception_fp_ieee_div_zero 0
		.amdhsa_exception_fp_ieee_overflow 0
		.amdhsa_exception_fp_ieee_underflow 0
		.amdhsa_exception_fp_ieee_inexact 0
		.amdhsa_exception_int_div_zero 0
	.end_amdhsa_kernel
	.section	.text._ZN5aiter35fused_qk_rmsnorm_group_quant_kernelIDF16_N4opus5fp4_tELi128ELi8ELi16ELb1ELb1ELb1ELb0ELb0ELb0EEEvPT0_PvPT_S7_S7_PKS6_S9_S9_S9_S9_ffiiiiiiiiiiiii,"axG",@progbits,_ZN5aiter35fused_qk_rmsnorm_group_quant_kernelIDF16_N4opus5fp4_tELi128ELi8ELi16ELb1ELb1ELb1ELb0ELb0ELb0EEEvPT0_PvPT_S7_S7_PKS6_S9_S9_S9_S9_ffiiiiiiiiiiiii,comdat
.Lfunc_end331:
	.size	_ZN5aiter35fused_qk_rmsnorm_group_quant_kernelIDF16_N4opus5fp4_tELi128ELi8ELi16ELb1ELb1ELb1ELb0ELb0ELb0EEEvPT0_PvPT_S7_S7_PKS6_S9_S9_S9_S9_ffiiiiiiiiiiiii, .Lfunc_end331-_ZN5aiter35fused_qk_rmsnorm_group_quant_kernelIDF16_N4opus5fp4_tELi128ELi8ELi16ELb1ELb1ELb1ELb0ELb0ELb0EEEvPT0_PvPT_S7_S7_PKS6_S9_S9_S9_S9_ffiiiiiiiiiiiii
                                        ; -- End function
	.section	.AMDGPU.csdata,"",@progbits
; Kernel info:
; codeLenInByte = 2868
; NumSgprs: 48
; NumVgprs: 25
; NumAgprs: 0
; TotalNumVgprs: 25
; ScratchSize: 0
; MemoryBound: 0
; FloatMode: 240
; IeeeMode: 1
; LDSByteSize: 16 bytes/workgroup (compile time only)
; SGPRBlocks: 5
; VGPRBlocks: 3
; NumSGPRsForWavesPerEU: 48
; NumVGPRsForWavesPerEU: 25
; AccumOffset: 28
; Occupancy: 8
; WaveLimiterHint : 0
; COMPUTE_PGM_RSRC2:SCRATCH_EN: 0
; COMPUTE_PGM_RSRC2:USER_SGPR: 6
; COMPUTE_PGM_RSRC2:TRAP_HANDLER: 0
; COMPUTE_PGM_RSRC2:TGID_X_EN: 1
; COMPUTE_PGM_RSRC2:TGID_Y_EN: 1
; COMPUTE_PGM_RSRC2:TGID_Z_EN: 0
; COMPUTE_PGM_RSRC2:TIDIG_COMP_CNT: 0
; COMPUTE_PGM_RSRC3_GFX90A:ACCUM_OFFSET: 6
; COMPUTE_PGM_RSRC3_GFX90A:TG_SPLIT: 0
	.section	.text._ZN5aiter35fused_qk_rmsnorm_group_quant_kernelItN4opus5fp4_tELi128ELi8ELi16ELb1ELb1ELb1ELb0ELb0ELb0EEEvPT0_PvPT_S7_S7_PKS6_S9_S9_S9_S9_ffiiiiiiiiiiiii,"axG",@progbits,_ZN5aiter35fused_qk_rmsnorm_group_quant_kernelItN4opus5fp4_tELi128ELi8ELi16ELb1ELb1ELb1ELb0ELb0ELb0EEEvPT0_PvPT_S7_S7_PKS6_S9_S9_S9_S9_ffiiiiiiiiiiiii,comdat
	.protected	_ZN5aiter35fused_qk_rmsnorm_group_quant_kernelItN4opus5fp4_tELi128ELi8ELi16ELb1ELb1ELb1ELb0ELb0ELb0EEEvPT0_PvPT_S7_S7_PKS6_S9_S9_S9_S9_ffiiiiiiiiiiiii ; -- Begin function _ZN5aiter35fused_qk_rmsnorm_group_quant_kernelItN4opus5fp4_tELi128ELi8ELi16ELb1ELb1ELb1ELb0ELb0ELb0EEEvPT0_PvPT_S7_S7_PKS6_S9_S9_S9_S9_ffiiiiiiiiiiiii
	.globl	_ZN5aiter35fused_qk_rmsnorm_group_quant_kernelItN4opus5fp4_tELi128ELi8ELi16ELb1ELb1ELb1ELb0ELb0ELb0EEEvPT0_PvPT_S7_S7_PKS6_S9_S9_S9_S9_ffiiiiiiiiiiiii
	.p2align	8
	.type	_ZN5aiter35fused_qk_rmsnorm_group_quant_kernelItN4opus5fp4_tELi128ELi8ELi16ELb1ELb1ELb1ELb0ELb0ELb0EEEvPT0_PvPT_S7_S7_PKS6_S9_S9_S9_S9_ffiiiiiiiiiiiii,@function
_ZN5aiter35fused_qk_rmsnorm_group_quant_kernelItN4opus5fp4_tELi128ELi8ELi16ELb1ELb1ELb1ELb0ELb0ELb0EEEvPT0_PvPT_S7_S7_PKS6_S9_S9_S9_S9_ffiiiiiiiiiiiii: ; @_ZN5aiter35fused_qk_rmsnorm_group_quant_kernelItN4opus5fp4_tELi128ELi8ELi16ELb1ELb1ELb1ELb0ELb0ELb0EEEvPT0_PvPT_S7_S7_PKS6_S9_S9_S9_S9_ffiiiiiiiiiiiii
; %bb.0:
	s_load_dwordx8 s[20:27], s[4:5], 0x50
	s_waitcnt lgkmcnt(0)
	s_cmp_ge_i32 s6, s22
	s_cbranch_scc1 .LBB332_17
; %bb.1:
	s_cmp_lg_u32 s7, 0
	s_cselect_b64 s[30:31], -1, 0
	s_cmp_eq_u32 s7, 0
	s_cselect_b64 s[8:9], -1, 0
	s_and_b64 s[0:1], s[8:9], exec
	s_load_dwordx2 s[28:29], s[4:5], 0x48
	s_load_dwordx2 s[10:11], s[4:5], 0x30
	s_load_dwordx8 s[12:19], s[4:5], 0x70
	s_cselect_b32 s7, s23, s24
	s_add_i32 s0, s7, 1
	s_lshr_b32 s1, s0, 31
	s_add_i32 s0, s0, s1
	s_lshl_b32 s0, s0, 1
	v_lshlrev_b32_e32 v1, 3, v0
	s_and_b32 s38, s0, -4
	v_cmp_gt_i32_e64 s[0:1], s7, v1
	v_mov_b32_e32 v10, 0
	v_mov_b32_e32 v11, 0
	;; [unrolled: 1-line block ×8, first 2 shown]
	s_and_saveexec_b64 s[2:3], s[0:1]
	s_cbranch_execz .LBB332_3
; %bb.2:
	s_waitcnt lgkmcnt(0)
	s_load_dwordx2 s[18:19], s[4:5], 0x28
	s_load_dwordx2 s[34:35], s[4:5], 0x40
	s_and_b64 s[36:37], s[8:9], exec
	s_cselect_b32 s22, s25, s26
	s_mov_b32 s39, 0x20000
	s_waitcnt lgkmcnt(0)
	s_cselect_b32 s25, s19, s11
	s_cselect_b32 s33, s18, s10
	s_mul_hi_i32 s19, s22, s6
	s_mul_i32 s18, s22, s6
	s_lshl_b64 s[18:19], s[18:19], 1
	s_add_u32 s40, s33, s18
	s_addc_u32 s22, s25, s19
	s_and_b64 s[18:19], s[8:9], exec
	s_cselect_b32 s36, s34, s28
	s_cselect_b32 s18, s35, s29
	v_lshlrev_b32_e32 v2, 4, v0
	s_and_b32 s41, s22, 0xffff
	s_mov_b32 s42, s38
	s_mov_b32 s43, s39
	s_and_b32 s37, s18, 0xffff
	buffer_load_dwordx4 v[14:17], v2, s[40:43], 0 offen glc slc
	buffer_load_dwordx4 v[10:13], v2, s[36:39], 0 offen
.LBB332_3:
	s_or_b64 exec, exec, s[2:3]
	s_and_b64 vcc, exec, s[30:31]
	s_cbranch_vccz .LBB332_7
; %bb.4:
	s_mov_b32 s40, 0
	s_mov_b32 s41, s40
	;; [unrolled: 1-line block ×8, first 2 shown]
	v_pk_mov_b32 v[2:3], s[40:41], s[40:41] op_sel:[0,1]
	v_pk_mov_b32 v[4:5], s[42:43], s[42:43] op_sel:[0,1]
	;; [unrolled: 1-line block ×4, first 2 shown]
	s_and_saveexec_b64 s[2:3], s[0:1]
	s_cbranch_execz .LBB332_6
; %bb.5:
	s_waitcnt vmcnt(1)
	v_cvt_f32_u32_sdwa v3, v14 dst_sel:DWORD dst_unused:UNUSED_PAD src0_sel:WORD_1
	v_cvt_f32_u32_sdwa v2, v14 dst_sel:DWORD dst_unused:UNUSED_PAD src0_sel:WORD_0
	v_cvt_f32_u32_sdwa v5, v15 dst_sel:DWORD dst_unused:UNUSED_PAD src0_sel:WORD_1
	v_cvt_f32_u32_sdwa v4, v15 dst_sel:DWORD dst_unused:UNUSED_PAD src0_sel:WORD_0
	;; [unrolled: 2-line block ×4, first 2 shown]
.LBB332_6:
	s_or_b64 exec, exec, s[2:3]
	s_cbranch_execz .LBB332_8
	s_branch .LBB332_11
.LBB332_7:
                                        ; implicit-def: $vgpr2_vgpr3_vgpr4_vgpr5_vgpr6_vgpr7_vgpr8_vgpr9
.LBB332_8:
	s_mov_b32 s40, 0
	s_mov_b32 s41, s40
	;; [unrolled: 1-line block ×8, first 2 shown]
	v_pk_mov_b32 v[2:3], s[40:41], s[40:41] op_sel:[0,1]
	v_pk_mov_b32 v[4:5], s[42:43], s[42:43] op_sel:[0,1]
	;; [unrolled: 1-line block ×4, first 2 shown]
	s_and_saveexec_b64 s[2:3], s[0:1]
	s_cbranch_execz .LBB332_10
; %bb.9:
	s_waitcnt lgkmcnt(0)
	s_load_dwordx2 s[18:19], s[4:5], 0x38
	s_mul_hi_i32 s35, s27, s6
	s_mul_i32 s34, s27, s6
	s_lshl_b64 s[34:35], s[34:35], 1
	s_mov_b32 s39, 0x20000
	s_waitcnt lgkmcnt(0)
	s_add_u32 s36, s18, s34
	s_addc_u32 s18, s19, s35
	s_and_b32 s37, s18, 0xffff
	v_lshlrev_b32_e32 v26, 4, v0
	buffer_load_dwordx4 v[2:5], v26, s[36:39], 0 offen glc slc
	s_load_dwordx2 s[18:19], s[4:5], 0x20
	s_waitcnt vmcnt(2)
	v_cvt_f32_u32_sdwa v7, v14 dst_sel:DWORD dst_unused:UNUSED_PAD src0_sel:WORD_1
	v_cvt_f32_u32_sdwa v6, v14 dst_sel:DWORD dst_unused:UNUSED_PAD src0_sel:WORD_0
	v_cvt_f32_u32_sdwa v9, v15 dst_sel:DWORD dst_unused:UNUSED_PAD src0_sel:WORD_1
	v_cvt_f32_u32_sdwa v8, v15 dst_sel:DWORD dst_unused:UNUSED_PAD src0_sel:WORD_0
	;; [unrolled: 2-line block ×4, first 2 shown]
	s_mul_hi_i32 s35, s17, s6
	s_mul_i32 s34, s17, s6
	s_lshl_b64 s[34:35], s[34:35], 1
	s_waitcnt lgkmcnt(0)
	s_add_u32 s36, s18, s34
	s_mov_b32 s17, 0x7060302
	s_addc_u32 s18, s19, s35
	s_and_b32 s37, s18, 0xffff
	s_waitcnt vmcnt(0)
	v_cvt_f32_u32_sdwa v17, v2 dst_sel:DWORD dst_unused:UNUSED_PAD src0_sel:WORD_1
	v_cvt_f32_u32_sdwa v16, v2 dst_sel:DWORD dst_unused:UNUSED_PAD src0_sel:WORD_0
	v_cvt_f32_u32_sdwa v21, v3 dst_sel:DWORD dst_unused:UNUSED_PAD src0_sel:WORD_1
	v_cvt_f32_u32_sdwa v20, v3 dst_sel:DWORD dst_unused:UNUSED_PAD src0_sel:WORD_0
	;; [unrolled: 2-line block ×4, first 2 shown]
	v_pk_add_f32 v[2:3], v[6:7], v[16:17]
	v_pk_add_f32 v[4:5], v[8:9], v[20:21]
	;; [unrolled: 1-line block ×4, first 2 shown]
	v_perm_b32 v17, v9, v8, s17
	v_perm_b32 v16, v7, v6, s17
	;; [unrolled: 1-line block ×4, first 2 shown]
	buffer_store_dwordx4 v[14:17], v26, s[36:39], 0 offen glc slc
	;;#ASMSTART
	s_nop 0
	;;#ASMEND
.LBB332_10:
	s_or_b64 exec, exec, s[2:3]
.LBB332_11:
	s_waitcnt vmcnt(1)
	v_mul_f32_e32 v14, v3, v3
	v_fmac_f32_e32 v14, v2, v2
	v_fmac_f32_e32 v14, v4, v4
	;; [unrolled: 1-line block ×7, first 2 shown]
	v_and_b32_e32 v16, 63, v0
	v_cmp_eq_u32_e64 s[2:3], 63, v16
	v_mov_b32_dpp v15, v14 quad_perm:[1,0,3,2] row_mask:0xf bank_mask:0xf
	v_add_f32_e32 v14, v14, v15
	s_nop 1
	v_mov_b32_dpp v15, v14 quad_perm:[2,3,0,1] row_mask:0xf bank_mask:0xf
	v_add_f32_e32 v14, v14, v15
	s_nop 1
	v_mov_b32_dpp v15, v14 row_half_mirror row_mask:0xf bank_mask:0xf
	v_add_f32_e32 v14, v14, v15
	s_nop 1
	v_mov_b32_dpp v15, v14 row_mirror row_mask:0xf bank_mask:0xf
	v_add_f32_e32 v14, v14, v15
	s_nop 1
	v_mov_b32_dpp v15, v14 row_bcast:15 row_mask:0xf bank_mask:0xf
	v_add_f32_e32 v14, v14, v15
	s_nop 1
	v_mov_b32_dpp v15, v14 row_bcast:31 row_mask:0xf bank_mask:0xf
	s_waitcnt lgkmcnt(0)
	s_and_saveexec_b64 s[18:19], s[2:3]
	s_cbranch_execz .LBB332_13
; %bb.12:
	v_add_f32_e32 v14, v14, v15
	v_lshrrev_b32_e32 v15, 4, v0
	v_and_b32_e32 v15, 60, v15
	ds_write_b32 v15, v14 offset:8
.LBB332_13:
	s_or_b64 exec, exec, s[18:19]
	v_and_b32_e32 v14, 1, v0
	v_lshlrev_b32_e32 v14, 2, v14
	s_waitcnt lgkmcnt(0)
	s_barrier
	ds_read_b32 v15, v14 offset:8
	s_load_dwordx2 s[18:19], s[4:5], 0x18
	s_waitcnt lgkmcnt(0)
	v_mov_b32_dpp v16, v15 quad_perm:[1,0,3,2] row_mask:0xf bank_mask:0xf
	s_and_saveexec_b64 s[34:35], s[0:1]
	s_cbranch_execnz .LBB332_18
; %bb.14:
	s_or_b64 exec, exec, s[34:35]
	s_mov_b64 s[8:9], -1
	s_and_b64 vcc, exec, s[30:31]
	s_cbranch_vccnz .LBB332_19
.LBB332_15:
	s_andn2_b64 vcc, exec, s[8:9]
	s_cbranch_vccz .LBB332_22
.LBB332_16:
	s_cmp_lt_i32 s24, 1
	s_cbranch_scc0 .LBB332_31
.LBB332_17:
	s_endpgm
.LBB332_18:
	v_cvt_f32_u32_e32 v17, s7
	v_add_f32_e32 v15, v15, v16
	v_mov_b32_e32 v19, s21
	v_mov_b32_e32 v20, s20
	v_div_scale_f32 v16, s[36:37], v17, v17, v15
	v_rcp_f32_e32 v18, v16
	v_cndmask_b32_e64 v19, v19, v20, s[8:9]
	s_mov_b32 s7, 0x800000
	v_fma_f32 v20, -v16, v18, 1.0
	v_fmac_f32_e32 v18, v20, v18
	v_div_scale_f32 v20, vcc, v15, v17, v15
	v_mul_f32_e32 v21, v20, v18
	v_fma_f32 v22, -v16, v21, v20
	v_fmac_f32_e32 v21, v22, v18
	v_fma_f32 v16, -v16, v21, v20
	v_div_fmas_f32 v16, v16, v18, v21
	v_div_fixup_f32 v15, v16, v17, v15
	v_add_f32_e32 v15, v19, v15
	v_mul_f32_e32 v16, 0x4b800000, v15
	v_cmp_gt_f32_e32 vcc, s7, v15
	v_cndmask_b32_e32 v15, v15, v16, vcc
	v_rsq_f32_e32 v15, v15
	s_waitcnt vmcnt(0)
	v_cvt_f32_u32_sdwa v19, v10 dst_sel:DWORD dst_unused:UNUSED_PAD src0_sel:WORD_1
	v_cvt_f32_u32_sdwa v18, v10 dst_sel:DWORD dst_unused:UNUSED_PAD src0_sel:WORD_0
	v_cvt_f32_u32_sdwa v21, v11 dst_sel:DWORD dst_unused:UNUSED_PAD src0_sel:WORD_1
	v_mul_f32_e32 v16, 0x45800000, v15
	v_cndmask_b32_e32 v16, v15, v16, vcc
	v_mov_b32_e32 v17, v16
	v_cvt_f32_u32_sdwa v20, v11 dst_sel:DWORD dst_unused:UNUSED_PAD src0_sel:WORD_0
	;;#ASMSTART
	v_pk_mul_f32 v[2:3], v[2:3], v[16:17]
	;;#ASMEND
	;;#ASMSTART
	v_pk_mul_f32 v[4:5], v[4:5], v[16:17]
	;;#ASMEND
	;; [unrolled: 3-line block ×4, first 2 shown]
	v_cvt_f32_u32_sdwa v17, v12 dst_sel:DWORD dst_unused:UNUSED_PAD src0_sel:WORD_1
	v_cvt_f32_u32_sdwa v16, v12 dst_sel:DWORD dst_unused:UNUSED_PAD src0_sel:WORD_0
	v_pk_add_f32 v[10:11], v[18:19], 1.0 op_sel_hi:[1,0]
	v_cvt_f32_u32_sdwa v19, v13 dst_sel:DWORD dst_unused:UNUSED_PAD src0_sel:WORD_1
	v_cvt_f32_u32_sdwa v18, v13 dst_sel:DWORD dst_unused:UNUSED_PAD src0_sel:WORD_0
	;;#ASMSTART
	v_pk_mul_f32 v[2:3], v[2:3], v[10:11]
	;;#ASMEND
	v_pk_add_f32 v[10:11], v[20:21], 1.0 op_sel_hi:[1,0]
	;;#ASMSTART
	v_pk_mul_f32 v[4:5], v[4:5], v[10:11]
	;;#ASMEND
	v_pk_add_f32 v[10:11], v[16:17], 1.0 op_sel_hi:[1,0]
	;; [unrolled: 4-line block ×3, first 2 shown]
	;;#ASMSTART
	v_pk_mul_f32 v[8:9], v[8:9], v[10:11]
	;;#ASMEND
	s_or_b64 exec, exec, s[34:35]
	s_mov_b64 s[8:9], -1
	s_and_b64 vcc, exec, s[30:31]
	s_cbranch_vccz .LBB332_15
.LBB332_19:
	s_and_saveexec_b64 s[8:9], s[0:1]
	s_cbranch_execz .LBB332_21
; %bb.20:
	s_mul_hi_i32 s31, s16, s6
	s_mul_i32 s30, s16, s6
	s_lshl_b64 s[30:31], s[30:31], 1
	s_add_u32 s36, s18, s30
	s_addc_u32 s7, s19, s31
	s_and_b32 s37, s7, 0xffff
	s_mov_b32 s7, 0x7060302
	s_mov_b32 s39, 0x20000
	s_waitcnt vmcnt(0)
	v_perm_b32 v10, v3, v2, s7
	v_perm_b32 v11, v5, v4, s7
	;; [unrolled: 1-line block ×4, first 2 shown]
	v_lshlrev_b32_e32 v15, 4, v0
	buffer_store_dwordx4 v[10:13], v15, s[36:39], 0 offen
	;;#ASMSTART
	s_nop 0
	;;#ASMEND
.LBB332_21:
	s_or_b64 exec, exec, s[8:9]
	s_cbranch_execnz .LBB332_16
.LBB332_22:
	s_waitcnt vmcnt(0)
	v_mov_b32_e32 v10, 0
	s_and_saveexec_b64 s[8:9], s[0:1]
	s_cbranch_execz .LBB332_24
; %bb.23:
	s_load_dwordx2 s[30:31], s[4:5], 0x10
	s_mul_hi_i32 s35, s15, s6
	s_mul_i32 s34, s15, s6
	s_lshl_b64 s[34:35], s[34:35], 1
	s_mov_b32 s39, 0x20000
	s_waitcnt lgkmcnt(0)
	s_add_u32 s36, s30, s34
	s_addc_u32 s7, s31, s35
	s_and_b32 s37, s7, 0xffff
	s_mov_b32 s7, 0x7060302
	v_perm_b32 v10, v3, v2, s7
	v_perm_b32 v11, v5, v4, s7
	;; [unrolled: 1-line block ×4, first 2 shown]
	v_lshlrev_b32_e32 v15, 4, v0
	buffer_store_dwordx4 v[10:13], v15, s[36:39], 0 offen
	;;#ASMSTART
	s_nop 0
	;;#ASMEND
	s_nop 0
	v_mov_b32_e32 v10, 0x2edbe6ff
.LBB332_24:
	s_or_b64 exec, exec, s[8:9]
	s_and_saveexec_b64 s[8:9], s[0:1]
	s_cbranch_execz .LBB332_26
; %bb.25:
	v_and_b32_e32 v2, 0x7fffffff, v2
	v_and_b32_e32 v3, 0x7fffffff, v3
	;;#ASMSTART
	v_max3_f32 v2, v10, v2, v3

	;;#ASMEND
	v_and_b32_e32 v3, 0x7fffffff, v4
	v_and_b32_e32 v4, 0x7fffffff, v5
	;;#ASMSTART
	v_max3_f32 v2, v2, v3, v4

	;;#ASMEND
	;; [unrolled: 6-line block ×4, first 2 shown]
.LBB332_26:
	s_or_b64 exec, exec, s[8:9]
	;;#ASMSTART
	v_max_f32 v2, v10, v10 quad_perm:[1,0,3,2] row_mask:0xf bank_mask:0xf bound_ctrl:1
	;;#ASMEND
	;;#ASMSTART
	v_max_f32 v3, v2, v2 quad_perm:[2,3,0,1] row_mask:0xf bank_mask:0xf bound_ctrl:1
	;;#ASMEND
	;;#ASMSTART
	v_max_f32 v4, v3, v3 row_half_mirror row_mask:0xf bank_mask:0xf bound_ctrl:1
	;;#ASMEND
	v_and_b32_e32 v3, 15, v0
	v_cmp_eq_u32_e32 vcc, 0, v3
	v_cmp_gt_i32_e64 s[8:9], s23, v1
	s_and_b64 s[30:31], vcc, s[8:9]
	;;#ASMSTART
	v_max_f32 v2, v4, v4 row_mirror row_mask:0xf bank_mask:0xf bound_ctrl:1
	;;#ASMEND
	s_and_saveexec_b64 s[8:9], s[30:31]
	s_cbranch_execz .LBB332_28
; %bb.27:
	s_load_dwordx2 s[30:31], s[4:5], 0x8
	v_mul_f32_e32 v2, 0x3e2aaaab, v2
	v_lshrrev_b32_e32 v3, 23, v2
	v_and_b32_e32 v4, 0x7f800000, v2
	v_and_b32_e32 v2, 0x7fffff, v2
	v_cmp_ne_u32_e32 vcc, 0, v2
	s_mul_hi_i32 s15, s13, s6
	s_mul_i32 s13, s13, s6
	s_mov_b32 s7, 0x7f800000
	v_addc_co_u32_e32 v2, vcc, 0, v3, vcc
	s_waitcnt lgkmcnt(0)
	s_add_u32 s30, s30, s13
	v_cmp_ne_u32_e32 vcc, s7, v4
	s_addc_u32 s31, s31, s15
	v_lshrrev_b32_e32 v5, 4, v0
	v_cndmask_b32_e32 v4, -1, v2, vcc
	v_pk_mov_b32 v[2:3], s[30:31], s[30:31] op_sel:[0,1]
	v_mad_i64_i32 v[2:3], s[14:15], s14, v5, v[2:3]
	global_store_byte v[2:3], v4, off
.LBB332_28:
	s_or_b64 exec, exec, s[8:9]
	s_and_saveexec_b64 s[8:9], s[0:1]
	s_cbranch_execz .LBB332_30
; %bb.29:
	s_load_dwordx2 s[0:1], s[4:5], 0x0
	s_mul_hi_i32 s7, s12, s6
	s_mul_i32 s12, s12, s6
	v_lshlrev_b32_e32 v2, 2, v0
	s_mov_b32 s15, 0x20000
	s_waitcnt lgkmcnt(0)
	s_add_u32 s12, s0, s12
	s_addc_u32 s0, s1, s7
	s_lshr_b32 s1, s23, 31
	s_add_i32 s1, s23, s1
	s_ashr_i32 s1, s1, 1
	s_add_i32 s1, s1, 3
	s_ashr_i32 s7, s1, 31
	s_lshr_b32 s7, s7, 30
	s_add_i32 s1, s1, s7
	s_and_b32 s14, s1, -4
	s_and_b32 s13, s0, 0xffff
	v_mov_b32_e32 v3, 0
	buffer_store_dword v3, v2, s[12:15], 0 offen
	;;#ASMSTART
	s_nop 0
	;;#ASMEND
.LBB332_30:
	s_or_b64 exec, exec, s[8:9]
	s_cmp_lt_i32 s24, 1
	s_cbranch_scc1 .LBB332_17
.LBB332_31:
	s_load_dword s0, s[4:5], 0x94
	s_waitcnt lgkmcnt(0)
	s_cmp_lg_u32 s0, 1
	s_cbranch_scc1 .LBB332_17
; %bb.32:
	s_lshl_b32 s0, s24, 1
	s_add_i32 s0, s0, 2
	v_cmp_gt_u32_e32 vcc, s24, v1
	s_and_b32 s30, s0, -4
	v_mov_b32_e32 v6, 0
	v_lshlrev_b32_e32 v1, 4, v0
	v_mov_b32_e32 v7, 0
	v_mov_b32_e32 v8, 0
	;; [unrolled: 1-line block ×7, first 2 shown]
	s_barrier
	s_and_saveexec_b64 s[0:1], vcc
	s_cbranch_execz .LBB332_34
; %bb.33:
	s_mul_hi_i32 s5, s26, s6
	s_mul_i32 s4, s26, s6
	s_and_b32 s29, s29, 0xffff
	s_lshl_b64 s[4:5], s[4:5], 1
	s_add_u32 s8, s10, s4
	s_mov_b32 s31, 0x20000
	s_addc_u32 s4, s11, s5
	s_and_b32 s9, s4, 0xffff
	s_mov_b32 s10, s30
	s_mov_b32 s11, s31
	buffer_load_dwordx4 v[6:9], v1, s[8:11], 0 offen glc slc
	buffer_load_dwordx4 v[2:5], v1, s[28:31], 0 offen
.LBB332_34:
	s_or_b64 exec, exec, s[0:1]
	s_waitcnt vmcnt(0)
	v_cvt_f32_u32_sdwa v13, v6 dst_sel:DWORD dst_unused:UNUSED_PAD src0_sel:WORD_1
	v_cvt_f32_u32_sdwa v12, v6 dst_sel:DWORD dst_unused:UNUSED_PAD src0_sel:WORD_0
	v_cvt_f32_u32_sdwa v6, v9 dst_sel:DWORD dst_unused:UNUSED_PAD src0_sel:WORD_1
	v_cvt_f32_u32_sdwa v9, v9 dst_sel:DWORD dst_unused:UNUSED_PAD src0_sel:WORD_0
	;; [unrolled: 2-line block ×4, first 2 shown]
	v_cndmask_b32_e32 v13, 0, v13, vcc
	v_cndmask_b32_e32 v7, 0, v6, vcc
	v_cndmask_b32_e32 v6, 0, v9, vcc
	v_cndmask_b32_e32 v9, 0, v15, vcc
	v_cndmask_b32_e32 v12, 0, v12, vcc
	v_mul_f32_e32 v15, v13, v13
	v_cndmask_b32_e32 v10, 0, v10, vcc
	v_fmac_f32_e32 v15, v12, v12
	v_cndmask_b32_e32 v11, 0, v11, vcc
	v_fmac_f32_e32 v15, v10, v10
	;; [unrolled: 2-line block ×3, first 2 shown]
	v_fmac_f32_e32 v15, v8, v8
	v_fmac_f32_e32 v15, v9, v9
	;; [unrolled: 1-line block ×4, first 2 shown]
	s_nop 1
	v_mov_b32_dpp v16, v15 quad_perm:[1,0,3,2] row_mask:0xf bank_mask:0xf
	v_add_f32_e32 v15, v15, v16
	s_nop 1
	v_mov_b32_dpp v16, v15 quad_perm:[2,3,0,1] row_mask:0xf bank_mask:0xf
	v_add_f32_e32 v15, v15, v16
	s_nop 1
	v_mov_b32_dpp v16, v15 row_half_mirror row_mask:0xf bank_mask:0xf
	v_add_f32_e32 v15, v15, v16
	s_nop 1
	v_mov_b32_dpp v16, v15 row_mirror row_mask:0xf bank_mask:0xf
	v_add_f32_e32 v15, v15, v16
	s_nop 1
	v_mov_b32_dpp v16, v15 row_bcast:15 row_mask:0xf bank_mask:0xf
	v_add_f32_e32 v15, v15, v16
	s_nop 1
	v_mov_b32_dpp v16, v15 row_bcast:31 row_mask:0xf bank_mask:0xf
	s_and_saveexec_b64 s[0:1], s[2:3]
	s_cbranch_execz .LBB332_36
; %bb.35:
	v_lshrrev_b32_e32 v0, 4, v0
	v_add_f32_e32 v15, v15, v16
	v_and_b32_e32 v0, 60, v0
	ds_write_b32 v0, v15
.LBB332_36:
	s_or_b64 exec, exec, s[0:1]
	s_waitcnt lgkmcnt(0)
	s_barrier
	ds_read_b32 v0, v14
	s_waitcnt lgkmcnt(0)
	s_nop 0
	v_mov_b32_dpp v14, v0 quad_perm:[1,0,3,2] row_mask:0xf bank_mask:0xf
	s_and_saveexec_b64 s[0:1], vcc
	s_cbranch_execz .LBB332_17
; %bb.37:
	v_cvt_f32_u32_e32 v15, s24
	v_add_f32_e32 v0, v0, v14
	s_mov_b32 s31, 0x20000
	v_div_scale_f32 v14, s[0:1], v15, v15, v0
	v_rcp_f32_e32 v16, v14
	v_div_scale_f32 v17, vcc, v0, v15, v0
	s_mov_b32 s0, 0x800000
	v_fma_f32 v18, -v14, v16, 1.0
	v_fmac_f32_e32 v16, v18, v16
	v_mul_f32_e32 v18, v17, v16
	v_fma_f32 v19, -v14, v18, v17
	v_fmac_f32_e32 v18, v19, v16
	v_fma_f32 v14, -v14, v18, v17
	v_div_fmas_f32 v14, v14, v16, v18
	v_div_fixup_f32 v0, v14, v15, v0
	v_add_f32_e32 v0, s21, v0
	v_mul_f32_e32 v14, 0x4b800000, v0
	v_cmp_gt_f32_e32 vcc, s0, v0
	v_cndmask_b32_e32 v0, v0, v14, vcc
	v_rsq_f32_e32 v0, v0
	v_cvt_f32_u32_sdwa v17, v2 dst_sel:DWORD dst_unused:UNUSED_PAD src0_sel:WORD_1
	v_cvt_f32_u32_sdwa v16, v2 dst_sel:DWORD dst_unused:UNUSED_PAD src0_sel:WORD_0
	v_cvt_f32_u32_sdwa v19, v3 dst_sel:DWORD dst_unused:UNUSED_PAD src0_sel:WORD_1
	v_mul_f32_e32 v14, 0x45800000, v0
	v_cndmask_b32_e32 v14, v0, v14, vcc
	v_mov_b32_e32 v15, v14
	;;#ASMSTART
	v_pk_mul_f32 v[12:13], v[12:13], v[14:15]
	;;#ASMEND
	;;#ASMSTART
	v_pk_mul_f32 v[10:11], v[10:11], v[14:15]
	;;#ASMEND
	;;#ASMSTART
	v_pk_mul_f32 v[8:9], v[8:9], v[14:15]
	;;#ASMEND
	v_cvt_f32_u32_sdwa v18, v3 dst_sel:DWORD dst_unused:UNUSED_PAD src0_sel:WORD_0
	;;#ASMSTART
	v_pk_mul_f32 v[2:3], v[6:7], v[14:15]
	;;#ASMEND
	v_cvt_f32_u32_sdwa v15, v4 dst_sel:DWORD dst_unused:UNUSED_PAD src0_sel:WORD_1
	v_cvt_f32_u32_sdwa v14, v4 dst_sel:DWORD dst_unused:UNUSED_PAD src0_sel:WORD_0
	v_pk_add_f32 v[6:7], v[16:17], 1.0 op_sel_hi:[1,0]
	v_cvt_f32_u32_sdwa v17, v5 dst_sel:DWORD dst_unused:UNUSED_PAD src0_sel:WORD_1
	v_cvt_f32_u32_sdwa v16, v5 dst_sel:DWORD dst_unused:UNUSED_PAD src0_sel:WORD_0
	s_mul_hi_i32 s1, s16, s6
	s_mul_i32 s0, s16, s6
	s_lshl_b64 s[0:1], s[0:1], 1
	s_add_u32 s28, s18, s0
	;;#ASMSTART
	v_pk_mul_f32 v[6:7], v[12:13], v[6:7]
	;;#ASMEND
	v_pk_add_f32 v[12:13], v[18:19], 1.0 op_sel_hi:[1,0]
	;;#ASMSTART
	v_pk_mul_f32 v[4:5], v[10:11], v[12:13]
	;;#ASMEND
	v_pk_add_f32 v[10:11], v[14:15], 1.0 op_sel_hi:[1,0]
	s_addc_u32 s0, s19, s1
	;;#ASMSTART
	v_pk_mul_f32 v[8:9], v[8:9], v[10:11]
	;;#ASMEND
	v_pk_add_f32 v[10:11], v[16:17], 1.0 op_sel_hi:[1,0]
	s_and_b32 s29, s0, 0xffff
	s_mov_b32 s0, 0x7060302
	;;#ASMSTART
	v_pk_mul_f32 v[10:11], v[2:3], v[10:11]
	;;#ASMEND
	v_perm_b32 v2, v7, v6, s0
	v_perm_b32 v3, v5, v4, s0
	v_perm_b32 v4, v9, v8, s0
	v_perm_b32 v5, v11, v10, s0
	buffer_store_dwordx4 v[2:5], v1, s[28:31], 0 offen
	;;#ASMSTART
	s_nop 0
	;;#ASMEND
	s_endpgm
	.section	.rodata,"a",@progbits
	.p2align	6, 0x0
	.amdhsa_kernel _ZN5aiter35fused_qk_rmsnorm_group_quant_kernelItN4opus5fp4_tELi128ELi8ELi16ELb1ELb1ELb1ELb0ELb0ELb0EEEvPT0_PvPT_S7_S7_PKS6_S9_S9_S9_S9_ffiiiiiiiiiiiii
		.amdhsa_group_segment_fixed_size 16
		.amdhsa_private_segment_fixed_size 0
		.amdhsa_kernarg_size 400
		.amdhsa_user_sgpr_count 6
		.amdhsa_user_sgpr_private_segment_buffer 1
		.amdhsa_user_sgpr_dispatch_ptr 0
		.amdhsa_user_sgpr_queue_ptr 0
		.amdhsa_user_sgpr_kernarg_segment_ptr 1
		.amdhsa_user_sgpr_dispatch_id 0
		.amdhsa_user_sgpr_flat_scratch_init 0
		.amdhsa_user_sgpr_kernarg_preload_length 0
		.amdhsa_user_sgpr_kernarg_preload_offset 0
		.amdhsa_user_sgpr_private_segment_size 0
		.amdhsa_uses_dynamic_stack 0
		.amdhsa_system_sgpr_private_segment_wavefront_offset 0
		.amdhsa_system_sgpr_workgroup_id_x 1
		.amdhsa_system_sgpr_workgroup_id_y 1
		.amdhsa_system_sgpr_workgroup_id_z 0
		.amdhsa_system_sgpr_workgroup_info 0
		.amdhsa_system_vgpr_workitem_id 0
		.amdhsa_next_free_vgpr 27
		.amdhsa_next_free_sgpr 48
		.amdhsa_accum_offset 28
		.amdhsa_reserve_vcc 1
		.amdhsa_reserve_flat_scratch 0
		.amdhsa_float_round_mode_32 0
		.amdhsa_float_round_mode_16_64 0
		.amdhsa_float_denorm_mode_32 3
		.amdhsa_float_denorm_mode_16_64 3
		.amdhsa_dx10_clamp 1
		.amdhsa_ieee_mode 1
		.amdhsa_fp16_overflow 0
		.amdhsa_tg_split 0
		.amdhsa_exception_fp_ieee_invalid_op 0
		.amdhsa_exception_fp_denorm_src 0
		.amdhsa_exception_fp_ieee_div_zero 0
		.amdhsa_exception_fp_ieee_overflow 0
		.amdhsa_exception_fp_ieee_underflow 0
		.amdhsa_exception_fp_ieee_inexact 0
		.amdhsa_exception_int_div_zero 0
	.end_amdhsa_kernel
	.section	.text._ZN5aiter35fused_qk_rmsnorm_group_quant_kernelItN4opus5fp4_tELi128ELi8ELi16ELb1ELb1ELb1ELb0ELb0ELb0EEEvPT0_PvPT_S7_S7_PKS6_S9_S9_S9_S9_ffiiiiiiiiiiiii,"axG",@progbits,_ZN5aiter35fused_qk_rmsnorm_group_quant_kernelItN4opus5fp4_tELi128ELi8ELi16ELb1ELb1ELb1ELb0ELb0ELb0EEEvPT0_PvPT_S7_S7_PKS6_S9_S9_S9_S9_ffiiiiiiiiiiiii,comdat
.Lfunc_end332:
	.size	_ZN5aiter35fused_qk_rmsnorm_group_quant_kernelItN4opus5fp4_tELi128ELi8ELi16ELb1ELb1ELb1ELb0ELb0ELb0EEEvPT0_PvPT_S7_S7_PKS6_S9_S9_S9_S9_ffiiiiiiiiiiiii, .Lfunc_end332-_ZN5aiter35fused_qk_rmsnorm_group_quant_kernelItN4opus5fp4_tELi128ELi8ELi16ELb1ELb1ELb1ELb0ELb0ELb0EEEvPT0_PvPT_S7_S7_PKS6_S9_S9_S9_S9_ffiiiiiiiiiiiii
                                        ; -- End function
	.section	.AMDGPU.csdata,"",@progbits
; Kernel info:
; codeLenInByte = 2908
; NumSgprs: 52
; NumVgprs: 27
; NumAgprs: 0
; TotalNumVgprs: 27
; ScratchSize: 0
; MemoryBound: 0
; FloatMode: 240
; IeeeMode: 1
; LDSByteSize: 16 bytes/workgroup (compile time only)
; SGPRBlocks: 6
; VGPRBlocks: 3
; NumSGPRsForWavesPerEU: 52
; NumVGPRsForWavesPerEU: 27
; AccumOffset: 28
; Occupancy: 8
; WaveLimiterHint : 0
; COMPUTE_PGM_RSRC2:SCRATCH_EN: 0
; COMPUTE_PGM_RSRC2:USER_SGPR: 6
; COMPUTE_PGM_RSRC2:TRAP_HANDLER: 0
; COMPUTE_PGM_RSRC2:TGID_X_EN: 1
; COMPUTE_PGM_RSRC2:TGID_Y_EN: 1
; COMPUTE_PGM_RSRC2:TGID_Z_EN: 0
; COMPUTE_PGM_RSRC2:TIDIG_COMP_CNT: 0
; COMPUTE_PGM_RSRC3_GFX90A:ACCUM_OFFSET: 6
; COMPUTE_PGM_RSRC3_GFX90A:TG_SPLIT: 0
	.section	.text._ZN5aiter35fused_qk_rmsnorm_group_quant_kernelIDF16_DB8_Li128ELi8ELi16ELb1ELb1ELb0ELb0ELb0ELb0EEEvPT0_PvPT_S6_S6_PKS5_S8_S8_S8_S8_ffiiiiiiiiiiiii,"axG",@progbits,_ZN5aiter35fused_qk_rmsnorm_group_quant_kernelIDF16_DB8_Li128ELi8ELi16ELb1ELb1ELb0ELb0ELb0ELb0EEEvPT0_PvPT_S6_S6_PKS5_S8_S8_S8_S8_ffiiiiiiiiiiiii,comdat
	.protected	_ZN5aiter35fused_qk_rmsnorm_group_quant_kernelIDF16_DB8_Li128ELi8ELi16ELb1ELb1ELb0ELb0ELb0ELb0EEEvPT0_PvPT_S6_S6_PKS5_S8_S8_S8_S8_ffiiiiiiiiiiiii ; -- Begin function _ZN5aiter35fused_qk_rmsnorm_group_quant_kernelIDF16_DB8_Li128ELi8ELi16ELb1ELb1ELb0ELb0ELb0ELb0EEEvPT0_PvPT_S6_S6_PKS5_S8_S8_S8_S8_ffiiiiiiiiiiiii
	.globl	_ZN5aiter35fused_qk_rmsnorm_group_quant_kernelIDF16_DB8_Li128ELi8ELi16ELb1ELb1ELb0ELb0ELb0ELb0EEEvPT0_PvPT_S6_S6_PKS5_S8_S8_S8_S8_ffiiiiiiiiiiiii
	.p2align	8
	.type	_ZN5aiter35fused_qk_rmsnorm_group_quant_kernelIDF16_DB8_Li128ELi8ELi16ELb1ELb1ELb0ELb0ELb0ELb0EEEvPT0_PvPT_S6_S6_PKS5_S8_S8_S8_S8_ffiiiiiiiiiiiii,@function
_ZN5aiter35fused_qk_rmsnorm_group_quant_kernelIDF16_DB8_Li128ELi8ELi16ELb1ELb1ELb0ELb0ELb0ELb0EEEvPT0_PvPT_S6_S6_PKS5_S8_S8_S8_S8_ffiiiiiiiiiiiii: ; @_ZN5aiter35fused_qk_rmsnorm_group_quant_kernelIDF16_DB8_Li128ELi8ELi16ELb1ELb1ELb0ELb0ELb0ELb0EEEvPT0_PvPT_S6_S6_PKS5_S8_S8_S8_S8_ffiiiiiiiiiiiii
; %bb.0:
	s_load_dwordx8 s[20:27], s[4:5], 0x50
	s_waitcnt lgkmcnt(0)
	s_cmp_ge_i32 s6, s22
	s_cbranch_scc1 .LBB333_17
; %bb.1:
	s_cmp_lg_u32 s7, 0
	s_cselect_b64 s[10:11], -1, 0
	s_cmp_eq_u32 s7, 0
	s_cselect_b64 s[8:9], -1, 0
	s_and_b64 s[0:1], s[8:9], exec
	s_load_dwordx2 s[28:29], s[4:5], 0x48
	s_load_dwordx2 s[34:35], s[4:5], 0x30
	s_load_dwordx8 s[12:19], s[4:5], 0x70
	s_cselect_b32 s7, s23, s24
	s_add_i32 s0, s7, 1
	s_lshr_b32 s1, s0, 31
	s_add_i32 s0, s0, s1
	s_lshl_b32 s0, s0, 1
	v_lshlrev_b32_e32 v1, 3, v0
	s_and_b32 s38, s0, -4
	v_cmp_gt_i32_e64 s[0:1], s7, v1
	v_mov_b32_e32 v24, 0
	v_mov_b32_e32 v25, 0
	;; [unrolled: 1-line block ×8, first 2 shown]
	s_and_saveexec_b64 s[2:3], s[0:1]
	s_cbranch_execz .LBB333_3
; %bb.2:
	s_waitcnt lgkmcnt(0)
	s_load_dwordx2 s[18:19], s[4:5], 0x28
	s_load_dwordx2 s[30:31], s[4:5], 0x40
	s_and_b64 s[36:37], s[8:9], exec
	s_cselect_b32 s22, s25, s26
	s_mov_b32 s39, 0x20000
	s_waitcnt lgkmcnt(0)
	s_cselect_b32 s25, s19, s35
	s_cselect_b32 s33, s18, s34
	s_mul_hi_i32 s19, s22, s6
	s_mul_i32 s18, s22, s6
	s_lshl_b64 s[18:19], s[18:19], 1
	s_add_u32 s40, s33, s18
	s_addc_u32 s22, s25, s19
	s_and_b64 s[18:19], s[8:9], exec
	s_cselect_b32 s36, s30, s28
	s_cselect_b32 s18, s31, s29
	v_lshlrev_b32_e32 v2, 4, v0
	s_and_b32 s41, s22, 0xffff
	s_mov_b32 s42, s38
	s_mov_b32 s43, s39
	s_and_b32 s37, s18, 0xffff
	buffer_load_dwordx4 v[28:31], v2, s[40:43], 0 offen glc slc
	buffer_load_dwordx4 v[24:27], v2, s[36:39], 0 offen
.LBB333_3:
	s_or_b64 exec, exec, s[2:3]
	s_and_b64 vcc, exec, s[10:11]
	s_cbranch_vccz .LBB333_7
; %bb.4:
	v_mov_b32_e32 v33, 0
	v_mov_b32_e32 v32, 0
	;; [unrolled: 1-line block ×8, first 2 shown]
	s_and_saveexec_b64 s[2:3], s[0:1]
	s_cbranch_execz .LBB333_6
; %bb.5:
	s_waitcnt vmcnt(1)
	v_cvt_f32_f16_sdwa v17, v28 dst_sel:DWORD dst_unused:UNUSED_PAD src0_sel:WORD_1
	v_cvt_f32_f16_e32 v16, v28
	v_cvt_f32_f16_sdwa v11, v29 dst_sel:DWORD dst_unused:UNUSED_PAD src0_sel:WORD_1
	v_cvt_f32_f16_e32 v10, v29
	;; [unrolled: 2-line block ×4, first 2 shown]
.LBB333_6:
	s_or_b64 exec, exec, s[2:3]
	s_cbranch_execz .LBB333_8
	s_branch .LBB333_11
.LBB333_7:
                                        ; implicit-def: $vgpr8_vgpr9_vgpr10_vgpr11_vgpr12_vgpr13_vgpr14_vgpr15
                                        ; implicit-def: $vgpr33
                                        ; implicit-def: $vgpr16_vgpr17_vgpr18_vgpr19_vgpr20_vgpr21_vgpr22_vgpr23
                                        ; implicit-def: $vgpr2_vgpr3_vgpr4_vgpr5_vgpr6_vgpr7_vgpr8_vgpr9
.LBB333_8:
	v_mov_b32_e32 v33, 0
	v_mov_b32_e32 v32, 0
	v_mov_b32_e32 v7, 0
	v_mov_b32_e32 v6, 0
	v_mov_b32_e32 v11, 0
	v_mov_b32_e32 v10, 0
	v_mov_b32_e32 v17, 0
	v_mov_b32_e32 v16, 0
	s_and_saveexec_b64 s[2:3], s[0:1]
	s_cbranch_execz .LBB333_10
; %bb.9:
	s_waitcnt lgkmcnt(0)
	s_load_dwordx2 s[18:19], s[4:5], 0x38
	s_mul_hi_i32 s31, s27, s6
	s_mul_i32 s30, s27, s6
	s_lshl_b64 s[30:31], s[30:31], 1
	s_mov_b32 s39, 0x20000
	s_waitcnt lgkmcnt(0)
	s_add_u32 s36, s18, s30
	s_addc_u32 s18, s19, s31
	s_and_b32 s37, s18, 0xffff
	v_lshlrev_b32_e32 v20, 4, v0
	buffer_load_dwordx4 v[2:5], v20, s[36:39], 0 offen glc slc
	s_waitcnt vmcnt(2)
	v_cvt_f32_f16_sdwa v7, v28 dst_sel:DWORD dst_unused:UNUSED_PAD src0_sel:WORD_1
	v_cvt_f32_f16_e32 v6, v28
	v_cvt_f32_f16_sdwa v9, v29 dst_sel:DWORD dst_unused:UNUSED_PAD src0_sel:WORD_1
	v_cvt_f32_f16_e32 v8, v29
	v_cvt_f32_f16_sdwa v13, v30 dst_sel:DWORD dst_unused:UNUSED_PAD src0_sel:WORD_1
	v_cvt_f32_f16_e32 v12, v30
	v_cvt_f32_f16_sdwa v15, v31 dst_sel:DWORD dst_unused:UNUSED_PAD src0_sel:WORD_1
	v_cvt_f32_f16_e32 v14, v31
	s_load_dwordx2 s[18:19], s[4:5], 0x20
	s_mul_hi_i32 s31, s17, s6
	s_mul_i32 s30, s17, s6
	s_lshl_b64 s[30:31], s[30:31], 1
	s_waitcnt lgkmcnt(0)
	s_add_u32 s36, s18, s30
	s_addc_u32 s17, s19, s31
	s_and_b32 s37, s17, 0xffff
	s_waitcnt vmcnt(0)
	v_cvt_f32_f16_e32 v10, v2
	v_cvt_f32_f16_sdwa v11, v2 dst_sel:DWORD dst_unused:UNUSED_PAD src0_sel:WORD_1
	v_cvt_f32_f16_e32 v2, v3
	v_cvt_f32_f16_sdwa v3, v3 dst_sel:DWORD dst_unused:UNUSED_PAD src0_sel:WORD_1
	;; [unrolled: 2-line block ×4, first 2 shown]
	v_pk_add_f32 v[16:17], v[6:7], v[10:11]
	v_pk_add_f32 v[10:11], v[8:9], v[2:3]
	;; [unrolled: 1-line block ×4, first 2 shown]
	v_cvt_f16_f32_e32 v2, v17
	v_cvt_f16_f32_e32 v3, v11
	;; [unrolled: 1-line block ×8, first 2 shown]
	v_pack_b32_f16 v5, v8, v5
	v_pack_b32_f16 v4, v9, v4
	;; [unrolled: 1-line block ×4, first 2 shown]
	buffer_store_dwordx4 v[2:5], v20, s[36:39], 0 offen glc slc
	;;#ASMSTART
	s_nop 0
	;;#ASMEND
.LBB333_10:
	s_or_b64 exec, exec, s[2:3]
.LBB333_11:
	v_mul_f32_e32 v2, v17, v17
	v_fmac_f32_e32 v2, v16, v16
	v_fmac_f32_e32 v2, v10, v10
	;; [unrolled: 1-line block ×7, first 2 shown]
	v_and_b32_e32 v4, 63, v0
	v_cmp_eq_u32_e64 s[2:3], 63, v4
	v_mov_b32_dpp v3, v2 quad_perm:[1,0,3,2] row_mask:0xf bank_mask:0xf
	v_add_f32_e32 v2, v2, v3
	s_nop 1
	v_mov_b32_dpp v3, v2 quad_perm:[2,3,0,1] row_mask:0xf bank_mask:0xf
	v_add_f32_e32 v2, v2, v3
	s_nop 1
	v_mov_b32_dpp v3, v2 row_half_mirror row_mask:0xf bank_mask:0xf
	v_add_f32_e32 v2, v2, v3
	s_nop 1
	v_mov_b32_dpp v3, v2 row_mirror row_mask:0xf bank_mask:0xf
	v_add_f32_e32 v2, v2, v3
	s_nop 1
	v_mov_b32_dpp v3, v2 row_bcast:15 row_mask:0xf bank_mask:0xf
	v_add_f32_e32 v2, v2, v3
	s_nop 1
	v_mov_b32_dpp v3, v2 row_bcast:31 row_mask:0xf bank_mask:0xf
	s_waitcnt lgkmcnt(0)
	s_and_saveexec_b64 s[18:19], s[2:3]
	s_cbranch_execz .LBB333_13
; %bb.12:
	v_add_f32_e32 v2, v2, v3
	v_lshrrev_b32_e32 v3, 4, v0
	v_and_b32_e32 v3, 60, v3
	ds_write_b32 v3, v2 offset:8
.LBB333_13:
	s_or_b64 exec, exec, s[18:19]
	v_and_b32_e32 v2, 1, v0
	v_lshlrev_b32_e32 v18, 2, v2
	s_waitcnt lgkmcnt(0)
	s_barrier
	ds_read_b32 v2, v18 offset:8
	s_load_dwordx2 s[18:19], s[4:5], 0x18
	s_waitcnt lgkmcnt(0)
	v_mov_b32_dpp v3, v2 quad_perm:[1,0,3,2] row_mask:0xf bank_mask:0xf
	s_and_saveexec_b64 s[30:31], s[0:1]
	s_cbranch_execnz .LBB333_18
; %bb.14:
	s_or_b64 exec, exec, s[30:31]
	s_mov_b64 s[8:9], -1
	s_and_b64 vcc, exec, s[10:11]
	s_cbranch_vccnz .LBB333_19
.LBB333_15:
	s_andn2_b64 vcc, exec, s[8:9]
	s_cbranch_vccz .LBB333_22
.LBB333_16:
	s_cmp_lt_i32 s24, 1
	s_cbranch_scc0 .LBB333_31
.LBB333_17:
	s_endpgm
.LBB333_18:
	v_cvt_f32_u32_e32 v4, s7
	v_add_f32_e32 v2, v2, v3
	v_mov_b32_e32 v8, s21
	v_mov_b32_e32 v9, s20
	v_div_scale_f32 v3, s[36:37], v4, v4, v2
	v_rcp_f32_e32 v5, v3
	v_cndmask_b32_e64 v8, v8, v9, s[8:9]
	s_mov_b32 s7, 0x800000
	s_waitcnt vmcnt(0)
	v_cvt_f32_f16_sdwa v15, v26 dst_sel:DWORD dst_unused:UNUSED_PAD src0_sel:WORD_1
	v_fma_f32 v9, -v3, v5, 1.0
	v_fmac_f32_e32 v5, v9, v5
	v_div_scale_f32 v9, vcc, v2, v4, v2
	v_mul_f32_e32 v12, v9, v5
	v_fma_f32 v13, -v3, v12, v9
	v_fmac_f32_e32 v12, v13, v5
	v_fma_f32 v3, -v3, v12, v9
	v_div_fmas_f32 v3, v3, v5, v12
	v_div_fixup_f32 v2, v3, v4, v2
	v_add_f32_e32 v2, v8, v2
	v_mul_f32_e32 v3, 0x4b800000, v2
	v_cmp_gt_f32_e32 vcc, s7, v2
	v_cndmask_b32_e32 v2, v2, v3, vcc
	v_rsq_f32_e32 v2, v2
	v_cvt_f32_f16_sdwa v13, v25 dst_sel:DWORD dst_unused:UNUSED_PAD src0_sel:WORD_1
	v_cvt_f32_f16_e32 v12, v25
	v_cvt_f32_f16_e32 v14, v26
	v_mul_f32_e32 v3, 0x45800000, v2
	v_cndmask_b32_e32 v2, v2, v3, vcc
	v_mov_b32_e32 v3, v2
	;;#ASMSTART
	v_pk_mul_f32 v[4:5], v[16:17], v[2:3]
	;;#ASMEND
	;;#ASMSTART
	v_pk_mul_f32 v[8:9], v[10:11], v[2:3]
	;;#ASMEND
	;; [unrolled: 3-line block ×3, first 2 shown]
	v_cvt_f32_f16_sdwa v11, v24 dst_sel:DWORD dst_unused:UNUSED_PAD src0_sel:WORD_1
	v_cvt_f32_f16_e32 v10, v24
	;;#ASMSTART
	v_pk_mul_f32 v[2:3], v[32:33], v[2:3]
	;;#ASMEND
	v_cvt_f32_f16_sdwa v21, v27 dst_sel:DWORD dst_unused:UNUSED_PAD src0_sel:WORD_1
	v_cvt_f32_f16_e32 v20, v27
	;;#ASMSTART
	v_pk_mul_f32 v[16:17], v[4:5], v[10:11]
	;;#ASMEND
	;;#ASMSTART
	v_pk_mul_f32 v[10:11], v[8:9], v[12:13]
	;;#ASMEND
	;; [unrolled: 3-line block ×4, first 2 shown]
	s_or_b64 exec, exec, s[30:31]
	s_mov_b64 s[8:9], -1
	s_and_b64 vcc, exec, s[10:11]
	s_cbranch_vccz .LBB333_15
.LBB333_19:
	s_and_saveexec_b64 s[8:9], s[0:1]
	s_cbranch_execz .LBB333_21
; %bb.20:
	s_mul_hi_i32 s11, s16, s6
	s_mul_i32 s10, s16, s6
	v_cvt_f16_f32_e32 v2, v16
	v_cvt_f16_f32_e32 v3, v10
	;; [unrolled: 1-line block ×8, first 2 shown]
	s_lshl_b64 s[10:11], s[10:11], 1
	s_add_u32 s36, s18, s10
	s_addc_u32 s7, s19, s11
	s_and_b32 s37, s7, 0xffff
	s_mov_b32 s39, 0x20000
	v_pack_b32_f16 v5, v5, v8
	v_pack_b32_f16 v4, v4, v9
	;; [unrolled: 1-line block ×4, first 2 shown]
	v_lshlrev_b32_e32 v8, 4, v0
	buffer_store_dwordx4 v[2:5], v8, s[36:39], 0 offen
	;;#ASMSTART
	s_nop 0
	;;#ASMEND
.LBB333_21:
	s_or_b64 exec, exec, s[8:9]
	s_cbranch_execnz .LBB333_16
.LBB333_22:
	v_mov_b32_e32 v2, 0
	s_and_saveexec_b64 s[8:9], s[0:1]
	s_cbranch_execz .LBB333_24
; %bb.23:
	s_load_dwordx2 s[10:11], s[4:5], 0x10
	s_mul_hi_i32 s31, s15, s6
	s_mul_i32 s30, s15, s6
	v_cvt_f16_f32_e32 v2, v16
	v_cvt_f16_f32_e32 v3, v10
	;; [unrolled: 1-line block ×8, first 2 shown]
	s_lshl_b64 s[30:31], s[30:31], 1
	s_waitcnt lgkmcnt(0)
	s_add_u32 s36, s10, s30
	s_addc_u32 s7, s11, s31
	s_mov_b32 s39, 0x20000
	s_and_b32 s37, s7, 0xffff
	v_pack_b32_f16 v5, v5, v8
	v_pack_b32_f16 v4, v4, v9
	;; [unrolled: 1-line block ×4, first 2 shown]
	v_lshlrev_b32_e32 v8, 4, v0
	buffer_store_dwordx4 v[2:5], v8, s[36:39], 0 offen
	;;#ASMSTART
	s_nop 0
	;;#ASMEND
	s_nop 0
	v_mov_b32_e32 v2, 0x2edbe6ff
.LBB333_24:
	s_or_b64 exec, exec, s[8:9]
	s_and_saveexec_b64 s[8:9], s[0:1]
	s_cbranch_execz .LBB333_26
; %bb.25:
	v_and_b32_e32 v3, 0x7fffffff, v16
	v_and_b32_e32 v4, 0x7fffffff, v17
	;;#ASMSTART
	v_max3_f32 v2, v2, v3, v4

	;;#ASMEND
	v_and_b32_e32 v3, 0x7fffffff, v10
	v_and_b32_e32 v4, 0x7fffffff, v11
	;;#ASMSTART
	v_max3_f32 v2, v2, v3, v4

	;;#ASMEND
	;; [unrolled: 6-line block ×4, first 2 shown]
.LBB333_26:
	s_or_b64 exec, exec, s[8:9]
	;;#ASMSTART
	v_max_f32 v3, v2, v2 quad_perm:[1,0,3,2] row_mask:0xf bank_mask:0xf bound_ctrl:1
	;;#ASMEND
	;;#ASMSTART
	v_max_f32 v2, v3, v3 quad_perm:[2,3,0,1] row_mask:0xf bank_mask:0xf bound_ctrl:1
	;;#ASMEND
	;;#ASMSTART
	v_max_f32 v3, v2, v2 row_half_mirror row_mask:0xf bank_mask:0xf bound_ctrl:1
	;;#ASMEND
	;;#ASMSTART
	v_max_f32 v2, v3, v3 row_mirror row_mask:0xf bank_mask:0xf bound_ctrl:1
	;;#ASMEND
	v_and_b32_e32 v3, 15, v0
	v_cmp_eq_u32_e32 vcc, 0, v3
	v_cmp_gt_i32_e64 s[8:9], s23, v1
	v_mul_f32_e32 v2, 0x3b124925, v2
	s_and_b64 s[10:11], vcc, s[8:9]
	s_and_saveexec_b64 s[8:9], s[10:11]
	s_cbranch_execz .LBB333_28
; %bb.27:
	s_load_dwordx2 s[10:11], s[4:5], 0x8
	v_lshrrev_b32_e32 v3, 4, v0
	s_mul_hi_i32 s31, s13, s6
	s_mul_i32 s30, s13, s6
	v_mad_i64_i32 v[4:5], s[14:15], s14, v3, 0
	s_lshl_b64 s[14:15], s[30:31], 2
	s_waitcnt lgkmcnt(0)
	s_add_u32 s7, s10, s14
	s_addc_u32 s10, s11, s15
	v_lshlrev_b64 v[4:5], 2, v[4:5]
	v_mov_b32_e32 v3, s10
	v_add_co_u32_e32 v4, vcc, s7, v4
	v_addc_co_u32_e32 v5, vcc, v3, v5, vcc
	global_store_dword v[4:5], v2, off
.LBB333_28:
	s_or_b64 exec, exec, s[8:9]
	;;#ASMSTART
	v_rcp_f32 v2, v2
	;;#ASMEND
	s_and_saveexec_b64 s[14:15], s[0:1]
	s_cbranch_execz .LBB333_30
; %bb.29:
	s_load_dwordx2 s[0:1], s[4:5], 0x0
	s_mul_i32 s8, s12, s6
	v_mov_b32_e32 v3, v2
	;;#ASMSTART
	v_pk_mul_f32 v[4:5], v[16:17], v[2:3]
	;;#ASMEND
	s_mul_hi_i32 s7, s12, s6
	s_waitcnt lgkmcnt(0)
	s_add_u32 s8, s0, s8
	v_mov_b32_e32 v8, 0xc3e00000
	v_mov_b32_e32 v9, 0x43e00000
	;;#ASMSTART
	v_med3_f32 v4, v4, v8, v9
v_med3_f32 v5, v5, v8, v9
v_cvt_pk_fp8_f32 v12, v4, v5
	;;#ASMEND
	s_addc_u32 s0, s1, s7
	;;#ASMSTART
	v_pk_mul_f32 v[4:5], v[10:11], v[2:3]
	;;#ASMEND
	s_and_b32 s9, s0, 0xffff
	;;#ASMSTART
	v_med3_f32 v4, v4, v8, v9
v_med3_f32 v5, v5, v8, v9
v_cvt_pk_fp8_f32 v10, v4, v5
	;;#ASMEND
	s_mov_b32 s0, 0x5040100
	v_perm_b32 v5, v10, v12, s0
	s_movk_i32 s0, 0xff
	v_and_b32_e32 v4, 0xffffff00, v10
	v_and_b32_sdwa v10, v5, s0 dst_sel:DWORD dst_unused:UNUSED_PAD src0_sel:WORD_1 src1_sel:DWORD
	s_mov_b32 s12, 0xffff
	v_or_b32_sdwa v4, v10, v4 dst_sel:WORD_1 dst_unused:UNUSED_PAD src0_sel:DWORD src1_sel:DWORD
	s_add_i32 s1, s23, 3
	v_and_or_b32 v4, v5, s12, v4
	;;#ASMSTART
	v_pk_mul_f32 v[6:7], v[6:7], v[2:3]
	;;#ASMEND
	v_mov_b32_e32 v5, v7
	s_ashr_i32 s7, s1, 31
	;;#ASMSTART
	v_med3_f32 v6, v6, v8, v9
v_med3_f32 v5, v5, v8, v9
v_cvt_pk_fp8_f32 v7, v6, v5
	;;#ASMEND
	;;#ASMSTART
	v_pk_mul_f32 v[2:3], v[32:33], v[2:3]
	;;#ASMEND
	s_lshr_b32 s7, s7, 30
	;;#ASMSTART
	v_med3_f32 v2, v2, v8, v9
v_med3_f32 v3, v3, v8, v9
v_cvt_pk_fp8_f32 v5, v2, v3
	;;#ASMEND
	s_add_i32 s1, s1, s7
	v_lshlrev_b32_e32 v2, 16, v5
	s_and_b32 s10, s1, -4
	s_mov_b32 s11, 0x20000
	v_and_or_b32 v5, v7, s12, v2
	buffer_store_dwordx2 v[4:5], v1, s[8:11], 0 offen
	;;#ASMSTART
	s_nop 0
	;;#ASMEND
.LBB333_30:
	s_or_b64 exec, exec, s[14:15]
	s_cmp_lt_i32 s24, 1
	s_cbranch_scc1 .LBB333_17
.LBB333_31:
	s_load_dword s0, s[4:5], 0x94
	s_waitcnt lgkmcnt(0)
	s_cmp_lg_u32 s0, 1
	s_cbranch_scc1 .LBB333_17
; %bb.32:
	s_lshl_b32 s0, s24, 1
	s_add_i32 s0, s0, 2
	v_cmp_gt_u32_e32 vcc, s24, v1
	s_and_b32 s30, s0, -4
	v_mov_b32_e32 v10, 0
	v_lshlrev_b32_e32 v1, 4, v0
	v_mov_b32_e32 v6, 0
	v_mov_b32_e32 v7, 0
	;; [unrolled: 1-line block ×8, first 2 shown]
	s_barrier
	s_and_saveexec_b64 s[0:1], vcc
	s_cbranch_execz .LBB333_34
; %bb.33:
	s_mul_hi_i32 s5, s26, s6
	s_mul_i32 s4, s26, s6
	s_and_b32 s29, s29, 0xffff
	s_lshl_b64 s[4:5], s[4:5], 1
	s_add_u32 s8, s34, s4
	s_mov_b32 s31, 0x20000
	s_addc_u32 s4, s35, s5
	s_and_b32 s9, s4, 0xffff
	s_mov_b32 s10, s30
	s_mov_b32 s11, s31
	buffer_load_dwordx4 v[6:9], v1, s[8:11], 0 offen glc slc
	buffer_load_dwordx4 v[2:5], v1, s[28:31], 0 offen
.LBB333_34:
	s_or_b64 exec, exec, s[0:1]
	v_mov_b32_e32 v11, 0
	v_mov_b32_e32 v16, 0
	;; [unrolled: 1-line block ×7, first 2 shown]
	s_and_saveexec_b64 s[0:1], vcc
	s_cbranch_execz .LBB333_36
; %bb.35:
	s_waitcnt vmcnt(1)
	v_cvt_f32_f16_sdwa v11, v6 dst_sel:DWORD dst_unused:UNUSED_PAD src0_sel:WORD_1
	v_cvt_f32_f16_e32 v10, v6
	v_cvt_f32_f16_sdwa v17, v7 dst_sel:DWORD dst_unused:UNUSED_PAD src0_sel:WORD_1
	v_cvt_f32_f16_e32 v16, v7
	;; [unrolled: 2-line block ×4, first 2 shown]
.LBB333_36:
	s_or_b64 exec, exec, s[0:1]
	s_waitcnt vmcnt(1)
	v_mul_f32_e32 v6, v11, v11
	v_fmac_f32_e32 v6, v10, v10
	v_fmac_f32_e32 v6, v16, v16
	;; [unrolled: 1-line block ×7, first 2 shown]
	s_nop 1
	v_mov_b32_dpp v7, v6 quad_perm:[1,0,3,2] row_mask:0xf bank_mask:0xf
	v_add_f32_e32 v6, v6, v7
	s_nop 1
	v_mov_b32_dpp v7, v6 quad_perm:[2,3,0,1] row_mask:0xf bank_mask:0xf
	v_add_f32_e32 v6, v6, v7
	s_nop 1
	v_mov_b32_dpp v7, v6 row_half_mirror row_mask:0xf bank_mask:0xf
	v_add_f32_e32 v6, v6, v7
	s_nop 1
	v_mov_b32_dpp v7, v6 row_mirror row_mask:0xf bank_mask:0xf
	v_add_f32_e32 v6, v6, v7
	s_nop 1
	v_mov_b32_dpp v7, v6 row_bcast:15 row_mask:0xf bank_mask:0xf
	v_add_f32_e32 v6, v6, v7
	s_nop 1
	v_mov_b32_dpp v7, v6 row_bcast:31 row_mask:0xf bank_mask:0xf
	s_and_saveexec_b64 s[0:1], s[2:3]
	s_cbranch_execz .LBB333_38
; %bb.37:
	v_lshrrev_b32_e32 v0, 4, v0
	v_add_f32_e32 v6, v6, v7
	v_and_b32_e32 v0, 60, v0
	ds_write_b32 v0, v6
.LBB333_38:
	s_or_b64 exec, exec, s[0:1]
	s_waitcnt lgkmcnt(0)
	s_barrier
	ds_read_b32 v0, v18
	s_waitcnt lgkmcnt(0)
	s_nop 0
	v_mov_b32_dpp v6, v0 quad_perm:[1,0,3,2] row_mask:0xf bank_mask:0xf
	s_and_saveexec_b64 s[0:1], vcc
	s_cbranch_execz .LBB333_17
; %bb.39:
	v_cvt_f32_u32_e32 v7, s24
	v_add_f32_e32 v0, v0, v6
	s_mov_b32 s31, 0x20000
	v_div_scale_f32 v6, s[0:1], v7, v7, v0
	v_rcp_f32_e32 v8, v6
	v_div_scale_f32 v9, vcc, v0, v7, v0
	s_mov_b32 s0, 0x800000
	v_fma_f32 v18, -v6, v8, 1.0
	v_fmac_f32_e32 v8, v18, v8
	v_mul_f32_e32 v18, v9, v8
	v_fma_f32 v19, -v6, v18, v9
	v_fmac_f32_e32 v18, v19, v8
	v_fma_f32 v6, -v6, v18, v9
	v_div_fmas_f32 v6, v6, v8, v18
	v_div_fixup_f32 v0, v6, v7, v0
	v_add_f32_e32 v0, s21, v0
	v_mul_f32_e32 v6, 0x4b800000, v0
	v_cmp_gt_f32_e32 vcc, s0, v0
	v_cndmask_b32_e32 v0, v0, v6, vcc
	v_rsq_f32_e32 v0, v0
	s_waitcnt vmcnt(0)
	v_cvt_f32_f16_sdwa v19, v5 dst_sel:DWORD dst_unused:UNUSED_PAD src0_sel:WORD_1
	v_cvt_f32_f16_e32 v18, v5
	s_mul_hi_i32 s1, s16, s6
	v_mul_f32_e32 v6, 0x45800000, v0
	v_cndmask_b32_e32 v6, v0, v6, vcc
	v_mov_b32_e32 v7, v6
	;;#ASMSTART
	v_pk_mul_f32 v[8:9], v[10:11], v[6:7]
	;;#ASMEND
	;;#ASMSTART
	v_pk_mul_f32 v[10:11], v[16:17], v[6:7]
	;;#ASMEND
	;; [unrolled: 3-line block ×4, first 2 shown]
	v_cvt_f32_f16_sdwa v13, v2 dst_sel:DWORD dst_unused:UNUSED_PAD src0_sel:WORD_1
	v_cvt_f32_f16_e32 v12, v2
	v_cvt_f32_f16_sdwa v17, v3 dst_sel:DWORD dst_unused:UNUSED_PAD src0_sel:WORD_1
	v_cvt_f32_f16_e32 v16, v3
	;; [unrolled: 2-line block ×3, first 2 shown]
	;;#ASMSTART
	v_pk_mul_f32 v[4:5], v[8:9], v[12:13]
	;;#ASMEND
	;;#ASMSTART
	v_pk_mul_f32 v[8:9], v[10:11], v[16:17]
	;;#ASMEND
	;; [unrolled: 3-line block ×4, first 2 shown]
	s_mul_i32 s0, s16, s6
	v_cvt_f16_f32_e32 v0, v4
	v_cvt_f16_f32_e32 v4, v5
	v_cvt_f16_f32_e32 v5, v8
	v_cvt_f16_f32_e32 v8, v9
	v_cvt_f16_f32_e32 v9, v2
	v_cvt_f16_f32_e32 v10, v3
	v_cvt_f16_f32_e32 v6, v6
	v_cvt_f16_f32_e32 v7, v7
	s_lshl_b64 s[0:1], s[0:1], 1
	s_add_u32 s28, s18, s0
	s_addc_u32 s0, s19, s1
	s_and_b32 s29, s0, 0xffff
	v_pack_b32_f16 v2, v0, v4
	v_pack_b32_f16 v3, v5, v8
	;; [unrolled: 1-line block ×4, first 2 shown]
	buffer_store_dwordx4 v[2:5], v1, s[28:31], 0 offen
	;;#ASMSTART
	s_nop 0
	;;#ASMEND
	s_endpgm
	.section	.rodata,"a",@progbits
	.p2align	6, 0x0
	.amdhsa_kernel _ZN5aiter35fused_qk_rmsnorm_group_quant_kernelIDF16_DB8_Li128ELi8ELi16ELb1ELb1ELb0ELb0ELb0ELb0EEEvPT0_PvPT_S6_S6_PKS5_S8_S8_S8_S8_ffiiiiiiiiiiiii
		.amdhsa_group_segment_fixed_size 16
		.amdhsa_private_segment_fixed_size 0
		.amdhsa_kernarg_size 400
		.amdhsa_user_sgpr_count 6
		.amdhsa_user_sgpr_private_segment_buffer 1
		.amdhsa_user_sgpr_dispatch_ptr 0
		.amdhsa_user_sgpr_queue_ptr 0
		.amdhsa_user_sgpr_kernarg_segment_ptr 1
		.amdhsa_user_sgpr_dispatch_id 0
		.amdhsa_user_sgpr_flat_scratch_init 0
		.amdhsa_user_sgpr_kernarg_preload_length 0
		.amdhsa_user_sgpr_kernarg_preload_offset 0
		.amdhsa_user_sgpr_private_segment_size 0
		.amdhsa_uses_dynamic_stack 0
		.amdhsa_system_sgpr_private_segment_wavefront_offset 0
		.amdhsa_system_sgpr_workgroup_id_x 1
		.amdhsa_system_sgpr_workgroup_id_y 1
		.amdhsa_system_sgpr_workgroup_id_z 0
		.amdhsa_system_sgpr_workgroup_info 0
		.amdhsa_system_vgpr_workitem_id 0
		.amdhsa_next_free_vgpr 34
		.amdhsa_next_free_sgpr 44
		.amdhsa_accum_offset 36
		.amdhsa_reserve_vcc 1
		.amdhsa_reserve_flat_scratch 0
		.amdhsa_float_round_mode_32 0
		.amdhsa_float_round_mode_16_64 0
		.amdhsa_float_denorm_mode_32 3
		.amdhsa_float_denorm_mode_16_64 3
		.amdhsa_dx10_clamp 1
		.amdhsa_ieee_mode 1
		.amdhsa_fp16_overflow 0
		.amdhsa_tg_split 0
		.amdhsa_exception_fp_ieee_invalid_op 0
		.amdhsa_exception_fp_denorm_src 0
		.amdhsa_exception_fp_ieee_div_zero 0
		.amdhsa_exception_fp_ieee_overflow 0
		.amdhsa_exception_fp_ieee_underflow 0
		.amdhsa_exception_fp_ieee_inexact 0
		.amdhsa_exception_int_div_zero 0
	.end_amdhsa_kernel
	.section	.text._ZN5aiter35fused_qk_rmsnorm_group_quant_kernelIDF16_DB8_Li128ELi8ELi16ELb1ELb1ELb0ELb0ELb0ELb0EEEvPT0_PvPT_S6_S6_PKS5_S8_S8_S8_S8_ffiiiiiiiiiiiii,"axG",@progbits,_ZN5aiter35fused_qk_rmsnorm_group_quant_kernelIDF16_DB8_Li128ELi8ELi16ELb1ELb1ELb0ELb0ELb0ELb0EEEvPT0_PvPT_S6_S6_PKS5_S8_S8_S8_S8_ffiiiiiiiiiiiii,comdat
.Lfunc_end333:
	.size	_ZN5aiter35fused_qk_rmsnorm_group_quant_kernelIDF16_DB8_Li128ELi8ELi16ELb1ELb1ELb0ELb0ELb0ELb0EEEvPT0_PvPT_S6_S6_PKS5_S8_S8_S8_S8_ffiiiiiiiiiiiii, .Lfunc_end333-_ZN5aiter35fused_qk_rmsnorm_group_quant_kernelIDF16_DB8_Li128ELi8ELi16ELb1ELb1ELb0ELb0ELb0ELb0EEEvPT0_PvPT_S6_S6_PKS5_S8_S8_S8_S8_ffiiiiiiiiiiiii
                                        ; -- End function
	.section	.AMDGPU.csdata,"",@progbits
; Kernel info:
; codeLenInByte = 2972
; NumSgprs: 48
; NumVgprs: 34
; NumAgprs: 0
; TotalNumVgprs: 34
; ScratchSize: 0
; MemoryBound: 0
; FloatMode: 240
; IeeeMode: 1
; LDSByteSize: 16 bytes/workgroup (compile time only)
; SGPRBlocks: 5
; VGPRBlocks: 4
; NumSGPRsForWavesPerEU: 48
; NumVGPRsForWavesPerEU: 34
; AccumOffset: 36
; Occupancy: 8
; WaveLimiterHint : 0
; COMPUTE_PGM_RSRC2:SCRATCH_EN: 0
; COMPUTE_PGM_RSRC2:USER_SGPR: 6
; COMPUTE_PGM_RSRC2:TRAP_HANDLER: 0
; COMPUTE_PGM_RSRC2:TGID_X_EN: 1
; COMPUTE_PGM_RSRC2:TGID_Y_EN: 1
; COMPUTE_PGM_RSRC2:TGID_Z_EN: 0
; COMPUTE_PGM_RSRC2:TIDIG_COMP_CNT: 0
; COMPUTE_PGM_RSRC3_GFX90A:ACCUM_OFFSET: 8
; COMPUTE_PGM_RSRC3_GFX90A:TG_SPLIT: 0
	.section	.text._ZN5aiter35fused_qk_rmsnorm_group_quant_kernelItDB8_Li128ELi8ELi16ELb1ELb1ELb0ELb0ELb0ELb0EEEvPT0_PvPT_S6_S6_PKS5_S8_S8_S8_S8_ffiiiiiiiiiiiii,"axG",@progbits,_ZN5aiter35fused_qk_rmsnorm_group_quant_kernelItDB8_Li128ELi8ELi16ELb1ELb1ELb0ELb0ELb0ELb0EEEvPT0_PvPT_S6_S6_PKS5_S8_S8_S8_S8_ffiiiiiiiiiiiii,comdat
	.protected	_ZN5aiter35fused_qk_rmsnorm_group_quant_kernelItDB8_Li128ELi8ELi16ELb1ELb1ELb0ELb0ELb0ELb0EEEvPT0_PvPT_S6_S6_PKS5_S8_S8_S8_S8_ffiiiiiiiiiiiii ; -- Begin function _ZN5aiter35fused_qk_rmsnorm_group_quant_kernelItDB8_Li128ELi8ELi16ELb1ELb1ELb0ELb0ELb0ELb0EEEvPT0_PvPT_S6_S6_PKS5_S8_S8_S8_S8_ffiiiiiiiiiiiii
	.globl	_ZN5aiter35fused_qk_rmsnorm_group_quant_kernelItDB8_Li128ELi8ELi16ELb1ELb1ELb0ELb0ELb0ELb0EEEvPT0_PvPT_S6_S6_PKS5_S8_S8_S8_S8_ffiiiiiiiiiiiii
	.p2align	8
	.type	_ZN5aiter35fused_qk_rmsnorm_group_quant_kernelItDB8_Li128ELi8ELi16ELb1ELb1ELb0ELb0ELb0ELb0EEEvPT0_PvPT_S6_S6_PKS5_S8_S8_S8_S8_ffiiiiiiiiiiiii,@function
_ZN5aiter35fused_qk_rmsnorm_group_quant_kernelItDB8_Li128ELi8ELi16ELb1ELb1ELb0ELb0ELb0ELb0EEEvPT0_PvPT_S6_S6_PKS5_S8_S8_S8_S8_ffiiiiiiiiiiiii: ; @_ZN5aiter35fused_qk_rmsnorm_group_quant_kernelItDB8_Li128ELi8ELi16ELb1ELb1ELb0ELb0ELb0ELb0EEEvPT0_PvPT_S6_S6_PKS5_S8_S8_S8_S8_ffiiiiiiiiiiiii
; %bb.0:
	s_load_dwordx8 s[20:27], s[4:5], 0x50
	s_waitcnt lgkmcnt(0)
	s_cmp_ge_i32 s6, s22
	s_cbranch_scc1 .LBB334_17
; %bb.1:
	s_cmp_lg_u32 s7, 0
	s_cselect_b64 s[10:11], -1, 0
	s_cmp_eq_u32 s7, 0
	s_cselect_b64 s[8:9], -1, 0
	s_and_b64 s[0:1], s[8:9], exec
	s_load_dwordx2 s[28:29], s[4:5], 0x48
	s_load_dwordx2 s[34:35], s[4:5], 0x30
	s_load_dwordx8 s[12:19], s[4:5], 0x70
	s_cselect_b32 s7, s23, s24
	s_add_i32 s0, s7, 1
	s_lshr_b32 s1, s0, 31
	s_add_i32 s0, s0, s1
	s_lshl_b32 s0, s0, 1
	v_lshlrev_b32_e32 v1, 3, v0
	s_and_b32 s38, s0, -4
	v_cmp_gt_i32_e64 s[0:1], s7, v1
	v_mov_b32_e32 v10, 0
	v_mov_b32_e32 v11, 0
	v_mov_b32_e32 v12, 0
	v_mov_b32_e32 v13, 0
	v_mov_b32_e32 v14, 0
	v_mov_b32_e32 v15, 0
	v_mov_b32_e32 v16, 0
	v_mov_b32_e32 v17, 0
	s_and_saveexec_b64 s[2:3], s[0:1]
	s_cbranch_execz .LBB334_3
; %bb.2:
	s_waitcnt lgkmcnt(0)
	s_load_dwordx2 s[18:19], s[4:5], 0x28
	s_load_dwordx2 s[30:31], s[4:5], 0x40
	s_and_b64 s[36:37], s[8:9], exec
	s_cselect_b32 s22, s25, s26
	s_mov_b32 s39, 0x20000
	s_waitcnt lgkmcnt(0)
	s_cselect_b32 s25, s19, s35
	s_cselect_b32 s33, s18, s34
	s_mul_hi_i32 s19, s22, s6
	s_mul_i32 s18, s22, s6
	s_lshl_b64 s[18:19], s[18:19], 1
	s_add_u32 s40, s33, s18
	s_addc_u32 s22, s25, s19
	s_and_b64 s[18:19], s[8:9], exec
	s_cselect_b32 s36, s30, s28
	s_cselect_b32 s18, s31, s29
	v_lshlrev_b32_e32 v2, 4, v0
	s_and_b32 s41, s22, 0xffff
	s_mov_b32 s42, s38
	s_mov_b32 s43, s39
	s_and_b32 s37, s18, 0xffff
	buffer_load_dwordx4 v[14:17], v2, s[40:43], 0 offen glc slc
	buffer_load_dwordx4 v[10:13], v2, s[36:39], 0 offen
.LBB334_3:
	s_or_b64 exec, exec, s[2:3]
	s_and_b64 vcc, exec, s[10:11]
	s_cbranch_vccz .LBB334_7
; %bb.4:
	s_mov_b32 s40, 0
	s_mov_b32 s41, s40
	;; [unrolled: 1-line block ×8, first 2 shown]
	v_pk_mov_b32 v[2:3], s[40:41], s[40:41] op_sel:[0,1]
	v_pk_mov_b32 v[4:5], s[42:43], s[42:43] op_sel:[0,1]
	;; [unrolled: 1-line block ×4, first 2 shown]
	s_and_saveexec_b64 s[2:3], s[0:1]
	s_cbranch_execz .LBB334_6
; %bb.5:
	s_waitcnt vmcnt(1)
	v_cvt_f32_u32_sdwa v3, v14 dst_sel:DWORD dst_unused:UNUSED_PAD src0_sel:WORD_1
	v_cvt_f32_u32_sdwa v2, v14 dst_sel:DWORD dst_unused:UNUSED_PAD src0_sel:WORD_0
	v_cvt_f32_u32_sdwa v5, v15 dst_sel:DWORD dst_unused:UNUSED_PAD src0_sel:WORD_1
	v_cvt_f32_u32_sdwa v4, v15 dst_sel:DWORD dst_unused:UNUSED_PAD src0_sel:WORD_0
	;; [unrolled: 2-line block ×4, first 2 shown]
.LBB334_6:
	s_or_b64 exec, exec, s[2:3]
	s_cbranch_execz .LBB334_8
	s_branch .LBB334_11
.LBB334_7:
                                        ; implicit-def: $vgpr2_vgpr3_vgpr4_vgpr5_vgpr6_vgpr7_vgpr8_vgpr9
.LBB334_8:
	s_mov_b32 s40, 0
	s_mov_b32 s41, s40
	s_mov_b32 s42, s40
	s_mov_b32 s43, s40
	s_mov_b32 s44, s40
	s_mov_b32 s45, s40
	s_mov_b32 s46, s40
	s_mov_b32 s47, s40
	v_pk_mov_b32 v[2:3], s[40:41], s[40:41] op_sel:[0,1]
	v_pk_mov_b32 v[4:5], s[42:43], s[42:43] op_sel:[0,1]
	;; [unrolled: 1-line block ×4, first 2 shown]
	s_and_saveexec_b64 s[2:3], s[0:1]
	s_cbranch_execz .LBB334_10
; %bb.9:
	s_waitcnt lgkmcnt(0)
	s_load_dwordx2 s[18:19], s[4:5], 0x38
	s_mul_hi_i32 s31, s27, s6
	s_mul_i32 s30, s27, s6
	s_lshl_b64 s[30:31], s[30:31], 1
	s_mov_b32 s39, 0x20000
	s_waitcnt lgkmcnt(0)
	s_add_u32 s36, s18, s30
	s_addc_u32 s18, s19, s31
	s_and_b32 s37, s18, 0xffff
	v_lshlrev_b32_e32 v26, 4, v0
	buffer_load_dwordx4 v[2:5], v26, s[36:39], 0 offen glc slc
	s_load_dwordx2 s[18:19], s[4:5], 0x20
	s_waitcnt vmcnt(2)
	v_cvt_f32_u32_sdwa v7, v14 dst_sel:DWORD dst_unused:UNUSED_PAD src0_sel:WORD_1
	v_cvt_f32_u32_sdwa v6, v14 dst_sel:DWORD dst_unused:UNUSED_PAD src0_sel:WORD_0
	v_cvt_f32_u32_sdwa v9, v15 dst_sel:DWORD dst_unused:UNUSED_PAD src0_sel:WORD_1
	v_cvt_f32_u32_sdwa v8, v15 dst_sel:DWORD dst_unused:UNUSED_PAD src0_sel:WORD_0
	;; [unrolled: 2-line block ×4, first 2 shown]
	s_mul_hi_i32 s31, s17, s6
	s_mul_i32 s30, s17, s6
	s_lshl_b64 s[30:31], s[30:31], 1
	s_waitcnt lgkmcnt(0)
	s_add_u32 s36, s18, s30
	s_mov_b32 s17, 0x7060302
	s_addc_u32 s18, s19, s31
	s_and_b32 s37, s18, 0xffff
	s_waitcnt vmcnt(0)
	v_cvt_f32_u32_sdwa v17, v2 dst_sel:DWORD dst_unused:UNUSED_PAD src0_sel:WORD_1
	v_cvt_f32_u32_sdwa v16, v2 dst_sel:DWORD dst_unused:UNUSED_PAD src0_sel:WORD_0
	v_cvt_f32_u32_sdwa v21, v3 dst_sel:DWORD dst_unused:UNUSED_PAD src0_sel:WORD_1
	v_cvt_f32_u32_sdwa v20, v3 dst_sel:DWORD dst_unused:UNUSED_PAD src0_sel:WORD_0
	;; [unrolled: 2-line block ×4, first 2 shown]
	v_pk_add_f32 v[2:3], v[6:7], v[16:17]
	v_pk_add_f32 v[4:5], v[8:9], v[20:21]
	;; [unrolled: 1-line block ×4, first 2 shown]
	v_perm_b32 v17, v9, v8, s17
	v_perm_b32 v16, v7, v6, s17
	;; [unrolled: 1-line block ×4, first 2 shown]
	buffer_store_dwordx4 v[14:17], v26, s[36:39], 0 offen glc slc
	;;#ASMSTART
	s_nop 0
	;;#ASMEND
.LBB334_10:
	s_or_b64 exec, exec, s[2:3]
.LBB334_11:
	s_waitcnt vmcnt(1)
	v_mul_f32_e32 v14, v3, v3
	v_fmac_f32_e32 v14, v2, v2
	v_fmac_f32_e32 v14, v4, v4
	;; [unrolled: 1-line block ×7, first 2 shown]
	v_and_b32_e32 v16, 63, v0
	v_cmp_eq_u32_e64 s[2:3], 63, v16
	v_mov_b32_dpp v15, v14 quad_perm:[1,0,3,2] row_mask:0xf bank_mask:0xf
	v_add_f32_e32 v14, v14, v15
	s_nop 1
	v_mov_b32_dpp v15, v14 quad_perm:[2,3,0,1] row_mask:0xf bank_mask:0xf
	v_add_f32_e32 v14, v14, v15
	s_nop 1
	v_mov_b32_dpp v15, v14 row_half_mirror row_mask:0xf bank_mask:0xf
	v_add_f32_e32 v14, v14, v15
	s_nop 1
	v_mov_b32_dpp v15, v14 row_mirror row_mask:0xf bank_mask:0xf
	v_add_f32_e32 v14, v14, v15
	s_nop 1
	v_mov_b32_dpp v15, v14 row_bcast:15 row_mask:0xf bank_mask:0xf
	v_add_f32_e32 v14, v14, v15
	s_nop 1
	v_mov_b32_dpp v15, v14 row_bcast:31 row_mask:0xf bank_mask:0xf
	s_waitcnt lgkmcnt(0)
	s_and_saveexec_b64 s[18:19], s[2:3]
	s_cbranch_execz .LBB334_13
; %bb.12:
	v_add_f32_e32 v14, v14, v15
	v_lshrrev_b32_e32 v15, 4, v0
	v_and_b32_e32 v15, 60, v15
	ds_write_b32 v15, v14 offset:8
.LBB334_13:
	s_or_b64 exec, exec, s[18:19]
	v_and_b32_e32 v14, 1, v0
	v_lshlrev_b32_e32 v14, 2, v14
	s_waitcnt lgkmcnt(0)
	s_barrier
	ds_read_b32 v15, v14 offset:8
	s_load_dwordx2 s[18:19], s[4:5], 0x18
	s_waitcnt lgkmcnt(0)
	v_mov_b32_dpp v16, v15 quad_perm:[1,0,3,2] row_mask:0xf bank_mask:0xf
	s_and_saveexec_b64 s[30:31], s[0:1]
	s_cbranch_execnz .LBB334_18
; %bb.14:
	s_or_b64 exec, exec, s[30:31]
	s_mov_b64 s[8:9], -1
	s_and_b64 vcc, exec, s[10:11]
	s_cbranch_vccnz .LBB334_19
.LBB334_15:
	s_andn2_b64 vcc, exec, s[8:9]
	s_cbranch_vccz .LBB334_22
.LBB334_16:
	s_cmp_lt_i32 s24, 1
	s_cbranch_scc0 .LBB334_31
.LBB334_17:
	s_endpgm
.LBB334_18:
	v_cvt_f32_u32_e32 v17, s7
	v_add_f32_e32 v15, v15, v16
	v_mov_b32_e32 v19, s21
	v_mov_b32_e32 v20, s20
	v_div_scale_f32 v16, s[36:37], v17, v17, v15
	v_rcp_f32_e32 v18, v16
	v_cndmask_b32_e64 v19, v19, v20, s[8:9]
	s_mov_b32 s7, 0x800000
	v_fma_f32 v20, -v16, v18, 1.0
	v_fmac_f32_e32 v18, v20, v18
	v_div_scale_f32 v20, vcc, v15, v17, v15
	v_mul_f32_e32 v21, v20, v18
	v_fma_f32 v22, -v16, v21, v20
	v_fmac_f32_e32 v21, v22, v18
	v_fma_f32 v16, -v16, v21, v20
	v_div_fmas_f32 v16, v16, v18, v21
	v_div_fixup_f32 v15, v16, v17, v15
	v_add_f32_e32 v15, v19, v15
	v_mul_f32_e32 v16, 0x4b800000, v15
	v_cmp_gt_f32_e32 vcc, s7, v15
	v_cndmask_b32_e32 v15, v15, v16, vcc
	v_rsq_f32_e32 v15, v15
	s_waitcnt vmcnt(0)
	v_cvt_f32_u32_sdwa v19, v11 dst_sel:DWORD dst_unused:UNUSED_PAD src0_sel:WORD_1
	v_cvt_f32_u32_sdwa v18, v11 dst_sel:DWORD dst_unused:UNUSED_PAD src0_sel:WORD_0
	v_cvt_f32_u32_sdwa v11, v12 dst_sel:DWORD dst_unused:UNUSED_PAD src0_sel:WORD_1
	v_mul_f32_e32 v16, 0x45800000, v15
	v_cndmask_b32_e32 v16, v15, v16, vcc
	v_mov_b32_e32 v17, v16
	;;#ASMSTART
	v_pk_mul_f32 v[2:3], v[2:3], v[16:17]
	;;#ASMEND
	;;#ASMSTART
	v_pk_mul_f32 v[4:5], v[4:5], v[16:17]
	;;#ASMEND
	;; [unrolled: 3-line block ×4, first 2 shown]
	v_cvt_f32_u32_sdwa v17, v10 dst_sel:DWORD dst_unused:UNUSED_PAD src0_sel:WORD_1
	v_cvt_f32_u32_sdwa v16, v10 dst_sel:DWORD dst_unused:UNUSED_PAD src0_sel:WORD_0
	v_cvt_f32_u32_sdwa v10, v12 dst_sel:DWORD dst_unused:UNUSED_PAD src0_sel:WORD_0
	v_cvt_f32_u32_sdwa v21, v13 dst_sel:DWORD dst_unused:UNUSED_PAD src0_sel:WORD_1
	v_cvt_f32_u32_sdwa v20, v13 dst_sel:DWORD dst_unused:UNUSED_PAD src0_sel:WORD_0
	;;#ASMSTART
	v_pk_mul_f32 v[2:3], v[2:3], v[16:17]
	;;#ASMEND
	;;#ASMSTART
	v_pk_mul_f32 v[4:5], v[4:5], v[18:19]
	;;#ASMEND
	;; [unrolled: 3-line block ×4, first 2 shown]
	s_or_b64 exec, exec, s[30:31]
	s_mov_b64 s[8:9], -1
	s_and_b64 vcc, exec, s[10:11]
	s_cbranch_vccz .LBB334_15
.LBB334_19:
	s_and_saveexec_b64 s[8:9], s[0:1]
	s_cbranch_execz .LBB334_21
; %bb.20:
	s_mul_hi_i32 s11, s16, s6
	s_mul_i32 s10, s16, s6
	s_lshl_b64 s[10:11], s[10:11], 1
	s_add_u32 s36, s18, s10
	s_addc_u32 s7, s19, s11
	s_and_b32 s37, s7, 0xffff
	s_mov_b32 s7, 0x7060302
	s_mov_b32 s39, 0x20000
	s_waitcnt vmcnt(0)
	v_perm_b32 v10, v3, v2, s7
	v_perm_b32 v11, v5, v4, s7
	;; [unrolled: 1-line block ×4, first 2 shown]
	v_lshlrev_b32_e32 v15, 4, v0
	buffer_store_dwordx4 v[10:13], v15, s[36:39], 0 offen
	;;#ASMSTART
	s_nop 0
	;;#ASMEND
.LBB334_21:
	s_or_b64 exec, exec, s[8:9]
	s_cbranch_execnz .LBB334_16
.LBB334_22:
	s_waitcnt vmcnt(0)
	v_mov_b32_e32 v10, 0
	s_and_saveexec_b64 s[8:9], s[0:1]
	s_cbranch_execz .LBB334_24
; %bb.23:
	s_load_dwordx2 s[10:11], s[4:5], 0x10
	s_mul_hi_i32 s31, s15, s6
	s_mul_i32 s30, s15, s6
	s_lshl_b64 s[30:31], s[30:31], 1
	s_mov_b32 s39, 0x20000
	s_waitcnt lgkmcnt(0)
	s_add_u32 s36, s10, s30
	s_addc_u32 s7, s11, s31
	s_and_b32 s37, s7, 0xffff
	s_mov_b32 s7, 0x7060302
	v_perm_b32 v10, v3, v2, s7
	v_perm_b32 v11, v5, v4, s7
	;; [unrolled: 1-line block ×4, first 2 shown]
	v_lshlrev_b32_e32 v15, 4, v0
	buffer_store_dwordx4 v[10:13], v15, s[36:39], 0 offen
	;;#ASMSTART
	s_nop 0
	;;#ASMEND
	s_nop 0
	v_mov_b32_e32 v10, 0x2edbe6ff
.LBB334_24:
	s_or_b64 exec, exec, s[8:9]
	s_and_saveexec_b64 s[8:9], s[0:1]
	s_cbranch_execz .LBB334_26
; %bb.25:
	v_and_b32_e32 v11, 0x7fffffff, v2
	v_and_b32_e32 v12, 0x7fffffff, v3
	;;#ASMSTART
	v_max3_f32 v10, v10, v11, v12

	;;#ASMEND
	v_and_b32_e32 v11, 0x7fffffff, v4
	v_and_b32_e32 v12, 0x7fffffff, v5
	;;#ASMSTART
	v_max3_f32 v10, v10, v11, v12

	;;#ASMEND
	;; [unrolled: 6-line block ×4, first 2 shown]
.LBB334_26:
	s_or_b64 exec, exec, s[8:9]
	;;#ASMSTART
	v_max_f32 v11, v10, v10 quad_perm:[1,0,3,2] row_mask:0xf bank_mask:0xf bound_ctrl:1
	;;#ASMEND
	;;#ASMSTART
	v_max_f32 v10, v11, v11 quad_perm:[2,3,0,1] row_mask:0xf bank_mask:0xf bound_ctrl:1
	;;#ASMEND
	;;#ASMSTART
	v_max_f32 v11, v10, v10 row_half_mirror row_mask:0xf bank_mask:0xf bound_ctrl:1
	;;#ASMEND
	;;#ASMSTART
	v_max_f32 v10, v11, v11 row_mirror row_mask:0xf bank_mask:0xf bound_ctrl:1
	;;#ASMEND
	v_and_b32_e32 v11, 15, v0
	v_cmp_eq_u32_e32 vcc, 0, v11
	v_cmp_gt_i32_e64 s[8:9], s23, v1
	v_mul_f32_e32 v10, 0x3b124925, v10
	s_and_b64 s[10:11], vcc, s[8:9]
	s_and_saveexec_b64 s[8:9], s[10:11]
	s_cbranch_execz .LBB334_28
; %bb.27:
	s_load_dwordx2 s[10:11], s[4:5], 0x8
	v_lshrrev_b32_e32 v11, 4, v0
	s_mul_hi_i32 s31, s13, s6
	s_mul_i32 s30, s13, s6
	v_mad_i64_i32 v[12:13], s[14:15], s14, v11, 0
	s_lshl_b64 s[14:15], s[30:31], 2
	s_waitcnt lgkmcnt(0)
	s_add_u32 s7, s10, s14
	s_addc_u32 s10, s11, s15
	v_lshlrev_b64 v[12:13], 2, v[12:13]
	v_mov_b32_e32 v11, s10
	v_add_co_u32_e32 v12, vcc, s7, v12
	v_addc_co_u32_e32 v13, vcc, v11, v13, vcc
	global_store_dword v[12:13], v10, off
.LBB334_28:
	s_or_b64 exec, exec, s[8:9]
	;;#ASMSTART
	v_rcp_f32 v10, v10
	;;#ASMEND
	s_and_saveexec_b64 s[14:15], s[0:1]
	s_cbranch_execz .LBB334_30
; %bb.29:
	s_load_dwordx2 s[0:1], s[4:5], 0x0
	s_mul_i32 s8, s12, s6
	v_mov_b32_e32 v11, v10
	;;#ASMSTART
	v_pk_mul_f32 v[2:3], v[2:3], v[10:11]
	;;#ASMEND
	s_mul_hi_i32 s7, s12, s6
	s_waitcnt lgkmcnt(0)
	s_add_u32 s8, s0, s8
	v_mov_b32_e32 v12, 0xc3e00000
	v_mov_b32_e32 v13, 0x43e00000
	;;#ASMSTART
	v_med3_f32 v2, v2, v12, v13
v_med3_f32 v3, v3, v12, v13
v_cvt_pk_fp8_f32 v15, v2, v3
	;;#ASMEND
	s_addc_u32 s0, s1, s7
	;;#ASMSTART
	v_pk_mul_f32 v[2:3], v[4:5], v[10:11]
	;;#ASMEND
	s_and_b32 s9, s0, 0xffff
	;;#ASMSTART
	v_med3_f32 v2, v2, v12, v13
v_med3_f32 v3, v3, v12, v13
v_cvt_pk_fp8_f32 v4, v2, v3
	;;#ASMEND
	s_mov_b32 s0, 0x5040100
	v_perm_b32 v3, v4, v15, s0
	s_movk_i32 s0, 0xff
	v_and_b32_e32 v2, 0xffffff00, v4
	v_and_b32_sdwa v4, v3, s0 dst_sel:DWORD dst_unused:UNUSED_PAD src0_sel:WORD_1 src1_sel:DWORD
	s_mov_b32 s12, 0xffff
	v_or_b32_sdwa v2, v4, v2 dst_sel:WORD_1 dst_unused:UNUSED_PAD src0_sel:DWORD src1_sel:DWORD
	v_and_or_b32 v2, v3, s12, v2
	;;#ASMSTART
	v_pk_mul_f32 v[4:5], v[6:7], v[10:11]
	;;#ASMEND
	v_mov_b32_e32 v3, v4
	s_add_i32 s1, s23, 3
	;;#ASMSTART
	v_med3_f32 v3, v3, v12, v13
v_med3_f32 v5, v5, v12, v13
v_cvt_pk_fp8_f32 v6, v3, v5
	;;#ASMEND
	s_ashr_i32 s7, s1, 31
	;;#ASMSTART
	v_pk_mul_f32 v[4:5], v[8:9], v[10:11]
	;;#ASMEND
	v_mov_b32_e32 v3, v5
	s_lshr_b32 s7, s7, 30
	;;#ASMSTART
	v_med3_f32 v4, v4, v12, v13
v_med3_f32 v3, v3, v12, v13
v_cvt_pk_fp8_f32 v5, v4, v3
	;;#ASMEND
	s_add_i32 s1, s1, s7
	v_lshlrev_b32_e32 v3, 16, v5
	s_and_b32 s10, s1, -4
	s_mov_b32 s11, 0x20000
	v_and_or_b32 v3, v6, s12, v3
	buffer_store_dwordx2 v[2:3], v1, s[8:11], 0 offen
	;;#ASMSTART
	s_nop 0
	;;#ASMEND
.LBB334_30:
	s_or_b64 exec, exec, s[14:15]
	s_cmp_lt_i32 s24, 1
	s_cbranch_scc1 .LBB334_17
.LBB334_31:
	s_load_dword s0, s[4:5], 0x94
	s_waitcnt lgkmcnt(0)
	s_cmp_lg_u32 s0, 1
	s_cbranch_scc1 .LBB334_17
; %bb.32:
	s_lshl_b32 s0, s24, 1
	s_add_i32 s0, s0, 2
	v_cmp_gt_u32_e32 vcc, s24, v1
	s_and_b32 s30, s0, -4
	v_mov_b32_e32 v6, 0
	v_lshlrev_b32_e32 v1, 4, v0
	v_mov_b32_e32 v7, 0
	v_mov_b32_e32 v8, 0
	;; [unrolled: 1-line block ×7, first 2 shown]
	s_barrier
	s_and_saveexec_b64 s[0:1], vcc
	s_cbranch_execz .LBB334_34
; %bb.33:
	s_mul_hi_i32 s5, s26, s6
	s_mul_i32 s4, s26, s6
	s_and_b32 s29, s29, 0xffff
	s_lshl_b64 s[4:5], s[4:5], 1
	s_add_u32 s8, s34, s4
	s_mov_b32 s31, 0x20000
	s_addc_u32 s4, s35, s5
	s_and_b32 s9, s4, 0xffff
	s_mov_b32 s10, s30
	s_mov_b32 s11, s31
	buffer_load_dwordx4 v[6:9], v1, s[8:11], 0 offen glc slc
	buffer_load_dwordx4 v[2:5], v1, s[28:31], 0 offen
.LBB334_34:
	s_or_b64 exec, exec, s[0:1]
	s_waitcnt vmcnt(0)
	v_cvt_f32_u32_sdwa v13, v6 dst_sel:DWORD dst_unused:UNUSED_PAD src0_sel:WORD_1
	v_cvt_f32_u32_sdwa v12, v6 dst_sel:DWORD dst_unused:UNUSED_PAD src0_sel:WORD_0
	v_cvt_f32_u32_sdwa v6, v9 dst_sel:DWORD dst_unused:UNUSED_PAD src0_sel:WORD_1
	v_cvt_f32_u32_sdwa v9, v9 dst_sel:DWORD dst_unused:UNUSED_PAD src0_sel:WORD_0
	;; [unrolled: 2-line block ×4, first 2 shown]
	v_cndmask_b32_e32 v13, 0, v13, vcc
	v_cndmask_b32_e32 v7, 0, v6, vcc
	;; [unrolled: 1-line block ×5, first 2 shown]
	v_mul_f32_e32 v15, v13, v13
	v_cndmask_b32_e32 v10, 0, v10, vcc
	v_fmac_f32_e32 v15, v12, v12
	v_cndmask_b32_e32 v11, 0, v11, vcc
	v_fmac_f32_e32 v15, v10, v10
	;; [unrolled: 2-line block ×3, first 2 shown]
	v_fmac_f32_e32 v15, v8, v8
	v_fmac_f32_e32 v15, v9, v9
	;; [unrolled: 1-line block ×4, first 2 shown]
	s_nop 1
	v_mov_b32_dpp v16, v15 quad_perm:[1,0,3,2] row_mask:0xf bank_mask:0xf
	v_add_f32_e32 v15, v15, v16
	s_nop 1
	v_mov_b32_dpp v16, v15 quad_perm:[2,3,0,1] row_mask:0xf bank_mask:0xf
	v_add_f32_e32 v15, v15, v16
	s_nop 1
	v_mov_b32_dpp v16, v15 row_half_mirror row_mask:0xf bank_mask:0xf
	v_add_f32_e32 v15, v15, v16
	s_nop 1
	v_mov_b32_dpp v16, v15 row_mirror row_mask:0xf bank_mask:0xf
	v_add_f32_e32 v15, v15, v16
	s_nop 1
	v_mov_b32_dpp v16, v15 row_bcast:15 row_mask:0xf bank_mask:0xf
	v_add_f32_e32 v15, v15, v16
	s_nop 1
	v_mov_b32_dpp v16, v15 row_bcast:31 row_mask:0xf bank_mask:0xf
	s_and_saveexec_b64 s[0:1], s[2:3]
	s_cbranch_execz .LBB334_36
; %bb.35:
	v_lshrrev_b32_e32 v0, 4, v0
	v_add_f32_e32 v15, v15, v16
	v_and_b32_e32 v0, 60, v0
	ds_write_b32 v0, v15
.LBB334_36:
	s_or_b64 exec, exec, s[0:1]
	s_waitcnt lgkmcnt(0)
	s_barrier
	ds_read_b32 v0, v14
	s_waitcnt lgkmcnt(0)
	s_nop 0
	v_mov_b32_dpp v14, v0 quad_perm:[1,0,3,2] row_mask:0xf bank_mask:0xf
	s_and_saveexec_b64 s[0:1], vcc
	s_cbranch_execz .LBB334_17
; %bb.37:
	v_cvt_f32_u32_e32 v15, s24
	v_add_f32_e32 v0, v0, v14
	s_mov_b32 s31, 0x20000
	v_div_scale_f32 v14, s[0:1], v15, v15, v0
	v_rcp_f32_e32 v16, v14
	v_div_scale_f32 v17, vcc, v0, v15, v0
	s_mov_b32 s0, 0x800000
	v_fma_f32 v18, -v14, v16, 1.0
	v_fmac_f32_e32 v16, v18, v16
	v_mul_f32_e32 v18, v17, v16
	v_fma_f32 v19, -v14, v18, v17
	v_fmac_f32_e32 v18, v19, v16
	v_fma_f32 v14, -v14, v18, v17
	v_div_fmas_f32 v14, v14, v16, v18
	v_div_fixup_f32 v0, v14, v15, v0
	v_add_f32_e32 v0, s21, v0
	v_mul_f32_e32 v14, 0x4b800000, v0
	v_cmp_gt_f32_e32 vcc, s0, v0
	v_cndmask_b32_e32 v0, v0, v14, vcc
	v_rsq_f32_e32 v0, v0
	s_mul_hi_i32 s1, s16, s6
	s_mul_i32 s0, s16, s6
	s_lshl_b64 s[0:1], s[0:1], 1
	v_mul_f32_e32 v14, 0x45800000, v0
	v_cndmask_b32_e32 v14, v0, v14, vcc
	s_add_u32 s28, s18, s0
	v_mov_b32_e32 v15, v14
	s_addc_u32 s0, s19, s1
	;;#ASMSTART
	v_pk_mul_f32 v[12:13], v[12:13], v[14:15]
	;;#ASMEND
	;;#ASMSTART
	v_pk_mul_f32 v[10:11], v[10:11], v[14:15]
	;;#ASMEND
	;; [unrolled: 3-line block ×4, first 2 shown]
	v_cvt_f32_u32_sdwa v15, v2 dst_sel:DWORD dst_unused:UNUSED_PAD src0_sel:WORD_1
	v_cvt_f32_u32_sdwa v14, v2 dst_sel:DWORD dst_unused:UNUSED_PAD src0_sel:WORD_0
	v_cvt_f32_u32_sdwa v17, v3 dst_sel:DWORD dst_unused:UNUSED_PAD src0_sel:WORD_1
	v_cvt_f32_u32_sdwa v16, v3 dst_sel:DWORD dst_unused:UNUSED_PAD src0_sel:WORD_0
	v_cvt_f32_u32_sdwa v3, v4 dst_sel:DWORD dst_unused:UNUSED_PAD src0_sel:WORD_1
	v_cvt_f32_u32_sdwa v2, v4 dst_sel:DWORD dst_unused:UNUSED_PAD src0_sel:WORD_0
	v_cvt_f32_u32_sdwa v19, v5 dst_sel:DWORD dst_unused:UNUSED_PAD src0_sel:WORD_1
	v_cvt_f32_u32_sdwa v18, v5 dst_sel:DWORD dst_unused:UNUSED_PAD src0_sel:WORD_0
	;;#ASMSTART
	v_pk_mul_f32 v[4:5], v[12:13], v[14:15]
	;;#ASMEND
	s_and_b32 s29, s0, 0xffff
	s_mov_b32 s0, 0x7060302
	;;#ASMSTART
	v_pk_mul_f32 v[10:11], v[10:11], v[16:17]
	;;#ASMEND
	;;#ASMSTART
	v_pk_mul_f32 v[8:9], v[8:9], v[2:3]
	;;#ASMEND
	;; [unrolled: 3-line block ×3, first 2 shown]
	v_perm_b32 v2, v5, v4, s0
	v_perm_b32 v3, v11, v10, s0
	;; [unrolled: 1-line block ×4, first 2 shown]
	buffer_store_dwordx4 v[2:5], v1, s[28:31], 0 offen
	;;#ASMSTART
	s_nop 0
	;;#ASMEND
	s_endpgm
	.section	.rodata,"a",@progbits
	.p2align	6, 0x0
	.amdhsa_kernel _ZN5aiter35fused_qk_rmsnorm_group_quant_kernelItDB8_Li128ELi8ELi16ELb1ELb1ELb0ELb0ELb0ELb0EEEvPT0_PvPT_S6_S6_PKS5_S8_S8_S8_S8_ffiiiiiiiiiiiii
		.amdhsa_group_segment_fixed_size 16
		.amdhsa_private_segment_fixed_size 0
		.amdhsa_kernarg_size 400
		.amdhsa_user_sgpr_count 6
		.amdhsa_user_sgpr_private_segment_buffer 1
		.amdhsa_user_sgpr_dispatch_ptr 0
		.amdhsa_user_sgpr_queue_ptr 0
		.amdhsa_user_sgpr_kernarg_segment_ptr 1
		.amdhsa_user_sgpr_dispatch_id 0
		.amdhsa_user_sgpr_flat_scratch_init 0
		.amdhsa_user_sgpr_kernarg_preload_length 0
		.amdhsa_user_sgpr_kernarg_preload_offset 0
		.amdhsa_user_sgpr_private_segment_size 0
		.amdhsa_uses_dynamic_stack 0
		.amdhsa_system_sgpr_private_segment_wavefront_offset 0
		.amdhsa_system_sgpr_workgroup_id_x 1
		.amdhsa_system_sgpr_workgroup_id_y 1
		.amdhsa_system_sgpr_workgroup_id_z 0
		.amdhsa_system_sgpr_workgroup_info 0
		.amdhsa_system_vgpr_workitem_id 0
		.amdhsa_next_free_vgpr 27
		.amdhsa_next_free_sgpr 48
		.amdhsa_accum_offset 28
		.amdhsa_reserve_vcc 1
		.amdhsa_reserve_flat_scratch 0
		.amdhsa_float_round_mode_32 0
		.amdhsa_float_round_mode_16_64 0
		.amdhsa_float_denorm_mode_32 3
		.amdhsa_float_denorm_mode_16_64 3
		.amdhsa_dx10_clamp 1
		.amdhsa_ieee_mode 1
		.amdhsa_fp16_overflow 0
		.amdhsa_tg_split 0
		.amdhsa_exception_fp_ieee_invalid_op 0
		.amdhsa_exception_fp_denorm_src 0
		.amdhsa_exception_fp_ieee_div_zero 0
		.amdhsa_exception_fp_ieee_overflow 0
		.amdhsa_exception_fp_ieee_underflow 0
		.amdhsa_exception_fp_ieee_inexact 0
		.amdhsa_exception_int_div_zero 0
	.end_amdhsa_kernel
	.section	.text._ZN5aiter35fused_qk_rmsnorm_group_quant_kernelItDB8_Li128ELi8ELi16ELb1ELb1ELb0ELb0ELb0ELb0EEEvPT0_PvPT_S6_S6_PKS5_S8_S8_S8_S8_ffiiiiiiiiiiiii,"axG",@progbits,_ZN5aiter35fused_qk_rmsnorm_group_quant_kernelItDB8_Li128ELi8ELi16ELb1ELb1ELb0ELb0ELb0ELb0EEEvPT0_PvPT_S6_S6_PKS5_S8_S8_S8_S8_ffiiiiiiiiiiiii,comdat
.Lfunc_end334:
	.size	_ZN5aiter35fused_qk_rmsnorm_group_quant_kernelItDB8_Li128ELi8ELi16ELb1ELb1ELb0ELb0ELb0ELb0EEEvPT0_PvPT_S6_S6_PKS5_S8_S8_S8_S8_ffiiiiiiiiiiiii, .Lfunc_end334-_ZN5aiter35fused_qk_rmsnorm_group_quant_kernelItDB8_Li128ELi8ELi16ELb1ELb1ELb0ELb0ELb0ELb0EEEvPT0_PvPT_S6_S6_PKS5_S8_S8_S8_S8_ffiiiiiiiiiiiii
                                        ; -- End function
	.section	.AMDGPU.csdata,"",@progbits
; Kernel info:
; codeLenInByte = 3032
; NumSgprs: 52
; NumVgprs: 27
; NumAgprs: 0
; TotalNumVgprs: 27
; ScratchSize: 0
; MemoryBound: 0
; FloatMode: 240
; IeeeMode: 1
; LDSByteSize: 16 bytes/workgroup (compile time only)
; SGPRBlocks: 6
; VGPRBlocks: 3
; NumSGPRsForWavesPerEU: 52
; NumVGPRsForWavesPerEU: 27
; AccumOffset: 28
; Occupancy: 8
; WaveLimiterHint : 0
; COMPUTE_PGM_RSRC2:SCRATCH_EN: 0
; COMPUTE_PGM_RSRC2:USER_SGPR: 6
; COMPUTE_PGM_RSRC2:TRAP_HANDLER: 0
; COMPUTE_PGM_RSRC2:TGID_X_EN: 1
; COMPUTE_PGM_RSRC2:TGID_Y_EN: 1
; COMPUTE_PGM_RSRC2:TGID_Z_EN: 0
; COMPUTE_PGM_RSRC2:TIDIG_COMP_CNT: 0
; COMPUTE_PGM_RSRC3_GFX90A:ACCUM_OFFSET: 6
; COMPUTE_PGM_RSRC3_GFX90A:TG_SPLIT: 0
	.section	.text._ZN5aiter35fused_qk_rmsnorm_group_quant_kernelIDF16_N4opus5fp4_tELi128ELi8ELi16ELb1ELb1ELb0ELb0ELb0ELb0EEEvPT0_PvPT_S7_S7_PKS6_S9_S9_S9_S9_ffiiiiiiiiiiiii,"axG",@progbits,_ZN5aiter35fused_qk_rmsnorm_group_quant_kernelIDF16_N4opus5fp4_tELi128ELi8ELi16ELb1ELb1ELb0ELb0ELb0ELb0EEEvPT0_PvPT_S7_S7_PKS6_S9_S9_S9_S9_ffiiiiiiiiiiiii,comdat
	.protected	_ZN5aiter35fused_qk_rmsnorm_group_quant_kernelIDF16_N4opus5fp4_tELi128ELi8ELi16ELb1ELb1ELb0ELb0ELb0ELb0EEEvPT0_PvPT_S7_S7_PKS6_S9_S9_S9_S9_ffiiiiiiiiiiiii ; -- Begin function _ZN5aiter35fused_qk_rmsnorm_group_quant_kernelIDF16_N4opus5fp4_tELi128ELi8ELi16ELb1ELb1ELb0ELb0ELb0ELb0EEEvPT0_PvPT_S7_S7_PKS6_S9_S9_S9_S9_ffiiiiiiiiiiiii
	.globl	_ZN5aiter35fused_qk_rmsnorm_group_quant_kernelIDF16_N4opus5fp4_tELi128ELi8ELi16ELb1ELb1ELb0ELb0ELb0ELb0EEEvPT0_PvPT_S7_S7_PKS6_S9_S9_S9_S9_ffiiiiiiiiiiiii
	.p2align	8
	.type	_ZN5aiter35fused_qk_rmsnorm_group_quant_kernelIDF16_N4opus5fp4_tELi128ELi8ELi16ELb1ELb1ELb0ELb0ELb0ELb0EEEvPT0_PvPT_S7_S7_PKS6_S9_S9_S9_S9_ffiiiiiiiiiiiii,@function
_ZN5aiter35fused_qk_rmsnorm_group_quant_kernelIDF16_N4opus5fp4_tELi128ELi8ELi16ELb1ELb1ELb0ELb0ELb0ELb0EEEvPT0_PvPT_S7_S7_PKS6_S9_S9_S9_S9_ffiiiiiiiiiiiii: ; @_ZN5aiter35fused_qk_rmsnorm_group_quant_kernelIDF16_N4opus5fp4_tELi128ELi8ELi16ELb1ELb1ELb0ELb0ELb0ELb0EEEvPT0_PvPT_S7_S7_PKS6_S9_S9_S9_S9_ffiiiiiiiiiiiii
; %bb.0:
	s_load_dwordx8 s[20:27], s[4:5], 0x50
	s_waitcnt lgkmcnt(0)
	s_cmp_ge_i32 s6, s22
	s_cbranch_scc1 .LBB335_17
; %bb.1:
	s_cmp_lg_u32 s7, 0
	s_cselect_b64 s[30:31], -1, 0
	s_cmp_eq_u32 s7, 0
	s_cselect_b64 s[8:9], -1, 0
	s_and_b64 s[0:1], s[8:9], exec
	s_load_dwordx2 s[28:29], s[4:5], 0x48
	s_load_dwordx2 s[10:11], s[4:5], 0x30
	s_load_dwordx8 s[12:19], s[4:5], 0x70
	s_cselect_b32 s7, s23, s24
	s_add_i32 s0, s7, 1
	s_lshr_b32 s1, s0, 31
	s_add_i32 s0, s0, s1
	s_lshl_b32 s0, s0, 1
	v_lshlrev_b32_e32 v1, 3, v0
	s_and_b32 s38, s0, -4
	v_cmp_gt_i32_e64 s[0:1], s7, v1
	v_mov_b32_e32 v2, 0
	v_mov_b32_e32 v3, 0
	;; [unrolled: 1-line block ×8, first 2 shown]
	s_and_saveexec_b64 s[2:3], s[0:1]
	s_cbranch_execz .LBB335_3
; %bb.2:
	s_waitcnt lgkmcnt(0)
	s_load_dwordx2 s[18:19], s[4:5], 0x28
	s_load_dwordx2 s[34:35], s[4:5], 0x40
	s_and_b64 s[36:37], s[8:9], exec
	s_cselect_b32 s22, s25, s26
	s_mov_b32 s39, 0x20000
	s_waitcnt lgkmcnt(0)
	s_cselect_b32 s25, s19, s11
	s_cselect_b32 s33, s18, s10
	s_mul_hi_i32 s19, s22, s6
	s_mul_i32 s18, s22, s6
	s_lshl_b64 s[18:19], s[18:19], 1
	s_add_u32 s40, s33, s18
	s_addc_u32 s22, s25, s19
	s_and_b64 s[18:19], s[8:9], exec
	s_cselect_b32 s36, s34, s28
	s_cselect_b32 s18, s35, s29
	v_lshlrev_b32_e32 v10, 4, v0
	s_and_b32 s41, s22, 0xffff
	s_mov_b32 s42, s38
	s_mov_b32 s43, s39
	s_and_b32 s37, s18, 0xffff
	buffer_load_dwordx4 v[6:9], v10, s[40:43], 0 offen glc slc
	buffer_load_dwordx4 v[2:5], v10, s[36:39], 0 offen
.LBB335_3:
	s_or_b64 exec, exec, s[2:3]
	s_and_b64 vcc, exec, s[30:31]
	s_cbranch_vccz .LBB335_7
; %bb.4:
	v_mov_b32_e32 v11, 0
	v_mov_b32_e32 v10, 0
	;; [unrolled: 1-line block ×8, first 2 shown]
	s_and_saveexec_b64 s[2:3], s[0:1]
	s_cbranch_execz .LBB335_6
; %bb.5:
	s_waitcnt vmcnt(1)
	v_cvt_f32_f16_sdwa v17, v6 dst_sel:DWORD dst_unused:UNUSED_PAD src0_sel:WORD_1
	v_cvt_f32_f16_e32 v16, v6
	v_cvt_f32_f16_sdwa v15, v7 dst_sel:DWORD dst_unused:UNUSED_PAD src0_sel:WORD_1
	v_cvt_f32_f16_e32 v14, v7
	;; [unrolled: 2-line block ×4, first 2 shown]
.LBB335_6:
	s_or_b64 exec, exec, s[2:3]
	s_cbranch_execz .LBB335_8
	s_branch .LBB335_11
.LBB335_7:
                                        ; implicit-def: $vgpr11
                                        ; implicit-def: $vgpr13
                                        ; implicit-def: $vgpr15
                                        ; implicit-def: $vgpr17
.LBB335_8:
	v_mov_b32_e32 v11, 0
	v_mov_b32_e32 v10, 0
	;; [unrolled: 1-line block ×8, first 2 shown]
	s_and_saveexec_b64 s[2:3], s[0:1]
	s_cbranch_execz .LBB335_10
; %bb.9:
	s_waitcnt lgkmcnt(0)
	s_load_dwordx2 s[18:19], s[4:5], 0x38
	s_mul_hi_i32 s35, s27, s6
	s_mul_i32 s34, s27, s6
	s_lshl_b64 s[34:35], s[34:35], 1
	s_mov_b32 s39, 0x20000
	s_waitcnt lgkmcnt(0)
	s_add_u32 s36, s18, s34
	s_addc_u32 s18, s19, s35
	s_and_b32 s37, s18, 0xffff
	v_lshlrev_b32_e32 v26, 4, v0
	buffer_load_dwordx4 v[10:13], v26, s[36:39], 0 offen glc slc
	s_waitcnt vmcnt(2)
	v_cvt_f32_f16_sdwa v15, v6 dst_sel:DWORD dst_unused:UNUSED_PAD src0_sel:WORD_1
	v_cvt_f32_f16_e32 v14, v6
	v_cvt_f32_f16_sdwa v19, v7 dst_sel:DWORD dst_unused:UNUSED_PAD src0_sel:WORD_1
	v_cvt_f32_f16_e32 v18, v7
	;; [unrolled: 2-line block ×4, first 2 shown]
	s_load_dwordx2 s[18:19], s[4:5], 0x20
	s_mul_hi_i32 s35, s17, s6
	s_mul_i32 s34, s17, s6
	s_lshl_b64 s[34:35], s[34:35], 1
	s_waitcnt lgkmcnt(0)
	s_add_u32 s36, s18, s34
	s_addc_u32 s17, s19, s35
	s_and_b32 s37, s17, 0xffff
	s_waitcnt vmcnt(0)
	v_cvt_f32_f16_e32 v8, v10
	v_cvt_f32_f16_sdwa v9, v10 dst_sel:DWORD dst_unused:UNUSED_PAD src0_sel:WORD_1
	v_cvt_f32_f16_e32 v10, v11
	v_cvt_f32_f16_sdwa v11, v11 dst_sel:DWORD dst_unused:UNUSED_PAD src0_sel:WORD_1
	;; [unrolled: 2-line block ×4, first 2 shown]
	v_pk_add_f32 v[16:17], v[14:15], v[8:9]
	v_pk_add_f32 v[14:15], v[18:19], v[10:11]
	;; [unrolled: 1-line block ×4, first 2 shown]
	v_cvt_f16_f32_e32 v6, v17
	v_cvt_f16_f32_e32 v7, v15
	;; [unrolled: 1-line block ×8, first 2 shown]
	v_pack_b32_f16 v9, v18, v9
	v_pack_b32_f16 v8, v19, v8
	;; [unrolled: 1-line block ×4, first 2 shown]
	buffer_store_dwordx4 v[6:9], v26, s[36:39], 0 offen glc slc
	;;#ASMSTART
	s_nop 0
	;;#ASMEND
.LBB335_10:
	s_or_b64 exec, exec, s[2:3]
.LBB335_11:
	s_waitcnt vmcnt(1)
	v_mul_f32_e32 v6, v17, v17
	v_fmac_f32_e32 v6, v16, v16
	v_fmac_f32_e32 v6, v14, v14
	;; [unrolled: 1-line block ×7, first 2 shown]
	v_and_b32_e32 v8, 63, v0
	v_cmp_eq_u32_e64 s[2:3], 63, v8
	v_mov_b32_dpp v7, v6 quad_perm:[1,0,3,2] row_mask:0xf bank_mask:0xf
	v_add_f32_e32 v6, v6, v7
	s_nop 1
	v_mov_b32_dpp v7, v6 quad_perm:[2,3,0,1] row_mask:0xf bank_mask:0xf
	v_add_f32_e32 v6, v6, v7
	s_nop 1
	v_mov_b32_dpp v7, v6 row_half_mirror row_mask:0xf bank_mask:0xf
	v_add_f32_e32 v6, v6, v7
	s_nop 1
	v_mov_b32_dpp v7, v6 row_mirror row_mask:0xf bank_mask:0xf
	v_add_f32_e32 v6, v6, v7
	s_nop 1
	v_mov_b32_dpp v7, v6 row_bcast:15 row_mask:0xf bank_mask:0xf
	v_add_f32_e32 v6, v6, v7
	s_nop 1
	v_mov_b32_dpp v7, v6 row_bcast:31 row_mask:0xf bank_mask:0xf
	s_waitcnt lgkmcnt(0)
	s_and_saveexec_b64 s[18:19], s[2:3]
	s_cbranch_execz .LBB335_13
; %bb.12:
	v_add_f32_e32 v6, v6, v7
	v_lshrrev_b32_e32 v7, 4, v0
	v_and_b32_e32 v7, 60, v7
	ds_write_b32 v7, v6 offset:8
.LBB335_13:
	s_or_b64 exec, exec, s[18:19]
	v_and_b32_e32 v6, 1, v0
	v_lshlrev_b32_e32 v18, 2, v6
	s_waitcnt lgkmcnt(0)
	s_barrier
	ds_read_b32 v6, v18 offset:8
	s_load_dwordx2 s[18:19], s[4:5], 0x18
	s_waitcnt lgkmcnt(0)
	v_mov_b32_dpp v7, v6 quad_perm:[1,0,3,2] row_mask:0xf bank_mask:0xf
	s_and_saveexec_b64 s[34:35], s[0:1]
	s_cbranch_execnz .LBB335_18
; %bb.14:
	s_or_b64 exec, exec, s[34:35]
	s_mov_b64 s[8:9], -1
	s_and_b64 vcc, exec, s[30:31]
	s_cbranch_vccnz .LBB335_19
.LBB335_15:
	s_andn2_b64 vcc, exec, s[8:9]
	s_cbranch_vccz .LBB335_22
.LBB335_16:
	s_cmp_lt_i32 s24, 1
	s_cbranch_scc0 .LBB335_31
.LBB335_17:
	s_endpgm
.LBB335_18:
	v_cvt_f32_u32_e32 v8, s7
	v_add_f32_e32 v6, v6, v7
	v_mov_b32_e32 v19, s21
	v_mov_b32_e32 v20, s20
	v_div_scale_f32 v7, s[36:37], v8, v8, v6
	v_rcp_f32_e32 v9, v7
	v_cndmask_b32_e64 v19, v19, v20, s[8:9]
	s_mov_b32 s7, 0x800000
	s_waitcnt vmcnt(0)
	v_cvt_f32_f16_sdwa v23, v5 dst_sel:DWORD dst_unused:UNUSED_PAD src0_sel:WORD_1
	v_fma_f32 v20, -v7, v9, 1.0
	v_fmac_f32_e32 v9, v20, v9
	v_div_scale_f32 v20, vcc, v6, v8, v6
	v_mul_f32_e32 v21, v20, v9
	v_fma_f32 v22, -v7, v21, v20
	v_fmac_f32_e32 v21, v22, v9
	v_fma_f32 v7, -v7, v21, v20
	v_div_fmas_f32 v7, v7, v9, v21
	v_div_fixup_f32 v6, v7, v8, v6
	v_add_f32_e32 v6, v19, v6
	v_mul_f32_e32 v7, 0x4b800000, v6
	v_cmp_gt_f32_e32 vcc, s7, v6
	v_cndmask_b32_e32 v6, v6, v7, vcc
	v_rsq_f32_e32 v6, v6
	v_cvt_f32_f16_sdwa v21, v3 dst_sel:DWORD dst_unused:UNUSED_PAD src0_sel:WORD_1
	v_cvt_f32_f16_e32 v20, v3
	v_cvt_f32_f16_sdwa v3, v4 dst_sel:DWORD dst_unused:UNUSED_PAD src0_sel:WORD_1
	v_mul_f32_e32 v7, 0x45800000, v6
	v_cndmask_b32_e32 v6, v6, v7, vcc
	v_mov_b32_e32 v7, v6
	;;#ASMSTART
	v_pk_mul_f32 v[8:9], v[16:17], v[6:7]
	;;#ASMEND
	;;#ASMSTART
	v_pk_mul_f32 v[14:15], v[14:15], v[6:7]
	;;#ASMEND
	;; [unrolled: 3-line block ×4, first 2 shown]
	v_cvt_f32_f16_sdwa v11, v2 dst_sel:DWORD dst_unused:UNUSED_PAD src0_sel:WORD_1
	v_cvt_f32_f16_e32 v10, v2
	v_cvt_f32_f16_e32 v2, v4
	;; [unrolled: 1-line block ×3, first 2 shown]
	;;#ASMSTART
	v_pk_mul_f32 v[16:17], v[8:9], v[10:11]
	;;#ASMEND
	;;#ASMSTART
	v_pk_mul_f32 v[14:15], v[14:15], v[20:21]
	;;#ASMEND
	;; [unrolled: 3-line block ×4, first 2 shown]
	s_or_b64 exec, exec, s[34:35]
	s_mov_b64 s[8:9], -1
	s_and_b64 vcc, exec, s[30:31]
	s_cbranch_vccz .LBB335_15
.LBB335_19:
	s_and_saveexec_b64 s[8:9], s[0:1]
	s_cbranch_execz .LBB335_21
; %bb.20:
	s_mul_hi_i32 s31, s16, s6
	s_mul_i32 s30, s16, s6
	s_waitcnt vmcnt(0)
	v_cvt_f16_f32_e32 v2, v16
	v_cvt_f16_f32_e32 v3, v14
	;; [unrolled: 1-line block ×8, first 2 shown]
	s_lshl_b64 s[30:31], s[30:31], 1
	s_add_u32 s36, s18, s30
	s_addc_u32 s7, s19, s31
	s_and_b32 s37, s7, 0xffff
	s_mov_b32 s39, 0x20000
	v_pack_b32_f16 v5, v5, v6
	v_pack_b32_f16 v4, v4, v7
	v_pack_b32_f16 v3, v3, v8
	v_pack_b32_f16 v2, v2, v9
	v_lshlrev_b32_e32 v6, 4, v0
	buffer_store_dwordx4 v[2:5], v6, s[36:39], 0 offen
	;;#ASMSTART
	s_nop 0
	;;#ASMEND
.LBB335_21:
	s_or_b64 exec, exec, s[8:9]
	s_cbranch_execnz .LBB335_16
.LBB335_22:
	s_waitcnt vmcnt(0)
	v_mov_b32_e32 v2, 0
	s_and_saveexec_b64 s[8:9], s[0:1]
	s_cbranch_execz .LBB335_24
; %bb.23:
	s_load_dwordx2 s[30:31], s[4:5], 0x10
	s_mul_hi_i32 s35, s15, s6
	s_mul_i32 s34, s15, s6
	v_cvt_f16_f32_e32 v2, v16
	v_cvt_f16_f32_e32 v3, v14
	;; [unrolled: 1-line block ×8, first 2 shown]
	s_lshl_b64 s[34:35], s[34:35], 1
	s_waitcnt lgkmcnt(0)
	s_add_u32 s36, s30, s34
	s_addc_u32 s7, s31, s35
	s_mov_b32 s39, 0x20000
	s_and_b32 s37, s7, 0xffff
	v_pack_b32_f16 v5, v5, v6
	v_pack_b32_f16 v4, v4, v7
	;; [unrolled: 1-line block ×4, first 2 shown]
	v_lshlrev_b32_e32 v6, 4, v0
	buffer_store_dwordx4 v[2:5], v6, s[36:39], 0 offen
	;;#ASMSTART
	s_nop 0
	;;#ASMEND
	s_nop 0
	v_mov_b32_e32 v2, 0x2edbe6ff
.LBB335_24:
	s_or_b64 exec, exec, s[8:9]
	s_and_saveexec_b64 s[8:9], s[0:1]
	s_cbranch_execz .LBB335_26
; %bb.25:
	v_and_b32_e32 v3, 0x7fffffff, v16
	v_and_b32_e32 v4, 0x7fffffff, v17
	;;#ASMSTART
	v_max3_f32 v2, v2, v3, v4

	;;#ASMEND
	v_and_b32_e32 v3, 0x7fffffff, v14
	v_and_b32_e32 v4, 0x7fffffff, v15
	;;#ASMSTART
	v_max3_f32 v2, v2, v3, v4

	;;#ASMEND
	;; [unrolled: 6-line block ×4, first 2 shown]
.LBB335_26:
	s_or_b64 exec, exec, s[8:9]
	;;#ASMSTART
	v_max_f32 v3, v2, v2 quad_perm:[1,0,3,2] row_mask:0xf bank_mask:0xf bound_ctrl:1
	;;#ASMEND
	;;#ASMSTART
	v_max_f32 v2, v3, v3 quad_perm:[2,3,0,1] row_mask:0xf bank_mask:0xf bound_ctrl:1
	;;#ASMEND
	;;#ASMSTART
	v_max_f32 v3, v2, v2 row_half_mirror row_mask:0xf bank_mask:0xf bound_ctrl:1
	;;#ASMEND
	;;#ASMSTART
	v_max_f32 v2, v3, v3 row_mirror row_mask:0xf bank_mask:0xf bound_ctrl:1
	;;#ASMEND
	v_and_b32_e32 v3, 15, v0
	v_cmp_eq_u32_e32 vcc, 0, v3
	v_cmp_gt_i32_e64 s[8:9], s23, v1
	s_and_b64 s[30:31], vcc, s[8:9]
	s_and_saveexec_b64 s[8:9], s[30:31]
	s_cbranch_execz .LBB335_28
; %bb.27:
	s_load_dwordx2 s[30:31], s[4:5], 0x8
	v_mul_f32_e32 v2, 0x3e2aaaab, v2
	v_lshrrev_b32_e32 v3, 23, v2
	v_and_b32_e32 v4, 0x7f800000, v2
	v_and_b32_e32 v2, 0x7fffff, v2
	v_cmp_ne_u32_e32 vcc, 0, v2
	s_mul_hi_i32 s15, s13, s6
	s_mul_i32 s13, s13, s6
	s_mov_b32 s7, 0x7f800000
	v_addc_co_u32_e32 v2, vcc, 0, v3, vcc
	s_waitcnt lgkmcnt(0)
	s_add_u32 s30, s30, s13
	v_cmp_ne_u32_e32 vcc, s7, v4
	s_addc_u32 s31, s31, s15
	v_lshrrev_b32_e32 v5, 4, v0
	v_cndmask_b32_e32 v4, -1, v2, vcc
	v_pk_mov_b32 v[2:3], s[30:31], s[30:31] op_sel:[0,1]
	v_mad_i64_i32 v[2:3], s[14:15], s14, v5, v[2:3]
	global_store_byte v[2:3], v4, off
.LBB335_28:
	s_or_b64 exec, exec, s[8:9]
	s_and_saveexec_b64 s[8:9], s[0:1]
	s_cbranch_execz .LBB335_30
; %bb.29:
	s_load_dwordx2 s[0:1], s[4:5], 0x0
	s_mul_hi_i32 s7, s12, s6
	s_mul_i32 s12, s12, s6
	v_lshlrev_b32_e32 v2, 2, v0
	s_mov_b32 s15, 0x20000
	s_waitcnt lgkmcnt(0)
	s_add_u32 s12, s0, s12
	s_addc_u32 s0, s1, s7
	s_lshr_b32 s1, s23, 31
	s_add_i32 s1, s23, s1
	s_ashr_i32 s1, s1, 1
	s_add_i32 s1, s1, 3
	s_ashr_i32 s7, s1, 31
	s_lshr_b32 s7, s7, 30
	s_add_i32 s1, s1, s7
	s_and_b32 s14, s1, -4
	s_and_b32 s13, s0, 0xffff
	v_mov_b32_e32 v3, 0
	buffer_store_dword v3, v2, s[12:15], 0 offen
	;;#ASMSTART
	s_nop 0
	;;#ASMEND
.LBB335_30:
	s_or_b64 exec, exec, s[8:9]
	s_cmp_lt_i32 s24, 1
	s_cbranch_scc1 .LBB335_17
.LBB335_31:
	s_load_dword s0, s[4:5], 0x94
	s_waitcnt lgkmcnt(0)
	s_cmp_lg_u32 s0, 1
	s_cbranch_scc1 .LBB335_17
; %bb.32:
	s_lshl_b32 s0, s24, 1
	s_add_i32 s0, s0, 2
	v_cmp_gt_u32_e32 vcc, s24, v1
	s_and_b32 s30, s0, -4
	v_mov_b32_e32 v10, 0
	v_lshlrev_b32_e32 v1, 4, v0
	v_mov_b32_e32 v6, 0
	v_mov_b32_e32 v7, 0
	;; [unrolled: 1-line block ×4, first 2 shown]
	s_waitcnt vmcnt(0)
	v_mov_b32_e32 v2, 0
	v_mov_b32_e32 v3, 0
	;; [unrolled: 1-line block ×4, first 2 shown]
	s_barrier
	s_and_saveexec_b64 s[0:1], vcc
	s_cbranch_execz .LBB335_34
; %bb.33:
	s_mul_hi_i32 s5, s26, s6
	s_mul_i32 s4, s26, s6
	s_and_b32 s29, s29, 0xffff
	s_lshl_b64 s[4:5], s[4:5], 1
	s_add_u32 s8, s10, s4
	s_mov_b32 s31, 0x20000
	s_addc_u32 s4, s11, s5
	s_and_b32 s9, s4, 0xffff
	s_mov_b32 s10, s30
	s_mov_b32 s11, s31
	buffer_load_dwordx4 v[6:9], v1, s[8:11], 0 offen glc slc
	buffer_load_dwordx4 v[2:5], v1, s[28:31], 0 offen
.LBB335_34:
	s_or_b64 exec, exec, s[0:1]
	v_mov_b32_e32 v11, 0
	v_mov_b32_e32 v16, 0
	;; [unrolled: 1-line block ×7, first 2 shown]
	s_and_saveexec_b64 s[0:1], vcc
	s_cbranch_execz .LBB335_36
; %bb.35:
	s_waitcnt vmcnt(1)
	v_cvt_f32_f16_sdwa v11, v6 dst_sel:DWORD dst_unused:UNUSED_PAD src0_sel:WORD_1
	v_cvt_f32_f16_e32 v10, v6
	v_cvt_f32_f16_sdwa v17, v7 dst_sel:DWORD dst_unused:UNUSED_PAD src0_sel:WORD_1
	v_cvt_f32_f16_e32 v16, v7
	;; [unrolled: 2-line block ×4, first 2 shown]
.LBB335_36:
	s_or_b64 exec, exec, s[0:1]
	s_waitcnt vmcnt(1)
	v_mul_f32_e32 v6, v11, v11
	v_fmac_f32_e32 v6, v10, v10
	v_fmac_f32_e32 v6, v16, v16
	;; [unrolled: 1-line block ×7, first 2 shown]
	s_nop 1
	v_mov_b32_dpp v7, v6 quad_perm:[1,0,3,2] row_mask:0xf bank_mask:0xf
	v_add_f32_e32 v6, v6, v7
	s_nop 1
	v_mov_b32_dpp v7, v6 quad_perm:[2,3,0,1] row_mask:0xf bank_mask:0xf
	v_add_f32_e32 v6, v6, v7
	s_nop 1
	v_mov_b32_dpp v7, v6 row_half_mirror row_mask:0xf bank_mask:0xf
	v_add_f32_e32 v6, v6, v7
	s_nop 1
	v_mov_b32_dpp v7, v6 row_mirror row_mask:0xf bank_mask:0xf
	v_add_f32_e32 v6, v6, v7
	s_nop 1
	v_mov_b32_dpp v7, v6 row_bcast:15 row_mask:0xf bank_mask:0xf
	v_add_f32_e32 v6, v6, v7
	s_nop 1
	v_mov_b32_dpp v7, v6 row_bcast:31 row_mask:0xf bank_mask:0xf
	s_and_saveexec_b64 s[0:1], s[2:3]
	s_cbranch_execz .LBB335_38
; %bb.37:
	v_lshrrev_b32_e32 v0, 4, v0
	v_add_f32_e32 v6, v6, v7
	v_and_b32_e32 v0, 60, v0
	ds_write_b32 v0, v6
.LBB335_38:
	s_or_b64 exec, exec, s[0:1]
	s_waitcnt lgkmcnt(0)
	s_barrier
	ds_read_b32 v0, v18
	s_waitcnt lgkmcnt(0)
	s_nop 0
	v_mov_b32_dpp v6, v0 quad_perm:[1,0,3,2] row_mask:0xf bank_mask:0xf
	s_and_saveexec_b64 s[0:1], vcc
	s_cbranch_execz .LBB335_17
; %bb.39:
	v_cvt_f32_u32_e32 v7, s24
	v_add_f32_e32 v0, v0, v6
	s_mov_b32 s31, 0x20000
	v_div_scale_f32 v6, s[0:1], v7, v7, v0
	v_rcp_f32_e32 v8, v6
	v_div_scale_f32 v9, vcc, v0, v7, v0
	s_mov_b32 s0, 0x800000
	v_fma_f32 v18, -v6, v8, 1.0
	v_fmac_f32_e32 v8, v18, v8
	v_mul_f32_e32 v18, v9, v8
	v_fma_f32 v19, -v6, v18, v9
	v_fmac_f32_e32 v18, v19, v8
	v_fma_f32 v6, -v6, v18, v9
	v_div_fmas_f32 v6, v6, v8, v18
	v_div_fixup_f32 v0, v6, v7, v0
	v_add_f32_e32 v0, s21, v0
	v_mul_f32_e32 v6, 0x4b800000, v0
	v_cmp_gt_f32_e32 vcc, s0, v0
	v_cndmask_b32_e32 v0, v0, v6, vcc
	v_rsq_f32_e32 v0, v0
	s_waitcnt vmcnt(0)
	v_cvt_f32_f16_sdwa v19, v5 dst_sel:DWORD dst_unused:UNUSED_PAD src0_sel:WORD_1
	v_cvt_f32_f16_e32 v18, v5
	s_mul_hi_i32 s1, s16, s6
	v_mul_f32_e32 v6, 0x45800000, v0
	v_cndmask_b32_e32 v6, v0, v6, vcc
	v_mov_b32_e32 v7, v6
	;;#ASMSTART
	v_pk_mul_f32 v[8:9], v[10:11], v[6:7]
	;;#ASMEND
	;;#ASMSTART
	v_pk_mul_f32 v[10:11], v[16:17], v[6:7]
	;;#ASMEND
	;; [unrolled: 3-line block ×4, first 2 shown]
	v_cvt_f32_f16_sdwa v13, v2 dst_sel:DWORD dst_unused:UNUSED_PAD src0_sel:WORD_1
	v_cvt_f32_f16_e32 v12, v2
	v_cvt_f32_f16_sdwa v17, v3 dst_sel:DWORD dst_unused:UNUSED_PAD src0_sel:WORD_1
	v_cvt_f32_f16_e32 v16, v3
	;; [unrolled: 2-line block ×3, first 2 shown]
	;;#ASMSTART
	v_pk_mul_f32 v[4:5], v[8:9], v[12:13]
	;;#ASMEND
	;;#ASMSTART
	v_pk_mul_f32 v[8:9], v[10:11], v[16:17]
	;;#ASMEND
	;; [unrolled: 3-line block ×4, first 2 shown]
	s_mul_i32 s0, s16, s6
	v_cvt_f16_f32_e32 v0, v4
	v_cvt_f16_f32_e32 v4, v5
	;; [unrolled: 1-line block ×8, first 2 shown]
	s_lshl_b64 s[0:1], s[0:1], 1
	s_add_u32 s28, s18, s0
	s_addc_u32 s0, s19, s1
	s_and_b32 s29, s0, 0xffff
	v_pack_b32_f16 v2, v0, v4
	v_pack_b32_f16 v3, v5, v8
	;; [unrolled: 1-line block ×4, first 2 shown]
	buffer_store_dwordx4 v[2:5], v1, s[28:31], 0 offen
	;;#ASMSTART
	s_nop 0
	;;#ASMEND
	s_endpgm
	.section	.rodata,"a",@progbits
	.p2align	6, 0x0
	.amdhsa_kernel _ZN5aiter35fused_qk_rmsnorm_group_quant_kernelIDF16_N4opus5fp4_tELi128ELi8ELi16ELb1ELb1ELb0ELb0ELb0ELb0EEEvPT0_PvPT_S7_S7_PKS6_S9_S9_S9_S9_ffiiiiiiiiiiiii
		.amdhsa_group_segment_fixed_size 16
		.amdhsa_private_segment_fixed_size 0
		.amdhsa_kernarg_size 400
		.amdhsa_user_sgpr_count 6
		.amdhsa_user_sgpr_private_segment_buffer 1
		.amdhsa_user_sgpr_dispatch_ptr 0
		.amdhsa_user_sgpr_queue_ptr 0
		.amdhsa_user_sgpr_kernarg_segment_ptr 1
		.amdhsa_user_sgpr_dispatch_id 0
		.amdhsa_user_sgpr_flat_scratch_init 0
		.amdhsa_user_sgpr_kernarg_preload_length 0
		.amdhsa_user_sgpr_kernarg_preload_offset 0
		.amdhsa_user_sgpr_private_segment_size 0
		.amdhsa_uses_dynamic_stack 0
		.amdhsa_system_sgpr_private_segment_wavefront_offset 0
		.amdhsa_system_sgpr_workgroup_id_x 1
		.amdhsa_system_sgpr_workgroup_id_y 1
		.amdhsa_system_sgpr_workgroup_id_z 0
		.amdhsa_system_sgpr_workgroup_info 0
		.amdhsa_system_vgpr_workitem_id 0
		.amdhsa_next_free_vgpr 27
		.amdhsa_next_free_sgpr 44
		.amdhsa_accum_offset 28
		.amdhsa_reserve_vcc 1
		.amdhsa_reserve_flat_scratch 0
		.amdhsa_float_round_mode_32 0
		.amdhsa_float_round_mode_16_64 0
		.amdhsa_float_denorm_mode_32 3
		.amdhsa_float_denorm_mode_16_64 3
		.amdhsa_dx10_clamp 1
		.amdhsa_ieee_mode 1
		.amdhsa_fp16_overflow 0
		.amdhsa_tg_split 0
		.amdhsa_exception_fp_ieee_invalid_op 0
		.amdhsa_exception_fp_denorm_src 0
		.amdhsa_exception_fp_ieee_div_zero 0
		.amdhsa_exception_fp_ieee_overflow 0
		.amdhsa_exception_fp_ieee_underflow 0
		.amdhsa_exception_fp_ieee_inexact 0
		.amdhsa_exception_int_div_zero 0
	.end_amdhsa_kernel
	.section	.text._ZN5aiter35fused_qk_rmsnorm_group_quant_kernelIDF16_N4opus5fp4_tELi128ELi8ELi16ELb1ELb1ELb0ELb0ELb0ELb0EEEvPT0_PvPT_S7_S7_PKS6_S9_S9_S9_S9_ffiiiiiiiiiiiii,"axG",@progbits,_ZN5aiter35fused_qk_rmsnorm_group_quant_kernelIDF16_N4opus5fp4_tELi128ELi8ELi16ELb1ELb1ELb0ELb0ELb0ELb0EEEvPT0_PvPT_S7_S7_PKS6_S9_S9_S9_S9_ffiiiiiiiiiiiii,comdat
.Lfunc_end335:
	.size	_ZN5aiter35fused_qk_rmsnorm_group_quant_kernelIDF16_N4opus5fp4_tELi128ELi8ELi16ELb1ELb1ELb0ELb0ELb0ELb0EEEvPT0_PvPT_S7_S7_PKS6_S9_S9_S9_S9_ffiiiiiiiiiiiii, .Lfunc_end335-_ZN5aiter35fused_qk_rmsnorm_group_quant_kernelIDF16_N4opus5fp4_tELi128ELi8ELi16ELb1ELb1ELb0ELb0ELb0ELb0EEEvPT0_PvPT_S7_S7_PKS6_S9_S9_S9_S9_ffiiiiiiiiiiiii
                                        ; -- End function
	.section	.AMDGPU.csdata,"",@progbits
; Kernel info:
; codeLenInByte = 2804
; NumSgprs: 48
; NumVgprs: 27
; NumAgprs: 0
; TotalNumVgprs: 27
; ScratchSize: 0
; MemoryBound: 0
; FloatMode: 240
; IeeeMode: 1
; LDSByteSize: 16 bytes/workgroup (compile time only)
; SGPRBlocks: 5
; VGPRBlocks: 3
; NumSGPRsForWavesPerEU: 48
; NumVGPRsForWavesPerEU: 27
; AccumOffset: 28
; Occupancy: 8
; WaveLimiterHint : 0
; COMPUTE_PGM_RSRC2:SCRATCH_EN: 0
; COMPUTE_PGM_RSRC2:USER_SGPR: 6
; COMPUTE_PGM_RSRC2:TRAP_HANDLER: 0
; COMPUTE_PGM_RSRC2:TGID_X_EN: 1
; COMPUTE_PGM_RSRC2:TGID_Y_EN: 1
; COMPUTE_PGM_RSRC2:TGID_Z_EN: 0
; COMPUTE_PGM_RSRC2:TIDIG_COMP_CNT: 0
; COMPUTE_PGM_RSRC3_GFX90A:ACCUM_OFFSET: 6
; COMPUTE_PGM_RSRC3_GFX90A:TG_SPLIT: 0
	.section	.text._ZN5aiter35fused_qk_rmsnorm_group_quant_kernelItN4opus5fp4_tELi128ELi8ELi16ELb1ELb1ELb0ELb0ELb0ELb0EEEvPT0_PvPT_S7_S7_PKS6_S9_S9_S9_S9_ffiiiiiiiiiiiii,"axG",@progbits,_ZN5aiter35fused_qk_rmsnorm_group_quant_kernelItN4opus5fp4_tELi128ELi8ELi16ELb1ELb1ELb0ELb0ELb0ELb0EEEvPT0_PvPT_S7_S7_PKS6_S9_S9_S9_S9_ffiiiiiiiiiiiii,comdat
	.protected	_ZN5aiter35fused_qk_rmsnorm_group_quant_kernelItN4opus5fp4_tELi128ELi8ELi16ELb1ELb1ELb0ELb0ELb0ELb0EEEvPT0_PvPT_S7_S7_PKS6_S9_S9_S9_S9_ffiiiiiiiiiiiii ; -- Begin function _ZN5aiter35fused_qk_rmsnorm_group_quant_kernelItN4opus5fp4_tELi128ELi8ELi16ELb1ELb1ELb0ELb0ELb0ELb0EEEvPT0_PvPT_S7_S7_PKS6_S9_S9_S9_S9_ffiiiiiiiiiiiii
	.globl	_ZN5aiter35fused_qk_rmsnorm_group_quant_kernelItN4opus5fp4_tELi128ELi8ELi16ELb1ELb1ELb0ELb0ELb0ELb0EEEvPT0_PvPT_S7_S7_PKS6_S9_S9_S9_S9_ffiiiiiiiiiiiii
	.p2align	8
	.type	_ZN5aiter35fused_qk_rmsnorm_group_quant_kernelItN4opus5fp4_tELi128ELi8ELi16ELb1ELb1ELb0ELb0ELb0ELb0EEEvPT0_PvPT_S7_S7_PKS6_S9_S9_S9_S9_ffiiiiiiiiiiiii,@function
_ZN5aiter35fused_qk_rmsnorm_group_quant_kernelItN4opus5fp4_tELi128ELi8ELi16ELb1ELb1ELb0ELb0ELb0ELb0EEEvPT0_PvPT_S7_S7_PKS6_S9_S9_S9_S9_ffiiiiiiiiiiiii: ; @_ZN5aiter35fused_qk_rmsnorm_group_quant_kernelItN4opus5fp4_tELi128ELi8ELi16ELb1ELb1ELb0ELb0ELb0ELb0EEEvPT0_PvPT_S7_S7_PKS6_S9_S9_S9_S9_ffiiiiiiiiiiiii
; %bb.0:
	s_load_dwordx8 s[20:27], s[4:5], 0x50
	s_waitcnt lgkmcnt(0)
	s_cmp_ge_i32 s6, s22
	s_cbranch_scc1 .LBB336_17
; %bb.1:
	s_cmp_lg_u32 s7, 0
	s_cselect_b64 s[30:31], -1, 0
	s_cmp_eq_u32 s7, 0
	s_cselect_b64 s[8:9], -1, 0
	s_and_b64 s[0:1], s[8:9], exec
	s_load_dwordx2 s[28:29], s[4:5], 0x48
	s_load_dwordx2 s[10:11], s[4:5], 0x30
	s_load_dwordx8 s[12:19], s[4:5], 0x70
	s_cselect_b32 s7, s23, s24
	s_add_i32 s0, s7, 1
	s_lshr_b32 s1, s0, 31
	s_add_i32 s0, s0, s1
	s_lshl_b32 s0, s0, 1
	v_lshlrev_b32_e32 v1, 3, v0
	s_and_b32 s38, s0, -4
	v_cmp_gt_i32_e64 s[0:1], s7, v1
	v_mov_b32_e32 v10, 0
	v_mov_b32_e32 v11, 0
	;; [unrolled: 1-line block ×8, first 2 shown]
	s_and_saveexec_b64 s[2:3], s[0:1]
	s_cbranch_execz .LBB336_3
; %bb.2:
	s_waitcnt lgkmcnt(0)
	s_load_dwordx2 s[18:19], s[4:5], 0x28
	s_load_dwordx2 s[34:35], s[4:5], 0x40
	s_and_b64 s[36:37], s[8:9], exec
	s_cselect_b32 s22, s25, s26
	s_mov_b32 s39, 0x20000
	s_waitcnt lgkmcnt(0)
	s_cselect_b32 s25, s19, s11
	s_cselect_b32 s33, s18, s10
	s_mul_hi_i32 s19, s22, s6
	s_mul_i32 s18, s22, s6
	s_lshl_b64 s[18:19], s[18:19], 1
	s_add_u32 s40, s33, s18
	s_addc_u32 s22, s25, s19
	s_and_b64 s[18:19], s[8:9], exec
	s_cselect_b32 s36, s34, s28
	s_cselect_b32 s18, s35, s29
	v_lshlrev_b32_e32 v2, 4, v0
	s_and_b32 s41, s22, 0xffff
	s_mov_b32 s42, s38
	s_mov_b32 s43, s39
	s_and_b32 s37, s18, 0xffff
	buffer_load_dwordx4 v[14:17], v2, s[40:43], 0 offen glc slc
	buffer_load_dwordx4 v[10:13], v2, s[36:39], 0 offen
.LBB336_3:
	s_or_b64 exec, exec, s[2:3]
	s_and_b64 vcc, exec, s[30:31]
	s_cbranch_vccz .LBB336_7
; %bb.4:
	s_mov_b32 s40, 0
	s_mov_b32 s41, s40
	;; [unrolled: 1-line block ×8, first 2 shown]
	v_pk_mov_b32 v[2:3], s[40:41], s[40:41] op_sel:[0,1]
	v_pk_mov_b32 v[4:5], s[42:43], s[42:43] op_sel:[0,1]
	;; [unrolled: 1-line block ×4, first 2 shown]
	s_and_saveexec_b64 s[2:3], s[0:1]
	s_cbranch_execz .LBB336_6
; %bb.5:
	s_waitcnt vmcnt(1)
	v_cvt_f32_u32_sdwa v3, v14 dst_sel:DWORD dst_unused:UNUSED_PAD src0_sel:WORD_1
	v_cvt_f32_u32_sdwa v2, v14 dst_sel:DWORD dst_unused:UNUSED_PAD src0_sel:WORD_0
	v_cvt_f32_u32_sdwa v5, v15 dst_sel:DWORD dst_unused:UNUSED_PAD src0_sel:WORD_1
	v_cvt_f32_u32_sdwa v4, v15 dst_sel:DWORD dst_unused:UNUSED_PAD src0_sel:WORD_0
	;; [unrolled: 2-line block ×4, first 2 shown]
.LBB336_6:
	s_or_b64 exec, exec, s[2:3]
	s_cbranch_execz .LBB336_8
	s_branch .LBB336_11
.LBB336_7:
                                        ; implicit-def: $vgpr2_vgpr3_vgpr4_vgpr5_vgpr6_vgpr7_vgpr8_vgpr9
.LBB336_8:
	s_mov_b32 s40, 0
	s_mov_b32 s41, s40
	;; [unrolled: 1-line block ×8, first 2 shown]
	v_pk_mov_b32 v[2:3], s[40:41], s[40:41] op_sel:[0,1]
	v_pk_mov_b32 v[4:5], s[42:43], s[42:43] op_sel:[0,1]
	v_pk_mov_b32 v[6:7], s[44:45], s[44:45] op_sel:[0,1]
	v_pk_mov_b32 v[8:9], s[46:47], s[46:47] op_sel:[0,1]
	s_and_saveexec_b64 s[2:3], s[0:1]
	s_cbranch_execz .LBB336_10
; %bb.9:
	s_waitcnt lgkmcnt(0)
	s_load_dwordx2 s[18:19], s[4:5], 0x38
	s_mul_hi_i32 s35, s27, s6
	s_mul_i32 s34, s27, s6
	s_lshl_b64 s[34:35], s[34:35], 1
	s_mov_b32 s39, 0x20000
	s_waitcnt lgkmcnt(0)
	s_add_u32 s36, s18, s34
	s_addc_u32 s18, s19, s35
	s_and_b32 s37, s18, 0xffff
	v_lshlrev_b32_e32 v26, 4, v0
	buffer_load_dwordx4 v[2:5], v26, s[36:39], 0 offen glc slc
	s_load_dwordx2 s[18:19], s[4:5], 0x20
	s_waitcnt vmcnt(2)
	v_cvt_f32_u32_sdwa v7, v14 dst_sel:DWORD dst_unused:UNUSED_PAD src0_sel:WORD_1
	v_cvt_f32_u32_sdwa v6, v14 dst_sel:DWORD dst_unused:UNUSED_PAD src0_sel:WORD_0
	v_cvt_f32_u32_sdwa v9, v15 dst_sel:DWORD dst_unused:UNUSED_PAD src0_sel:WORD_1
	v_cvt_f32_u32_sdwa v8, v15 dst_sel:DWORD dst_unused:UNUSED_PAD src0_sel:WORD_0
	;; [unrolled: 2-line block ×4, first 2 shown]
	s_mul_hi_i32 s35, s17, s6
	s_mul_i32 s34, s17, s6
	s_lshl_b64 s[34:35], s[34:35], 1
	s_waitcnt lgkmcnt(0)
	s_add_u32 s36, s18, s34
	s_mov_b32 s17, 0x7060302
	s_addc_u32 s18, s19, s35
	s_and_b32 s37, s18, 0xffff
	s_waitcnt vmcnt(0)
	v_cvt_f32_u32_sdwa v17, v2 dst_sel:DWORD dst_unused:UNUSED_PAD src0_sel:WORD_1
	v_cvt_f32_u32_sdwa v16, v2 dst_sel:DWORD dst_unused:UNUSED_PAD src0_sel:WORD_0
	v_cvt_f32_u32_sdwa v21, v3 dst_sel:DWORD dst_unused:UNUSED_PAD src0_sel:WORD_1
	v_cvt_f32_u32_sdwa v20, v3 dst_sel:DWORD dst_unused:UNUSED_PAD src0_sel:WORD_0
	;; [unrolled: 2-line block ×4, first 2 shown]
	v_pk_add_f32 v[2:3], v[6:7], v[16:17]
	v_pk_add_f32 v[4:5], v[8:9], v[20:21]
	v_pk_add_f32 v[6:7], v[14:15], v[22:23]
	v_pk_add_f32 v[8:9], v[18:19], v[24:25]
	v_perm_b32 v17, v9, v8, s17
	v_perm_b32 v16, v7, v6, s17
	;; [unrolled: 1-line block ×4, first 2 shown]
	buffer_store_dwordx4 v[14:17], v26, s[36:39], 0 offen glc slc
	;;#ASMSTART
	s_nop 0
	;;#ASMEND
.LBB336_10:
	s_or_b64 exec, exec, s[2:3]
.LBB336_11:
	s_waitcnt vmcnt(1)
	v_mul_f32_e32 v14, v3, v3
	v_fmac_f32_e32 v14, v2, v2
	v_fmac_f32_e32 v14, v4, v4
	;; [unrolled: 1-line block ×7, first 2 shown]
	v_and_b32_e32 v16, 63, v0
	v_cmp_eq_u32_e64 s[2:3], 63, v16
	v_mov_b32_dpp v15, v14 quad_perm:[1,0,3,2] row_mask:0xf bank_mask:0xf
	v_add_f32_e32 v14, v14, v15
	s_nop 1
	v_mov_b32_dpp v15, v14 quad_perm:[2,3,0,1] row_mask:0xf bank_mask:0xf
	v_add_f32_e32 v14, v14, v15
	s_nop 1
	v_mov_b32_dpp v15, v14 row_half_mirror row_mask:0xf bank_mask:0xf
	v_add_f32_e32 v14, v14, v15
	s_nop 1
	v_mov_b32_dpp v15, v14 row_mirror row_mask:0xf bank_mask:0xf
	v_add_f32_e32 v14, v14, v15
	s_nop 1
	v_mov_b32_dpp v15, v14 row_bcast:15 row_mask:0xf bank_mask:0xf
	v_add_f32_e32 v14, v14, v15
	s_nop 1
	v_mov_b32_dpp v15, v14 row_bcast:31 row_mask:0xf bank_mask:0xf
	s_waitcnt lgkmcnt(0)
	s_and_saveexec_b64 s[18:19], s[2:3]
	s_cbranch_execz .LBB336_13
; %bb.12:
	v_add_f32_e32 v14, v14, v15
	v_lshrrev_b32_e32 v15, 4, v0
	v_and_b32_e32 v15, 60, v15
	ds_write_b32 v15, v14 offset:8
.LBB336_13:
	s_or_b64 exec, exec, s[18:19]
	v_and_b32_e32 v14, 1, v0
	v_lshlrev_b32_e32 v14, 2, v14
	s_waitcnt lgkmcnt(0)
	s_barrier
	ds_read_b32 v15, v14 offset:8
	s_load_dwordx2 s[18:19], s[4:5], 0x18
	s_waitcnt lgkmcnt(0)
	v_mov_b32_dpp v16, v15 quad_perm:[1,0,3,2] row_mask:0xf bank_mask:0xf
	s_and_saveexec_b64 s[34:35], s[0:1]
	s_cbranch_execnz .LBB336_18
; %bb.14:
	s_or_b64 exec, exec, s[34:35]
	s_mov_b64 s[8:9], -1
	s_and_b64 vcc, exec, s[30:31]
	s_cbranch_vccnz .LBB336_19
.LBB336_15:
	s_andn2_b64 vcc, exec, s[8:9]
	s_cbranch_vccz .LBB336_22
.LBB336_16:
	s_cmp_lt_i32 s24, 1
	s_cbranch_scc0 .LBB336_31
.LBB336_17:
	s_endpgm
.LBB336_18:
	v_cvt_f32_u32_e32 v17, s7
	v_add_f32_e32 v15, v15, v16
	v_mov_b32_e32 v19, s21
	v_mov_b32_e32 v20, s20
	v_div_scale_f32 v16, s[36:37], v17, v17, v15
	v_rcp_f32_e32 v18, v16
	v_cndmask_b32_e64 v19, v19, v20, s[8:9]
	s_mov_b32 s7, 0x800000
	v_fma_f32 v20, -v16, v18, 1.0
	v_fmac_f32_e32 v18, v20, v18
	v_div_scale_f32 v20, vcc, v15, v17, v15
	v_mul_f32_e32 v21, v20, v18
	v_fma_f32 v22, -v16, v21, v20
	v_fmac_f32_e32 v21, v22, v18
	v_fma_f32 v16, -v16, v21, v20
	v_div_fmas_f32 v16, v16, v18, v21
	v_div_fixup_f32 v15, v16, v17, v15
	v_add_f32_e32 v15, v19, v15
	v_mul_f32_e32 v16, 0x4b800000, v15
	v_cmp_gt_f32_e32 vcc, s7, v15
	v_cndmask_b32_e32 v15, v15, v16, vcc
	v_rsq_f32_e32 v15, v15
	s_waitcnt vmcnt(0)
	v_cvt_f32_u32_sdwa v19, v11 dst_sel:DWORD dst_unused:UNUSED_PAD src0_sel:WORD_1
	v_cvt_f32_u32_sdwa v18, v11 dst_sel:DWORD dst_unused:UNUSED_PAD src0_sel:WORD_0
	v_cvt_f32_u32_sdwa v11, v12 dst_sel:DWORD dst_unused:UNUSED_PAD src0_sel:WORD_1
	v_mul_f32_e32 v16, 0x45800000, v15
	v_cndmask_b32_e32 v16, v15, v16, vcc
	v_mov_b32_e32 v17, v16
	;;#ASMSTART
	v_pk_mul_f32 v[2:3], v[2:3], v[16:17]
	;;#ASMEND
	;;#ASMSTART
	v_pk_mul_f32 v[4:5], v[4:5], v[16:17]
	;;#ASMEND
	;; [unrolled: 3-line block ×4, first 2 shown]
	v_cvt_f32_u32_sdwa v17, v10 dst_sel:DWORD dst_unused:UNUSED_PAD src0_sel:WORD_1
	v_cvt_f32_u32_sdwa v16, v10 dst_sel:DWORD dst_unused:UNUSED_PAD src0_sel:WORD_0
	v_cvt_f32_u32_sdwa v10, v12 dst_sel:DWORD dst_unused:UNUSED_PAD src0_sel:WORD_0
	v_cvt_f32_u32_sdwa v21, v13 dst_sel:DWORD dst_unused:UNUSED_PAD src0_sel:WORD_1
	v_cvt_f32_u32_sdwa v20, v13 dst_sel:DWORD dst_unused:UNUSED_PAD src0_sel:WORD_0
	;;#ASMSTART
	v_pk_mul_f32 v[2:3], v[2:3], v[16:17]
	;;#ASMEND
	;;#ASMSTART
	v_pk_mul_f32 v[4:5], v[4:5], v[18:19]
	;;#ASMEND
	;; [unrolled: 3-line block ×4, first 2 shown]
	s_or_b64 exec, exec, s[34:35]
	s_mov_b64 s[8:9], -1
	s_and_b64 vcc, exec, s[30:31]
	s_cbranch_vccz .LBB336_15
.LBB336_19:
	s_and_saveexec_b64 s[8:9], s[0:1]
	s_cbranch_execz .LBB336_21
; %bb.20:
	s_mul_hi_i32 s31, s16, s6
	s_mul_i32 s30, s16, s6
	s_lshl_b64 s[30:31], s[30:31], 1
	s_add_u32 s36, s18, s30
	s_addc_u32 s7, s19, s31
	s_and_b32 s37, s7, 0xffff
	s_mov_b32 s7, 0x7060302
	s_mov_b32 s39, 0x20000
	s_waitcnt vmcnt(0)
	v_perm_b32 v10, v3, v2, s7
	v_perm_b32 v11, v5, v4, s7
	;; [unrolled: 1-line block ×4, first 2 shown]
	v_lshlrev_b32_e32 v15, 4, v0
	buffer_store_dwordx4 v[10:13], v15, s[36:39], 0 offen
	;;#ASMSTART
	s_nop 0
	;;#ASMEND
.LBB336_21:
	s_or_b64 exec, exec, s[8:9]
	s_cbranch_execnz .LBB336_16
.LBB336_22:
	s_waitcnt vmcnt(0)
	v_mov_b32_e32 v10, 0
	s_and_saveexec_b64 s[8:9], s[0:1]
	s_cbranch_execz .LBB336_24
; %bb.23:
	s_load_dwordx2 s[30:31], s[4:5], 0x10
	s_mul_hi_i32 s35, s15, s6
	s_mul_i32 s34, s15, s6
	s_lshl_b64 s[34:35], s[34:35], 1
	s_mov_b32 s39, 0x20000
	s_waitcnt lgkmcnt(0)
	s_add_u32 s36, s30, s34
	s_addc_u32 s7, s31, s35
	s_and_b32 s37, s7, 0xffff
	s_mov_b32 s7, 0x7060302
	v_perm_b32 v10, v3, v2, s7
	v_perm_b32 v11, v5, v4, s7
	;; [unrolled: 1-line block ×4, first 2 shown]
	v_lshlrev_b32_e32 v15, 4, v0
	buffer_store_dwordx4 v[10:13], v15, s[36:39], 0 offen
	;;#ASMSTART
	s_nop 0
	;;#ASMEND
	s_nop 0
	v_mov_b32_e32 v10, 0x2edbe6ff
.LBB336_24:
	s_or_b64 exec, exec, s[8:9]
	s_and_saveexec_b64 s[8:9], s[0:1]
	s_cbranch_execz .LBB336_26
; %bb.25:
	v_and_b32_e32 v2, 0x7fffffff, v2
	v_and_b32_e32 v3, 0x7fffffff, v3
	;;#ASMSTART
	v_max3_f32 v2, v10, v2, v3

	;;#ASMEND
	v_and_b32_e32 v3, 0x7fffffff, v4
	v_and_b32_e32 v4, 0x7fffffff, v5
	;;#ASMSTART
	v_max3_f32 v2, v2, v3, v4

	;;#ASMEND
	;; [unrolled: 6-line block ×4, first 2 shown]
.LBB336_26:
	s_or_b64 exec, exec, s[8:9]
	;;#ASMSTART
	v_max_f32 v2, v10, v10 quad_perm:[1,0,3,2] row_mask:0xf bank_mask:0xf bound_ctrl:1
	;;#ASMEND
	;;#ASMSTART
	v_max_f32 v3, v2, v2 quad_perm:[2,3,0,1] row_mask:0xf bank_mask:0xf bound_ctrl:1
	;;#ASMEND
	;;#ASMSTART
	v_max_f32 v4, v3, v3 row_half_mirror row_mask:0xf bank_mask:0xf bound_ctrl:1
	;;#ASMEND
	v_and_b32_e32 v3, 15, v0
	v_cmp_eq_u32_e32 vcc, 0, v3
	v_cmp_gt_i32_e64 s[8:9], s23, v1
	s_and_b64 s[30:31], vcc, s[8:9]
	;;#ASMSTART
	v_max_f32 v2, v4, v4 row_mirror row_mask:0xf bank_mask:0xf bound_ctrl:1
	;;#ASMEND
	s_and_saveexec_b64 s[8:9], s[30:31]
	s_cbranch_execz .LBB336_28
; %bb.27:
	s_load_dwordx2 s[30:31], s[4:5], 0x8
	v_mul_f32_e32 v2, 0x3e2aaaab, v2
	v_lshrrev_b32_e32 v3, 23, v2
	v_and_b32_e32 v4, 0x7f800000, v2
	v_and_b32_e32 v2, 0x7fffff, v2
	v_cmp_ne_u32_e32 vcc, 0, v2
	s_mul_hi_i32 s15, s13, s6
	s_mul_i32 s13, s13, s6
	s_mov_b32 s7, 0x7f800000
	v_addc_co_u32_e32 v2, vcc, 0, v3, vcc
	s_waitcnt lgkmcnt(0)
	s_add_u32 s30, s30, s13
	v_cmp_ne_u32_e32 vcc, s7, v4
	s_addc_u32 s31, s31, s15
	v_lshrrev_b32_e32 v5, 4, v0
	v_cndmask_b32_e32 v4, -1, v2, vcc
	v_pk_mov_b32 v[2:3], s[30:31], s[30:31] op_sel:[0,1]
	v_mad_i64_i32 v[2:3], s[14:15], s14, v5, v[2:3]
	global_store_byte v[2:3], v4, off
.LBB336_28:
	s_or_b64 exec, exec, s[8:9]
	s_and_saveexec_b64 s[8:9], s[0:1]
	s_cbranch_execz .LBB336_30
; %bb.29:
	s_load_dwordx2 s[0:1], s[4:5], 0x0
	s_mul_hi_i32 s7, s12, s6
	s_mul_i32 s12, s12, s6
	v_lshlrev_b32_e32 v2, 2, v0
	s_mov_b32 s15, 0x20000
	s_waitcnt lgkmcnt(0)
	s_add_u32 s12, s0, s12
	s_addc_u32 s0, s1, s7
	s_lshr_b32 s1, s23, 31
	s_add_i32 s1, s23, s1
	s_ashr_i32 s1, s1, 1
	s_add_i32 s1, s1, 3
	s_ashr_i32 s7, s1, 31
	s_lshr_b32 s7, s7, 30
	s_add_i32 s1, s1, s7
	s_and_b32 s14, s1, -4
	s_and_b32 s13, s0, 0xffff
	v_mov_b32_e32 v3, 0
	buffer_store_dword v3, v2, s[12:15], 0 offen
	;;#ASMSTART
	s_nop 0
	;;#ASMEND
.LBB336_30:
	s_or_b64 exec, exec, s[8:9]
	s_cmp_lt_i32 s24, 1
	s_cbranch_scc1 .LBB336_17
.LBB336_31:
	s_load_dword s0, s[4:5], 0x94
	s_waitcnt lgkmcnt(0)
	s_cmp_lg_u32 s0, 1
	s_cbranch_scc1 .LBB336_17
; %bb.32:
	s_lshl_b32 s0, s24, 1
	s_add_i32 s0, s0, 2
	v_cmp_gt_u32_e32 vcc, s24, v1
	s_and_b32 s30, s0, -4
	v_mov_b32_e32 v6, 0
	v_lshlrev_b32_e32 v1, 4, v0
	v_mov_b32_e32 v7, 0
	v_mov_b32_e32 v8, 0
	;; [unrolled: 1-line block ×7, first 2 shown]
	s_barrier
	s_and_saveexec_b64 s[0:1], vcc
	s_cbranch_execz .LBB336_34
; %bb.33:
	s_mul_hi_i32 s5, s26, s6
	s_mul_i32 s4, s26, s6
	s_and_b32 s29, s29, 0xffff
	s_lshl_b64 s[4:5], s[4:5], 1
	s_add_u32 s8, s10, s4
	s_mov_b32 s31, 0x20000
	s_addc_u32 s4, s11, s5
	s_and_b32 s9, s4, 0xffff
	s_mov_b32 s10, s30
	s_mov_b32 s11, s31
	buffer_load_dwordx4 v[6:9], v1, s[8:11], 0 offen glc slc
	buffer_load_dwordx4 v[2:5], v1, s[28:31], 0 offen
.LBB336_34:
	s_or_b64 exec, exec, s[0:1]
	s_waitcnt vmcnt(0)
	v_cvt_f32_u32_sdwa v13, v6 dst_sel:DWORD dst_unused:UNUSED_PAD src0_sel:WORD_1
	v_cvt_f32_u32_sdwa v12, v6 dst_sel:DWORD dst_unused:UNUSED_PAD src0_sel:WORD_0
	v_cvt_f32_u32_sdwa v6, v9 dst_sel:DWORD dst_unused:UNUSED_PAD src0_sel:WORD_1
	v_cvt_f32_u32_sdwa v9, v9 dst_sel:DWORD dst_unused:UNUSED_PAD src0_sel:WORD_0
	;; [unrolled: 2-line block ×4, first 2 shown]
	v_cndmask_b32_e32 v13, 0, v13, vcc
	v_cndmask_b32_e32 v7, 0, v6, vcc
	;; [unrolled: 1-line block ×5, first 2 shown]
	v_mul_f32_e32 v15, v13, v13
	v_cndmask_b32_e32 v10, 0, v10, vcc
	v_fmac_f32_e32 v15, v12, v12
	v_cndmask_b32_e32 v11, 0, v11, vcc
	v_fmac_f32_e32 v15, v10, v10
	;; [unrolled: 2-line block ×3, first 2 shown]
	v_fmac_f32_e32 v15, v8, v8
	v_fmac_f32_e32 v15, v9, v9
	;; [unrolled: 1-line block ×4, first 2 shown]
	s_nop 1
	v_mov_b32_dpp v16, v15 quad_perm:[1,0,3,2] row_mask:0xf bank_mask:0xf
	v_add_f32_e32 v15, v15, v16
	s_nop 1
	v_mov_b32_dpp v16, v15 quad_perm:[2,3,0,1] row_mask:0xf bank_mask:0xf
	v_add_f32_e32 v15, v15, v16
	s_nop 1
	v_mov_b32_dpp v16, v15 row_half_mirror row_mask:0xf bank_mask:0xf
	v_add_f32_e32 v15, v15, v16
	s_nop 1
	v_mov_b32_dpp v16, v15 row_mirror row_mask:0xf bank_mask:0xf
	v_add_f32_e32 v15, v15, v16
	s_nop 1
	v_mov_b32_dpp v16, v15 row_bcast:15 row_mask:0xf bank_mask:0xf
	v_add_f32_e32 v15, v15, v16
	s_nop 1
	v_mov_b32_dpp v16, v15 row_bcast:31 row_mask:0xf bank_mask:0xf
	s_and_saveexec_b64 s[0:1], s[2:3]
	s_cbranch_execz .LBB336_36
; %bb.35:
	v_lshrrev_b32_e32 v0, 4, v0
	v_add_f32_e32 v15, v15, v16
	v_and_b32_e32 v0, 60, v0
	ds_write_b32 v0, v15
.LBB336_36:
	s_or_b64 exec, exec, s[0:1]
	s_waitcnt lgkmcnt(0)
	s_barrier
	ds_read_b32 v0, v14
	s_waitcnt lgkmcnt(0)
	s_nop 0
	v_mov_b32_dpp v14, v0 quad_perm:[1,0,3,2] row_mask:0xf bank_mask:0xf
	s_and_saveexec_b64 s[0:1], vcc
	s_cbranch_execz .LBB336_17
; %bb.37:
	v_cvt_f32_u32_e32 v15, s24
	v_add_f32_e32 v0, v0, v14
	s_mov_b32 s31, 0x20000
	v_div_scale_f32 v14, s[0:1], v15, v15, v0
	v_rcp_f32_e32 v16, v14
	v_div_scale_f32 v17, vcc, v0, v15, v0
	s_mov_b32 s0, 0x800000
	v_fma_f32 v18, -v14, v16, 1.0
	v_fmac_f32_e32 v16, v18, v16
	v_mul_f32_e32 v18, v17, v16
	v_fma_f32 v19, -v14, v18, v17
	v_fmac_f32_e32 v18, v19, v16
	v_fma_f32 v14, -v14, v18, v17
	v_div_fmas_f32 v14, v14, v16, v18
	v_div_fixup_f32 v0, v14, v15, v0
	v_add_f32_e32 v0, s21, v0
	v_mul_f32_e32 v14, 0x4b800000, v0
	v_cmp_gt_f32_e32 vcc, s0, v0
	v_cndmask_b32_e32 v0, v0, v14, vcc
	v_rsq_f32_e32 v0, v0
	s_mul_hi_i32 s1, s16, s6
	s_mul_i32 s0, s16, s6
	s_lshl_b64 s[0:1], s[0:1], 1
	v_mul_f32_e32 v14, 0x45800000, v0
	v_cndmask_b32_e32 v14, v0, v14, vcc
	s_add_u32 s28, s18, s0
	v_mov_b32_e32 v15, v14
	s_addc_u32 s0, s19, s1
	;;#ASMSTART
	v_pk_mul_f32 v[12:13], v[12:13], v[14:15]
	;;#ASMEND
	;;#ASMSTART
	v_pk_mul_f32 v[10:11], v[10:11], v[14:15]
	;;#ASMEND
	;; [unrolled: 3-line block ×4, first 2 shown]
	v_cvt_f32_u32_sdwa v15, v2 dst_sel:DWORD dst_unused:UNUSED_PAD src0_sel:WORD_1
	v_cvt_f32_u32_sdwa v14, v2 dst_sel:DWORD dst_unused:UNUSED_PAD src0_sel:WORD_0
	v_cvt_f32_u32_sdwa v17, v3 dst_sel:DWORD dst_unused:UNUSED_PAD src0_sel:WORD_1
	v_cvt_f32_u32_sdwa v16, v3 dst_sel:DWORD dst_unused:UNUSED_PAD src0_sel:WORD_0
	;; [unrolled: 2-line block ×4, first 2 shown]
	;;#ASMSTART
	v_pk_mul_f32 v[4:5], v[12:13], v[14:15]
	;;#ASMEND
	s_and_b32 s29, s0, 0xffff
	s_mov_b32 s0, 0x7060302
	;;#ASMSTART
	v_pk_mul_f32 v[10:11], v[10:11], v[16:17]
	;;#ASMEND
	;;#ASMSTART
	v_pk_mul_f32 v[8:9], v[8:9], v[2:3]
	;;#ASMEND
	;; [unrolled: 3-line block ×3, first 2 shown]
	v_perm_b32 v2, v5, v4, s0
	v_perm_b32 v3, v11, v10, s0
	;; [unrolled: 1-line block ×4, first 2 shown]
	buffer_store_dwordx4 v[2:5], v1, s[28:31], 0 offen
	;;#ASMSTART
	s_nop 0
	;;#ASMEND
	s_endpgm
	.section	.rodata,"a",@progbits
	.p2align	6, 0x0
	.amdhsa_kernel _ZN5aiter35fused_qk_rmsnorm_group_quant_kernelItN4opus5fp4_tELi128ELi8ELi16ELb1ELb1ELb0ELb0ELb0ELb0EEEvPT0_PvPT_S7_S7_PKS6_S9_S9_S9_S9_ffiiiiiiiiiiiii
		.amdhsa_group_segment_fixed_size 16
		.amdhsa_private_segment_fixed_size 0
		.amdhsa_kernarg_size 400
		.amdhsa_user_sgpr_count 6
		.amdhsa_user_sgpr_private_segment_buffer 1
		.amdhsa_user_sgpr_dispatch_ptr 0
		.amdhsa_user_sgpr_queue_ptr 0
		.amdhsa_user_sgpr_kernarg_segment_ptr 1
		.amdhsa_user_sgpr_dispatch_id 0
		.amdhsa_user_sgpr_flat_scratch_init 0
		.amdhsa_user_sgpr_kernarg_preload_length 0
		.amdhsa_user_sgpr_kernarg_preload_offset 0
		.amdhsa_user_sgpr_private_segment_size 0
		.amdhsa_uses_dynamic_stack 0
		.amdhsa_system_sgpr_private_segment_wavefront_offset 0
		.amdhsa_system_sgpr_workgroup_id_x 1
		.amdhsa_system_sgpr_workgroup_id_y 1
		.amdhsa_system_sgpr_workgroup_id_z 0
		.amdhsa_system_sgpr_workgroup_info 0
		.amdhsa_system_vgpr_workitem_id 0
		.amdhsa_next_free_vgpr 27
		.amdhsa_next_free_sgpr 48
		.amdhsa_accum_offset 28
		.amdhsa_reserve_vcc 1
		.amdhsa_reserve_flat_scratch 0
		.amdhsa_float_round_mode_32 0
		.amdhsa_float_round_mode_16_64 0
		.amdhsa_float_denorm_mode_32 3
		.amdhsa_float_denorm_mode_16_64 3
		.amdhsa_dx10_clamp 1
		.amdhsa_ieee_mode 1
		.amdhsa_fp16_overflow 0
		.amdhsa_tg_split 0
		.amdhsa_exception_fp_ieee_invalid_op 0
		.amdhsa_exception_fp_denorm_src 0
		.amdhsa_exception_fp_ieee_div_zero 0
		.amdhsa_exception_fp_ieee_overflow 0
		.amdhsa_exception_fp_ieee_underflow 0
		.amdhsa_exception_fp_ieee_inexact 0
		.amdhsa_exception_int_div_zero 0
	.end_amdhsa_kernel
	.section	.text._ZN5aiter35fused_qk_rmsnorm_group_quant_kernelItN4opus5fp4_tELi128ELi8ELi16ELb1ELb1ELb0ELb0ELb0ELb0EEEvPT0_PvPT_S7_S7_PKS6_S9_S9_S9_S9_ffiiiiiiiiiiiii,"axG",@progbits,_ZN5aiter35fused_qk_rmsnorm_group_quant_kernelItN4opus5fp4_tELi128ELi8ELi16ELb1ELb1ELb0ELb0ELb0ELb0EEEvPT0_PvPT_S7_S7_PKS6_S9_S9_S9_S9_ffiiiiiiiiiiiii,comdat
.Lfunc_end336:
	.size	_ZN5aiter35fused_qk_rmsnorm_group_quant_kernelItN4opus5fp4_tELi128ELi8ELi16ELb1ELb1ELb0ELb0ELb0ELb0EEEvPT0_PvPT_S7_S7_PKS6_S9_S9_S9_S9_ffiiiiiiiiiiiii, .Lfunc_end336-_ZN5aiter35fused_qk_rmsnorm_group_quant_kernelItN4opus5fp4_tELi128ELi8ELi16ELb1ELb1ELb0ELb0ELb0ELb0EEEvPT0_PvPT_S7_S7_PKS6_S9_S9_S9_S9_ffiiiiiiiiiiiii
                                        ; -- End function
	.section	.AMDGPU.csdata,"",@progbits
; Kernel info:
; codeLenInByte = 2844
; NumSgprs: 52
; NumVgprs: 27
; NumAgprs: 0
; TotalNumVgprs: 27
; ScratchSize: 0
; MemoryBound: 0
; FloatMode: 240
; IeeeMode: 1
; LDSByteSize: 16 bytes/workgroup (compile time only)
; SGPRBlocks: 6
; VGPRBlocks: 3
; NumSGPRsForWavesPerEU: 52
; NumVGPRsForWavesPerEU: 27
; AccumOffset: 28
; Occupancy: 8
; WaveLimiterHint : 0
; COMPUTE_PGM_RSRC2:SCRATCH_EN: 0
; COMPUTE_PGM_RSRC2:USER_SGPR: 6
; COMPUTE_PGM_RSRC2:TRAP_HANDLER: 0
; COMPUTE_PGM_RSRC2:TGID_X_EN: 1
; COMPUTE_PGM_RSRC2:TGID_Y_EN: 1
; COMPUTE_PGM_RSRC2:TGID_Z_EN: 0
; COMPUTE_PGM_RSRC2:TIDIG_COMP_CNT: 0
; COMPUTE_PGM_RSRC3_GFX90A:ACCUM_OFFSET: 6
; COMPUTE_PGM_RSRC3_GFX90A:TG_SPLIT: 0
	.section	.text._ZN5aiter35fused_qk_rmsnorm_group_quant_kernelIDF16_DB8_Li128ELi8ELi16ELb1ELb0ELb1ELb0ELb0ELb0EEEvPT0_PvPT_S6_S6_PKS5_S8_S8_S8_S8_ffiiiiiiiiiiiii,"axG",@progbits,_ZN5aiter35fused_qk_rmsnorm_group_quant_kernelIDF16_DB8_Li128ELi8ELi16ELb1ELb0ELb1ELb0ELb0ELb0EEEvPT0_PvPT_S6_S6_PKS5_S8_S8_S8_S8_ffiiiiiiiiiiiii,comdat
	.protected	_ZN5aiter35fused_qk_rmsnorm_group_quant_kernelIDF16_DB8_Li128ELi8ELi16ELb1ELb0ELb1ELb0ELb0ELb0EEEvPT0_PvPT_S6_S6_PKS5_S8_S8_S8_S8_ffiiiiiiiiiiiii ; -- Begin function _ZN5aiter35fused_qk_rmsnorm_group_quant_kernelIDF16_DB8_Li128ELi8ELi16ELb1ELb0ELb1ELb0ELb0ELb0EEEvPT0_PvPT_S6_S6_PKS5_S8_S8_S8_S8_ffiiiiiiiiiiiii
	.globl	_ZN5aiter35fused_qk_rmsnorm_group_quant_kernelIDF16_DB8_Li128ELi8ELi16ELb1ELb0ELb1ELb0ELb0ELb0EEEvPT0_PvPT_S6_S6_PKS5_S8_S8_S8_S8_ffiiiiiiiiiiiii
	.p2align	8
	.type	_ZN5aiter35fused_qk_rmsnorm_group_quant_kernelIDF16_DB8_Li128ELi8ELi16ELb1ELb0ELb1ELb0ELb0ELb0EEEvPT0_PvPT_S6_S6_PKS5_S8_S8_S8_S8_ffiiiiiiiiiiiii,@function
_ZN5aiter35fused_qk_rmsnorm_group_quant_kernelIDF16_DB8_Li128ELi8ELi16ELb1ELb0ELb1ELb0ELb0ELb0EEEvPT0_PvPT_S6_S6_PKS5_S8_S8_S8_S8_ffiiiiiiiiiiiii: ; @_ZN5aiter35fused_qk_rmsnorm_group_quant_kernelIDF16_DB8_Li128ELi8ELi16ELb1ELb0ELb1ELb0ELb0ELb0EEEvPT0_PvPT_S6_S6_PKS5_S8_S8_S8_S8_ffiiiiiiiiiiiii
; %bb.0:
	s_load_dwordx8 s[12:19], s[4:5], 0x50
	s_waitcnt lgkmcnt(0)
	s_cmp_ge_i32 s6, s14
	s_cbranch_scc1 .LBB337_17
; %bb.1:
	s_cmp_lg_u32 s7, 0
	s_cselect_b64 s[10:11], -1, 0
	s_cmp_eq_u32 s7, 0
	s_cselect_b64 s[8:9], -1, 0
	s_and_b64 s[0:1], s[8:9], exec
	s_load_dwordx2 s[20:21], s[4:5], 0x48
	s_load_dwordx2 s[36:37], s[4:5], 0x30
	s_load_dwordx4 s[24:27], s[4:5], 0x70
	s_cselect_b32 s7, s15, s16
	s_add_i32 s0, s7, 1
	s_lshr_b32 s1, s0, 31
	s_add_i32 s0, s0, s1
	s_lshl_b32 s0, s0, 1
	v_lshlrev_b32_e32 v1, 3, v0
	s_and_b32 s30, s0, -4
	v_cmp_gt_i32_e64 s[0:1], s7, v1
	v_mov_b32_e32 v20, 0
	v_mov_b32_e32 v21, 0
	;; [unrolled: 1-line block ×8, first 2 shown]
	s_and_saveexec_b64 s[2:3], s[0:1]
	s_cbranch_execz .LBB337_3
; %bb.2:
	s_load_dwordx2 s[22:23], s[4:5], 0x28
	s_load_dwordx2 s[28:29], s[4:5], 0x40
	s_and_b64 s[34:35], s[8:9], exec
	s_cselect_b32 s14, s17, s18
	s_mov_b32 s31, 0x20000
	s_waitcnt lgkmcnt(0)
	s_cselect_b32 s17, s23, s37
	s_cselect_b32 s27, s22, s36
	s_mul_hi_i32 s23, s14, s6
	s_mul_i32 s22, s14, s6
	s_lshl_b64 s[22:23], s[22:23], 1
	s_add_u32 s40, s27, s22
	s_addc_u32 s14, s17, s23
	s_and_b64 s[22:23], s[8:9], exec
	s_cselect_b32 s28, s28, s20
	s_cselect_b32 s17, s29, s21
	v_lshlrev_b32_e32 v2, 4, v0
	s_and_b32 s41, s14, 0xffff
	s_mov_b32 s42, s30
	s_mov_b32 s43, s31
	s_and_b32 s29, s17, 0xffff
	buffer_load_dwordx4 v[24:27], v2, s[40:43], 0 offen glc slc
	buffer_load_dwordx4 v[20:23], v2, s[28:31], 0 offen
.LBB337_3:
	s_or_b64 exec, exec, s[2:3]
	s_load_dwordx2 s[34:35], s[4:5], 0x80
	s_and_b64 vcc, exec, s[10:11]
	s_cbranch_vccz .LBB337_7
; %bb.4:
	v_mov_b32_e32 v29, 0
	v_mov_b32_e32 v28, 0
	;; [unrolled: 1-line block ×8, first 2 shown]
	s_and_saveexec_b64 s[2:3], s[0:1]
	s_cbranch_execz .LBB337_6
; %bb.5:
	s_waitcnt vmcnt(1)
	v_cvt_f32_f16_sdwa v11, v24 dst_sel:DWORD dst_unused:UNUSED_PAD src0_sel:WORD_1
	v_cvt_f32_f16_e32 v10, v24
	v_cvt_f32_f16_sdwa v15, v25 dst_sel:DWORD dst_unused:UNUSED_PAD src0_sel:WORD_1
	v_cvt_f32_f16_e32 v14, v25
	;; [unrolled: 2-line block ×4, first 2 shown]
.LBB337_6:
	s_or_b64 exec, exec, s[2:3]
	s_cbranch_execz .LBB337_8
	s_branch .LBB337_11
.LBB337_7:
                                        ; implicit-def: $vgpr10_vgpr11_vgpr12_vgpr13_vgpr14_vgpr15_vgpr16_vgpr17
                                        ; implicit-def: $vgpr29
                                        ; implicit-def: $vgpr12_vgpr13_vgpr14_vgpr15_vgpr16_vgpr17_vgpr18_vgpr19
                                        ; implicit-def: $vgpr2_vgpr3_vgpr4_vgpr5_vgpr6_vgpr7_vgpr8_vgpr9
.LBB337_8:
	v_mov_b32_e32 v29, 0
	v_mov_b32_e32 v28, 0
	;; [unrolled: 1-line block ×8, first 2 shown]
	s_and_saveexec_b64 s[2:3], s[0:1]
	s_cbranch_execz .LBB337_10
; %bb.9:
	s_load_dwordx2 s[22:23], s[4:5], 0x38
	s_mul_hi_i32 s29, s19, s6
	s_mul_i32 s28, s19, s6
	s_lshl_b64 s[28:29], s[28:29], 1
	s_mov_b32 s31, 0x20000
	s_waitcnt lgkmcnt(0)
	s_add_u32 s28, s22, s28
	s_addc_u32 s14, s23, s29
	s_and_b32 s29, s14, 0xffff
	v_lshlrev_b32_e32 v30, 4, v0
	buffer_load_dwordx4 v[2:5], v30, s[28:31], 0 offen glc slc
	s_waitcnt vmcnt(2)
	v_cvt_f32_f16_sdwa v7, v24 dst_sel:DWORD dst_unused:UNUSED_PAD src0_sel:WORD_1
	v_cvt_f32_f16_e32 v6, v24
	v_cvt_f32_f16_sdwa v9, v25 dst_sel:DWORD dst_unused:UNUSED_PAD src0_sel:WORD_1
	v_cvt_f32_f16_e32 v8, v25
	v_cvt_f32_f16_sdwa v13, v26 dst_sel:DWORD dst_unused:UNUSED_PAD src0_sel:WORD_1
	v_cvt_f32_f16_e32 v12, v26
	v_cvt_f32_f16_sdwa v17, v27 dst_sel:DWORD dst_unused:UNUSED_PAD src0_sel:WORD_1
	v_cvt_f32_f16_e32 v16, v27
	s_load_dwordx2 s[22:23], s[4:5], 0x20
	s_mul_hi_i32 s29, s35, s6
	s_mul_i32 s28, s35, s6
	s_lshl_b64 s[28:29], s[28:29], 1
	s_waitcnt lgkmcnt(0)
	s_add_u32 s28, s22, s28
	s_addc_u32 s14, s23, s29
	s_and_b32 s29, s14, 0xffff
	s_waitcnt vmcnt(0)
	v_cvt_f32_f16_e32 v10, v2
	v_cvt_f32_f16_sdwa v11, v2 dst_sel:DWORD dst_unused:UNUSED_PAD src0_sel:WORD_1
	v_cvt_f32_f16_e32 v2, v3
	v_cvt_f32_f16_sdwa v3, v3 dst_sel:DWORD dst_unused:UNUSED_PAD src0_sel:WORD_1
	;; [unrolled: 2-line block ×4, first 2 shown]
	v_pk_add_f32 v[10:11], v[6:7], v[10:11]
	v_pk_add_f32 v[14:15], v[8:9], v[2:3]
	v_pk_add_f32 v[6:7], v[12:13], v[18:19]
	v_pk_add_f32 v[28:29], v[16:17], v[4:5]
	v_cvt_f16_f32_e32 v2, v11
	v_cvt_f16_f32_e32 v3, v15
	;; [unrolled: 1-line block ×8, first 2 shown]
	v_pack_b32_f16 v5, v8, v5
	v_pack_b32_f16 v4, v9, v4
	;; [unrolled: 1-line block ×4, first 2 shown]
	buffer_store_dwordx4 v[2:5], v30, s[28:31], 0 offen glc slc
	;;#ASMSTART
	s_nop 0
	;;#ASMEND
.LBB337_10:
	s_or_b64 exec, exec, s[2:3]
.LBB337_11:
	v_mul_f32_e32 v2, v11, v11
	v_fmac_f32_e32 v2, v10, v10
	v_fmac_f32_e32 v2, v14, v14
	v_fmac_f32_e32 v2, v15, v15
	v_fmac_f32_e32 v2, v6, v6
	v_fmac_f32_e32 v2, v7, v7
	v_fmac_f32_e32 v2, v28, v28
	v_fmac_f32_e32 v2, v29, v29
	v_and_b32_e32 v4, 63, v0
	v_cmp_eq_u32_e64 s[2:3], 63, v4
	v_mov_b32_dpp v3, v2 quad_perm:[1,0,3,2] row_mask:0xf bank_mask:0xf
	v_add_f32_e32 v2, v2, v3
	s_nop 1
	v_mov_b32_dpp v3, v2 quad_perm:[2,3,0,1] row_mask:0xf bank_mask:0xf
	v_add_f32_e32 v2, v2, v3
	s_nop 1
	v_mov_b32_dpp v3, v2 row_half_mirror row_mask:0xf bank_mask:0xf
	v_add_f32_e32 v2, v2, v3
	s_nop 1
	v_mov_b32_dpp v3, v2 row_mirror row_mask:0xf bank_mask:0xf
	v_add_f32_e32 v2, v2, v3
	s_nop 1
	v_mov_b32_dpp v3, v2 row_bcast:15 row_mask:0xf bank_mask:0xf
	v_add_f32_e32 v2, v2, v3
	s_nop 1
	v_mov_b32_dpp v3, v2 row_bcast:31 row_mask:0xf bank_mask:0xf
	s_and_saveexec_b64 s[22:23], s[2:3]
	s_cbranch_execz .LBB337_13
; %bb.12:
	v_add_f32_e32 v2, v2, v3
	v_lshrrev_b32_e32 v3, 4, v0
	v_and_b32_e32 v3, 60, v3
	ds_write_b32 v3, v2 offset:8
.LBB337_13:
	s_or_b64 exec, exec, s[22:23]
	v_and_b32_e32 v2, 1, v0
	v_lshlrev_b32_e32 v18, 2, v2
	s_waitcnt lgkmcnt(0)
	s_barrier
	ds_read_b32 v2, v18 offset:8
	s_load_dwordx2 s[38:39], s[4:5], 0x18
	s_waitcnt lgkmcnt(0)
	v_mov_b32_dpp v3, v2 quad_perm:[1,0,3,2] row_mask:0xf bank_mask:0xf
	s_and_saveexec_b64 s[22:23], s[0:1]
	s_cbranch_execnz .LBB337_18
; %bb.14:
	s_or_b64 exec, exec, s[22:23]
	s_mov_b64 s[8:9], -1
	s_and_b64 vcc, exec, s[10:11]
	s_cbranch_vccnz .LBB337_19
.LBB337_15:
	s_andn2_b64 vcc, exec, s[8:9]
	s_cbranch_vccz .LBB337_22
.LBB337_16:
	s_cmp_lt_i32 s16, 1
	s_cbranch_scc0 .LBB337_29
.LBB337_17:
	s_endpgm
.LBB337_18:
	v_cvt_f32_u32_e32 v4, s7
	v_add_f32_e32 v2, v2, v3
	v_mov_b32_e32 v8, s13
	v_mov_b32_e32 v9, s12
	v_div_scale_f32 v3, s[28:29], v4, v4, v2
	v_rcp_f32_e32 v5, v3
	v_cndmask_b32_e64 v8, v8, v9, s[8:9]
	s_mov_b32 s7, 0x800000
	s_waitcnt vmcnt(0)
	v_cvt_f32_f16_sdwa v17, v23 dst_sel:DWORD dst_unused:UNUSED_PAD src0_sel:WORD_1
	v_fma_f32 v9, -v3, v5, 1.0
	v_fmac_f32_e32 v5, v9, v5
	v_div_scale_f32 v9, vcc, v2, v4, v2
	v_mul_f32_e32 v12, v9, v5
	v_fma_f32 v13, -v3, v12, v9
	v_fmac_f32_e32 v12, v13, v5
	v_fma_f32 v3, -v3, v12, v9
	v_div_fmas_f32 v3, v3, v5, v12
	v_div_fixup_f32 v2, v3, v4, v2
	v_add_f32_e32 v2, v8, v2
	v_mul_f32_e32 v3, 0x4b800000, v2
	v_cmp_gt_f32_e32 vcc, s7, v2
	v_cndmask_b32_e32 v2, v2, v3, vcc
	v_rsq_f32_e32 v2, v2
	v_cvt_f32_f16_sdwa v13, v21 dst_sel:DWORD dst_unused:UNUSED_PAD src0_sel:WORD_1
	v_cvt_f32_f16_e32 v12, v21
	v_cvt_f32_f16_e32 v16, v23
	v_mul_f32_e32 v3, 0x45800000, v2
	v_cndmask_b32_e32 v2, v2, v3, vcc
	v_mov_b32_e32 v3, v2
	;;#ASMSTART
	v_pk_mul_f32 v[4:5], v[10:11], v[2:3]
	;;#ASMEND
	v_cvt_f32_f16_sdwa v11, v20 dst_sel:DWORD dst_unused:UNUSED_PAD src0_sel:WORD_1
	v_cvt_f32_f16_e32 v10, v20
	;;#ASMSTART
	v_pk_mul_f32 v[8:9], v[14:15], v[2:3]
	;;#ASMEND
	;;#ASMSTART
	v_pk_mul_f32 v[6:7], v[6:7], v[2:3]
	;;#ASMEND
	;; [unrolled: 3-line block ×3, first 2 shown]
	v_pk_add_f32 v[10:11], v[10:11], 1.0 op_sel_hi:[1,0]
	;;#ASMSTART
	v_pk_mul_f32 v[10:11], v[4:5], v[10:11]
	;;#ASMEND
	v_pk_add_f32 v[4:5], v[12:13], 1.0 op_sel_hi:[1,0]
	v_cvt_f32_f16_sdwa v13, v22 dst_sel:DWORD dst_unused:UNUSED_PAD src0_sel:WORD_1
	v_cvt_f32_f16_e32 v12, v22
	;;#ASMSTART
	v_pk_mul_f32 v[14:15], v[8:9], v[4:5]
	;;#ASMEND
	v_pk_add_f32 v[4:5], v[12:13], 1.0 op_sel_hi:[1,0]
	;;#ASMSTART
	v_pk_mul_f32 v[6:7], v[6:7], v[4:5]
	;;#ASMEND
	v_pk_add_f32 v[4:5], v[16:17], 1.0 op_sel_hi:[1,0]
	;;#ASMSTART
	v_pk_mul_f32 v[28:29], v[2:3], v[4:5]
	;;#ASMEND
	s_or_b64 exec, exec, s[22:23]
	s_mov_b64 s[8:9], -1
	s_and_b64 vcc, exec, s[10:11]
	s_cbranch_vccz .LBB337_15
.LBB337_19:
	s_and_saveexec_b64 s[8:9], s[0:1]
	s_cbranch_execz .LBB337_21
; %bb.20:
	s_mul_hi_i32 s11, s34, s6
	s_mul_i32 s10, s34, s6
	v_cvt_f16_f32_e32 v2, v10
	v_cvt_f16_f32_e32 v3, v14
	v_cvt_f16_f32_e32 v4, v6
	v_cvt_f16_f32_e32 v5, v28
	v_cvt_f16_f32_e32 v8, v29
	v_cvt_f16_f32_e32 v9, v7
	v_cvt_f16_f32_e32 v12, v15
	v_cvt_f16_f32_e32 v13, v11
	s_lshl_b64 s[10:11], s[10:11], 1
	s_add_u32 s28, s38, s10
	s_addc_u32 s7, s39, s11
	s_and_b32 s29, s7, 0xffff
	s_mov_b32 s31, 0x20000
	v_pack_b32_f16 v5, v5, v8
	v_pack_b32_f16 v4, v4, v9
	;; [unrolled: 1-line block ×4, first 2 shown]
	v_lshlrev_b32_e32 v8, 4, v0
	buffer_store_dwordx4 v[2:5], v8, s[28:31], 0 offen
	;;#ASMSTART
	s_nop 0
	;;#ASMEND
.LBB337_21:
	s_or_b64 exec, exec, s[8:9]
	s_cbranch_execnz .LBB337_16
.LBB337_22:
	v_mov_b32_e32 v2, 0
	s_and_saveexec_b64 s[8:9], s[0:1]
	s_cbranch_execz .LBB337_24
; %bb.23:
	v_and_b32_e32 v2, 0x7fffffff, v10
	v_and_b32_e32 v3, 0x7fffffff, v11
	v_mov_b32_e32 v4, 0x2edbe6ff
	;;#ASMSTART
	v_max3_f32 v2, v4, v2, v3

	;;#ASMEND
	v_and_b32_e32 v3, 0x7fffffff, v14
	v_and_b32_e32 v4, 0x7fffffff, v15
	;;#ASMSTART
	v_max3_f32 v2, v2, v3, v4

	;;#ASMEND
	v_and_b32_e32 v3, 0x7fffffff, v6
	v_and_b32_e32 v4, 0x7fffffff, v7
	;;#ASMSTART
	v_max3_f32 v2, v2, v3, v4

	;;#ASMEND
	v_and_b32_e32 v3, 0x7fffffff, v28
	v_and_b32_e32 v4, 0x7fffffff, v29
	;;#ASMSTART
	v_max3_f32 v2, v2, v3, v4

	;;#ASMEND
.LBB337_24:
	s_or_b64 exec, exec, s[8:9]
	;;#ASMSTART
	v_max_f32 v3, v2, v2 quad_perm:[1,0,3,2] row_mask:0xf bank_mask:0xf bound_ctrl:1
	;;#ASMEND
	;;#ASMSTART
	v_max_f32 v2, v3, v3 quad_perm:[2,3,0,1] row_mask:0xf bank_mask:0xf bound_ctrl:1
	;;#ASMEND
	;;#ASMSTART
	v_max_f32 v3, v2, v2 row_half_mirror row_mask:0xf bank_mask:0xf bound_ctrl:1
	;;#ASMEND
	;;#ASMSTART
	v_max_f32 v2, v3, v3 row_mirror row_mask:0xf bank_mask:0xf bound_ctrl:1
	;;#ASMEND
	v_and_b32_e32 v3, 15, v0
	v_cmp_eq_u32_e32 vcc, 0, v3
	v_cmp_gt_i32_e64 s[8:9], s15, v1
	v_mul_f32_e32 v2, 0x3b124925, v2
	s_and_b64 s[10:11], vcc, s[8:9]
	s_and_saveexec_b64 s[8:9], s[10:11]
	s_cbranch_execz .LBB337_26
; %bb.25:
	s_load_dwordx2 s[10:11], s[4:5], 0x8
	s_mul_hi_i32 s23, s25, s6
	s_mul_i32 s22, s25, s6
	v_lshrrev_b32_e32 v3, 4, v0
	s_lshl_b64 s[22:23], s[22:23], 2
	v_mad_i64_i32 v[4:5], s[26:27], s26, v3, 0
	s_waitcnt lgkmcnt(0)
	s_add_u32 s7, s10, s22
	s_addc_u32 s10, s11, s23
	v_lshlrev_b64 v[4:5], 2, v[4:5]
	v_mov_b32_e32 v3, s10
	v_add_co_u32_e32 v4, vcc, s7, v4
	v_addc_co_u32_e32 v5, vcc, v3, v5, vcc
	global_store_dword v[4:5], v2, off
.LBB337_26:
	s_or_b64 exec, exec, s[8:9]
	;;#ASMSTART
	v_rcp_f32 v2, v2
	;;#ASMEND
	s_and_saveexec_b64 s[22:23], s[0:1]
	s_cbranch_execz .LBB337_28
; %bb.27:
	s_load_dwordx2 s[0:1], s[4:5], 0x0
	s_mul_i32 s8, s24, s6
	v_mov_b32_e32 v3, v2
	;;#ASMSTART
	v_pk_mul_f32 v[4:5], v[10:11], v[2:3]
	;;#ASMEND
	s_mul_hi_i32 s7, s24, s6
	s_waitcnt lgkmcnt(0)
	s_add_u32 s8, s0, s8
	v_mov_b32_e32 v8, 0xc3e00000
	v_mov_b32_e32 v9, 0x43e00000
	;;#ASMSTART
	v_med3_f32 v4, v4, v8, v9
v_med3_f32 v5, v5, v8, v9
v_cvt_pk_fp8_f32 v10, v4, v5
	;;#ASMEND
	s_addc_u32 s0, s1, s7
	;;#ASMSTART
	v_pk_mul_f32 v[4:5], v[14:15], v[2:3]
	;;#ASMEND
	s_and_b32 s9, s0, 0xffff
	;;#ASMSTART
	v_med3_f32 v4, v4, v8, v9
v_med3_f32 v5, v5, v8, v9
v_cvt_pk_fp8_f32 v11, v4, v5
	;;#ASMEND
	s_mov_b32 s0, 0x5040100
	v_perm_b32 v5, v11, v10, s0
	s_movk_i32 s0, 0xff
	v_and_b32_e32 v4, 0xffffff00, v11
	v_and_b32_sdwa v10, v5, s0 dst_sel:DWORD dst_unused:UNUSED_PAD src0_sel:WORD_1 src1_sel:DWORD
	s_mov_b32 s12, 0xffff
	v_or_b32_sdwa v4, v10, v4 dst_sel:WORD_1 dst_unused:UNUSED_PAD src0_sel:DWORD src1_sel:DWORD
	s_add_i32 s1, s15, 3
	v_and_or_b32 v4, v5, s12, v4
	;;#ASMSTART
	v_pk_mul_f32 v[6:7], v[6:7], v[2:3]
	;;#ASMEND
	v_mov_b32_e32 v5, v7
	s_ashr_i32 s7, s1, 31
	;;#ASMSTART
	v_med3_f32 v6, v6, v8, v9
v_med3_f32 v5, v5, v8, v9
v_cvt_pk_fp8_f32 v7, v6, v5
	;;#ASMEND
	;;#ASMSTART
	v_pk_mul_f32 v[2:3], v[28:29], v[2:3]
	;;#ASMEND
	s_lshr_b32 s7, s7, 30
	;;#ASMSTART
	v_med3_f32 v2, v2, v8, v9
v_med3_f32 v3, v3, v8, v9
v_cvt_pk_fp8_f32 v5, v2, v3
	;;#ASMEND
	s_add_i32 s1, s1, s7
	v_lshlrev_b32_e32 v2, 16, v5
	s_and_b32 s10, s1, -4
	s_mov_b32 s11, 0x20000
	v_and_or_b32 v5, v7, s12, v2
	buffer_store_dwordx2 v[4:5], v1, s[8:11], 0 offen
	;;#ASMSTART
	s_nop 0
	;;#ASMEND
.LBB337_28:
	s_or_b64 exec, exec, s[22:23]
	s_cmp_lt_i32 s16, 1
	s_cbranch_scc1 .LBB337_17
.LBB337_29:
	s_load_dword s0, s[4:5], 0x94
	s_waitcnt lgkmcnt(0)
	s_cmp_lg_u32 s0, 1
	s_cbranch_scc1 .LBB337_17
; %bb.30:
	s_lshl_b32 s0, s16, 1
	s_add_i32 s0, s0, 2
	v_cmp_gt_u32_e32 vcc, s16, v1
	s_and_b32 s22, s0, -4
	v_mov_b32_e32 v10, 0
	v_lshlrev_b32_e32 v1, 4, v0
	v_mov_b32_e32 v6, 0
	v_mov_b32_e32 v7, 0
	;; [unrolled: 1-line block ×8, first 2 shown]
	s_barrier
	s_and_saveexec_b64 s[0:1], vcc
	s_cbranch_execz .LBB337_32
; %bb.31:
	s_mul_hi_i32 s5, s18, s6
	s_mul_i32 s4, s18, s6
	s_and_b32 s21, s21, 0xffff
	s_lshl_b64 s[4:5], s[4:5], 1
	s_add_u32 s8, s36, s4
	s_mov_b32 s23, 0x20000
	s_addc_u32 s4, s37, s5
	s_and_b32 s9, s4, 0xffff
	s_mov_b32 s10, s22
	s_mov_b32 s11, s23
	buffer_load_dwordx4 v[6:9], v1, s[8:11], 0 offen glc slc
	buffer_load_dwordx4 v[2:5], v1, s[20:23], 0 offen
.LBB337_32:
	s_or_b64 exec, exec, s[0:1]
	v_mov_b32_e32 v11, 0
	v_mov_b32_e32 v16, 0
	v_mov_b32_e32 v17, 0
	v_mov_b32_e32 v14, 0
	v_mov_b32_e32 v15, 0
	v_mov_b32_e32 v12, 0
	v_mov_b32_e32 v13, 0
	s_and_saveexec_b64 s[0:1], vcc
	s_cbranch_execz .LBB337_34
; %bb.33:
	s_waitcnt vmcnt(1)
	v_cvt_f32_f16_sdwa v11, v6 dst_sel:DWORD dst_unused:UNUSED_PAD src0_sel:WORD_1
	v_cvt_f32_f16_e32 v10, v6
	v_cvt_f32_f16_sdwa v17, v7 dst_sel:DWORD dst_unused:UNUSED_PAD src0_sel:WORD_1
	v_cvt_f32_f16_e32 v16, v7
	;; [unrolled: 2-line block ×4, first 2 shown]
.LBB337_34:
	s_or_b64 exec, exec, s[0:1]
	s_waitcnt vmcnt(1)
	v_mul_f32_e32 v6, v11, v11
	v_fmac_f32_e32 v6, v10, v10
	v_fmac_f32_e32 v6, v16, v16
	;; [unrolled: 1-line block ×7, first 2 shown]
	s_nop 1
	v_mov_b32_dpp v7, v6 quad_perm:[1,0,3,2] row_mask:0xf bank_mask:0xf
	v_add_f32_e32 v6, v6, v7
	s_nop 1
	v_mov_b32_dpp v7, v6 quad_perm:[2,3,0,1] row_mask:0xf bank_mask:0xf
	v_add_f32_e32 v6, v6, v7
	s_nop 1
	v_mov_b32_dpp v7, v6 row_half_mirror row_mask:0xf bank_mask:0xf
	v_add_f32_e32 v6, v6, v7
	s_nop 1
	v_mov_b32_dpp v7, v6 row_mirror row_mask:0xf bank_mask:0xf
	v_add_f32_e32 v6, v6, v7
	s_nop 1
	v_mov_b32_dpp v7, v6 row_bcast:15 row_mask:0xf bank_mask:0xf
	v_add_f32_e32 v6, v6, v7
	s_nop 1
	v_mov_b32_dpp v7, v6 row_bcast:31 row_mask:0xf bank_mask:0xf
	s_and_saveexec_b64 s[0:1], s[2:3]
	s_cbranch_execz .LBB337_36
; %bb.35:
	v_lshrrev_b32_e32 v0, 4, v0
	v_add_f32_e32 v6, v6, v7
	v_and_b32_e32 v0, 60, v0
	ds_write_b32 v0, v6
.LBB337_36:
	s_or_b64 exec, exec, s[0:1]
	s_waitcnt lgkmcnt(0)
	s_barrier
	ds_read_b32 v0, v18
	s_waitcnt lgkmcnt(0)
	s_nop 0
	v_mov_b32_dpp v6, v0 quad_perm:[1,0,3,2] row_mask:0xf bank_mask:0xf
	s_and_saveexec_b64 s[0:1], vcc
	s_cbranch_execz .LBB337_17
; %bb.37:
	v_cvt_f32_u32_e32 v7, s16
	v_add_f32_e32 v0, v0, v6
	s_mov_b32 s23, 0x20000
	v_div_scale_f32 v6, s[0:1], v7, v7, v0
	v_rcp_f32_e32 v8, v6
	v_div_scale_f32 v9, vcc, v0, v7, v0
	s_mov_b32 s0, 0x800000
	v_fma_f32 v18, -v6, v8, 1.0
	v_fmac_f32_e32 v8, v18, v8
	v_mul_f32_e32 v18, v9, v8
	v_fma_f32 v19, -v6, v18, v9
	v_fmac_f32_e32 v18, v19, v8
	v_fma_f32 v6, -v6, v18, v9
	v_div_fmas_f32 v6, v6, v8, v18
	v_div_fixup_f32 v0, v6, v7, v0
	v_add_f32_e32 v0, s13, v0
	v_mul_f32_e32 v6, 0x4b800000, v0
	v_cmp_gt_f32_e32 vcc, s0, v0
	v_cndmask_b32_e32 v0, v0, v6, vcc
	v_rsq_f32_e32 v0, v0
	s_waitcnt vmcnt(0)
	v_cvt_f32_f16_sdwa v19, v3 dst_sel:DWORD dst_unused:UNUSED_PAD src0_sel:WORD_1
	v_cvt_f32_f16_e32 v18, v3
	s_mul_hi_i32 s1, s34, s6
	v_mul_f32_e32 v6, 0x45800000, v0
	v_cndmask_b32_e32 v6, v0, v6, vcc
	v_mov_b32_e32 v7, v6
	;;#ASMSTART
	v_pk_mul_f32 v[8:9], v[10:11], v[6:7]
	;;#ASMEND
	;;#ASMSTART
	v_pk_mul_f32 v[10:11], v[16:17], v[6:7]
	;;#ASMEND
	v_cvt_f32_f16_sdwa v17, v2 dst_sel:DWORD dst_unused:UNUSED_PAD src0_sel:WORD_1
	v_cvt_f32_f16_e32 v16, v2
	;;#ASMSTART
	v_pk_mul_f32 v[14:15], v[14:15], v[6:7]
	;;#ASMEND
	;;#ASMSTART
	v_pk_mul_f32 v[2:3], v[12:13], v[6:7]
	;;#ASMEND
	v_cvt_f32_f16_sdwa v13, v4 dst_sel:DWORD dst_unused:UNUSED_PAD src0_sel:WORD_1
	v_cvt_f32_f16_e32 v12, v4
	v_pk_add_f32 v[6:7], v[16:17], 1.0 op_sel_hi:[1,0]
	v_cvt_f32_f16_sdwa v17, v5 dst_sel:DWORD dst_unused:UNUSED_PAD src0_sel:WORD_1
	v_cvt_f32_f16_e32 v16, v5
	;;#ASMSTART
	v_pk_mul_f32 v[6:7], v[8:9], v[6:7]
	;;#ASMEND
	v_pk_add_f32 v[8:9], v[18:19], 1.0 op_sel_hi:[1,0]
	;;#ASMSTART
	v_pk_mul_f32 v[4:5], v[10:11], v[8:9]
	;;#ASMEND
	v_pk_add_f32 v[8:9], v[12:13], 1.0 op_sel_hi:[1,0]
	;; [unrolled: 4-line block ×3, first 2 shown]
	;;#ASMSTART
	v_pk_mul_f32 v[2:3], v[2:3], v[10:11]
	;;#ASMEND
	s_mul_i32 s0, s34, s6
	v_cvt_f16_f32_e32 v0, v6
	v_cvt_f16_f32_e32 v6, v7
	;; [unrolled: 1-line block ×8, first 2 shown]
	s_lshl_b64 s[0:1], s[0:1], 1
	s_add_u32 s20, s38, s0
	s_addc_u32 s0, s39, s1
	s_and_b32 s21, s0, 0xffff
	v_pack_b32_f16 v2, v0, v6
	v_pack_b32_f16 v3, v4, v5
	;; [unrolled: 1-line block ×4, first 2 shown]
	buffer_store_dwordx4 v[2:5], v1, s[20:23], 0 offen
	;;#ASMSTART
	s_nop 0
	;;#ASMEND
	s_endpgm
	.section	.rodata,"a",@progbits
	.p2align	6, 0x0
	.amdhsa_kernel _ZN5aiter35fused_qk_rmsnorm_group_quant_kernelIDF16_DB8_Li128ELi8ELi16ELb1ELb0ELb1ELb0ELb0ELb0EEEvPT0_PvPT_S6_S6_PKS5_S8_S8_S8_S8_ffiiiiiiiiiiiii
		.amdhsa_group_segment_fixed_size 16
		.amdhsa_private_segment_fixed_size 0
		.amdhsa_kernarg_size 400
		.amdhsa_user_sgpr_count 6
		.amdhsa_user_sgpr_private_segment_buffer 1
		.amdhsa_user_sgpr_dispatch_ptr 0
		.amdhsa_user_sgpr_queue_ptr 0
		.amdhsa_user_sgpr_kernarg_segment_ptr 1
		.amdhsa_user_sgpr_dispatch_id 0
		.amdhsa_user_sgpr_flat_scratch_init 0
		.amdhsa_user_sgpr_kernarg_preload_length 0
		.amdhsa_user_sgpr_kernarg_preload_offset 0
		.amdhsa_user_sgpr_private_segment_size 0
		.amdhsa_uses_dynamic_stack 0
		.amdhsa_system_sgpr_private_segment_wavefront_offset 0
		.amdhsa_system_sgpr_workgroup_id_x 1
		.amdhsa_system_sgpr_workgroup_id_y 1
		.amdhsa_system_sgpr_workgroup_id_z 0
		.amdhsa_system_sgpr_workgroup_info 0
		.amdhsa_system_vgpr_workitem_id 0
		.amdhsa_next_free_vgpr 31
		.amdhsa_next_free_sgpr 44
		.amdhsa_accum_offset 32
		.amdhsa_reserve_vcc 1
		.amdhsa_reserve_flat_scratch 0
		.amdhsa_float_round_mode_32 0
		.amdhsa_float_round_mode_16_64 0
		.amdhsa_float_denorm_mode_32 3
		.amdhsa_float_denorm_mode_16_64 3
		.amdhsa_dx10_clamp 1
		.amdhsa_ieee_mode 1
		.amdhsa_fp16_overflow 0
		.amdhsa_tg_split 0
		.amdhsa_exception_fp_ieee_invalid_op 0
		.amdhsa_exception_fp_denorm_src 0
		.amdhsa_exception_fp_ieee_div_zero 0
		.amdhsa_exception_fp_ieee_overflow 0
		.amdhsa_exception_fp_ieee_underflow 0
		.amdhsa_exception_fp_ieee_inexact 0
		.amdhsa_exception_int_div_zero 0
	.end_amdhsa_kernel
	.section	.text._ZN5aiter35fused_qk_rmsnorm_group_quant_kernelIDF16_DB8_Li128ELi8ELi16ELb1ELb0ELb1ELb0ELb0ELb0EEEvPT0_PvPT_S6_S6_PKS5_S8_S8_S8_S8_ffiiiiiiiiiiiii,"axG",@progbits,_ZN5aiter35fused_qk_rmsnorm_group_quant_kernelIDF16_DB8_Li128ELi8ELi16ELb1ELb0ELb1ELb0ELb0ELb0EEEvPT0_PvPT_S6_S6_PKS5_S8_S8_S8_S8_ffiiiiiiiiiiiii,comdat
.Lfunc_end337:
	.size	_ZN5aiter35fused_qk_rmsnorm_group_quant_kernelIDF16_DB8_Li128ELi8ELi16ELb1ELb0ELb1ELb0ELb0ELb0EEEvPT0_PvPT_S6_S6_PKS5_S8_S8_S8_S8_ffiiiiiiiiiiiii, .Lfunc_end337-_ZN5aiter35fused_qk_rmsnorm_group_quant_kernelIDF16_DB8_Li128ELi8ELi16ELb1ELb0ELb1ELb0ELb0ELb0EEEvPT0_PvPT_S6_S6_PKS5_S8_S8_S8_S8_ffiiiiiiiiiiiii
                                        ; -- End function
	.section	.AMDGPU.csdata,"",@progbits
; Kernel info:
; codeLenInByte = 2884
; NumSgprs: 48
; NumVgprs: 31
; NumAgprs: 0
; TotalNumVgprs: 31
; ScratchSize: 0
; MemoryBound: 0
; FloatMode: 240
; IeeeMode: 1
; LDSByteSize: 16 bytes/workgroup (compile time only)
; SGPRBlocks: 5
; VGPRBlocks: 3
; NumSGPRsForWavesPerEU: 48
; NumVGPRsForWavesPerEU: 31
; AccumOffset: 32
; Occupancy: 8
; WaveLimiterHint : 0
; COMPUTE_PGM_RSRC2:SCRATCH_EN: 0
; COMPUTE_PGM_RSRC2:USER_SGPR: 6
; COMPUTE_PGM_RSRC2:TRAP_HANDLER: 0
; COMPUTE_PGM_RSRC2:TGID_X_EN: 1
; COMPUTE_PGM_RSRC2:TGID_Y_EN: 1
; COMPUTE_PGM_RSRC2:TGID_Z_EN: 0
; COMPUTE_PGM_RSRC2:TIDIG_COMP_CNT: 0
; COMPUTE_PGM_RSRC3_GFX90A:ACCUM_OFFSET: 7
; COMPUTE_PGM_RSRC3_GFX90A:TG_SPLIT: 0
	.section	.text._ZN5aiter35fused_qk_rmsnorm_group_quant_kernelItDB8_Li128ELi8ELi16ELb1ELb0ELb1ELb0ELb0ELb0EEEvPT0_PvPT_S6_S6_PKS5_S8_S8_S8_S8_ffiiiiiiiiiiiii,"axG",@progbits,_ZN5aiter35fused_qk_rmsnorm_group_quant_kernelItDB8_Li128ELi8ELi16ELb1ELb0ELb1ELb0ELb0ELb0EEEvPT0_PvPT_S6_S6_PKS5_S8_S8_S8_S8_ffiiiiiiiiiiiii,comdat
	.protected	_ZN5aiter35fused_qk_rmsnorm_group_quant_kernelItDB8_Li128ELi8ELi16ELb1ELb0ELb1ELb0ELb0ELb0EEEvPT0_PvPT_S6_S6_PKS5_S8_S8_S8_S8_ffiiiiiiiiiiiii ; -- Begin function _ZN5aiter35fused_qk_rmsnorm_group_quant_kernelItDB8_Li128ELi8ELi16ELb1ELb0ELb1ELb0ELb0ELb0EEEvPT0_PvPT_S6_S6_PKS5_S8_S8_S8_S8_ffiiiiiiiiiiiii
	.globl	_ZN5aiter35fused_qk_rmsnorm_group_quant_kernelItDB8_Li128ELi8ELi16ELb1ELb0ELb1ELb0ELb0ELb0EEEvPT0_PvPT_S6_S6_PKS5_S8_S8_S8_S8_ffiiiiiiiiiiiii
	.p2align	8
	.type	_ZN5aiter35fused_qk_rmsnorm_group_quant_kernelItDB8_Li128ELi8ELi16ELb1ELb0ELb1ELb0ELb0ELb0EEEvPT0_PvPT_S6_S6_PKS5_S8_S8_S8_S8_ffiiiiiiiiiiiii,@function
_ZN5aiter35fused_qk_rmsnorm_group_quant_kernelItDB8_Li128ELi8ELi16ELb1ELb0ELb1ELb0ELb0ELb0EEEvPT0_PvPT_S6_S6_PKS5_S8_S8_S8_S8_ffiiiiiiiiiiiii: ; @_ZN5aiter35fused_qk_rmsnorm_group_quant_kernelItDB8_Li128ELi8ELi16ELb1ELb0ELb1ELb0ELb0ELb0EEEvPT0_PvPT_S6_S6_PKS5_S8_S8_S8_S8_ffiiiiiiiiiiiii
; %bb.0:
	s_load_dwordx8 s[12:19], s[4:5], 0x50
	s_waitcnt lgkmcnt(0)
	s_cmp_ge_i32 s6, s14
	s_cbranch_scc1 .LBB338_17
; %bb.1:
	s_cmp_lg_u32 s7, 0
	s_cselect_b64 s[10:11], -1, 0
	s_cmp_eq_u32 s7, 0
	s_cselect_b64 s[8:9], -1, 0
	s_and_b64 s[0:1], s[8:9], exec
	s_load_dwordx2 s[20:21], s[4:5], 0x48
	s_load_dwordx2 s[36:37], s[4:5], 0x30
	s_load_dwordx4 s[24:27], s[4:5], 0x70
	s_cselect_b32 s7, s15, s16
	s_add_i32 s0, s7, 1
	s_lshr_b32 s1, s0, 31
	s_add_i32 s0, s0, s1
	s_lshl_b32 s0, s0, 1
	v_lshlrev_b32_e32 v1, 3, v0
	s_and_b32 s30, s0, -4
	v_cmp_gt_i32_e64 s[0:1], s7, v1
	v_mov_b32_e32 v10, 0
	v_mov_b32_e32 v11, 0
	;; [unrolled: 1-line block ×8, first 2 shown]
	s_and_saveexec_b64 s[2:3], s[0:1]
	s_cbranch_execz .LBB338_3
; %bb.2:
	s_load_dwordx2 s[22:23], s[4:5], 0x28
	s_load_dwordx2 s[28:29], s[4:5], 0x40
	s_and_b64 s[34:35], s[8:9], exec
	s_cselect_b32 s14, s17, s18
	s_mov_b32 s31, 0x20000
	s_waitcnt lgkmcnt(0)
	s_cselect_b32 s17, s23, s37
	s_cselect_b32 s27, s22, s36
	s_mul_hi_i32 s23, s14, s6
	s_mul_i32 s22, s14, s6
	s_lshl_b64 s[22:23], s[22:23], 1
	s_add_u32 s40, s27, s22
	s_addc_u32 s14, s17, s23
	s_and_b64 s[22:23], s[8:9], exec
	s_cselect_b32 s28, s28, s20
	s_cselect_b32 s17, s29, s21
	v_lshlrev_b32_e32 v2, 4, v0
	s_and_b32 s41, s14, 0xffff
	s_mov_b32 s42, s30
	s_mov_b32 s43, s31
	s_and_b32 s29, s17, 0xffff
	buffer_load_dwordx4 v[14:17], v2, s[40:43], 0 offen glc slc
	buffer_load_dwordx4 v[10:13], v2, s[28:31], 0 offen
.LBB338_3:
	s_or_b64 exec, exec, s[2:3]
	s_load_dwordx2 s[34:35], s[4:5], 0x80
	s_and_b64 vcc, exec, s[10:11]
	s_cbranch_vccz .LBB338_7
; %bb.4:
	s_mov_b32 s40, 0
	s_mov_b32 s41, s40
	;; [unrolled: 1-line block ×8, first 2 shown]
	v_pk_mov_b32 v[2:3], s[40:41], s[40:41] op_sel:[0,1]
	v_pk_mov_b32 v[4:5], s[42:43], s[42:43] op_sel:[0,1]
	v_pk_mov_b32 v[6:7], s[44:45], s[44:45] op_sel:[0,1]
	v_pk_mov_b32 v[8:9], s[46:47], s[46:47] op_sel:[0,1]
	s_and_saveexec_b64 s[2:3], s[0:1]
	s_cbranch_execz .LBB338_6
; %bb.5:
	s_waitcnt vmcnt(1)
	v_cvt_f32_u32_sdwa v3, v14 dst_sel:DWORD dst_unused:UNUSED_PAD src0_sel:WORD_1
	v_cvt_f32_u32_sdwa v2, v14 dst_sel:DWORD dst_unused:UNUSED_PAD src0_sel:WORD_0
	v_cvt_f32_u32_sdwa v5, v15 dst_sel:DWORD dst_unused:UNUSED_PAD src0_sel:WORD_1
	v_cvt_f32_u32_sdwa v4, v15 dst_sel:DWORD dst_unused:UNUSED_PAD src0_sel:WORD_0
	;; [unrolled: 2-line block ×4, first 2 shown]
.LBB338_6:
	s_or_b64 exec, exec, s[2:3]
	s_cbranch_execz .LBB338_8
	s_branch .LBB338_11
.LBB338_7:
                                        ; implicit-def: $vgpr2_vgpr3_vgpr4_vgpr5_vgpr6_vgpr7_vgpr8_vgpr9
.LBB338_8:
	s_mov_b32 s40, 0
	s_mov_b32 s41, s40
	;; [unrolled: 1-line block ×8, first 2 shown]
	v_pk_mov_b32 v[2:3], s[40:41], s[40:41] op_sel:[0,1]
	v_pk_mov_b32 v[4:5], s[42:43], s[42:43] op_sel:[0,1]
	;; [unrolled: 1-line block ×4, first 2 shown]
	s_and_saveexec_b64 s[2:3], s[0:1]
	s_cbranch_execz .LBB338_10
; %bb.9:
	s_load_dwordx2 s[22:23], s[4:5], 0x38
	s_mul_hi_i32 s29, s19, s6
	s_mul_i32 s28, s19, s6
	s_lshl_b64 s[28:29], s[28:29], 1
	s_mov_b32 s31, 0x20000
	s_waitcnt lgkmcnt(0)
	s_add_u32 s28, s22, s28
	s_addc_u32 s14, s23, s29
	s_and_b32 s29, s14, 0xffff
	v_lshlrev_b32_e32 v26, 4, v0
	buffer_load_dwordx4 v[2:5], v26, s[28:31], 0 offen glc slc
	s_load_dwordx2 s[22:23], s[4:5], 0x20
	s_waitcnt vmcnt(2)
	v_cvt_f32_u32_sdwa v7, v14 dst_sel:DWORD dst_unused:UNUSED_PAD src0_sel:WORD_1
	v_cvt_f32_u32_sdwa v6, v14 dst_sel:DWORD dst_unused:UNUSED_PAD src0_sel:WORD_0
	v_cvt_f32_u32_sdwa v9, v15 dst_sel:DWORD dst_unused:UNUSED_PAD src0_sel:WORD_1
	v_cvt_f32_u32_sdwa v8, v15 dst_sel:DWORD dst_unused:UNUSED_PAD src0_sel:WORD_0
	;; [unrolled: 2-line block ×4, first 2 shown]
	s_mul_hi_i32 s29, s35, s6
	s_mul_i32 s28, s35, s6
	s_lshl_b64 s[28:29], s[28:29], 1
	s_waitcnt lgkmcnt(0)
	s_add_u32 s28, s22, s28
	s_mov_b32 s14, 0x7060302
	s_addc_u32 s17, s23, s29
	s_and_b32 s29, s17, 0xffff
	s_waitcnt vmcnt(0)
	v_cvt_f32_u32_sdwa v17, v2 dst_sel:DWORD dst_unused:UNUSED_PAD src0_sel:WORD_1
	v_cvt_f32_u32_sdwa v16, v2 dst_sel:DWORD dst_unused:UNUSED_PAD src0_sel:WORD_0
	v_cvt_f32_u32_sdwa v21, v3 dst_sel:DWORD dst_unused:UNUSED_PAD src0_sel:WORD_1
	v_cvt_f32_u32_sdwa v20, v3 dst_sel:DWORD dst_unused:UNUSED_PAD src0_sel:WORD_0
	;; [unrolled: 2-line block ×4, first 2 shown]
	v_pk_add_f32 v[2:3], v[6:7], v[16:17]
	v_pk_add_f32 v[4:5], v[8:9], v[20:21]
	;; [unrolled: 1-line block ×4, first 2 shown]
	v_perm_b32 v17, v9, v8, s14
	v_perm_b32 v16, v7, v6, s14
	;; [unrolled: 1-line block ×4, first 2 shown]
	buffer_store_dwordx4 v[14:17], v26, s[28:31], 0 offen glc slc
	;;#ASMSTART
	s_nop 0
	;;#ASMEND
.LBB338_10:
	s_or_b64 exec, exec, s[2:3]
.LBB338_11:
	s_waitcnt vmcnt(1)
	v_mul_f32_e32 v14, v3, v3
	v_fmac_f32_e32 v14, v2, v2
	v_fmac_f32_e32 v14, v4, v4
	;; [unrolled: 1-line block ×7, first 2 shown]
	v_and_b32_e32 v16, 63, v0
	v_cmp_eq_u32_e64 s[2:3], 63, v16
	v_mov_b32_dpp v15, v14 quad_perm:[1,0,3,2] row_mask:0xf bank_mask:0xf
	v_add_f32_e32 v14, v14, v15
	s_nop 1
	v_mov_b32_dpp v15, v14 quad_perm:[2,3,0,1] row_mask:0xf bank_mask:0xf
	v_add_f32_e32 v14, v14, v15
	s_nop 1
	v_mov_b32_dpp v15, v14 row_half_mirror row_mask:0xf bank_mask:0xf
	v_add_f32_e32 v14, v14, v15
	s_nop 1
	v_mov_b32_dpp v15, v14 row_mirror row_mask:0xf bank_mask:0xf
	v_add_f32_e32 v14, v14, v15
	s_nop 1
	v_mov_b32_dpp v15, v14 row_bcast:15 row_mask:0xf bank_mask:0xf
	v_add_f32_e32 v14, v14, v15
	s_nop 1
	v_mov_b32_dpp v15, v14 row_bcast:31 row_mask:0xf bank_mask:0xf
	s_and_saveexec_b64 s[22:23], s[2:3]
	s_cbranch_execz .LBB338_13
; %bb.12:
	v_add_f32_e32 v14, v14, v15
	v_lshrrev_b32_e32 v15, 4, v0
	v_and_b32_e32 v15, 60, v15
	ds_write_b32 v15, v14 offset:8
.LBB338_13:
	s_or_b64 exec, exec, s[22:23]
	v_and_b32_e32 v14, 1, v0
	v_lshlrev_b32_e32 v14, 2, v14
	s_waitcnt lgkmcnt(0)
	s_barrier
	ds_read_b32 v15, v14 offset:8
	s_load_dwordx2 s[38:39], s[4:5], 0x18
	s_waitcnt lgkmcnt(0)
	v_mov_b32_dpp v16, v15 quad_perm:[1,0,3,2] row_mask:0xf bank_mask:0xf
	s_and_saveexec_b64 s[22:23], s[0:1]
	s_cbranch_execnz .LBB338_18
; %bb.14:
	s_or_b64 exec, exec, s[22:23]
	s_mov_b64 s[8:9], -1
	s_and_b64 vcc, exec, s[10:11]
	s_cbranch_vccnz .LBB338_19
.LBB338_15:
	s_andn2_b64 vcc, exec, s[8:9]
	s_cbranch_vccz .LBB338_22
.LBB338_16:
	s_cmp_lt_i32 s16, 1
	s_cbranch_scc0 .LBB338_29
.LBB338_17:
	s_endpgm
.LBB338_18:
	v_cvt_f32_u32_e32 v17, s7
	v_add_f32_e32 v15, v15, v16
	v_mov_b32_e32 v19, s13
	v_mov_b32_e32 v20, s12
	v_div_scale_f32 v16, s[28:29], v17, v17, v15
	v_rcp_f32_e32 v18, v16
	v_cndmask_b32_e64 v19, v19, v20, s[8:9]
	s_mov_b32 s7, 0x800000
	v_fma_f32 v20, -v16, v18, 1.0
	v_fmac_f32_e32 v18, v20, v18
	v_div_scale_f32 v20, vcc, v15, v17, v15
	v_mul_f32_e32 v21, v20, v18
	v_fma_f32 v22, -v16, v21, v20
	v_fmac_f32_e32 v21, v22, v18
	v_fma_f32 v16, -v16, v21, v20
	v_div_fmas_f32 v16, v16, v18, v21
	v_div_fixup_f32 v15, v16, v17, v15
	v_add_f32_e32 v15, v19, v15
	v_mul_f32_e32 v16, 0x4b800000, v15
	v_cmp_gt_f32_e32 vcc, s7, v15
	v_cndmask_b32_e32 v15, v15, v16, vcc
	v_rsq_f32_e32 v15, v15
	s_waitcnt vmcnt(0)
	v_cvt_f32_u32_sdwa v19, v10 dst_sel:DWORD dst_unused:UNUSED_PAD src0_sel:WORD_1
	v_cvt_f32_u32_sdwa v18, v10 dst_sel:DWORD dst_unused:UNUSED_PAD src0_sel:WORD_0
	v_cvt_f32_u32_sdwa v21, v11 dst_sel:DWORD dst_unused:UNUSED_PAD src0_sel:WORD_1
	v_mul_f32_e32 v16, 0x45800000, v15
	v_cndmask_b32_e32 v16, v15, v16, vcc
	v_mov_b32_e32 v17, v16
	v_cvt_f32_u32_sdwa v20, v11 dst_sel:DWORD dst_unused:UNUSED_PAD src0_sel:WORD_0
	;;#ASMSTART
	v_pk_mul_f32 v[2:3], v[2:3], v[16:17]
	;;#ASMEND
	;;#ASMSTART
	v_pk_mul_f32 v[4:5], v[4:5], v[16:17]
	;;#ASMEND
	;; [unrolled: 3-line block ×4, first 2 shown]
	v_cvt_f32_u32_sdwa v17, v12 dst_sel:DWORD dst_unused:UNUSED_PAD src0_sel:WORD_1
	v_cvt_f32_u32_sdwa v16, v12 dst_sel:DWORD dst_unused:UNUSED_PAD src0_sel:WORD_0
	v_pk_add_f32 v[10:11], v[18:19], 1.0 op_sel_hi:[1,0]
	v_cvt_f32_u32_sdwa v19, v13 dst_sel:DWORD dst_unused:UNUSED_PAD src0_sel:WORD_1
	v_cvt_f32_u32_sdwa v18, v13 dst_sel:DWORD dst_unused:UNUSED_PAD src0_sel:WORD_0
	;;#ASMSTART
	v_pk_mul_f32 v[2:3], v[2:3], v[10:11]
	;;#ASMEND
	v_pk_add_f32 v[10:11], v[20:21], 1.0 op_sel_hi:[1,0]
	;;#ASMSTART
	v_pk_mul_f32 v[4:5], v[4:5], v[10:11]
	;;#ASMEND
	v_pk_add_f32 v[10:11], v[16:17], 1.0 op_sel_hi:[1,0]
	;;#ASMSTART
	v_pk_mul_f32 v[6:7], v[6:7], v[10:11]
	;;#ASMEND
	v_pk_add_f32 v[10:11], v[18:19], 1.0 op_sel_hi:[1,0]
	;;#ASMSTART
	v_pk_mul_f32 v[8:9], v[8:9], v[10:11]
	;;#ASMEND
	s_or_b64 exec, exec, s[22:23]
	s_mov_b64 s[8:9], -1
	s_and_b64 vcc, exec, s[10:11]
	s_cbranch_vccz .LBB338_15
.LBB338_19:
	s_and_saveexec_b64 s[8:9], s[0:1]
	s_cbranch_execz .LBB338_21
; %bb.20:
	s_mul_hi_i32 s11, s34, s6
	s_mul_i32 s10, s34, s6
	s_lshl_b64 s[10:11], s[10:11], 1
	s_add_u32 s28, s38, s10
	s_addc_u32 s7, s39, s11
	s_and_b32 s29, s7, 0xffff
	s_mov_b32 s7, 0x7060302
	s_mov_b32 s31, 0x20000
	s_waitcnt vmcnt(0)
	v_perm_b32 v10, v3, v2, s7
	v_perm_b32 v11, v5, v4, s7
	;; [unrolled: 1-line block ×4, first 2 shown]
	v_lshlrev_b32_e32 v15, 4, v0
	buffer_store_dwordx4 v[10:13], v15, s[28:31], 0 offen
	;;#ASMSTART
	s_nop 0
	;;#ASMEND
.LBB338_21:
	s_or_b64 exec, exec, s[8:9]
	s_cbranch_execnz .LBB338_16
.LBB338_22:
	s_waitcnt vmcnt(0)
	v_mov_b32_e32 v10, 0
	s_and_saveexec_b64 s[8:9], s[0:1]
	s_cbranch_execz .LBB338_24
; %bb.23:
	v_and_b32_e32 v10, 0x7fffffff, v2
	v_and_b32_e32 v11, 0x7fffffff, v3
	v_mov_b32_e32 v12, 0x2edbe6ff
	;;#ASMSTART
	v_max3_f32 v10, v12, v10, v11

	;;#ASMEND
	v_and_b32_e32 v11, 0x7fffffff, v4
	v_and_b32_e32 v12, 0x7fffffff, v5
	;;#ASMSTART
	v_max3_f32 v10, v10, v11, v12

	;;#ASMEND
	v_and_b32_e32 v11, 0x7fffffff, v6
	v_and_b32_e32 v12, 0x7fffffff, v7
	;; [unrolled: 6-line block ×3, first 2 shown]
	;;#ASMSTART
	v_max3_f32 v10, v10, v11, v12

	;;#ASMEND
.LBB338_24:
	s_or_b64 exec, exec, s[8:9]
	;;#ASMSTART
	v_max_f32 v11, v10, v10 quad_perm:[1,0,3,2] row_mask:0xf bank_mask:0xf bound_ctrl:1
	;;#ASMEND
	;;#ASMSTART
	v_max_f32 v10, v11, v11 quad_perm:[2,3,0,1] row_mask:0xf bank_mask:0xf bound_ctrl:1
	;;#ASMEND
	;;#ASMSTART
	v_max_f32 v11, v10, v10 row_half_mirror row_mask:0xf bank_mask:0xf bound_ctrl:1
	;;#ASMEND
	;;#ASMSTART
	v_max_f32 v10, v11, v11 row_mirror row_mask:0xf bank_mask:0xf bound_ctrl:1
	;;#ASMEND
	v_and_b32_e32 v11, 15, v0
	v_cmp_eq_u32_e32 vcc, 0, v11
	v_cmp_gt_i32_e64 s[8:9], s15, v1
	v_mul_f32_e32 v10, 0x3b124925, v10
	s_and_b64 s[10:11], vcc, s[8:9]
	s_and_saveexec_b64 s[8:9], s[10:11]
	s_cbranch_execz .LBB338_26
; %bb.25:
	s_load_dwordx2 s[10:11], s[4:5], 0x8
	s_mul_hi_i32 s23, s25, s6
	s_mul_i32 s22, s25, s6
	v_lshrrev_b32_e32 v11, 4, v0
	s_lshl_b64 s[22:23], s[22:23], 2
	v_mad_i64_i32 v[12:13], s[26:27], s26, v11, 0
	s_waitcnt lgkmcnt(0)
	s_add_u32 s7, s10, s22
	s_addc_u32 s10, s11, s23
	v_lshlrev_b64 v[12:13], 2, v[12:13]
	v_mov_b32_e32 v11, s10
	v_add_co_u32_e32 v12, vcc, s7, v12
	v_addc_co_u32_e32 v13, vcc, v11, v13, vcc
	global_store_dword v[12:13], v10, off
.LBB338_26:
	s_or_b64 exec, exec, s[8:9]
	;;#ASMSTART
	v_rcp_f32 v10, v10
	;;#ASMEND
	s_and_saveexec_b64 s[22:23], s[0:1]
	s_cbranch_execz .LBB338_28
; %bb.27:
	s_load_dwordx2 s[0:1], s[4:5], 0x0
	s_mul_i32 s8, s24, s6
	v_mov_b32_e32 v11, v10
	;;#ASMSTART
	v_pk_mul_f32 v[2:3], v[2:3], v[10:11]
	;;#ASMEND
	s_mul_hi_i32 s7, s24, s6
	s_waitcnt lgkmcnt(0)
	s_add_u32 s8, s0, s8
	v_mov_b32_e32 v12, 0xc3e00000
	v_mov_b32_e32 v13, 0x43e00000
	;;#ASMSTART
	v_med3_f32 v2, v2, v12, v13
v_med3_f32 v3, v3, v12, v13
v_cvt_pk_fp8_f32 v15, v2, v3
	;;#ASMEND
	s_addc_u32 s0, s1, s7
	;;#ASMSTART
	v_pk_mul_f32 v[2:3], v[4:5], v[10:11]
	;;#ASMEND
	s_and_b32 s9, s0, 0xffff
	;;#ASMSTART
	v_med3_f32 v2, v2, v12, v13
v_med3_f32 v3, v3, v12, v13
v_cvt_pk_fp8_f32 v4, v2, v3
	;;#ASMEND
	s_mov_b32 s0, 0x5040100
	v_perm_b32 v3, v4, v15, s0
	s_movk_i32 s0, 0xff
	v_and_b32_e32 v2, 0xffffff00, v4
	v_and_b32_sdwa v4, v3, s0 dst_sel:DWORD dst_unused:UNUSED_PAD src0_sel:WORD_1 src1_sel:DWORD
	s_mov_b32 s12, 0xffff
	v_or_b32_sdwa v2, v4, v2 dst_sel:WORD_1 dst_unused:UNUSED_PAD src0_sel:DWORD src1_sel:DWORD
	v_and_or_b32 v2, v3, s12, v2
	;;#ASMSTART
	v_pk_mul_f32 v[4:5], v[6:7], v[10:11]
	;;#ASMEND
	v_mov_b32_e32 v3, v5
	s_add_i32 s1, s15, 3
	;;#ASMSTART
	v_med3_f32 v4, v4, v12, v13
v_med3_f32 v3, v3, v12, v13
v_cvt_pk_fp8_f32 v6, v4, v3
	;;#ASMEND
	s_ashr_i32 s7, s1, 31
	;;#ASMSTART
	v_pk_mul_f32 v[4:5], v[8:9], v[10:11]
	;;#ASMEND
	v_mov_b32_e32 v3, v4
	s_lshr_b32 s7, s7, 30
	;;#ASMSTART
	v_med3_f32 v3, v3, v12, v13
v_med3_f32 v5, v5, v12, v13
v_cvt_pk_fp8_f32 v4, v3, v5
	;;#ASMEND
	s_add_i32 s1, s1, s7
	v_lshlrev_b32_e32 v3, 16, v4
	s_and_b32 s10, s1, -4
	s_mov_b32 s11, 0x20000
	v_and_or_b32 v3, v6, s12, v3
	buffer_store_dwordx2 v[2:3], v1, s[8:11], 0 offen
	;;#ASMSTART
	s_nop 0
	;;#ASMEND
.LBB338_28:
	s_or_b64 exec, exec, s[22:23]
	s_cmp_lt_i32 s16, 1
	s_cbranch_scc1 .LBB338_17
.LBB338_29:
	s_load_dword s0, s[4:5], 0x94
	s_waitcnt lgkmcnt(0)
	s_cmp_lg_u32 s0, 1
	s_cbranch_scc1 .LBB338_17
; %bb.30:
	s_lshl_b32 s0, s16, 1
	s_add_i32 s0, s0, 2
	v_cmp_gt_u32_e32 vcc, s16, v1
	s_and_b32 s22, s0, -4
	v_mov_b32_e32 v6, 0
	v_lshlrev_b32_e32 v1, 4, v0
	v_mov_b32_e32 v7, 0
	v_mov_b32_e32 v8, 0
	;; [unrolled: 1-line block ×7, first 2 shown]
	s_barrier
	s_and_saveexec_b64 s[0:1], vcc
	s_cbranch_execz .LBB338_32
; %bb.31:
	s_mul_hi_i32 s5, s18, s6
	s_mul_i32 s4, s18, s6
	s_and_b32 s21, s21, 0xffff
	s_lshl_b64 s[4:5], s[4:5], 1
	s_add_u32 s8, s36, s4
	s_mov_b32 s23, 0x20000
	s_addc_u32 s4, s37, s5
	s_and_b32 s9, s4, 0xffff
	s_mov_b32 s10, s22
	s_mov_b32 s11, s23
	buffer_load_dwordx4 v[6:9], v1, s[8:11], 0 offen glc slc
	buffer_load_dwordx4 v[2:5], v1, s[20:23], 0 offen
.LBB338_32:
	s_or_b64 exec, exec, s[0:1]
	s_waitcnt vmcnt(0)
	v_cvt_f32_u32_sdwa v13, v6 dst_sel:DWORD dst_unused:UNUSED_PAD src0_sel:WORD_1
	v_cvt_f32_u32_sdwa v12, v6 dst_sel:DWORD dst_unused:UNUSED_PAD src0_sel:WORD_0
	v_cvt_f32_u32_sdwa v6, v9 dst_sel:DWORD dst_unused:UNUSED_PAD src0_sel:WORD_1
	v_cvt_f32_u32_sdwa v9, v9 dst_sel:DWORD dst_unused:UNUSED_PAD src0_sel:WORD_0
	;; [unrolled: 2-line block ×4, first 2 shown]
	v_cndmask_b32_e32 v13, 0, v13, vcc
	v_cndmask_b32_e32 v7, 0, v6, vcc
	;; [unrolled: 1-line block ×5, first 2 shown]
	v_mul_f32_e32 v15, v13, v13
	v_cndmask_b32_e32 v10, 0, v10, vcc
	v_fmac_f32_e32 v15, v12, v12
	v_cndmask_b32_e32 v11, 0, v11, vcc
	v_fmac_f32_e32 v15, v10, v10
	;; [unrolled: 2-line block ×3, first 2 shown]
	v_fmac_f32_e32 v15, v8, v8
	v_fmac_f32_e32 v15, v9, v9
	;; [unrolled: 1-line block ×4, first 2 shown]
	s_nop 1
	v_mov_b32_dpp v16, v15 quad_perm:[1,0,3,2] row_mask:0xf bank_mask:0xf
	v_add_f32_e32 v15, v15, v16
	s_nop 1
	v_mov_b32_dpp v16, v15 quad_perm:[2,3,0,1] row_mask:0xf bank_mask:0xf
	v_add_f32_e32 v15, v15, v16
	s_nop 1
	v_mov_b32_dpp v16, v15 row_half_mirror row_mask:0xf bank_mask:0xf
	v_add_f32_e32 v15, v15, v16
	s_nop 1
	v_mov_b32_dpp v16, v15 row_mirror row_mask:0xf bank_mask:0xf
	v_add_f32_e32 v15, v15, v16
	s_nop 1
	v_mov_b32_dpp v16, v15 row_bcast:15 row_mask:0xf bank_mask:0xf
	v_add_f32_e32 v15, v15, v16
	s_nop 1
	v_mov_b32_dpp v16, v15 row_bcast:31 row_mask:0xf bank_mask:0xf
	s_and_saveexec_b64 s[0:1], s[2:3]
	s_cbranch_execz .LBB338_34
; %bb.33:
	v_lshrrev_b32_e32 v0, 4, v0
	v_add_f32_e32 v15, v15, v16
	v_and_b32_e32 v0, 60, v0
	ds_write_b32 v0, v15
.LBB338_34:
	s_or_b64 exec, exec, s[0:1]
	s_waitcnt lgkmcnt(0)
	s_barrier
	ds_read_b32 v0, v14
	s_waitcnt lgkmcnt(0)
	s_nop 0
	v_mov_b32_dpp v14, v0 quad_perm:[1,0,3,2] row_mask:0xf bank_mask:0xf
	s_and_saveexec_b64 s[0:1], vcc
	s_cbranch_execz .LBB338_17
; %bb.35:
	v_cvt_f32_u32_e32 v15, s16
	v_add_f32_e32 v0, v0, v14
	s_mov_b32 s23, 0x20000
	v_div_scale_f32 v14, s[0:1], v15, v15, v0
	v_rcp_f32_e32 v16, v14
	v_div_scale_f32 v17, vcc, v0, v15, v0
	s_mov_b32 s0, 0x800000
	v_fma_f32 v18, -v14, v16, 1.0
	v_fmac_f32_e32 v16, v18, v16
	v_mul_f32_e32 v18, v17, v16
	v_fma_f32 v19, -v14, v18, v17
	v_fmac_f32_e32 v18, v19, v16
	v_fma_f32 v14, -v14, v18, v17
	v_div_fmas_f32 v14, v14, v16, v18
	v_div_fixup_f32 v0, v14, v15, v0
	v_add_f32_e32 v0, s13, v0
	v_mul_f32_e32 v14, 0x4b800000, v0
	v_cmp_gt_f32_e32 vcc, s0, v0
	v_cndmask_b32_e32 v0, v0, v14, vcc
	v_rsq_f32_e32 v0, v0
	v_cvt_f32_u32_sdwa v17, v2 dst_sel:DWORD dst_unused:UNUSED_PAD src0_sel:WORD_1
	v_cvt_f32_u32_sdwa v16, v2 dst_sel:DWORD dst_unused:UNUSED_PAD src0_sel:WORD_0
	v_cvt_f32_u32_sdwa v19, v3 dst_sel:DWORD dst_unused:UNUSED_PAD src0_sel:WORD_1
	v_mul_f32_e32 v14, 0x45800000, v0
	v_cndmask_b32_e32 v14, v0, v14, vcc
	v_mov_b32_e32 v15, v14
	;;#ASMSTART
	v_pk_mul_f32 v[12:13], v[12:13], v[14:15]
	;;#ASMEND
	;;#ASMSTART
	v_pk_mul_f32 v[10:11], v[10:11], v[14:15]
	;;#ASMEND
	;; [unrolled: 3-line block ×3, first 2 shown]
	v_cvt_f32_u32_sdwa v18, v3 dst_sel:DWORD dst_unused:UNUSED_PAD src0_sel:WORD_0
	;;#ASMSTART
	v_pk_mul_f32 v[2:3], v[6:7], v[14:15]
	;;#ASMEND
	v_cvt_f32_u32_sdwa v15, v4 dst_sel:DWORD dst_unused:UNUSED_PAD src0_sel:WORD_1
	v_cvt_f32_u32_sdwa v14, v4 dst_sel:DWORD dst_unused:UNUSED_PAD src0_sel:WORD_0
	v_pk_add_f32 v[6:7], v[16:17], 1.0 op_sel_hi:[1,0]
	v_cvt_f32_u32_sdwa v17, v5 dst_sel:DWORD dst_unused:UNUSED_PAD src0_sel:WORD_1
	v_cvt_f32_u32_sdwa v16, v5 dst_sel:DWORD dst_unused:UNUSED_PAD src0_sel:WORD_0
	s_mul_hi_i32 s1, s34, s6
	s_mul_i32 s0, s34, s6
	s_lshl_b64 s[0:1], s[0:1], 1
	s_add_u32 s20, s38, s0
	;;#ASMSTART
	v_pk_mul_f32 v[6:7], v[12:13], v[6:7]
	;;#ASMEND
	v_pk_add_f32 v[12:13], v[18:19], 1.0 op_sel_hi:[1,0]
	;;#ASMSTART
	v_pk_mul_f32 v[4:5], v[10:11], v[12:13]
	;;#ASMEND
	v_pk_add_f32 v[10:11], v[14:15], 1.0 op_sel_hi:[1,0]
	s_addc_u32 s0, s39, s1
	;;#ASMSTART
	v_pk_mul_f32 v[8:9], v[8:9], v[10:11]
	;;#ASMEND
	v_pk_add_f32 v[10:11], v[16:17], 1.0 op_sel_hi:[1,0]
	s_and_b32 s21, s0, 0xffff
	s_mov_b32 s0, 0x7060302
	;;#ASMSTART
	v_pk_mul_f32 v[10:11], v[2:3], v[10:11]
	;;#ASMEND
	v_perm_b32 v2, v7, v6, s0
	v_perm_b32 v3, v5, v4, s0
	;; [unrolled: 1-line block ×4, first 2 shown]
	buffer_store_dwordx4 v[2:5], v1, s[20:23], 0 offen
	;;#ASMSTART
	s_nop 0
	;;#ASMEND
	s_endpgm
	.section	.rodata,"a",@progbits
	.p2align	6, 0x0
	.amdhsa_kernel _ZN5aiter35fused_qk_rmsnorm_group_quant_kernelItDB8_Li128ELi8ELi16ELb1ELb0ELb1ELb0ELb0ELb0EEEvPT0_PvPT_S6_S6_PKS5_S8_S8_S8_S8_ffiiiiiiiiiiiii
		.amdhsa_group_segment_fixed_size 16
		.amdhsa_private_segment_fixed_size 0
		.amdhsa_kernarg_size 400
		.amdhsa_user_sgpr_count 6
		.amdhsa_user_sgpr_private_segment_buffer 1
		.amdhsa_user_sgpr_dispatch_ptr 0
		.amdhsa_user_sgpr_queue_ptr 0
		.amdhsa_user_sgpr_kernarg_segment_ptr 1
		.amdhsa_user_sgpr_dispatch_id 0
		.amdhsa_user_sgpr_flat_scratch_init 0
		.amdhsa_user_sgpr_kernarg_preload_length 0
		.amdhsa_user_sgpr_kernarg_preload_offset 0
		.amdhsa_user_sgpr_private_segment_size 0
		.amdhsa_uses_dynamic_stack 0
		.amdhsa_system_sgpr_private_segment_wavefront_offset 0
		.amdhsa_system_sgpr_workgroup_id_x 1
		.amdhsa_system_sgpr_workgroup_id_y 1
		.amdhsa_system_sgpr_workgroup_id_z 0
		.amdhsa_system_sgpr_workgroup_info 0
		.amdhsa_system_vgpr_workitem_id 0
		.amdhsa_next_free_vgpr 27
		.amdhsa_next_free_sgpr 48
		.amdhsa_accum_offset 28
		.amdhsa_reserve_vcc 1
		.amdhsa_reserve_flat_scratch 0
		.amdhsa_float_round_mode_32 0
		.amdhsa_float_round_mode_16_64 0
		.amdhsa_float_denorm_mode_32 3
		.amdhsa_float_denorm_mode_16_64 3
		.amdhsa_dx10_clamp 1
		.amdhsa_ieee_mode 1
		.amdhsa_fp16_overflow 0
		.amdhsa_tg_split 0
		.amdhsa_exception_fp_ieee_invalid_op 0
		.amdhsa_exception_fp_denorm_src 0
		.amdhsa_exception_fp_ieee_div_zero 0
		.amdhsa_exception_fp_ieee_overflow 0
		.amdhsa_exception_fp_ieee_underflow 0
		.amdhsa_exception_fp_ieee_inexact 0
		.amdhsa_exception_int_div_zero 0
	.end_amdhsa_kernel
	.section	.text._ZN5aiter35fused_qk_rmsnorm_group_quant_kernelItDB8_Li128ELi8ELi16ELb1ELb0ELb1ELb0ELb0ELb0EEEvPT0_PvPT_S6_S6_PKS5_S8_S8_S8_S8_ffiiiiiiiiiiiii,"axG",@progbits,_ZN5aiter35fused_qk_rmsnorm_group_quant_kernelItDB8_Li128ELi8ELi16ELb1ELb0ELb1ELb0ELb0ELb0EEEvPT0_PvPT_S6_S6_PKS5_S8_S8_S8_S8_ffiiiiiiiiiiiii,comdat
.Lfunc_end338:
	.size	_ZN5aiter35fused_qk_rmsnorm_group_quant_kernelItDB8_Li128ELi8ELi16ELb1ELb0ELb1ELb0ELb0ELb0EEEvPT0_PvPT_S6_S6_PKS5_S8_S8_S8_S8_ffiiiiiiiiiiiii, .Lfunc_end338-_ZN5aiter35fused_qk_rmsnorm_group_quant_kernelItDB8_Li128ELi8ELi16ELb1ELb0ELb1ELb0ELb0ELb0EEEvPT0_PvPT_S6_S6_PKS5_S8_S8_S8_S8_ffiiiiiiiiiiiii
                                        ; -- End function
	.section	.AMDGPU.csdata,"",@progbits
; Kernel info:
; codeLenInByte = 2968
; NumSgprs: 52
; NumVgprs: 27
; NumAgprs: 0
; TotalNumVgprs: 27
; ScratchSize: 0
; MemoryBound: 0
; FloatMode: 240
; IeeeMode: 1
; LDSByteSize: 16 bytes/workgroup (compile time only)
; SGPRBlocks: 6
; VGPRBlocks: 3
; NumSGPRsForWavesPerEU: 52
; NumVGPRsForWavesPerEU: 27
; AccumOffset: 28
; Occupancy: 8
; WaveLimiterHint : 0
; COMPUTE_PGM_RSRC2:SCRATCH_EN: 0
; COMPUTE_PGM_RSRC2:USER_SGPR: 6
; COMPUTE_PGM_RSRC2:TRAP_HANDLER: 0
; COMPUTE_PGM_RSRC2:TGID_X_EN: 1
; COMPUTE_PGM_RSRC2:TGID_Y_EN: 1
; COMPUTE_PGM_RSRC2:TGID_Z_EN: 0
; COMPUTE_PGM_RSRC2:TIDIG_COMP_CNT: 0
; COMPUTE_PGM_RSRC3_GFX90A:ACCUM_OFFSET: 6
; COMPUTE_PGM_RSRC3_GFX90A:TG_SPLIT: 0
	.section	.text._ZN5aiter35fused_qk_rmsnorm_group_quant_kernelIDF16_N4opus5fp4_tELi128ELi8ELi16ELb1ELb0ELb1ELb0ELb0ELb0EEEvPT0_PvPT_S7_S7_PKS6_S9_S9_S9_S9_ffiiiiiiiiiiiii,"axG",@progbits,_ZN5aiter35fused_qk_rmsnorm_group_quant_kernelIDF16_N4opus5fp4_tELi128ELi8ELi16ELb1ELb0ELb1ELb0ELb0ELb0EEEvPT0_PvPT_S7_S7_PKS6_S9_S9_S9_S9_ffiiiiiiiiiiiii,comdat
	.protected	_ZN5aiter35fused_qk_rmsnorm_group_quant_kernelIDF16_N4opus5fp4_tELi128ELi8ELi16ELb1ELb0ELb1ELb0ELb0ELb0EEEvPT0_PvPT_S7_S7_PKS6_S9_S9_S9_S9_ffiiiiiiiiiiiii ; -- Begin function _ZN5aiter35fused_qk_rmsnorm_group_quant_kernelIDF16_N4opus5fp4_tELi128ELi8ELi16ELb1ELb0ELb1ELb0ELb0ELb0EEEvPT0_PvPT_S7_S7_PKS6_S9_S9_S9_S9_ffiiiiiiiiiiiii
	.globl	_ZN5aiter35fused_qk_rmsnorm_group_quant_kernelIDF16_N4opus5fp4_tELi128ELi8ELi16ELb1ELb0ELb1ELb0ELb0ELb0EEEvPT0_PvPT_S7_S7_PKS6_S9_S9_S9_S9_ffiiiiiiiiiiiii
	.p2align	8
	.type	_ZN5aiter35fused_qk_rmsnorm_group_quant_kernelIDF16_N4opus5fp4_tELi128ELi8ELi16ELb1ELb0ELb1ELb0ELb0ELb0EEEvPT0_PvPT_S7_S7_PKS6_S9_S9_S9_S9_ffiiiiiiiiiiiii,@function
_ZN5aiter35fused_qk_rmsnorm_group_quant_kernelIDF16_N4opus5fp4_tELi128ELi8ELi16ELb1ELb0ELb1ELb0ELb0ELb0EEEvPT0_PvPT_S7_S7_PKS6_S9_S9_S9_S9_ffiiiiiiiiiiiii: ; @_ZN5aiter35fused_qk_rmsnorm_group_quant_kernelIDF16_N4opus5fp4_tELi128ELi8ELi16ELb1ELb0ELb1ELb0ELb0ELb0EEEvPT0_PvPT_S7_S7_PKS6_S9_S9_S9_S9_ffiiiiiiiiiiiii
; %bb.0:
	s_load_dwordx8 s[12:19], s[4:5], 0x50
	s_waitcnt lgkmcnt(0)
	s_cmp_ge_i32 s6, s14
	s_cbranch_scc1 .LBB339_17
; %bb.1:
	s_cmp_lg_u32 s7, 0
	s_cselect_b64 s[22:23], -1, 0
	s_cmp_eq_u32 s7, 0
	s_cselect_b64 s[8:9], -1, 0
	s_and_b64 s[0:1], s[8:9], exec
	s_load_dwordx2 s[20:21], s[4:5], 0x48
	s_load_dwordx2 s[34:35], s[4:5], 0x30
	s_load_dwordx4 s[24:27], s[4:5], 0x70
	s_cselect_b32 s7, s15, s16
	s_add_i32 s0, s7, 1
	s_lshr_b32 s1, s0, 31
	s_add_i32 s0, s0, s1
	s_lshl_b32 s0, s0, 1
	v_lshlrev_b32_e32 v1, 3, v0
	s_and_b32 s30, s0, -4
	v_cmp_gt_i32_e64 s[0:1], s7, v1
	v_mov_b32_e32 v2, 0
	v_mov_b32_e32 v3, 0
	;; [unrolled: 1-line block ×8, first 2 shown]
	s_and_saveexec_b64 s[2:3], s[0:1]
	s_cbranch_execz .LBB339_3
; %bb.2:
	s_load_dwordx2 s[10:11], s[4:5], 0x28
	s_load_dwordx2 s[28:29], s[4:5], 0x40
	s_and_b64 s[36:37], s[8:9], exec
	s_cselect_b32 s14, s17, s18
	s_mov_b32 s31, 0x20000
	s_waitcnt lgkmcnt(0)
	s_cselect_b32 s17, s11, s35
	s_cselect_b32 s27, s10, s34
	s_mul_hi_i32 s11, s14, s6
	s_mul_i32 s10, s14, s6
	s_lshl_b64 s[10:11], s[10:11], 1
	s_add_u32 s36, s27, s10
	s_addc_u32 s14, s17, s11
	s_and_b64 s[10:11], s[8:9], exec
	s_cselect_b32 s28, s28, s20
	s_cselect_b32 s10, s29, s21
	v_lshlrev_b32_e32 v10, 4, v0
	s_and_b32 s37, s14, 0xffff
	s_mov_b32 s38, s30
	s_mov_b32 s39, s31
	s_and_b32 s29, s10, 0xffff
	buffer_load_dwordx4 v[6:9], v10, s[36:39], 0 offen glc slc
	buffer_load_dwordx4 v[2:5], v10, s[28:31], 0 offen
.LBB339_3:
	s_or_b64 exec, exec, s[2:3]
	s_load_dwordx2 s[10:11], s[4:5], 0x80
	s_and_b64 vcc, exec, s[22:23]
	s_cbranch_vccz .LBB339_7
; %bb.4:
	v_mov_b32_e32 v11, 0
	v_mov_b32_e32 v10, 0
	;; [unrolled: 1-line block ×8, first 2 shown]
	s_and_saveexec_b64 s[2:3], s[0:1]
	s_cbranch_execz .LBB339_6
; %bb.5:
	s_waitcnt vmcnt(1)
	v_cvt_f32_f16_sdwa v15, v6 dst_sel:DWORD dst_unused:UNUSED_PAD src0_sel:WORD_1
	v_cvt_f32_f16_e32 v14, v6
	v_cvt_f32_f16_sdwa v17, v7 dst_sel:DWORD dst_unused:UNUSED_PAD src0_sel:WORD_1
	v_cvt_f32_f16_e32 v16, v7
	;; [unrolled: 2-line block ×4, first 2 shown]
.LBB339_6:
	s_or_b64 exec, exec, s[2:3]
	s_cbranch_execz .LBB339_8
	s_branch .LBB339_11
.LBB339_7:
                                        ; implicit-def: $vgpr11
                                        ; implicit-def: $vgpr13
                                        ; implicit-def: $vgpr17
                                        ; implicit-def: $vgpr15
.LBB339_8:
	v_mov_b32_e32 v11, 0
	v_mov_b32_e32 v10, 0
	;; [unrolled: 1-line block ×8, first 2 shown]
	s_and_saveexec_b64 s[2:3], s[0:1]
	s_cbranch_execz .LBB339_10
; %bb.9:
	s_load_dwordx2 s[28:29], s[4:5], 0x38
	s_mul_hi_i32 s37, s19, s6
	s_mul_i32 s36, s19, s6
	s_lshl_b64 s[36:37], s[36:37], 1
	s_mov_b32 s31, 0x20000
	s_waitcnt lgkmcnt(0)
	s_add_u32 s28, s28, s36
	s_addc_u32 s14, s29, s37
	s_and_b32 s29, s14, 0xffff
	v_lshlrev_b32_e32 v24, 4, v0
	buffer_load_dwordx4 v[10:13], v24, s[28:31], 0 offen glc slc
	s_waitcnt vmcnt(2)
	v_cvt_f32_f16_sdwa v15, v6 dst_sel:DWORD dst_unused:UNUSED_PAD src0_sel:WORD_1
	v_cvt_f32_f16_e32 v14, v6
	v_cvt_f32_f16_sdwa v17, v7 dst_sel:DWORD dst_unused:UNUSED_PAD src0_sel:WORD_1
	v_cvt_f32_f16_e32 v16, v7
	v_cvt_f32_f16_sdwa v7, v8 dst_sel:DWORD dst_unused:UNUSED_PAD src0_sel:WORD_1
	v_cvt_f32_f16_e32 v6, v8
	v_cvt_f32_f16_sdwa v19, v9 dst_sel:DWORD dst_unused:UNUSED_PAD src0_sel:WORD_1
	v_cvt_f32_f16_e32 v18, v9
	s_load_dwordx2 s[28:29], s[4:5], 0x20
	s_mul_hi_i32 s37, s11, s6
	s_mul_i32 s36, s11, s6
	s_lshl_b64 s[36:37], s[36:37], 1
	s_waitcnt lgkmcnt(0)
	s_add_u32 s28, s28, s36
	s_addc_u32 s11, s29, s37
	s_and_b32 s29, s11, 0xffff
	s_waitcnt vmcnt(0)
	v_cvt_f32_f16_e32 v8, v10
	v_cvt_f32_f16_sdwa v9, v10 dst_sel:DWORD dst_unused:UNUSED_PAD src0_sel:WORD_1
	v_cvt_f32_f16_e32 v10, v11
	v_cvt_f32_f16_sdwa v11, v11 dst_sel:DWORD dst_unused:UNUSED_PAD src0_sel:WORD_1
	;; [unrolled: 2-line block ×4, first 2 shown]
	v_pk_add_f32 v[14:15], v[14:15], v[8:9]
	v_pk_add_f32 v[16:17], v[16:17], v[10:11]
	;; [unrolled: 1-line block ×4, first 2 shown]
	v_cvt_f16_f32_e32 v6, v15
	v_cvt_f16_f32_e32 v7, v17
	;; [unrolled: 1-line block ×8, first 2 shown]
	v_pack_b32_f16 v9, v18, v9
	v_pack_b32_f16 v8, v19, v8
	;; [unrolled: 1-line block ×4, first 2 shown]
	buffer_store_dwordx4 v[6:9], v24, s[28:31], 0 offen glc slc
	;;#ASMSTART
	s_nop 0
	;;#ASMEND
.LBB339_10:
	s_or_b64 exec, exec, s[2:3]
.LBB339_11:
	s_waitcnt vmcnt(1)
	v_mul_f32_e32 v6, v15, v15
	v_fmac_f32_e32 v6, v14, v14
	v_fmac_f32_e32 v6, v16, v16
	;; [unrolled: 1-line block ×7, first 2 shown]
	v_and_b32_e32 v8, 63, v0
	v_cmp_eq_u32_e64 s[2:3], 63, v8
	v_mov_b32_dpp v7, v6 quad_perm:[1,0,3,2] row_mask:0xf bank_mask:0xf
	v_add_f32_e32 v6, v6, v7
	s_nop 1
	v_mov_b32_dpp v7, v6 quad_perm:[2,3,0,1] row_mask:0xf bank_mask:0xf
	v_add_f32_e32 v6, v6, v7
	s_nop 1
	v_mov_b32_dpp v7, v6 row_half_mirror row_mask:0xf bank_mask:0xf
	v_add_f32_e32 v6, v6, v7
	s_nop 1
	v_mov_b32_dpp v7, v6 row_mirror row_mask:0xf bank_mask:0xf
	v_add_f32_e32 v6, v6, v7
	s_nop 1
	v_mov_b32_dpp v7, v6 row_bcast:15 row_mask:0xf bank_mask:0xf
	v_add_f32_e32 v6, v6, v7
	s_nop 1
	v_mov_b32_dpp v7, v6 row_bcast:31 row_mask:0xf bank_mask:0xf
	s_and_saveexec_b64 s[28:29], s[2:3]
	s_cbranch_execz .LBB339_13
; %bb.12:
	v_add_f32_e32 v6, v6, v7
	v_lshrrev_b32_e32 v7, 4, v0
	v_and_b32_e32 v7, 60, v7
	ds_write_b32 v7, v6 offset:8
.LBB339_13:
	s_or_b64 exec, exec, s[28:29]
	v_and_b32_e32 v6, 1, v0
	v_lshlrev_b32_e32 v18, 2, v6
	s_waitcnt lgkmcnt(0)
	s_barrier
	ds_read_b32 v6, v18 offset:8
	s_load_dwordx2 s[36:37], s[4:5], 0x18
	s_waitcnt lgkmcnt(0)
	v_mov_b32_dpp v7, v6 quad_perm:[1,0,3,2] row_mask:0xf bank_mask:0xf
	s_and_saveexec_b64 s[28:29], s[0:1]
	s_cbranch_execnz .LBB339_18
; %bb.14:
	s_or_b64 exec, exec, s[28:29]
	s_mov_b64 s[8:9], -1
	s_and_b64 vcc, exec, s[22:23]
	s_cbranch_vccnz .LBB339_19
.LBB339_15:
	s_andn2_b64 vcc, exec, s[8:9]
	s_cbranch_vccz .LBB339_22
.LBB339_16:
	s_cmp_lt_i32 s16, 1
	s_cbranch_scc0 .LBB339_29
.LBB339_17:
	s_endpgm
.LBB339_18:
	v_cvt_f32_u32_e32 v8, s7
	v_add_f32_e32 v6, v6, v7
	v_mov_b32_e32 v19, s13
	v_mov_b32_e32 v20, s12
	v_div_scale_f32 v7, s[38:39], v8, v8, v6
	v_rcp_f32_e32 v9, v7
	v_cndmask_b32_e64 v19, v19, v20, s[8:9]
	s_mov_b32 s7, 0x800000
	v_fma_f32 v20, -v7, v9, 1.0
	v_fmac_f32_e32 v9, v20, v9
	v_div_scale_f32 v20, vcc, v6, v8, v6
	v_mul_f32_e32 v21, v20, v9
	v_fma_f32 v22, -v7, v21, v20
	v_fmac_f32_e32 v21, v22, v9
	v_fma_f32 v7, -v7, v21, v20
	v_div_fmas_f32 v7, v7, v9, v21
	v_div_fixup_f32 v6, v7, v8, v6
	v_add_f32_e32 v6, v19, v6
	v_mul_f32_e32 v7, 0x4b800000, v6
	v_cmp_gt_f32_e32 vcc, s7, v6
	v_cndmask_b32_e32 v6, v6, v7, vcc
	v_rsq_f32_e32 v6, v6
	s_waitcnt vmcnt(0)
	v_cvt_f32_f16_sdwa v21, v3 dst_sel:DWORD dst_unused:UNUSED_PAD src0_sel:WORD_1
	v_cvt_f32_f16_e32 v20, v3
	v_mul_f32_e32 v7, 0x45800000, v6
	v_cndmask_b32_e32 v6, v6, v7, vcc
	v_mov_b32_e32 v7, v6
	;;#ASMSTART
	v_pk_mul_f32 v[8:9], v[14:15], v[6:7]
	;;#ASMEND
	v_cvt_f32_f16_sdwa v15, v2 dst_sel:DWORD dst_unused:UNUSED_PAD src0_sel:WORD_1
	v_cvt_f32_f16_e32 v14, v2
	;;#ASMSTART
	v_pk_mul_f32 v[16:17], v[16:17], v[6:7]
	;;#ASMEND
	;;#ASMSTART
	v_pk_mul_f32 v[12:13], v[12:13], v[6:7]
	;;#ASMEND
	;; [unrolled: 3-line block ×3, first 2 shown]
	v_pk_add_f32 v[6:7], v[14:15], 1.0 op_sel_hi:[1,0]
	;;#ASMSTART
	v_pk_mul_f32 v[14:15], v[8:9], v[6:7]
	;;#ASMEND
	v_cvt_f32_f16_sdwa v9, v4 dst_sel:DWORD dst_unused:UNUSED_PAD src0_sel:WORD_1
	v_cvt_f32_f16_e32 v8, v4
	v_cvt_f32_f16_sdwa v11, v5 dst_sel:DWORD dst_unused:UNUSED_PAD src0_sel:WORD_1
	v_cvt_f32_f16_e32 v10, v5
	v_pk_add_f32 v[6:7], v[20:21], 1.0 op_sel_hi:[1,0]
	v_pk_add_f32 v[4:5], v[8:9], 1.0 op_sel_hi:[1,0]
	;;#ASMSTART
	v_pk_mul_f32 v[16:17], v[16:17], v[6:7]
	;;#ASMEND
	;;#ASMSTART
	v_pk_mul_f32 v[12:13], v[12:13], v[4:5]
	;;#ASMEND
	v_pk_add_f32 v[4:5], v[10:11], 1.0 op_sel_hi:[1,0]
	;;#ASMSTART
	v_pk_mul_f32 v[10:11], v[2:3], v[4:5]
	;;#ASMEND
	s_or_b64 exec, exec, s[28:29]
	s_mov_b64 s[8:9], -1
	s_and_b64 vcc, exec, s[22:23]
	s_cbranch_vccz .LBB339_15
.LBB339_19:
	s_and_saveexec_b64 s[8:9], s[0:1]
	s_cbranch_execz .LBB339_21
; %bb.20:
	s_mul_hi_i32 s23, s10, s6
	s_mul_i32 s22, s10, s6
	s_waitcnt vmcnt(0)
	v_cvt_f16_f32_e32 v2, v14
	v_cvt_f16_f32_e32 v3, v16
	;; [unrolled: 1-line block ×8, first 2 shown]
	s_lshl_b64 s[22:23], s[22:23], 1
	s_add_u32 s28, s36, s22
	s_addc_u32 s7, s37, s23
	s_and_b32 s29, s7, 0xffff
	s_mov_b32 s31, 0x20000
	v_pack_b32_f16 v5, v5, v6
	v_pack_b32_f16 v4, v4, v7
	;; [unrolled: 1-line block ×4, first 2 shown]
	v_lshlrev_b32_e32 v6, 4, v0
	buffer_store_dwordx4 v[2:5], v6, s[28:31], 0 offen
	;;#ASMSTART
	s_nop 0
	;;#ASMEND
.LBB339_21:
	s_or_b64 exec, exec, s[8:9]
	s_cbranch_execnz .LBB339_16
.LBB339_22:
	s_waitcnt vmcnt(0)
	v_mov_b32_e32 v2, 0
	s_and_saveexec_b64 s[8:9], s[0:1]
	s_cbranch_execz .LBB339_24
; %bb.23:
	v_and_b32_e32 v2, 0x7fffffff, v14
	v_and_b32_e32 v3, 0x7fffffff, v15
	v_mov_b32_e32 v4, 0x2edbe6ff
	;;#ASMSTART
	v_max3_f32 v2, v4, v2, v3

	;;#ASMEND
	v_and_b32_e32 v3, 0x7fffffff, v16
	v_and_b32_e32 v4, 0x7fffffff, v17
	;;#ASMSTART
	v_max3_f32 v2, v2, v3, v4

	;;#ASMEND
	v_and_b32_e32 v3, 0x7fffffff, v12
	v_and_b32_e32 v4, 0x7fffffff, v13
	;; [unrolled: 6-line block ×3, first 2 shown]
	;;#ASMSTART
	v_max3_f32 v2, v2, v3, v4

	;;#ASMEND
.LBB339_24:
	s_or_b64 exec, exec, s[8:9]
	;;#ASMSTART
	v_max_f32 v3, v2, v2 quad_perm:[1,0,3,2] row_mask:0xf bank_mask:0xf bound_ctrl:1
	;;#ASMEND
	;;#ASMSTART
	v_max_f32 v2, v3, v3 quad_perm:[2,3,0,1] row_mask:0xf bank_mask:0xf bound_ctrl:1
	;;#ASMEND
	;;#ASMSTART
	v_max_f32 v3, v2, v2 row_half_mirror row_mask:0xf bank_mask:0xf bound_ctrl:1
	;;#ASMEND
	;;#ASMSTART
	v_max_f32 v2, v3, v3 row_mirror row_mask:0xf bank_mask:0xf bound_ctrl:1
	;;#ASMEND
	v_and_b32_e32 v3, 15, v0
	v_cmp_eq_u32_e32 vcc, 0, v3
	v_cmp_gt_i32_e64 s[8:9], s15, v1
	s_and_b64 s[22:23], vcc, s[8:9]
	s_and_saveexec_b64 s[8:9], s[22:23]
	s_cbranch_execz .LBB339_26
; %bb.25:
	s_load_dwordx2 s[22:23], s[4:5], 0x8
	v_mul_f32_e32 v2, 0x3e2aaaab, v2
	v_lshrrev_b32_e32 v3, 23, v2
	v_and_b32_e32 v4, 0x7f800000, v2
	v_and_b32_e32 v2, 0x7fffff, v2
	v_cmp_ne_u32_e32 vcc, 0, v2
	s_mul_i32 s12, s25, s6
	s_mov_b32 s7, 0x7f800000
	v_addc_co_u32_e32 v2, vcc, 0, v3, vcc
	s_mul_hi_i32 s11, s25, s6
	s_waitcnt lgkmcnt(0)
	s_add_u32 s22, s22, s12
	v_cmp_ne_u32_e32 vcc, s7, v4
	s_addc_u32 s23, s23, s11
	v_lshrrev_b32_e32 v5, 4, v0
	v_cndmask_b32_e32 v4, -1, v2, vcc
	v_pk_mov_b32 v[2:3], s[22:23], s[22:23] op_sel:[0,1]
	v_mad_i64_i32 v[2:3], s[22:23], s26, v5, v[2:3]
	global_store_byte v[2:3], v4, off
.LBB339_26:
	s_or_b64 exec, exec, s[8:9]
	s_and_saveexec_b64 s[8:9], s[0:1]
	s_cbranch_execz .LBB339_28
; %bb.27:
	s_load_dwordx2 s[0:1], s[4:5], 0x0
	s_mul_i32 s11, s24, s6
	s_mul_hi_i32 s7, s24, s6
	v_lshlrev_b32_e32 v2, 2, v0
	s_mov_b32 s27, 0x20000
	s_waitcnt lgkmcnt(0)
	s_add_u32 s24, s0, s11
	s_addc_u32 s0, s1, s7
	s_lshr_b32 s1, s15, 31
	s_add_i32 s1, s15, s1
	s_ashr_i32 s1, s1, 1
	s_add_i32 s1, s1, 3
	s_ashr_i32 s7, s1, 31
	s_lshr_b32 s7, s7, 30
	s_add_i32 s1, s1, s7
	s_and_b32 s26, s1, -4
	s_and_b32 s25, s0, 0xffff
	v_mov_b32_e32 v3, 0
	buffer_store_dword v3, v2, s[24:27], 0 offen
	;;#ASMSTART
	s_nop 0
	;;#ASMEND
.LBB339_28:
	s_or_b64 exec, exec, s[8:9]
	s_cmp_lt_i32 s16, 1
	s_cbranch_scc1 .LBB339_17
.LBB339_29:
	s_load_dword s0, s[4:5], 0x94
	s_waitcnt lgkmcnt(0)
	s_cmp_lg_u32 s0, 1
	s_cbranch_scc1 .LBB339_17
; %bb.30:
	s_lshl_b32 s0, s16, 1
	s_add_i32 s0, s0, 2
	v_cmp_gt_u32_e32 vcc, s16, v1
	s_and_b32 s22, s0, -4
	v_mov_b32_e32 v10, 0
	v_lshlrev_b32_e32 v1, 4, v0
	v_mov_b32_e32 v6, 0
	v_mov_b32_e32 v7, 0
	;; [unrolled: 1-line block ×4, first 2 shown]
	s_waitcnt vmcnt(0)
	v_mov_b32_e32 v2, 0
	v_mov_b32_e32 v3, 0
	;; [unrolled: 1-line block ×4, first 2 shown]
	s_barrier
	s_and_saveexec_b64 s[0:1], vcc
	s_cbranch_execz .LBB339_32
; %bb.31:
	s_mul_hi_i32 s5, s18, s6
	s_mul_i32 s4, s18, s6
	s_and_b32 s21, s21, 0xffff
	s_lshl_b64 s[4:5], s[4:5], 1
	s_add_u32 s24, s34, s4
	s_mov_b32 s23, 0x20000
	s_addc_u32 s4, s35, s5
	s_and_b32 s25, s4, 0xffff
	s_mov_b32 s26, s22
	s_mov_b32 s27, s23
	buffer_load_dwordx4 v[6:9], v1, s[24:27], 0 offen glc slc
	buffer_load_dwordx4 v[2:5], v1, s[20:23], 0 offen
.LBB339_32:
	s_or_b64 exec, exec, s[0:1]
	v_mov_b32_e32 v11, 0
	v_mov_b32_e32 v16, 0
	;; [unrolled: 1-line block ×7, first 2 shown]
	s_and_saveexec_b64 s[0:1], vcc
	s_cbranch_execz .LBB339_34
; %bb.33:
	s_waitcnt vmcnt(1)
	v_cvt_f32_f16_sdwa v11, v6 dst_sel:DWORD dst_unused:UNUSED_PAD src0_sel:WORD_1
	v_cvt_f32_f16_e32 v10, v6
	v_cvt_f32_f16_sdwa v17, v7 dst_sel:DWORD dst_unused:UNUSED_PAD src0_sel:WORD_1
	v_cvt_f32_f16_e32 v16, v7
	;; [unrolled: 2-line block ×4, first 2 shown]
.LBB339_34:
	s_or_b64 exec, exec, s[0:1]
	s_waitcnt vmcnt(1)
	v_mul_f32_e32 v6, v11, v11
	v_fmac_f32_e32 v6, v10, v10
	v_fmac_f32_e32 v6, v16, v16
	v_fmac_f32_e32 v6, v17, v17
	v_fmac_f32_e32 v6, v14, v14
	v_fmac_f32_e32 v6, v15, v15
	v_fmac_f32_e32 v6, v12, v12
	v_fmac_f32_e32 v6, v13, v13
	s_nop 1
	v_mov_b32_dpp v7, v6 quad_perm:[1,0,3,2] row_mask:0xf bank_mask:0xf
	v_add_f32_e32 v6, v6, v7
	s_nop 1
	v_mov_b32_dpp v7, v6 quad_perm:[2,3,0,1] row_mask:0xf bank_mask:0xf
	v_add_f32_e32 v6, v6, v7
	s_nop 1
	v_mov_b32_dpp v7, v6 row_half_mirror row_mask:0xf bank_mask:0xf
	v_add_f32_e32 v6, v6, v7
	s_nop 1
	v_mov_b32_dpp v7, v6 row_mirror row_mask:0xf bank_mask:0xf
	v_add_f32_e32 v6, v6, v7
	s_nop 1
	v_mov_b32_dpp v7, v6 row_bcast:15 row_mask:0xf bank_mask:0xf
	v_add_f32_e32 v6, v6, v7
	s_nop 1
	v_mov_b32_dpp v7, v6 row_bcast:31 row_mask:0xf bank_mask:0xf
	s_and_saveexec_b64 s[0:1], s[2:3]
	s_cbranch_execz .LBB339_36
; %bb.35:
	v_lshrrev_b32_e32 v0, 4, v0
	v_add_f32_e32 v6, v6, v7
	v_and_b32_e32 v0, 60, v0
	ds_write_b32 v0, v6
.LBB339_36:
	s_or_b64 exec, exec, s[0:1]
	s_waitcnt lgkmcnt(0)
	s_barrier
	ds_read_b32 v0, v18
	s_waitcnt lgkmcnt(0)
	s_nop 0
	v_mov_b32_dpp v6, v0 quad_perm:[1,0,3,2] row_mask:0xf bank_mask:0xf
	s_and_saveexec_b64 s[0:1], vcc
	s_cbranch_execz .LBB339_17
; %bb.37:
	v_cvt_f32_u32_e32 v7, s16
	v_add_f32_e32 v0, v0, v6
	s_mov_b32 s23, 0x20000
	v_div_scale_f32 v6, s[0:1], v7, v7, v0
	v_rcp_f32_e32 v8, v6
	v_div_scale_f32 v9, vcc, v0, v7, v0
	s_mov_b32 s0, 0x800000
	v_fma_f32 v18, -v6, v8, 1.0
	v_fmac_f32_e32 v8, v18, v8
	v_mul_f32_e32 v18, v9, v8
	v_fma_f32 v19, -v6, v18, v9
	v_fmac_f32_e32 v18, v19, v8
	v_fma_f32 v6, -v6, v18, v9
	v_div_fmas_f32 v6, v6, v8, v18
	v_div_fixup_f32 v0, v6, v7, v0
	v_add_f32_e32 v0, s13, v0
	v_mul_f32_e32 v6, 0x4b800000, v0
	v_cmp_gt_f32_e32 vcc, s0, v0
	v_cndmask_b32_e32 v0, v0, v6, vcc
	v_rsq_f32_e32 v0, v0
	s_waitcnt vmcnt(0)
	v_cvt_f32_f16_sdwa v19, v3 dst_sel:DWORD dst_unused:UNUSED_PAD src0_sel:WORD_1
	v_cvt_f32_f16_e32 v18, v3
	s_mul_hi_i32 s1, s10, s6
	v_mul_f32_e32 v6, 0x45800000, v0
	v_cndmask_b32_e32 v6, v0, v6, vcc
	v_mov_b32_e32 v7, v6
	;;#ASMSTART
	v_pk_mul_f32 v[8:9], v[10:11], v[6:7]
	;;#ASMEND
	;;#ASMSTART
	v_pk_mul_f32 v[10:11], v[16:17], v[6:7]
	;;#ASMEND
	v_cvt_f32_f16_sdwa v17, v2 dst_sel:DWORD dst_unused:UNUSED_PAD src0_sel:WORD_1
	v_cvt_f32_f16_e32 v16, v2
	;;#ASMSTART
	v_pk_mul_f32 v[14:15], v[14:15], v[6:7]
	;;#ASMEND
	;;#ASMSTART
	v_pk_mul_f32 v[2:3], v[12:13], v[6:7]
	;;#ASMEND
	v_cvt_f32_f16_sdwa v13, v4 dst_sel:DWORD dst_unused:UNUSED_PAD src0_sel:WORD_1
	v_cvt_f32_f16_e32 v12, v4
	v_pk_add_f32 v[6:7], v[16:17], 1.0 op_sel_hi:[1,0]
	v_cvt_f32_f16_sdwa v17, v5 dst_sel:DWORD dst_unused:UNUSED_PAD src0_sel:WORD_1
	v_cvt_f32_f16_e32 v16, v5
	;;#ASMSTART
	v_pk_mul_f32 v[6:7], v[8:9], v[6:7]
	;;#ASMEND
	v_pk_add_f32 v[8:9], v[18:19], 1.0 op_sel_hi:[1,0]
	;;#ASMSTART
	v_pk_mul_f32 v[4:5], v[10:11], v[8:9]
	;;#ASMEND
	v_pk_add_f32 v[8:9], v[12:13], 1.0 op_sel_hi:[1,0]
	;; [unrolled: 4-line block ×3, first 2 shown]
	;;#ASMSTART
	v_pk_mul_f32 v[2:3], v[2:3], v[10:11]
	;;#ASMEND
	s_mul_i32 s0, s10, s6
	v_cvt_f16_f32_e32 v0, v6
	v_cvt_f16_f32_e32 v6, v7
	;; [unrolled: 1-line block ×8, first 2 shown]
	s_lshl_b64 s[0:1], s[0:1], 1
	s_add_u32 s20, s36, s0
	s_addc_u32 s0, s37, s1
	s_and_b32 s21, s0, 0xffff
	v_pack_b32_f16 v2, v0, v6
	v_pack_b32_f16 v3, v4, v5
	;; [unrolled: 1-line block ×4, first 2 shown]
	buffer_store_dwordx4 v[2:5], v1, s[20:23], 0 offen
	;;#ASMSTART
	s_nop 0
	;;#ASMEND
	s_endpgm
	.section	.rodata,"a",@progbits
	.p2align	6, 0x0
	.amdhsa_kernel _ZN5aiter35fused_qk_rmsnorm_group_quant_kernelIDF16_N4opus5fp4_tELi128ELi8ELi16ELb1ELb0ELb1ELb0ELb0ELb0EEEvPT0_PvPT_S7_S7_PKS6_S9_S9_S9_S9_ffiiiiiiiiiiiii
		.amdhsa_group_segment_fixed_size 16
		.amdhsa_private_segment_fixed_size 0
		.amdhsa_kernarg_size 400
		.amdhsa_user_sgpr_count 6
		.amdhsa_user_sgpr_private_segment_buffer 1
		.amdhsa_user_sgpr_dispatch_ptr 0
		.amdhsa_user_sgpr_queue_ptr 0
		.amdhsa_user_sgpr_kernarg_segment_ptr 1
		.amdhsa_user_sgpr_dispatch_id 0
		.amdhsa_user_sgpr_flat_scratch_init 0
		.amdhsa_user_sgpr_kernarg_preload_length 0
		.amdhsa_user_sgpr_kernarg_preload_offset 0
		.amdhsa_user_sgpr_private_segment_size 0
		.amdhsa_uses_dynamic_stack 0
		.amdhsa_system_sgpr_private_segment_wavefront_offset 0
		.amdhsa_system_sgpr_workgroup_id_x 1
		.amdhsa_system_sgpr_workgroup_id_y 1
		.amdhsa_system_sgpr_workgroup_id_z 0
		.amdhsa_system_sgpr_workgroup_info 0
		.amdhsa_system_vgpr_workitem_id 0
		.amdhsa_next_free_vgpr 25
		.amdhsa_next_free_sgpr 40
		.amdhsa_accum_offset 28
		.amdhsa_reserve_vcc 1
		.amdhsa_reserve_flat_scratch 0
		.amdhsa_float_round_mode_32 0
		.amdhsa_float_round_mode_16_64 0
		.amdhsa_float_denorm_mode_32 3
		.amdhsa_float_denorm_mode_16_64 3
		.amdhsa_dx10_clamp 1
		.amdhsa_ieee_mode 1
		.amdhsa_fp16_overflow 0
		.amdhsa_tg_split 0
		.amdhsa_exception_fp_ieee_invalid_op 0
		.amdhsa_exception_fp_denorm_src 0
		.amdhsa_exception_fp_ieee_div_zero 0
		.amdhsa_exception_fp_ieee_overflow 0
		.amdhsa_exception_fp_ieee_underflow 0
		.amdhsa_exception_fp_ieee_inexact 0
		.amdhsa_exception_int_div_zero 0
	.end_amdhsa_kernel
	.section	.text._ZN5aiter35fused_qk_rmsnorm_group_quant_kernelIDF16_N4opus5fp4_tELi128ELi8ELi16ELb1ELb0ELb1ELb0ELb0ELb0EEEvPT0_PvPT_S7_S7_PKS6_S9_S9_S9_S9_ffiiiiiiiiiiiii,"axG",@progbits,_ZN5aiter35fused_qk_rmsnorm_group_quant_kernelIDF16_N4opus5fp4_tELi128ELi8ELi16ELb1ELb0ELb1ELb0ELb0ELb0EEEvPT0_PvPT_S7_S7_PKS6_S9_S9_S9_S9_ffiiiiiiiiiiiii,comdat
.Lfunc_end339:
	.size	_ZN5aiter35fused_qk_rmsnorm_group_quant_kernelIDF16_N4opus5fp4_tELi128ELi8ELi16ELb1ELb0ELb1ELb0ELb0ELb0EEEvPT0_PvPT_S7_S7_PKS6_S9_S9_S9_S9_ffiiiiiiiiiiiii, .Lfunc_end339-_ZN5aiter35fused_qk_rmsnorm_group_quant_kernelIDF16_N4opus5fp4_tELi128ELi8ELi16ELb1ELb0ELb1ELb0ELb0ELb0EEEvPT0_PvPT_S7_S7_PKS6_S9_S9_S9_S9_ffiiiiiiiiiiiii
                                        ; -- End function
	.section	.AMDGPU.csdata,"",@progbits
; Kernel info:
; codeLenInByte = 2716
; NumSgprs: 44
; NumVgprs: 25
; NumAgprs: 0
; TotalNumVgprs: 25
; ScratchSize: 0
; MemoryBound: 0
; FloatMode: 240
; IeeeMode: 1
; LDSByteSize: 16 bytes/workgroup (compile time only)
; SGPRBlocks: 5
; VGPRBlocks: 3
; NumSGPRsForWavesPerEU: 44
; NumVGPRsForWavesPerEU: 25
; AccumOffset: 28
; Occupancy: 8
; WaveLimiterHint : 0
; COMPUTE_PGM_RSRC2:SCRATCH_EN: 0
; COMPUTE_PGM_RSRC2:USER_SGPR: 6
; COMPUTE_PGM_RSRC2:TRAP_HANDLER: 0
; COMPUTE_PGM_RSRC2:TGID_X_EN: 1
; COMPUTE_PGM_RSRC2:TGID_Y_EN: 1
; COMPUTE_PGM_RSRC2:TGID_Z_EN: 0
; COMPUTE_PGM_RSRC2:TIDIG_COMP_CNT: 0
; COMPUTE_PGM_RSRC3_GFX90A:ACCUM_OFFSET: 6
; COMPUTE_PGM_RSRC3_GFX90A:TG_SPLIT: 0
	.section	.text._ZN5aiter35fused_qk_rmsnorm_group_quant_kernelItN4opus5fp4_tELi128ELi8ELi16ELb1ELb0ELb1ELb0ELb0ELb0EEEvPT0_PvPT_S7_S7_PKS6_S9_S9_S9_S9_ffiiiiiiiiiiiii,"axG",@progbits,_ZN5aiter35fused_qk_rmsnorm_group_quant_kernelItN4opus5fp4_tELi128ELi8ELi16ELb1ELb0ELb1ELb0ELb0ELb0EEEvPT0_PvPT_S7_S7_PKS6_S9_S9_S9_S9_ffiiiiiiiiiiiii,comdat
	.protected	_ZN5aiter35fused_qk_rmsnorm_group_quant_kernelItN4opus5fp4_tELi128ELi8ELi16ELb1ELb0ELb1ELb0ELb0ELb0EEEvPT0_PvPT_S7_S7_PKS6_S9_S9_S9_S9_ffiiiiiiiiiiiii ; -- Begin function _ZN5aiter35fused_qk_rmsnorm_group_quant_kernelItN4opus5fp4_tELi128ELi8ELi16ELb1ELb0ELb1ELb0ELb0ELb0EEEvPT0_PvPT_S7_S7_PKS6_S9_S9_S9_S9_ffiiiiiiiiiiiii
	.globl	_ZN5aiter35fused_qk_rmsnorm_group_quant_kernelItN4opus5fp4_tELi128ELi8ELi16ELb1ELb0ELb1ELb0ELb0ELb0EEEvPT0_PvPT_S7_S7_PKS6_S9_S9_S9_S9_ffiiiiiiiiiiiii
	.p2align	8
	.type	_ZN5aiter35fused_qk_rmsnorm_group_quant_kernelItN4opus5fp4_tELi128ELi8ELi16ELb1ELb0ELb1ELb0ELb0ELb0EEEvPT0_PvPT_S7_S7_PKS6_S9_S9_S9_S9_ffiiiiiiiiiiiii,@function
_ZN5aiter35fused_qk_rmsnorm_group_quant_kernelItN4opus5fp4_tELi128ELi8ELi16ELb1ELb0ELb1ELb0ELb0ELb0EEEvPT0_PvPT_S7_S7_PKS6_S9_S9_S9_S9_ffiiiiiiiiiiiii: ; @_ZN5aiter35fused_qk_rmsnorm_group_quant_kernelItN4opus5fp4_tELi128ELi8ELi16ELb1ELb0ELb1ELb0ELb0ELb0EEEvPT0_PvPT_S7_S7_PKS6_S9_S9_S9_S9_ffiiiiiiiiiiiii
; %bb.0:
	s_load_dwordx8 s[12:19], s[4:5], 0x50
	s_waitcnt lgkmcnt(0)
	s_cmp_ge_i32 s6, s14
	s_cbranch_scc1 .LBB340_17
; %bb.1:
	s_cmp_lg_u32 s7, 0
	s_cselect_b64 s[22:23], -1, 0
	s_cmp_eq_u32 s7, 0
	s_cselect_b64 s[8:9], -1, 0
	s_and_b64 s[0:1], s[8:9], exec
	s_load_dwordx2 s[20:21], s[4:5], 0x48
	s_load_dwordx2 s[34:35], s[4:5], 0x30
	s_load_dwordx4 s[24:27], s[4:5], 0x70
	s_cselect_b32 s7, s15, s16
	s_add_i32 s0, s7, 1
	s_lshr_b32 s1, s0, 31
	s_add_i32 s0, s0, s1
	s_lshl_b32 s0, s0, 1
	v_lshlrev_b32_e32 v1, 3, v0
	s_and_b32 s30, s0, -4
	v_cmp_gt_i32_e64 s[0:1], s7, v1
	v_mov_b32_e32 v10, 0
	v_mov_b32_e32 v11, 0
	;; [unrolled: 1-line block ×8, first 2 shown]
	s_and_saveexec_b64 s[2:3], s[0:1]
	s_cbranch_execz .LBB340_3
; %bb.2:
	s_load_dwordx2 s[10:11], s[4:5], 0x28
	s_load_dwordx2 s[28:29], s[4:5], 0x40
	s_and_b64 s[36:37], s[8:9], exec
	s_cselect_b32 s14, s17, s18
	s_mov_b32 s31, 0x20000
	s_waitcnt lgkmcnt(0)
	s_cselect_b32 s17, s11, s35
	s_cselect_b32 s27, s10, s34
	s_mul_hi_i32 s11, s14, s6
	s_mul_i32 s10, s14, s6
	s_lshl_b64 s[10:11], s[10:11], 1
	s_add_u32 s36, s27, s10
	s_addc_u32 s14, s17, s11
	s_and_b64 s[10:11], s[8:9], exec
	s_cselect_b32 s28, s28, s20
	s_cselect_b32 s10, s29, s21
	v_lshlrev_b32_e32 v2, 4, v0
	s_and_b32 s37, s14, 0xffff
	s_mov_b32 s38, s30
	s_mov_b32 s39, s31
	s_and_b32 s29, s10, 0xffff
	buffer_load_dwordx4 v[14:17], v2, s[36:39], 0 offen glc slc
	buffer_load_dwordx4 v[10:13], v2, s[28:31], 0 offen
.LBB340_3:
	s_or_b64 exec, exec, s[2:3]
	s_load_dwordx2 s[10:11], s[4:5], 0x80
	s_and_b64 vcc, exec, s[22:23]
	s_cbranch_vccz .LBB340_7
; %bb.4:
	s_mov_b32 s36, 0
	s_mov_b32 s37, s36
	;; [unrolled: 1-line block ×8, first 2 shown]
	v_pk_mov_b32 v[2:3], s[36:37], s[36:37] op_sel:[0,1]
	v_pk_mov_b32 v[4:5], s[38:39], s[38:39] op_sel:[0,1]
	;; [unrolled: 1-line block ×4, first 2 shown]
	s_and_saveexec_b64 s[2:3], s[0:1]
	s_cbranch_execz .LBB340_6
; %bb.5:
	s_waitcnt vmcnt(1)
	v_cvt_f32_u32_sdwa v3, v14 dst_sel:DWORD dst_unused:UNUSED_PAD src0_sel:WORD_1
	v_cvt_f32_u32_sdwa v2, v14 dst_sel:DWORD dst_unused:UNUSED_PAD src0_sel:WORD_0
	v_cvt_f32_u32_sdwa v5, v15 dst_sel:DWORD dst_unused:UNUSED_PAD src0_sel:WORD_1
	v_cvt_f32_u32_sdwa v4, v15 dst_sel:DWORD dst_unused:UNUSED_PAD src0_sel:WORD_0
	;; [unrolled: 2-line block ×4, first 2 shown]
.LBB340_6:
	s_or_b64 exec, exec, s[2:3]
	s_cbranch_execz .LBB340_8
	s_branch .LBB340_11
.LBB340_7:
                                        ; implicit-def: $vgpr2_vgpr3_vgpr4_vgpr5_vgpr6_vgpr7_vgpr8_vgpr9
.LBB340_8:
	s_mov_b32 s36, 0
	s_mov_b32 s37, s36
	;; [unrolled: 1-line block ×8, first 2 shown]
	v_pk_mov_b32 v[2:3], s[36:37], s[36:37] op_sel:[0,1]
	v_pk_mov_b32 v[4:5], s[38:39], s[38:39] op_sel:[0,1]
	;; [unrolled: 1-line block ×4, first 2 shown]
	s_and_saveexec_b64 s[2:3], s[0:1]
	s_cbranch_execz .LBB340_10
; %bb.9:
	s_load_dwordx2 s[28:29], s[4:5], 0x38
	s_mul_hi_i32 s37, s19, s6
	s_mul_i32 s36, s19, s6
	s_lshl_b64 s[36:37], s[36:37], 1
	s_mov_b32 s31, 0x20000
	s_waitcnt lgkmcnt(0)
	s_add_u32 s28, s28, s36
	s_addc_u32 s14, s29, s37
	s_and_b32 s29, s14, 0xffff
	v_lshlrev_b32_e32 v26, 4, v0
	buffer_load_dwordx4 v[2:5], v26, s[28:31], 0 offen glc slc
	s_load_dwordx2 s[28:29], s[4:5], 0x20
	s_waitcnt vmcnt(2)
	v_cvt_f32_u32_sdwa v7, v14 dst_sel:DWORD dst_unused:UNUSED_PAD src0_sel:WORD_1
	v_cvt_f32_u32_sdwa v6, v14 dst_sel:DWORD dst_unused:UNUSED_PAD src0_sel:WORD_0
	v_cvt_f32_u32_sdwa v9, v15 dst_sel:DWORD dst_unused:UNUSED_PAD src0_sel:WORD_1
	v_cvt_f32_u32_sdwa v8, v15 dst_sel:DWORD dst_unused:UNUSED_PAD src0_sel:WORD_0
	;; [unrolled: 2-line block ×4, first 2 shown]
	s_mul_hi_i32 s37, s11, s6
	s_mul_i32 s36, s11, s6
	s_lshl_b64 s[36:37], s[36:37], 1
	s_waitcnt lgkmcnt(0)
	s_add_u32 s28, s28, s36
	s_mov_b32 s11, 0x7060302
	s_addc_u32 s14, s29, s37
	s_and_b32 s29, s14, 0xffff
	s_waitcnt vmcnt(0)
	v_cvt_f32_u32_sdwa v17, v2 dst_sel:DWORD dst_unused:UNUSED_PAD src0_sel:WORD_1
	v_cvt_f32_u32_sdwa v16, v2 dst_sel:DWORD dst_unused:UNUSED_PAD src0_sel:WORD_0
	v_cvt_f32_u32_sdwa v21, v3 dst_sel:DWORD dst_unused:UNUSED_PAD src0_sel:WORD_1
	v_cvt_f32_u32_sdwa v20, v3 dst_sel:DWORD dst_unused:UNUSED_PAD src0_sel:WORD_0
	;; [unrolled: 2-line block ×4, first 2 shown]
	v_pk_add_f32 v[2:3], v[6:7], v[16:17]
	v_pk_add_f32 v[4:5], v[8:9], v[20:21]
	;; [unrolled: 1-line block ×4, first 2 shown]
	v_perm_b32 v17, v9, v8, s11
	v_perm_b32 v16, v7, v6, s11
	;; [unrolled: 1-line block ×4, first 2 shown]
	buffer_store_dwordx4 v[14:17], v26, s[28:31], 0 offen glc slc
	;;#ASMSTART
	s_nop 0
	;;#ASMEND
.LBB340_10:
	s_or_b64 exec, exec, s[2:3]
.LBB340_11:
	s_waitcnt vmcnt(1)
	v_mul_f32_e32 v14, v3, v3
	v_fmac_f32_e32 v14, v2, v2
	v_fmac_f32_e32 v14, v4, v4
	;; [unrolled: 1-line block ×7, first 2 shown]
	v_and_b32_e32 v16, 63, v0
	v_cmp_eq_u32_e64 s[2:3], 63, v16
	v_mov_b32_dpp v15, v14 quad_perm:[1,0,3,2] row_mask:0xf bank_mask:0xf
	v_add_f32_e32 v14, v14, v15
	s_nop 1
	v_mov_b32_dpp v15, v14 quad_perm:[2,3,0,1] row_mask:0xf bank_mask:0xf
	v_add_f32_e32 v14, v14, v15
	s_nop 1
	v_mov_b32_dpp v15, v14 row_half_mirror row_mask:0xf bank_mask:0xf
	v_add_f32_e32 v14, v14, v15
	s_nop 1
	v_mov_b32_dpp v15, v14 row_mirror row_mask:0xf bank_mask:0xf
	v_add_f32_e32 v14, v14, v15
	s_nop 1
	v_mov_b32_dpp v15, v14 row_bcast:15 row_mask:0xf bank_mask:0xf
	v_add_f32_e32 v14, v14, v15
	s_nop 1
	v_mov_b32_dpp v15, v14 row_bcast:31 row_mask:0xf bank_mask:0xf
	s_and_saveexec_b64 s[28:29], s[2:3]
	s_cbranch_execz .LBB340_13
; %bb.12:
	v_add_f32_e32 v14, v14, v15
	v_lshrrev_b32_e32 v15, 4, v0
	v_and_b32_e32 v15, 60, v15
	ds_write_b32 v15, v14 offset:8
.LBB340_13:
	s_or_b64 exec, exec, s[28:29]
	v_and_b32_e32 v14, 1, v0
	v_lshlrev_b32_e32 v14, 2, v14
	s_waitcnt lgkmcnt(0)
	s_barrier
	ds_read_b32 v15, v14 offset:8
	s_load_dwordx2 s[36:37], s[4:5], 0x18
	s_waitcnt lgkmcnt(0)
	v_mov_b32_dpp v16, v15 quad_perm:[1,0,3,2] row_mask:0xf bank_mask:0xf
	s_and_saveexec_b64 s[28:29], s[0:1]
	s_cbranch_execnz .LBB340_18
; %bb.14:
	s_or_b64 exec, exec, s[28:29]
	s_mov_b64 s[8:9], -1
	s_and_b64 vcc, exec, s[22:23]
	s_cbranch_vccnz .LBB340_19
.LBB340_15:
	s_andn2_b64 vcc, exec, s[8:9]
	s_cbranch_vccz .LBB340_22
.LBB340_16:
	s_cmp_lt_i32 s16, 1
	s_cbranch_scc0 .LBB340_29
.LBB340_17:
	s_endpgm
.LBB340_18:
	v_cvt_f32_u32_e32 v17, s7
	v_add_f32_e32 v15, v15, v16
	v_mov_b32_e32 v19, s13
	v_mov_b32_e32 v20, s12
	v_div_scale_f32 v16, s[38:39], v17, v17, v15
	v_rcp_f32_e32 v18, v16
	v_cndmask_b32_e64 v19, v19, v20, s[8:9]
	s_mov_b32 s7, 0x800000
	v_fma_f32 v20, -v16, v18, 1.0
	v_fmac_f32_e32 v18, v20, v18
	v_div_scale_f32 v20, vcc, v15, v17, v15
	v_mul_f32_e32 v21, v20, v18
	v_fma_f32 v22, -v16, v21, v20
	v_fmac_f32_e32 v21, v22, v18
	v_fma_f32 v16, -v16, v21, v20
	v_div_fmas_f32 v16, v16, v18, v21
	v_div_fixup_f32 v15, v16, v17, v15
	v_add_f32_e32 v15, v19, v15
	v_mul_f32_e32 v16, 0x4b800000, v15
	v_cmp_gt_f32_e32 vcc, s7, v15
	v_cndmask_b32_e32 v15, v15, v16, vcc
	v_rsq_f32_e32 v15, v15
	s_waitcnt vmcnt(0)
	v_cvt_f32_u32_sdwa v19, v10 dst_sel:DWORD dst_unused:UNUSED_PAD src0_sel:WORD_1
	v_cvt_f32_u32_sdwa v18, v10 dst_sel:DWORD dst_unused:UNUSED_PAD src0_sel:WORD_0
	v_cvt_f32_u32_sdwa v21, v11 dst_sel:DWORD dst_unused:UNUSED_PAD src0_sel:WORD_1
	v_mul_f32_e32 v16, 0x45800000, v15
	v_cndmask_b32_e32 v16, v15, v16, vcc
	v_mov_b32_e32 v17, v16
	v_cvt_f32_u32_sdwa v20, v11 dst_sel:DWORD dst_unused:UNUSED_PAD src0_sel:WORD_0
	;;#ASMSTART
	v_pk_mul_f32 v[2:3], v[2:3], v[16:17]
	;;#ASMEND
	;;#ASMSTART
	v_pk_mul_f32 v[4:5], v[4:5], v[16:17]
	;;#ASMEND
	;; [unrolled: 3-line block ×4, first 2 shown]
	v_cvt_f32_u32_sdwa v17, v12 dst_sel:DWORD dst_unused:UNUSED_PAD src0_sel:WORD_1
	v_cvt_f32_u32_sdwa v16, v12 dst_sel:DWORD dst_unused:UNUSED_PAD src0_sel:WORD_0
	v_pk_add_f32 v[10:11], v[18:19], 1.0 op_sel_hi:[1,0]
	v_cvt_f32_u32_sdwa v19, v13 dst_sel:DWORD dst_unused:UNUSED_PAD src0_sel:WORD_1
	v_cvt_f32_u32_sdwa v18, v13 dst_sel:DWORD dst_unused:UNUSED_PAD src0_sel:WORD_0
	;;#ASMSTART
	v_pk_mul_f32 v[2:3], v[2:3], v[10:11]
	;;#ASMEND
	v_pk_add_f32 v[10:11], v[20:21], 1.0 op_sel_hi:[1,0]
	;;#ASMSTART
	v_pk_mul_f32 v[4:5], v[4:5], v[10:11]
	;;#ASMEND
	v_pk_add_f32 v[10:11], v[16:17], 1.0 op_sel_hi:[1,0]
	;; [unrolled: 4-line block ×3, first 2 shown]
	;;#ASMSTART
	v_pk_mul_f32 v[8:9], v[8:9], v[10:11]
	;;#ASMEND
	s_or_b64 exec, exec, s[28:29]
	s_mov_b64 s[8:9], -1
	s_and_b64 vcc, exec, s[22:23]
	s_cbranch_vccz .LBB340_15
.LBB340_19:
	s_and_saveexec_b64 s[8:9], s[0:1]
	s_cbranch_execz .LBB340_21
; %bb.20:
	s_mul_hi_i32 s23, s10, s6
	s_mul_i32 s22, s10, s6
	s_lshl_b64 s[22:23], s[22:23], 1
	s_add_u32 s28, s36, s22
	s_addc_u32 s7, s37, s23
	s_and_b32 s29, s7, 0xffff
	s_mov_b32 s7, 0x7060302
	s_mov_b32 s31, 0x20000
	s_waitcnt vmcnt(0)
	v_perm_b32 v10, v3, v2, s7
	v_perm_b32 v11, v5, v4, s7
	;; [unrolled: 1-line block ×4, first 2 shown]
	v_lshlrev_b32_e32 v15, 4, v0
	buffer_store_dwordx4 v[10:13], v15, s[28:31], 0 offen
	;;#ASMSTART
	s_nop 0
	;;#ASMEND
.LBB340_21:
	s_or_b64 exec, exec, s[8:9]
	s_cbranch_execnz .LBB340_16
.LBB340_22:
	s_waitcnt vmcnt(0)
	v_mov_b32_e32 v10, 0
	s_and_saveexec_b64 s[8:9], s[0:1]
	s_cbranch_execz .LBB340_24
; %bb.23:
	v_and_b32_e32 v2, 0x7fffffff, v2
	v_and_b32_e32 v3, 0x7fffffff, v3
	v_mov_b32_e32 v10, 0x2edbe6ff
	;;#ASMSTART
	v_max3_f32 v2, v10, v2, v3

	;;#ASMEND
	v_and_b32_e32 v3, 0x7fffffff, v4
	v_and_b32_e32 v4, 0x7fffffff, v5
	;;#ASMSTART
	v_max3_f32 v2, v2, v3, v4

	;;#ASMEND
	v_and_b32_e32 v3, 0x7fffffff, v6
	v_and_b32_e32 v4, 0x7fffffff, v7
	;; [unrolled: 6-line block ×3, first 2 shown]
	;;#ASMSTART
	v_max3_f32 v10, v2, v3, v4

	;;#ASMEND
.LBB340_24:
	s_or_b64 exec, exec, s[8:9]
	;;#ASMSTART
	v_max_f32 v2, v10, v10 quad_perm:[1,0,3,2] row_mask:0xf bank_mask:0xf bound_ctrl:1
	;;#ASMEND
	;;#ASMSTART
	v_max_f32 v3, v2, v2 quad_perm:[2,3,0,1] row_mask:0xf bank_mask:0xf bound_ctrl:1
	;;#ASMEND
	;;#ASMSTART
	v_max_f32 v4, v3, v3 row_half_mirror row_mask:0xf bank_mask:0xf bound_ctrl:1
	;;#ASMEND
	v_and_b32_e32 v3, 15, v0
	v_cmp_eq_u32_e32 vcc, 0, v3
	v_cmp_gt_i32_e64 s[8:9], s15, v1
	s_and_b64 s[22:23], vcc, s[8:9]
	;;#ASMSTART
	v_max_f32 v2, v4, v4 row_mirror row_mask:0xf bank_mask:0xf bound_ctrl:1
	;;#ASMEND
	s_and_saveexec_b64 s[8:9], s[22:23]
	s_cbranch_execz .LBB340_26
; %bb.25:
	s_load_dwordx2 s[22:23], s[4:5], 0x8
	v_mul_f32_e32 v2, 0x3e2aaaab, v2
	v_lshrrev_b32_e32 v3, 23, v2
	v_and_b32_e32 v4, 0x7f800000, v2
	v_and_b32_e32 v2, 0x7fffff, v2
	v_cmp_ne_u32_e32 vcc, 0, v2
	s_mul_i32 s12, s25, s6
	s_mov_b32 s7, 0x7f800000
	v_addc_co_u32_e32 v2, vcc, 0, v3, vcc
	s_mul_hi_i32 s11, s25, s6
	s_waitcnt lgkmcnt(0)
	s_add_u32 s22, s22, s12
	v_cmp_ne_u32_e32 vcc, s7, v4
	s_addc_u32 s23, s23, s11
	v_lshrrev_b32_e32 v5, 4, v0
	v_cndmask_b32_e32 v4, -1, v2, vcc
	v_pk_mov_b32 v[2:3], s[22:23], s[22:23] op_sel:[0,1]
	v_mad_i64_i32 v[2:3], s[22:23], s26, v5, v[2:3]
	global_store_byte v[2:3], v4, off
.LBB340_26:
	s_or_b64 exec, exec, s[8:9]
	s_and_saveexec_b64 s[8:9], s[0:1]
	s_cbranch_execz .LBB340_28
; %bb.27:
	s_load_dwordx2 s[0:1], s[4:5], 0x0
	s_mul_i32 s11, s24, s6
	s_mul_hi_i32 s7, s24, s6
	v_lshlrev_b32_e32 v2, 2, v0
	s_mov_b32 s27, 0x20000
	s_waitcnt lgkmcnt(0)
	s_add_u32 s24, s0, s11
	s_addc_u32 s0, s1, s7
	s_lshr_b32 s1, s15, 31
	s_add_i32 s1, s15, s1
	s_ashr_i32 s1, s1, 1
	s_add_i32 s1, s1, 3
	s_ashr_i32 s7, s1, 31
	s_lshr_b32 s7, s7, 30
	s_add_i32 s1, s1, s7
	s_and_b32 s26, s1, -4
	s_and_b32 s25, s0, 0xffff
	v_mov_b32_e32 v3, 0
	buffer_store_dword v3, v2, s[24:27], 0 offen
	;;#ASMSTART
	s_nop 0
	;;#ASMEND
.LBB340_28:
	s_or_b64 exec, exec, s[8:9]
	s_cmp_lt_i32 s16, 1
	s_cbranch_scc1 .LBB340_17
.LBB340_29:
	s_load_dword s0, s[4:5], 0x94
	s_waitcnt lgkmcnt(0)
	s_cmp_lg_u32 s0, 1
	s_cbranch_scc1 .LBB340_17
; %bb.30:
	s_lshl_b32 s0, s16, 1
	s_add_i32 s0, s0, 2
	v_cmp_gt_u32_e32 vcc, s16, v1
	s_and_b32 s22, s0, -4
	v_mov_b32_e32 v6, 0
	v_lshlrev_b32_e32 v1, 4, v0
	v_mov_b32_e32 v7, 0
	v_mov_b32_e32 v8, 0
	;; [unrolled: 1-line block ×7, first 2 shown]
	s_barrier
	s_and_saveexec_b64 s[0:1], vcc
	s_cbranch_execz .LBB340_32
; %bb.31:
	s_mul_hi_i32 s5, s18, s6
	s_mul_i32 s4, s18, s6
	s_and_b32 s21, s21, 0xffff
	s_lshl_b64 s[4:5], s[4:5], 1
	s_add_u32 s24, s34, s4
	s_mov_b32 s23, 0x20000
	s_addc_u32 s4, s35, s5
	s_and_b32 s25, s4, 0xffff
	s_mov_b32 s26, s22
	s_mov_b32 s27, s23
	buffer_load_dwordx4 v[6:9], v1, s[24:27], 0 offen glc slc
	buffer_load_dwordx4 v[2:5], v1, s[20:23], 0 offen
.LBB340_32:
	s_or_b64 exec, exec, s[0:1]
	s_waitcnt vmcnt(0)
	v_cvt_f32_u32_sdwa v13, v6 dst_sel:DWORD dst_unused:UNUSED_PAD src0_sel:WORD_1
	v_cvt_f32_u32_sdwa v12, v6 dst_sel:DWORD dst_unused:UNUSED_PAD src0_sel:WORD_0
	v_cvt_f32_u32_sdwa v6, v9 dst_sel:DWORD dst_unused:UNUSED_PAD src0_sel:WORD_1
	v_cvt_f32_u32_sdwa v9, v9 dst_sel:DWORD dst_unused:UNUSED_PAD src0_sel:WORD_0
	;; [unrolled: 2-line block ×4, first 2 shown]
	v_cndmask_b32_e32 v13, 0, v13, vcc
	v_cndmask_b32_e32 v7, 0, v6, vcc
	;; [unrolled: 1-line block ×5, first 2 shown]
	v_mul_f32_e32 v15, v13, v13
	v_cndmask_b32_e32 v10, 0, v10, vcc
	v_fmac_f32_e32 v15, v12, v12
	v_cndmask_b32_e32 v11, 0, v11, vcc
	v_fmac_f32_e32 v15, v10, v10
	;; [unrolled: 2-line block ×3, first 2 shown]
	v_fmac_f32_e32 v15, v8, v8
	v_fmac_f32_e32 v15, v9, v9
	;; [unrolled: 1-line block ×4, first 2 shown]
	s_nop 1
	v_mov_b32_dpp v16, v15 quad_perm:[1,0,3,2] row_mask:0xf bank_mask:0xf
	v_add_f32_e32 v15, v15, v16
	s_nop 1
	v_mov_b32_dpp v16, v15 quad_perm:[2,3,0,1] row_mask:0xf bank_mask:0xf
	v_add_f32_e32 v15, v15, v16
	s_nop 1
	v_mov_b32_dpp v16, v15 row_half_mirror row_mask:0xf bank_mask:0xf
	v_add_f32_e32 v15, v15, v16
	s_nop 1
	v_mov_b32_dpp v16, v15 row_mirror row_mask:0xf bank_mask:0xf
	v_add_f32_e32 v15, v15, v16
	s_nop 1
	v_mov_b32_dpp v16, v15 row_bcast:15 row_mask:0xf bank_mask:0xf
	v_add_f32_e32 v15, v15, v16
	s_nop 1
	v_mov_b32_dpp v16, v15 row_bcast:31 row_mask:0xf bank_mask:0xf
	s_and_saveexec_b64 s[0:1], s[2:3]
	s_cbranch_execz .LBB340_34
; %bb.33:
	v_lshrrev_b32_e32 v0, 4, v0
	v_add_f32_e32 v15, v15, v16
	v_and_b32_e32 v0, 60, v0
	ds_write_b32 v0, v15
.LBB340_34:
	s_or_b64 exec, exec, s[0:1]
	s_waitcnt lgkmcnt(0)
	s_barrier
	ds_read_b32 v0, v14
	s_waitcnt lgkmcnt(0)
	s_nop 0
	v_mov_b32_dpp v14, v0 quad_perm:[1,0,3,2] row_mask:0xf bank_mask:0xf
	s_and_saveexec_b64 s[0:1], vcc
	s_cbranch_execz .LBB340_17
; %bb.35:
	v_cvt_f32_u32_e32 v15, s16
	v_add_f32_e32 v0, v0, v14
	s_mov_b32 s23, 0x20000
	v_div_scale_f32 v14, s[0:1], v15, v15, v0
	v_rcp_f32_e32 v16, v14
	v_div_scale_f32 v17, vcc, v0, v15, v0
	s_mov_b32 s0, 0x800000
	v_fma_f32 v18, -v14, v16, 1.0
	v_fmac_f32_e32 v16, v18, v16
	v_mul_f32_e32 v18, v17, v16
	v_fma_f32 v19, -v14, v18, v17
	v_fmac_f32_e32 v18, v19, v16
	v_fma_f32 v14, -v14, v18, v17
	v_div_fmas_f32 v14, v14, v16, v18
	v_div_fixup_f32 v0, v14, v15, v0
	v_add_f32_e32 v0, s13, v0
	v_mul_f32_e32 v14, 0x4b800000, v0
	v_cmp_gt_f32_e32 vcc, s0, v0
	v_cndmask_b32_e32 v0, v0, v14, vcc
	v_rsq_f32_e32 v0, v0
	v_cvt_f32_u32_sdwa v17, v2 dst_sel:DWORD dst_unused:UNUSED_PAD src0_sel:WORD_1
	v_cvt_f32_u32_sdwa v16, v2 dst_sel:DWORD dst_unused:UNUSED_PAD src0_sel:WORD_0
	v_cvt_f32_u32_sdwa v19, v3 dst_sel:DWORD dst_unused:UNUSED_PAD src0_sel:WORD_1
	v_mul_f32_e32 v14, 0x45800000, v0
	v_cndmask_b32_e32 v14, v0, v14, vcc
	v_mov_b32_e32 v15, v14
	;;#ASMSTART
	v_pk_mul_f32 v[12:13], v[12:13], v[14:15]
	;;#ASMEND
	;;#ASMSTART
	v_pk_mul_f32 v[10:11], v[10:11], v[14:15]
	;;#ASMEND
	;; [unrolled: 3-line block ×3, first 2 shown]
	v_cvt_f32_u32_sdwa v18, v3 dst_sel:DWORD dst_unused:UNUSED_PAD src0_sel:WORD_0
	;;#ASMSTART
	v_pk_mul_f32 v[2:3], v[6:7], v[14:15]
	;;#ASMEND
	v_cvt_f32_u32_sdwa v15, v4 dst_sel:DWORD dst_unused:UNUSED_PAD src0_sel:WORD_1
	v_cvt_f32_u32_sdwa v14, v4 dst_sel:DWORD dst_unused:UNUSED_PAD src0_sel:WORD_0
	v_pk_add_f32 v[6:7], v[16:17], 1.0 op_sel_hi:[1,0]
	v_cvt_f32_u32_sdwa v17, v5 dst_sel:DWORD dst_unused:UNUSED_PAD src0_sel:WORD_1
	v_cvt_f32_u32_sdwa v16, v5 dst_sel:DWORD dst_unused:UNUSED_PAD src0_sel:WORD_0
	s_mul_hi_i32 s1, s10, s6
	s_mul_i32 s0, s10, s6
	s_lshl_b64 s[0:1], s[0:1], 1
	s_add_u32 s20, s36, s0
	;;#ASMSTART
	v_pk_mul_f32 v[6:7], v[12:13], v[6:7]
	;;#ASMEND
	v_pk_add_f32 v[12:13], v[18:19], 1.0 op_sel_hi:[1,0]
	;;#ASMSTART
	v_pk_mul_f32 v[4:5], v[10:11], v[12:13]
	;;#ASMEND
	v_pk_add_f32 v[10:11], v[14:15], 1.0 op_sel_hi:[1,0]
	s_addc_u32 s0, s37, s1
	;;#ASMSTART
	v_pk_mul_f32 v[8:9], v[8:9], v[10:11]
	;;#ASMEND
	v_pk_add_f32 v[10:11], v[16:17], 1.0 op_sel_hi:[1,0]
	s_and_b32 s21, s0, 0xffff
	s_mov_b32 s0, 0x7060302
	;;#ASMSTART
	v_pk_mul_f32 v[10:11], v[2:3], v[10:11]
	;;#ASMEND
	v_perm_b32 v2, v7, v6, s0
	v_perm_b32 v3, v5, v4, s0
	;; [unrolled: 1-line block ×4, first 2 shown]
	buffer_store_dwordx4 v[2:5], v1, s[20:23], 0 offen
	;;#ASMSTART
	s_nop 0
	;;#ASMEND
	s_endpgm
	.section	.rodata,"a",@progbits
	.p2align	6, 0x0
	.amdhsa_kernel _ZN5aiter35fused_qk_rmsnorm_group_quant_kernelItN4opus5fp4_tELi128ELi8ELi16ELb1ELb0ELb1ELb0ELb0ELb0EEEvPT0_PvPT_S7_S7_PKS6_S9_S9_S9_S9_ffiiiiiiiiiiiii
		.amdhsa_group_segment_fixed_size 16
		.amdhsa_private_segment_fixed_size 0
		.amdhsa_kernarg_size 400
		.amdhsa_user_sgpr_count 6
		.amdhsa_user_sgpr_private_segment_buffer 1
		.amdhsa_user_sgpr_dispatch_ptr 0
		.amdhsa_user_sgpr_queue_ptr 0
		.amdhsa_user_sgpr_kernarg_segment_ptr 1
		.amdhsa_user_sgpr_dispatch_id 0
		.amdhsa_user_sgpr_flat_scratch_init 0
		.amdhsa_user_sgpr_kernarg_preload_length 0
		.amdhsa_user_sgpr_kernarg_preload_offset 0
		.amdhsa_user_sgpr_private_segment_size 0
		.amdhsa_uses_dynamic_stack 0
		.amdhsa_system_sgpr_private_segment_wavefront_offset 0
		.amdhsa_system_sgpr_workgroup_id_x 1
		.amdhsa_system_sgpr_workgroup_id_y 1
		.amdhsa_system_sgpr_workgroup_id_z 0
		.amdhsa_system_sgpr_workgroup_info 0
		.amdhsa_system_vgpr_workitem_id 0
		.amdhsa_next_free_vgpr 27
		.amdhsa_next_free_sgpr 44
		.amdhsa_accum_offset 28
		.amdhsa_reserve_vcc 1
		.amdhsa_reserve_flat_scratch 0
		.amdhsa_float_round_mode_32 0
		.amdhsa_float_round_mode_16_64 0
		.amdhsa_float_denorm_mode_32 3
		.amdhsa_float_denorm_mode_16_64 3
		.amdhsa_dx10_clamp 1
		.amdhsa_ieee_mode 1
		.amdhsa_fp16_overflow 0
		.amdhsa_tg_split 0
		.amdhsa_exception_fp_ieee_invalid_op 0
		.amdhsa_exception_fp_denorm_src 0
		.amdhsa_exception_fp_ieee_div_zero 0
		.amdhsa_exception_fp_ieee_overflow 0
		.amdhsa_exception_fp_ieee_underflow 0
		.amdhsa_exception_fp_ieee_inexact 0
		.amdhsa_exception_int_div_zero 0
	.end_amdhsa_kernel
	.section	.text._ZN5aiter35fused_qk_rmsnorm_group_quant_kernelItN4opus5fp4_tELi128ELi8ELi16ELb1ELb0ELb1ELb0ELb0ELb0EEEvPT0_PvPT_S7_S7_PKS6_S9_S9_S9_S9_ffiiiiiiiiiiiii,"axG",@progbits,_ZN5aiter35fused_qk_rmsnorm_group_quant_kernelItN4opus5fp4_tELi128ELi8ELi16ELb1ELb0ELb1ELb0ELb0ELb0EEEvPT0_PvPT_S7_S7_PKS6_S9_S9_S9_S9_ffiiiiiiiiiiiii,comdat
.Lfunc_end340:
	.size	_ZN5aiter35fused_qk_rmsnorm_group_quant_kernelItN4opus5fp4_tELi128ELi8ELi16ELb1ELb0ELb1ELb0ELb0ELb0EEEvPT0_PvPT_S7_S7_PKS6_S9_S9_S9_S9_ffiiiiiiiiiiiii, .Lfunc_end340-_ZN5aiter35fused_qk_rmsnorm_group_quant_kernelItN4opus5fp4_tELi128ELi8ELi16ELb1ELb0ELb1ELb0ELb0ELb0EEEvPT0_PvPT_S7_S7_PKS6_S9_S9_S9_S9_ffiiiiiiiiiiiii
                                        ; -- End function
	.section	.AMDGPU.csdata,"",@progbits
; Kernel info:
; codeLenInByte = 2780
; NumSgprs: 48
; NumVgprs: 27
; NumAgprs: 0
; TotalNumVgprs: 27
; ScratchSize: 0
; MemoryBound: 0
; FloatMode: 240
; IeeeMode: 1
; LDSByteSize: 16 bytes/workgroup (compile time only)
; SGPRBlocks: 5
; VGPRBlocks: 3
; NumSGPRsForWavesPerEU: 48
; NumVGPRsForWavesPerEU: 27
; AccumOffset: 28
; Occupancy: 8
; WaveLimiterHint : 0
; COMPUTE_PGM_RSRC2:SCRATCH_EN: 0
; COMPUTE_PGM_RSRC2:USER_SGPR: 6
; COMPUTE_PGM_RSRC2:TRAP_HANDLER: 0
; COMPUTE_PGM_RSRC2:TGID_X_EN: 1
; COMPUTE_PGM_RSRC2:TGID_Y_EN: 1
; COMPUTE_PGM_RSRC2:TGID_Z_EN: 0
; COMPUTE_PGM_RSRC2:TIDIG_COMP_CNT: 0
; COMPUTE_PGM_RSRC3_GFX90A:ACCUM_OFFSET: 6
; COMPUTE_PGM_RSRC3_GFX90A:TG_SPLIT: 0
	.section	.text._ZN5aiter35fused_qk_rmsnorm_group_quant_kernelIDF16_DB8_Li128ELi8ELi16ELb1ELb0ELb0ELb0ELb0ELb0EEEvPT0_PvPT_S6_S6_PKS5_S8_S8_S8_S8_ffiiiiiiiiiiiii,"axG",@progbits,_ZN5aiter35fused_qk_rmsnorm_group_quant_kernelIDF16_DB8_Li128ELi8ELi16ELb1ELb0ELb0ELb0ELb0ELb0EEEvPT0_PvPT_S6_S6_PKS5_S8_S8_S8_S8_ffiiiiiiiiiiiii,comdat
	.protected	_ZN5aiter35fused_qk_rmsnorm_group_quant_kernelIDF16_DB8_Li128ELi8ELi16ELb1ELb0ELb0ELb0ELb0ELb0EEEvPT0_PvPT_S6_S6_PKS5_S8_S8_S8_S8_ffiiiiiiiiiiiii ; -- Begin function _ZN5aiter35fused_qk_rmsnorm_group_quant_kernelIDF16_DB8_Li128ELi8ELi16ELb1ELb0ELb0ELb0ELb0ELb0EEEvPT0_PvPT_S6_S6_PKS5_S8_S8_S8_S8_ffiiiiiiiiiiiii
	.globl	_ZN5aiter35fused_qk_rmsnorm_group_quant_kernelIDF16_DB8_Li128ELi8ELi16ELb1ELb0ELb0ELb0ELb0ELb0EEEvPT0_PvPT_S6_S6_PKS5_S8_S8_S8_S8_ffiiiiiiiiiiiii
	.p2align	8
	.type	_ZN5aiter35fused_qk_rmsnorm_group_quant_kernelIDF16_DB8_Li128ELi8ELi16ELb1ELb0ELb0ELb0ELb0ELb0EEEvPT0_PvPT_S6_S6_PKS5_S8_S8_S8_S8_ffiiiiiiiiiiiii,@function
_ZN5aiter35fused_qk_rmsnorm_group_quant_kernelIDF16_DB8_Li128ELi8ELi16ELb1ELb0ELb0ELb0ELb0ELb0EEEvPT0_PvPT_S6_S6_PKS5_S8_S8_S8_S8_ffiiiiiiiiiiiii: ; @_ZN5aiter35fused_qk_rmsnorm_group_quant_kernelIDF16_DB8_Li128ELi8ELi16ELb1ELb0ELb0ELb0ELb0ELb0EEEvPT0_PvPT_S6_S6_PKS5_S8_S8_S8_S8_ffiiiiiiiiiiiii
; %bb.0:
	s_load_dwordx8 s[12:19], s[4:5], 0x50
	s_waitcnt lgkmcnt(0)
	s_cmp_ge_i32 s6, s14
	s_cbranch_scc1 .LBB341_17
; %bb.1:
	s_cmp_lg_u32 s7, 0
	s_cselect_b64 s[10:11], -1, 0
	s_cmp_eq_u32 s7, 0
	s_cselect_b64 s[8:9], -1, 0
	s_and_b64 s[0:1], s[8:9], exec
	s_load_dwordx2 s[20:21], s[4:5], 0x48
	s_load_dwordx2 s[36:37], s[4:5], 0x30
	s_load_dwordx4 s[24:27], s[4:5], 0x70
	s_cselect_b32 s7, s15, s16
	s_add_i32 s0, s7, 1
	s_lshr_b32 s1, s0, 31
	s_add_i32 s0, s0, s1
	s_lshl_b32 s0, s0, 1
	v_lshlrev_b32_e32 v1, 3, v0
	s_and_b32 s30, s0, -4
	v_cmp_gt_i32_e64 s[0:1], s7, v1
	v_mov_b32_e32 v24, 0
	v_mov_b32_e32 v25, 0
	;; [unrolled: 1-line block ×8, first 2 shown]
	s_and_saveexec_b64 s[2:3], s[0:1]
	s_cbranch_execz .LBB341_3
; %bb.2:
	s_load_dwordx2 s[22:23], s[4:5], 0x28
	s_load_dwordx2 s[28:29], s[4:5], 0x40
	s_and_b64 s[34:35], s[8:9], exec
	s_cselect_b32 s14, s17, s18
	s_mov_b32 s31, 0x20000
	s_waitcnt lgkmcnt(0)
	s_cselect_b32 s17, s23, s37
	s_cselect_b32 s27, s22, s36
	s_mul_hi_i32 s23, s14, s6
	s_mul_i32 s22, s14, s6
	s_lshl_b64 s[22:23], s[22:23], 1
	s_add_u32 s40, s27, s22
	s_addc_u32 s14, s17, s23
	s_and_b64 s[22:23], s[8:9], exec
	s_cselect_b32 s28, s28, s20
	s_cselect_b32 s17, s29, s21
	v_lshlrev_b32_e32 v2, 4, v0
	s_and_b32 s41, s14, 0xffff
	s_mov_b32 s42, s30
	s_mov_b32 s43, s31
	s_and_b32 s29, s17, 0xffff
	buffer_load_dwordx4 v[28:31], v2, s[40:43], 0 offen glc slc
	buffer_load_dwordx4 v[24:27], v2, s[28:31], 0 offen
.LBB341_3:
	s_or_b64 exec, exec, s[2:3]
	s_load_dwordx2 s[34:35], s[4:5], 0x80
	s_and_b64 vcc, exec, s[10:11]
	s_cbranch_vccz .LBB341_7
; %bb.4:
	v_mov_b32_e32 v33, 0
	v_mov_b32_e32 v32, 0
	;; [unrolled: 1-line block ×8, first 2 shown]
	s_and_saveexec_b64 s[2:3], s[0:1]
	s_cbranch_execz .LBB341_6
; %bb.5:
	s_waitcnt vmcnt(1)
	v_cvt_f32_f16_sdwa v17, v28 dst_sel:DWORD dst_unused:UNUSED_PAD src0_sel:WORD_1
	v_cvt_f32_f16_e32 v16, v28
	v_cvt_f32_f16_sdwa v11, v29 dst_sel:DWORD dst_unused:UNUSED_PAD src0_sel:WORD_1
	v_cvt_f32_f16_e32 v10, v29
	;; [unrolled: 2-line block ×4, first 2 shown]
.LBB341_6:
	s_or_b64 exec, exec, s[2:3]
	s_cbranch_execz .LBB341_8
	s_branch .LBB341_11
.LBB341_7:
                                        ; implicit-def: $vgpr8_vgpr9_vgpr10_vgpr11_vgpr12_vgpr13_vgpr14_vgpr15
                                        ; implicit-def: $vgpr33
                                        ; implicit-def: $vgpr16_vgpr17_vgpr18_vgpr19_vgpr20_vgpr21_vgpr22_vgpr23
                                        ; implicit-def: $vgpr2_vgpr3_vgpr4_vgpr5_vgpr6_vgpr7_vgpr8_vgpr9
.LBB341_8:
	v_mov_b32_e32 v33, 0
	v_mov_b32_e32 v32, 0
	;; [unrolled: 1-line block ×8, first 2 shown]
	s_and_saveexec_b64 s[2:3], s[0:1]
	s_cbranch_execz .LBB341_10
; %bb.9:
	s_load_dwordx2 s[22:23], s[4:5], 0x38
	s_mul_hi_i32 s29, s19, s6
	s_mul_i32 s28, s19, s6
	s_lshl_b64 s[28:29], s[28:29], 1
	s_mov_b32 s31, 0x20000
	s_waitcnt lgkmcnt(0)
	s_add_u32 s28, s22, s28
	s_addc_u32 s14, s23, s29
	s_and_b32 s29, s14, 0xffff
	v_lshlrev_b32_e32 v20, 4, v0
	buffer_load_dwordx4 v[2:5], v20, s[28:31], 0 offen glc slc
	s_waitcnt vmcnt(2)
	v_cvt_f32_f16_sdwa v7, v28 dst_sel:DWORD dst_unused:UNUSED_PAD src0_sel:WORD_1
	v_cvt_f32_f16_e32 v6, v28
	v_cvt_f32_f16_sdwa v9, v29 dst_sel:DWORD dst_unused:UNUSED_PAD src0_sel:WORD_1
	v_cvt_f32_f16_e32 v8, v29
	;; [unrolled: 2-line block ×4, first 2 shown]
	s_load_dwordx2 s[22:23], s[4:5], 0x20
	s_mul_hi_i32 s29, s35, s6
	s_mul_i32 s28, s35, s6
	s_lshl_b64 s[28:29], s[28:29], 1
	s_waitcnt lgkmcnt(0)
	s_add_u32 s28, s22, s28
	s_addc_u32 s14, s23, s29
	s_and_b32 s29, s14, 0xffff
	s_waitcnt vmcnt(0)
	v_cvt_f32_f16_e32 v10, v2
	v_cvt_f32_f16_sdwa v11, v2 dst_sel:DWORD dst_unused:UNUSED_PAD src0_sel:WORD_1
	v_cvt_f32_f16_e32 v2, v3
	v_cvt_f32_f16_sdwa v3, v3 dst_sel:DWORD dst_unused:UNUSED_PAD src0_sel:WORD_1
	v_cvt_f32_f16_e32 v18, v4
	v_cvt_f32_f16_sdwa v19, v4 dst_sel:DWORD dst_unused:UNUSED_PAD src0_sel:WORD_1
	v_cvt_f32_f16_e32 v4, v5
	v_cvt_f32_f16_sdwa v5, v5 dst_sel:DWORD dst_unused:UNUSED_PAD src0_sel:WORD_1
	v_pk_add_f32 v[16:17], v[6:7], v[10:11]
	v_pk_add_f32 v[10:11], v[8:9], v[2:3]
	;; [unrolled: 1-line block ×4, first 2 shown]
	v_cvt_f16_f32_e32 v2, v17
	v_cvt_f16_f32_e32 v3, v11
	;; [unrolled: 1-line block ×8, first 2 shown]
	v_pack_b32_f16 v5, v8, v5
	v_pack_b32_f16 v4, v9, v4
	;; [unrolled: 1-line block ×4, first 2 shown]
	buffer_store_dwordx4 v[2:5], v20, s[28:31], 0 offen glc slc
	;;#ASMSTART
	s_nop 0
	;;#ASMEND
.LBB341_10:
	s_or_b64 exec, exec, s[2:3]
.LBB341_11:
	v_mul_f32_e32 v2, v17, v17
	v_fmac_f32_e32 v2, v16, v16
	v_fmac_f32_e32 v2, v10, v10
	;; [unrolled: 1-line block ×7, first 2 shown]
	v_and_b32_e32 v4, 63, v0
	v_cmp_eq_u32_e64 s[2:3], 63, v4
	v_mov_b32_dpp v3, v2 quad_perm:[1,0,3,2] row_mask:0xf bank_mask:0xf
	v_add_f32_e32 v2, v2, v3
	s_nop 1
	v_mov_b32_dpp v3, v2 quad_perm:[2,3,0,1] row_mask:0xf bank_mask:0xf
	v_add_f32_e32 v2, v2, v3
	s_nop 1
	v_mov_b32_dpp v3, v2 row_half_mirror row_mask:0xf bank_mask:0xf
	v_add_f32_e32 v2, v2, v3
	s_nop 1
	v_mov_b32_dpp v3, v2 row_mirror row_mask:0xf bank_mask:0xf
	v_add_f32_e32 v2, v2, v3
	s_nop 1
	v_mov_b32_dpp v3, v2 row_bcast:15 row_mask:0xf bank_mask:0xf
	v_add_f32_e32 v2, v2, v3
	s_nop 1
	v_mov_b32_dpp v3, v2 row_bcast:31 row_mask:0xf bank_mask:0xf
	s_and_saveexec_b64 s[22:23], s[2:3]
	s_cbranch_execz .LBB341_13
; %bb.12:
	v_add_f32_e32 v2, v2, v3
	v_lshrrev_b32_e32 v3, 4, v0
	v_and_b32_e32 v3, 60, v3
	ds_write_b32 v3, v2 offset:8
.LBB341_13:
	s_or_b64 exec, exec, s[22:23]
	v_and_b32_e32 v2, 1, v0
	v_lshlrev_b32_e32 v18, 2, v2
	s_waitcnt lgkmcnt(0)
	s_barrier
	ds_read_b32 v2, v18 offset:8
	s_load_dwordx2 s[38:39], s[4:5], 0x18
	s_waitcnt lgkmcnt(0)
	v_mov_b32_dpp v3, v2 quad_perm:[1,0,3,2] row_mask:0xf bank_mask:0xf
	s_and_saveexec_b64 s[22:23], s[0:1]
	s_cbranch_execnz .LBB341_18
; %bb.14:
	s_or_b64 exec, exec, s[22:23]
	s_mov_b64 s[8:9], -1
	s_and_b64 vcc, exec, s[10:11]
	s_cbranch_vccnz .LBB341_19
.LBB341_15:
	s_andn2_b64 vcc, exec, s[8:9]
	s_cbranch_vccz .LBB341_22
.LBB341_16:
	s_cmp_lt_i32 s16, 1
	s_cbranch_scc0 .LBB341_29
.LBB341_17:
	s_endpgm
.LBB341_18:
	v_cvt_f32_u32_e32 v4, s7
	v_add_f32_e32 v2, v2, v3
	v_mov_b32_e32 v8, s13
	v_mov_b32_e32 v9, s12
	v_div_scale_f32 v3, s[28:29], v4, v4, v2
	v_rcp_f32_e32 v5, v3
	v_cndmask_b32_e64 v8, v8, v9, s[8:9]
	s_mov_b32 s7, 0x800000
	s_waitcnt vmcnt(0)
	v_cvt_f32_f16_sdwa v15, v26 dst_sel:DWORD dst_unused:UNUSED_PAD src0_sel:WORD_1
	v_fma_f32 v9, -v3, v5, 1.0
	v_fmac_f32_e32 v5, v9, v5
	v_div_scale_f32 v9, vcc, v2, v4, v2
	v_mul_f32_e32 v12, v9, v5
	v_fma_f32 v13, -v3, v12, v9
	v_fmac_f32_e32 v12, v13, v5
	v_fma_f32 v3, -v3, v12, v9
	v_div_fmas_f32 v3, v3, v5, v12
	v_div_fixup_f32 v2, v3, v4, v2
	v_add_f32_e32 v2, v8, v2
	v_mul_f32_e32 v3, 0x4b800000, v2
	v_cmp_gt_f32_e32 vcc, s7, v2
	v_cndmask_b32_e32 v2, v2, v3, vcc
	v_rsq_f32_e32 v2, v2
	v_cvt_f32_f16_sdwa v13, v25 dst_sel:DWORD dst_unused:UNUSED_PAD src0_sel:WORD_1
	v_cvt_f32_f16_e32 v12, v25
	v_cvt_f32_f16_e32 v14, v26
	v_mul_f32_e32 v3, 0x45800000, v2
	v_cndmask_b32_e32 v2, v2, v3, vcc
	v_mov_b32_e32 v3, v2
	;;#ASMSTART
	v_pk_mul_f32 v[4:5], v[16:17], v[2:3]
	;;#ASMEND
	;;#ASMSTART
	v_pk_mul_f32 v[8:9], v[10:11], v[2:3]
	;;#ASMEND
	;; [unrolled: 3-line block ×3, first 2 shown]
	v_cvt_f32_f16_sdwa v11, v24 dst_sel:DWORD dst_unused:UNUSED_PAD src0_sel:WORD_1
	v_cvt_f32_f16_e32 v10, v24
	;;#ASMSTART
	v_pk_mul_f32 v[2:3], v[32:33], v[2:3]
	;;#ASMEND
	v_cvt_f32_f16_sdwa v21, v27 dst_sel:DWORD dst_unused:UNUSED_PAD src0_sel:WORD_1
	v_cvt_f32_f16_e32 v20, v27
	;;#ASMSTART
	v_pk_mul_f32 v[16:17], v[4:5], v[10:11]
	;;#ASMEND
	;;#ASMSTART
	v_pk_mul_f32 v[10:11], v[8:9], v[12:13]
	;;#ASMEND
	;; [unrolled: 3-line block ×4, first 2 shown]
	s_or_b64 exec, exec, s[22:23]
	s_mov_b64 s[8:9], -1
	s_and_b64 vcc, exec, s[10:11]
	s_cbranch_vccz .LBB341_15
.LBB341_19:
	s_and_saveexec_b64 s[8:9], s[0:1]
	s_cbranch_execz .LBB341_21
; %bb.20:
	s_mul_hi_i32 s11, s34, s6
	s_mul_i32 s10, s34, s6
	v_cvt_f16_f32_e32 v2, v16
	v_cvt_f16_f32_e32 v3, v10
	;; [unrolled: 1-line block ×8, first 2 shown]
	s_lshl_b64 s[10:11], s[10:11], 1
	s_add_u32 s28, s38, s10
	s_addc_u32 s7, s39, s11
	s_and_b32 s29, s7, 0xffff
	s_mov_b32 s31, 0x20000
	v_pack_b32_f16 v5, v5, v8
	v_pack_b32_f16 v4, v4, v9
	;; [unrolled: 1-line block ×4, first 2 shown]
	v_lshlrev_b32_e32 v8, 4, v0
	buffer_store_dwordx4 v[2:5], v8, s[28:31], 0 offen
	;;#ASMSTART
	s_nop 0
	;;#ASMEND
.LBB341_21:
	s_or_b64 exec, exec, s[8:9]
	s_cbranch_execnz .LBB341_16
.LBB341_22:
	v_mov_b32_e32 v2, 0
	s_and_saveexec_b64 s[8:9], s[0:1]
	s_cbranch_execz .LBB341_24
; %bb.23:
	v_and_b32_e32 v2, 0x7fffffff, v16
	v_and_b32_e32 v3, 0x7fffffff, v17
	v_mov_b32_e32 v4, 0x2edbe6ff
	;;#ASMSTART
	v_max3_f32 v2, v4, v2, v3

	;;#ASMEND
	v_and_b32_e32 v3, 0x7fffffff, v10
	v_and_b32_e32 v4, 0x7fffffff, v11
	;;#ASMSTART
	v_max3_f32 v2, v2, v3, v4

	;;#ASMEND
	v_and_b32_e32 v3, 0x7fffffff, v6
	v_and_b32_e32 v4, 0x7fffffff, v7
	;; [unrolled: 6-line block ×3, first 2 shown]
	;;#ASMSTART
	v_max3_f32 v2, v2, v3, v4

	;;#ASMEND
.LBB341_24:
	s_or_b64 exec, exec, s[8:9]
	;;#ASMSTART
	v_max_f32 v3, v2, v2 quad_perm:[1,0,3,2] row_mask:0xf bank_mask:0xf bound_ctrl:1
	;;#ASMEND
	;;#ASMSTART
	v_max_f32 v2, v3, v3 quad_perm:[2,3,0,1] row_mask:0xf bank_mask:0xf bound_ctrl:1
	;;#ASMEND
	;;#ASMSTART
	v_max_f32 v3, v2, v2 row_half_mirror row_mask:0xf bank_mask:0xf bound_ctrl:1
	;;#ASMEND
	;;#ASMSTART
	v_max_f32 v2, v3, v3 row_mirror row_mask:0xf bank_mask:0xf bound_ctrl:1
	;;#ASMEND
	v_and_b32_e32 v3, 15, v0
	v_cmp_eq_u32_e32 vcc, 0, v3
	v_cmp_gt_i32_e64 s[8:9], s15, v1
	v_mul_f32_e32 v2, 0x3b124925, v2
	s_and_b64 s[10:11], vcc, s[8:9]
	s_and_saveexec_b64 s[8:9], s[10:11]
	s_cbranch_execz .LBB341_26
; %bb.25:
	s_load_dwordx2 s[10:11], s[4:5], 0x8
	s_mul_hi_i32 s23, s25, s6
	s_mul_i32 s22, s25, s6
	v_lshrrev_b32_e32 v3, 4, v0
	s_lshl_b64 s[22:23], s[22:23], 2
	v_mad_i64_i32 v[4:5], s[26:27], s26, v3, 0
	s_waitcnt lgkmcnt(0)
	s_add_u32 s7, s10, s22
	s_addc_u32 s10, s11, s23
	v_lshlrev_b64 v[4:5], 2, v[4:5]
	v_mov_b32_e32 v3, s10
	v_add_co_u32_e32 v4, vcc, s7, v4
	v_addc_co_u32_e32 v5, vcc, v3, v5, vcc
	global_store_dword v[4:5], v2, off
.LBB341_26:
	s_or_b64 exec, exec, s[8:9]
	;;#ASMSTART
	v_rcp_f32 v2, v2
	;;#ASMEND
	s_and_saveexec_b64 s[22:23], s[0:1]
	s_cbranch_execz .LBB341_28
; %bb.27:
	s_load_dwordx2 s[0:1], s[4:5], 0x0
	s_mul_i32 s8, s24, s6
	v_mov_b32_e32 v3, v2
	;;#ASMSTART
	v_pk_mul_f32 v[4:5], v[16:17], v[2:3]
	;;#ASMEND
	s_mul_hi_i32 s7, s24, s6
	s_waitcnt lgkmcnt(0)
	s_add_u32 s8, s0, s8
	v_mov_b32_e32 v8, 0xc3e00000
	v_mov_b32_e32 v9, 0x43e00000
	;;#ASMSTART
	v_med3_f32 v4, v4, v8, v9
v_med3_f32 v5, v5, v8, v9
v_cvt_pk_fp8_f32 v12, v4, v5
	;;#ASMEND
	s_addc_u32 s0, s1, s7
	;;#ASMSTART
	v_pk_mul_f32 v[4:5], v[10:11], v[2:3]
	;;#ASMEND
	s_and_b32 s9, s0, 0xffff
	;;#ASMSTART
	v_med3_f32 v4, v4, v8, v9
v_med3_f32 v5, v5, v8, v9
v_cvt_pk_fp8_f32 v10, v4, v5
	;;#ASMEND
	s_mov_b32 s0, 0x5040100
	v_perm_b32 v5, v10, v12, s0
	s_movk_i32 s0, 0xff
	v_and_b32_e32 v4, 0xffffff00, v10
	v_and_b32_sdwa v10, v5, s0 dst_sel:DWORD dst_unused:UNUSED_PAD src0_sel:WORD_1 src1_sel:DWORD
	s_mov_b32 s12, 0xffff
	v_or_b32_sdwa v4, v10, v4 dst_sel:WORD_1 dst_unused:UNUSED_PAD src0_sel:DWORD src1_sel:DWORD
	s_add_i32 s1, s15, 3
	v_and_or_b32 v4, v5, s12, v4
	;;#ASMSTART
	v_pk_mul_f32 v[6:7], v[6:7], v[2:3]
	;;#ASMEND
	v_mov_b32_e32 v5, v7
	s_ashr_i32 s7, s1, 31
	;;#ASMSTART
	v_med3_f32 v6, v6, v8, v9
v_med3_f32 v5, v5, v8, v9
v_cvt_pk_fp8_f32 v7, v6, v5
	;;#ASMEND
	;;#ASMSTART
	v_pk_mul_f32 v[2:3], v[32:33], v[2:3]
	;;#ASMEND
	s_lshr_b32 s7, s7, 30
	;;#ASMSTART
	v_med3_f32 v2, v2, v8, v9
v_med3_f32 v3, v3, v8, v9
v_cvt_pk_fp8_f32 v5, v2, v3
	;;#ASMEND
	s_add_i32 s1, s1, s7
	v_lshlrev_b32_e32 v2, 16, v5
	s_and_b32 s10, s1, -4
	s_mov_b32 s11, 0x20000
	v_and_or_b32 v5, v7, s12, v2
	buffer_store_dwordx2 v[4:5], v1, s[8:11], 0 offen
	;;#ASMSTART
	s_nop 0
	;;#ASMEND
.LBB341_28:
	s_or_b64 exec, exec, s[22:23]
	s_cmp_lt_i32 s16, 1
	s_cbranch_scc1 .LBB341_17
.LBB341_29:
	s_load_dword s0, s[4:5], 0x94
	s_waitcnt lgkmcnt(0)
	s_cmp_lg_u32 s0, 1
	s_cbranch_scc1 .LBB341_17
; %bb.30:
	s_lshl_b32 s0, s16, 1
	s_add_i32 s0, s0, 2
	v_cmp_gt_u32_e32 vcc, s16, v1
	s_and_b32 s22, s0, -4
	v_mov_b32_e32 v10, 0
	v_lshlrev_b32_e32 v1, 4, v0
	v_mov_b32_e32 v6, 0
	v_mov_b32_e32 v7, 0
	v_mov_b32_e32 v8, 0
	v_mov_b32_e32 v9, 0
	v_mov_b32_e32 v2, 0
	v_mov_b32_e32 v3, 0
	v_mov_b32_e32 v4, 0
	v_mov_b32_e32 v5, 0
	s_barrier
	s_and_saveexec_b64 s[0:1], vcc
	s_cbranch_execz .LBB341_32
; %bb.31:
	s_mul_hi_i32 s5, s18, s6
	s_mul_i32 s4, s18, s6
	s_and_b32 s21, s21, 0xffff
	s_lshl_b64 s[4:5], s[4:5], 1
	s_add_u32 s8, s36, s4
	s_mov_b32 s23, 0x20000
	s_addc_u32 s4, s37, s5
	s_and_b32 s9, s4, 0xffff
	s_mov_b32 s10, s22
	s_mov_b32 s11, s23
	buffer_load_dwordx4 v[6:9], v1, s[8:11], 0 offen glc slc
	buffer_load_dwordx4 v[2:5], v1, s[20:23], 0 offen
.LBB341_32:
	s_or_b64 exec, exec, s[0:1]
	v_mov_b32_e32 v11, 0
	v_mov_b32_e32 v16, 0
	;; [unrolled: 1-line block ×7, first 2 shown]
	s_and_saveexec_b64 s[0:1], vcc
	s_cbranch_execz .LBB341_34
; %bb.33:
	s_waitcnt vmcnt(1)
	v_cvt_f32_f16_sdwa v11, v6 dst_sel:DWORD dst_unused:UNUSED_PAD src0_sel:WORD_1
	v_cvt_f32_f16_e32 v10, v6
	v_cvt_f32_f16_sdwa v17, v7 dst_sel:DWORD dst_unused:UNUSED_PAD src0_sel:WORD_1
	v_cvt_f32_f16_e32 v16, v7
	;; [unrolled: 2-line block ×4, first 2 shown]
.LBB341_34:
	s_or_b64 exec, exec, s[0:1]
	s_waitcnt vmcnt(1)
	v_mul_f32_e32 v6, v11, v11
	v_fmac_f32_e32 v6, v10, v10
	v_fmac_f32_e32 v6, v16, v16
	;; [unrolled: 1-line block ×7, first 2 shown]
	s_nop 1
	v_mov_b32_dpp v7, v6 quad_perm:[1,0,3,2] row_mask:0xf bank_mask:0xf
	v_add_f32_e32 v6, v6, v7
	s_nop 1
	v_mov_b32_dpp v7, v6 quad_perm:[2,3,0,1] row_mask:0xf bank_mask:0xf
	v_add_f32_e32 v6, v6, v7
	s_nop 1
	v_mov_b32_dpp v7, v6 row_half_mirror row_mask:0xf bank_mask:0xf
	v_add_f32_e32 v6, v6, v7
	s_nop 1
	v_mov_b32_dpp v7, v6 row_mirror row_mask:0xf bank_mask:0xf
	v_add_f32_e32 v6, v6, v7
	s_nop 1
	v_mov_b32_dpp v7, v6 row_bcast:15 row_mask:0xf bank_mask:0xf
	v_add_f32_e32 v6, v6, v7
	s_nop 1
	v_mov_b32_dpp v7, v6 row_bcast:31 row_mask:0xf bank_mask:0xf
	s_and_saveexec_b64 s[0:1], s[2:3]
	s_cbranch_execz .LBB341_36
; %bb.35:
	v_lshrrev_b32_e32 v0, 4, v0
	v_add_f32_e32 v6, v6, v7
	v_and_b32_e32 v0, 60, v0
	ds_write_b32 v0, v6
.LBB341_36:
	s_or_b64 exec, exec, s[0:1]
	s_waitcnt lgkmcnt(0)
	s_barrier
	ds_read_b32 v0, v18
	s_waitcnt lgkmcnt(0)
	s_nop 0
	v_mov_b32_dpp v6, v0 quad_perm:[1,0,3,2] row_mask:0xf bank_mask:0xf
	s_and_saveexec_b64 s[0:1], vcc
	s_cbranch_execz .LBB341_17
; %bb.37:
	v_cvt_f32_u32_e32 v7, s16
	v_add_f32_e32 v0, v0, v6
	s_mov_b32 s23, 0x20000
	v_div_scale_f32 v6, s[0:1], v7, v7, v0
	v_rcp_f32_e32 v8, v6
	v_div_scale_f32 v9, vcc, v0, v7, v0
	s_mov_b32 s0, 0x800000
	v_fma_f32 v18, -v6, v8, 1.0
	v_fmac_f32_e32 v8, v18, v8
	v_mul_f32_e32 v18, v9, v8
	v_fma_f32 v19, -v6, v18, v9
	v_fmac_f32_e32 v18, v19, v8
	v_fma_f32 v6, -v6, v18, v9
	v_div_fmas_f32 v6, v6, v8, v18
	v_div_fixup_f32 v0, v6, v7, v0
	v_add_f32_e32 v0, s13, v0
	v_mul_f32_e32 v6, 0x4b800000, v0
	v_cmp_gt_f32_e32 vcc, s0, v0
	v_cndmask_b32_e32 v0, v0, v6, vcc
	v_rsq_f32_e32 v0, v0
	s_waitcnt vmcnt(0)
	v_cvt_f32_f16_sdwa v19, v5 dst_sel:DWORD dst_unused:UNUSED_PAD src0_sel:WORD_1
	v_cvt_f32_f16_e32 v18, v5
	s_mul_hi_i32 s1, s34, s6
	v_mul_f32_e32 v6, 0x45800000, v0
	v_cndmask_b32_e32 v6, v0, v6, vcc
	v_mov_b32_e32 v7, v6
	;;#ASMSTART
	v_pk_mul_f32 v[8:9], v[10:11], v[6:7]
	;;#ASMEND
	;;#ASMSTART
	v_pk_mul_f32 v[10:11], v[16:17], v[6:7]
	;;#ASMEND
	;; [unrolled: 3-line block ×4, first 2 shown]
	v_cvt_f32_f16_sdwa v13, v2 dst_sel:DWORD dst_unused:UNUSED_PAD src0_sel:WORD_1
	v_cvt_f32_f16_e32 v12, v2
	v_cvt_f32_f16_sdwa v17, v3 dst_sel:DWORD dst_unused:UNUSED_PAD src0_sel:WORD_1
	v_cvt_f32_f16_e32 v16, v3
	;; [unrolled: 2-line block ×3, first 2 shown]
	;;#ASMSTART
	v_pk_mul_f32 v[4:5], v[8:9], v[12:13]
	;;#ASMEND
	;;#ASMSTART
	v_pk_mul_f32 v[8:9], v[10:11], v[16:17]
	;;#ASMEND
	;; [unrolled: 3-line block ×4, first 2 shown]
	s_mul_i32 s0, s34, s6
	v_cvt_f16_f32_e32 v0, v4
	v_cvt_f16_f32_e32 v4, v5
	;; [unrolled: 1-line block ×8, first 2 shown]
	s_lshl_b64 s[0:1], s[0:1], 1
	s_add_u32 s20, s38, s0
	s_addc_u32 s0, s39, s1
	s_and_b32 s21, s0, 0xffff
	v_pack_b32_f16 v2, v0, v4
	v_pack_b32_f16 v3, v5, v8
	;; [unrolled: 1-line block ×4, first 2 shown]
	buffer_store_dwordx4 v[2:5], v1, s[20:23], 0 offen
	;;#ASMSTART
	s_nop 0
	;;#ASMEND
	s_endpgm
	.section	.rodata,"a",@progbits
	.p2align	6, 0x0
	.amdhsa_kernel _ZN5aiter35fused_qk_rmsnorm_group_quant_kernelIDF16_DB8_Li128ELi8ELi16ELb1ELb0ELb0ELb0ELb0ELb0EEEvPT0_PvPT_S6_S6_PKS5_S8_S8_S8_S8_ffiiiiiiiiiiiii
		.amdhsa_group_segment_fixed_size 16
		.amdhsa_private_segment_fixed_size 0
		.amdhsa_kernarg_size 400
		.amdhsa_user_sgpr_count 6
		.amdhsa_user_sgpr_private_segment_buffer 1
		.amdhsa_user_sgpr_dispatch_ptr 0
		.amdhsa_user_sgpr_queue_ptr 0
		.amdhsa_user_sgpr_kernarg_segment_ptr 1
		.amdhsa_user_sgpr_dispatch_id 0
		.amdhsa_user_sgpr_flat_scratch_init 0
		.amdhsa_user_sgpr_kernarg_preload_length 0
		.amdhsa_user_sgpr_kernarg_preload_offset 0
		.amdhsa_user_sgpr_private_segment_size 0
		.amdhsa_uses_dynamic_stack 0
		.amdhsa_system_sgpr_private_segment_wavefront_offset 0
		.amdhsa_system_sgpr_workgroup_id_x 1
		.amdhsa_system_sgpr_workgroup_id_y 1
		.amdhsa_system_sgpr_workgroup_id_z 0
		.amdhsa_system_sgpr_workgroup_info 0
		.amdhsa_system_vgpr_workitem_id 0
		.amdhsa_next_free_vgpr 34
		.amdhsa_next_free_sgpr 44
		.amdhsa_accum_offset 36
		.amdhsa_reserve_vcc 1
		.amdhsa_reserve_flat_scratch 0
		.amdhsa_float_round_mode_32 0
		.amdhsa_float_round_mode_16_64 0
		.amdhsa_float_denorm_mode_32 3
		.amdhsa_float_denorm_mode_16_64 3
		.amdhsa_dx10_clamp 1
		.amdhsa_ieee_mode 1
		.amdhsa_fp16_overflow 0
		.amdhsa_tg_split 0
		.amdhsa_exception_fp_ieee_invalid_op 0
		.amdhsa_exception_fp_denorm_src 0
		.amdhsa_exception_fp_ieee_div_zero 0
		.amdhsa_exception_fp_ieee_overflow 0
		.amdhsa_exception_fp_ieee_underflow 0
		.amdhsa_exception_fp_ieee_inexact 0
		.amdhsa_exception_int_div_zero 0
	.end_amdhsa_kernel
	.section	.text._ZN5aiter35fused_qk_rmsnorm_group_quant_kernelIDF16_DB8_Li128ELi8ELi16ELb1ELb0ELb0ELb0ELb0ELb0EEEvPT0_PvPT_S6_S6_PKS5_S8_S8_S8_S8_ffiiiiiiiiiiiii,"axG",@progbits,_ZN5aiter35fused_qk_rmsnorm_group_quant_kernelIDF16_DB8_Li128ELi8ELi16ELb1ELb0ELb0ELb0ELb0ELb0EEEvPT0_PvPT_S6_S6_PKS5_S8_S8_S8_S8_ffiiiiiiiiiiiii,comdat
.Lfunc_end341:
	.size	_ZN5aiter35fused_qk_rmsnorm_group_quant_kernelIDF16_DB8_Li128ELi8ELi16ELb1ELb0ELb0ELb0ELb0ELb0EEEvPT0_PvPT_S6_S6_PKS5_S8_S8_S8_S8_ffiiiiiiiiiiiii, .Lfunc_end341-_ZN5aiter35fused_qk_rmsnorm_group_quant_kernelIDF16_DB8_Li128ELi8ELi16ELb1ELb0ELb0ELb0ELb0ELb0EEEvPT0_PvPT_S6_S6_PKS5_S8_S8_S8_S8_ffiiiiiiiiiiiii
                                        ; -- End function
	.section	.AMDGPU.csdata,"",@progbits
; Kernel info:
; codeLenInByte = 2820
; NumSgprs: 48
; NumVgprs: 34
; NumAgprs: 0
; TotalNumVgprs: 34
; ScratchSize: 0
; MemoryBound: 0
; FloatMode: 240
; IeeeMode: 1
; LDSByteSize: 16 bytes/workgroup (compile time only)
; SGPRBlocks: 5
; VGPRBlocks: 4
; NumSGPRsForWavesPerEU: 48
; NumVGPRsForWavesPerEU: 34
; AccumOffset: 36
; Occupancy: 8
; WaveLimiterHint : 0
; COMPUTE_PGM_RSRC2:SCRATCH_EN: 0
; COMPUTE_PGM_RSRC2:USER_SGPR: 6
; COMPUTE_PGM_RSRC2:TRAP_HANDLER: 0
; COMPUTE_PGM_RSRC2:TGID_X_EN: 1
; COMPUTE_PGM_RSRC2:TGID_Y_EN: 1
; COMPUTE_PGM_RSRC2:TGID_Z_EN: 0
; COMPUTE_PGM_RSRC2:TIDIG_COMP_CNT: 0
; COMPUTE_PGM_RSRC3_GFX90A:ACCUM_OFFSET: 8
; COMPUTE_PGM_RSRC3_GFX90A:TG_SPLIT: 0
	.section	.text._ZN5aiter35fused_qk_rmsnorm_group_quant_kernelItDB8_Li128ELi8ELi16ELb1ELb0ELb0ELb0ELb0ELb0EEEvPT0_PvPT_S6_S6_PKS5_S8_S8_S8_S8_ffiiiiiiiiiiiii,"axG",@progbits,_ZN5aiter35fused_qk_rmsnorm_group_quant_kernelItDB8_Li128ELi8ELi16ELb1ELb0ELb0ELb0ELb0ELb0EEEvPT0_PvPT_S6_S6_PKS5_S8_S8_S8_S8_ffiiiiiiiiiiiii,comdat
	.protected	_ZN5aiter35fused_qk_rmsnorm_group_quant_kernelItDB8_Li128ELi8ELi16ELb1ELb0ELb0ELb0ELb0ELb0EEEvPT0_PvPT_S6_S6_PKS5_S8_S8_S8_S8_ffiiiiiiiiiiiii ; -- Begin function _ZN5aiter35fused_qk_rmsnorm_group_quant_kernelItDB8_Li128ELi8ELi16ELb1ELb0ELb0ELb0ELb0ELb0EEEvPT0_PvPT_S6_S6_PKS5_S8_S8_S8_S8_ffiiiiiiiiiiiii
	.globl	_ZN5aiter35fused_qk_rmsnorm_group_quant_kernelItDB8_Li128ELi8ELi16ELb1ELb0ELb0ELb0ELb0ELb0EEEvPT0_PvPT_S6_S6_PKS5_S8_S8_S8_S8_ffiiiiiiiiiiiii
	.p2align	8
	.type	_ZN5aiter35fused_qk_rmsnorm_group_quant_kernelItDB8_Li128ELi8ELi16ELb1ELb0ELb0ELb0ELb0ELb0EEEvPT0_PvPT_S6_S6_PKS5_S8_S8_S8_S8_ffiiiiiiiiiiiii,@function
_ZN5aiter35fused_qk_rmsnorm_group_quant_kernelItDB8_Li128ELi8ELi16ELb1ELb0ELb0ELb0ELb0ELb0EEEvPT0_PvPT_S6_S6_PKS5_S8_S8_S8_S8_ffiiiiiiiiiiiii: ; @_ZN5aiter35fused_qk_rmsnorm_group_quant_kernelItDB8_Li128ELi8ELi16ELb1ELb0ELb0ELb0ELb0ELb0EEEvPT0_PvPT_S6_S6_PKS5_S8_S8_S8_S8_ffiiiiiiiiiiiii
; %bb.0:
	s_load_dwordx8 s[12:19], s[4:5], 0x50
	s_waitcnt lgkmcnt(0)
	s_cmp_ge_i32 s6, s14
	s_cbranch_scc1 .LBB342_17
; %bb.1:
	s_cmp_lg_u32 s7, 0
	s_cselect_b64 s[10:11], -1, 0
	s_cmp_eq_u32 s7, 0
	s_cselect_b64 s[8:9], -1, 0
	s_and_b64 s[0:1], s[8:9], exec
	s_load_dwordx2 s[20:21], s[4:5], 0x48
	s_load_dwordx2 s[36:37], s[4:5], 0x30
	s_load_dwordx4 s[24:27], s[4:5], 0x70
	s_cselect_b32 s7, s15, s16
	s_add_i32 s0, s7, 1
	s_lshr_b32 s1, s0, 31
	s_add_i32 s0, s0, s1
	s_lshl_b32 s0, s0, 1
	v_lshlrev_b32_e32 v1, 3, v0
	s_and_b32 s30, s0, -4
	v_cmp_gt_i32_e64 s[0:1], s7, v1
	v_mov_b32_e32 v10, 0
	v_mov_b32_e32 v11, 0
	;; [unrolled: 1-line block ×8, first 2 shown]
	s_and_saveexec_b64 s[2:3], s[0:1]
	s_cbranch_execz .LBB342_3
; %bb.2:
	s_load_dwordx2 s[22:23], s[4:5], 0x28
	s_load_dwordx2 s[28:29], s[4:5], 0x40
	s_and_b64 s[34:35], s[8:9], exec
	s_cselect_b32 s14, s17, s18
	s_mov_b32 s31, 0x20000
	s_waitcnt lgkmcnt(0)
	s_cselect_b32 s17, s23, s37
	s_cselect_b32 s27, s22, s36
	s_mul_hi_i32 s23, s14, s6
	s_mul_i32 s22, s14, s6
	s_lshl_b64 s[22:23], s[22:23], 1
	s_add_u32 s40, s27, s22
	s_addc_u32 s14, s17, s23
	s_and_b64 s[22:23], s[8:9], exec
	s_cselect_b32 s28, s28, s20
	s_cselect_b32 s17, s29, s21
	v_lshlrev_b32_e32 v2, 4, v0
	s_and_b32 s41, s14, 0xffff
	s_mov_b32 s42, s30
	s_mov_b32 s43, s31
	s_and_b32 s29, s17, 0xffff
	buffer_load_dwordx4 v[14:17], v2, s[40:43], 0 offen glc slc
	buffer_load_dwordx4 v[10:13], v2, s[28:31], 0 offen
.LBB342_3:
	s_or_b64 exec, exec, s[2:3]
	s_load_dwordx2 s[34:35], s[4:5], 0x80
	s_and_b64 vcc, exec, s[10:11]
	s_cbranch_vccz .LBB342_7
; %bb.4:
	s_mov_b32 s40, 0
	s_mov_b32 s41, s40
	;; [unrolled: 1-line block ×8, first 2 shown]
	v_pk_mov_b32 v[2:3], s[40:41], s[40:41] op_sel:[0,1]
	v_pk_mov_b32 v[4:5], s[42:43], s[42:43] op_sel:[0,1]
	v_pk_mov_b32 v[6:7], s[44:45], s[44:45] op_sel:[0,1]
	v_pk_mov_b32 v[8:9], s[46:47], s[46:47] op_sel:[0,1]
	s_and_saveexec_b64 s[2:3], s[0:1]
	s_cbranch_execz .LBB342_6
; %bb.5:
	s_waitcnt vmcnt(1)
	v_cvt_f32_u32_sdwa v3, v14 dst_sel:DWORD dst_unused:UNUSED_PAD src0_sel:WORD_1
	v_cvt_f32_u32_sdwa v2, v14 dst_sel:DWORD dst_unused:UNUSED_PAD src0_sel:WORD_0
	v_cvt_f32_u32_sdwa v5, v15 dst_sel:DWORD dst_unused:UNUSED_PAD src0_sel:WORD_1
	v_cvt_f32_u32_sdwa v4, v15 dst_sel:DWORD dst_unused:UNUSED_PAD src0_sel:WORD_0
	;; [unrolled: 2-line block ×4, first 2 shown]
.LBB342_6:
	s_or_b64 exec, exec, s[2:3]
	s_cbranch_execz .LBB342_8
	s_branch .LBB342_11
.LBB342_7:
                                        ; implicit-def: $vgpr2_vgpr3_vgpr4_vgpr5_vgpr6_vgpr7_vgpr8_vgpr9
.LBB342_8:
	s_mov_b32 s40, 0
	s_mov_b32 s41, s40
	;; [unrolled: 1-line block ×8, first 2 shown]
	v_pk_mov_b32 v[2:3], s[40:41], s[40:41] op_sel:[0,1]
	v_pk_mov_b32 v[4:5], s[42:43], s[42:43] op_sel:[0,1]
	;; [unrolled: 1-line block ×4, first 2 shown]
	s_and_saveexec_b64 s[2:3], s[0:1]
	s_cbranch_execz .LBB342_10
; %bb.9:
	s_load_dwordx2 s[22:23], s[4:5], 0x38
	s_mul_hi_i32 s29, s19, s6
	s_mul_i32 s28, s19, s6
	s_lshl_b64 s[28:29], s[28:29], 1
	s_mov_b32 s31, 0x20000
	s_waitcnt lgkmcnt(0)
	s_add_u32 s28, s22, s28
	s_addc_u32 s14, s23, s29
	s_and_b32 s29, s14, 0xffff
	v_lshlrev_b32_e32 v26, 4, v0
	buffer_load_dwordx4 v[2:5], v26, s[28:31], 0 offen glc slc
	s_load_dwordx2 s[22:23], s[4:5], 0x20
	s_waitcnt vmcnt(2)
	v_cvt_f32_u32_sdwa v7, v14 dst_sel:DWORD dst_unused:UNUSED_PAD src0_sel:WORD_1
	v_cvt_f32_u32_sdwa v6, v14 dst_sel:DWORD dst_unused:UNUSED_PAD src0_sel:WORD_0
	v_cvt_f32_u32_sdwa v9, v15 dst_sel:DWORD dst_unused:UNUSED_PAD src0_sel:WORD_1
	v_cvt_f32_u32_sdwa v8, v15 dst_sel:DWORD dst_unused:UNUSED_PAD src0_sel:WORD_0
	;; [unrolled: 2-line block ×4, first 2 shown]
	s_mul_hi_i32 s29, s35, s6
	s_mul_i32 s28, s35, s6
	s_lshl_b64 s[28:29], s[28:29], 1
	s_waitcnt lgkmcnt(0)
	s_add_u32 s28, s22, s28
	s_mov_b32 s14, 0x7060302
	s_addc_u32 s17, s23, s29
	s_and_b32 s29, s17, 0xffff
	s_waitcnt vmcnt(0)
	v_cvt_f32_u32_sdwa v17, v2 dst_sel:DWORD dst_unused:UNUSED_PAD src0_sel:WORD_1
	v_cvt_f32_u32_sdwa v16, v2 dst_sel:DWORD dst_unused:UNUSED_PAD src0_sel:WORD_0
	v_cvt_f32_u32_sdwa v21, v3 dst_sel:DWORD dst_unused:UNUSED_PAD src0_sel:WORD_1
	v_cvt_f32_u32_sdwa v20, v3 dst_sel:DWORD dst_unused:UNUSED_PAD src0_sel:WORD_0
	;; [unrolled: 2-line block ×4, first 2 shown]
	v_pk_add_f32 v[2:3], v[6:7], v[16:17]
	v_pk_add_f32 v[4:5], v[8:9], v[20:21]
	;; [unrolled: 1-line block ×4, first 2 shown]
	v_perm_b32 v17, v9, v8, s14
	v_perm_b32 v16, v7, v6, s14
	;; [unrolled: 1-line block ×4, first 2 shown]
	buffer_store_dwordx4 v[14:17], v26, s[28:31], 0 offen glc slc
	;;#ASMSTART
	s_nop 0
	;;#ASMEND
.LBB342_10:
	s_or_b64 exec, exec, s[2:3]
.LBB342_11:
	s_waitcnt vmcnt(1)
	v_mul_f32_e32 v14, v3, v3
	v_fmac_f32_e32 v14, v2, v2
	v_fmac_f32_e32 v14, v4, v4
	;; [unrolled: 1-line block ×7, first 2 shown]
	v_and_b32_e32 v16, 63, v0
	v_cmp_eq_u32_e64 s[2:3], 63, v16
	v_mov_b32_dpp v15, v14 quad_perm:[1,0,3,2] row_mask:0xf bank_mask:0xf
	v_add_f32_e32 v14, v14, v15
	s_nop 1
	v_mov_b32_dpp v15, v14 quad_perm:[2,3,0,1] row_mask:0xf bank_mask:0xf
	v_add_f32_e32 v14, v14, v15
	s_nop 1
	v_mov_b32_dpp v15, v14 row_half_mirror row_mask:0xf bank_mask:0xf
	v_add_f32_e32 v14, v14, v15
	s_nop 1
	v_mov_b32_dpp v15, v14 row_mirror row_mask:0xf bank_mask:0xf
	v_add_f32_e32 v14, v14, v15
	s_nop 1
	v_mov_b32_dpp v15, v14 row_bcast:15 row_mask:0xf bank_mask:0xf
	v_add_f32_e32 v14, v14, v15
	s_nop 1
	v_mov_b32_dpp v15, v14 row_bcast:31 row_mask:0xf bank_mask:0xf
	s_and_saveexec_b64 s[22:23], s[2:3]
	s_cbranch_execz .LBB342_13
; %bb.12:
	v_add_f32_e32 v14, v14, v15
	v_lshrrev_b32_e32 v15, 4, v0
	v_and_b32_e32 v15, 60, v15
	ds_write_b32 v15, v14 offset:8
.LBB342_13:
	s_or_b64 exec, exec, s[22:23]
	v_and_b32_e32 v14, 1, v0
	v_lshlrev_b32_e32 v14, 2, v14
	s_waitcnt lgkmcnt(0)
	s_barrier
	ds_read_b32 v15, v14 offset:8
	s_load_dwordx2 s[38:39], s[4:5], 0x18
	s_waitcnt lgkmcnt(0)
	v_mov_b32_dpp v16, v15 quad_perm:[1,0,3,2] row_mask:0xf bank_mask:0xf
	s_and_saveexec_b64 s[22:23], s[0:1]
	s_cbranch_execnz .LBB342_18
; %bb.14:
	s_or_b64 exec, exec, s[22:23]
	s_mov_b64 s[8:9], -1
	s_and_b64 vcc, exec, s[10:11]
	s_cbranch_vccnz .LBB342_19
.LBB342_15:
	s_andn2_b64 vcc, exec, s[8:9]
	s_cbranch_vccz .LBB342_22
.LBB342_16:
	s_cmp_lt_i32 s16, 1
	s_cbranch_scc0 .LBB342_29
.LBB342_17:
	s_endpgm
.LBB342_18:
	v_cvt_f32_u32_e32 v17, s7
	v_add_f32_e32 v15, v15, v16
	v_mov_b32_e32 v19, s13
	v_mov_b32_e32 v20, s12
	v_div_scale_f32 v16, s[28:29], v17, v17, v15
	v_rcp_f32_e32 v18, v16
	v_cndmask_b32_e64 v19, v19, v20, s[8:9]
	s_mov_b32 s7, 0x800000
	v_fma_f32 v20, -v16, v18, 1.0
	v_fmac_f32_e32 v18, v20, v18
	v_div_scale_f32 v20, vcc, v15, v17, v15
	v_mul_f32_e32 v21, v20, v18
	v_fma_f32 v22, -v16, v21, v20
	v_fmac_f32_e32 v21, v22, v18
	v_fma_f32 v16, -v16, v21, v20
	v_div_fmas_f32 v16, v16, v18, v21
	v_div_fixup_f32 v15, v16, v17, v15
	v_add_f32_e32 v15, v19, v15
	v_mul_f32_e32 v16, 0x4b800000, v15
	v_cmp_gt_f32_e32 vcc, s7, v15
	v_cndmask_b32_e32 v15, v15, v16, vcc
	v_rsq_f32_e32 v15, v15
	s_waitcnt vmcnt(0)
	v_cvt_f32_u32_sdwa v19, v11 dst_sel:DWORD dst_unused:UNUSED_PAD src0_sel:WORD_1
	v_cvt_f32_u32_sdwa v18, v11 dst_sel:DWORD dst_unused:UNUSED_PAD src0_sel:WORD_0
	v_cvt_f32_u32_sdwa v11, v12 dst_sel:DWORD dst_unused:UNUSED_PAD src0_sel:WORD_1
	v_mul_f32_e32 v16, 0x45800000, v15
	v_cndmask_b32_e32 v16, v15, v16, vcc
	v_mov_b32_e32 v17, v16
	;;#ASMSTART
	v_pk_mul_f32 v[2:3], v[2:3], v[16:17]
	;;#ASMEND
	;;#ASMSTART
	v_pk_mul_f32 v[4:5], v[4:5], v[16:17]
	;;#ASMEND
	;; [unrolled: 3-line block ×4, first 2 shown]
	v_cvt_f32_u32_sdwa v17, v10 dst_sel:DWORD dst_unused:UNUSED_PAD src0_sel:WORD_1
	v_cvt_f32_u32_sdwa v16, v10 dst_sel:DWORD dst_unused:UNUSED_PAD src0_sel:WORD_0
	v_cvt_f32_u32_sdwa v10, v12 dst_sel:DWORD dst_unused:UNUSED_PAD src0_sel:WORD_0
	v_cvt_f32_u32_sdwa v21, v13 dst_sel:DWORD dst_unused:UNUSED_PAD src0_sel:WORD_1
	v_cvt_f32_u32_sdwa v20, v13 dst_sel:DWORD dst_unused:UNUSED_PAD src0_sel:WORD_0
	;;#ASMSTART
	v_pk_mul_f32 v[2:3], v[2:3], v[16:17]
	;;#ASMEND
	;;#ASMSTART
	v_pk_mul_f32 v[4:5], v[4:5], v[18:19]
	;;#ASMEND
	;; [unrolled: 3-line block ×4, first 2 shown]
	s_or_b64 exec, exec, s[22:23]
	s_mov_b64 s[8:9], -1
	s_and_b64 vcc, exec, s[10:11]
	s_cbranch_vccz .LBB342_15
.LBB342_19:
	s_and_saveexec_b64 s[8:9], s[0:1]
	s_cbranch_execz .LBB342_21
; %bb.20:
	s_mul_hi_i32 s11, s34, s6
	s_mul_i32 s10, s34, s6
	s_lshl_b64 s[10:11], s[10:11], 1
	s_add_u32 s28, s38, s10
	s_addc_u32 s7, s39, s11
	s_and_b32 s29, s7, 0xffff
	s_mov_b32 s7, 0x7060302
	s_mov_b32 s31, 0x20000
	s_waitcnt vmcnt(0)
	v_perm_b32 v10, v3, v2, s7
	v_perm_b32 v11, v5, v4, s7
	;; [unrolled: 1-line block ×4, first 2 shown]
	v_lshlrev_b32_e32 v15, 4, v0
	buffer_store_dwordx4 v[10:13], v15, s[28:31], 0 offen
	;;#ASMSTART
	s_nop 0
	;;#ASMEND
.LBB342_21:
	s_or_b64 exec, exec, s[8:9]
	s_cbranch_execnz .LBB342_16
.LBB342_22:
	s_waitcnt vmcnt(0)
	v_mov_b32_e32 v10, 0
	s_and_saveexec_b64 s[8:9], s[0:1]
	s_cbranch_execz .LBB342_24
; %bb.23:
	v_and_b32_e32 v10, 0x7fffffff, v2
	v_and_b32_e32 v11, 0x7fffffff, v3
	v_mov_b32_e32 v12, 0x2edbe6ff
	;;#ASMSTART
	v_max3_f32 v10, v12, v10, v11

	;;#ASMEND
	v_and_b32_e32 v11, 0x7fffffff, v4
	v_and_b32_e32 v12, 0x7fffffff, v5
	;;#ASMSTART
	v_max3_f32 v10, v10, v11, v12

	;;#ASMEND
	v_and_b32_e32 v11, 0x7fffffff, v6
	v_and_b32_e32 v12, 0x7fffffff, v7
	;; [unrolled: 6-line block ×3, first 2 shown]
	;;#ASMSTART
	v_max3_f32 v10, v10, v11, v12

	;;#ASMEND
.LBB342_24:
	s_or_b64 exec, exec, s[8:9]
	;;#ASMSTART
	v_max_f32 v11, v10, v10 quad_perm:[1,0,3,2] row_mask:0xf bank_mask:0xf bound_ctrl:1
	;;#ASMEND
	;;#ASMSTART
	v_max_f32 v10, v11, v11 quad_perm:[2,3,0,1] row_mask:0xf bank_mask:0xf bound_ctrl:1
	;;#ASMEND
	;;#ASMSTART
	v_max_f32 v11, v10, v10 row_half_mirror row_mask:0xf bank_mask:0xf bound_ctrl:1
	;;#ASMEND
	;;#ASMSTART
	v_max_f32 v10, v11, v11 row_mirror row_mask:0xf bank_mask:0xf bound_ctrl:1
	;;#ASMEND
	v_and_b32_e32 v11, 15, v0
	v_cmp_eq_u32_e32 vcc, 0, v11
	v_cmp_gt_i32_e64 s[8:9], s15, v1
	v_mul_f32_e32 v10, 0x3b124925, v10
	s_and_b64 s[10:11], vcc, s[8:9]
	s_and_saveexec_b64 s[8:9], s[10:11]
	s_cbranch_execz .LBB342_26
; %bb.25:
	s_load_dwordx2 s[10:11], s[4:5], 0x8
	s_mul_hi_i32 s23, s25, s6
	s_mul_i32 s22, s25, s6
	v_lshrrev_b32_e32 v11, 4, v0
	s_lshl_b64 s[22:23], s[22:23], 2
	v_mad_i64_i32 v[12:13], s[26:27], s26, v11, 0
	s_waitcnt lgkmcnt(0)
	s_add_u32 s7, s10, s22
	s_addc_u32 s10, s11, s23
	v_lshlrev_b64 v[12:13], 2, v[12:13]
	v_mov_b32_e32 v11, s10
	v_add_co_u32_e32 v12, vcc, s7, v12
	v_addc_co_u32_e32 v13, vcc, v11, v13, vcc
	global_store_dword v[12:13], v10, off
.LBB342_26:
	s_or_b64 exec, exec, s[8:9]
	;;#ASMSTART
	v_rcp_f32 v10, v10
	;;#ASMEND
	s_and_saveexec_b64 s[22:23], s[0:1]
	s_cbranch_execz .LBB342_28
; %bb.27:
	s_load_dwordx2 s[0:1], s[4:5], 0x0
	s_mul_i32 s8, s24, s6
	v_mov_b32_e32 v11, v10
	;;#ASMSTART
	v_pk_mul_f32 v[2:3], v[2:3], v[10:11]
	;;#ASMEND
	s_mul_hi_i32 s7, s24, s6
	s_waitcnt lgkmcnt(0)
	s_add_u32 s8, s0, s8
	v_mov_b32_e32 v12, 0xc3e00000
	v_mov_b32_e32 v13, 0x43e00000
	;;#ASMSTART
	v_med3_f32 v2, v2, v12, v13
v_med3_f32 v3, v3, v12, v13
v_cvt_pk_fp8_f32 v15, v2, v3
	;;#ASMEND
	s_addc_u32 s0, s1, s7
	;;#ASMSTART
	v_pk_mul_f32 v[2:3], v[4:5], v[10:11]
	;;#ASMEND
	s_and_b32 s9, s0, 0xffff
	;;#ASMSTART
	v_med3_f32 v2, v2, v12, v13
v_med3_f32 v3, v3, v12, v13
v_cvt_pk_fp8_f32 v4, v2, v3
	;;#ASMEND
	s_mov_b32 s0, 0x5040100
	v_perm_b32 v3, v4, v15, s0
	s_movk_i32 s0, 0xff
	v_and_b32_e32 v2, 0xffffff00, v4
	v_and_b32_sdwa v4, v3, s0 dst_sel:DWORD dst_unused:UNUSED_PAD src0_sel:WORD_1 src1_sel:DWORD
	s_mov_b32 s12, 0xffff
	v_or_b32_sdwa v2, v4, v2 dst_sel:WORD_1 dst_unused:UNUSED_PAD src0_sel:DWORD src1_sel:DWORD
	v_and_or_b32 v2, v3, s12, v2
	;;#ASMSTART
	v_pk_mul_f32 v[4:5], v[6:7], v[10:11]
	;;#ASMEND
	v_mov_b32_e32 v3, v5
	s_add_i32 s1, s15, 3
	;;#ASMSTART
	v_med3_f32 v4, v4, v12, v13
v_med3_f32 v3, v3, v12, v13
v_cvt_pk_fp8_f32 v6, v4, v3
	;;#ASMEND
	s_ashr_i32 s7, s1, 31
	;;#ASMSTART
	v_pk_mul_f32 v[4:5], v[8:9], v[10:11]
	;;#ASMEND
	v_mov_b32_e32 v3, v4
	s_lshr_b32 s7, s7, 30
	;;#ASMSTART
	v_med3_f32 v3, v3, v12, v13
v_med3_f32 v5, v5, v12, v13
v_cvt_pk_fp8_f32 v4, v3, v5
	;;#ASMEND
	s_add_i32 s1, s1, s7
	v_lshlrev_b32_e32 v3, 16, v4
	s_and_b32 s10, s1, -4
	s_mov_b32 s11, 0x20000
	v_and_or_b32 v3, v6, s12, v3
	buffer_store_dwordx2 v[2:3], v1, s[8:11], 0 offen
	;;#ASMSTART
	s_nop 0
	;;#ASMEND
.LBB342_28:
	s_or_b64 exec, exec, s[22:23]
	s_cmp_lt_i32 s16, 1
	s_cbranch_scc1 .LBB342_17
.LBB342_29:
	s_load_dword s0, s[4:5], 0x94
	s_waitcnt lgkmcnt(0)
	s_cmp_lg_u32 s0, 1
	s_cbranch_scc1 .LBB342_17
; %bb.30:
	s_lshl_b32 s0, s16, 1
	s_add_i32 s0, s0, 2
	v_cmp_gt_u32_e32 vcc, s16, v1
	s_and_b32 s22, s0, -4
	v_mov_b32_e32 v6, 0
	v_lshlrev_b32_e32 v1, 4, v0
	v_mov_b32_e32 v7, 0
	v_mov_b32_e32 v8, 0
	;; [unrolled: 1-line block ×7, first 2 shown]
	s_barrier
	s_and_saveexec_b64 s[0:1], vcc
	s_cbranch_execz .LBB342_32
; %bb.31:
	s_mul_hi_i32 s5, s18, s6
	s_mul_i32 s4, s18, s6
	s_and_b32 s21, s21, 0xffff
	s_lshl_b64 s[4:5], s[4:5], 1
	s_add_u32 s8, s36, s4
	s_mov_b32 s23, 0x20000
	s_addc_u32 s4, s37, s5
	s_and_b32 s9, s4, 0xffff
	s_mov_b32 s10, s22
	s_mov_b32 s11, s23
	buffer_load_dwordx4 v[6:9], v1, s[8:11], 0 offen glc slc
	buffer_load_dwordx4 v[2:5], v1, s[20:23], 0 offen
.LBB342_32:
	s_or_b64 exec, exec, s[0:1]
	s_waitcnt vmcnt(0)
	v_cvt_f32_u32_sdwa v13, v6 dst_sel:DWORD dst_unused:UNUSED_PAD src0_sel:WORD_1
	v_cvt_f32_u32_sdwa v12, v6 dst_sel:DWORD dst_unused:UNUSED_PAD src0_sel:WORD_0
	v_cvt_f32_u32_sdwa v6, v9 dst_sel:DWORD dst_unused:UNUSED_PAD src0_sel:WORD_1
	v_cvt_f32_u32_sdwa v9, v9 dst_sel:DWORD dst_unused:UNUSED_PAD src0_sel:WORD_0
	;; [unrolled: 2-line block ×4, first 2 shown]
	v_cndmask_b32_e32 v13, 0, v13, vcc
	v_cndmask_b32_e32 v7, 0, v6, vcc
	;; [unrolled: 1-line block ×5, first 2 shown]
	v_mul_f32_e32 v15, v13, v13
	v_cndmask_b32_e32 v10, 0, v10, vcc
	v_fmac_f32_e32 v15, v12, v12
	v_cndmask_b32_e32 v11, 0, v11, vcc
	v_fmac_f32_e32 v15, v10, v10
	;; [unrolled: 2-line block ×3, first 2 shown]
	v_fmac_f32_e32 v15, v8, v8
	v_fmac_f32_e32 v15, v9, v9
	;; [unrolled: 1-line block ×4, first 2 shown]
	s_nop 1
	v_mov_b32_dpp v16, v15 quad_perm:[1,0,3,2] row_mask:0xf bank_mask:0xf
	v_add_f32_e32 v15, v15, v16
	s_nop 1
	v_mov_b32_dpp v16, v15 quad_perm:[2,3,0,1] row_mask:0xf bank_mask:0xf
	v_add_f32_e32 v15, v15, v16
	s_nop 1
	v_mov_b32_dpp v16, v15 row_half_mirror row_mask:0xf bank_mask:0xf
	v_add_f32_e32 v15, v15, v16
	s_nop 1
	v_mov_b32_dpp v16, v15 row_mirror row_mask:0xf bank_mask:0xf
	v_add_f32_e32 v15, v15, v16
	s_nop 1
	v_mov_b32_dpp v16, v15 row_bcast:15 row_mask:0xf bank_mask:0xf
	v_add_f32_e32 v15, v15, v16
	s_nop 1
	v_mov_b32_dpp v16, v15 row_bcast:31 row_mask:0xf bank_mask:0xf
	s_and_saveexec_b64 s[0:1], s[2:3]
	s_cbranch_execz .LBB342_34
; %bb.33:
	v_lshrrev_b32_e32 v0, 4, v0
	v_add_f32_e32 v15, v15, v16
	v_and_b32_e32 v0, 60, v0
	ds_write_b32 v0, v15
.LBB342_34:
	s_or_b64 exec, exec, s[0:1]
	s_waitcnt lgkmcnt(0)
	s_barrier
	ds_read_b32 v0, v14
	s_waitcnt lgkmcnt(0)
	s_nop 0
	v_mov_b32_dpp v14, v0 quad_perm:[1,0,3,2] row_mask:0xf bank_mask:0xf
	s_and_saveexec_b64 s[0:1], vcc
	s_cbranch_execz .LBB342_17
; %bb.35:
	v_cvt_f32_u32_e32 v15, s16
	v_add_f32_e32 v0, v0, v14
	s_mov_b32 s23, 0x20000
	v_div_scale_f32 v14, s[0:1], v15, v15, v0
	v_rcp_f32_e32 v16, v14
	v_div_scale_f32 v17, vcc, v0, v15, v0
	s_mov_b32 s0, 0x800000
	v_fma_f32 v18, -v14, v16, 1.0
	v_fmac_f32_e32 v16, v18, v16
	v_mul_f32_e32 v18, v17, v16
	v_fma_f32 v19, -v14, v18, v17
	v_fmac_f32_e32 v18, v19, v16
	v_fma_f32 v14, -v14, v18, v17
	v_div_fmas_f32 v14, v14, v16, v18
	v_div_fixup_f32 v0, v14, v15, v0
	v_add_f32_e32 v0, s13, v0
	v_mul_f32_e32 v14, 0x4b800000, v0
	v_cmp_gt_f32_e32 vcc, s0, v0
	v_cndmask_b32_e32 v0, v0, v14, vcc
	v_rsq_f32_e32 v0, v0
	s_mul_hi_i32 s1, s34, s6
	s_mul_i32 s0, s34, s6
	s_lshl_b64 s[0:1], s[0:1], 1
	v_mul_f32_e32 v14, 0x45800000, v0
	v_cndmask_b32_e32 v14, v0, v14, vcc
	s_add_u32 s20, s38, s0
	v_mov_b32_e32 v15, v14
	s_addc_u32 s0, s39, s1
	;;#ASMSTART
	v_pk_mul_f32 v[12:13], v[12:13], v[14:15]
	;;#ASMEND
	;;#ASMSTART
	v_pk_mul_f32 v[10:11], v[10:11], v[14:15]
	;;#ASMEND
	;; [unrolled: 3-line block ×4, first 2 shown]
	v_cvt_f32_u32_sdwa v15, v2 dst_sel:DWORD dst_unused:UNUSED_PAD src0_sel:WORD_1
	v_cvt_f32_u32_sdwa v14, v2 dst_sel:DWORD dst_unused:UNUSED_PAD src0_sel:WORD_0
	v_cvt_f32_u32_sdwa v17, v3 dst_sel:DWORD dst_unused:UNUSED_PAD src0_sel:WORD_1
	v_cvt_f32_u32_sdwa v16, v3 dst_sel:DWORD dst_unused:UNUSED_PAD src0_sel:WORD_0
	;; [unrolled: 2-line block ×4, first 2 shown]
	;;#ASMSTART
	v_pk_mul_f32 v[4:5], v[12:13], v[14:15]
	;;#ASMEND
	s_and_b32 s21, s0, 0xffff
	s_mov_b32 s0, 0x7060302
	;;#ASMSTART
	v_pk_mul_f32 v[10:11], v[10:11], v[16:17]
	;;#ASMEND
	;;#ASMSTART
	v_pk_mul_f32 v[8:9], v[8:9], v[2:3]
	;;#ASMEND
	;; [unrolled: 3-line block ×3, first 2 shown]
	v_perm_b32 v2, v5, v4, s0
	v_perm_b32 v3, v11, v10, s0
	;; [unrolled: 1-line block ×4, first 2 shown]
	buffer_store_dwordx4 v[2:5], v1, s[20:23], 0 offen
	;;#ASMSTART
	s_nop 0
	;;#ASMEND
	s_endpgm
	.section	.rodata,"a",@progbits
	.p2align	6, 0x0
	.amdhsa_kernel _ZN5aiter35fused_qk_rmsnorm_group_quant_kernelItDB8_Li128ELi8ELi16ELb1ELb0ELb0ELb0ELb0ELb0EEEvPT0_PvPT_S6_S6_PKS5_S8_S8_S8_S8_ffiiiiiiiiiiiii
		.amdhsa_group_segment_fixed_size 16
		.amdhsa_private_segment_fixed_size 0
		.amdhsa_kernarg_size 400
		.amdhsa_user_sgpr_count 6
		.amdhsa_user_sgpr_private_segment_buffer 1
		.amdhsa_user_sgpr_dispatch_ptr 0
		.amdhsa_user_sgpr_queue_ptr 0
		.amdhsa_user_sgpr_kernarg_segment_ptr 1
		.amdhsa_user_sgpr_dispatch_id 0
		.amdhsa_user_sgpr_flat_scratch_init 0
		.amdhsa_user_sgpr_kernarg_preload_length 0
		.amdhsa_user_sgpr_kernarg_preload_offset 0
		.amdhsa_user_sgpr_private_segment_size 0
		.amdhsa_uses_dynamic_stack 0
		.amdhsa_system_sgpr_private_segment_wavefront_offset 0
		.amdhsa_system_sgpr_workgroup_id_x 1
		.amdhsa_system_sgpr_workgroup_id_y 1
		.amdhsa_system_sgpr_workgroup_id_z 0
		.amdhsa_system_sgpr_workgroup_info 0
		.amdhsa_system_vgpr_workitem_id 0
		.amdhsa_next_free_vgpr 27
		.amdhsa_next_free_sgpr 48
		.amdhsa_accum_offset 28
		.amdhsa_reserve_vcc 1
		.amdhsa_reserve_flat_scratch 0
		.amdhsa_float_round_mode_32 0
		.amdhsa_float_round_mode_16_64 0
		.amdhsa_float_denorm_mode_32 3
		.amdhsa_float_denorm_mode_16_64 3
		.amdhsa_dx10_clamp 1
		.amdhsa_ieee_mode 1
		.amdhsa_fp16_overflow 0
		.amdhsa_tg_split 0
		.amdhsa_exception_fp_ieee_invalid_op 0
		.amdhsa_exception_fp_denorm_src 0
		.amdhsa_exception_fp_ieee_div_zero 0
		.amdhsa_exception_fp_ieee_overflow 0
		.amdhsa_exception_fp_ieee_underflow 0
		.amdhsa_exception_fp_ieee_inexact 0
		.amdhsa_exception_int_div_zero 0
	.end_amdhsa_kernel
	.section	.text._ZN5aiter35fused_qk_rmsnorm_group_quant_kernelItDB8_Li128ELi8ELi16ELb1ELb0ELb0ELb0ELb0ELb0EEEvPT0_PvPT_S6_S6_PKS5_S8_S8_S8_S8_ffiiiiiiiiiiiii,"axG",@progbits,_ZN5aiter35fused_qk_rmsnorm_group_quant_kernelItDB8_Li128ELi8ELi16ELb1ELb0ELb0ELb0ELb0ELb0EEEvPT0_PvPT_S6_S6_PKS5_S8_S8_S8_S8_ffiiiiiiiiiiiii,comdat
.Lfunc_end342:
	.size	_ZN5aiter35fused_qk_rmsnorm_group_quant_kernelItDB8_Li128ELi8ELi16ELb1ELb0ELb0ELb0ELb0ELb0EEEvPT0_PvPT_S6_S6_PKS5_S8_S8_S8_S8_ffiiiiiiiiiiiii, .Lfunc_end342-_ZN5aiter35fused_qk_rmsnorm_group_quant_kernelItDB8_Li128ELi8ELi16ELb1ELb0ELb0ELb0ELb0ELb0EEEvPT0_PvPT_S6_S6_PKS5_S8_S8_S8_S8_ffiiiiiiiiiiiii
                                        ; -- End function
	.section	.AMDGPU.csdata,"",@progbits
; Kernel info:
; codeLenInByte = 2904
; NumSgprs: 52
; NumVgprs: 27
; NumAgprs: 0
; TotalNumVgprs: 27
; ScratchSize: 0
; MemoryBound: 0
; FloatMode: 240
; IeeeMode: 1
; LDSByteSize: 16 bytes/workgroup (compile time only)
; SGPRBlocks: 6
; VGPRBlocks: 3
; NumSGPRsForWavesPerEU: 52
; NumVGPRsForWavesPerEU: 27
; AccumOffset: 28
; Occupancy: 8
; WaveLimiterHint : 0
; COMPUTE_PGM_RSRC2:SCRATCH_EN: 0
; COMPUTE_PGM_RSRC2:USER_SGPR: 6
; COMPUTE_PGM_RSRC2:TRAP_HANDLER: 0
; COMPUTE_PGM_RSRC2:TGID_X_EN: 1
; COMPUTE_PGM_RSRC2:TGID_Y_EN: 1
; COMPUTE_PGM_RSRC2:TGID_Z_EN: 0
; COMPUTE_PGM_RSRC2:TIDIG_COMP_CNT: 0
; COMPUTE_PGM_RSRC3_GFX90A:ACCUM_OFFSET: 6
; COMPUTE_PGM_RSRC3_GFX90A:TG_SPLIT: 0
	.section	.text._ZN5aiter35fused_qk_rmsnorm_group_quant_kernelIDF16_N4opus5fp4_tELi128ELi8ELi16ELb1ELb0ELb0ELb0ELb0ELb0EEEvPT0_PvPT_S7_S7_PKS6_S9_S9_S9_S9_ffiiiiiiiiiiiii,"axG",@progbits,_ZN5aiter35fused_qk_rmsnorm_group_quant_kernelIDF16_N4opus5fp4_tELi128ELi8ELi16ELb1ELb0ELb0ELb0ELb0ELb0EEEvPT0_PvPT_S7_S7_PKS6_S9_S9_S9_S9_ffiiiiiiiiiiiii,comdat
	.protected	_ZN5aiter35fused_qk_rmsnorm_group_quant_kernelIDF16_N4opus5fp4_tELi128ELi8ELi16ELb1ELb0ELb0ELb0ELb0ELb0EEEvPT0_PvPT_S7_S7_PKS6_S9_S9_S9_S9_ffiiiiiiiiiiiii ; -- Begin function _ZN5aiter35fused_qk_rmsnorm_group_quant_kernelIDF16_N4opus5fp4_tELi128ELi8ELi16ELb1ELb0ELb0ELb0ELb0ELb0EEEvPT0_PvPT_S7_S7_PKS6_S9_S9_S9_S9_ffiiiiiiiiiiiii
	.globl	_ZN5aiter35fused_qk_rmsnorm_group_quant_kernelIDF16_N4opus5fp4_tELi128ELi8ELi16ELb1ELb0ELb0ELb0ELb0ELb0EEEvPT0_PvPT_S7_S7_PKS6_S9_S9_S9_S9_ffiiiiiiiiiiiii
	.p2align	8
	.type	_ZN5aiter35fused_qk_rmsnorm_group_quant_kernelIDF16_N4opus5fp4_tELi128ELi8ELi16ELb1ELb0ELb0ELb0ELb0ELb0EEEvPT0_PvPT_S7_S7_PKS6_S9_S9_S9_S9_ffiiiiiiiiiiiii,@function
_ZN5aiter35fused_qk_rmsnorm_group_quant_kernelIDF16_N4opus5fp4_tELi128ELi8ELi16ELb1ELb0ELb0ELb0ELb0ELb0EEEvPT0_PvPT_S7_S7_PKS6_S9_S9_S9_S9_ffiiiiiiiiiiiii: ; @_ZN5aiter35fused_qk_rmsnorm_group_quant_kernelIDF16_N4opus5fp4_tELi128ELi8ELi16ELb1ELb0ELb0ELb0ELb0ELb0EEEvPT0_PvPT_S7_S7_PKS6_S9_S9_S9_S9_ffiiiiiiiiiiiii
; %bb.0:
	s_load_dwordx8 s[12:19], s[4:5], 0x50
	s_waitcnt lgkmcnt(0)
	s_cmp_ge_i32 s6, s14
	s_cbranch_scc1 .LBB343_17
; %bb.1:
	s_cmp_lg_u32 s7, 0
	s_cselect_b64 s[22:23], -1, 0
	s_cmp_eq_u32 s7, 0
	s_cselect_b64 s[8:9], -1, 0
	s_and_b64 s[0:1], s[8:9], exec
	s_load_dwordx2 s[20:21], s[4:5], 0x48
	s_load_dwordx2 s[34:35], s[4:5], 0x30
	s_load_dwordx4 s[24:27], s[4:5], 0x70
	s_cselect_b32 s7, s15, s16
	s_add_i32 s0, s7, 1
	s_lshr_b32 s1, s0, 31
	s_add_i32 s0, s0, s1
	s_lshl_b32 s0, s0, 1
	v_lshlrev_b32_e32 v1, 3, v0
	s_and_b32 s30, s0, -4
	v_cmp_gt_i32_e64 s[0:1], s7, v1
	v_mov_b32_e32 v2, 0
	v_mov_b32_e32 v3, 0
	;; [unrolled: 1-line block ×8, first 2 shown]
	s_and_saveexec_b64 s[2:3], s[0:1]
	s_cbranch_execz .LBB343_3
; %bb.2:
	s_load_dwordx2 s[10:11], s[4:5], 0x28
	s_load_dwordx2 s[28:29], s[4:5], 0x40
	s_and_b64 s[36:37], s[8:9], exec
	s_cselect_b32 s14, s17, s18
	s_mov_b32 s31, 0x20000
	s_waitcnt lgkmcnt(0)
	s_cselect_b32 s17, s11, s35
	s_cselect_b32 s27, s10, s34
	s_mul_hi_i32 s11, s14, s6
	s_mul_i32 s10, s14, s6
	s_lshl_b64 s[10:11], s[10:11], 1
	s_add_u32 s36, s27, s10
	s_addc_u32 s14, s17, s11
	s_and_b64 s[10:11], s[8:9], exec
	s_cselect_b32 s28, s28, s20
	s_cselect_b32 s10, s29, s21
	v_lshlrev_b32_e32 v10, 4, v0
	s_and_b32 s37, s14, 0xffff
	s_mov_b32 s38, s30
	s_mov_b32 s39, s31
	s_and_b32 s29, s10, 0xffff
	buffer_load_dwordx4 v[6:9], v10, s[36:39], 0 offen glc slc
	buffer_load_dwordx4 v[2:5], v10, s[28:31], 0 offen
.LBB343_3:
	s_or_b64 exec, exec, s[2:3]
	s_load_dwordx2 s[10:11], s[4:5], 0x80
	s_and_b64 vcc, exec, s[22:23]
	s_cbranch_vccz .LBB343_7
; %bb.4:
	v_mov_b32_e32 v11, 0
	v_mov_b32_e32 v10, 0
	;; [unrolled: 1-line block ×8, first 2 shown]
	s_and_saveexec_b64 s[2:3], s[0:1]
	s_cbranch_execz .LBB343_6
; %bb.5:
	s_waitcnt vmcnt(1)
	v_cvt_f32_f16_sdwa v17, v6 dst_sel:DWORD dst_unused:UNUSED_PAD src0_sel:WORD_1
	v_cvt_f32_f16_e32 v16, v6
	v_cvt_f32_f16_sdwa v15, v7 dst_sel:DWORD dst_unused:UNUSED_PAD src0_sel:WORD_1
	v_cvt_f32_f16_e32 v14, v7
	;; [unrolled: 2-line block ×4, first 2 shown]
.LBB343_6:
	s_or_b64 exec, exec, s[2:3]
	s_cbranch_execz .LBB343_8
	s_branch .LBB343_11
.LBB343_7:
                                        ; implicit-def: $vgpr11
                                        ; implicit-def: $vgpr13
                                        ; implicit-def: $vgpr15
                                        ; implicit-def: $vgpr17
.LBB343_8:
	v_mov_b32_e32 v11, 0
	v_mov_b32_e32 v10, 0
	;; [unrolled: 1-line block ×8, first 2 shown]
	s_and_saveexec_b64 s[2:3], s[0:1]
	s_cbranch_execz .LBB343_10
; %bb.9:
	s_load_dwordx2 s[28:29], s[4:5], 0x38
	s_mul_hi_i32 s37, s19, s6
	s_mul_i32 s36, s19, s6
	s_lshl_b64 s[36:37], s[36:37], 1
	s_mov_b32 s31, 0x20000
	s_waitcnt lgkmcnt(0)
	s_add_u32 s28, s28, s36
	s_addc_u32 s14, s29, s37
	s_and_b32 s29, s14, 0xffff
	v_lshlrev_b32_e32 v26, 4, v0
	buffer_load_dwordx4 v[10:13], v26, s[28:31], 0 offen glc slc
	s_waitcnt vmcnt(2)
	v_cvt_f32_f16_sdwa v15, v6 dst_sel:DWORD dst_unused:UNUSED_PAD src0_sel:WORD_1
	v_cvt_f32_f16_e32 v14, v6
	v_cvt_f32_f16_sdwa v19, v7 dst_sel:DWORD dst_unused:UNUSED_PAD src0_sel:WORD_1
	v_cvt_f32_f16_e32 v18, v7
	;; [unrolled: 2-line block ×4, first 2 shown]
	s_load_dwordx2 s[28:29], s[4:5], 0x20
	s_mul_hi_i32 s37, s11, s6
	s_mul_i32 s36, s11, s6
	s_lshl_b64 s[36:37], s[36:37], 1
	s_waitcnt lgkmcnt(0)
	s_add_u32 s28, s28, s36
	s_addc_u32 s11, s29, s37
	s_and_b32 s29, s11, 0xffff
	s_waitcnt vmcnt(0)
	v_cvt_f32_f16_e32 v8, v10
	v_cvt_f32_f16_sdwa v9, v10 dst_sel:DWORD dst_unused:UNUSED_PAD src0_sel:WORD_1
	v_cvt_f32_f16_e32 v10, v11
	v_cvt_f32_f16_sdwa v11, v11 dst_sel:DWORD dst_unused:UNUSED_PAD src0_sel:WORD_1
	;; [unrolled: 2-line block ×4, first 2 shown]
	v_pk_add_f32 v[16:17], v[14:15], v[8:9]
	v_pk_add_f32 v[14:15], v[18:19], v[10:11]
	;; [unrolled: 1-line block ×4, first 2 shown]
	v_cvt_f16_f32_e32 v6, v17
	v_cvt_f16_f32_e32 v7, v15
	;; [unrolled: 1-line block ×8, first 2 shown]
	v_pack_b32_f16 v9, v18, v9
	v_pack_b32_f16 v8, v19, v8
	;; [unrolled: 1-line block ×4, first 2 shown]
	buffer_store_dwordx4 v[6:9], v26, s[28:31], 0 offen glc slc
	;;#ASMSTART
	s_nop 0
	;;#ASMEND
.LBB343_10:
	s_or_b64 exec, exec, s[2:3]
.LBB343_11:
	s_waitcnt vmcnt(1)
	v_mul_f32_e32 v6, v17, v17
	v_fmac_f32_e32 v6, v16, v16
	v_fmac_f32_e32 v6, v14, v14
	;; [unrolled: 1-line block ×7, first 2 shown]
	v_and_b32_e32 v8, 63, v0
	v_cmp_eq_u32_e64 s[2:3], 63, v8
	v_mov_b32_dpp v7, v6 quad_perm:[1,0,3,2] row_mask:0xf bank_mask:0xf
	v_add_f32_e32 v6, v6, v7
	s_nop 1
	v_mov_b32_dpp v7, v6 quad_perm:[2,3,0,1] row_mask:0xf bank_mask:0xf
	v_add_f32_e32 v6, v6, v7
	s_nop 1
	v_mov_b32_dpp v7, v6 row_half_mirror row_mask:0xf bank_mask:0xf
	v_add_f32_e32 v6, v6, v7
	s_nop 1
	v_mov_b32_dpp v7, v6 row_mirror row_mask:0xf bank_mask:0xf
	v_add_f32_e32 v6, v6, v7
	s_nop 1
	v_mov_b32_dpp v7, v6 row_bcast:15 row_mask:0xf bank_mask:0xf
	v_add_f32_e32 v6, v6, v7
	s_nop 1
	v_mov_b32_dpp v7, v6 row_bcast:31 row_mask:0xf bank_mask:0xf
	s_and_saveexec_b64 s[28:29], s[2:3]
	s_cbranch_execz .LBB343_13
; %bb.12:
	v_add_f32_e32 v6, v6, v7
	v_lshrrev_b32_e32 v7, 4, v0
	v_and_b32_e32 v7, 60, v7
	ds_write_b32 v7, v6 offset:8
.LBB343_13:
	s_or_b64 exec, exec, s[28:29]
	v_and_b32_e32 v6, 1, v0
	v_lshlrev_b32_e32 v18, 2, v6
	s_waitcnt lgkmcnt(0)
	s_barrier
	ds_read_b32 v6, v18 offset:8
	s_load_dwordx2 s[36:37], s[4:5], 0x18
	s_waitcnt lgkmcnt(0)
	v_mov_b32_dpp v7, v6 quad_perm:[1,0,3,2] row_mask:0xf bank_mask:0xf
	s_and_saveexec_b64 s[28:29], s[0:1]
	s_cbranch_execnz .LBB343_18
; %bb.14:
	s_or_b64 exec, exec, s[28:29]
	s_mov_b64 s[8:9], -1
	s_and_b64 vcc, exec, s[22:23]
	s_cbranch_vccnz .LBB343_19
.LBB343_15:
	s_andn2_b64 vcc, exec, s[8:9]
	s_cbranch_vccz .LBB343_22
.LBB343_16:
	s_cmp_lt_i32 s16, 1
	s_cbranch_scc0 .LBB343_29
.LBB343_17:
	s_endpgm
.LBB343_18:
	v_cvt_f32_u32_e32 v8, s7
	v_add_f32_e32 v6, v6, v7
	v_mov_b32_e32 v19, s13
	v_mov_b32_e32 v20, s12
	v_div_scale_f32 v7, s[38:39], v8, v8, v6
	v_rcp_f32_e32 v9, v7
	v_cndmask_b32_e64 v19, v19, v20, s[8:9]
	s_mov_b32 s7, 0x800000
	s_waitcnt vmcnt(0)
	v_cvt_f32_f16_sdwa v23, v5 dst_sel:DWORD dst_unused:UNUSED_PAD src0_sel:WORD_1
	v_fma_f32 v20, -v7, v9, 1.0
	v_fmac_f32_e32 v9, v20, v9
	v_div_scale_f32 v20, vcc, v6, v8, v6
	v_mul_f32_e32 v21, v20, v9
	v_fma_f32 v22, -v7, v21, v20
	v_fmac_f32_e32 v21, v22, v9
	v_fma_f32 v7, -v7, v21, v20
	v_div_fmas_f32 v7, v7, v9, v21
	v_div_fixup_f32 v6, v7, v8, v6
	v_add_f32_e32 v6, v19, v6
	v_mul_f32_e32 v7, 0x4b800000, v6
	v_cmp_gt_f32_e32 vcc, s7, v6
	v_cndmask_b32_e32 v6, v6, v7, vcc
	v_rsq_f32_e32 v6, v6
	v_cvt_f32_f16_sdwa v21, v3 dst_sel:DWORD dst_unused:UNUSED_PAD src0_sel:WORD_1
	v_cvt_f32_f16_e32 v20, v3
	v_cvt_f32_f16_sdwa v3, v4 dst_sel:DWORD dst_unused:UNUSED_PAD src0_sel:WORD_1
	v_mul_f32_e32 v7, 0x45800000, v6
	v_cndmask_b32_e32 v6, v6, v7, vcc
	v_mov_b32_e32 v7, v6
	;;#ASMSTART
	v_pk_mul_f32 v[8:9], v[16:17], v[6:7]
	;;#ASMEND
	;;#ASMSTART
	v_pk_mul_f32 v[14:15], v[14:15], v[6:7]
	;;#ASMEND
	;; [unrolled: 3-line block ×4, first 2 shown]
	v_cvt_f32_f16_sdwa v11, v2 dst_sel:DWORD dst_unused:UNUSED_PAD src0_sel:WORD_1
	v_cvt_f32_f16_e32 v10, v2
	v_cvt_f32_f16_e32 v2, v4
	;; [unrolled: 1-line block ×3, first 2 shown]
	;;#ASMSTART
	v_pk_mul_f32 v[16:17], v[8:9], v[10:11]
	;;#ASMEND
	;;#ASMSTART
	v_pk_mul_f32 v[14:15], v[14:15], v[20:21]
	;;#ASMEND
	;; [unrolled: 3-line block ×4, first 2 shown]
	s_or_b64 exec, exec, s[28:29]
	s_mov_b64 s[8:9], -1
	s_and_b64 vcc, exec, s[22:23]
	s_cbranch_vccz .LBB343_15
.LBB343_19:
	s_and_saveexec_b64 s[8:9], s[0:1]
	s_cbranch_execz .LBB343_21
; %bb.20:
	s_mul_hi_i32 s23, s10, s6
	s_mul_i32 s22, s10, s6
	s_waitcnt vmcnt(0)
	v_cvt_f16_f32_e32 v2, v16
	v_cvt_f16_f32_e32 v3, v14
	;; [unrolled: 1-line block ×8, first 2 shown]
	s_lshl_b64 s[22:23], s[22:23], 1
	s_add_u32 s28, s36, s22
	s_addc_u32 s7, s37, s23
	s_and_b32 s29, s7, 0xffff
	s_mov_b32 s31, 0x20000
	v_pack_b32_f16 v5, v5, v6
	v_pack_b32_f16 v4, v4, v7
	;; [unrolled: 1-line block ×4, first 2 shown]
	v_lshlrev_b32_e32 v6, 4, v0
	buffer_store_dwordx4 v[2:5], v6, s[28:31], 0 offen
	;;#ASMSTART
	s_nop 0
	;;#ASMEND
.LBB343_21:
	s_or_b64 exec, exec, s[8:9]
	s_cbranch_execnz .LBB343_16
.LBB343_22:
	s_waitcnt vmcnt(0)
	v_mov_b32_e32 v2, 0
	s_and_saveexec_b64 s[8:9], s[0:1]
	s_cbranch_execz .LBB343_24
; %bb.23:
	v_and_b32_e32 v2, 0x7fffffff, v16
	v_and_b32_e32 v3, 0x7fffffff, v17
	v_mov_b32_e32 v4, 0x2edbe6ff
	;;#ASMSTART
	v_max3_f32 v2, v4, v2, v3

	;;#ASMEND
	v_and_b32_e32 v3, 0x7fffffff, v14
	v_and_b32_e32 v4, 0x7fffffff, v15
	;;#ASMSTART
	v_max3_f32 v2, v2, v3, v4

	;;#ASMEND
	v_and_b32_e32 v3, 0x7fffffff, v12
	v_and_b32_e32 v4, 0x7fffffff, v13
	;; [unrolled: 6-line block ×3, first 2 shown]
	;;#ASMSTART
	v_max3_f32 v2, v2, v3, v4

	;;#ASMEND
.LBB343_24:
	s_or_b64 exec, exec, s[8:9]
	;;#ASMSTART
	v_max_f32 v3, v2, v2 quad_perm:[1,0,3,2] row_mask:0xf bank_mask:0xf bound_ctrl:1
	;;#ASMEND
	;;#ASMSTART
	v_max_f32 v2, v3, v3 quad_perm:[2,3,0,1] row_mask:0xf bank_mask:0xf bound_ctrl:1
	;;#ASMEND
	;;#ASMSTART
	v_max_f32 v3, v2, v2 row_half_mirror row_mask:0xf bank_mask:0xf bound_ctrl:1
	;;#ASMEND
	;;#ASMSTART
	v_max_f32 v2, v3, v3 row_mirror row_mask:0xf bank_mask:0xf bound_ctrl:1
	;;#ASMEND
	v_and_b32_e32 v3, 15, v0
	v_cmp_eq_u32_e32 vcc, 0, v3
	v_cmp_gt_i32_e64 s[8:9], s15, v1
	s_and_b64 s[22:23], vcc, s[8:9]
	s_and_saveexec_b64 s[8:9], s[22:23]
	s_cbranch_execz .LBB343_26
; %bb.25:
	s_load_dwordx2 s[22:23], s[4:5], 0x8
	v_mul_f32_e32 v2, 0x3e2aaaab, v2
	v_lshrrev_b32_e32 v3, 23, v2
	v_and_b32_e32 v4, 0x7f800000, v2
	v_and_b32_e32 v2, 0x7fffff, v2
	v_cmp_ne_u32_e32 vcc, 0, v2
	s_mul_i32 s12, s25, s6
	s_mov_b32 s7, 0x7f800000
	v_addc_co_u32_e32 v2, vcc, 0, v3, vcc
	s_mul_hi_i32 s11, s25, s6
	s_waitcnt lgkmcnt(0)
	s_add_u32 s22, s22, s12
	v_cmp_ne_u32_e32 vcc, s7, v4
	s_addc_u32 s23, s23, s11
	v_lshrrev_b32_e32 v5, 4, v0
	v_cndmask_b32_e32 v4, -1, v2, vcc
	v_pk_mov_b32 v[2:3], s[22:23], s[22:23] op_sel:[0,1]
	v_mad_i64_i32 v[2:3], s[22:23], s26, v5, v[2:3]
	global_store_byte v[2:3], v4, off
.LBB343_26:
	s_or_b64 exec, exec, s[8:9]
	s_and_saveexec_b64 s[8:9], s[0:1]
	s_cbranch_execz .LBB343_28
; %bb.27:
	s_load_dwordx2 s[0:1], s[4:5], 0x0
	s_mul_i32 s11, s24, s6
	s_mul_hi_i32 s7, s24, s6
	v_lshlrev_b32_e32 v2, 2, v0
	s_mov_b32 s27, 0x20000
	s_waitcnt lgkmcnt(0)
	s_add_u32 s24, s0, s11
	s_addc_u32 s0, s1, s7
	s_lshr_b32 s1, s15, 31
	s_add_i32 s1, s15, s1
	s_ashr_i32 s1, s1, 1
	s_add_i32 s1, s1, 3
	s_ashr_i32 s7, s1, 31
	s_lshr_b32 s7, s7, 30
	s_add_i32 s1, s1, s7
	s_and_b32 s26, s1, -4
	s_and_b32 s25, s0, 0xffff
	v_mov_b32_e32 v3, 0
	buffer_store_dword v3, v2, s[24:27], 0 offen
	;;#ASMSTART
	s_nop 0
	;;#ASMEND
.LBB343_28:
	s_or_b64 exec, exec, s[8:9]
	s_cmp_lt_i32 s16, 1
	s_cbranch_scc1 .LBB343_17
.LBB343_29:
	s_load_dword s0, s[4:5], 0x94
	s_waitcnt lgkmcnt(0)
	s_cmp_lg_u32 s0, 1
	s_cbranch_scc1 .LBB343_17
; %bb.30:
	s_lshl_b32 s0, s16, 1
	s_add_i32 s0, s0, 2
	v_cmp_gt_u32_e32 vcc, s16, v1
	s_and_b32 s22, s0, -4
	v_mov_b32_e32 v10, 0
	v_lshlrev_b32_e32 v1, 4, v0
	v_mov_b32_e32 v6, 0
	v_mov_b32_e32 v7, 0
	;; [unrolled: 1-line block ×4, first 2 shown]
	s_waitcnt vmcnt(0)
	v_mov_b32_e32 v2, 0
	v_mov_b32_e32 v3, 0
	;; [unrolled: 1-line block ×4, first 2 shown]
	s_barrier
	s_and_saveexec_b64 s[0:1], vcc
	s_cbranch_execz .LBB343_32
; %bb.31:
	s_mul_hi_i32 s5, s18, s6
	s_mul_i32 s4, s18, s6
	s_and_b32 s21, s21, 0xffff
	s_lshl_b64 s[4:5], s[4:5], 1
	s_add_u32 s24, s34, s4
	s_mov_b32 s23, 0x20000
	s_addc_u32 s4, s35, s5
	s_and_b32 s25, s4, 0xffff
	s_mov_b32 s26, s22
	s_mov_b32 s27, s23
	buffer_load_dwordx4 v[6:9], v1, s[24:27], 0 offen glc slc
	buffer_load_dwordx4 v[2:5], v1, s[20:23], 0 offen
.LBB343_32:
	s_or_b64 exec, exec, s[0:1]
	v_mov_b32_e32 v11, 0
	v_mov_b32_e32 v16, 0
	;; [unrolled: 1-line block ×7, first 2 shown]
	s_and_saveexec_b64 s[0:1], vcc
	s_cbranch_execz .LBB343_34
; %bb.33:
	s_waitcnt vmcnt(1)
	v_cvt_f32_f16_sdwa v11, v6 dst_sel:DWORD dst_unused:UNUSED_PAD src0_sel:WORD_1
	v_cvt_f32_f16_e32 v10, v6
	v_cvt_f32_f16_sdwa v17, v7 dst_sel:DWORD dst_unused:UNUSED_PAD src0_sel:WORD_1
	v_cvt_f32_f16_e32 v16, v7
	v_cvt_f32_f16_sdwa v15, v8 dst_sel:DWORD dst_unused:UNUSED_PAD src0_sel:WORD_1
	v_cvt_f32_f16_e32 v14, v8
	v_cvt_f32_f16_sdwa v13, v9 dst_sel:DWORD dst_unused:UNUSED_PAD src0_sel:WORD_1
	v_cvt_f32_f16_e32 v12, v9
.LBB343_34:
	s_or_b64 exec, exec, s[0:1]
	s_waitcnt vmcnt(1)
	v_mul_f32_e32 v6, v11, v11
	v_fmac_f32_e32 v6, v10, v10
	v_fmac_f32_e32 v6, v16, v16
	;; [unrolled: 1-line block ×7, first 2 shown]
	s_nop 1
	v_mov_b32_dpp v7, v6 quad_perm:[1,0,3,2] row_mask:0xf bank_mask:0xf
	v_add_f32_e32 v6, v6, v7
	s_nop 1
	v_mov_b32_dpp v7, v6 quad_perm:[2,3,0,1] row_mask:0xf bank_mask:0xf
	v_add_f32_e32 v6, v6, v7
	s_nop 1
	v_mov_b32_dpp v7, v6 row_half_mirror row_mask:0xf bank_mask:0xf
	v_add_f32_e32 v6, v6, v7
	s_nop 1
	v_mov_b32_dpp v7, v6 row_mirror row_mask:0xf bank_mask:0xf
	v_add_f32_e32 v6, v6, v7
	s_nop 1
	v_mov_b32_dpp v7, v6 row_bcast:15 row_mask:0xf bank_mask:0xf
	v_add_f32_e32 v6, v6, v7
	s_nop 1
	v_mov_b32_dpp v7, v6 row_bcast:31 row_mask:0xf bank_mask:0xf
	s_and_saveexec_b64 s[0:1], s[2:3]
	s_cbranch_execz .LBB343_36
; %bb.35:
	v_lshrrev_b32_e32 v0, 4, v0
	v_add_f32_e32 v6, v6, v7
	v_and_b32_e32 v0, 60, v0
	ds_write_b32 v0, v6
.LBB343_36:
	s_or_b64 exec, exec, s[0:1]
	s_waitcnt lgkmcnt(0)
	s_barrier
	ds_read_b32 v0, v18
	s_waitcnt lgkmcnt(0)
	s_nop 0
	v_mov_b32_dpp v6, v0 quad_perm:[1,0,3,2] row_mask:0xf bank_mask:0xf
	s_and_saveexec_b64 s[0:1], vcc
	s_cbranch_execz .LBB343_17
; %bb.37:
	v_cvt_f32_u32_e32 v7, s16
	v_add_f32_e32 v0, v0, v6
	s_mov_b32 s23, 0x20000
	v_div_scale_f32 v6, s[0:1], v7, v7, v0
	v_rcp_f32_e32 v8, v6
	v_div_scale_f32 v9, vcc, v0, v7, v0
	s_mov_b32 s0, 0x800000
	v_fma_f32 v18, -v6, v8, 1.0
	v_fmac_f32_e32 v8, v18, v8
	v_mul_f32_e32 v18, v9, v8
	v_fma_f32 v19, -v6, v18, v9
	v_fmac_f32_e32 v18, v19, v8
	v_fma_f32 v6, -v6, v18, v9
	v_div_fmas_f32 v6, v6, v8, v18
	v_div_fixup_f32 v0, v6, v7, v0
	v_add_f32_e32 v0, s13, v0
	v_mul_f32_e32 v6, 0x4b800000, v0
	v_cmp_gt_f32_e32 vcc, s0, v0
	v_cndmask_b32_e32 v0, v0, v6, vcc
	v_rsq_f32_e32 v0, v0
	s_waitcnt vmcnt(0)
	v_cvt_f32_f16_sdwa v19, v5 dst_sel:DWORD dst_unused:UNUSED_PAD src0_sel:WORD_1
	v_cvt_f32_f16_e32 v18, v5
	s_mul_hi_i32 s1, s10, s6
	v_mul_f32_e32 v6, 0x45800000, v0
	v_cndmask_b32_e32 v6, v0, v6, vcc
	v_mov_b32_e32 v7, v6
	;;#ASMSTART
	v_pk_mul_f32 v[8:9], v[10:11], v[6:7]
	;;#ASMEND
	;;#ASMSTART
	v_pk_mul_f32 v[10:11], v[16:17], v[6:7]
	;;#ASMEND
	;; [unrolled: 3-line block ×4, first 2 shown]
	v_cvt_f32_f16_sdwa v13, v2 dst_sel:DWORD dst_unused:UNUSED_PAD src0_sel:WORD_1
	v_cvt_f32_f16_e32 v12, v2
	v_cvt_f32_f16_sdwa v17, v3 dst_sel:DWORD dst_unused:UNUSED_PAD src0_sel:WORD_1
	v_cvt_f32_f16_e32 v16, v3
	;; [unrolled: 2-line block ×3, first 2 shown]
	;;#ASMSTART
	v_pk_mul_f32 v[4:5], v[8:9], v[12:13]
	;;#ASMEND
	;;#ASMSTART
	v_pk_mul_f32 v[8:9], v[10:11], v[16:17]
	;;#ASMEND
	;; [unrolled: 3-line block ×4, first 2 shown]
	s_mul_i32 s0, s10, s6
	v_cvt_f16_f32_e32 v0, v4
	v_cvt_f16_f32_e32 v4, v5
	v_cvt_f16_f32_e32 v5, v8
	v_cvt_f16_f32_e32 v8, v9
	v_cvt_f16_f32_e32 v9, v2
	v_cvt_f16_f32_e32 v10, v3
	v_cvt_f16_f32_e32 v6, v6
	v_cvt_f16_f32_e32 v7, v7
	s_lshl_b64 s[0:1], s[0:1], 1
	s_add_u32 s20, s36, s0
	s_addc_u32 s0, s37, s1
	s_and_b32 s21, s0, 0xffff
	v_pack_b32_f16 v2, v0, v4
	v_pack_b32_f16 v3, v5, v8
	;; [unrolled: 1-line block ×4, first 2 shown]
	buffer_store_dwordx4 v[2:5], v1, s[20:23], 0 offen
	;;#ASMSTART
	s_nop 0
	;;#ASMEND
	s_endpgm
	.section	.rodata,"a",@progbits
	.p2align	6, 0x0
	.amdhsa_kernel _ZN5aiter35fused_qk_rmsnorm_group_quant_kernelIDF16_N4opus5fp4_tELi128ELi8ELi16ELb1ELb0ELb0ELb0ELb0ELb0EEEvPT0_PvPT_S7_S7_PKS6_S9_S9_S9_S9_ffiiiiiiiiiiiii
		.amdhsa_group_segment_fixed_size 16
		.amdhsa_private_segment_fixed_size 0
		.amdhsa_kernarg_size 400
		.amdhsa_user_sgpr_count 6
		.amdhsa_user_sgpr_private_segment_buffer 1
		.amdhsa_user_sgpr_dispatch_ptr 0
		.amdhsa_user_sgpr_queue_ptr 0
		.amdhsa_user_sgpr_kernarg_segment_ptr 1
		.amdhsa_user_sgpr_dispatch_id 0
		.amdhsa_user_sgpr_flat_scratch_init 0
		.amdhsa_user_sgpr_kernarg_preload_length 0
		.amdhsa_user_sgpr_kernarg_preload_offset 0
		.amdhsa_user_sgpr_private_segment_size 0
		.amdhsa_uses_dynamic_stack 0
		.amdhsa_system_sgpr_private_segment_wavefront_offset 0
		.amdhsa_system_sgpr_workgroup_id_x 1
		.amdhsa_system_sgpr_workgroup_id_y 1
		.amdhsa_system_sgpr_workgroup_id_z 0
		.amdhsa_system_sgpr_workgroup_info 0
		.amdhsa_system_vgpr_workitem_id 0
		.amdhsa_next_free_vgpr 27
		.amdhsa_next_free_sgpr 40
		.amdhsa_accum_offset 28
		.amdhsa_reserve_vcc 1
		.amdhsa_reserve_flat_scratch 0
		.amdhsa_float_round_mode_32 0
		.amdhsa_float_round_mode_16_64 0
		.amdhsa_float_denorm_mode_32 3
		.amdhsa_float_denorm_mode_16_64 3
		.amdhsa_dx10_clamp 1
		.amdhsa_ieee_mode 1
		.amdhsa_fp16_overflow 0
		.amdhsa_tg_split 0
		.amdhsa_exception_fp_ieee_invalid_op 0
		.amdhsa_exception_fp_denorm_src 0
		.amdhsa_exception_fp_ieee_div_zero 0
		.amdhsa_exception_fp_ieee_overflow 0
		.amdhsa_exception_fp_ieee_underflow 0
		.amdhsa_exception_fp_ieee_inexact 0
		.amdhsa_exception_int_div_zero 0
	.end_amdhsa_kernel
	.section	.text._ZN5aiter35fused_qk_rmsnorm_group_quant_kernelIDF16_N4opus5fp4_tELi128ELi8ELi16ELb1ELb0ELb0ELb0ELb0ELb0EEEvPT0_PvPT_S7_S7_PKS6_S9_S9_S9_S9_ffiiiiiiiiiiiii,"axG",@progbits,_ZN5aiter35fused_qk_rmsnorm_group_quant_kernelIDF16_N4opus5fp4_tELi128ELi8ELi16ELb1ELb0ELb0ELb0ELb0ELb0EEEvPT0_PvPT_S7_S7_PKS6_S9_S9_S9_S9_ffiiiiiiiiiiiii,comdat
.Lfunc_end343:
	.size	_ZN5aiter35fused_qk_rmsnorm_group_quant_kernelIDF16_N4opus5fp4_tELi128ELi8ELi16ELb1ELb0ELb0ELb0ELb0ELb0EEEvPT0_PvPT_S7_S7_PKS6_S9_S9_S9_S9_ffiiiiiiiiiiiii, .Lfunc_end343-_ZN5aiter35fused_qk_rmsnorm_group_quant_kernelIDF16_N4opus5fp4_tELi128ELi8ELi16ELb1ELb0ELb0ELb0ELb0ELb0EEEvPT0_PvPT_S7_S7_PKS6_S9_S9_S9_S9_ffiiiiiiiiiiiii
                                        ; -- End function
	.section	.AMDGPU.csdata,"",@progbits
; Kernel info:
; codeLenInByte = 2652
; NumSgprs: 44
; NumVgprs: 27
; NumAgprs: 0
; TotalNumVgprs: 27
; ScratchSize: 0
; MemoryBound: 0
; FloatMode: 240
; IeeeMode: 1
; LDSByteSize: 16 bytes/workgroup (compile time only)
; SGPRBlocks: 5
; VGPRBlocks: 3
; NumSGPRsForWavesPerEU: 44
; NumVGPRsForWavesPerEU: 27
; AccumOffset: 28
; Occupancy: 8
; WaveLimiterHint : 0
; COMPUTE_PGM_RSRC2:SCRATCH_EN: 0
; COMPUTE_PGM_RSRC2:USER_SGPR: 6
; COMPUTE_PGM_RSRC2:TRAP_HANDLER: 0
; COMPUTE_PGM_RSRC2:TGID_X_EN: 1
; COMPUTE_PGM_RSRC2:TGID_Y_EN: 1
; COMPUTE_PGM_RSRC2:TGID_Z_EN: 0
; COMPUTE_PGM_RSRC2:TIDIG_COMP_CNT: 0
; COMPUTE_PGM_RSRC3_GFX90A:ACCUM_OFFSET: 6
; COMPUTE_PGM_RSRC3_GFX90A:TG_SPLIT: 0
	.section	.text._ZN5aiter35fused_qk_rmsnorm_group_quant_kernelItN4opus5fp4_tELi128ELi8ELi16ELb1ELb0ELb0ELb0ELb0ELb0EEEvPT0_PvPT_S7_S7_PKS6_S9_S9_S9_S9_ffiiiiiiiiiiiii,"axG",@progbits,_ZN5aiter35fused_qk_rmsnorm_group_quant_kernelItN4opus5fp4_tELi128ELi8ELi16ELb1ELb0ELb0ELb0ELb0ELb0EEEvPT0_PvPT_S7_S7_PKS6_S9_S9_S9_S9_ffiiiiiiiiiiiii,comdat
	.protected	_ZN5aiter35fused_qk_rmsnorm_group_quant_kernelItN4opus5fp4_tELi128ELi8ELi16ELb1ELb0ELb0ELb0ELb0ELb0EEEvPT0_PvPT_S7_S7_PKS6_S9_S9_S9_S9_ffiiiiiiiiiiiii ; -- Begin function _ZN5aiter35fused_qk_rmsnorm_group_quant_kernelItN4opus5fp4_tELi128ELi8ELi16ELb1ELb0ELb0ELb0ELb0ELb0EEEvPT0_PvPT_S7_S7_PKS6_S9_S9_S9_S9_ffiiiiiiiiiiiii
	.globl	_ZN5aiter35fused_qk_rmsnorm_group_quant_kernelItN4opus5fp4_tELi128ELi8ELi16ELb1ELb0ELb0ELb0ELb0ELb0EEEvPT0_PvPT_S7_S7_PKS6_S9_S9_S9_S9_ffiiiiiiiiiiiii
	.p2align	8
	.type	_ZN5aiter35fused_qk_rmsnorm_group_quant_kernelItN4opus5fp4_tELi128ELi8ELi16ELb1ELb0ELb0ELb0ELb0ELb0EEEvPT0_PvPT_S7_S7_PKS6_S9_S9_S9_S9_ffiiiiiiiiiiiii,@function
_ZN5aiter35fused_qk_rmsnorm_group_quant_kernelItN4opus5fp4_tELi128ELi8ELi16ELb1ELb0ELb0ELb0ELb0ELb0EEEvPT0_PvPT_S7_S7_PKS6_S9_S9_S9_S9_ffiiiiiiiiiiiii: ; @_ZN5aiter35fused_qk_rmsnorm_group_quant_kernelItN4opus5fp4_tELi128ELi8ELi16ELb1ELb0ELb0ELb0ELb0ELb0EEEvPT0_PvPT_S7_S7_PKS6_S9_S9_S9_S9_ffiiiiiiiiiiiii
; %bb.0:
	s_load_dwordx8 s[12:19], s[4:5], 0x50
	s_waitcnt lgkmcnt(0)
	s_cmp_ge_i32 s6, s14
	s_cbranch_scc1 .LBB344_17
; %bb.1:
	s_cmp_lg_u32 s7, 0
	s_cselect_b64 s[22:23], -1, 0
	s_cmp_eq_u32 s7, 0
	s_cselect_b64 s[8:9], -1, 0
	s_and_b64 s[0:1], s[8:9], exec
	s_load_dwordx2 s[20:21], s[4:5], 0x48
	s_load_dwordx2 s[34:35], s[4:5], 0x30
	s_load_dwordx4 s[24:27], s[4:5], 0x70
	s_cselect_b32 s7, s15, s16
	s_add_i32 s0, s7, 1
	s_lshr_b32 s1, s0, 31
	s_add_i32 s0, s0, s1
	s_lshl_b32 s0, s0, 1
	v_lshlrev_b32_e32 v1, 3, v0
	s_and_b32 s30, s0, -4
	v_cmp_gt_i32_e64 s[0:1], s7, v1
	v_mov_b32_e32 v10, 0
	v_mov_b32_e32 v11, 0
	;; [unrolled: 1-line block ×8, first 2 shown]
	s_and_saveexec_b64 s[2:3], s[0:1]
	s_cbranch_execz .LBB344_3
; %bb.2:
	s_load_dwordx2 s[10:11], s[4:5], 0x28
	s_load_dwordx2 s[28:29], s[4:5], 0x40
	s_and_b64 s[36:37], s[8:9], exec
	s_cselect_b32 s14, s17, s18
	s_mov_b32 s31, 0x20000
	s_waitcnt lgkmcnt(0)
	s_cselect_b32 s17, s11, s35
	s_cselect_b32 s27, s10, s34
	s_mul_hi_i32 s11, s14, s6
	s_mul_i32 s10, s14, s6
	s_lshl_b64 s[10:11], s[10:11], 1
	s_add_u32 s36, s27, s10
	s_addc_u32 s14, s17, s11
	s_and_b64 s[10:11], s[8:9], exec
	s_cselect_b32 s28, s28, s20
	s_cselect_b32 s10, s29, s21
	v_lshlrev_b32_e32 v2, 4, v0
	s_and_b32 s37, s14, 0xffff
	s_mov_b32 s38, s30
	s_mov_b32 s39, s31
	s_and_b32 s29, s10, 0xffff
	buffer_load_dwordx4 v[14:17], v2, s[36:39], 0 offen glc slc
	buffer_load_dwordx4 v[10:13], v2, s[28:31], 0 offen
.LBB344_3:
	s_or_b64 exec, exec, s[2:3]
	s_load_dwordx2 s[10:11], s[4:5], 0x80
	s_and_b64 vcc, exec, s[22:23]
	s_cbranch_vccz .LBB344_7
; %bb.4:
	s_mov_b32 s36, 0
	s_mov_b32 s37, s36
	;; [unrolled: 1-line block ×8, first 2 shown]
	v_pk_mov_b32 v[2:3], s[36:37], s[36:37] op_sel:[0,1]
	v_pk_mov_b32 v[4:5], s[38:39], s[38:39] op_sel:[0,1]
	v_pk_mov_b32 v[6:7], s[40:41], s[40:41] op_sel:[0,1]
	v_pk_mov_b32 v[8:9], s[42:43], s[42:43] op_sel:[0,1]
	s_and_saveexec_b64 s[2:3], s[0:1]
	s_cbranch_execz .LBB344_6
; %bb.5:
	s_waitcnt vmcnt(1)
	v_cvt_f32_u32_sdwa v3, v14 dst_sel:DWORD dst_unused:UNUSED_PAD src0_sel:WORD_1
	v_cvt_f32_u32_sdwa v2, v14 dst_sel:DWORD dst_unused:UNUSED_PAD src0_sel:WORD_0
	v_cvt_f32_u32_sdwa v5, v15 dst_sel:DWORD dst_unused:UNUSED_PAD src0_sel:WORD_1
	v_cvt_f32_u32_sdwa v4, v15 dst_sel:DWORD dst_unused:UNUSED_PAD src0_sel:WORD_0
	v_cvt_f32_u32_sdwa v7, v16 dst_sel:DWORD dst_unused:UNUSED_PAD src0_sel:WORD_1
	v_cvt_f32_u32_sdwa v6, v16 dst_sel:DWORD dst_unused:UNUSED_PAD src0_sel:WORD_0
	v_cvt_f32_u32_sdwa v9, v17 dst_sel:DWORD dst_unused:UNUSED_PAD src0_sel:WORD_1
	v_cvt_f32_u32_sdwa v8, v17 dst_sel:DWORD dst_unused:UNUSED_PAD src0_sel:WORD_0
.LBB344_6:
	s_or_b64 exec, exec, s[2:3]
	s_cbranch_execz .LBB344_8
	s_branch .LBB344_11
.LBB344_7:
                                        ; implicit-def: $vgpr2_vgpr3_vgpr4_vgpr5_vgpr6_vgpr7_vgpr8_vgpr9
.LBB344_8:
	s_mov_b32 s36, 0
	s_mov_b32 s37, s36
	;; [unrolled: 1-line block ×8, first 2 shown]
	v_pk_mov_b32 v[2:3], s[36:37], s[36:37] op_sel:[0,1]
	v_pk_mov_b32 v[4:5], s[38:39], s[38:39] op_sel:[0,1]
	;; [unrolled: 1-line block ×4, first 2 shown]
	s_and_saveexec_b64 s[2:3], s[0:1]
	s_cbranch_execz .LBB344_10
; %bb.9:
	s_load_dwordx2 s[28:29], s[4:5], 0x38
	s_mul_hi_i32 s37, s19, s6
	s_mul_i32 s36, s19, s6
	s_lshl_b64 s[36:37], s[36:37], 1
	s_mov_b32 s31, 0x20000
	s_waitcnt lgkmcnt(0)
	s_add_u32 s28, s28, s36
	s_addc_u32 s14, s29, s37
	s_and_b32 s29, s14, 0xffff
	v_lshlrev_b32_e32 v26, 4, v0
	buffer_load_dwordx4 v[2:5], v26, s[28:31], 0 offen glc slc
	s_load_dwordx2 s[28:29], s[4:5], 0x20
	s_waitcnt vmcnt(2)
	v_cvt_f32_u32_sdwa v7, v14 dst_sel:DWORD dst_unused:UNUSED_PAD src0_sel:WORD_1
	v_cvt_f32_u32_sdwa v6, v14 dst_sel:DWORD dst_unused:UNUSED_PAD src0_sel:WORD_0
	v_cvt_f32_u32_sdwa v9, v15 dst_sel:DWORD dst_unused:UNUSED_PAD src0_sel:WORD_1
	v_cvt_f32_u32_sdwa v8, v15 dst_sel:DWORD dst_unused:UNUSED_PAD src0_sel:WORD_0
	;; [unrolled: 2-line block ×4, first 2 shown]
	s_mul_hi_i32 s37, s11, s6
	s_mul_i32 s36, s11, s6
	s_lshl_b64 s[36:37], s[36:37], 1
	s_waitcnt lgkmcnt(0)
	s_add_u32 s28, s28, s36
	s_mov_b32 s11, 0x7060302
	s_addc_u32 s14, s29, s37
	s_and_b32 s29, s14, 0xffff
	s_waitcnt vmcnt(0)
	v_cvt_f32_u32_sdwa v17, v2 dst_sel:DWORD dst_unused:UNUSED_PAD src0_sel:WORD_1
	v_cvt_f32_u32_sdwa v16, v2 dst_sel:DWORD dst_unused:UNUSED_PAD src0_sel:WORD_0
	v_cvt_f32_u32_sdwa v21, v3 dst_sel:DWORD dst_unused:UNUSED_PAD src0_sel:WORD_1
	v_cvt_f32_u32_sdwa v20, v3 dst_sel:DWORD dst_unused:UNUSED_PAD src0_sel:WORD_0
	;; [unrolled: 2-line block ×4, first 2 shown]
	v_pk_add_f32 v[2:3], v[6:7], v[16:17]
	v_pk_add_f32 v[4:5], v[8:9], v[20:21]
	v_pk_add_f32 v[6:7], v[14:15], v[22:23]
	v_pk_add_f32 v[8:9], v[18:19], v[24:25]
	v_perm_b32 v17, v9, v8, s11
	v_perm_b32 v16, v7, v6, s11
	;; [unrolled: 1-line block ×4, first 2 shown]
	buffer_store_dwordx4 v[14:17], v26, s[28:31], 0 offen glc slc
	;;#ASMSTART
	s_nop 0
	;;#ASMEND
.LBB344_10:
	s_or_b64 exec, exec, s[2:3]
.LBB344_11:
	s_waitcnt vmcnt(1)
	v_mul_f32_e32 v14, v3, v3
	v_fmac_f32_e32 v14, v2, v2
	v_fmac_f32_e32 v14, v4, v4
	;; [unrolled: 1-line block ×7, first 2 shown]
	v_and_b32_e32 v16, 63, v0
	v_cmp_eq_u32_e64 s[2:3], 63, v16
	v_mov_b32_dpp v15, v14 quad_perm:[1,0,3,2] row_mask:0xf bank_mask:0xf
	v_add_f32_e32 v14, v14, v15
	s_nop 1
	v_mov_b32_dpp v15, v14 quad_perm:[2,3,0,1] row_mask:0xf bank_mask:0xf
	v_add_f32_e32 v14, v14, v15
	s_nop 1
	v_mov_b32_dpp v15, v14 row_half_mirror row_mask:0xf bank_mask:0xf
	v_add_f32_e32 v14, v14, v15
	s_nop 1
	v_mov_b32_dpp v15, v14 row_mirror row_mask:0xf bank_mask:0xf
	v_add_f32_e32 v14, v14, v15
	s_nop 1
	v_mov_b32_dpp v15, v14 row_bcast:15 row_mask:0xf bank_mask:0xf
	v_add_f32_e32 v14, v14, v15
	s_nop 1
	v_mov_b32_dpp v15, v14 row_bcast:31 row_mask:0xf bank_mask:0xf
	s_and_saveexec_b64 s[28:29], s[2:3]
	s_cbranch_execz .LBB344_13
; %bb.12:
	v_add_f32_e32 v14, v14, v15
	v_lshrrev_b32_e32 v15, 4, v0
	v_and_b32_e32 v15, 60, v15
	ds_write_b32 v15, v14 offset:8
.LBB344_13:
	s_or_b64 exec, exec, s[28:29]
	v_and_b32_e32 v14, 1, v0
	v_lshlrev_b32_e32 v14, 2, v14
	s_waitcnt lgkmcnt(0)
	s_barrier
	ds_read_b32 v15, v14 offset:8
	s_load_dwordx2 s[36:37], s[4:5], 0x18
	s_waitcnt lgkmcnt(0)
	v_mov_b32_dpp v16, v15 quad_perm:[1,0,3,2] row_mask:0xf bank_mask:0xf
	s_and_saveexec_b64 s[28:29], s[0:1]
	s_cbranch_execnz .LBB344_18
; %bb.14:
	s_or_b64 exec, exec, s[28:29]
	s_mov_b64 s[8:9], -1
	s_and_b64 vcc, exec, s[22:23]
	s_cbranch_vccnz .LBB344_19
.LBB344_15:
	s_andn2_b64 vcc, exec, s[8:9]
	s_cbranch_vccz .LBB344_22
.LBB344_16:
	s_cmp_lt_i32 s16, 1
	s_cbranch_scc0 .LBB344_29
.LBB344_17:
	s_endpgm
.LBB344_18:
	v_cvt_f32_u32_e32 v17, s7
	v_add_f32_e32 v15, v15, v16
	v_mov_b32_e32 v19, s13
	v_mov_b32_e32 v20, s12
	v_div_scale_f32 v16, s[38:39], v17, v17, v15
	v_rcp_f32_e32 v18, v16
	v_cndmask_b32_e64 v19, v19, v20, s[8:9]
	s_mov_b32 s7, 0x800000
	v_fma_f32 v20, -v16, v18, 1.0
	v_fmac_f32_e32 v18, v20, v18
	v_div_scale_f32 v20, vcc, v15, v17, v15
	v_mul_f32_e32 v21, v20, v18
	v_fma_f32 v22, -v16, v21, v20
	v_fmac_f32_e32 v21, v22, v18
	v_fma_f32 v16, -v16, v21, v20
	v_div_fmas_f32 v16, v16, v18, v21
	v_div_fixup_f32 v15, v16, v17, v15
	v_add_f32_e32 v15, v19, v15
	v_mul_f32_e32 v16, 0x4b800000, v15
	v_cmp_gt_f32_e32 vcc, s7, v15
	v_cndmask_b32_e32 v15, v15, v16, vcc
	v_rsq_f32_e32 v15, v15
	s_waitcnt vmcnt(0)
	v_cvt_f32_u32_sdwa v19, v11 dst_sel:DWORD dst_unused:UNUSED_PAD src0_sel:WORD_1
	v_cvt_f32_u32_sdwa v18, v11 dst_sel:DWORD dst_unused:UNUSED_PAD src0_sel:WORD_0
	v_cvt_f32_u32_sdwa v11, v12 dst_sel:DWORD dst_unused:UNUSED_PAD src0_sel:WORD_1
	v_mul_f32_e32 v16, 0x45800000, v15
	v_cndmask_b32_e32 v16, v15, v16, vcc
	v_mov_b32_e32 v17, v16
	;;#ASMSTART
	v_pk_mul_f32 v[2:3], v[2:3], v[16:17]
	;;#ASMEND
	;;#ASMSTART
	v_pk_mul_f32 v[4:5], v[4:5], v[16:17]
	;;#ASMEND
	;; [unrolled: 3-line block ×4, first 2 shown]
	v_cvt_f32_u32_sdwa v17, v10 dst_sel:DWORD dst_unused:UNUSED_PAD src0_sel:WORD_1
	v_cvt_f32_u32_sdwa v16, v10 dst_sel:DWORD dst_unused:UNUSED_PAD src0_sel:WORD_0
	v_cvt_f32_u32_sdwa v10, v12 dst_sel:DWORD dst_unused:UNUSED_PAD src0_sel:WORD_0
	v_cvt_f32_u32_sdwa v21, v13 dst_sel:DWORD dst_unused:UNUSED_PAD src0_sel:WORD_1
	v_cvt_f32_u32_sdwa v20, v13 dst_sel:DWORD dst_unused:UNUSED_PAD src0_sel:WORD_0
	;;#ASMSTART
	v_pk_mul_f32 v[2:3], v[2:3], v[16:17]
	;;#ASMEND
	;;#ASMSTART
	v_pk_mul_f32 v[4:5], v[4:5], v[18:19]
	;;#ASMEND
	;; [unrolled: 3-line block ×4, first 2 shown]
	s_or_b64 exec, exec, s[28:29]
	s_mov_b64 s[8:9], -1
	s_and_b64 vcc, exec, s[22:23]
	s_cbranch_vccz .LBB344_15
.LBB344_19:
	s_and_saveexec_b64 s[8:9], s[0:1]
	s_cbranch_execz .LBB344_21
; %bb.20:
	s_mul_hi_i32 s23, s10, s6
	s_mul_i32 s22, s10, s6
	s_lshl_b64 s[22:23], s[22:23], 1
	s_add_u32 s28, s36, s22
	s_addc_u32 s7, s37, s23
	s_and_b32 s29, s7, 0xffff
	s_mov_b32 s7, 0x7060302
	s_mov_b32 s31, 0x20000
	s_waitcnt vmcnt(0)
	v_perm_b32 v10, v3, v2, s7
	v_perm_b32 v11, v5, v4, s7
	;; [unrolled: 1-line block ×4, first 2 shown]
	v_lshlrev_b32_e32 v15, 4, v0
	buffer_store_dwordx4 v[10:13], v15, s[28:31], 0 offen
	;;#ASMSTART
	s_nop 0
	;;#ASMEND
.LBB344_21:
	s_or_b64 exec, exec, s[8:9]
	s_cbranch_execnz .LBB344_16
.LBB344_22:
	s_waitcnt vmcnt(0)
	v_mov_b32_e32 v10, 0
	s_and_saveexec_b64 s[8:9], s[0:1]
	s_cbranch_execz .LBB344_24
; %bb.23:
	v_and_b32_e32 v2, 0x7fffffff, v2
	v_and_b32_e32 v3, 0x7fffffff, v3
	v_mov_b32_e32 v10, 0x2edbe6ff
	;;#ASMSTART
	v_max3_f32 v2, v10, v2, v3

	;;#ASMEND
	v_and_b32_e32 v3, 0x7fffffff, v4
	v_and_b32_e32 v4, 0x7fffffff, v5
	;;#ASMSTART
	v_max3_f32 v2, v2, v3, v4

	;;#ASMEND
	v_and_b32_e32 v3, 0x7fffffff, v6
	v_and_b32_e32 v4, 0x7fffffff, v7
	;; [unrolled: 6-line block ×3, first 2 shown]
	;;#ASMSTART
	v_max3_f32 v10, v2, v3, v4

	;;#ASMEND
.LBB344_24:
	s_or_b64 exec, exec, s[8:9]
	;;#ASMSTART
	v_max_f32 v2, v10, v10 quad_perm:[1,0,3,2] row_mask:0xf bank_mask:0xf bound_ctrl:1
	;;#ASMEND
	;;#ASMSTART
	v_max_f32 v3, v2, v2 quad_perm:[2,3,0,1] row_mask:0xf bank_mask:0xf bound_ctrl:1
	;;#ASMEND
	;;#ASMSTART
	v_max_f32 v4, v3, v3 row_half_mirror row_mask:0xf bank_mask:0xf bound_ctrl:1
	;;#ASMEND
	v_and_b32_e32 v3, 15, v0
	v_cmp_eq_u32_e32 vcc, 0, v3
	v_cmp_gt_i32_e64 s[8:9], s15, v1
	s_and_b64 s[22:23], vcc, s[8:9]
	;;#ASMSTART
	v_max_f32 v2, v4, v4 row_mirror row_mask:0xf bank_mask:0xf bound_ctrl:1
	;;#ASMEND
	s_and_saveexec_b64 s[8:9], s[22:23]
	s_cbranch_execz .LBB344_26
; %bb.25:
	s_load_dwordx2 s[22:23], s[4:5], 0x8
	v_mul_f32_e32 v2, 0x3e2aaaab, v2
	v_lshrrev_b32_e32 v3, 23, v2
	v_and_b32_e32 v4, 0x7f800000, v2
	v_and_b32_e32 v2, 0x7fffff, v2
	v_cmp_ne_u32_e32 vcc, 0, v2
	s_mul_i32 s12, s25, s6
	s_mov_b32 s7, 0x7f800000
	v_addc_co_u32_e32 v2, vcc, 0, v3, vcc
	s_mul_hi_i32 s11, s25, s6
	s_waitcnt lgkmcnt(0)
	s_add_u32 s22, s22, s12
	v_cmp_ne_u32_e32 vcc, s7, v4
	s_addc_u32 s23, s23, s11
	v_lshrrev_b32_e32 v5, 4, v0
	v_cndmask_b32_e32 v4, -1, v2, vcc
	v_pk_mov_b32 v[2:3], s[22:23], s[22:23] op_sel:[0,1]
	v_mad_i64_i32 v[2:3], s[22:23], s26, v5, v[2:3]
	global_store_byte v[2:3], v4, off
.LBB344_26:
	s_or_b64 exec, exec, s[8:9]
	s_and_saveexec_b64 s[8:9], s[0:1]
	s_cbranch_execz .LBB344_28
; %bb.27:
	s_load_dwordx2 s[0:1], s[4:5], 0x0
	s_mul_i32 s11, s24, s6
	s_mul_hi_i32 s7, s24, s6
	v_lshlrev_b32_e32 v2, 2, v0
	s_mov_b32 s27, 0x20000
	s_waitcnt lgkmcnt(0)
	s_add_u32 s24, s0, s11
	s_addc_u32 s0, s1, s7
	s_lshr_b32 s1, s15, 31
	s_add_i32 s1, s15, s1
	s_ashr_i32 s1, s1, 1
	s_add_i32 s1, s1, 3
	s_ashr_i32 s7, s1, 31
	s_lshr_b32 s7, s7, 30
	s_add_i32 s1, s1, s7
	s_and_b32 s26, s1, -4
	s_and_b32 s25, s0, 0xffff
	v_mov_b32_e32 v3, 0
	buffer_store_dword v3, v2, s[24:27], 0 offen
	;;#ASMSTART
	s_nop 0
	;;#ASMEND
.LBB344_28:
	s_or_b64 exec, exec, s[8:9]
	s_cmp_lt_i32 s16, 1
	s_cbranch_scc1 .LBB344_17
.LBB344_29:
	s_load_dword s0, s[4:5], 0x94
	s_waitcnt lgkmcnt(0)
	s_cmp_lg_u32 s0, 1
	s_cbranch_scc1 .LBB344_17
; %bb.30:
	s_lshl_b32 s0, s16, 1
	s_add_i32 s0, s0, 2
	v_cmp_gt_u32_e32 vcc, s16, v1
	s_and_b32 s22, s0, -4
	v_mov_b32_e32 v6, 0
	v_lshlrev_b32_e32 v1, 4, v0
	v_mov_b32_e32 v7, 0
	v_mov_b32_e32 v8, 0
	v_mov_b32_e32 v9, 0
	v_mov_b32_e32 v2, 0
	v_mov_b32_e32 v3, 0
	v_mov_b32_e32 v4, 0
	v_mov_b32_e32 v5, 0
	s_barrier
	s_and_saveexec_b64 s[0:1], vcc
	s_cbranch_execz .LBB344_32
; %bb.31:
	s_mul_hi_i32 s5, s18, s6
	s_mul_i32 s4, s18, s6
	s_and_b32 s21, s21, 0xffff
	s_lshl_b64 s[4:5], s[4:5], 1
	s_add_u32 s24, s34, s4
	s_mov_b32 s23, 0x20000
	s_addc_u32 s4, s35, s5
	s_and_b32 s25, s4, 0xffff
	s_mov_b32 s26, s22
	s_mov_b32 s27, s23
	buffer_load_dwordx4 v[6:9], v1, s[24:27], 0 offen glc slc
	buffer_load_dwordx4 v[2:5], v1, s[20:23], 0 offen
.LBB344_32:
	s_or_b64 exec, exec, s[0:1]
	s_waitcnt vmcnt(0)
	v_cvt_f32_u32_sdwa v13, v6 dst_sel:DWORD dst_unused:UNUSED_PAD src0_sel:WORD_1
	v_cvt_f32_u32_sdwa v12, v6 dst_sel:DWORD dst_unused:UNUSED_PAD src0_sel:WORD_0
	v_cvt_f32_u32_sdwa v6, v9 dst_sel:DWORD dst_unused:UNUSED_PAD src0_sel:WORD_1
	v_cvt_f32_u32_sdwa v9, v9 dst_sel:DWORD dst_unused:UNUSED_PAD src0_sel:WORD_0
	;; [unrolled: 2-line block ×4, first 2 shown]
	v_cndmask_b32_e32 v13, 0, v13, vcc
	v_cndmask_b32_e32 v7, 0, v6, vcc
	;; [unrolled: 1-line block ×5, first 2 shown]
	v_mul_f32_e32 v15, v13, v13
	v_cndmask_b32_e32 v10, 0, v10, vcc
	v_fmac_f32_e32 v15, v12, v12
	v_cndmask_b32_e32 v11, 0, v11, vcc
	v_fmac_f32_e32 v15, v10, v10
	;; [unrolled: 2-line block ×3, first 2 shown]
	v_fmac_f32_e32 v15, v8, v8
	v_fmac_f32_e32 v15, v9, v9
	;; [unrolled: 1-line block ×4, first 2 shown]
	s_nop 1
	v_mov_b32_dpp v16, v15 quad_perm:[1,0,3,2] row_mask:0xf bank_mask:0xf
	v_add_f32_e32 v15, v15, v16
	s_nop 1
	v_mov_b32_dpp v16, v15 quad_perm:[2,3,0,1] row_mask:0xf bank_mask:0xf
	v_add_f32_e32 v15, v15, v16
	s_nop 1
	v_mov_b32_dpp v16, v15 row_half_mirror row_mask:0xf bank_mask:0xf
	v_add_f32_e32 v15, v15, v16
	s_nop 1
	v_mov_b32_dpp v16, v15 row_mirror row_mask:0xf bank_mask:0xf
	v_add_f32_e32 v15, v15, v16
	s_nop 1
	v_mov_b32_dpp v16, v15 row_bcast:15 row_mask:0xf bank_mask:0xf
	v_add_f32_e32 v15, v15, v16
	s_nop 1
	v_mov_b32_dpp v16, v15 row_bcast:31 row_mask:0xf bank_mask:0xf
	s_and_saveexec_b64 s[0:1], s[2:3]
	s_cbranch_execz .LBB344_34
; %bb.33:
	v_lshrrev_b32_e32 v0, 4, v0
	v_add_f32_e32 v15, v15, v16
	v_and_b32_e32 v0, 60, v0
	ds_write_b32 v0, v15
.LBB344_34:
	s_or_b64 exec, exec, s[0:1]
	s_waitcnt lgkmcnt(0)
	s_barrier
	ds_read_b32 v0, v14
	s_waitcnt lgkmcnt(0)
	s_nop 0
	v_mov_b32_dpp v14, v0 quad_perm:[1,0,3,2] row_mask:0xf bank_mask:0xf
	s_and_saveexec_b64 s[0:1], vcc
	s_cbranch_execz .LBB344_17
; %bb.35:
	v_cvt_f32_u32_e32 v15, s16
	v_add_f32_e32 v0, v0, v14
	s_mov_b32 s23, 0x20000
	v_div_scale_f32 v14, s[0:1], v15, v15, v0
	v_rcp_f32_e32 v16, v14
	v_div_scale_f32 v17, vcc, v0, v15, v0
	s_mov_b32 s0, 0x800000
	v_fma_f32 v18, -v14, v16, 1.0
	v_fmac_f32_e32 v16, v18, v16
	v_mul_f32_e32 v18, v17, v16
	v_fma_f32 v19, -v14, v18, v17
	v_fmac_f32_e32 v18, v19, v16
	v_fma_f32 v14, -v14, v18, v17
	v_div_fmas_f32 v14, v14, v16, v18
	v_div_fixup_f32 v0, v14, v15, v0
	v_add_f32_e32 v0, s13, v0
	v_mul_f32_e32 v14, 0x4b800000, v0
	v_cmp_gt_f32_e32 vcc, s0, v0
	v_cndmask_b32_e32 v0, v0, v14, vcc
	v_rsq_f32_e32 v0, v0
	s_mul_hi_i32 s1, s10, s6
	s_mul_i32 s0, s10, s6
	s_lshl_b64 s[0:1], s[0:1], 1
	v_mul_f32_e32 v14, 0x45800000, v0
	v_cndmask_b32_e32 v14, v0, v14, vcc
	s_add_u32 s20, s36, s0
	v_mov_b32_e32 v15, v14
	s_addc_u32 s0, s37, s1
	;;#ASMSTART
	v_pk_mul_f32 v[12:13], v[12:13], v[14:15]
	;;#ASMEND
	;;#ASMSTART
	v_pk_mul_f32 v[10:11], v[10:11], v[14:15]
	;;#ASMEND
	;; [unrolled: 3-line block ×4, first 2 shown]
	v_cvt_f32_u32_sdwa v15, v2 dst_sel:DWORD dst_unused:UNUSED_PAD src0_sel:WORD_1
	v_cvt_f32_u32_sdwa v14, v2 dst_sel:DWORD dst_unused:UNUSED_PAD src0_sel:WORD_0
	v_cvt_f32_u32_sdwa v17, v3 dst_sel:DWORD dst_unused:UNUSED_PAD src0_sel:WORD_1
	v_cvt_f32_u32_sdwa v16, v3 dst_sel:DWORD dst_unused:UNUSED_PAD src0_sel:WORD_0
	;; [unrolled: 2-line block ×4, first 2 shown]
	;;#ASMSTART
	v_pk_mul_f32 v[4:5], v[12:13], v[14:15]
	;;#ASMEND
	s_and_b32 s21, s0, 0xffff
	s_mov_b32 s0, 0x7060302
	;;#ASMSTART
	v_pk_mul_f32 v[10:11], v[10:11], v[16:17]
	;;#ASMEND
	;;#ASMSTART
	v_pk_mul_f32 v[8:9], v[8:9], v[2:3]
	;;#ASMEND
	;; [unrolled: 3-line block ×3, first 2 shown]
	v_perm_b32 v2, v5, v4, s0
	v_perm_b32 v3, v11, v10, s0
	;; [unrolled: 1-line block ×4, first 2 shown]
	buffer_store_dwordx4 v[2:5], v1, s[20:23], 0 offen
	;;#ASMSTART
	s_nop 0
	;;#ASMEND
	s_endpgm
	.section	.rodata,"a",@progbits
	.p2align	6, 0x0
	.amdhsa_kernel _ZN5aiter35fused_qk_rmsnorm_group_quant_kernelItN4opus5fp4_tELi128ELi8ELi16ELb1ELb0ELb0ELb0ELb0ELb0EEEvPT0_PvPT_S7_S7_PKS6_S9_S9_S9_S9_ffiiiiiiiiiiiii
		.amdhsa_group_segment_fixed_size 16
		.amdhsa_private_segment_fixed_size 0
		.amdhsa_kernarg_size 400
		.amdhsa_user_sgpr_count 6
		.amdhsa_user_sgpr_private_segment_buffer 1
		.amdhsa_user_sgpr_dispatch_ptr 0
		.amdhsa_user_sgpr_queue_ptr 0
		.amdhsa_user_sgpr_kernarg_segment_ptr 1
		.amdhsa_user_sgpr_dispatch_id 0
		.amdhsa_user_sgpr_flat_scratch_init 0
		.amdhsa_user_sgpr_kernarg_preload_length 0
		.amdhsa_user_sgpr_kernarg_preload_offset 0
		.amdhsa_user_sgpr_private_segment_size 0
		.amdhsa_uses_dynamic_stack 0
		.amdhsa_system_sgpr_private_segment_wavefront_offset 0
		.amdhsa_system_sgpr_workgroup_id_x 1
		.amdhsa_system_sgpr_workgroup_id_y 1
		.amdhsa_system_sgpr_workgroup_id_z 0
		.amdhsa_system_sgpr_workgroup_info 0
		.amdhsa_system_vgpr_workitem_id 0
		.amdhsa_next_free_vgpr 27
		.amdhsa_next_free_sgpr 44
		.amdhsa_accum_offset 28
		.amdhsa_reserve_vcc 1
		.amdhsa_reserve_flat_scratch 0
		.amdhsa_float_round_mode_32 0
		.amdhsa_float_round_mode_16_64 0
		.amdhsa_float_denorm_mode_32 3
		.amdhsa_float_denorm_mode_16_64 3
		.amdhsa_dx10_clamp 1
		.amdhsa_ieee_mode 1
		.amdhsa_fp16_overflow 0
		.amdhsa_tg_split 0
		.amdhsa_exception_fp_ieee_invalid_op 0
		.amdhsa_exception_fp_denorm_src 0
		.amdhsa_exception_fp_ieee_div_zero 0
		.amdhsa_exception_fp_ieee_overflow 0
		.amdhsa_exception_fp_ieee_underflow 0
		.amdhsa_exception_fp_ieee_inexact 0
		.amdhsa_exception_int_div_zero 0
	.end_amdhsa_kernel
	.section	.text._ZN5aiter35fused_qk_rmsnorm_group_quant_kernelItN4opus5fp4_tELi128ELi8ELi16ELb1ELb0ELb0ELb0ELb0ELb0EEEvPT0_PvPT_S7_S7_PKS6_S9_S9_S9_S9_ffiiiiiiiiiiiii,"axG",@progbits,_ZN5aiter35fused_qk_rmsnorm_group_quant_kernelItN4opus5fp4_tELi128ELi8ELi16ELb1ELb0ELb0ELb0ELb0ELb0EEEvPT0_PvPT_S7_S7_PKS6_S9_S9_S9_S9_ffiiiiiiiiiiiii,comdat
.Lfunc_end344:
	.size	_ZN5aiter35fused_qk_rmsnorm_group_quant_kernelItN4opus5fp4_tELi128ELi8ELi16ELb1ELb0ELb0ELb0ELb0ELb0EEEvPT0_PvPT_S7_S7_PKS6_S9_S9_S9_S9_ffiiiiiiiiiiiii, .Lfunc_end344-_ZN5aiter35fused_qk_rmsnorm_group_quant_kernelItN4opus5fp4_tELi128ELi8ELi16ELb1ELb0ELb0ELb0ELb0ELb0EEEvPT0_PvPT_S7_S7_PKS6_S9_S9_S9_S9_ffiiiiiiiiiiiii
                                        ; -- End function
	.section	.AMDGPU.csdata,"",@progbits
; Kernel info:
; codeLenInByte = 2716
; NumSgprs: 48
; NumVgprs: 27
; NumAgprs: 0
; TotalNumVgprs: 27
; ScratchSize: 0
; MemoryBound: 0
; FloatMode: 240
; IeeeMode: 1
; LDSByteSize: 16 bytes/workgroup (compile time only)
; SGPRBlocks: 5
; VGPRBlocks: 3
; NumSGPRsForWavesPerEU: 48
; NumVGPRsForWavesPerEU: 27
; AccumOffset: 28
; Occupancy: 8
; WaveLimiterHint : 0
; COMPUTE_PGM_RSRC2:SCRATCH_EN: 0
; COMPUTE_PGM_RSRC2:USER_SGPR: 6
; COMPUTE_PGM_RSRC2:TRAP_HANDLER: 0
; COMPUTE_PGM_RSRC2:TGID_X_EN: 1
; COMPUTE_PGM_RSRC2:TGID_Y_EN: 1
; COMPUTE_PGM_RSRC2:TGID_Z_EN: 0
; COMPUTE_PGM_RSRC2:TIDIG_COMP_CNT: 0
; COMPUTE_PGM_RSRC3_GFX90A:ACCUM_OFFSET: 6
; COMPUTE_PGM_RSRC3_GFX90A:TG_SPLIT: 0
	.section	.text._ZN5aiter35fused_qk_rmsnorm_group_quant_kernelIDF16_DB8_Li128ELi8ELi16ELb0ELb1ELb1ELb0ELb0ELb0EEEvPT0_PvPT_S6_S6_PKS5_S8_S8_S8_S8_ffiiiiiiiiiiiii,"axG",@progbits,_ZN5aiter35fused_qk_rmsnorm_group_quant_kernelIDF16_DB8_Li128ELi8ELi16ELb0ELb1ELb1ELb0ELb0ELb0EEEvPT0_PvPT_S6_S6_PKS5_S8_S8_S8_S8_ffiiiiiiiiiiiii,comdat
	.protected	_ZN5aiter35fused_qk_rmsnorm_group_quant_kernelIDF16_DB8_Li128ELi8ELi16ELb0ELb1ELb1ELb0ELb0ELb0EEEvPT0_PvPT_S6_S6_PKS5_S8_S8_S8_S8_ffiiiiiiiiiiiii ; -- Begin function _ZN5aiter35fused_qk_rmsnorm_group_quant_kernelIDF16_DB8_Li128ELi8ELi16ELb0ELb1ELb1ELb0ELb0ELb0EEEvPT0_PvPT_S6_S6_PKS5_S8_S8_S8_S8_ffiiiiiiiiiiiii
	.globl	_ZN5aiter35fused_qk_rmsnorm_group_quant_kernelIDF16_DB8_Li128ELi8ELi16ELb0ELb1ELb1ELb0ELb0ELb0EEEvPT0_PvPT_S6_S6_PKS5_S8_S8_S8_S8_ffiiiiiiiiiiiii
	.p2align	8
	.type	_ZN5aiter35fused_qk_rmsnorm_group_quant_kernelIDF16_DB8_Li128ELi8ELi16ELb0ELb1ELb1ELb0ELb0ELb0EEEvPT0_PvPT_S6_S6_PKS5_S8_S8_S8_S8_ffiiiiiiiiiiiii,@function
_ZN5aiter35fused_qk_rmsnorm_group_quant_kernelIDF16_DB8_Li128ELi8ELi16ELb0ELb1ELb1ELb0ELb0ELb0EEEvPT0_PvPT_S6_S6_PKS5_S8_S8_S8_S8_ffiiiiiiiiiiiii: ; @_ZN5aiter35fused_qk_rmsnorm_group_quant_kernelIDF16_DB8_Li128ELi8ELi16ELb0ELb1ELb1ELb0ELb0ELb0EEEvPT0_PvPT_S6_S6_PKS5_S8_S8_S8_S8_ffiiiiiiiiiiiii
; %bb.0:
	s_load_dwordx4 s[16:19], s[4:5], 0x50
	s_waitcnt lgkmcnt(0)
	s_cmp_ge_i32 s6, s18
	s_cbranch_scc1 .LBB345_12
; %bb.1:
	s_load_dwordx2 s[12:13], s[4:5], 0x48
	s_load_dwordx2 s[30:31], s[4:5], 0x30
	s_load_dwordx4 s[20:23], s[4:5], 0x60
	s_cmp_lg_u32 s7, 0
	s_cselect_b64 s[14:15], -1, 0
	s_cmp_eq_u32 s7, 0
	s_cselect_b64 vcc, -1, 0
	s_and_b64 s[0:1], vcc, exec
	s_waitcnt lgkmcnt(0)
	s_cselect_b32 s7, s19, s20
	s_add_i32 s0, s7, 1
	s_lshr_b32 s1, s0, 31
	s_add_i32 s0, s0, s1
	s_lshl_b32 s0, s0, 1
	v_lshlrev_b32_e32 v1, 3, v0
	s_and_b32 s10, s0, -4
	v_cmp_gt_i32_e64 s[2:3], s7, v1
	v_mov_b32_e32 v10, 0
	v_mov_b32_e32 v2, 0
	;; [unrolled: 1-line block ×9, first 2 shown]
	s_and_saveexec_b64 s[0:1], s[2:3]
	s_cbranch_execz .LBB345_3
; %bb.2:
	s_load_dwordx2 s[8:9], s[4:5], 0x28
	s_load_dwordx2 s[26:27], s[4:5], 0x40
	s_and_b64 s[24:25], vcc, exec
	s_cselect_b32 s11, s21, s22
	v_lshlrev_b32_e32 v11, 4, v0
	s_waitcnt lgkmcnt(0)
	s_cselect_b32 s18, s9, s31
	s_cselect_b32 s21, s8, s30
	s_mul_hi_i32 s9, s11, s6
	s_mul_i32 s8, s11, s6
	s_lshl_b64 s[8:9], s[8:9], 1
	s_add_u32 s24, s21, s8
	s_addc_u32 s18, s18, s9
	s_and_b64 s[8:9], vcc, exec
	s_mov_b32 s11, 0x20000
	s_cselect_b32 s8, s26, s12
	s_cselect_b32 s9, s27, s13
	s_and_b32 s25, s18, 0xffff
	s_mov_b32 s26, s10
	s_mov_b32 s27, s11
	s_and_b32 s9, s9, 0xffff
	buffer_load_dwordx4 v[6:9], v11, s[24:27], 0 offen glc slc
	buffer_load_dwordx4 v[2:5], v11, s[8:11], 0 offen
.LBB345_3:
	s_or_b64 exec, exec, s[0:1]
	v_mov_b32_e32 v11, 0
	v_mov_b32_e32 v16, 0
	v_mov_b32_e32 v17, 0
	v_mov_b32_e32 v14, 0
	v_mov_b32_e32 v15, 0
	v_mov_b32_e32 v12, 0
	v_mov_b32_e32 v13, 0
	s_and_saveexec_b64 s[0:1], s[2:3]
	s_cbranch_execz .LBB345_5
; %bb.4:
	s_waitcnt vmcnt(1)
	v_cvt_f32_f16_sdwa v11, v6 dst_sel:DWORD dst_unused:UNUSED_PAD src0_sel:WORD_1
	v_cvt_f32_f16_e32 v10, v6
	v_cvt_f32_f16_sdwa v17, v7 dst_sel:DWORD dst_unused:UNUSED_PAD src0_sel:WORD_1
	v_cvt_f32_f16_e32 v16, v7
	;; [unrolled: 2-line block ×4, first 2 shown]
.LBB345_5:
	s_or_b64 exec, exec, s[0:1]
	s_waitcnt vmcnt(1)
	v_mul_f32_e32 v6, v11, v11
	v_fmac_f32_e32 v6, v10, v10
	v_fmac_f32_e32 v6, v16, v16
	;; [unrolled: 1-line block ×7, first 2 shown]
	v_and_b32_e32 v8, 63, v0
	v_cmp_eq_u32_e64 s[0:1], 63, v8
	v_mov_b32_dpp v7, v6 quad_perm:[1,0,3,2] row_mask:0xf bank_mask:0xf
	v_add_f32_e32 v6, v6, v7
	s_nop 1
	v_mov_b32_dpp v7, v6 quad_perm:[2,3,0,1] row_mask:0xf bank_mask:0xf
	v_add_f32_e32 v6, v6, v7
	s_nop 1
	v_mov_b32_dpp v7, v6 row_half_mirror row_mask:0xf bank_mask:0xf
	v_add_f32_e32 v6, v6, v7
	s_nop 1
	v_mov_b32_dpp v7, v6 row_mirror row_mask:0xf bank_mask:0xf
	v_add_f32_e32 v6, v6, v7
	s_nop 1
	v_mov_b32_dpp v7, v6 row_bcast:15 row_mask:0xf bank_mask:0xf
	v_add_f32_e32 v6, v6, v7
	s_nop 1
	v_mov_b32_dpp v7, v6 row_bcast:31 row_mask:0xf bank_mask:0xf
	s_and_saveexec_b64 s[8:9], s[0:1]
	s_cbranch_execz .LBB345_7
; %bb.6:
	v_add_f32_e32 v6, v6, v7
	v_lshrrev_b32_e32 v7, 4, v0
	v_and_b32_e32 v7, 60, v7
	ds_write_b32 v7, v6 offset:8
.LBB345_7:
	s_or_b64 exec, exec, s[8:9]
	v_and_b32_e32 v6, 1, v0
	v_lshlrev_b32_e32 v18, 2, v6
	s_waitcnt lgkmcnt(0)
	s_barrier
	ds_read_b32 v6, v18 offset:8
	s_load_dwordx2 s[28:29], s[4:5], 0x18
	s_waitcnt lgkmcnt(0)
	v_mov_b32_dpp v7, v6 quad_perm:[1,0,3,2] row_mask:0xf bank_mask:0xf
	s_and_saveexec_b64 s[8:9], s[2:3]
	s_cbranch_execz .LBB345_9
; %bb.8:
	v_cvt_f32_u32_e32 v8, s7
	v_add_f32_e32 v6, v6, v7
	v_mov_b32_e32 v19, s17
	v_mov_b32_e32 v20, s16
	v_div_scale_f32 v7, s[24:25], v8, v8, v6
	v_rcp_f32_e32 v9, v7
	v_cndmask_b32_e32 v19, v19, v20, vcc
	s_mov_b32 s7, 0x800000
	v_fma_f32 v20, -v7, v9, 1.0
	v_fmac_f32_e32 v9, v20, v9
	v_div_scale_f32 v20, vcc, v6, v8, v6
	v_mul_f32_e32 v21, v20, v9
	v_fma_f32 v22, -v7, v21, v20
	v_fmac_f32_e32 v21, v22, v9
	v_fma_f32 v7, -v7, v21, v20
	v_div_fmas_f32 v7, v7, v9, v21
	v_div_fixup_f32 v6, v7, v8, v6
	v_add_f32_e32 v6, v19, v6
	v_mul_f32_e32 v7, 0x4b800000, v6
	v_cmp_gt_f32_e32 vcc, s7, v6
	v_cndmask_b32_e32 v6, v6, v7, vcc
	v_rsq_f32_e32 v6, v6
	s_waitcnt vmcnt(0)
	v_cvt_f32_f16_sdwa v21, v3 dst_sel:DWORD dst_unused:UNUSED_PAD src0_sel:WORD_1
	v_cvt_f32_f16_e32 v20, v3
	v_mul_f32_e32 v7, 0x45800000, v6
	v_cndmask_b32_e32 v6, v6, v7, vcc
	v_mov_b32_e32 v7, v6
	;;#ASMSTART
	v_pk_mul_f32 v[8:9], v[10:11], v[6:7]
	;;#ASMEND
	v_cvt_f32_f16_sdwa v11, v2 dst_sel:DWORD dst_unused:UNUSED_PAD src0_sel:WORD_1
	v_cvt_f32_f16_e32 v10, v2
	;;#ASMSTART
	v_pk_mul_f32 v[16:17], v[16:17], v[6:7]
	;;#ASMEND
	;;#ASMSTART
	v_pk_mul_f32 v[14:15], v[14:15], v[6:7]
	;;#ASMEND
	;; [unrolled: 3-line block ×3, first 2 shown]
	v_pk_add_f32 v[6:7], v[10:11], 1.0 op_sel_hi:[1,0]
	;;#ASMSTART
	v_pk_mul_f32 v[10:11], v[8:9], v[6:7]
	;;#ASMEND
	v_cvt_f32_f16_sdwa v9, v4 dst_sel:DWORD dst_unused:UNUSED_PAD src0_sel:WORD_1
	v_cvt_f32_f16_e32 v8, v4
	v_cvt_f32_f16_sdwa v13, v5 dst_sel:DWORD dst_unused:UNUSED_PAD src0_sel:WORD_1
	v_cvt_f32_f16_e32 v12, v5
	v_pk_add_f32 v[6:7], v[20:21], 1.0 op_sel_hi:[1,0]
	v_pk_add_f32 v[4:5], v[8:9], 1.0 op_sel_hi:[1,0]
	;;#ASMSTART
	v_pk_mul_f32 v[16:17], v[16:17], v[6:7]
	;;#ASMEND
	;;#ASMSTART
	v_pk_mul_f32 v[14:15], v[14:15], v[4:5]
	;;#ASMEND
	v_pk_add_f32 v[4:5], v[12:13], 1.0 op_sel_hi:[1,0]
	;;#ASMSTART
	v_pk_mul_f32 v[12:13], v[2:3], v[4:5]
	;;#ASMEND
.LBB345_9:
	s_or_b64 exec, exec, s[8:9]
	s_load_dword s7, s[4:5], 0x80
	s_mov_b64 s[8:9], -1
	s_and_b64 vcc, exec, s[14:15]
	s_cbranch_vccnz .LBB345_13
; %bb.10:
	s_andn2_b64 vcc, exec, s[8:9]
	s_cbranch_vccz .LBB345_16
.LBB345_11:
	s_cmp_lt_i32 s20, 1
	s_cbranch_scc0 .LBB345_25
.LBB345_12:
	s_endpgm
.LBB345_13:
	s_and_saveexec_b64 s[14:15], s[2:3]
	s_cbranch_execz .LBB345_15
; %bb.14:
	s_waitcnt lgkmcnt(0)
	s_mul_hi_i32 s9, s7, s6
	s_mul_i32 s8, s7, s6
	s_waitcnt vmcnt(0)
	v_cvt_f16_f32_e32 v2, v10
	v_cvt_f16_f32_e32 v3, v16
	;; [unrolled: 1-line block ×8, first 2 shown]
	s_lshl_b64 s[8:9], s[8:9], 1
	s_add_u32 s8, s28, s8
	s_addc_u32 s9, s29, s9
	s_and_b32 s9, s9, 0xffff
	s_mov_b32 s11, 0x20000
	v_pack_b32_f16 v5, v5, v6
	v_pack_b32_f16 v4, v4, v7
	v_pack_b32_f16 v3, v3, v8
	v_pack_b32_f16 v2, v2, v9
	v_lshlrev_b32_e32 v6, 4, v0
	buffer_store_dwordx4 v[2:5], v6, s[8:11], 0 offen
	;;#ASMSTART
	s_nop 0
	;;#ASMEND
.LBB345_15:
	s_or_b64 exec, exec, s[14:15]
	s_cbranch_execnz .LBB345_11
.LBB345_16:
	s_load_dwordx4 s[24:27], s[4:5], 0x70
	s_waitcnt vmcnt(0)
	v_mov_b32_e32 v2, 0
	s_and_saveexec_b64 s[14:15], s[2:3]
	s_cbranch_execz .LBB345_18
; %bb.17:
	s_load_dwordx2 s[8:9], s[4:5], 0x10
	s_waitcnt lgkmcnt(0)
	s_mul_hi_i32 s35, s27, s6
	s_mul_i32 s34, s27, s6
	v_cvt_f16_f32_e32 v2, v10
	v_cvt_f16_f32_e32 v3, v16
	;; [unrolled: 1-line block ×8, first 2 shown]
	s_lshl_b64 s[34:35], s[34:35], 1
	s_add_u32 s8, s8, s34
	s_addc_u32 s9, s9, s35
	s_mov_b32 s11, 0x20000
	s_and_b32 s9, s9, 0xffff
	v_pack_b32_f16 v5, v5, v6
	v_pack_b32_f16 v4, v4, v7
	;; [unrolled: 1-line block ×4, first 2 shown]
	v_lshlrev_b32_e32 v6, 4, v0
	buffer_store_dwordx4 v[2:5], v6, s[8:11], 0 offen
	;;#ASMSTART
	s_nop 0
	;;#ASMEND
	s_nop 0
	v_mov_b32_e32 v2, 0x2edbe6ff
.LBB345_18:
	s_or_b64 exec, exec, s[14:15]
	s_and_saveexec_b64 s[8:9], s[2:3]
	s_cbranch_execz .LBB345_20
; %bb.19:
	v_and_b32_e32 v3, 0x7fffffff, v10
	v_and_b32_e32 v4, 0x7fffffff, v11
	;;#ASMSTART
	v_max3_f32 v2, v2, v3, v4

	;;#ASMEND
	v_and_b32_e32 v3, 0x7fffffff, v16
	v_and_b32_e32 v4, 0x7fffffff, v17
	;;#ASMSTART
	v_max3_f32 v2, v2, v3, v4

	;;#ASMEND
	;; [unrolled: 6-line block ×4, first 2 shown]
.LBB345_20:
	s_or_b64 exec, exec, s[8:9]
	;;#ASMSTART
	v_max_f32 v3, v2, v2 quad_perm:[1,0,3,2] row_mask:0xf bank_mask:0xf bound_ctrl:1
	;;#ASMEND
	;;#ASMSTART
	v_max_f32 v2, v3, v3 quad_perm:[2,3,0,1] row_mask:0xf bank_mask:0xf bound_ctrl:1
	;;#ASMEND
	;;#ASMSTART
	v_max_f32 v3, v2, v2 row_half_mirror row_mask:0xf bank_mask:0xf bound_ctrl:1
	;;#ASMEND
	;;#ASMSTART
	v_max_f32 v2, v3, v3 row_mirror row_mask:0xf bank_mask:0xf bound_ctrl:1
	;;#ASMEND
	v_and_b32_e32 v3, 15, v0
	v_cmp_eq_u32_e32 vcc, 0, v3
	v_cmp_gt_i32_e64 s[8:9], s19, v1
	v_mul_f32_e32 v2, 0x3b124925, v2
	s_and_b64 s[10:11], vcc, s[8:9]
	s_and_saveexec_b64 s[8:9], s[10:11]
	s_cbranch_execz .LBB345_22
; %bb.21:
	s_load_dwordx2 s[10:11], s[4:5], 0x8
	s_waitcnt lgkmcnt(0)
	s_mul_hi_i32 s15, s25, s6
	s_mul_i32 s14, s25, s6
	v_lshrrev_b32_e32 v3, 4, v0
	s_lshl_b64 s[14:15], s[14:15], 2
	v_mad_i64_i32 v[4:5], s[26:27], s26, v3, 0
	s_add_u32 s10, s10, s14
	s_addc_u32 s11, s11, s15
	v_lshlrev_b64 v[4:5], 2, v[4:5]
	v_mov_b32_e32 v3, s11
	v_add_co_u32_e32 v4, vcc, s10, v4
	v_addc_co_u32_e32 v5, vcc, v3, v5, vcc
	global_store_dword v[4:5], v2, off
.LBB345_22:
	s_or_b64 exec, exec, s[8:9]
	;;#ASMSTART
	v_rcp_f32 v2, v2
	;;#ASMEND
	s_and_saveexec_b64 s[14:15], s[2:3]
	s_cbranch_execz .LBB345_24
; %bb.23:
	s_load_dwordx2 s[2:3], s[4:5], 0x0
	s_waitcnt lgkmcnt(0)
	s_mul_i32 s8, s24, s6
	s_mul_hi_i32 s9, s24, s6
	v_mov_b32_e32 v3, v2
	;;#ASMSTART
	v_pk_mul_f32 v[4:5], v[10:11], v[2:3]
	;;#ASMEND
	s_add_u32 s8, s2, s8
	s_addc_u32 s2, s3, s9
	s_add_i32 s3, s19, 3
	s_ashr_i32 s9, s3, 31
	v_mov_b32_e32 v8, 0xc3e00000
	v_mov_b32_e32 v9, 0x43e00000
	;;#ASMSTART
	v_med3_f32 v4, v4, v8, v9
v_med3_f32 v5, v5, v8, v9
v_cvt_pk_fp8_f32 v6, v4, v5
	;;#ASMEND
	s_lshr_b32 s9, s9, 30
	;;#ASMSTART
	v_pk_mul_f32 v[4:5], v[16:17], v[2:3]
	;;#ASMEND
	s_add_i32 s3, s3, s9
	s_and_b32 s9, s2, 0xffff
	;;#ASMSTART
	v_med3_f32 v4, v4, v8, v9
v_med3_f32 v5, v5, v8, v9
v_cvt_pk_fp8_f32 v7, v4, v5
	;;#ASMEND
	s_mov_b32 s2, 0x5040100
	v_perm_b32 v5, v7, v6, s2
	s_movk_i32 s2, 0xff
	v_and_b32_e32 v4, 0xffffff00, v7
	v_and_b32_sdwa v6, v5, s2 dst_sel:DWORD dst_unused:UNUSED_PAD src0_sel:WORD_1 src1_sel:DWORD
	s_mov_b32 s16, 0xffff
	v_or_b32_sdwa v4, v6, v4 dst_sel:WORD_1 dst_unused:UNUSED_PAD src0_sel:DWORD src1_sel:DWORD
	v_and_or_b32 v4, v5, s16, v4
	;;#ASMSTART
	v_pk_mul_f32 v[6:7], v[14:15], v[2:3]
	;;#ASMEND
	v_mov_b32_e32 v5, v7
	;;#ASMSTART
	v_med3_f32 v6, v6, v8, v9
v_med3_f32 v5, v5, v8, v9
v_cvt_pk_fp8_f32 v7, v6, v5
	;;#ASMEND
	;;#ASMSTART
	v_pk_mul_f32 v[2:3], v[12:13], v[2:3]
	;;#ASMEND
	;;#ASMSTART
	v_med3_f32 v2, v2, v8, v9
v_med3_f32 v3, v3, v8, v9
v_cvt_pk_fp8_f32 v5, v2, v3
	;;#ASMEND
	v_lshlrev_b32_e32 v2, 16, v5
	s_and_b32 s10, s3, -4
	s_mov_b32 s11, 0x20000
	v_and_or_b32 v5, v7, s16, v2
	buffer_store_dwordx2 v[4:5], v1, s[8:11], 0 offen
	;;#ASMSTART
	s_nop 0
	;;#ASMEND
.LBB345_24:
	s_or_b64 exec, exec, s[14:15]
	s_cmp_lt_i32 s20, 1
	s_cbranch_scc1 .LBB345_12
.LBB345_25:
	s_load_dword s2, s[4:5], 0x94
	s_waitcnt lgkmcnt(0)
	s_cmp_lg_u32 s2, 1
	s_cbranch_scc1 .LBB345_12
; %bb.26:
	s_lshl_b32 s2, s20, 1
	s_add_i32 s2, s2, 2
	v_cmp_gt_u32_e32 vcc, s20, v1
	s_and_b32 s14, s2, -4
	v_mov_b32_e32 v10, 0
	v_lshlrev_b32_e32 v1, 4, v0
	v_mov_b32_e32 v6, 0
	v_mov_b32_e32 v7, 0
	;; [unrolled: 1-line block ×4, first 2 shown]
	s_waitcnt vmcnt(0)
	v_mov_b32_e32 v2, 0
	v_mov_b32_e32 v3, 0
	;; [unrolled: 1-line block ×4, first 2 shown]
	s_barrier
	s_and_saveexec_b64 s[2:3], vcc
	s_cbranch_execz .LBB345_28
; %bb.27:
	s_mul_hi_i32 s5, s22, s6
	s_mul_i32 s4, s22, s6
	s_and_b32 s13, s13, 0xffff
	s_lshl_b64 s[4:5], s[4:5], 1
	s_add_u32 s8, s30, s4
	s_mov_b32 s15, 0x20000
	s_addc_u32 s4, s31, s5
	s_and_b32 s9, s4, 0xffff
	s_mov_b32 s10, s14
	s_mov_b32 s11, s15
	buffer_load_dwordx4 v[6:9], v1, s[8:11], 0 offen glc slc
	buffer_load_dwordx4 v[2:5], v1, s[12:15], 0 offen
.LBB345_28:
	s_or_b64 exec, exec, s[2:3]
	v_mov_b32_e32 v11, 0
	v_mov_b32_e32 v16, 0
	;; [unrolled: 1-line block ×7, first 2 shown]
	s_and_saveexec_b64 s[2:3], vcc
	s_cbranch_execz .LBB345_30
; %bb.29:
	s_waitcnt vmcnt(1)
	v_cvt_f32_f16_sdwa v11, v6 dst_sel:DWORD dst_unused:UNUSED_PAD src0_sel:WORD_1
	v_cvt_f32_f16_e32 v10, v6
	v_cvt_f32_f16_sdwa v17, v7 dst_sel:DWORD dst_unused:UNUSED_PAD src0_sel:WORD_1
	v_cvt_f32_f16_e32 v16, v7
	;; [unrolled: 2-line block ×4, first 2 shown]
.LBB345_30:
	s_or_b64 exec, exec, s[2:3]
	s_waitcnt vmcnt(1)
	v_mul_f32_e32 v6, v11, v11
	v_fmac_f32_e32 v6, v10, v10
	v_fmac_f32_e32 v6, v16, v16
	;; [unrolled: 1-line block ×7, first 2 shown]
	s_nop 1
	v_mov_b32_dpp v7, v6 quad_perm:[1,0,3,2] row_mask:0xf bank_mask:0xf
	v_add_f32_e32 v6, v6, v7
	s_nop 1
	v_mov_b32_dpp v7, v6 quad_perm:[2,3,0,1] row_mask:0xf bank_mask:0xf
	v_add_f32_e32 v6, v6, v7
	s_nop 1
	v_mov_b32_dpp v7, v6 row_half_mirror row_mask:0xf bank_mask:0xf
	v_add_f32_e32 v6, v6, v7
	s_nop 1
	v_mov_b32_dpp v7, v6 row_mirror row_mask:0xf bank_mask:0xf
	v_add_f32_e32 v6, v6, v7
	s_nop 1
	v_mov_b32_dpp v7, v6 row_bcast:15 row_mask:0xf bank_mask:0xf
	v_add_f32_e32 v6, v6, v7
	s_nop 1
	v_mov_b32_dpp v7, v6 row_bcast:31 row_mask:0xf bank_mask:0xf
	s_and_saveexec_b64 s[2:3], s[0:1]
	s_cbranch_execz .LBB345_32
; %bb.31:
	v_lshrrev_b32_e32 v0, 4, v0
	v_add_f32_e32 v6, v6, v7
	v_and_b32_e32 v0, 60, v0
	ds_write_b32 v0, v6
.LBB345_32:
	s_or_b64 exec, exec, s[2:3]
	s_waitcnt lgkmcnt(0)
	s_barrier
	ds_read_b32 v0, v18
	s_waitcnt lgkmcnt(0)
	s_nop 0
	v_mov_b32_dpp v6, v0 quad_perm:[1,0,3,2] row_mask:0xf bank_mask:0xf
	s_and_saveexec_b64 s[0:1], vcc
	s_cbranch_execz .LBB345_12
; %bb.33:
	v_cvt_f32_u32_e32 v7, s20
	v_add_f32_e32 v0, v0, v6
	s_mov_b32 s15, 0x20000
	v_div_scale_f32 v6, s[0:1], v7, v7, v0
	v_rcp_f32_e32 v8, v6
	v_div_scale_f32 v9, vcc, v0, v7, v0
	s_mov_b32 s0, 0x800000
	v_fma_f32 v18, -v6, v8, 1.0
	v_fmac_f32_e32 v8, v18, v8
	v_mul_f32_e32 v18, v9, v8
	v_fma_f32 v19, -v6, v18, v9
	v_fmac_f32_e32 v18, v19, v8
	v_fma_f32 v6, -v6, v18, v9
	v_div_fmas_f32 v6, v6, v8, v18
	v_div_fixup_f32 v0, v6, v7, v0
	v_add_f32_e32 v0, s17, v0
	v_mul_f32_e32 v6, 0x4b800000, v0
	v_cmp_gt_f32_e32 vcc, s0, v0
	v_cndmask_b32_e32 v0, v0, v6, vcc
	v_rsq_f32_e32 v0, v0
	s_waitcnt vmcnt(0)
	v_cvt_f32_f16_sdwa v19, v3 dst_sel:DWORD dst_unused:UNUSED_PAD src0_sel:WORD_1
	v_cvt_f32_f16_e32 v18, v3
	s_mul_hi_i32 s1, s7, s6
	v_mul_f32_e32 v6, 0x45800000, v0
	v_cndmask_b32_e32 v6, v0, v6, vcc
	v_mov_b32_e32 v7, v6
	;;#ASMSTART
	v_pk_mul_f32 v[8:9], v[10:11], v[6:7]
	;;#ASMEND
	;;#ASMSTART
	v_pk_mul_f32 v[10:11], v[16:17], v[6:7]
	;;#ASMEND
	v_cvt_f32_f16_sdwa v17, v2 dst_sel:DWORD dst_unused:UNUSED_PAD src0_sel:WORD_1
	v_cvt_f32_f16_e32 v16, v2
	;;#ASMSTART
	v_pk_mul_f32 v[14:15], v[14:15], v[6:7]
	;;#ASMEND
	;;#ASMSTART
	v_pk_mul_f32 v[2:3], v[12:13], v[6:7]
	;;#ASMEND
	v_cvt_f32_f16_sdwa v13, v4 dst_sel:DWORD dst_unused:UNUSED_PAD src0_sel:WORD_1
	v_cvt_f32_f16_e32 v12, v4
	v_pk_add_f32 v[6:7], v[16:17], 1.0 op_sel_hi:[1,0]
	v_cvt_f32_f16_sdwa v17, v5 dst_sel:DWORD dst_unused:UNUSED_PAD src0_sel:WORD_1
	v_cvt_f32_f16_e32 v16, v5
	;;#ASMSTART
	v_pk_mul_f32 v[6:7], v[8:9], v[6:7]
	;;#ASMEND
	v_pk_add_f32 v[8:9], v[18:19], 1.0 op_sel_hi:[1,0]
	;;#ASMSTART
	v_pk_mul_f32 v[4:5], v[10:11], v[8:9]
	;;#ASMEND
	v_pk_add_f32 v[8:9], v[12:13], 1.0 op_sel_hi:[1,0]
	;; [unrolled: 4-line block ×3, first 2 shown]
	;;#ASMSTART
	v_pk_mul_f32 v[2:3], v[2:3], v[10:11]
	;;#ASMEND
	s_mul_i32 s0, s7, s6
	v_cvt_f16_f32_e32 v0, v6
	v_cvt_f16_f32_e32 v6, v7
	;; [unrolled: 1-line block ×8, first 2 shown]
	s_lshl_b64 s[0:1], s[0:1], 1
	s_add_u32 s12, s28, s0
	s_addc_u32 s0, s29, s1
	s_and_b32 s13, s0, 0xffff
	v_pack_b32_f16 v2, v0, v6
	v_pack_b32_f16 v3, v4, v5
	;; [unrolled: 1-line block ×4, first 2 shown]
	buffer_store_dwordx4 v[2:5], v1, s[12:15], 0 offen
	;;#ASMSTART
	s_nop 0
	;;#ASMEND
	s_endpgm
	.section	.rodata,"a",@progbits
	.p2align	6, 0x0
	.amdhsa_kernel _ZN5aiter35fused_qk_rmsnorm_group_quant_kernelIDF16_DB8_Li128ELi8ELi16ELb0ELb1ELb1ELb0ELb0ELb0EEEvPT0_PvPT_S6_S6_PKS5_S8_S8_S8_S8_ffiiiiiiiiiiiii
		.amdhsa_group_segment_fixed_size 16
		.amdhsa_private_segment_fixed_size 0
		.amdhsa_kernarg_size 400
		.amdhsa_user_sgpr_count 6
		.amdhsa_user_sgpr_private_segment_buffer 1
		.amdhsa_user_sgpr_dispatch_ptr 0
		.amdhsa_user_sgpr_queue_ptr 0
		.amdhsa_user_sgpr_kernarg_segment_ptr 1
		.amdhsa_user_sgpr_dispatch_id 0
		.amdhsa_user_sgpr_flat_scratch_init 0
		.amdhsa_user_sgpr_kernarg_preload_length 0
		.amdhsa_user_sgpr_kernarg_preload_offset 0
		.amdhsa_user_sgpr_private_segment_size 0
		.amdhsa_uses_dynamic_stack 0
		.amdhsa_system_sgpr_private_segment_wavefront_offset 0
		.amdhsa_system_sgpr_workgroup_id_x 1
		.amdhsa_system_sgpr_workgroup_id_y 1
		.amdhsa_system_sgpr_workgroup_id_z 0
		.amdhsa_system_sgpr_workgroup_info 0
		.amdhsa_system_vgpr_workitem_id 0
		.amdhsa_next_free_vgpr 23
		.amdhsa_next_free_sgpr 36
		.amdhsa_accum_offset 24
		.amdhsa_reserve_vcc 1
		.amdhsa_reserve_flat_scratch 0
		.amdhsa_float_round_mode_32 0
		.amdhsa_float_round_mode_16_64 0
		.amdhsa_float_denorm_mode_32 3
		.amdhsa_float_denorm_mode_16_64 3
		.amdhsa_dx10_clamp 1
		.amdhsa_ieee_mode 1
		.amdhsa_fp16_overflow 0
		.amdhsa_tg_split 0
		.amdhsa_exception_fp_ieee_invalid_op 0
		.amdhsa_exception_fp_denorm_src 0
		.amdhsa_exception_fp_ieee_div_zero 0
		.amdhsa_exception_fp_ieee_overflow 0
		.amdhsa_exception_fp_ieee_underflow 0
		.amdhsa_exception_fp_ieee_inexact 0
		.amdhsa_exception_int_div_zero 0
	.end_amdhsa_kernel
	.section	.text._ZN5aiter35fused_qk_rmsnorm_group_quant_kernelIDF16_DB8_Li128ELi8ELi16ELb0ELb1ELb1ELb0ELb0ELb0EEEvPT0_PvPT_S6_S6_PKS5_S8_S8_S8_S8_ffiiiiiiiiiiiii,"axG",@progbits,_ZN5aiter35fused_qk_rmsnorm_group_quant_kernelIDF16_DB8_Li128ELi8ELi16ELb0ELb1ELb1ELb0ELb0ELb0EEEvPT0_PvPT_S6_S6_PKS5_S8_S8_S8_S8_ffiiiiiiiiiiiii,comdat
.Lfunc_end345:
	.size	_ZN5aiter35fused_qk_rmsnorm_group_quant_kernelIDF16_DB8_Li128ELi8ELi16ELb0ELb1ELb1ELb0ELb0ELb0EEEvPT0_PvPT_S6_S6_PKS5_S8_S8_S8_S8_ffiiiiiiiiiiiii, .Lfunc_end345-_ZN5aiter35fused_qk_rmsnorm_group_quant_kernelIDF16_DB8_Li128ELi8ELi16ELb0ELb1ELb1ELb0ELb0ELb0EEEvPT0_PvPT_S6_S6_PKS5_S8_S8_S8_S8_ffiiiiiiiiiiiii
                                        ; -- End function
	.section	.AMDGPU.csdata,"",@progbits
; Kernel info:
; codeLenInByte = 2668
; NumSgprs: 40
; NumVgprs: 23
; NumAgprs: 0
; TotalNumVgprs: 23
; ScratchSize: 0
; MemoryBound: 0
; FloatMode: 240
; IeeeMode: 1
; LDSByteSize: 16 bytes/workgroup (compile time only)
; SGPRBlocks: 4
; VGPRBlocks: 2
; NumSGPRsForWavesPerEU: 40
; NumVGPRsForWavesPerEU: 23
; AccumOffset: 24
; Occupancy: 8
; WaveLimiterHint : 0
; COMPUTE_PGM_RSRC2:SCRATCH_EN: 0
; COMPUTE_PGM_RSRC2:USER_SGPR: 6
; COMPUTE_PGM_RSRC2:TRAP_HANDLER: 0
; COMPUTE_PGM_RSRC2:TGID_X_EN: 1
; COMPUTE_PGM_RSRC2:TGID_Y_EN: 1
; COMPUTE_PGM_RSRC2:TGID_Z_EN: 0
; COMPUTE_PGM_RSRC2:TIDIG_COMP_CNT: 0
; COMPUTE_PGM_RSRC3_GFX90A:ACCUM_OFFSET: 5
; COMPUTE_PGM_RSRC3_GFX90A:TG_SPLIT: 0
	.section	.text._ZN5aiter35fused_qk_rmsnorm_group_quant_kernelItDB8_Li128ELi8ELi16ELb0ELb1ELb1ELb0ELb0ELb0EEEvPT0_PvPT_S6_S6_PKS5_S8_S8_S8_S8_ffiiiiiiiiiiiii,"axG",@progbits,_ZN5aiter35fused_qk_rmsnorm_group_quant_kernelItDB8_Li128ELi8ELi16ELb0ELb1ELb1ELb0ELb0ELb0EEEvPT0_PvPT_S6_S6_PKS5_S8_S8_S8_S8_ffiiiiiiiiiiiii,comdat
	.protected	_ZN5aiter35fused_qk_rmsnorm_group_quant_kernelItDB8_Li128ELi8ELi16ELb0ELb1ELb1ELb0ELb0ELb0EEEvPT0_PvPT_S6_S6_PKS5_S8_S8_S8_S8_ffiiiiiiiiiiiii ; -- Begin function _ZN5aiter35fused_qk_rmsnorm_group_quant_kernelItDB8_Li128ELi8ELi16ELb0ELb1ELb1ELb0ELb0ELb0EEEvPT0_PvPT_S6_S6_PKS5_S8_S8_S8_S8_ffiiiiiiiiiiiii
	.globl	_ZN5aiter35fused_qk_rmsnorm_group_quant_kernelItDB8_Li128ELi8ELi16ELb0ELb1ELb1ELb0ELb0ELb0EEEvPT0_PvPT_S6_S6_PKS5_S8_S8_S8_S8_ffiiiiiiiiiiiii
	.p2align	8
	.type	_ZN5aiter35fused_qk_rmsnorm_group_quant_kernelItDB8_Li128ELi8ELi16ELb0ELb1ELb1ELb0ELb0ELb0EEEvPT0_PvPT_S6_S6_PKS5_S8_S8_S8_S8_ffiiiiiiiiiiiii,@function
_ZN5aiter35fused_qk_rmsnorm_group_quant_kernelItDB8_Li128ELi8ELi16ELb0ELb1ELb1ELb0ELb0ELb0EEEvPT0_PvPT_S6_S6_PKS5_S8_S8_S8_S8_ffiiiiiiiiiiiii: ; @_ZN5aiter35fused_qk_rmsnorm_group_quant_kernelItDB8_Li128ELi8ELi16ELb0ELb1ELb1ELb0ELb0ELb0EEEvPT0_PvPT_S6_S6_PKS5_S8_S8_S8_S8_ffiiiiiiiiiiiii
; %bb.0:
	s_load_dwordx4 s[16:19], s[4:5], 0x50
	s_waitcnt lgkmcnt(0)
	s_cmp_ge_i32 s6, s18
	s_cbranch_scc1 .LBB346_10
; %bb.1:
	s_load_dwordx2 s[12:13], s[4:5], 0x48
	s_load_dwordx2 s[30:31], s[4:5], 0x30
	s_load_dwordx4 s[20:23], s[4:5], 0x60
	s_cmp_lg_u32 s7, 0
	s_cselect_b64 s[14:15], -1, 0
	s_cmp_eq_u32 s7, 0
	s_cselect_b64 vcc, -1, 0
	s_and_b64 s[0:1], vcc, exec
	s_waitcnt lgkmcnt(0)
	s_cselect_b32 s7, s19, s20
	s_add_i32 s0, s7, 1
	s_lshr_b32 s1, s0, 31
	s_add_i32 s0, s0, s1
	s_lshl_b32 s0, s0, 1
	v_lshlrev_b32_e32 v1, 3, v0
	s_and_b32 s10, s0, -4
	v_cmp_gt_i32_e64 s[2:3], s7, v1
	v_mov_b32_e32 v2, 0
	v_mov_b32_e32 v3, 0
	;; [unrolled: 1-line block ×8, first 2 shown]
	s_and_saveexec_b64 s[0:1], s[2:3]
	s_cbranch_execz .LBB346_3
; %bb.2:
	s_load_dwordx2 s[8:9], s[4:5], 0x28
	s_load_dwordx2 s[26:27], s[4:5], 0x40
	s_and_b64 s[24:25], vcc, exec
	s_cselect_b32 s11, s21, s22
	v_lshlrev_b32_e32 v10, 4, v0
	s_waitcnt lgkmcnt(0)
	s_cselect_b32 s18, s9, s31
	s_cselect_b32 s21, s8, s30
	s_mul_hi_i32 s9, s11, s6
	s_mul_i32 s8, s11, s6
	s_lshl_b64 s[8:9], s[8:9], 1
	s_add_u32 s24, s21, s8
	s_addc_u32 s18, s18, s9
	s_and_b64 s[8:9], vcc, exec
	s_mov_b32 s11, 0x20000
	s_cselect_b32 s8, s26, s12
	s_cselect_b32 s9, s27, s13
	s_and_b32 s25, s18, 0xffff
	s_mov_b32 s26, s10
	s_mov_b32 s27, s11
	s_and_b32 s9, s9, 0xffff
	buffer_load_dwordx4 v[6:9], v10, s[24:27], 0 offen glc slc
	buffer_load_dwordx4 v[2:5], v10, s[8:11], 0 offen
.LBB346_3:
	s_or_b64 exec, exec, s[0:1]
	s_waitcnt vmcnt(1)
	v_cvt_f32_u32_sdwa v13, v6 dst_sel:DWORD dst_unused:UNUSED_PAD src0_sel:WORD_1
	v_cvt_f32_u32_sdwa v12, v6 dst_sel:DWORD dst_unused:UNUSED_PAD src0_sel:WORD_0
	v_cvt_f32_u32_sdwa v6, v9 dst_sel:DWORD dst_unused:UNUSED_PAD src0_sel:WORD_1
	v_cvt_f32_u32_sdwa v9, v9 dst_sel:DWORD dst_unused:UNUSED_PAD src0_sel:WORD_0
	;; [unrolled: 2-line block ×4, first 2 shown]
	v_cndmask_b32_e64 v13, 0, v13, s[2:3]
	v_cndmask_b32_e64 v7, 0, v6, s[2:3]
	;; [unrolled: 1-line block ×5, first 2 shown]
	v_mul_f32_e32 v14, v13, v13
	v_cndmask_b32_e64 v10, 0, v10, s[2:3]
	v_fmac_f32_e32 v14, v12, v12
	v_cndmask_b32_e64 v11, 0, v11, s[2:3]
	v_fmac_f32_e32 v14, v10, v10
	;; [unrolled: 2-line block ×3, first 2 shown]
	v_fmac_f32_e32 v14, v8, v8
	v_fmac_f32_e32 v14, v9, v9
	;; [unrolled: 1-line block ×4, first 2 shown]
	v_and_b32_e32 v16, 63, v0
	v_cmp_eq_u32_e64 s[0:1], 63, v16
	v_mov_b32_dpp v15, v14 quad_perm:[1,0,3,2] row_mask:0xf bank_mask:0xf
	v_add_f32_e32 v14, v14, v15
	s_nop 1
	v_mov_b32_dpp v15, v14 quad_perm:[2,3,0,1] row_mask:0xf bank_mask:0xf
	v_add_f32_e32 v14, v14, v15
	s_nop 1
	v_mov_b32_dpp v15, v14 row_half_mirror row_mask:0xf bank_mask:0xf
	v_add_f32_e32 v14, v14, v15
	s_nop 1
	v_mov_b32_dpp v15, v14 row_mirror row_mask:0xf bank_mask:0xf
	v_add_f32_e32 v14, v14, v15
	s_nop 1
	v_mov_b32_dpp v15, v14 row_bcast:15 row_mask:0xf bank_mask:0xf
	v_add_f32_e32 v14, v14, v15
	s_nop 1
	v_mov_b32_dpp v15, v14 row_bcast:31 row_mask:0xf bank_mask:0xf
	s_and_saveexec_b64 s[8:9], s[0:1]
	s_cbranch_execz .LBB346_5
; %bb.4:
	v_add_f32_e32 v14, v14, v15
	v_lshrrev_b32_e32 v15, 4, v0
	v_and_b32_e32 v15, 60, v15
	ds_write_b32 v15, v14 offset:8
.LBB346_5:
	s_or_b64 exec, exec, s[8:9]
	v_and_b32_e32 v14, 1, v0
	v_lshlrev_b32_e32 v14, 2, v14
	s_waitcnt lgkmcnt(0)
	s_barrier
	ds_read_b32 v15, v14 offset:8
	s_load_dwordx2 s[28:29], s[4:5], 0x18
	s_waitcnt lgkmcnt(0)
	v_mov_b32_dpp v16, v15 quad_perm:[1,0,3,2] row_mask:0xf bank_mask:0xf
	s_and_saveexec_b64 s[8:9], s[2:3]
	s_cbranch_execz .LBB346_7
; %bb.6:
	v_cvt_f32_u32_e32 v17, s7
	v_add_f32_e32 v15, v15, v16
	v_mov_b32_e32 v19, s17
	v_mov_b32_e32 v20, s16
	v_div_scale_f32 v16, s[24:25], v17, v17, v15
	v_rcp_f32_e32 v18, v16
	v_cndmask_b32_e32 v19, v19, v20, vcc
	s_mov_b32 s7, 0x800000
	v_fma_f32 v20, -v16, v18, 1.0
	v_fmac_f32_e32 v18, v20, v18
	v_div_scale_f32 v20, vcc, v15, v17, v15
	v_mul_f32_e32 v21, v20, v18
	v_fma_f32 v22, -v16, v21, v20
	v_fmac_f32_e32 v21, v22, v18
	v_fma_f32 v16, -v16, v21, v20
	v_div_fmas_f32 v16, v16, v18, v21
	v_div_fixup_f32 v15, v16, v17, v15
	v_add_f32_e32 v15, v19, v15
	v_mul_f32_e32 v16, 0x4b800000, v15
	v_cmp_gt_f32_e32 vcc, s7, v15
	v_cndmask_b32_e32 v15, v15, v16, vcc
	v_rsq_f32_e32 v15, v15
	s_waitcnt vmcnt(0)
	v_cvt_f32_u32_sdwa v19, v2 dst_sel:DWORD dst_unused:UNUSED_PAD src0_sel:WORD_1
	v_cvt_f32_u32_sdwa v18, v2 dst_sel:DWORD dst_unused:UNUSED_PAD src0_sel:WORD_0
	v_cvt_f32_u32_sdwa v21, v3 dst_sel:DWORD dst_unused:UNUSED_PAD src0_sel:WORD_1
	v_mul_f32_e32 v16, 0x45800000, v15
	v_cndmask_b32_e32 v16, v15, v16, vcc
	v_mov_b32_e32 v17, v16
	;;#ASMSTART
	v_pk_mul_f32 v[12:13], v[12:13], v[16:17]
	;;#ASMEND
	;;#ASMSTART
	v_pk_mul_f32 v[10:11], v[10:11], v[16:17]
	;;#ASMEND
	;; [unrolled: 3-line block ×3, first 2 shown]
	v_cvt_f32_u32_sdwa v20, v3 dst_sel:DWORD dst_unused:UNUSED_PAD src0_sel:WORD_0
	;;#ASMSTART
	v_pk_mul_f32 v[2:3], v[6:7], v[16:17]
	;;#ASMEND
	v_cvt_f32_u32_sdwa v17, v4 dst_sel:DWORD dst_unused:UNUSED_PAD src0_sel:WORD_1
	v_cvt_f32_u32_sdwa v16, v4 dst_sel:DWORD dst_unused:UNUSED_PAD src0_sel:WORD_0
	v_pk_add_f32 v[6:7], v[18:19], 1.0 op_sel_hi:[1,0]
	v_cvt_f32_u32_sdwa v19, v5 dst_sel:DWORD dst_unused:UNUSED_PAD src0_sel:WORD_1
	v_cvt_f32_u32_sdwa v18, v5 dst_sel:DWORD dst_unused:UNUSED_PAD src0_sel:WORD_0
	;;#ASMSTART
	v_pk_mul_f32 v[12:13], v[12:13], v[6:7]
	;;#ASMEND
	v_pk_add_f32 v[6:7], v[20:21], 1.0 op_sel_hi:[1,0]
	v_pk_add_f32 v[4:5], v[16:17], 1.0 op_sel_hi:[1,0]
	;;#ASMSTART
	v_pk_mul_f32 v[10:11], v[10:11], v[6:7]
	;;#ASMEND
	;;#ASMSTART
	v_pk_mul_f32 v[8:9], v[8:9], v[4:5]
	;;#ASMEND
	v_pk_add_f32 v[4:5], v[18:19], 1.0 op_sel_hi:[1,0]
	;;#ASMSTART
	v_pk_mul_f32 v[6:7], v[2:3], v[4:5]
	;;#ASMEND
.LBB346_7:
	s_or_b64 exec, exec, s[8:9]
	s_load_dword s7, s[4:5], 0x80
	s_mov_b64 s[8:9], -1
	s_and_b64 vcc, exec, s[14:15]
	s_cbranch_vccnz .LBB346_11
; %bb.8:
	s_andn2_b64 vcc, exec, s[8:9]
	s_cbranch_vccz .LBB346_14
.LBB346_9:
	s_cmp_lt_i32 s20, 1
	s_cbranch_scc0 .LBB346_23
.LBB346_10:
	s_endpgm
.LBB346_11:
	s_and_saveexec_b64 s[14:15], s[2:3]
	s_cbranch_execz .LBB346_13
; %bb.12:
	s_waitcnt lgkmcnt(0)
	s_mul_hi_i32 s9, s7, s6
	s_mul_i32 s8, s7, s6
	s_lshl_b64 s[8:9], s[8:9], 1
	s_add_u32 s8, s28, s8
	s_addc_u32 s9, s29, s9
	s_mov_b32 s16, 0x7060302
	s_and_b32 s9, s9, 0xffff
	s_mov_b32 s11, 0x20000
	s_waitcnt vmcnt(0)
	v_perm_b32 v2, v13, v12, s16
	v_perm_b32 v3, v11, v10, s16
	;; [unrolled: 1-line block ×4, first 2 shown]
	v_lshlrev_b32_e32 v15, 4, v0
	buffer_store_dwordx4 v[2:5], v15, s[8:11], 0 offen
	;;#ASMSTART
	s_nop 0
	;;#ASMEND
.LBB346_13:
	s_or_b64 exec, exec, s[14:15]
	s_cbranch_execnz .LBB346_9
.LBB346_14:
	s_load_dwordx4 s[24:27], s[4:5], 0x70
	s_waitcnt vmcnt(0)
	v_mov_b32_e32 v2, 0
	s_and_saveexec_b64 s[14:15], s[2:3]
	s_cbranch_execz .LBB346_16
; %bb.15:
	s_load_dwordx2 s[8:9], s[4:5], 0x10
	s_waitcnt lgkmcnt(0)
	s_mul_hi_i32 s35, s27, s6
	s_mul_i32 s34, s27, s6
	s_lshl_b64 s[34:35], s[34:35], 1
	s_mov_b32 s16, 0x7060302
	s_add_u32 s8, s8, s34
	s_addc_u32 s9, s9, s35
	s_mov_b32 s11, 0x20000
	s_and_b32 s9, s9, 0xffff
	v_perm_b32 v2, v13, v12, s16
	v_perm_b32 v3, v11, v10, s16
	;; [unrolled: 1-line block ×4, first 2 shown]
	v_lshlrev_b32_e32 v15, 4, v0
	buffer_store_dwordx4 v[2:5], v15, s[8:11], 0 offen
	;;#ASMSTART
	s_nop 0
	;;#ASMEND
	s_nop 0
	v_mov_b32_e32 v2, 0x2edbe6ff
.LBB346_16:
	s_or_b64 exec, exec, s[14:15]
	s_and_saveexec_b64 s[8:9], s[2:3]
	s_cbranch_execz .LBB346_18
; %bb.17:
	v_and_b32_e32 v3, 0x7fffffff, v12
	v_and_b32_e32 v4, 0x7fffffff, v13
	;;#ASMSTART
	v_max3_f32 v2, v2, v3, v4

	;;#ASMEND
	v_and_b32_e32 v3, 0x7fffffff, v10
	v_and_b32_e32 v4, 0x7fffffff, v11
	;;#ASMSTART
	v_max3_f32 v2, v2, v3, v4

	;;#ASMEND
	;; [unrolled: 6-line block ×4, first 2 shown]
.LBB346_18:
	s_or_b64 exec, exec, s[8:9]
	;;#ASMSTART
	v_max_f32 v3, v2, v2 quad_perm:[1,0,3,2] row_mask:0xf bank_mask:0xf bound_ctrl:1
	;;#ASMEND
	;;#ASMSTART
	v_max_f32 v2, v3, v3 quad_perm:[2,3,0,1] row_mask:0xf bank_mask:0xf bound_ctrl:1
	;;#ASMEND
	;;#ASMSTART
	v_max_f32 v3, v2, v2 row_half_mirror row_mask:0xf bank_mask:0xf bound_ctrl:1
	;;#ASMEND
	;;#ASMSTART
	v_max_f32 v2, v3, v3 row_mirror row_mask:0xf bank_mask:0xf bound_ctrl:1
	;;#ASMEND
	v_and_b32_e32 v3, 15, v0
	v_cmp_eq_u32_e32 vcc, 0, v3
	v_cmp_gt_i32_e64 s[8:9], s19, v1
	v_mul_f32_e32 v2, 0x3b124925, v2
	s_and_b64 s[10:11], vcc, s[8:9]
	s_and_saveexec_b64 s[8:9], s[10:11]
	s_cbranch_execz .LBB346_20
; %bb.19:
	s_load_dwordx2 s[10:11], s[4:5], 0x8
	s_waitcnt lgkmcnt(0)
	s_mul_hi_i32 s15, s25, s6
	s_mul_i32 s14, s25, s6
	v_lshrrev_b32_e32 v3, 4, v0
	s_lshl_b64 s[14:15], s[14:15], 2
	v_mad_i64_i32 v[4:5], s[26:27], s26, v3, 0
	s_add_u32 s10, s10, s14
	s_addc_u32 s11, s11, s15
	v_lshlrev_b64 v[4:5], 2, v[4:5]
	v_mov_b32_e32 v3, s11
	v_add_co_u32_e32 v4, vcc, s10, v4
	v_addc_co_u32_e32 v5, vcc, v3, v5, vcc
	global_store_dword v[4:5], v2, off
.LBB346_20:
	s_or_b64 exec, exec, s[8:9]
	;;#ASMSTART
	v_rcp_f32 v2, v2
	;;#ASMEND
	s_and_saveexec_b64 s[14:15], s[2:3]
	s_cbranch_execz .LBB346_22
; %bb.21:
	s_load_dwordx2 s[2:3], s[4:5], 0x0
	s_waitcnt lgkmcnt(0)
	s_mul_i32 s8, s24, s6
	s_mul_hi_i32 s9, s24, s6
	v_mov_b32_e32 v3, v2
	;;#ASMSTART
	v_pk_mul_f32 v[4:5], v[12:13], v[2:3]
	;;#ASMEND
	s_add_u32 s8, s2, s8
	s_addc_u32 s2, s3, s9
	s_add_i32 s3, s19, 3
	s_ashr_i32 s9, s3, 31
	v_mov_b32_e32 v12, 0xc3e00000
	v_mov_b32_e32 v13, 0x43e00000
	;;#ASMSTART
	v_med3_f32 v4, v4, v12, v13
v_med3_f32 v5, v5, v12, v13
v_cvt_pk_fp8_f32 v15, v4, v5
	;;#ASMEND
	s_lshr_b32 s9, s9, 30
	;;#ASMSTART
	v_pk_mul_f32 v[4:5], v[10:11], v[2:3]
	;;#ASMEND
	s_add_i32 s3, s3, s9
	s_and_b32 s9, s2, 0xffff
	;;#ASMSTART
	v_med3_f32 v4, v4, v12, v13
v_med3_f32 v5, v5, v12, v13
v_cvt_pk_fp8_f32 v10, v4, v5
	;;#ASMEND
	s_mov_b32 s2, 0x5040100
	v_perm_b32 v5, v10, v15, s2
	s_movk_i32 s2, 0xff
	v_and_b32_e32 v4, 0xffffff00, v10
	v_and_b32_sdwa v10, v5, s2 dst_sel:DWORD dst_unused:UNUSED_PAD src0_sel:WORD_1 src1_sel:DWORD
	s_mov_b32 s16, 0xffff
	v_or_b32_sdwa v4, v10, v4 dst_sel:WORD_1 dst_unused:UNUSED_PAD src0_sel:DWORD src1_sel:DWORD
	v_and_or_b32 v4, v5, s16, v4
	;;#ASMSTART
	v_pk_mul_f32 v[8:9], v[8:9], v[2:3]
	;;#ASMEND
	v_mov_b32_e32 v5, v9
	;;#ASMSTART
	v_med3_f32 v8, v8, v12, v13
v_med3_f32 v5, v5, v12, v13
v_cvt_pk_fp8_f32 v9, v8, v5
	;;#ASMEND
	;;#ASMSTART
	v_pk_mul_f32 v[2:3], v[6:7], v[2:3]
	;;#ASMEND
	;;#ASMSTART
	v_med3_f32 v2, v2, v12, v13
v_med3_f32 v3, v3, v12, v13
v_cvt_pk_fp8_f32 v5, v2, v3
	;;#ASMEND
	v_lshlrev_b32_e32 v2, 16, v5
	s_and_b32 s10, s3, -4
	s_mov_b32 s11, 0x20000
	v_and_or_b32 v5, v9, s16, v2
	buffer_store_dwordx2 v[4:5], v1, s[8:11], 0 offen
	;;#ASMSTART
	s_nop 0
	;;#ASMEND
.LBB346_22:
	s_or_b64 exec, exec, s[14:15]
	s_cmp_lt_i32 s20, 1
	s_cbranch_scc1 .LBB346_10
.LBB346_23:
	s_load_dword s2, s[4:5], 0x94
	s_waitcnt lgkmcnt(0)
	s_cmp_lg_u32 s2, 1
	s_cbranch_scc1 .LBB346_10
; %bb.24:
	s_lshl_b32 s2, s20, 1
	s_add_i32 s2, s2, 2
	v_cmp_gt_u32_e32 vcc, s20, v1
	s_and_b32 s14, s2, -4
	v_mov_b32_e32 v6, 0
	v_lshlrev_b32_e32 v1, 4, v0
	v_mov_b32_e32 v7, 0
	v_mov_b32_e32 v8, 0
	v_mov_b32_e32 v9, 0
	s_waitcnt vmcnt(0)
	v_mov_b32_e32 v2, 0
	v_mov_b32_e32 v3, 0
	;; [unrolled: 1-line block ×4, first 2 shown]
	s_barrier
	s_and_saveexec_b64 s[2:3], vcc
	s_cbranch_execz .LBB346_26
; %bb.25:
	s_mul_hi_i32 s5, s22, s6
	s_mul_i32 s4, s22, s6
	s_and_b32 s13, s13, 0xffff
	s_lshl_b64 s[4:5], s[4:5], 1
	s_add_u32 s8, s30, s4
	s_mov_b32 s15, 0x20000
	s_addc_u32 s4, s31, s5
	s_and_b32 s9, s4, 0xffff
	s_mov_b32 s10, s14
	s_mov_b32 s11, s15
	buffer_load_dwordx4 v[6:9], v1, s[8:11], 0 offen glc slc
	buffer_load_dwordx4 v[2:5], v1, s[12:15], 0 offen
.LBB346_26:
	s_or_b64 exec, exec, s[2:3]
	s_waitcnt vmcnt(1)
	v_cvt_f32_u32_sdwa v13, v6 dst_sel:DWORD dst_unused:UNUSED_PAD src0_sel:WORD_1
	v_cvt_f32_u32_sdwa v12, v6 dst_sel:DWORD dst_unused:UNUSED_PAD src0_sel:WORD_0
	v_cvt_f32_u32_sdwa v6, v9 dst_sel:DWORD dst_unused:UNUSED_PAD src0_sel:WORD_1
	v_cvt_f32_u32_sdwa v9, v9 dst_sel:DWORD dst_unused:UNUSED_PAD src0_sel:WORD_0
	;; [unrolled: 2-line block ×4, first 2 shown]
	v_cndmask_b32_e32 v13, 0, v13, vcc
	v_cndmask_b32_e32 v7, 0, v6, vcc
	;; [unrolled: 1-line block ×5, first 2 shown]
	v_mul_f32_e32 v15, v13, v13
	v_cndmask_b32_e32 v10, 0, v10, vcc
	v_fmac_f32_e32 v15, v12, v12
	v_cndmask_b32_e32 v11, 0, v11, vcc
	v_fmac_f32_e32 v15, v10, v10
	;; [unrolled: 2-line block ×3, first 2 shown]
	v_fmac_f32_e32 v15, v8, v8
	v_fmac_f32_e32 v15, v9, v9
	;; [unrolled: 1-line block ×4, first 2 shown]
	s_nop 1
	v_mov_b32_dpp v16, v15 quad_perm:[1,0,3,2] row_mask:0xf bank_mask:0xf
	v_add_f32_e32 v15, v15, v16
	s_nop 1
	v_mov_b32_dpp v16, v15 quad_perm:[2,3,0,1] row_mask:0xf bank_mask:0xf
	v_add_f32_e32 v15, v15, v16
	s_nop 1
	v_mov_b32_dpp v16, v15 row_half_mirror row_mask:0xf bank_mask:0xf
	v_add_f32_e32 v15, v15, v16
	s_nop 1
	v_mov_b32_dpp v16, v15 row_mirror row_mask:0xf bank_mask:0xf
	v_add_f32_e32 v15, v15, v16
	s_nop 1
	v_mov_b32_dpp v16, v15 row_bcast:15 row_mask:0xf bank_mask:0xf
	v_add_f32_e32 v15, v15, v16
	s_nop 1
	v_mov_b32_dpp v16, v15 row_bcast:31 row_mask:0xf bank_mask:0xf
	s_and_saveexec_b64 s[2:3], s[0:1]
	s_cbranch_execz .LBB346_28
; %bb.27:
	v_lshrrev_b32_e32 v0, 4, v0
	v_add_f32_e32 v15, v15, v16
	v_and_b32_e32 v0, 60, v0
	ds_write_b32 v0, v15
.LBB346_28:
	s_or_b64 exec, exec, s[2:3]
	s_waitcnt lgkmcnt(0)
	s_barrier
	ds_read_b32 v0, v14
	s_waitcnt lgkmcnt(0)
	s_nop 0
	v_mov_b32_dpp v14, v0 quad_perm:[1,0,3,2] row_mask:0xf bank_mask:0xf
	s_and_saveexec_b64 s[0:1], vcc
	s_cbranch_execz .LBB346_10
; %bb.29:
	v_cvt_f32_u32_e32 v15, s20
	v_add_f32_e32 v0, v0, v14
	s_mov_b32 s15, 0x20000
	v_div_scale_f32 v14, s[0:1], v15, v15, v0
	v_rcp_f32_e32 v16, v14
	v_div_scale_f32 v17, vcc, v0, v15, v0
	s_mov_b32 s0, 0x800000
	v_fma_f32 v18, -v14, v16, 1.0
	v_fmac_f32_e32 v16, v18, v16
	v_mul_f32_e32 v18, v17, v16
	v_fma_f32 v19, -v14, v18, v17
	v_fmac_f32_e32 v18, v19, v16
	v_fma_f32 v14, -v14, v18, v17
	v_div_fmas_f32 v14, v14, v16, v18
	v_div_fixup_f32 v0, v14, v15, v0
	v_add_f32_e32 v0, s17, v0
	v_mul_f32_e32 v14, 0x4b800000, v0
	v_cmp_gt_f32_e32 vcc, s0, v0
	v_cndmask_b32_e32 v0, v0, v14, vcc
	v_rsq_f32_e32 v0, v0
	s_waitcnt vmcnt(0)
	v_cvt_f32_u32_sdwa v17, v2 dst_sel:DWORD dst_unused:UNUSED_PAD src0_sel:WORD_1
	v_cvt_f32_u32_sdwa v16, v2 dst_sel:DWORD dst_unused:UNUSED_PAD src0_sel:WORD_0
	v_cvt_f32_u32_sdwa v19, v3 dst_sel:DWORD dst_unused:UNUSED_PAD src0_sel:WORD_1
	v_mul_f32_e32 v14, 0x45800000, v0
	v_cndmask_b32_e32 v14, v0, v14, vcc
	v_mov_b32_e32 v15, v14
	;;#ASMSTART
	v_pk_mul_f32 v[12:13], v[12:13], v[14:15]
	;;#ASMEND
	;;#ASMSTART
	v_pk_mul_f32 v[10:11], v[10:11], v[14:15]
	;;#ASMEND
	;; [unrolled: 3-line block ×3, first 2 shown]
	v_cvt_f32_u32_sdwa v18, v3 dst_sel:DWORD dst_unused:UNUSED_PAD src0_sel:WORD_0
	;;#ASMSTART
	v_pk_mul_f32 v[2:3], v[6:7], v[14:15]
	;;#ASMEND
	v_cvt_f32_u32_sdwa v15, v4 dst_sel:DWORD dst_unused:UNUSED_PAD src0_sel:WORD_1
	v_cvt_f32_u32_sdwa v14, v4 dst_sel:DWORD dst_unused:UNUSED_PAD src0_sel:WORD_0
	v_pk_add_f32 v[6:7], v[16:17], 1.0 op_sel_hi:[1,0]
	v_cvt_f32_u32_sdwa v17, v5 dst_sel:DWORD dst_unused:UNUSED_PAD src0_sel:WORD_1
	v_cvt_f32_u32_sdwa v16, v5 dst_sel:DWORD dst_unused:UNUSED_PAD src0_sel:WORD_0
	s_mul_hi_i32 s1, s7, s6
	s_mul_i32 s0, s7, s6
	s_lshl_b64 s[0:1], s[0:1], 1
	s_add_u32 s12, s28, s0
	;;#ASMSTART
	v_pk_mul_f32 v[6:7], v[12:13], v[6:7]
	;;#ASMEND
	v_pk_add_f32 v[12:13], v[18:19], 1.0 op_sel_hi:[1,0]
	;;#ASMSTART
	v_pk_mul_f32 v[4:5], v[10:11], v[12:13]
	;;#ASMEND
	v_pk_add_f32 v[10:11], v[14:15], 1.0 op_sel_hi:[1,0]
	s_addc_u32 s0, s29, s1
	;;#ASMSTART
	v_pk_mul_f32 v[8:9], v[8:9], v[10:11]
	;;#ASMEND
	v_pk_add_f32 v[10:11], v[16:17], 1.0 op_sel_hi:[1,0]
	s_and_b32 s13, s0, 0xffff
	s_mov_b32 s0, 0x7060302
	;;#ASMSTART
	v_pk_mul_f32 v[10:11], v[2:3], v[10:11]
	;;#ASMEND
	v_perm_b32 v2, v7, v6, s0
	v_perm_b32 v3, v5, v4, s0
	;; [unrolled: 1-line block ×4, first 2 shown]
	buffer_store_dwordx4 v[2:5], v1, s[12:15], 0 offen
	;;#ASMSTART
	s_nop 0
	;;#ASMEND
	s_endpgm
	.section	.rodata,"a",@progbits
	.p2align	6, 0x0
	.amdhsa_kernel _ZN5aiter35fused_qk_rmsnorm_group_quant_kernelItDB8_Li128ELi8ELi16ELb0ELb1ELb1ELb0ELb0ELb0EEEvPT0_PvPT_S6_S6_PKS5_S8_S8_S8_S8_ffiiiiiiiiiiiii
		.amdhsa_group_segment_fixed_size 16
		.amdhsa_private_segment_fixed_size 0
		.amdhsa_kernarg_size 400
		.amdhsa_user_sgpr_count 6
		.amdhsa_user_sgpr_private_segment_buffer 1
		.amdhsa_user_sgpr_dispatch_ptr 0
		.amdhsa_user_sgpr_queue_ptr 0
		.amdhsa_user_sgpr_kernarg_segment_ptr 1
		.amdhsa_user_sgpr_dispatch_id 0
		.amdhsa_user_sgpr_flat_scratch_init 0
		.amdhsa_user_sgpr_kernarg_preload_length 0
		.amdhsa_user_sgpr_kernarg_preload_offset 0
		.amdhsa_user_sgpr_private_segment_size 0
		.amdhsa_uses_dynamic_stack 0
		.amdhsa_system_sgpr_private_segment_wavefront_offset 0
		.amdhsa_system_sgpr_workgroup_id_x 1
		.amdhsa_system_sgpr_workgroup_id_y 1
		.amdhsa_system_sgpr_workgroup_id_z 0
		.amdhsa_system_sgpr_workgroup_info 0
		.amdhsa_system_vgpr_workitem_id 0
		.amdhsa_next_free_vgpr 23
		.amdhsa_next_free_sgpr 36
		.amdhsa_accum_offset 24
		.amdhsa_reserve_vcc 1
		.amdhsa_reserve_flat_scratch 0
		.amdhsa_float_round_mode_32 0
		.amdhsa_float_round_mode_16_64 0
		.amdhsa_float_denorm_mode_32 3
		.amdhsa_float_denorm_mode_16_64 3
		.amdhsa_dx10_clamp 1
		.amdhsa_ieee_mode 1
		.amdhsa_fp16_overflow 0
		.amdhsa_tg_split 0
		.amdhsa_exception_fp_ieee_invalid_op 0
		.amdhsa_exception_fp_denorm_src 0
		.amdhsa_exception_fp_ieee_div_zero 0
		.amdhsa_exception_fp_ieee_overflow 0
		.amdhsa_exception_fp_ieee_underflow 0
		.amdhsa_exception_fp_ieee_inexact 0
		.amdhsa_exception_int_div_zero 0
	.end_amdhsa_kernel
	.section	.text._ZN5aiter35fused_qk_rmsnorm_group_quant_kernelItDB8_Li128ELi8ELi16ELb0ELb1ELb1ELb0ELb0ELb0EEEvPT0_PvPT_S6_S6_PKS5_S8_S8_S8_S8_ffiiiiiiiiiiiii,"axG",@progbits,_ZN5aiter35fused_qk_rmsnorm_group_quant_kernelItDB8_Li128ELi8ELi16ELb0ELb1ELb1ELb0ELb0ELb0EEEvPT0_PvPT_S6_S6_PKS5_S8_S8_S8_S8_ffiiiiiiiiiiiii,comdat
.Lfunc_end346:
	.size	_ZN5aiter35fused_qk_rmsnorm_group_quant_kernelItDB8_Li128ELi8ELi16ELb0ELb1ELb1ELb0ELb0ELb0EEEvPT0_PvPT_S6_S6_PKS5_S8_S8_S8_S8_ffiiiiiiiiiiiii, .Lfunc_end346-_ZN5aiter35fused_qk_rmsnorm_group_quant_kernelItDB8_Li128ELi8ELi16ELb0ELb1ELb1ELb0ELb0ELb0EEEvPT0_PvPT_S6_S6_PKS5_S8_S8_S8_S8_ffiiiiiiiiiiiii
                                        ; -- End function
	.section	.AMDGPU.csdata,"",@progbits
; Kernel info:
; codeLenInByte = 2660
; NumSgprs: 40
; NumVgprs: 23
; NumAgprs: 0
; TotalNumVgprs: 23
; ScratchSize: 0
; MemoryBound: 0
; FloatMode: 240
; IeeeMode: 1
; LDSByteSize: 16 bytes/workgroup (compile time only)
; SGPRBlocks: 4
; VGPRBlocks: 2
; NumSGPRsForWavesPerEU: 40
; NumVGPRsForWavesPerEU: 23
; AccumOffset: 24
; Occupancy: 8
; WaveLimiterHint : 0
; COMPUTE_PGM_RSRC2:SCRATCH_EN: 0
; COMPUTE_PGM_RSRC2:USER_SGPR: 6
; COMPUTE_PGM_RSRC2:TRAP_HANDLER: 0
; COMPUTE_PGM_RSRC2:TGID_X_EN: 1
; COMPUTE_PGM_RSRC2:TGID_Y_EN: 1
; COMPUTE_PGM_RSRC2:TGID_Z_EN: 0
; COMPUTE_PGM_RSRC2:TIDIG_COMP_CNT: 0
; COMPUTE_PGM_RSRC3_GFX90A:ACCUM_OFFSET: 5
; COMPUTE_PGM_RSRC3_GFX90A:TG_SPLIT: 0
	.section	.text._ZN5aiter35fused_qk_rmsnorm_group_quant_kernelIDF16_N4opus5fp4_tELi128ELi8ELi16ELb0ELb1ELb1ELb0ELb0ELb0EEEvPT0_PvPT_S7_S7_PKS6_S9_S9_S9_S9_ffiiiiiiiiiiiii,"axG",@progbits,_ZN5aiter35fused_qk_rmsnorm_group_quant_kernelIDF16_N4opus5fp4_tELi128ELi8ELi16ELb0ELb1ELb1ELb0ELb0ELb0EEEvPT0_PvPT_S7_S7_PKS6_S9_S9_S9_S9_ffiiiiiiiiiiiii,comdat
	.protected	_ZN5aiter35fused_qk_rmsnorm_group_quant_kernelIDF16_N4opus5fp4_tELi128ELi8ELi16ELb0ELb1ELb1ELb0ELb0ELb0EEEvPT0_PvPT_S7_S7_PKS6_S9_S9_S9_S9_ffiiiiiiiiiiiii ; -- Begin function _ZN5aiter35fused_qk_rmsnorm_group_quant_kernelIDF16_N4opus5fp4_tELi128ELi8ELi16ELb0ELb1ELb1ELb0ELb0ELb0EEEvPT0_PvPT_S7_S7_PKS6_S9_S9_S9_S9_ffiiiiiiiiiiiii
	.globl	_ZN5aiter35fused_qk_rmsnorm_group_quant_kernelIDF16_N4opus5fp4_tELi128ELi8ELi16ELb0ELb1ELb1ELb0ELb0ELb0EEEvPT0_PvPT_S7_S7_PKS6_S9_S9_S9_S9_ffiiiiiiiiiiiii
	.p2align	8
	.type	_ZN5aiter35fused_qk_rmsnorm_group_quant_kernelIDF16_N4opus5fp4_tELi128ELi8ELi16ELb0ELb1ELb1ELb0ELb0ELb0EEEvPT0_PvPT_S7_S7_PKS6_S9_S9_S9_S9_ffiiiiiiiiiiiii,@function
_ZN5aiter35fused_qk_rmsnorm_group_quant_kernelIDF16_N4opus5fp4_tELi128ELi8ELi16ELb0ELb1ELb1ELb0ELb0ELb0EEEvPT0_PvPT_S7_S7_PKS6_S9_S9_S9_S9_ffiiiiiiiiiiiii: ; @_ZN5aiter35fused_qk_rmsnorm_group_quant_kernelIDF16_N4opus5fp4_tELi128ELi8ELi16ELb0ELb1ELb1ELb0ELb0ELb0EEEvPT0_PvPT_S7_S7_PKS6_S9_S9_S9_S9_ffiiiiiiiiiiiii
; %bb.0:
	s_load_dwordx4 s[16:19], s[4:5], 0x50
	s_waitcnt lgkmcnt(0)
	s_cmp_ge_i32 s6, s18
	s_cbranch_scc1 .LBB347_12
; %bb.1:
	s_load_dwordx2 s[12:13], s[4:5], 0x48
	s_load_dwordx2 s[30:31], s[4:5], 0x30
	s_load_dwordx4 s[20:23], s[4:5], 0x60
	s_cmp_lg_u32 s7, 0
	s_cselect_b64 s[14:15], -1, 0
	s_cmp_eq_u32 s7, 0
	s_cselect_b64 vcc, -1, 0
	s_and_b64 s[0:1], vcc, exec
	s_waitcnt lgkmcnt(0)
	s_cselect_b32 s7, s19, s20
	s_add_i32 s0, s7, 1
	s_lshr_b32 s1, s0, 31
	s_add_i32 s0, s0, s1
	s_lshl_b32 s0, s0, 1
	v_lshlrev_b32_e32 v1, 3, v0
	s_and_b32 s10, s0, -4
	v_cmp_gt_i32_e64 s[2:3], s7, v1
	v_mov_b32_e32 v10, 0
	v_mov_b32_e32 v2, 0
	;; [unrolled: 1-line block ×9, first 2 shown]
	s_and_saveexec_b64 s[0:1], s[2:3]
	s_cbranch_execz .LBB347_3
; %bb.2:
	s_load_dwordx2 s[8:9], s[4:5], 0x28
	s_load_dwordx2 s[26:27], s[4:5], 0x40
	s_and_b64 s[24:25], vcc, exec
	s_cselect_b32 s11, s21, s22
	v_lshlrev_b32_e32 v11, 4, v0
	s_waitcnt lgkmcnt(0)
	s_cselect_b32 s18, s9, s31
	s_cselect_b32 s21, s8, s30
	s_mul_hi_i32 s9, s11, s6
	s_mul_i32 s8, s11, s6
	s_lshl_b64 s[8:9], s[8:9], 1
	s_add_u32 s24, s21, s8
	s_addc_u32 s18, s18, s9
	s_and_b64 s[8:9], vcc, exec
	s_mov_b32 s11, 0x20000
	s_cselect_b32 s8, s26, s12
	s_cselect_b32 s9, s27, s13
	s_and_b32 s25, s18, 0xffff
	s_mov_b32 s26, s10
	s_mov_b32 s27, s11
	s_and_b32 s9, s9, 0xffff
	buffer_load_dwordx4 v[6:9], v11, s[24:27], 0 offen glc slc
	buffer_load_dwordx4 v[2:5], v11, s[8:11], 0 offen
.LBB347_3:
	s_or_b64 exec, exec, s[0:1]
	v_mov_b32_e32 v11, 0
	v_mov_b32_e32 v16, 0
	;; [unrolled: 1-line block ×7, first 2 shown]
	s_and_saveexec_b64 s[0:1], s[2:3]
	s_cbranch_execz .LBB347_5
; %bb.4:
	s_waitcnt vmcnt(1)
	v_cvt_f32_f16_sdwa v11, v6 dst_sel:DWORD dst_unused:UNUSED_PAD src0_sel:WORD_1
	v_cvt_f32_f16_e32 v10, v6
	v_cvt_f32_f16_sdwa v17, v7 dst_sel:DWORD dst_unused:UNUSED_PAD src0_sel:WORD_1
	v_cvt_f32_f16_e32 v16, v7
	;; [unrolled: 2-line block ×4, first 2 shown]
.LBB347_5:
	s_or_b64 exec, exec, s[0:1]
	s_waitcnt vmcnt(1)
	v_mul_f32_e32 v6, v11, v11
	v_fmac_f32_e32 v6, v10, v10
	v_fmac_f32_e32 v6, v16, v16
	;; [unrolled: 1-line block ×7, first 2 shown]
	v_and_b32_e32 v8, 63, v0
	v_cmp_eq_u32_e64 s[0:1], 63, v8
	v_mov_b32_dpp v7, v6 quad_perm:[1,0,3,2] row_mask:0xf bank_mask:0xf
	v_add_f32_e32 v6, v6, v7
	s_nop 1
	v_mov_b32_dpp v7, v6 quad_perm:[2,3,0,1] row_mask:0xf bank_mask:0xf
	v_add_f32_e32 v6, v6, v7
	s_nop 1
	v_mov_b32_dpp v7, v6 row_half_mirror row_mask:0xf bank_mask:0xf
	v_add_f32_e32 v6, v6, v7
	s_nop 1
	v_mov_b32_dpp v7, v6 row_mirror row_mask:0xf bank_mask:0xf
	v_add_f32_e32 v6, v6, v7
	s_nop 1
	v_mov_b32_dpp v7, v6 row_bcast:15 row_mask:0xf bank_mask:0xf
	v_add_f32_e32 v6, v6, v7
	s_nop 1
	v_mov_b32_dpp v7, v6 row_bcast:31 row_mask:0xf bank_mask:0xf
	s_and_saveexec_b64 s[8:9], s[0:1]
	s_cbranch_execz .LBB347_7
; %bb.6:
	v_add_f32_e32 v6, v6, v7
	v_lshrrev_b32_e32 v7, 4, v0
	v_and_b32_e32 v7, 60, v7
	ds_write_b32 v7, v6 offset:8
.LBB347_7:
	s_or_b64 exec, exec, s[8:9]
	v_and_b32_e32 v6, 1, v0
	v_lshlrev_b32_e32 v18, 2, v6
	s_waitcnt lgkmcnt(0)
	s_barrier
	ds_read_b32 v6, v18 offset:8
	s_load_dwordx2 s[28:29], s[4:5], 0x18
	s_waitcnt lgkmcnt(0)
	v_mov_b32_dpp v7, v6 quad_perm:[1,0,3,2] row_mask:0xf bank_mask:0xf
	s_and_saveexec_b64 s[8:9], s[2:3]
	s_cbranch_execz .LBB347_9
; %bb.8:
	v_cvt_f32_u32_e32 v8, s7
	v_add_f32_e32 v6, v6, v7
	v_mov_b32_e32 v19, s17
	v_mov_b32_e32 v20, s16
	v_div_scale_f32 v7, s[24:25], v8, v8, v6
	v_rcp_f32_e32 v9, v7
	v_cndmask_b32_e32 v19, v19, v20, vcc
	s_mov_b32 s7, 0x800000
	v_fma_f32 v20, -v7, v9, 1.0
	v_fmac_f32_e32 v9, v20, v9
	v_div_scale_f32 v20, vcc, v6, v8, v6
	v_mul_f32_e32 v21, v20, v9
	v_fma_f32 v22, -v7, v21, v20
	v_fmac_f32_e32 v21, v22, v9
	v_fma_f32 v7, -v7, v21, v20
	v_div_fmas_f32 v7, v7, v9, v21
	v_div_fixup_f32 v6, v7, v8, v6
	v_add_f32_e32 v6, v19, v6
	v_mul_f32_e32 v7, 0x4b800000, v6
	v_cmp_gt_f32_e32 vcc, s7, v6
	v_cndmask_b32_e32 v6, v6, v7, vcc
	v_rsq_f32_e32 v6, v6
	s_waitcnt vmcnt(0)
	v_cvt_f32_f16_sdwa v21, v3 dst_sel:DWORD dst_unused:UNUSED_PAD src0_sel:WORD_1
	v_cvt_f32_f16_e32 v20, v3
	v_mul_f32_e32 v7, 0x45800000, v6
	v_cndmask_b32_e32 v6, v6, v7, vcc
	v_mov_b32_e32 v7, v6
	;;#ASMSTART
	v_pk_mul_f32 v[8:9], v[10:11], v[6:7]
	;;#ASMEND
	v_cvt_f32_f16_sdwa v11, v2 dst_sel:DWORD dst_unused:UNUSED_PAD src0_sel:WORD_1
	v_cvt_f32_f16_e32 v10, v2
	;;#ASMSTART
	v_pk_mul_f32 v[16:17], v[16:17], v[6:7]
	;;#ASMEND
	;;#ASMSTART
	v_pk_mul_f32 v[14:15], v[14:15], v[6:7]
	;;#ASMEND
	;; [unrolled: 3-line block ×3, first 2 shown]
	v_pk_add_f32 v[6:7], v[10:11], 1.0 op_sel_hi:[1,0]
	;;#ASMSTART
	v_pk_mul_f32 v[10:11], v[8:9], v[6:7]
	;;#ASMEND
	v_cvt_f32_f16_sdwa v9, v4 dst_sel:DWORD dst_unused:UNUSED_PAD src0_sel:WORD_1
	v_cvt_f32_f16_e32 v8, v4
	v_cvt_f32_f16_sdwa v13, v5 dst_sel:DWORD dst_unused:UNUSED_PAD src0_sel:WORD_1
	v_cvt_f32_f16_e32 v12, v5
	v_pk_add_f32 v[6:7], v[20:21], 1.0 op_sel_hi:[1,0]
	v_pk_add_f32 v[4:5], v[8:9], 1.0 op_sel_hi:[1,0]
	;;#ASMSTART
	v_pk_mul_f32 v[16:17], v[16:17], v[6:7]
	;;#ASMEND
	;;#ASMSTART
	v_pk_mul_f32 v[14:15], v[14:15], v[4:5]
	;;#ASMEND
	v_pk_add_f32 v[4:5], v[12:13], 1.0 op_sel_hi:[1,0]
	;;#ASMSTART
	v_pk_mul_f32 v[12:13], v[2:3], v[4:5]
	;;#ASMEND
.LBB347_9:
	s_or_b64 exec, exec, s[8:9]
	s_load_dword s7, s[4:5], 0x80
	s_mov_b64 s[8:9], -1
	s_and_b64 vcc, exec, s[14:15]
	s_cbranch_vccnz .LBB347_13
; %bb.10:
	s_andn2_b64 vcc, exec, s[8:9]
	s_cbranch_vccz .LBB347_16
.LBB347_11:
	s_cmp_lt_i32 s20, 1
	s_cbranch_scc0 .LBB347_25
.LBB347_12:
	s_endpgm
.LBB347_13:
	s_and_saveexec_b64 s[14:15], s[2:3]
	s_cbranch_execz .LBB347_15
; %bb.14:
	s_waitcnt lgkmcnt(0)
	s_mul_hi_i32 s9, s7, s6
	s_mul_i32 s8, s7, s6
	s_waitcnt vmcnt(0)
	v_cvt_f16_f32_e32 v2, v10
	v_cvt_f16_f32_e32 v3, v16
	;; [unrolled: 1-line block ×8, first 2 shown]
	s_lshl_b64 s[8:9], s[8:9], 1
	s_add_u32 s8, s28, s8
	s_addc_u32 s9, s29, s9
	s_and_b32 s9, s9, 0xffff
	s_mov_b32 s11, 0x20000
	v_pack_b32_f16 v5, v5, v6
	v_pack_b32_f16 v4, v4, v7
	v_pack_b32_f16 v3, v3, v8
	v_pack_b32_f16 v2, v2, v9
	v_lshlrev_b32_e32 v6, 4, v0
	buffer_store_dwordx4 v[2:5], v6, s[8:11], 0 offen
	;;#ASMSTART
	s_nop 0
	;;#ASMEND
.LBB347_15:
	s_or_b64 exec, exec, s[14:15]
	s_cbranch_execnz .LBB347_11
.LBB347_16:
	s_load_dwordx4 s[24:27], s[4:5], 0x70
	s_waitcnt vmcnt(0)
	v_mov_b32_e32 v2, 0
	s_and_saveexec_b64 s[14:15], s[2:3]
	s_cbranch_execz .LBB347_18
; %bb.17:
	s_load_dwordx2 s[8:9], s[4:5], 0x10
	s_waitcnt lgkmcnt(0)
	s_mul_hi_i32 s35, s27, s6
	s_mul_i32 s34, s27, s6
	v_cvt_f16_f32_e32 v2, v10
	v_cvt_f16_f32_e32 v3, v16
	;; [unrolled: 1-line block ×8, first 2 shown]
	s_lshl_b64 s[34:35], s[34:35], 1
	s_add_u32 s8, s8, s34
	s_addc_u32 s9, s9, s35
	s_mov_b32 s11, 0x20000
	s_and_b32 s9, s9, 0xffff
	v_pack_b32_f16 v5, v5, v6
	v_pack_b32_f16 v4, v4, v7
	v_pack_b32_f16 v3, v3, v8
	v_pack_b32_f16 v2, v2, v9
	v_lshlrev_b32_e32 v6, 4, v0
	buffer_store_dwordx4 v[2:5], v6, s[8:11], 0 offen
	;;#ASMSTART
	s_nop 0
	;;#ASMEND
	s_nop 0
	v_mov_b32_e32 v2, 0x2edbe6ff
.LBB347_18:
	s_or_b64 exec, exec, s[14:15]
	s_and_saveexec_b64 s[8:9], s[2:3]
	s_cbranch_execz .LBB347_20
; %bb.19:
	v_and_b32_e32 v3, 0x7fffffff, v10
	v_and_b32_e32 v4, 0x7fffffff, v11
	;;#ASMSTART
	v_max3_f32 v2, v2, v3, v4

	;;#ASMEND
	v_and_b32_e32 v3, 0x7fffffff, v16
	v_and_b32_e32 v4, 0x7fffffff, v17
	;;#ASMSTART
	v_max3_f32 v2, v2, v3, v4

	;;#ASMEND
	;; [unrolled: 6-line block ×4, first 2 shown]
.LBB347_20:
	s_or_b64 exec, exec, s[8:9]
	;;#ASMSTART
	v_max_f32 v3, v2, v2 quad_perm:[1,0,3,2] row_mask:0xf bank_mask:0xf bound_ctrl:1
	;;#ASMEND
	;;#ASMSTART
	v_max_f32 v2, v3, v3 quad_perm:[2,3,0,1] row_mask:0xf bank_mask:0xf bound_ctrl:1
	;;#ASMEND
	;;#ASMSTART
	v_max_f32 v3, v2, v2 row_half_mirror row_mask:0xf bank_mask:0xf bound_ctrl:1
	;;#ASMEND
	;;#ASMSTART
	v_max_f32 v2, v3, v3 row_mirror row_mask:0xf bank_mask:0xf bound_ctrl:1
	;;#ASMEND
	v_and_b32_e32 v3, 15, v0
	v_cmp_eq_u32_e32 vcc, 0, v3
	v_cmp_gt_i32_e64 s[8:9], s19, v1
	s_and_b64 s[10:11], vcc, s[8:9]
	s_and_saveexec_b64 s[8:9], s[10:11]
	s_cbranch_execz .LBB347_22
; %bb.21:
	s_load_dwordx2 s[10:11], s[4:5], 0x8
	v_mul_f32_e32 v2, 0x3e2aaaab, v2
	v_lshrrev_b32_e32 v3, 23, v2
	v_and_b32_e32 v4, 0x7f800000, v2
	v_and_b32_e32 v2, 0x7fffff, v2
	v_cmp_ne_u32_e32 vcc, 0, v2
	s_waitcnt lgkmcnt(0)
	s_mul_i32 s16, s25, s6
	s_mov_b32 s14, 0x7f800000
	v_addc_co_u32_e32 v2, vcc, 0, v3, vcc
	s_mul_hi_i32 s15, s25, s6
	s_add_u32 s10, s10, s16
	v_cmp_ne_u32_e32 vcc, s14, v4
	s_addc_u32 s11, s11, s15
	v_lshrrev_b32_e32 v5, 4, v0
	v_cndmask_b32_e32 v4, -1, v2, vcc
	v_pk_mov_b32 v[2:3], s[10:11], s[10:11] op_sel:[0,1]
	v_mad_i64_i32 v[2:3], s[10:11], s26, v5, v[2:3]
	global_store_byte v[2:3], v4, off
.LBB347_22:
	s_or_b64 exec, exec, s[8:9]
	s_and_saveexec_b64 s[8:9], s[2:3]
	s_cbranch_execz .LBB347_24
; %bb.23:
	s_load_dwordx2 s[2:3], s[4:5], 0x0
	s_waitcnt lgkmcnt(0)
	s_mul_i32 s11, s24, s6
	s_mul_hi_i32 s10, s24, s6
	v_lshlrev_b32_e32 v2, 2, v0
	s_mov_b32 s27, 0x20000
	s_add_u32 s24, s2, s11
	s_addc_u32 s2, s3, s10
	s_lshr_b32 s3, s19, 31
	s_add_i32 s3, s19, s3
	s_ashr_i32 s3, s3, 1
	s_add_i32 s3, s3, 3
	s_ashr_i32 s10, s3, 31
	s_lshr_b32 s10, s10, 30
	s_add_i32 s3, s3, s10
	s_and_b32 s26, s3, -4
	s_and_b32 s25, s2, 0xffff
	v_mov_b32_e32 v3, 0
	buffer_store_dword v3, v2, s[24:27], 0 offen
	;;#ASMSTART
	s_nop 0
	;;#ASMEND
.LBB347_24:
	s_or_b64 exec, exec, s[8:9]
	s_cmp_lt_i32 s20, 1
	s_cbranch_scc1 .LBB347_12
.LBB347_25:
	s_load_dword s2, s[4:5], 0x94
	s_waitcnt lgkmcnt(0)
	s_cmp_lg_u32 s2, 1
	s_cbranch_scc1 .LBB347_12
; %bb.26:
	s_lshl_b32 s2, s20, 1
	s_add_i32 s2, s2, 2
	v_cmp_gt_u32_e32 vcc, s20, v1
	s_and_b32 s14, s2, -4
	v_mov_b32_e32 v10, 0
	v_lshlrev_b32_e32 v1, 4, v0
	v_mov_b32_e32 v6, 0
	v_mov_b32_e32 v7, 0
	;; [unrolled: 1-line block ×4, first 2 shown]
	s_waitcnt vmcnt(0)
	v_mov_b32_e32 v2, 0
	v_mov_b32_e32 v3, 0
	;; [unrolled: 1-line block ×4, first 2 shown]
	s_barrier
	s_and_saveexec_b64 s[2:3], vcc
	s_cbranch_execz .LBB347_28
; %bb.27:
	s_mul_hi_i32 s5, s22, s6
	s_mul_i32 s4, s22, s6
	s_and_b32 s13, s13, 0xffff
	s_lshl_b64 s[4:5], s[4:5], 1
	s_add_u32 s8, s30, s4
	s_mov_b32 s15, 0x20000
	s_addc_u32 s4, s31, s5
	s_and_b32 s9, s4, 0xffff
	s_mov_b32 s10, s14
	s_mov_b32 s11, s15
	buffer_load_dwordx4 v[6:9], v1, s[8:11], 0 offen glc slc
	buffer_load_dwordx4 v[2:5], v1, s[12:15], 0 offen
.LBB347_28:
	s_or_b64 exec, exec, s[2:3]
	v_mov_b32_e32 v11, 0
	v_mov_b32_e32 v16, 0
	;; [unrolled: 1-line block ×7, first 2 shown]
	s_and_saveexec_b64 s[2:3], vcc
	s_cbranch_execz .LBB347_30
; %bb.29:
	s_waitcnt vmcnt(1)
	v_cvt_f32_f16_sdwa v11, v6 dst_sel:DWORD dst_unused:UNUSED_PAD src0_sel:WORD_1
	v_cvt_f32_f16_e32 v10, v6
	v_cvt_f32_f16_sdwa v17, v7 dst_sel:DWORD dst_unused:UNUSED_PAD src0_sel:WORD_1
	v_cvt_f32_f16_e32 v16, v7
	v_cvt_f32_f16_sdwa v15, v8 dst_sel:DWORD dst_unused:UNUSED_PAD src0_sel:WORD_1
	v_cvt_f32_f16_e32 v14, v8
	v_cvt_f32_f16_sdwa v13, v9 dst_sel:DWORD dst_unused:UNUSED_PAD src0_sel:WORD_1
	v_cvt_f32_f16_e32 v12, v9
.LBB347_30:
	s_or_b64 exec, exec, s[2:3]
	s_waitcnt vmcnt(1)
	v_mul_f32_e32 v6, v11, v11
	v_fmac_f32_e32 v6, v10, v10
	v_fmac_f32_e32 v6, v16, v16
	;; [unrolled: 1-line block ×7, first 2 shown]
	s_nop 1
	v_mov_b32_dpp v7, v6 quad_perm:[1,0,3,2] row_mask:0xf bank_mask:0xf
	v_add_f32_e32 v6, v6, v7
	s_nop 1
	v_mov_b32_dpp v7, v6 quad_perm:[2,3,0,1] row_mask:0xf bank_mask:0xf
	v_add_f32_e32 v6, v6, v7
	s_nop 1
	v_mov_b32_dpp v7, v6 row_half_mirror row_mask:0xf bank_mask:0xf
	v_add_f32_e32 v6, v6, v7
	s_nop 1
	v_mov_b32_dpp v7, v6 row_mirror row_mask:0xf bank_mask:0xf
	v_add_f32_e32 v6, v6, v7
	s_nop 1
	v_mov_b32_dpp v7, v6 row_bcast:15 row_mask:0xf bank_mask:0xf
	v_add_f32_e32 v6, v6, v7
	s_nop 1
	v_mov_b32_dpp v7, v6 row_bcast:31 row_mask:0xf bank_mask:0xf
	s_and_saveexec_b64 s[2:3], s[0:1]
	s_cbranch_execz .LBB347_32
; %bb.31:
	v_lshrrev_b32_e32 v0, 4, v0
	v_add_f32_e32 v6, v6, v7
	v_and_b32_e32 v0, 60, v0
	ds_write_b32 v0, v6
.LBB347_32:
	s_or_b64 exec, exec, s[2:3]
	s_waitcnt lgkmcnt(0)
	s_barrier
	ds_read_b32 v0, v18
	s_waitcnt lgkmcnt(0)
	s_nop 0
	v_mov_b32_dpp v6, v0 quad_perm:[1,0,3,2] row_mask:0xf bank_mask:0xf
	s_and_saveexec_b64 s[0:1], vcc
	s_cbranch_execz .LBB347_12
; %bb.33:
	v_cvt_f32_u32_e32 v7, s20
	v_add_f32_e32 v0, v0, v6
	s_mov_b32 s15, 0x20000
	v_div_scale_f32 v6, s[0:1], v7, v7, v0
	v_rcp_f32_e32 v8, v6
	v_div_scale_f32 v9, vcc, v0, v7, v0
	s_mov_b32 s0, 0x800000
	v_fma_f32 v18, -v6, v8, 1.0
	v_fmac_f32_e32 v8, v18, v8
	v_mul_f32_e32 v18, v9, v8
	v_fma_f32 v19, -v6, v18, v9
	v_fmac_f32_e32 v18, v19, v8
	v_fma_f32 v6, -v6, v18, v9
	v_div_fmas_f32 v6, v6, v8, v18
	v_div_fixup_f32 v0, v6, v7, v0
	v_add_f32_e32 v0, s17, v0
	v_mul_f32_e32 v6, 0x4b800000, v0
	v_cmp_gt_f32_e32 vcc, s0, v0
	v_cndmask_b32_e32 v0, v0, v6, vcc
	v_rsq_f32_e32 v0, v0
	s_waitcnt vmcnt(0)
	v_cvt_f32_f16_sdwa v19, v3 dst_sel:DWORD dst_unused:UNUSED_PAD src0_sel:WORD_1
	v_cvt_f32_f16_e32 v18, v3
	s_mul_hi_i32 s1, s7, s6
	v_mul_f32_e32 v6, 0x45800000, v0
	v_cndmask_b32_e32 v6, v0, v6, vcc
	v_mov_b32_e32 v7, v6
	;;#ASMSTART
	v_pk_mul_f32 v[8:9], v[10:11], v[6:7]
	;;#ASMEND
	;;#ASMSTART
	v_pk_mul_f32 v[10:11], v[16:17], v[6:7]
	;;#ASMEND
	v_cvt_f32_f16_sdwa v17, v2 dst_sel:DWORD dst_unused:UNUSED_PAD src0_sel:WORD_1
	v_cvt_f32_f16_e32 v16, v2
	;;#ASMSTART
	v_pk_mul_f32 v[14:15], v[14:15], v[6:7]
	;;#ASMEND
	;;#ASMSTART
	v_pk_mul_f32 v[2:3], v[12:13], v[6:7]
	;;#ASMEND
	v_cvt_f32_f16_sdwa v13, v4 dst_sel:DWORD dst_unused:UNUSED_PAD src0_sel:WORD_1
	v_cvt_f32_f16_e32 v12, v4
	v_pk_add_f32 v[6:7], v[16:17], 1.0 op_sel_hi:[1,0]
	v_cvt_f32_f16_sdwa v17, v5 dst_sel:DWORD dst_unused:UNUSED_PAD src0_sel:WORD_1
	v_cvt_f32_f16_e32 v16, v5
	;;#ASMSTART
	v_pk_mul_f32 v[6:7], v[8:9], v[6:7]
	;;#ASMEND
	v_pk_add_f32 v[8:9], v[18:19], 1.0 op_sel_hi:[1,0]
	;;#ASMSTART
	v_pk_mul_f32 v[4:5], v[10:11], v[8:9]
	;;#ASMEND
	v_pk_add_f32 v[8:9], v[12:13], 1.0 op_sel_hi:[1,0]
	;; [unrolled: 4-line block ×3, first 2 shown]
	;;#ASMSTART
	v_pk_mul_f32 v[2:3], v[2:3], v[10:11]
	;;#ASMEND
	s_mul_i32 s0, s7, s6
	v_cvt_f16_f32_e32 v0, v6
	v_cvt_f16_f32_e32 v6, v7
	;; [unrolled: 1-line block ×8, first 2 shown]
	s_lshl_b64 s[0:1], s[0:1], 1
	s_add_u32 s12, s28, s0
	s_addc_u32 s0, s29, s1
	s_and_b32 s13, s0, 0xffff
	v_pack_b32_f16 v2, v0, v6
	v_pack_b32_f16 v3, v4, v5
	v_pack_b32_f16 v4, v7, v8
	v_pack_b32_f16 v5, v9, v10
	buffer_store_dwordx4 v[2:5], v1, s[12:15], 0 offen
	;;#ASMSTART
	s_nop 0
	;;#ASMEND
	s_endpgm
	.section	.rodata,"a",@progbits
	.p2align	6, 0x0
	.amdhsa_kernel _ZN5aiter35fused_qk_rmsnorm_group_quant_kernelIDF16_N4opus5fp4_tELi128ELi8ELi16ELb0ELb1ELb1ELb0ELb0ELb0EEEvPT0_PvPT_S7_S7_PKS6_S9_S9_S9_S9_ffiiiiiiiiiiiii
		.amdhsa_group_segment_fixed_size 16
		.amdhsa_private_segment_fixed_size 0
		.amdhsa_kernarg_size 400
		.amdhsa_user_sgpr_count 6
		.amdhsa_user_sgpr_private_segment_buffer 1
		.amdhsa_user_sgpr_dispatch_ptr 0
		.amdhsa_user_sgpr_queue_ptr 0
		.amdhsa_user_sgpr_kernarg_segment_ptr 1
		.amdhsa_user_sgpr_dispatch_id 0
		.amdhsa_user_sgpr_flat_scratch_init 0
		.amdhsa_user_sgpr_kernarg_preload_length 0
		.amdhsa_user_sgpr_kernarg_preload_offset 0
		.amdhsa_user_sgpr_private_segment_size 0
		.amdhsa_uses_dynamic_stack 0
		.amdhsa_system_sgpr_private_segment_wavefront_offset 0
		.amdhsa_system_sgpr_workgroup_id_x 1
		.amdhsa_system_sgpr_workgroup_id_y 1
		.amdhsa_system_sgpr_workgroup_id_z 0
		.amdhsa_system_sgpr_workgroup_info 0
		.amdhsa_system_vgpr_workitem_id 0
		.amdhsa_next_free_vgpr 23
		.amdhsa_next_free_sgpr 36
		.amdhsa_accum_offset 24
		.amdhsa_reserve_vcc 1
		.amdhsa_reserve_flat_scratch 0
		.amdhsa_float_round_mode_32 0
		.amdhsa_float_round_mode_16_64 0
		.amdhsa_float_denorm_mode_32 3
		.amdhsa_float_denorm_mode_16_64 3
		.amdhsa_dx10_clamp 1
		.amdhsa_ieee_mode 1
		.amdhsa_fp16_overflow 0
		.amdhsa_tg_split 0
		.amdhsa_exception_fp_ieee_invalid_op 0
		.amdhsa_exception_fp_denorm_src 0
		.amdhsa_exception_fp_ieee_div_zero 0
		.amdhsa_exception_fp_ieee_overflow 0
		.amdhsa_exception_fp_ieee_underflow 0
		.amdhsa_exception_fp_ieee_inexact 0
		.amdhsa_exception_int_div_zero 0
	.end_amdhsa_kernel
	.section	.text._ZN5aiter35fused_qk_rmsnorm_group_quant_kernelIDF16_N4opus5fp4_tELi128ELi8ELi16ELb0ELb1ELb1ELb0ELb0ELb0EEEvPT0_PvPT_S7_S7_PKS6_S9_S9_S9_S9_ffiiiiiiiiiiiii,"axG",@progbits,_ZN5aiter35fused_qk_rmsnorm_group_quant_kernelIDF16_N4opus5fp4_tELi128ELi8ELi16ELb0ELb1ELb1ELb0ELb0ELb0EEEvPT0_PvPT_S7_S7_PKS6_S9_S9_S9_S9_ffiiiiiiiiiiiii,comdat
.Lfunc_end347:
	.size	_ZN5aiter35fused_qk_rmsnorm_group_quant_kernelIDF16_N4opus5fp4_tELi128ELi8ELi16ELb0ELb1ELb1ELb0ELb0ELb0EEEvPT0_PvPT_S7_S7_PKS6_S9_S9_S9_S9_ffiiiiiiiiiiiii, .Lfunc_end347-_ZN5aiter35fused_qk_rmsnorm_group_quant_kernelIDF16_N4opus5fp4_tELi128ELi8ELi16ELb0ELb1ELb1ELb0ELb0ELb0EEEvPT0_PvPT_S7_S7_PKS6_S9_S9_S9_S9_ffiiiiiiiiiiiii
                                        ; -- End function
	.section	.AMDGPU.csdata,"",@progbits
; Kernel info:
; codeLenInByte = 2484
; NumSgprs: 40
; NumVgprs: 23
; NumAgprs: 0
; TotalNumVgprs: 23
; ScratchSize: 0
; MemoryBound: 0
; FloatMode: 240
; IeeeMode: 1
; LDSByteSize: 16 bytes/workgroup (compile time only)
; SGPRBlocks: 4
; VGPRBlocks: 2
; NumSGPRsForWavesPerEU: 40
; NumVGPRsForWavesPerEU: 23
; AccumOffset: 24
; Occupancy: 8
; WaveLimiterHint : 0
; COMPUTE_PGM_RSRC2:SCRATCH_EN: 0
; COMPUTE_PGM_RSRC2:USER_SGPR: 6
; COMPUTE_PGM_RSRC2:TRAP_HANDLER: 0
; COMPUTE_PGM_RSRC2:TGID_X_EN: 1
; COMPUTE_PGM_RSRC2:TGID_Y_EN: 1
; COMPUTE_PGM_RSRC2:TGID_Z_EN: 0
; COMPUTE_PGM_RSRC2:TIDIG_COMP_CNT: 0
; COMPUTE_PGM_RSRC3_GFX90A:ACCUM_OFFSET: 5
; COMPUTE_PGM_RSRC3_GFX90A:TG_SPLIT: 0
	.section	.text._ZN5aiter35fused_qk_rmsnorm_group_quant_kernelItN4opus5fp4_tELi128ELi8ELi16ELb0ELb1ELb1ELb0ELb0ELb0EEEvPT0_PvPT_S7_S7_PKS6_S9_S9_S9_S9_ffiiiiiiiiiiiii,"axG",@progbits,_ZN5aiter35fused_qk_rmsnorm_group_quant_kernelItN4opus5fp4_tELi128ELi8ELi16ELb0ELb1ELb1ELb0ELb0ELb0EEEvPT0_PvPT_S7_S7_PKS6_S9_S9_S9_S9_ffiiiiiiiiiiiii,comdat
	.protected	_ZN5aiter35fused_qk_rmsnorm_group_quant_kernelItN4opus5fp4_tELi128ELi8ELi16ELb0ELb1ELb1ELb0ELb0ELb0EEEvPT0_PvPT_S7_S7_PKS6_S9_S9_S9_S9_ffiiiiiiiiiiiii ; -- Begin function _ZN5aiter35fused_qk_rmsnorm_group_quant_kernelItN4opus5fp4_tELi128ELi8ELi16ELb0ELb1ELb1ELb0ELb0ELb0EEEvPT0_PvPT_S7_S7_PKS6_S9_S9_S9_S9_ffiiiiiiiiiiiii
	.globl	_ZN5aiter35fused_qk_rmsnorm_group_quant_kernelItN4opus5fp4_tELi128ELi8ELi16ELb0ELb1ELb1ELb0ELb0ELb0EEEvPT0_PvPT_S7_S7_PKS6_S9_S9_S9_S9_ffiiiiiiiiiiiii
	.p2align	8
	.type	_ZN5aiter35fused_qk_rmsnorm_group_quant_kernelItN4opus5fp4_tELi128ELi8ELi16ELb0ELb1ELb1ELb0ELb0ELb0EEEvPT0_PvPT_S7_S7_PKS6_S9_S9_S9_S9_ffiiiiiiiiiiiii,@function
_ZN5aiter35fused_qk_rmsnorm_group_quant_kernelItN4opus5fp4_tELi128ELi8ELi16ELb0ELb1ELb1ELb0ELb0ELb0EEEvPT0_PvPT_S7_S7_PKS6_S9_S9_S9_S9_ffiiiiiiiiiiiii: ; @_ZN5aiter35fused_qk_rmsnorm_group_quant_kernelItN4opus5fp4_tELi128ELi8ELi16ELb0ELb1ELb1ELb0ELb0ELb0EEEvPT0_PvPT_S7_S7_PKS6_S9_S9_S9_S9_ffiiiiiiiiiiiii
; %bb.0:
	s_load_dwordx4 s[16:19], s[4:5], 0x50
	s_waitcnt lgkmcnt(0)
	s_cmp_ge_i32 s6, s18
	s_cbranch_scc1 .LBB348_10
; %bb.1:
	s_load_dwordx2 s[12:13], s[4:5], 0x48
	s_load_dwordx2 s[30:31], s[4:5], 0x30
	s_load_dwordx4 s[20:23], s[4:5], 0x60
	s_cmp_lg_u32 s7, 0
	s_cselect_b64 s[14:15], -1, 0
	s_cmp_eq_u32 s7, 0
	s_cselect_b64 vcc, -1, 0
	s_and_b64 s[0:1], vcc, exec
	s_waitcnt lgkmcnt(0)
	s_cselect_b32 s7, s19, s20
	s_add_i32 s0, s7, 1
	s_lshr_b32 s1, s0, 31
	s_add_i32 s0, s0, s1
	s_lshl_b32 s0, s0, 1
	v_lshlrev_b32_e32 v1, 3, v0
	s_and_b32 s10, s0, -4
	v_cmp_gt_i32_e64 s[2:3], s7, v1
	v_mov_b32_e32 v2, 0
	v_mov_b32_e32 v3, 0
	;; [unrolled: 1-line block ×8, first 2 shown]
	s_and_saveexec_b64 s[0:1], s[2:3]
	s_cbranch_execz .LBB348_3
; %bb.2:
	s_load_dwordx2 s[8:9], s[4:5], 0x28
	s_load_dwordx2 s[26:27], s[4:5], 0x40
	s_and_b64 s[24:25], vcc, exec
	s_cselect_b32 s11, s21, s22
	v_lshlrev_b32_e32 v10, 4, v0
	s_waitcnt lgkmcnt(0)
	s_cselect_b32 s18, s9, s31
	s_cselect_b32 s21, s8, s30
	s_mul_hi_i32 s9, s11, s6
	s_mul_i32 s8, s11, s6
	s_lshl_b64 s[8:9], s[8:9], 1
	s_add_u32 s24, s21, s8
	s_addc_u32 s18, s18, s9
	s_and_b64 s[8:9], vcc, exec
	s_mov_b32 s11, 0x20000
	s_cselect_b32 s8, s26, s12
	s_cselect_b32 s9, s27, s13
	s_and_b32 s25, s18, 0xffff
	s_mov_b32 s26, s10
	s_mov_b32 s27, s11
	s_and_b32 s9, s9, 0xffff
	buffer_load_dwordx4 v[6:9], v10, s[24:27], 0 offen glc slc
	buffer_load_dwordx4 v[2:5], v10, s[8:11], 0 offen
.LBB348_3:
	s_or_b64 exec, exec, s[0:1]
	s_waitcnt vmcnt(1)
	v_cvt_f32_u32_sdwa v11, v6 dst_sel:DWORD dst_unused:UNUSED_PAD src0_sel:WORD_1
	v_cvt_f32_u32_sdwa v10, v6 dst_sel:DWORD dst_unused:UNUSED_PAD src0_sel:WORD_0
	v_cvt_f32_u32_sdwa v6, v9 dst_sel:DWORD dst_unused:UNUSED_PAD src0_sel:WORD_1
	v_cvt_f32_u32_sdwa v9, v9 dst_sel:DWORD dst_unused:UNUSED_PAD src0_sel:WORD_0
	;; [unrolled: 2-line block ×4, first 2 shown]
	v_cndmask_b32_e64 v11, 0, v11, s[2:3]
	v_cndmask_b32_e64 v7, 0, v6, s[2:3]
	;; [unrolled: 1-line block ×5, first 2 shown]
	v_mul_f32_e32 v14, v11, v11
	v_cndmask_b32_e64 v12, 0, v12, s[2:3]
	v_fmac_f32_e32 v14, v10, v10
	v_cndmask_b32_e64 v13, 0, v13, s[2:3]
	v_fmac_f32_e32 v14, v12, v12
	;; [unrolled: 2-line block ×3, first 2 shown]
	v_fmac_f32_e32 v14, v8, v8
	v_fmac_f32_e32 v14, v9, v9
	;; [unrolled: 1-line block ×4, first 2 shown]
	v_and_b32_e32 v16, 63, v0
	v_cmp_eq_u32_e64 s[0:1], 63, v16
	v_mov_b32_dpp v15, v14 quad_perm:[1,0,3,2] row_mask:0xf bank_mask:0xf
	v_add_f32_e32 v14, v14, v15
	s_nop 1
	v_mov_b32_dpp v15, v14 quad_perm:[2,3,0,1] row_mask:0xf bank_mask:0xf
	v_add_f32_e32 v14, v14, v15
	s_nop 1
	v_mov_b32_dpp v15, v14 row_half_mirror row_mask:0xf bank_mask:0xf
	v_add_f32_e32 v14, v14, v15
	s_nop 1
	v_mov_b32_dpp v15, v14 row_mirror row_mask:0xf bank_mask:0xf
	v_add_f32_e32 v14, v14, v15
	s_nop 1
	v_mov_b32_dpp v15, v14 row_bcast:15 row_mask:0xf bank_mask:0xf
	v_add_f32_e32 v14, v14, v15
	s_nop 1
	v_mov_b32_dpp v15, v14 row_bcast:31 row_mask:0xf bank_mask:0xf
	s_and_saveexec_b64 s[8:9], s[0:1]
	s_cbranch_execz .LBB348_5
; %bb.4:
	v_add_f32_e32 v14, v14, v15
	v_lshrrev_b32_e32 v15, 4, v0
	v_and_b32_e32 v15, 60, v15
	ds_write_b32 v15, v14 offset:8
.LBB348_5:
	s_or_b64 exec, exec, s[8:9]
	v_and_b32_e32 v14, 1, v0
	v_lshlrev_b32_e32 v14, 2, v14
	s_waitcnt lgkmcnt(0)
	s_barrier
	ds_read_b32 v15, v14 offset:8
	s_load_dwordx2 s[28:29], s[4:5], 0x18
	s_waitcnt lgkmcnt(0)
	v_mov_b32_dpp v16, v15 quad_perm:[1,0,3,2] row_mask:0xf bank_mask:0xf
	s_and_saveexec_b64 s[8:9], s[2:3]
	s_cbranch_execz .LBB348_7
; %bb.6:
	v_cvt_f32_u32_e32 v17, s7
	v_add_f32_e32 v15, v15, v16
	v_mov_b32_e32 v19, s17
	v_mov_b32_e32 v20, s16
	v_div_scale_f32 v16, s[24:25], v17, v17, v15
	v_rcp_f32_e32 v18, v16
	v_cndmask_b32_e32 v19, v19, v20, vcc
	s_mov_b32 s7, 0x800000
	v_fma_f32 v20, -v16, v18, 1.0
	v_fmac_f32_e32 v18, v20, v18
	v_div_scale_f32 v20, vcc, v15, v17, v15
	v_mul_f32_e32 v21, v20, v18
	v_fma_f32 v22, -v16, v21, v20
	v_fmac_f32_e32 v21, v22, v18
	v_fma_f32 v16, -v16, v21, v20
	v_div_fmas_f32 v16, v16, v18, v21
	v_div_fixup_f32 v15, v16, v17, v15
	v_add_f32_e32 v15, v19, v15
	v_mul_f32_e32 v16, 0x4b800000, v15
	v_cmp_gt_f32_e32 vcc, s7, v15
	v_cndmask_b32_e32 v15, v15, v16, vcc
	v_rsq_f32_e32 v15, v15
	s_waitcnt vmcnt(0)
	v_cvt_f32_u32_sdwa v19, v2 dst_sel:DWORD dst_unused:UNUSED_PAD src0_sel:WORD_1
	v_cvt_f32_u32_sdwa v18, v2 dst_sel:DWORD dst_unused:UNUSED_PAD src0_sel:WORD_0
	v_cvt_f32_u32_sdwa v21, v3 dst_sel:DWORD dst_unused:UNUSED_PAD src0_sel:WORD_1
	v_mul_f32_e32 v16, 0x45800000, v15
	v_cndmask_b32_e32 v16, v15, v16, vcc
	v_mov_b32_e32 v17, v16
	;;#ASMSTART
	v_pk_mul_f32 v[10:11], v[10:11], v[16:17]
	;;#ASMEND
	;;#ASMSTART
	v_pk_mul_f32 v[12:13], v[12:13], v[16:17]
	;;#ASMEND
	;; [unrolled: 3-line block ×3, first 2 shown]
	v_cvt_f32_u32_sdwa v20, v3 dst_sel:DWORD dst_unused:UNUSED_PAD src0_sel:WORD_0
	;;#ASMSTART
	v_pk_mul_f32 v[2:3], v[6:7], v[16:17]
	;;#ASMEND
	v_cvt_f32_u32_sdwa v17, v4 dst_sel:DWORD dst_unused:UNUSED_PAD src0_sel:WORD_1
	v_cvt_f32_u32_sdwa v16, v4 dst_sel:DWORD dst_unused:UNUSED_PAD src0_sel:WORD_0
	v_pk_add_f32 v[6:7], v[18:19], 1.0 op_sel_hi:[1,0]
	v_cvt_f32_u32_sdwa v19, v5 dst_sel:DWORD dst_unused:UNUSED_PAD src0_sel:WORD_1
	v_cvt_f32_u32_sdwa v18, v5 dst_sel:DWORD dst_unused:UNUSED_PAD src0_sel:WORD_0
	;;#ASMSTART
	v_pk_mul_f32 v[10:11], v[10:11], v[6:7]
	;;#ASMEND
	v_pk_add_f32 v[6:7], v[20:21], 1.0 op_sel_hi:[1,0]
	v_pk_add_f32 v[4:5], v[16:17], 1.0 op_sel_hi:[1,0]
	;;#ASMSTART
	v_pk_mul_f32 v[12:13], v[12:13], v[6:7]
	;;#ASMEND
	;;#ASMSTART
	v_pk_mul_f32 v[8:9], v[8:9], v[4:5]
	;;#ASMEND
	v_pk_add_f32 v[4:5], v[18:19], 1.0 op_sel_hi:[1,0]
	;;#ASMSTART
	v_pk_mul_f32 v[6:7], v[2:3], v[4:5]
	;;#ASMEND
.LBB348_7:
	s_or_b64 exec, exec, s[8:9]
	s_load_dword s7, s[4:5], 0x80
	s_mov_b64 s[8:9], -1
	s_and_b64 vcc, exec, s[14:15]
	s_cbranch_vccnz .LBB348_11
; %bb.8:
	s_andn2_b64 vcc, exec, s[8:9]
	s_cbranch_vccz .LBB348_14
.LBB348_9:
	s_cmp_lt_i32 s20, 1
	s_cbranch_scc0 .LBB348_23
.LBB348_10:
	s_endpgm
.LBB348_11:
	s_and_saveexec_b64 s[14:15], s[2:3]
	s_cbranch_execz .LBB348_13
; %bb.12:
	s_waitcnt lgkmcnt(0)
	s_mul_hi_i32 s9, s7, s6
	s_mul_i32 s8, s7, s6
	s_lshl_b64 s[8:9], s[8:9], 1
	s_add_u32 s8, s28, s8
	s_addc_u32 s9, s29, s9
	s_mov_b32 s16, 0x7060302
	s_and_b32 s9, s9, 0xffff
	s_mov_b32 s11, 0x20000
	s_waitcnt vmcnt(0)
	v_perm_b32 v2, v11, v10, s16
	v_perm_b32 v3, v13, v12, s16
	;; [unrolled: 1-line block ×4, first 2 shown]
	v_lshlrev_b32_e32 v15, 4, v0
	buffer_store_dwordx4 v[2:5], v15, s[8:11], 0 offen
	;;#ASMSTART
	s_nop 0
	;;#ASMEND
.LBB348_13:
	s_or_b64 exec, exec, s[14:15]
	s_cbranch_execnz .LBB348_9
.LBB348_14:
	s_load_dwordx4 s[24:27], s[4:5], 0x70
	s_waitcnt vmcnt(0)
	v_mov_b32_e32 v2, 0
	s_and_saveexec_b64 s[14:15], s[2:3]
	s_cbranch_execz .LBB348_16
; %bb.15:
	s_load_dwordx2 s[8:9], s[4:5], 0x10
	s_waitcnt lgkmcnt(0)
	s_mul_hi_i32 s35, s27, s6
	s_mul_i32 s34, s27, s6
	s_lshl_b64 s[34:35], s[34:35], 1
	s_mov_b32 s16, 0x7060302
	s_add_u32 s8, s8, s34
	s_addc_u32 s9, s9, s35
	s_mov_b32 s11, 0x20000
	s_and_b32 s9, s9, 0xffff
	v_perm_b32 v2, v11, v10, s16
	v_perm_b32 v3, v13, v12, s16
	;; [unrolled: 1-line block ×4, first 2 shown]
	v_lshlrev_b32_e32 v15, 4, v0
	buffer_store_dwordx4 v[2:5], v15, s[8:11], 0 offen
	;;#ASMSTART
	s_nop 0
	;;#ASMEND
	s_nop 0
	v_mov_b32_e32 v2, 0x2edbe6ff
.LBB348_16:
	s_or_b64 exec, exec, s[14:15]
	s_and_saveexec_b64 s[8:9], s[2:3]
	s_cbranch_execz .LBB348_18
; %bb.17:
	v_and_b32_e32 v3, 0x7fffffff, v10
	v_and_b32_e32 v4, 0x7fffffff, v11
	;;#ASMSTART
	v_max3_f32 v2, v2, v3, v4

	;;#ASMEND
	v_and_b32_e32 v3, 0x7fffffff, v12
	v_and_b32_e32 v4, 0x7fffffff, v13
	;;#ASMSTART
	v_max3_f32 v2, v2, v3, v4

	;;#ASMEND
	;; [unrolled: 6-line block ×4, first 2 shown]
.LBB348_18:
	s_or_b64 exec, exec, s[8:9]
	;;#ASMSTART
	v_max_f32 v3, v2, v2 quad_perm:[1,0,3,2] row_mask:0xf bank_mask:0xf bound_ctrl:1
	;;#ASMEND
	;;#ASMSTART
	v_max_f32 v2, v3, v3 quad_perm:[2,3,0,1] row_mask:0xf bank_mask:0xf bound_ctrl:1
	;;#ASMEND
	;;#ASMSTART
	v_max_f32 v3, v2, v2 row_half_mirror row_mask:0xf bank_mask:0xf bound_ctrl:1
	;;#ASMEND
	;;#ASMSTART
	v_max_f32 v2, v3, v3 row_mirror row_mask:0xf bank_mask:0xf bound_ctrl:1
	;;#ASMEND
	v_and_b32_e32 v3, 15, v0
	v_cmp_eq_u32_e32 vcc, 0, v3
	v_cmp_gt_i32_e64 s[8:9], s19, v1
	s_and_b64 s[10:11], vcc, s[8:9]
	s_and_saveexec_b64 s[8:9], s[10:11]
	s_cbranch_execz .LBB348_20
; %bb.19:
	s_load_dwordx2 s[10:11], s[4:5], 0x8
	v_mul_f32_e32 v2, 0x3e2aaaab, v2
	v_lshrrev_b32_e32 v3, 23, v2
	v_and_b32_e32 v4, 0x7f800000, v2
	v_and_b32_e32 v2, 0x7fffff, v2
	v_cmp_ne_u32_e32 vcc, 0, v2
	s_waitcnt lgkmcnt(0)
	s_mul_i32 s16, s25, s6
	s_mov_b32 s14, 0x7f800000
	v_addc_co_u32_e32 v2, vcc, 0, v3, vcc
	s_mul_hi_i32 s15, s25, s6
	s_add_u32 s10, s10, s16
	v_cmp_ne_u32_e32 vcc, s14, v4
	s_addc_u32 s11, s11, s15
	v_lshrrev_b32_e32 v5, 4, v0
	v_cndmask_b32_e32 v4, -1, v2, vcc
	v_pk_mov_b32 v[2:3], s[10:11], s[10:11] op_sel:[0,1]
	v_mad_i64_i32 v[2:3], s[10:11], s26, v5, v[2:3]
	global_store_byte v[2:3], v4, off
.LBB348_20:
	s_or_b64 exec, exec, s[8:9]
	s_and_saveexec_b64 s[8:9], s[2:3]
	s_cbranch_execz .LBB348_22
; %bb.21:
	s_load_dwordx2 s[2:3], s[4:5], 0x0
	s_waitcnt lgkmcnt(0)
	s_mul_i32 s11, s24, s6
	s_mul_hi_i32 s10, s24, s6
	v_lshlrev_b32_e32 v2, 2, v0
	s_mov_b32 s27, 0x20000
	s_add_u32 s24, s2, s11
	s_addc_u32 s2, s3, s10
	s_lshr_b32 s3, s19, 31
	s_add_i32 s3, s19, s3
	s_ashr_i32 s3, s3, 1
	s_add_i32 s3, s3, 3
	s_ashr_i32 s10, s3, 31
	s_lshr_b32 s10, s10, 30
	s_add_i32 s3, s3, s10
	s_and_b32 s26, s3, -4
	s_and_b32 s25, s2, 0xffff
	v_mov_b32_e32 v3, 0
	buffer_store_dword v3, v2, s[24:27], 0 offen
	;;#ASMSTART
	s_nop 0
	;;#ASMEND
.LBB348_22:
	s_or_b64 exec, exec, s[8:9]
	s_cmp_lt_i32 s20, 1
	s_cbranch_scc1 .LBB348_10
.LBB348_23:
	s_load_dword s2, s[4:5], 0x94
	s_waitcnt lgkmcnt(0)
	s_cmp_lg_u32 s2, 1
	s_cbranch_scc1 .LBB348_10
; %bb.24:
	s_lshl_b32 s2, s20, 1
	s_add_i32 s2, s2, 2
	v_cmp_gt_u32_e32 vcc, s20, v1
	s_and_b32 s14, s2, -4
	v_mov_b32_e32 v6, 0
	v_lshlrev_b32_e32 v1, 4, v0
	v_mov_b32_e32 v7, 0
	v_mov_b32_e32 v8, 0
	;; [unrolled: 1-line block ×3, first 2 shown]
	s_waitcnt vmcnt(0)
	v_mov_b32_e32 v2, 0
	v_mov_b32_e32 v3, 0
	;; [unrolled: 1-line block ×4, first 2 shown]
	s_barrier
	s_and_saveexec_b64 s[2:3], vcc
	s_cbranch_execz .LBB348_26
; %bb.25:
	s_mul_hi_i32 s5, s22, s6
	s_mul_i32 s4, s22, s6
	s_and_b32 s13, s13, 0xffff
	s_lshl_b64 s[4:5], s[4:5], 1
	s_add_u32 s8, s30, s4
	s_mov_b32 s15, 0x20000
	s_addc_u32 s4, s31, s5
	s_and_b32 s9, s4, 0xffff
	s_mov_b32 s10, s14
	s_mov_b32 s11, s15
	buffer_load_dwordx4 v[6:9], v1, s[8:11], 0 offen glc slc
	buffer_load_dwordx4 v[2:5], v1, s[12:15], 0 offen
.LBB348_26:
	s_or_b64 exec, exec, s[2:3]
	s_waitcnt vmcnt(1)
	v_cvt_f32_u32_sdwa v13, v6 dst_sel:DWORD dst_unused:UNUSED_PAD src0_sel:WORD_1
	v_cvt_f32_u32_sdwa v12, v6 dst_sel:DWORD dst_unused:UNUSED_PAD src0_sel:WORD_0
	v_cvt_f32_u32_sdwa v6, v9 dst_sel:DWORD dst_unused:UNUSED_PAD src0_sel:WORD_1
	v_cvt_f32_u32_sdwa v9, v9 dst_sel:DWORD dst_unused:UNUSED_PAD src0_sel:WORD_0
	;; [unrolled: 2-line block ×4, first 2 shown]
	v_cndmask_b32_e32 v13, 0, v13, vcc
	v_cndmask_b32_e32 v7, 0, v6, vcc
	;; [unrolled: 1-line block ×5, first 2 shown]
	v_mul_f32_e32 v15, v13, v13
	v_cndmask_b32_e32 v10, 0, v10, vcc
	v_fmac_f32_e32 v15, v12, v12
	v_cndmask_b32_e32 v11, 0, v11, vcc
	v_fmac_f32_e32 v15, v10, v10
	;; [unrolled: 2-line block ×3, first 2 shown]
	v_fmac_f32_e32 v15, v8, v8
	v_fmac_f32_e32 v15, v9, v9
	;; [unrolled: 1-line block ×4, first 2 shown]
	s_nop 1
	v_mov_b32_dpp v16, v15 quad_perm:[1,0,3,2] row_mask:0xf bank_mask:0xf
	v_add_f32_e32 v15, v15, v16
	s_nop 1
	v_mov_b32_dpp v16, v15 quad_perm:[2,3,0,1] row_mask:0xf bank_mask:0xf
	v_add_f32_e32 v15, v15, v16
	s_nop 1
	v_mov_b32_dpp v16, v15 row_half_mirror row_mask:0xf bank_mask:0xf
	v_add_f32_e32 v15, v15, v16
	s_nop 1
	v_mov_b32_dpp v16, v15 row_mirror row_mask:0xf bank_mask:0xf
	v_add_f32_e32 v15, v15, v16
	s_nop 1
	v_mov_b32_dpp v16, v15 row_bcast:15 row_mask:0xf bank_mask:0xf
	v_add_f32_e32 v15, v15, v16
	s_nop 1
	v_mov_b32_dpp v16, v15 row_bcast:31 row_mask:0xf bank_mask:0xf
	s_and_saveexec_b64 s[2:3], s[0:1]
	s_cbranch_execz .LBB348_28
; %bb.27:
	v_lshrrev_b32_e32 v0, 4, v0
	v_add_f32_e32 v15, v15, v16
	v_and_b32_e32 v0, 60, v0
	ds_write_b32 v0, v15
.LBB348_28:
	s_or_b64 exec, exec, s[2:3]
	s_waitcnt lgkmcnt(0)
	s_barrier
	ds_read_b32 v0, v14
	s_waitcnt lgkmcnt(0)
	s_nop 0
	v_mov_b32_dpp v14, v0 quad_perm:[1,0,3,2] row_mask:0xf bank_mask:0xf
	s_and_saveexec_b64 s[0:1], vcc
	s_cbranch_execz .LBB348_10
; %bb.29:
	v_cvt_f32_u32_e32 v15, s20
	v_add_f32_e32 v0, v0, v14
	s_mov_b32 s15, 0x20000
	v_div_scale_f32 v14, s[0:1], v15, v15, v0
	v_rcp_f32_e32 v16, v14
	v_div_scale_f32 v17, vcc, v0, v15, v0
	s_mov_b32 s0, 0x800000
	v_fma_f32 v18, -v14, v16, 1.0
	v_fmac_f32_e32 v16, v18, v16
	v_mul_f32_e32 v18, v17, v16
	v_fma_f32 v19, -v14, v18, v17
	v_fmac_f32_e32 v18, v19, v16
	v_fma_f32 v14, -v14, v18, v17
	v_div_fmas_f32 v14, v14, v16, v18
	v_div_fixup_f32 v0, v14, v15, v0
	v_add_f32_e32 v0, s17, v0
	v_mul_f32_e32 v14, 0x4b800000, v0
	v_cmp_gt_f32_e32 vcc, s0, v0
	v_cndmask_b32_e32 v0, v0, v14, vcc
	v_rsq_f32_e32 v0, v0
	s_waitcnt vmcnt(0)
	v_cvt_f32_u32_sdwa v17, v2 dst_sel:DWORD dst_unused:UNUSED_PAD src0_sel:WORD_1
	v_cvt_f32_u32_sdwa v16, v2 dst_sel:DWORD dst_unused:UNUSED_PAD src0_sel:WORD_0
	v_cvt_f32_u32_sdwa v19, v3 dst_sel:DWORD dst_unused:UNUSED_PAD src0_sel:WORD_1
	v_mul_f32_e32 v14, 0x45800000, v0
	v_cndmask_b32_e32 v14, v0, v14, vcc
	v_mov_b32_e32 v15, v14
	;;#ASMSTART
	v_pk_mul_f32 v[12:13], v[12:13], v[14:15]
	;;#ASMEND
	;;#ASMSTART
	v_pk_mul_f32 v[10:11], v[10:11], v[14:15]
	;;#ASMEND
	;; [unrolled: 3-line block ×3, first 2 shown]
	v_cvt_f32_u32_sdwa v18, v3 dst_sel:DWORD dst_unused:UNUSED_PAD src0_sel:WORD_0
	;;#ASMSTART
	v_pk_mul_f32 v[2:3], v[6:7], v[14:15]
	;;#ASMEND
	v_cvt_f32_u32_sdwa v15, v4 dst_sel:DWORD dst_unused:UNUSED_PAD src0_sel:WORD_1
	v_cvt_f32_u32_sdwa v14, v4 dst_sel:DWORD dst_unused:UNUSED_PAD src0_sel:WORD_0
	v_pk_add_f32 v[6:7], v[16:17], 1.0 op_sel_hi:[1,0]
	v_cvt_f32_u32_sdwa v17, v5 dst_sel:DWORD dst_unused:UNUSED_PAD src0_sel:WORD_1
	v_cvt_f32_u32_sdwa v16, v5 dst_sel:DWORD dst_unused:UNUSED_PAD src0_sel:WORD_0
	s_mul_hi_i32 s1, s7, s6
	s_mul_i32 s0, s7, s6
	s_lshl_b64 s[0:1], s[0:1], 1
	s_add_u32 s12, s28, s0
	;;#ASMSTART
	v_pk_mul_f32 v[6:7], v[12:13], v[6:7]
	;;#ASMEND
	v_pk_add_f32 v[12:13], v[18:19], 1.0 op_sel_hi:[1,0]
	;;#ASMSTART
	v_pk_mul_f32 v[4:5], v[10:11], v[12:13]
	;;#ASMEND
	v_pk_add_f32 v[10:11], v[14:15], 1.0 op_sel_hi:[1,0]
	s_addc_u32 s0, s29, s1
	;;#ASMSTART
	v_pk_mul_f32 v[8:9], v[8:9], v[10:11]
	;;#ASMEND
	v_pk_add_f32 v[10:11], v[16:17], 1.0 op_sel_hi:[1,0]
	s_and_b32 s13, s0, 0xffff
	s_mov_b32 s0, 0x7060302
	;;#ASMSTART
	v_pk_mul_f32 v[10:11], v[2:3], v[10:11]
	;;#ASMEND
	v_perm_b32 v2, v7, v6, s0
	v_perm_b32 v3, v5, v4, s0
	;; [unrolled: 1-line block ×4, first 2 shown]
	buffer_store_dwordx4 v[2:5], v1, s[12:15], 0 offen
	;;#ASMSTART
	s_nop 0
	;;#ASMEND
	s_endpgm
	.section	.rodata,"a",@progbits
	.p2align	6, 0x0
	.amdhsa_kernel _ZN5aiter35fused_qk_rmsnorm_group_quant_kernelItN4opus5fp4_tELi128ELi8ELi16ELb0ELb1ELb1ELb0ELb0ELb0EEEvPT0_PvPT_S7_S7_PKS6_S9_S9_S9_S9_ffiiiiiiiiiiiii
		.amdhsa_group_segment_fixed_size 16
		.amdhsa_private_segment_fixed_size 0
		.amdhsa_kernarg_size 400
		.amdhsa_user_sgpr_count 6
		.amdhsa_user_sgpr_private_segment_buffer 1
		.amdhsa_user_sgpr_dispatch_ptr 0
		.amdhsa_user_sgpr_queue_ptr 0
		.amdhsa_user_sgpr_kernarg_segment_ptr 1
		.amdhsa_user_sgpr_dispatch_id 0
		.amdhsa_user_sgpr_flat_scratch_init 0
		.amdhsa_user_sgpr_kernarg_preload_length 0
		.amdhsa_user_sgpr_kernarg_preload_offset 0
		.amdhsa_user_sgpr_private_segment_size 0
		.amdhsa_uses_dynamic_stack 0
		.amdhsa_system_sgpr_private_segment_wavefront_offset 0
		.amdhsa_system_sgpr_workgroup_id_x 1
		.amdhsa_system_sgpr_workgroup_id_y 1
		.amdhsa_system_sgpr_workgroup_id_z 0
		.amdhsa_system_sgpr_workgroup_info 0
		.amdhsa_system_vgpr_workitem_id 0
		.amdhsa_next_free_vgpr 23
		.amdhsa_next_free_sgpr 36
		.amdhsa_accum_offset 24
		.amdhsa_reserve_vcc 1
		.amdhsa_reserve_flat_scratch 0
		.amdhsa_float_round_mode_32 0
		.amdhsa_float_round_mode_16_64 0
		.amdhsa_float_denorm_mode_32 3
		.amdhsa_float_denorm_mode_16_64 3
		.amdhsa_dx10_clamp 1
		.amdhsa_ieee_mode 1
		.amdhsa_fp16_overflow 0
		.amdhsa_tg_split 0
		.amdhsa_exception_fp_ieee_invalid_op 0
		.amdhsa_exception_fp_denorm_src 0
		.amdhsa_exception_fp_ieee_div_zero 0
		.amdhsa_exception_fp_ieee_overflow 0
		.amdhsa_exception_fp_ieee_underflow 0
		.amdhsa_exception_fp_ieee_inexact 0
		.amdhsa_exception_int_div_zero 0
	.end_amdhsa_kernel
	.section	.text._ZN5aiter35fused_qk_rmsnorm_group_quant_kernelItN4opus5fp4_tELi128ELi8ELi16ELb0ELb1ELb1ELb0ELb0ELb0EEEvPT0_PvPT_S7_S7_PKS6_S9_S9_S9_S9_ffiiiiiiiiiiiii,"axG",@progbits,_ZN5aiter35fused_qk_rmsnorm_group_quant_kernelItN4opus5fp4_tELi128ELi8ELi16ELb0ELb1ELb1ELb0ELb0ELb0EEEvPT0_PvPT_S7_S7_PKS6_S9_S9_S9_S9_ffiiiiiiiiiiiii,comdat
.Lfunc_end348:
	.size	_ZN5aiter35fused_qk_rmsnorm_group_quant_kernelItN4opus5fp4_tELi128ELi8ELi16ELb0ELb1ELb1ELb0ELb0ELb0EEEvPT0_PvPT_S7_S7_PKS6_S9_S9_S9_S9_ffiiiiiiiiiiiii, .Lfunc_end348-_ZN5aiter35fused_qk_rmsnorm_group_quant_kernelItN4opus5fp4_tELi128ELi8ELi16ELb0ELb1ELb1ELb0ELb0ELb0EEEvPT0_PvPT_S7_S7_PKS6_S9_S9_S9_S9_ffiiiiiiiiiiiii
                                        ; -- End function
	.section	.AMDGPU.csdata,"",@progbits
; Kernel info:
; codeLenInByte = 2476
; NumSgprs: 40
; NumVgprs: 23
; NumAgprs: 0
; TotalNumVgprs: 23
; ScratchSize: 0
; MemoryBound: 0
; FloatMode: 240
; IeeeMode: 1
; LDSByteSize: 16 bytes/workgroup (compile time only)
; SGPRBlocks: 4
; VGPRBlocks: 2
; NumSGPRsForWavesPerEU: 40
; NumVGPRsForWavesPerEU: 23
; AccumOffset: 24
; Occupancy: 8
; WaveLimiterHint : 0
; COMPUTE_PGM_RSRC2:SCRATCH_EN: 0
; COMPUTE_PGM_RSRC2:USER_SGPR: 6
; COMPUTE_PGM_RSRC2:TRAP_HANDLER: 0
; COMPUTE_PGM_RSRC2:TGID_X_EN: 1
; COMPUTE_PGM_RSRC2:TGID_Y_EN: 1
; COMPUTE_PGM_RSRC2:TGID_Z_EN: 0
; COMPUTE_PGM_RSRC2:TIDIG_COMP_CNT: 0
; COMPUTE_PGM_RSRC3_GFX90A:ACCUM_OFFSET: 5
; COMPUTE_PGM_RSRC3_GFX90A:TG_SPLIT: 0
	.section	.text._ZN5aiter35fused_qk_rmsnorm_group_quant_kernelIDF16_DB8_Li128ELi8ELi16ELb0ELb1ELb0ELb0ELb0ELb0EEEvPT0_PvPT_S6_S6_PKS5_S8_S8_S8_S8_ffiiiiiiiiiiiii,"axG",@progbits,_ZN5aiter35fused_qk_rmsnorm_group_quant_kernelIDF16_DB8_Li128ELi8ELi16ELb0ELb1ELb0ELb0ELb0ELb0EEEvPT0_PvPT_S6_S6_PKS5_S8_S8_S8_S8_ffiiiiiiiiiiiii,comdat
	.protected	_ZN5aiter35fused_qk_rmsnorm_group_quant_kernelIDF16_DB8_Li128ELi8ELi16ELb0ELb1ELb0ELb0ELb0ELb0EEEvPT0_PvPT_S6_S6_PKS5_S8_S8_S8_S8_ffiiiiiiiiiiiii ; -- Begin function _ZN5aiter35fused_qk_rmsnorm_group_quant_kernelIDF16_DB8_Li128ELi8ELi16ELb0ELb1ELb0ELb0ELb0ELb0EEEvPT0_PvPT_S6_S6_PKS5_S8_S8_S8_S8_ffiiiiiiiiiiiii
	.globl	_ZN5aiter35fused_qk_rmsnorm_group_quant_kernelIDF16_DB8_Li128ELi8ELi16ELb0ELb1ELb0ELb0ELb0ELb0EEEvPT0_PvPT_S6_S6_PKS5_S8_S8_S8_S8_ffiiiiiiiiiiiii
	.p2align	8
	.type	_ZN5aiter35fused_qk_rmsnorm_group_quant_kernelIDF16_DB8_Li128ELi8ELi16ELb0ELb1ELb0ELb0ELb0ELb0EEEvPT0_PvPT_S6_S6_PKS5_S8_S8_S8_S8_ffiiiiiiiiiiiii,@function
_ZN5aiter35fused_qk_rmsnorm_group_quant_kernelIDF16_DB8_Li128ELi8ELi16ELb0ELb1ELb0ELb0ELb0ELb0EEEvPT0_PvPT_S6_S6_PKS5_S8_S8_S8_S8_ffiiiiiiiiiiiii: ; @_ZN5aiter35fused_qk_rmsnorm_group_quant_kernelIDF16_DB8_Li128ELi8ELi16ELb0ELb1ELb0ELb0ELb0ELb0EEEvPT0_PvPT_S6_S6_PKS5_S8_S8_S8_S8_ffiiiiiiiiiiiii
; %bb.0:
	s_load_dwordx4 s[16:19], s[4:5], 0x50
	s_waitcnt lgkmcnt(0)
	s_cmp_ge_i32 s6, s18
	s_cbranch_scc1 .LBB349_12
; %bb.1:
	s_load_dwordx2 s[12:13], s[4:5], 0x48
	s_load_dwordx2 s[30:31], s[4:5], 0x30
	s_load_dwordx4 s[20:23], s[4:5], 0x60
	s_cmp_lg_u32 s7, 0
	s_cselect_b64 s[14:15], -1, 0
	s_cmp_eq_u32 s7, 0
	s_cselect_b64 vcc, -1, 0
	s_and_b64 s[0:1], vcc, exec
	s_waitcnt lgkmcnt(0)
	s_cselect_b32 s7, s19, s20
	s_add_i32 s0, s7, 1
	s_lshr_b32 s1, s0, 31
	s_add_i32 s0, s0, s1
	s_lshl_b32 s0, s0, 1
	v_lshlrev_b32_e32 v1, 3, v0
	s_and_b32 s10, s0, -4
	v_cmp_gt_i32_e64 s[2:3], s7, v1
	v_mov_b32_e32 v10, 0
	v_mov_b32_e32 v2, 0
	;; [unrolled: 1-line block ×9, first 2 shown]
	s_and_saveexec_b64 s[0:1], s[2:3]
	s_cbranch_execz .LBB349_3
; %bb.2:
	s_load_dwordx2 s[8:9], s[4:5], 0x28
	s_load_dwordx2 s[26:27], s[4:5], 0x40
	s_and_b64 s[24:25], vcc, exec
	s_cselect_b32 s11, s21, s22
	v_lshlrev_b32_e32 v11, 4, v0
	s_waitcnt lgkmcnt(0)
	s_cselect_b32 s18, s9, s31
	s_cselect_b32 s21, s8, s30
	s_mul_hi_i32 s9, s11, s6
	s_mul_i32 s8, s11, s6
	s_lshl_b64 s[8:9], s[8:9], 1
	s_add_u32 s24, s21, s8
	s_addc_u32 s18, s18, s9
	s_and_b64 s[8:9], vcc, exec
	s_mov_b32 s11, 0x20000
	s_cselect_b32 s8, s26, s12
	s_cselect_b32 s9, s27, s13
	s_and_b32 s25, s18, 0xffff
	s_mov_b32 s26, s10
	s_mov_b32 s27, s11
	s_and_b32 s9, s9, 0xffff
	buffer_load_dwordx4 v[6:9], v11, s[24:27], 0 offen glc slc
	buffer_load_dwordx4 v[2:5], v11, s[8:11], 0 offen
.LBB349_3:
	s_or_b64 exec, exec, s[0:1]
	v_mov_b32_e32 v11, 0
	v_mov_b32_e32 v16, 0
	;; [unrolled: 1-line block ×7, first 2 shown]
	s_and_saveexec_b64 s[0:1], s[2:3]
	s_cbranch_execz .LBB349_5
; %bb.4:
	s_waitcnt vmcnt(1)
	v_cvt_f32_f16_sdwa v11, v6 dst_sel:DWORD dst_unused:UNUSED_PAD src0_sel:WORD_1
	v_cvt_f32_f16_e32 v10, v6
	v_cvt_f32_f16_sdwa v17, v7 dst_sel:DWORD dst_unused:UNUSED_PAD src0_sel:WORD_1
	v_cvt_f32_f16_e32 v16, v7
	;; [unrolled: 2-line block ×4, first 2 shown]
.LBB349_5:
	s_or_b64 exec, exec, s[0:1]
	s_waitcnt vmcnt(1)
	v_mul_f32_e32 v6, v11, v11
	v_fmac_f32_e32 v6, v10, v10
	v_fmac_f32_e32 v6, v16, v16
	;; [unrolled: 1-line block ×7, first 2 shown]
	v_and_b32_e32 v8, 63, v0
	v_cmp_eq_u32_e64 s[0:1], 63, v8
	v_mov_b32_dpp v7, v6 quad_perm:[1,0,3,2] row_mask:0xf bank_mask:0xf
	v_add_f32_e32 v6, v6, v7
	s_nop 1
	v_mov_b32_dpp v7, v6 quad_perm:[2,3,0,1] row_mask:0xf bank_mask:0xf
	v_add_f32_e32 v6, v6, v7
	s_nop 1
	v_mov_b32_dpp v7, v6 row_half_mirror row_mask:0xf bank_mask:0xf
	v_add_f32_e32 v6, v6, v7
	s_nop 1
	v_mov_b32_dpp v7, v6 row_mirror row_mask:0xf bank_mask:0xf
	v_add_f32_e32 v6, v6, v7
	s_nop 1
	v_mov_b32_dpp v7, v6 row_bcast:15 row_mask:0xf bank_mask:0xf
	v_add_f32_e32 v6, v6, v7
	s_nop 1
	v_mov_b32_dpp v7, v6 row_bcast:31 row_mask:0xf bank_mask:0xf
	s_and_saveexec_b64 s[8:9], s[0:1]
	s_cbranch_execz .LBB349_7
; %bb.6:
	v_add_f32_e32 v6, v6, v7
	v_lshrrev_b32_e32 v7, 4, v0
	v_and_b32_e32 v7, 60, v7
	ds_write_b32 v7, v6 offset:8
.LBB349_7:
	s_or_b64 exec, exec, s[8:9]
	v_and_b32_e32 v6, 1, v0
	v_lshlrev_b32_e32 v18, 2, v6
	s_waitcnt lgkmcnt(0)
	s_barrier
	ds_read_b32 v6, v18 offset:8
	s_load_dwordx2 s[28:29], s[4:5], 0x18
	s_waitcnt lgkmcnt(0)
	v_mov_b32_dpp v7, v6 quad_perm:[1,0,3,2] row_mask:0xf bank_mask:0xf
	s_and_saveexec_b64 s[8:9], s[2:3]
	s_cbranch_execz .LBB349_9
; %bb.8:
	v_cvt_f32_u32_e32 v8, s7
	v_add_f32_e32 v6, v6, v7
	v_mov_b32_e32 v19, s17
	v_mov_b32_e32 v20, s16
	v_div_scale_f32 v7, s[24:25], v8, v8, v6
	v_rcp_f32_e32 v9, v7
	v_cndmask_b32_e32 v19, v19, v20, vcc
	s_mov_b32 s7, 0x800000
	v_fma_f32 v20, -v7, v9, 1.0
	v_fmac_f32_e32 v9, v20, v9
	v_div_scale_f32 v20, vcc, v6, v8, v6
	v_mul_f32_e32 v21, v20, v9
	v_fma_f32 v22, -v7, v21, v20
	v_fmac_f32_e32 v21, v22, v9
	v_fma_f32 v7, -v7, v21, v20
	v_div_fmas_f32 v7, v7, v9, v21
	v_div_fixup_f32 v6, v7, v8, v6
	v_add_f32_e32 v6, v19, v6
	v_mul_f32_e32 v7, 0x4b800000, v6
	v_cmp_gt_f32_e32 vcc, s7, v6
	v_cndmask_b32_e32 v6, v6, v7, vcc
	v_rsq_f32_e32 v6, v6
	s_waitcnt vmcnt(0)
	v_cvt_f32_f16_sdwa v21, v5 dst_sel:DWORD dst_unused:UNUSED_PAD src0_sel:WORD_1
	v_cvt_f32_f16_e32 v20, v5
	v_mul_f32_e32 v7, 0x45800000, v6
	v_cndmask_b32_e32 v6, v6, v7, vcc
	v_mov_b32_e32 v7, v6
	;;#ASMSTART
	v_pk_mul_f32 v[8:9], v[10:11], v[6:7]
	;;#ASMEND
	;;#ASMSTART
	v_pk_mul_f32 v[16:17], v[16:17], v[6:7]
	;;#ASMEND
	;; [unrolled: 3-line block ×4, first 2 shown]
	v_cvt_f32_f16_sdwa v11, v2 dst_sel:DWORD dst_unused:UNUSED_PAD src0_sel:WORD_1
	v_cvt_f32_f16_e32 v10, v2
	v_cvt_f32_f16_sdwa v13, v3 dst_sel:DWORD dst_unused:UNUSED_PAD src0_sel:WORD_1
	v_cvt_f32_f16_e32 v12, v3
	;; [unrolled: 2-line block ×3, first 2 shown]
	;;#ASMSTART
	v_pk_mul_f32 v[10:11], v[8:9], v[10:11]
	;;#ASMEND
	;;#ASMSTART
	v_pk_mul_f32 v[16:17], v[16:17], v[12:13]
	;;#ASMEND
	;; [unrolled: 3-line block ×4, first 2 shown]
.LBB349_9:
	s_or_b64 exec, exec, s[8:9]
	s_load_dword s7, s[4:5], 0x80
	s_mov_b64 s[8:9], -1
	s_and_b64 vcc, exec, s[14:15]
	s_cbranch_vccnz .LBB349_13
; %bb.10:
	s_andn2_b64 vcc, exec, s[8:9]
	s_cbranch_vccz .LBB349_16
.LBB349_11:
	s_cmp_lt_i32 s20, 1
	s_cbranch_scc0 .LBB349_25
.LBB349_12:
	s_endpgm
.LBB349_13:
	s_and_saveexec_b64 s[14:15], s[2:3]
	s_cbranch_execz .LBB349_15
; %bb.14:
	s_waitcnt lgkmcnt(0)
	s_mul_hi_i32 s9, s7, s6
	s_mul_i32 s8, s7, s6
	s_waitcnt vmcnt(0)
	v_cvt_f16_f32_e32 v2, v10
	v_cvt_f16_f32_e32 v3, v16
	;; [unrolled: 1-line block ×8, first 2 shown]
	s_lshl_b64 s[8:9], s[8:9], 1
	s_add_u32 s8, s28, s8
	s_addc_u32 s9, s29, s9
	s_and_b32 s9, s9, 0xffff
	s_mov_b32 s11, 0x20000
	v_pack_b32_f16 v5, v5, v6
	v_pack_b32_f16 v4, v4, v7
	;; [unrolled: 1-line block ×4, first 2 shown]
	v_lshlrev_b32_e32 v6, 4, v0
	buffer_store_dwordx4 v[2:5], v6, s[8:11], 0 offen
	;;#ASMSTART
	s_nop 0
	;;#ASMEND
.LBB349_15:
	s_or_b64 exec, exec, s[14:15]
	s_cbranch_execnz .LBB349_11
.LBB349_16:
	s_load_dwordx4 s[24:27], s[4:5], 0x70
	s_waitcnt vmcnt(0)
	v_mov_b32_e32 v2, 0
	s_and_saveexec_b64 s[14:15], s[2:3]
	s_cbranch_execz .LBB349_18
; %bb.17:
	s_load_dwordx2 s[8:9], s[4:5], 0x10
	s_waitcnt lgkmcnt(0)
	s_mul_hi_i32 s35, s27, s6
	s_mul_i32 s34, s27, s6
	v_cvt_f16_f32_e32 v2, v10
	v_cvt_f16_f32_e32 v3, v16
	;; [unrolled: 1-line block ×8, first 2 shown]
	s_lshl_b64 s[34:35], s[34:35], 1
	s_add_u32 s8, s8, s34
	s_addc_u32 s9, s9, s35
	s_mov_b32 s11, 0x20000
	s_and_b32 s9, s9, 0xffff
	v_pack_b32_f16 v5, v5, v6
	v_pack_b32_f16 v4, v4, v7
	;; [unrolled: 1-line block ×4, first 2 shown]
	v_lshlrev_b32_e32 v6, 4, v0
	buffer_store_dwordx4 v[2:5], v6, s[8:11], 0 offen
	;;#ASMSTART
	s_nop 0
	;;#ASMEND
	s_nop 0
	v_mov_b32_e32 v2, 0x2edbe6ff
.LBB349_18:
	s_or_b64 exec, exec, s[14:15]
	s_and_saveexec_b64 s[8:9], s[2:3]
	s_cbranch_execz .LBB349_20
; %bb.19:
	v_and_b32_e32 v3, 0x7fffffff, v10
	v_and_b32_e32 v4, 0x7fffffff, v11
	;;#ASMSTART
	v_max3_f32 v2, v2, v3, v4

	;;#ASMEND
	v_and_b32_e32 v3, 0x7fffffff, v16
	v_and_b32_e32 v4, 0x7fffffff, v17
	;;#ASMSTART
	v_max3_f32 v2, v2, v3, v4

	;;#ASMEND
	v_and_b32_e32 v3, 0x7fffffff, v14
	v_and_b32_e32 v4, 0x7fffffff, v15
	;;#ASMSTART
	v_max3_f32 v2, v2, v3, v4

	;;#ASMEND
	v_and_b32_e32 v3, 0x7fffffff, v12
	v_and_b32_e32 v4, 0x7fffffff, v13
	;;#ASMSTART
	v_max3_f32 v2, v2, v3, v4

	;;#ASMEND
.LBB349_20:
	s_or_b64 exec, exec, s[8:9]
	;;#ASMSTART
	v_max_f32 v3, v2, v2 quad_perm:[1,0,3,2] row_mask:0xf bank_mask:0xf bound_ctrl:1
	;;#ASMEND
	;;#ASMSTART
	v_max_f32 v2, v3, v3 quad_perm:[2,3,0,1] row_mask:0xf bank_mask:0xf bound_ctrl:1
	;;#ASMEND
	;;#ASMSTART
	v_max_f32 v3, v2, v2 row_half_mirror row_mask:0xf bank_mask:0xf bound_ctrl:1
	;;#ASMEND
	;;#ASMSTART
	v_max_f32 v2, v3, v3 row_mirror row_mask:0xf bank_mask:0xf bound_ctrl:1
	;;#ASMEND
	v_and_b32_e32 v3, 15, v0
	v_cmp_eq_u32_e32 vcc, 0, v3
	v_cmp_gt_i32_e64 s[8:9], s19, v1
	v_mul_f32_e32 v2, 0x3b124925, v2
	s_and_b64 s[10:11], vcc, s[8:9]
	s_and_saveexec_b64 s[8:9], s[10:11]
	s_cbranch_execz .LBB349_22
; %bb.21:
	s_load_dwordx2 s[10:11], s[4:5], 0x8
	s_waitcnt lgkmcnt(0)
	s_mul_hi_i32 s15, s25, s6
	s_mul_i32 s14, s25, s6
	v_lshrrev_b32_e32 v3, 4, v0
	s_lshl_b64 s[14:15], s[14:15], 2
	v_mad_i64_i32 v[4:5], s[26:27], s26, v3, 0
	s_add_u32 s10, s10, s14
	s_addc_u32 s11, s11, s15
	v_lshlrev_b64 v[4:5], 2, v[4:5]
	v_mov_b32_e32 v3, s11
	v_add_co_u32_e32 v4, vcc, s10, v4
	v_addc_co_u32_e32 v5, vcc, v3, v5, vcc
	global_store_dword v[4:5], v2, off
.LBB349_22:
	s_or_b64 exec, exec, s[8:9]
	;;#ASMSTART
	v_rcp_f32 v2, v2
	;;#ASMEND
	s_and_saveexec_b64 s[14:15], s[2:3]
	s_cbranch_execz .LBB349_24
; %bb.23:
	s_load_dwordx2 s[2:3], s[4:5], 0x0
	s_waitcnt lgkmcnt(0)
	s_mul_i32 s8, s24, s6
	s_mul_hi_i32 s9, s24, s6
	v_mov_b32_e32 v3, v2
	;;#ASMSTART
	v_pk_mul_f32 v[4:5], v[10:11], v[2:3]
	;;#ASMEND
	s_add_u32 s8, s2, s8
	s_addc_u32 s2, s3, s9
	s_add_i32 s3, s19, 3
	s_ashr_i32 s9, s3, 31
	v_mov_b32_e32 v8, 0xc3e00000
	v_mov_b32_e32 v9, 0x43e00000
	;;#ASMSTART
	v_med3_f32 v4, v4, v8, v9
v_med3_f32 v5, v5, v8, v9
v_cvt_pk_fp8_f32 v6, v4, v5
	;;#ASMEND
	s_lshr_b32 s9, s9, 30
	;;#ASMSTART
	v_pk_mul_f32 v[4:5], v[16:17], v[2:3]
	;;#ASMEND
	s_add_i32 s3, s3, s9
	s_and_b32 s9, s2, 0xffff
	;;#ASMSTART
	v_med3_f32 v4, v4, v8, v9
v_med3_f32 v5, v5, v8, v9
v_cvt_pk_fp8_f32 v7, v4, v5
	;;#ASMEND
	s_mov_b32 s2, 0x5040100
	v_perm_b32 v5, v7, v6, s2
	s_movk_i32 s2, 0xff
	v_and_b32_e32 v4, 0xffffff00, v7
	v_and_b32_sdwa v6, v5, s2 dst_sel:DWORD dst_unused:UNUSED_PAD src0_sel:WORD_1 src1_sel:DWORD
	s_mov_b32 s16, 0xffff
	v_or_b32_sdwa v4, v6, v4 dst_sel:WORD_1 dst_unused:UNUSED_PAD src0_sel:DWORD src1_sel:DWORD
	v_and_or_b32 v4, v5, s16, v4
	;;#ASMSTART
	v_pk_mul_f32 v[6:7], v[14:15], v[2:3]
	;;#ASMEND
	v_mov_b32_e32 v5, v7
	;;#ASMSTART
	v_med3_f32 v6, v6, v8, v9
v_med3_f32 v5, v5, v8, v9
v_cvt_pk_fp8_f32 v7, v6, v5
	;;#ASMEND
	;;#ASMSTART
	v_pk_mul_f32 v[2:3], v[12:13], v[2:3]
	;;#ASMEND
	;;#ASMSTART
	v_med3_f32 v2, v2, v8, v9
v_med3_f32 v3, v3, v8, v9
v_cvt_pk_fp8_f32 v5, v2, v3
	;;#ASMEND
	v_lshlrev_b32_e32 v2, 16, v5
	s_and_b32 s10, s3, -4
	s_mov_b32 s11, 0x20000
	v_and_or_b32 v5, v7, s16, v2
	buffer_store_dwordx2 v[4:5], v1, s[8:11], 0 offen
	;;#ASMSTART
	s_nop 0
	;;#ASMEND
.LBB349_24:
	s_or_b64 exec, exec, s[14:15]
	s_cmp_lt_i32 s20, 1
	s_cbranch_scc1 .LBB349_12
.LBB349_25:
	s_load_dword s2, s[4:5], 0x94
	s_waitcnt lgkmcnt(0)
	s_cmp_lg_u32 s2, 1
	s_cbranch_scc1 .LBB349_12
; %bb.26:
	s_lshl_b32 s2, s20, 1
	s_add_i32 s2, s2, 2
	v_cmp_gt_u32_e32 vcc, s20, v1
	s_and_b32 s14, s2, -4
	v_mov_b32_e32 v10, 0
	v_lshlrev_b32_e32 v1, 4, v0
	v_mov_b32_e32 v6, 0
	v_mov_b32_e32 v7, 0
	;; [unrolled: 1-line block ×4, first 2 shown]
	s_waitcnt vmcnt(0)
	v_mov_b32_e32 v2, 0
	v_mov_b32_e32 v3, 0
	;; [unrolled: 1-line block ×4, first 2 shown]
	s_barrier
	s_and_saveexec_b64 s[2:3], vcc
	s_cbranch_execz .LBB349_28
; %bb.27:
	s_mul_hi_i32 s5, s22, s6
	s_mul_i32 s4, s22, s6
	s_and_b32 s13, s13, 0xffff
	s_lshl_b64 s[4:5], s[4:5], 1
	s_add_u32 s8, s30, s4
	s_mov_b32 s15, 0x20000
	s_addc_u32 s4, s31, s5
	s_and_b32 s9, s4, 0xffff
	s_mov_b32 s10, s14
	s_mov_b32 s11, s15
	buffer_load_dwordx4 v[6:9], v1, s[8:11], 0 offen glc slc
	buffer_load_dwordx4 v[2:5], v1, s[12:15], 0 offen
.LBB349_28:
	s_or_b64 exec, exec, s[2:3]
	v_mov_b32_e32 v11, 0
	v_mov_b32_e32 v16, 0
	;; [unrolled: 1-line block ×7, first 2 shown]
	s_and_saveexec_b64 s[2:3], vcc
	s_cbranch_execz .LBB349_30
; %bb.29:
	s_waitcnt vmcnt(1)
	v_cvt_f32_f16_sdwa v11, v6 dst_sel:DWORD dst_unused:UNUSED_PAD src0_sel:WORD_1
	v_cvt_f32_f16_e32 v10, v6
	v_cvt_f32_f16_sdwa v17, v7 dst_sel:DWORD dst_unused:UNUSED_PAD src0_sel:WORD_1
	v_cvt_f32_f16_e32 v16, v7
	;; [unrolled: 2-line block ×4, first 2 shown]
.LBB349_30:
	s_or_b64 exec, exec, s[2:3]
	s_waitcnt vmcnt(1)
	v_mul_f32_e32 v6, v11, v11
	v_fmac_f32_e32 v6, v10, v10
	v_fmac_f32_e32 v6, v16, v16
	;; [unrolled: 1-line block ×7, first 2 shown]
	s_nop 1
	v_mov_b32_dpp v7, v6 quad_perm:[1,0,3,2] row_mask:0xf bank_mask:0xf
	v_add_f32_e32 v6, v6, v7
	s_nop 1
	v_mov_b32_dpp v7, v6 quad_perm:[2,3,0,1] row_mask:0xf bank_mask:0xf
	v_add_f32_e32 v6, v6, v7
	s_nop 1
	v_mov_b32_dpp v7, v6 row_half_mirror row_mask:0xf bank_mask:0xf
	v_add_f32_e32 v6, v6, v7
	s_nop 1
	v_mov_b32_dpp v7, v6 row_mirror row_mask:0xf bank_mask:0xf
	v_add_f32_e32 v6, v6, v7
	s_nop 1
	v_mov_b32_dpp v7, v6 row_bcast:15 row_mask:0xf bank_mask:0xf
	v_add_f32_e32 v6, v6, v7
	s_nop 1
	v_mov_b32_dpp v7, v6 row_bcast:31 row_mask:0xf bank_mask:0xf
	s_and_saveexec_b64 s[2:3], s[0:1]
	s_cbranch_execz .LBB349_32
; %bb.31:
	v_lshrrev_b32_e32 v0, 4, v0
	v_add_f32_e32 v6, v6, v7
	v_and_b32_e32 v0, 60, v0
	ds_write_b32 v0, v6
.LBB349_32:
	s_or_b64 exec, exec, s[2:3]
	s_waitcnt lgkmcnt(0)
	s_barrier
	ds_read_b32 v0, v18
	s_waitcnt lgkmcnt(0)
	s_nop 0
	v_mov_b32_dpp v6, v0 quad_perm:[1,0,3,2] row_mask:0xf bank_mask:0xf
	s_and_saveexec_b64 s[0:1], vcc
	s_cbranch_execz .LBB349_12
; %bb.33:
	v_cvt_f32_u32_e32 v7, s20
	v_add_f32_e32 v0, v0, v6
	s_mov_b32 s15, 0x20000
	v_div_scale_f32 v6, s[0:1], v7, v7, v0
	v_rcp_f32_e32 v8, v6
	v_div_scale_f32 v9, vcc, v0, v7, v0
	s_mov_b32 s0, 0x800000
	v_fma_f32 v18, -v6, v8, 1.0
	v_fmac_f32_e32 v8, v18, v8
	v_mul_f32_e32 v18, v9, v8
	v_fma_f32 v19, -v6, v18, v9
	v_fmac_f32_e32 v18, v19, v8
	v_fma_f32 v6, -v6, v18, v9
	v_div_fmas_f32 v6, v6, v8, v18
	v_div_fixup_f32 v0, v6, v7, v0
	v_add_f32_e32 v0, s17, v0
	v_mul_f32_e32 v6, 0x4b800000, v0
	v_cmp_gt_f32_e32 vcc, s0, v0
	v_cndmask_b32_e32 v0, v0, v6, vcc
	v_rsq_f32_e32 v0, v0
	s_waitcnt vmcnt(0)
	v_cvt_f32_f16_sdwa v19, v5 dst_sel:DWORD dst_unused:UNUSED_PAD src0_sel:WORD_1
	v_cvt_f32_f16_e32 v18, v5
	s_mul_hi_i32 s1, s7, s6
	v_mul_f32_e32 v6, 0x45800000, v0
	v_cndmask_b32_e32 v6, v0, v6, vcc
	v_mov_b32_e32 v7, v6
	;;#ASMSTART
	v_pk_mul_f32 v[8:9], v[10:11], v[6:7]
	;;#ASMEND
	;;#ASMSTART
	v_pk_mul_f32 v[10:11], v[16:17], v[6:7]
	;;#ASMEND
	;; [unrolled: 3-line block ×4, first 2 shown]
	v_cvt_f32_f16_sdwa v13, v2 dst_sel:DWORD dst_unused:UNUSED_PAD src0_sel:WORD_1
	v_cvt_f32_f16_e32 v12, v2
	v_cvt_f32_f16_sdwa v17, v3 dst_sel:DWORD dst_unused:UNUSED_PAD src0_sel:WORD_1
	v_cvt_f32_f16_e32 v16, v3
	;; [unrolled: 2-line block ×3, first 2 shown]
	;;#ASMSTART
	v_pk_mul_f32 v[4:5], v[8:9], v[12:13]
	;;#ASMEND
	;;#ASMSTART
	v_pk_mul_f32 v[8:9], v[10:11], v[16:17]
	;;#ASMEND
	;; [unrolled: 3-line block ×4, first 2 shown]
	s_mul_i32 s0, s7, s6
	v_cvt_f16_f32_e32 v0, v4
	v_cvt_f16_f32_e32 v4, v5
	v_cvt_f16_f32_e32 v5, v8
	v_cvt_f16_f32_e32 v8, v9
	v_cvt_f16_f32_e32 v9, v2
	v_cvt_f16_f32_e32 v10, v3
	v_cvt_f16_f32_e32 v6, v6
	v_cvt_f16_f32_e32 v7, v7
	s_lshl_b64 s[0:1], s[0:1], 1
	s_add_u32 s12, s28, s0
	s_addc_u32 s0, s29, s1
	s_and_b32 s13, s0, 0xffff
	v_pack_b32_f16 v2, v0, v4
	v_pack_b32_f16 v3, v5, v8
	;; [unrolled: 1-line block ×4, first 2 shown]
	buffer_store_dwordx4 v[2:5], v1, s[12:15], 0 offen
	;;#ASMSTART
	s_nop 0
	;;#ASMEND
	s_endpgm
	.section	.rodata,"a",@progbits
	.p2align	6, 0x0
	.amdhsa_kernel _ZN5aiter35fused_qk_rmsnorm_group_quant_kernelIDF16_DB8_Li128ELi8ELi16ELb0ELb1ELb0ELb0ELb0ELb0EEEvPT0_PvPT_S6_S6_PKS5_S8_S8_S8_S8_ffiiiiiiiiiiiii
		.amdhsa_group_segment_fixed_size 16
		.amdhsa_private_segment_fixed_size 0
		.amdhsa_kernarg_size 400
		.amdhsa_user_sgpr_count 6
		.amdhsa_user_sgpr_private_segment_buffer 1
		.amdhsa_user_sgpr_dispatch_ptr 0
		.amdhsa_user_sgpr_queue_ptr 0
		.amdhsa_user_sgpr_kernarg_segment_ptr 1
		.amdhsa_user_sgpr_dispatch_id 0
		.amdhsa_user_sgpr_flat_scratch_init 0
		.amdhsa_user_sgpr_kernarg_preload_length 0
		.amdhsa_user_sgpr_kernarg_preload_offset 0
		.amdhsa_user_sgpr_private_segment_size 0
		.amdhsa_uses_dynamic_stack 0
		.amdhsa_system_sgpr_private_segment_wavefront_offset 0
		.amdhsa_system_sgpr_workgroup_id_x 1
		.amdhsa_system_sgpr_workgroup_id_y 1
		.amdhsa_system_sgpr_workgroup_id_z 0
		.amdhsa_system_sgpr_workgroup_info 0
		.amdhsa_system_vgpr_workitem_id 0
		.amdhsa_next_free_vgpr 23
		.amdhsa_next_free_sgpr 36
		.amdhsa_accum_offset 24
		.amdhsa_reserve_vcc 1
		.amdhsa_reserve_flat_scratch 0
		.amdhsa_float_round_mode_32 0
		.amdhsa_float_round_mode_16_64 0
		.amdhsa_float_denorm_mode_32 3
		.amdhsa_float_denorm_mode_16_64 3
		.amdhsa_dx10_clamp 1
		.amdhsa_ieee_mode 1
		.amdhsa_fp16_overflow 0
		.amdhsa_tg_split 0
		.amdhsa_exception_fp_ieee_invalid_op 0
		.amdhsa_exception_fp_denorm_src 0
		.amdhsa_exception_fp_ieee_div_zero 0
		.amdhsa_exception_fp_ieee_overflow 0
		.amdhsa_exception_fp_ieee_underflow 0
		.amdhsa_exception_fp_ieee_inexact 0
		.amdhsa_exception_int_div_zero 0
	.end_amdhsa_kernel
	.section	.text._ZN5aiter35fused_qk_rmsnorm_group_quant_kernelIDF16_DB8_Li128ELi8ELi16ELb0ELb1ELb0ELb0ELb0ELb0EEEvPT0_PvPT_S6_S6_PKS5_S8_S8_S8_S8_ffiiiiiiiiiiiii,"axG",@progbits,_ZN5aiter35fused_qk_rmsnorm_group_quant_kernelIDF16_DB8_Li128ELi8ELi16ELb0ELb1ELb0ELb0ELb0ELb0EEEvPT0_PvPT_S6_S6_PKS5_S8_S8_S8_S8_ffiiiiiiiiiiiii,comdat
.Lfunc_end349:
	.size	_ZN5aiter35fused_qk_rmsnorm_group_quant_kernelIDF16_DB8_Li128ELi8ELi16ELb0ELb1ELb0ELb0ELb0ELb0EEEvPT0_PvPT_S6_S6_PKS5_S8_S8_S8_S8_ffiiiiiiiiiiiii, .Lfunc_end349-_ZN5aiter35fused_qk_rmsnorm_group_quant_kernelIDF16_DB8_Li128ELi8ELi16ELb0ELb1ELb0ELb0ELb0ELb0EEEvPT0_PvPT_S6_S6_PKS5_S8_S8_S8_S8_ffiiiiiiiiiiiii
                                        ; -- End function
	.section	.AMDGPU.csdata,"",@progbits
; Kernel info:
; codeLenInByte = 2604
; NumSgprs: 40
; NumVgprs: 23
; NumAgprs: 0
; TotalNumVgprs: 23
; ScratchSize: 0
; MemoryBound: 0
; FloatMode: 240
; IeeeMode: 1
; LDSByteSize: 16 bytes/workgroup (compile time only)
; SGPRBlocks: 4
; VGPRBlocks: 2
; NumSGPRsForWavesPerEU: 40
; NumVGPRsForWavesPerEU: 23
; AccumOffset: 24
; Occupancy: 8
; WaveLimiterHint : 0
; COMPUTE_PGM_RSRC2:SCRATCH_EN: 0
; COMPUTE_PGM_RSRC2:USER_SGPR: 6
; COMPUTE_PGM_RSRC2:TRAP_HANDLER: 0
; COMPUTE_PGM_RSRC2:TGID_X_EN: 1
; COMPUTE_PGM_RSRC2:TGID_Y_EN: 1
; COMPUTE_PGM_RSRC2:TGID_Z_EN: 0
; COMPUTE_PGM_RSRC2:TIDIG_COMP_CNT: 0
; COMPUTE_PGM_RSRC3_GFX90A:ACCUM_OFFSET: 5
; COMPUTE_PGM_RSRC3_GFX90A:TG_SPLIT: 0
	.section	.text._ZN5aiter35fused_qk_rmsnorm_group_quant_kernelItDB8_Li128ELi8ELi16ELb0ELb1ELb0ELb0ELb0ELb0EEEvPT0_PvPT_S6_S6_PKS5_S8_S8_S8_S8_ffiiiiiiiiiiiii,"axG",@progbits,_ZN5aiter35fused_qk_rmsnorm_group_quant_kernelItDB8_Li128ELi8ELi16ELb0ELb1ELb0ELb0ELb0ELb0EEEvPT0_PvPT_S6_S6_PKS5_S8_S8_S8_S8_ffiiiiiiiiiiiii,comdat
	.protected	_ZN5aiter35fused_qk_rmsnorm_group_quant_kernelItDB8_Li128ELi8ELi16ELb0ELb1ELb0ELb0ELb0ELb0EEEvPT0_PvPT_S6_S6_PKS5_S8_S8_S8_S8_ffiiiiiiiiiiiii ; -- Begin function _ZN5aiter35fused_qk_rmsnorm_group_quant_kernelItDB8_Li128ELi8ELi16ELb0ELb1ELb0ELb0ELb0ELb0EEEvPT0_PvPT_S6_S6_PKS5_S8_S8_S8_S8_ffiiiiiiiiiiiii
	.globl	_ZN5aiter35fused_qk_rmsnorm_group_quant_kernelItDB8_Li128ELi8ELi16ELb0ELb1ELb0ELb0ELb0ELb0EEEvPT0_PvPT_S6_S6_PKS5_S8_S8_S8_S8_ffiiiiiiiiiiiii
	.p2align	8
	.type	_ZN5aiter35fused_qk_rmsnorm_group_quant_kernelItDB8_Li128ELi8ELi16ELb0ELb1ELb0ELb0ELb0ELb0EEEvPT0_PvPT_S6_S6_PKS5_S8_S8_S8_S8_ffiiiiiiiiiiiii,@function
_ZN5aiter35fused_qk_rmsnorm_group_quant_kernelItDB8_Li128ELi8ELi16ELb0ELb1ELb0ELb0ELb0ELb0EEEvPT0_PvPT_S6_S6_PKS5_S8_S8_S8_S8_ffiiiiiiiiiiiii: ; @_ZN5aiter35fused_qk_rmsnorm_group_quant_kernelItDB8_Li128ELi8ELi16ELb0ELb1ELb0ELb0ELb0ELb0EEEvPT0_PvPT_S6_S6_PKS5_S8_S8_S8_S8_ffiiiiiiiiiiiii
; %bb.0:
	s_load_dwordx4 s[16:19], s[4:5], 0x50
	s_waitcnt lgkmcnt(0)
	s_cmp_ge_i32 s6, s18
	s_cbranch_scc1 .LBB350_10
; %bb.1:
	s_load_dwordx2 s[12:13], s[4:5], 0x48
	s_load_dwordx2 s[30:31], s[4:5], 0x30
	s_load_dwordx4 s[20:23], s[4:5], 0x60
	s_cmp_lg_u32 s7, 0
	s_cselect_b64 s[14:15], -1, 0
	s_cmp_eq_u32 s7, 0
	s_cselect_b64 vcc, -1, 0
	s_and_b64 s[0:1], vcc, exec
	s_waitcnt lgkmcnt(0)
	s_cselect_b32 s7, s19, s20
	s_add_i32 s0, s7, 1
	s_lshr_b32 s1, s0, 31
	s_add_i32 s0, s0, s1
	s_lshl_b32 s0, s0, 1
	v_lshlrev_b32_e32 v1, 3, v0
	s_and_b32 s10, s0, -4
	v_cmp_gt_i32_e64 s[2:3], s7, v1
	v_mov_b32_e32 v2, 0
	v_mov_b32_e32 v3, 0
	v_mov_b32_e32 v4, 0
	v_mov_b32_e32 v5, 0
	v_mov_b32_e32 v6, 0
	v_mov_b32_e32 v7, 0
	v_mov_b32_e32 v8, 0
	v_mov_b32_e32 v9, 0
	s_and_saveexec_b64 s[0:1], s[2:3]
	s_cbranch_execz .LBB350_3
; %bb.2:
	s_load_dwordx2 s[8:9], s[4:5], 0x28
	s_load_dwordx2 s[26:27], s[4:5], 0x40
	s_and_b64 s[24:25], vcc, exec
	s_cselect_b32 s11, s21, s22
	v_lshlrev_b32_e32 v10, 4, v0
	s_waitcnt lgkmcnt(0)
	s_cselect_b32 s18, s9, s31
	s_cselect_b32 s21, s8, s30
	s_mul_hi_i32 s9, s11, s6
	s_mul_i32 s8, s11, s6
	s_lshl_b64 s[8:9], s[8:9], 1
	s_add_u32 s24, s21, s8
	s_addc_u32 s18, s18, s9
	s_and_b64 s[8:9], vcc, exec
	s_mov_b32 s11, 0x20000
	s_cselect_b32 s8, s26, s12
	s_cselect_b32 s9, s27, s13
	s_and_b32 s25, s18, 0xffff
	s_mov_b32 s26, s10
	s_mov_b32 s27, s11
	s_and_b32 s9, s9, 0xffff
	buffer_load_dwordx4 v[6:9], v10, s[24:27], 0 offen glc slc
	buffer_load_dwordx4 v[2:5], v10, s[8:11], 0 offen
.LBB350_3:
	s_or_b64 exec, exec, s[0:1]
	s_waitcnt vmcnt(1)
	v_cvt_f32_u32_sdwa v13, v6 dst_sel:DWORD dst_unused:UNUSED_PAD src0_sel:WORD_1
	v_cvt_f32_u32_sdwa v12, v6 dst_sel:DWORD dst_unused:UNUSED_PAD src0_sel:WORD_0
	v_cvt_f32_u32_sdwa v6, v9 dst_sel:DWORD dst_unused:UNUSED_PAD src0_sel:WORD_1
	v_cvt_f32_u32_sdwa v9, v9 dst_sel:DWORD dst_unused:UNUSED_PAD src0_sel:WORD_0
	;; [unrolled: 2-line block ×4, first 2 shown]
	v_cndmask_b32_e64 v13, 0, v13, s[2:3]
	v_cndmask_b32_e64 v7, 0, v6, s[2:3]
	;; [unrolled: 1-line block ×5, first 2 shown]
	v_mul_f32_e32 v14, v13, v13
	v_cndmask_b32_e64 v10, 0, v10, s[2:3]
	v_fmac_f32_e32 v14, v12, v12
	v_cndmask_b32_e64 v11, 0, v11, s[2:3]
	v_fmac_f32_e32 v14, v10, v10
	;; [unrolled: 2-line block ×3, first 2 shown]
	v_fmac_f32_e32 v14, v8, v8
	v_fmac_f32_e32 v14, v9, v9
	;; [unrolled: 1-line block ×4, first 2 shown]
	v_and_b32_e32 v16, 63, v0
	v_cmp_eq_u32_e64 s[0:1], 63, v16
	v_mov_b32_dpp v15, v14 quad_perm:[1,0,3,2] row_mask:0xf bank_mask:0xf
	v_add_f32_e32 v14, v14, v15
	s_nop 1
	v_mov_b32_dpp v15, v14 quad_perm:[2,3,0,1] row_mask:0xf bank_mask:0xf
	v_add_f32_e32 v14, v14, v15
	s_nop 1
	v_mov_b32_dpp v15, v14 row_half_mirror row_mask:0xf bank_mask:0xf
	v_add_f32_e32 v14, v14, v15
	s_nop 1
	v_mov_b32_dpp v15, v14 row_mirror row_mask:0xf bank_mask:0xf
	v_add_f32_e32 v14, v14, v15
	s_nop 1
	v_mov_b32_dpp v15, v14 row_bcast:15 row_mask:0xf bank_mask:0xf
	v_add_f32_e32 v14, v14, v15
	s_nop 1
	v_mov_b32_dpp v15, v14 row_bcast:31 row_mask:0xf bank_mask:0xf
	s_and_saveexec_b64 s[8:9], s[0:1]
	s_cbranch_execz .LBB350_5
; %bb.4:
	v_add_f32_e32 v14, v14, v15
	v_lshrrev_b32_e32 v15, 4, v0
	v_and_b32_e32 v15, 60, v15
	ds_write_b32 v15, v14 offset:8
.LBB350_5:
	s_or_b64 exec, exec, s[8:9]
	v_and_b32_e32 v14, 1, v0
	v_lshlrev_b32_e32 v14, 2, v14
	s_waitcnt lgkmcnt(0)
	s_barrier
	ds_read_b32 v15, v14 offset:8
	s_load_dwordx2 s[28:29], s[4:5], 0x18
	s_waitcnt lgkmcnt(0)
	v_mov_b32_dpp v16, v15 quad_perm:[1,0,3,2] row_mask:0xf bank_mask:0xf
	s_and_saveexec_b64 s[8:9], s[2:3]
	s_cbranch_execz .LBB350_7
; %bb.6:
	v_cvt_f32_u32_e32 v17, s7
	v_add_f32_e32 v15, v15, v16
	v_mov_b32_e32 v19, s17
	v_mov_b32_e32 v20, s16
	v_div_scale_f32 v16, s[24:25], v17, v17, v15
	v_rcp_f32_e32 v18, v16
	v_cndmask_b32_e32 v19, v19, v20, vcc
	s_mov_b32 s7, 0x800000
	v_fma_f32 v20, -v16, v18, 1.0
	v_fmac_f32_e32 v18, v20, v18
	v_div_scale_f32 v20, vcc, v15, v17, v15
	v_mul_f32_e32 v21, v20, v18
	v_fma_f32 v22, -v16, v21, v20
	v_fmac_f32_e32 v21, v22, v18
	v_fma_f32 v16, -v16, v21, v20
	v_div_fmas_f32 v16, v16, v18, v21
	v_div_fixup_f32 v15, v16, v17, v15
	v_add_f32_e32 v15, v19, v15
	v_mul_f32_e32 v16, 0x4b800000, v15
	v_cmp_gt_f32_e32 vcc, s7, v15
	v_cndmask_b32_e32 v15, v15, v16, vcc
	v_rsq_f32_e32 v15, v15
	s_waitcnt vmcnt(0)
	v_cvt_f32_u32_sdwa v19, v3 dst_sel:DWORD dst_unused:UNUSED_PAD src0_sel:WORD_1
	v_cvt_f32_u32_sdwa v18, v3 dst_sel:DWORD dst_unused:UNUSED_PAD src0_sel:WORD_0
	v_cvt_f32_u32_sdwa v3, v4 dst_sel:DWORD dst_unused:UNUSED_PAD src0_sel:WORD_1
	v_mul_f32_e32 v16, 0x45800000, v15
	v_cndmask_b32_e32 v16, v15, v16, vcc
	v_mov_b32_e32 v17, v16
	;;#ASMSTART
	v_pk_mul_f32 v[12:13], v[12:13], v[16:17]
	;;#ASMEND
	;;#ASMSTART
	v_pk_mul_f32 v[10:11], v[10:11], v[16:17]
	;;#ASMEND
	;; [unrolled: 3-line block ×4, first 2 shown]
	v_cvt_f32_u32_sdwa v17, v2 dst_sel:DWORD dst_unused:UNUSED_PAD src0_sel:WORD_1
	v_cvt_f32_u32_sdwa v16, v2 dst_sel:DWORD dst_unused:UNUSED_PAD src0_sel:WORD_0
	v_cvt_f32_u32_sdwa v2, v4 dst_sel:DWORD dst_unused:UNUSED_PAD src0_sel:WORD_0
	v_cvt_f32_u32_sdwa v21, v5 dst_sel:DWORD dst_unused:UNUSED_PAD src0_sel:WORD_1
	v_cvt_f32_u32_sdwa v20, v5 dst_sel:DWORD dst_unused:UNUSED_PAD src0_sel:WORD_0
	;;#ASMSTART
	v_pk_mul_f32 v[12:13], v[12:13], v[16:17]
	;;#ASMEND
	;;#ASMSTART
	v_pk_mul_f32 v[10:11], v[10:11], v[18:19]
	;;#ASMEND
	;; [unrolled: 3-line block ×4, first 2 shown]
.LBB350_7:
	s_or_b64 exec, exec, s[8:9]
	s_load_dword s7, s[4:5], 0x80
	s_mov_b64 s[8:9], -1
	s_and_b64 vcc, exec, s[14:15]
	s_cbranch_vccnz .LBB350_11
; %bb.8:
	s_andn2_b64 vcc, exec, s[8:9]
	s_cbranch_vccz .LBB350_14
.LBB350_9:
	s_cmp_lt_i32 s20, 1
	s_cbranch_scc0 .LBB350_23
.LBB350_10:
	s_endpgm
.LBB350_11:
	s_and_saveexec_b64 s[14:15], s[2:3]
	s_cbranch_execz .LBB350_13
; %bb.12:
	s_waitcnt lgkmcnt(0)
	s_mul_hi_i32 s9, s7, s6
	s_mul_i32 s8, s7, s6
	s_lshl_b64 s[8:9], s[8:9], 1
	s_add_u32 s8, s28, s8
	s_addc_u32 s9, s29, s9
	s_mov_b32 s16, 0x7060302
	s_and_b32 s9, s9, 0xffff
	s_mov_b32 s11, 0x20000
	s_waitcnt vmcnt(0)
	v_perm_b32 v2, v13, v12, s16
	v_perm_b32 v3, v11, v10, s16
	;; [unrolled: 1-line block ×4, first 2 shown]
	v_lshlrev_b32_e32 v15, 4, v0
	buffer_store_dwordx4 v[2:5], v15, s[8:11], 0 offen
	;;#ASMSTART
	s_nop 0
	;;#ASMEND
.LBB350_13:
	s_or_b64 exec, exec, s[14:15]
	s_cbranch_execnz .LBB350_9
.LBB350_14:
	s_load_dwordx4 s[24:27], s[4:5], 0x70
	s_waitcnt vmcnt(0)
	v_mov_b32_e32 v2, 0
	s_and_saveexec_b64 s[14:15], s[2:3]
	s_cbranch_execz .LBB350_16
; %bb.15:
	s_load_dwordx2 s[8:9], s[4:5], 0x10
	s_waitcnt lgkmcnt(0)
	s_mul_hi_i32 s35, s27, s6
	s_mul_i32 s34, s27, s6
	s_lshl_b64 s[34:35], s[34:35], 1
	s_mov_b32 s16, 0x7060302
	s_add_u32 s8, s8, s34
	s_addc_u32 s9, s9, s35
	s_mov_b32 s11, 0x20000
	s_and_b32 s9, s9, 0xffff
	v_perm_b32 v2, v13, v12, s16
	v_perm_b32 v3, v11, v10, s16
	;; [unrolled: 1-line block ×4, first 2 shown]
	v_lshlrev_b32_e32 v15, 4, v0
	buffer_store_dwordx4 v[2:5], v15, s[8:11], 0 offen
	;;#ASMSTART
	s_nop 0
	;;#ASMEND
	s_nop 0
	v_mov_b32_e32 v2, 0x2edbe6ff
.LBB350_16:
	s_or_b64 exec, exec, s[14:15]
	s_and_saveexec_b64 s[8:9], s[2:3]
	s_cbranch_execz .LBB350_18
; %bb.17:
	v_and_b32_e32 v3, 0x7fffffff, v12
	v_and_b32_e32 v4, 0x7fffffff, v13
	;;#ASMSTART
	v_max3_f32 v2, v2, v3, v4

	;;#ASMEND
	v_and_b32_e32 v3, 0x7fffffff, v10
	v_and_b32_e32 v4, 0x7fffffff, v11
	;;#ASMSTART
	v_max3_f32 v2, v2, v3, v4

	;;#ASMEND
	v_and_b32_e32 v3, 0x7fffffff, v8
	v_and_b32_e32 v4, 0x7fffffff, v9
	;;#ASMSTART
	v_max3_f32 v2, v2, v3, v4

	;;#ASMEND
	v_and_b32_e32 v3, 0x7fffffff, v6
	v_and_b32_e32 v4, 0x7fffffff, v7
	;;#ASMSTART
	v_max3_f32 v2, v2, v3, v4

	;;#ASMEND
.LBB350_18:
	s_or_b64 exec, exec, s[8:9]
	;;#ASMSTART
	v_max_f32 v3, v2, v2 quad_perm:[1,0,3,2] row_mask:0xf bank_mask:0xf bound_ctrl:1
	;;#ASMEND
	;;#ASMSTART
	v_max_f32 v2, v3, v3 quad_perm:[2,3,0,1] row_mask:0xf bank_mask:0xf bound_ctrl:1
	;;#ASMEND
	;;#ASMSTART
	v_max_f32 v3, v2, v2 row_half_mirror row_mask:0xf bank_mask:0xf bound_ctrl:1
	;;#ASMEND
	;;#ASMSTART
	v_max_f32 v2, v3, v3 row_mirror row_mask:0xf bank_mask:0xf bound_ctrl:1
	;;#ASMEND
	v_and_b32_e32 v3, 15, v0
	v_cmp_eq_u32_e32 vcc, 0, v3
	v_cmp_gt_i32_e64 s[8:9], s19, v1
	v_mul_f32_e32 v2, 0x3b124925, v2
	s_and_b64 s[10:11], vcc, s[8:9]
	s_and_saveexec_b64 s[8:9], s[10:11]
	s_cbranch_execz .LBB350_20
; %bb.19:
	s_load_dwordx2 s[10:11], s[4:5], 0x8
	s_waitcnt lgkmcnt(0)
	s_mul_hi_i32 s15, s25, s6
	s_mul_i32 s14, s25, s6
	v_lshrrev_b32_e32 v3, 4, v0
	s_lshl_b64 s[14:15], s[14:15], 2
	v_mad_i64_i32 v[4:5], s[26:27], s26, v3, 0
	s_add_u32 s10, s10, s14
	s_addc_u32 s11, s11, s15
	v_lshlrev_b64 v[4:5], 2, v[4:5]
	v_mov_b32_e32 v3, s11
	v_add_co_u32_e32 v4, vcc, s10, v4
	v_addc_co_u32_e32 v5, vcc, v3, v5, vcc
	global_store_dword v[4:5], v2, off
.LBB350_20:
	s_or_b64 exec, exec, s[8:9]
	;;#ASMSTART
	v_rcp_f32 v2, v2
	;;#ASMEND
	s_and_saveexec_b64 s[14:15], s[2:3]
	s_cbranch_execz .LBB350_22
; %bb.21:
	s_load_dwordx2 s[2:3], s[4:5], 0x0
	s_waitcnt lgkmcnt(0)
	s_mul_i32 s8, s24, s6
	s_mul_hi_i32 s9, s24, s6
	v_mov_b32_e32 v3, v2
	;;#ASMSTART
	v_pk_mul_f32 v[4:5], v[12:13], v[2:3]
	;;#ASMEND
	s_add_u32 s8, s2, s8
	s_addc_u32 s2, s3, s9
	s_add_i32 s3, s19, 3
	s_ashr_i32 s9, s3, 31
	v_mov_b32_e32 v12, 0xc3e00000
	v_mov_b32_e32 v13, 0x43e00000
	;;#ASMSTART
	v_med3_f32 v4, v4, v12, v13
v_med3_f32 v5, v5, v12, v13
v_cvt_pk_fp8_f32 v15, v4, v5
	;;#ASMEND
	s_lshr_b32 s9, s9, 30
	;;#ASMSTART
	v_pk_mul_f32 v[4:5], v[10:11], v[2:3]
	;;#ASMEND
	s_add_i32 s3, s3, s9
	s_and_b32 s9, s2, 0xffff
	;;#ASMSTART
	v_med3_f32 v4, v4, v12, v13
v_med3_f32 v5, v5, v12, v13
v_cvt_pk_fp8_f32 v10, v4, v5
	;;#ASMEND
	s_mov_b32 s2, 0x5040100
	v_perm_b32 v5, v10, v15, s2
	s_movk_i32 s2, 0xff
	v_and_b32_e32 v4, 0xffffff00, v10
	v_and_b32_sdwa v10, v5, s2 dst_sel:DWORD dst_unused:UNUSED_PAD src0_sel:WORD_1 src1_sel:DWORD
	s_mov_b32 s16, 0xffff
	v_or_b32_sdwa v4, v10, v4 dst_sel:WORD_1 dst_unused:UNUSED_PAD src0_sel:DWORD src1_sel:DWORD
	v_and_or_b32 v4, v5, s16, v4
	;;#ASMSTART
	v_pk_mul_f32 v[8:9], v[8:9], v[2:3]
	;;#ASMEND
	v_mov_b32_e32 v5, v9
	;;#ASMSTART
	v_med3_f32 v8, v8, v12, v13
v_med3_f32 v5, v5, v12, v13
v_cvt_pk_fp8_f32 v9, v8, v5
	;;#ASMEND
	;;#ASMSTART
	v_pk_mul_f32 v[2:3], v[6:7], v[2:3]
	;;#ASMEND
	;;#ASMSTART
	v_med3_f32 v2, v2, v12, v13
v_med3_f32 v3, v3, v12, v13
v_cvt_pk_fp8_f32 v5, v2, v3
	;;#ASMEND
	v_lshlrev_b32_e32 v2, 16, v5
	s_and_b32 s10, s3, -4
	s_mov_b32 s11, 0x20000
	v_and_or_b32 v5, v9, s16, v2
	buffer_store_dwordx2 v[4:5], v1, s[8:11], 0 offen
	;;#ASMSTART
	s_nop 0
	;;#ASMEND
.LBB350_22:
	s_or_b64 exec, exec, s[14:15]
	s_cmp_lt_i32 s20, 1
	s_cbranch_scc1 .LBB350_10
.LBB350_23:
	s_load_dword s2, s[4:5], 0x94
	s_waitcnt lgkmcnt(0)
	s_cmp_lg_u32 s2, 1
	s_cbranch_scc1 .LBB350_10
; %bb.24:
	s_lshl_b32 s2, s20, 1
	s_add_i32 s2, s2, 2
	v_cmp_gt_u32_e32 vcc, s20, v1
	s_and_b32 s14, s2, -4
	v_mov_b32_e32 v6, 0
	v_lshlrev_b32_e32 v1, 4, v0
	v_mov_b32_e32 v7, 0
	v_mov_b32_e32 v8, 0
	;; [unrolled: 1-line block ×3, first 2 shown]
	s_waitcnt vmcnt(0)
	v_mov_b32_e32 v2, 0
	v_mov_b32_e32 v3, 0
	;; [unrolled: 1-line block ×4, first 2 shown]
	s_barrier
	s_and_saveexec_b64 s[2:3], vcc
	s_cbranch_execz .LBB350_26
; %bb.25:
	s_mul_hi_i32 s5, s22, s6
	s_mul_i32 s4, s22, s6
	s_and_b32 s13, s13, 0xffff
	s_lshl_b64 s[4:5], s[4:5], 1
	s_add_u32 s8, s30, s4
	s_mov_b32 s15, 0x20000
	s_addc_u32 s4, s31, s5
	s_and_b32 s9, s4, 0xffff
	s_mov_b32 s10, s14
	s_mov_b32 s11, s15
	buffer_load_dwordx4 v[6:9], v1, s[8:11], 0 offen glc slc
	buffer_load_dwordx4 v[2:5], v1, s[12:15], 0 offen
.LBB350_26:
	s_or_b64 exec, exec, s[2:3]
	s_waitcnt vmcnt(1)
	v_cvt_f32_u32_sdwa v13, v6 dst_sel:DWORD dst_unused:UNUSED_PAD src0_sel:WORD_1
	v_cvt_f32_u32_sdwa v12, v6 dst_sel:DWORD dst_unused:UNUSED_PAD src0_sel:WORD_0
	v_cvt_f32_u32_sdwa v6, v9 dst_sel:DWORD dst_unused:UNUSED_PAD src0_sel:WORD_1
	v_cvt_f32_u32_sdwa v9, v9 dst_sel:DWORD dst_unused:UNUSED_PAD src0_sel:WORD_0
	;; [unrolled: 2-line block ×4, first 2 shown]
	v_cndmask_b32_e32 v13, 0, v13, vcc
	v_cndmask_b32_e32 v7, 0, v6, vcc
	;; [unrolled: 1-line block ×5, first 2 shown]
	v_mul_f32_e32 v15, v13, v13
	v_cndmask_b32_e32 v10, 0, v10, vcc
	v_fmac_f32_e32 v15, v12, v12
	v_cndmask_b32_e32 v11, 0, v11, vcc
	v_fmac_f32_e32 v15, v10, v10
	;; [unrolled: 2-line block ×3, first 2 shown]
	v_fmac_f32_e32 v15, v8, v8
	v_fmac_f32_e32 v15, v9, v9
	;; [unrolled: 1-line block ×4, first 2 shown]
	s_nop 1
	v_mov_b32_dpp v16, v15 quad_perm:[1,0,3,2] row_mask:0xf bank_mask:0xf
	v_add_f32_e32 v15, v15, v16
	s_nop 1
	v_mov_b32_dpp v16, v15 quad_perm:[2,3,0,1] row_mask:0xf bank_mask:0xf
	v_add_f32_e32 v15, v15, v16
	s_nop 1
	v_mov_b32_dpp v16, v15 row_half_mirror row_mask:0xf bank_mask:0xf
	v_add_f32_e32 v15, v15, v16
	s_nop 1
	v_mov_b32_dpp v16, v15 row_mirror row_mask:0xf bank_mask:0xf
	v_add_f32_e32 v15, v15, v16
	s_nop 1
	v_mov_b32_dpp v16, v15 row_bcast:15 row_mask:0xf bank_mask:0xf
	v_add_f32_e32 v15, v15, v16
	s_nop 1
	v_mov_b32_dpp v16, v15 row_bcast:31 row_mask:0xf bank_mask:0xf
	s_and_saveexec_b64 s[2:3], s[0:1]
	s_cbranch_execz .LBB350_28
; %bb.27:
	v_lshrrev_b32_e32 v0, 4, v0
	v_add_f32_e32 v15, v15, v16
	v_and_b32_e32 v0, 60, v0
	ds_write_b32 v0, v15
.LBB350_28:
	s_or_b64 exec, exec, s[2:3]
	s_waitcnt lgkmcnt(0)
	s_barrier
	ds_read_b32 v0, v14
	s_waitcnt lgkmcnt(0)
	s_nop 0
	v_mov_b32_dpp v14, v0 quad_perm:[1,0,3,2] row_mask:0xf bank_mask:0xf
	s_and_saveexec_b64 s[0:1], vcc
	s_cbranch_execz .LBB350_10
; %bb.29:
	v_cvt_f32_u32_e32 v15, s20
	v_add_f32_e32 v0, v0, v14
	s_mov_b32 s15, 0x20000
	v_div_scale_f32 v14, s[0:1], v15, v15, v0
	v_rcp_f32_e32 v16, v14
	v_div_scale_f32 v17, vcc, v0, v15, v0
	s_mov_b32 s0, 0x800000
	v_fma_f32 v18, -v14, v16, 1.0
	v_fmac_f32_e32 v16, v18, v16
	v_mul_f32_e32 v18, v17, v16
	v_fma_f32 v19, -v14, v18, v17
	v_fmac_f32_e32 v18, v19, v16
	v_fma_f32 v14, -v14, v18, v17
	v_div_fmas_f32 v14, v14, v16, v18
	v_div_fixup_f32 v0, v14, v15, v0
	v_add_f32_e32 v0, s17, v0
	v_mul_f32_e32 v14, 0x4b800000, v0
	v_cmp_gt_f32_e32 vcc, s0, v0
	v_cndmask_b32_e32 v0, v0, v14, vcc
	v_rsq_f32_e32 v0, v0
	s_mul_hi_i32 s1, s7, s6
	s_mul_i32 s0, s7, s6
	s_lshl_b64 s[0:1], s[0:1], 1
	v_mul_f32_e32 v14, 0x45800000, v0
	v_cndmask_b32_e32 v14, v0, v14, vcc
	s_add_u32 s12, s28, s0
	v_mov_b32_e32 v15, v14
	s_addc_u32 s0, s29, s1
	;;#ASMSTART
	v_pk_mul_f32 v[12:13], v[12:13], v[14:15]
	;;#ASMEND
	;;#ASMSTART
	v_pk_mul_f32 v[10:11], v[10:11], v[14:15]
	;;#ASMEND
	;; [unrolled: 3-line block ×4, first 2 shown]
	s_waitcnt vmcnt(0)
	v_cvt_f32_u32_sdwa v15, v2 dst_sel:DWORD dst_unused:UNUSED_PAD src0_sel:WORD_1
	v_cvt_f32_u32_sdwa v14, v2 dst_sel:DWORD dst_unused:UNUSED_PAD src0_sel:WORD_0
	v_cvt_f32_u32_sdwa v17, v3 dst_sel:DWORD dst_unused:UNUSED_PAD src0_sel:WORD_1
	v_cvt_f32_u32_sdwa v16, v3 dst_sel:DWORD dst_unused:UNUSED_PAD src0_sel:WORD_0
	;; [unrolled: 2-line block ×4, first 2 shown]
	;;#ASMSTART
	v_pk_mul_f32 v[4:5], v[12:13], v[14:15]
	;;#ASMEND
	s_and_b32 s13, s0, 0xffff
	s_mov_b32 s0, 0x7060302
	;;#ASMSTART
	v_pk_mul_f32 v[10:11], v[10:11], v[16:17]
	;;#ASMEND
	;;#ASMSTART
	v_pk_mul_f32 v[8:9], v[8:9], v[2:3]
	;;#ASMEND
	;; [unrolled: 3-line block ×3, first 2 shown]
	v_perm_b32 v2, v5, v4, s0
	v_perm_b32 v3, v11, v10, s0
	;; [unrolled: 1-line block ×4, first 2 shown]
	buffer_store_dwordx4 v[2:5], v1, s[12:15], 0 offen
	;;#ASMSTART
	s_nop 0
	;;#ASMEND
	s_endpgm
	.section	.rodata,"a",@progbits
	.p2align	6, 0x0
	.amdhsa_kernel _ZN5aiter35fused_qk_rmsnorm_group_quant_kernelItDB8_Li128ELi8ELi16ELb0ELb1ELb0ELb0ELb0ELb0EEEvPT0_PvPT_S6_S6_PKS5_S8_S8_S8_S8_ffiiiiiiiiiiiii
		.amdhsa_group_segment_fixed_size 16
		.amdhsa_private_segment_fixed_size 0
		.amdhsa_kernarg_size 400
		.amdhsa_user_sgpr_count 6
		.amdhsa_user_sgpr_private_segment_buffer 1
		.amdhsa_user_sgpr_dispatch_ptr 0
		.amdhsa_user_sgpr_queue_ptr 0
		.amdhsa_user_sgpr_kernarg_segment_ptr 1
		.amdhsa_user_sgpr_dispatch_id 0
		.amdhsa_user_sgpr_flat_scratch_init 0
		.amdhsa_user_sgpr_kernarg_preload_length 0
		.amdhsa_user_sgpr_kernarg_preload_offset 0
		.amdhsa_user_sgpr_private_segment_size 0
		.amdhsa_uses_dynamic_stack 0
		.amdhsa_system_sgpr_private_segment_wavefront_offset 0
		.amdhsa_system_sgpr_workgroup_id_x 1
		.amdhsa_system_sgpr_workgroup_id_y 1
		.amdhsa_system_sgpr_workgroup_id_z 0
		.amdhsa_system_sgpr_workgroup_info 0
		.amdhsa_system_vgpr_workitem_id 0
		.amdhsa_next_free_vgpr 23
		.amdhsa_next_free_sgpr 36
		.amdhsa_accum_offset 24
		.amdhsa_reserve_vcc 1
		.amdhsa_reserve_flat_scratch 0
		.amdhsa_float_round_mode_32 0
		.amdhsa_float_round_mode_16_64 0
		.amdhsa_float_denorm_mode_32 3
		.amdhsa_float_denorm_mode_16_64 3
		.amdhsa_dx10_clamp 1
		.amdhsa_ieee_mode 1
		.amdhsa_fp16_overflow 0
		.amdhsa_tg_split 0
		.amdhsa_exception_fp_ieee_invalid_op 0
		.amdhsa_exception_fp_denorm_src 0
		.amdhsa_exception_fp_ieee_div_zero 0
		.amdhsa_exception_fp_ieee_overflow 0
		.amdhsa_exception_fp_ieee_underflow 0
		.amdhsa_exception_fp_ieee_inexact 0
		.amdhsa_exception_int_div_zero 0
	.end_amdhsa_kernel
	.section	.text._ZN5aiter35fused_qk_rmsnorm_group_quant_kernelItDB8_Li128ELi8ELi16ELb0ELb1ELb0ELb0ELb0ELb0EEEvPT0_PvPT_S6_S6_PKS5_S8_S8_S8_S8_ffiiiiiiiiiiiii,"axG",@progbits,_ZN5aiter35fused_qk_rmsnorm_group_quant_kernelItDB8_Li128ELi8ELi16ELb0ELb1ELb0ELb0ELb0ELb0EEEvPT0_PvPT_S6_S6_PKS5_S8_S8_S8_S8_ffiiiiiiiiiiiii,comdat
.Lfunc_end350:
	.size	_ZN5aiter35fused_qk_rmsnorm_group_quant_kernelItDB8_Li128ELi8ELi16ELb0ELb1ELb0ELb0ELb0ELb0EEEvPT0_PvPT_S6_S6_PKS5_S8_S8_S8_S8_ffiiiiiiiiiiiii, .Lfunc_end350-_ZN5aiter35fused_qk_rmsnorm_group_quant_kernelItDB8_Li128ELi8ELi16ELb0ELb1ELb0ELb0ELb0ELb0EEEvPT0_PvPT_S6_S6_PKS5_S8_S8_S8_S8_ffiiiiiiiiiiiii
                                        ; -- End function
	.section	.AMDGPU.csdata,"",@progbits
; Kernel info:
; codeLenInByte = 2596
; NumSgprs: 40
; NumVgprs: 23
; NumAgprs: 0
; TotalNumVgprs: 23
; ScratchSize: 0
; MemoryBound: 0
; FloatMode: 240
; IeeeMode: 1
; LDSByteSize: 16 bytes/workgroup (compile time only)
; SGPRBlocks: 4
; VGPRBlocks: 2
; NumSGPRsForWavesPerEU: 40
; NumVGPRsForWavesPerEU: 23
; AccumOffset: 24
; Occupancy: 8
; WaveLimiterHint : 0
; COMPUTE_PGM_RSRC2:SCRATCH_EN: 0
; COMPUTE_PGM_RSRC2:USER_SGPR: 6
; COMPUTE_PGM_RSRC2:TRAP_HANDLER: 0
; COMPUTE_PGM_RSRC2:TGID_X_EN: 1
; COMPUTE_PGM_RSRC2:TGID_Y_EN: 1
; COMPUTE_PGM_RSRC2:TGID_Z_EN: 0
; COMPUTE_PGM_RSRC2:TIDIG_COMP_CNT: 0
; COMPUTE_PGM_RSRC3_GFX90A:ACCUM_OFFSET: 5
; COMPUTE_PGM_RSRC3_GFX90A:TG_SPLIT: 0
	.section	.text._ZN5aiter35fused_qk_rmsnorm_group_quant_kernelIDF16_N4opus5fp4_tELi128ELi8ELi16ELb0ELb1ELb0ELb0ELb0ELb0EEEvPT0_PvPT_S7_S7_PKS6_S9_S9_S9_S9_ffiiiiiiiiiiiii,"axG",@progbits,_ZN5aiter35fused_qk_rmsnorm_group_quant_kernelIDF16_N4opus5fp4_tELi128ELi8ELi16ELb0ELb1ELb0ELb0ELb0ELb0EEEvPT0_PvPT_S7_S7_PKS6_S9_S9_S9_S9_ffiiiiiiiiiiiii,comdat
	.protected	_ZN5aiter35fused_qk_rmsnorm_group_quant_kernelIDF16_N4opus5fp4_tELi128ELi8ELi16ELb0ELb1ELb0ELb0ELb0ELb0EEEvPT0_PvPT_S7_S7_PKS6_S9_S9_S9_S9_ffiiiiiiiiiiiii ; -- Begin function _ZN5aiter35fused_qk_rmsnorm_group_quant_kernelIDF16_N4opus5fp4_tELi128ELi8ELi16ELb0ELb1ELb0ELb0ELb0ELb0EEEvPT0_PvPT_S7_S7_PKS6_S9_S9_S9_S9_ffiiiiiiiiiiiii
	.globl	_ZN5aiter35fused_qk_rmsnorm_group_quant_kernelIDF16_N4opus5fp4_tELi128ELi8ELi16ELb0ELb1ELb0ELb0ELb0ELb0EEEvPT0_PvPT_S7_S7_PKS6_S9_S9_S9_S9_ffiiiiiiiiiiiii
	.p2align	8
	.type	_ZN5aiter35fused_qk_rmsnorm_group_quant_kernelIDF16_N4opus5fp4_tELi128ELi8ELi16ELb0ELb1ELb0ELb0ELb0ELb0EEEvPT0_PvPT_S7_S7_PKS6_S9_S9_S9_S9_ffiiiiiiiiiiiii,@function
_ZN5aiter35fused_qk_rmsnorm_group_quant_kernelIDF16_N4opus5fp4_tELi128ELi8ELi16ELb0ELb1ELb0ELb0ELb0ELb0EEEvPT0_PvPT_S7_S7_PKS6_S9_S9_S9_S9_ffiiiiiiiiiiiii: ; @_ZN5aiter35fused_qk_rmsnorm_group_quant_kernelIDF16_N4opus5fp4_tELi128ELi8ELi16ELb0ELb1ELb0ELb0ELb0ELb0EEEvPT0_PvPT_S7_S7_PKS6_S9_S9_S9_S9_ffiiiiiiiiiiiii
; %bb.0:
	s_load_dwordx4 s[16:19], s[4:5], 0x50
	s_waitcnt lgkmcnt(0)
	s_cmp_ge_i32 s6, s18
	s_cbranch_scc1 .LBB351_12
; %bb.1:
	s_load_dwordx2 s[12:13], s[4:5], 0x48
	s_load_dwordx2 s[30:31], s[4:5], 0x30
	s_load_dwordx4 s[20:23], s[4:5], 0x60
	s_cmp_lg_u32 s7, 0
	s_cselect_b64 s[14:15], -1, 0
	s_cmp_eq_u32 s7, 0
	s_cselect_b64 vcc, -1, 0
	s_and_b64 s[0:1], vcc, exec
	s_waitcnt lgkmcnt(0)
	s_cselect_b32 s7, s19, s20
	s_add_i32 s0, s7, 1
	s_lshr_b32 s1, s0, 31
	s_add_i32 s0, s0, s1
	s_lshl_b32 s0, s0, 1
	v_lshlrev_b32_e32 v1, 3, v0
	s_and_b32 s10, s0, -4
	v_cmp_gt_i32_e64 s[2:3], s7, v1
	v_mov_b32_e32 v10, 0
	v_mov_b32_e32 v2, 0
	;; [unrolled: 1-line block ×9, first 2 shown]
	s_and_saveexec_b64 s[0:1], s[2:3]
	s_cbranch_execz .LBB351_3
; %bb.2:
	s_load_dwordx2 s[8:9], s[4:5], 0x28
	s_load_dwordx2 s[26:27], s[4:5], 0x40
	s_and_b64 s[24:25], vcc, exec
	s_cselect_b32 s11, s21, s22
	v_lshlrev_b32_e32 v11, 4, v0
	s_waitcnt lgkmcnt(0)
	s_cselect_b32 s18, s9, s31
	s_cselect_b32 s21, s8, s30
	s_mul_hi_i32 s9, s11, s6
	s_mul_i32 s8, s11, s6
	s_lshl_b64 s[8:9], s[8:9], 1
	s_add_u32 s24, s21, s8
	s_addc_u32 s18, s18, s9
	s_and_b64 s[8:9], vcc, exec
	s_mov_b32 s11, 0x20000
	s_cselect_b32 s8, s26, s12
	s_cselect_b32 s9, s27, s13
	s_and_b32 s25, s18, 0xffff
	s_mov_b32 s26, s10
	s_mov_b32 s27, s11
	s_and_b32 s9, s9, 0xffff
	buffer_load_dwordx4 v[6:9], v11, s[24:27], 0 offen glc slc
	buffer_load_dwordx4 v[2:5], v11, s[8:11], 0 offen
.LBB351_3:
	s_or_b64 exec, exec, s[0:1]
	v_mov_b32_e32 v11, 0
	v_mov_b32_e32 v16, 0
	;; [unrolled: 1-line block ×7, first 2 shown]
	s_and_saveexec_b64 s[0:1], s[2:3]
	s_cbranch_execz .LBB351_5
; %bb.4:
	s_waitcnt vmcnt(1)
	v_cvt_f32_f16_sdwa v11, v6 dst_sel:DWORD dst_unused:UNUSED_PAD src0_sel:WORD_1
	v_cvt_f32_f16_e32 v10, v6
	v_cvt_f32_f16_sdwa v17, v7 dst_sel:DWORD dst_unused:UNUSED_PAD src0_sel:WORD_1
	v_cvt_f32_f16_e32 v16, v7
	;; [unrolled: 2-line block ×4, first 2 shown]
.LBB351_5:
	s_or_b64 exec, exec, s[0:1]
	s_waitcnt vmcnt(1)
	v_mul_f32_e32 v6, v11, v11
	v_fmac_f32_e32 v6, v10, v10
	v_fmac_f32_e32 v6, v16, v16
	;; [unrolled: 1-line block ×7, first 2 shown]
	v_and_b32_e32 v8, 63, v0
	v_cmp_eq_u32_e64 s[0:1], 63, v8
	v_mov_b32_dpp v7, v6 quad_perm:[1,0,3,2] row_mask:0xf bank_mask:0xf
	v_add_f32_e32 v6, v6, v7
	s_nop 1
	v_mov_b32_dpp v7, v6 quad_perm:[2,3,0,1] row_mask:0xf bank_mask:0xf
	v_add_f32_e32 v6, v6, v7
	s_nop 1
	v_mov_b32_dpp v7, v6 row_half_mirror row_mask:0xf bank_mask:0xf
	v_add_f32_e32 v6, v6, v7
	s_nop 1
	v_mov_b32_dpp v7, v6 row_mirror row_mask:0xf bank_mask:0xf
	v_add_f32_e32 v6, v6, v7
	s_nop 1
	v_mov_b32_dpp v7, v6 row_bcast:15 row_mask:0xf bank_mask:0xf
	v_add_f32_e32 v6, v6, v7
	s_nop 1
	v_mov_b32_dpp v7, v6 row_bcast:31 row_mask:0xf bank_mask:0xf
	s_and_saveexec_b64 s[8:9], s[0:1]
	s_cbranch_execz .LBB351_7
; %bb.6:
	v_add_f32_e32 v6, v6, v7
	v_lshrrev_b32_e32 v7, 4, v0
	v_and_b32_e32 v7, 60, v7
	ds_write_b32 v7, v6 offset:8
.LBB351_7:
	s_or_b64 exec, exec, s[8:9]
	v_and_b32_e32 v6, 1, v0
	v_lshlrev_b32_e32 v18, 2, v6
	s_waitcnt lgkmcnt(0)
	s_barrier
	ds_read_b32 v6, v18 offset:8
	s_load_dwordx2 s[28:29], s[4:5], 0x18
	s_waitcnt lgkmcnt(0)
	v_mov_b32_dpp v7, v6 quad_perm:[1,0,3,2] row_mask:0xf bank_mask:0xf
	s_and_saveexec_b64 s[8:9], s[2:3]
	s_cbranch_execz .LBB351_9
; %bb.8:
	v_cvt_f32_u32_e32 v8, s7
	v_add_f32_e32 v6, v6, v7
	v_mov_b32_e32 v19, s17
	v_mov_b32_e32 v20, s16
	v_div_scale_f32 v7, s[24:25], v8, v8, v6
	v_rcp_f32_e32 v9, v7
	v_cndmask_b32_e32 v19, v19, v20, vcc
	s_mov_b32 s7, 0x800000
	v_fma_f32 v20, -v7, v9, 1.0
	v_fmac_f32_e32 v9, v20, v9
	v_div_scale_f32 v20, vcc, v6, v8, v6
	v_mul_f32_e32 v21, v20, v9
	v_fma_f32 v22, -v7, v21, v20
	v_fmac_f32_e32 v21, v22, v9
	v_fma_f32 v7, -v7, v21, v20
	v_div_fmas_f32 v7, v7, v9, v21
	v_div_fixup_f32 v6, v7, v8, v6
	v_add_f32_e32 v6, v19, v6
	v_mul_f32_e32 v7, 0x4b800000, v6
	v_cmp_gt_f32_e32 vcc, s7, v6
	v_cndmask_b32_e32 v6, v6, v7, vcc
	v_rsq_f32_e32 v6, v6
	s_waitcnt vmcnt(0)
	v_cvt_f32_f16_sdwa v21, v5 dst_sel:DWORD dst_unused:UNUSED_PAD src0_sel:WORD_1
	v_cvt_f32_f16_e32 v20, v5
	v_mul_f32_e32 v7, 0x45800000, v6
	v_cndmask_b32_e32 v6, v6, v7, vcc
	v_mov_b32_e32 v7, v6
	;;#ASMSTART
	v_pk_mul_f32 v[8:9], v[10:11], v[6:7]
	;;#ASMEND
	;;#ASMSTART
	v_pk_mul_f32 v[16:17], v[16:17], v[6:7]
	;;#ASMEND
	;; [unrolled: 3-line block ×4, first 2 shown]
	v_cvt_f32_f16_sdwa v11, v2 dst_sel:DWORD dst_unused:UNUSED_PAD src0_sel:WORD_1
	v_cvt_f32_f16_e32 v10, v2
	v_cvt_f32_f16_sdwa v15, v3 dst_sel:DWORD dst_unused:UNUSED_PAD src0_sel:WORD_1
	v_cvt_f32_f16_e32 v14, v3
	;; [unrolled: 2-line block ×3, first 2 shown]
	;;#ASMSTART
	v_pk_mul_f32 v[10:11], v[8:9], v[10:11]
	;;#ASMEND
	;;#ASMSTART
	v_pk_mul_f32 v[16:17], v[16:17], v[14:15]
	;;#ASMEND
	;; [unrolled: 3-line block ×4, first 2 shown]
.LBB351_9:
	s_or_b64 exec, exec, s[8:9]
	s_load_dword s7, s[4:5], 0x80
	s_mov_b64 s[8:9], -1
	s_and_b64 vcc, exec, s[14:15]
	s_cbranch_vccnz .LBB351_13
; %bb.10:
	s_andn2_b64 vcc, exec, s[8:9]
	s_cbranch_vccz .LBB351_16
.LBB351_11:
	s_cmp_lt_i32 s20, 1
	s_cbranch_scc0 .LBB351_25
.LBB351_12:
	s_endpgm
.LBB351_13:
	s_and_saveexec_b64 s[14:15], s[2:3]
	s_cbranch_execz .LBB351_15
; %bb.14:
	s_waitcnt lgkmcnt(0)
	s_mul_hi_i32 s9, s7, s6
	s_mul_i32 s8, s7, s6
	s_waitcnt vmcnt(0)
	v_cvt_f16_f32_e32 v2, v10
	v_cvt_f16_f32_e32 v3, v16
	;; [unrolled: 1-line block ×8, first 2 shown]
	s_lshl_b64 s[8:9], s[8:9], 1
	s_add_u32 s8, s28, s8
	s_addc_u32 s9, s29, s9
	s_and_b32 s9, s9, 0xffff
	s_mov_b32 s11, 0x20000
	v_pack_b32_f16 v5, v5, v6
	v_pack_b32_f16 v4, v4, v7
	;; [unrolled: 1-line block ×4, first 2 shown]
	v_lshlrev_b32_e32 v6, 4, v0
	buffer_store_dwordx4 v[2:5], v6, s[8:11], 0 offen
	;;#ASMSTART
	s_nop 0
	;;#ASMEND
.LBB351_15:
	s_or_b64 exec, exec, s[14:15]
	s_cbranch_execnz .LBB351_11
.LBB351_16:
	s_load_dwordx4 s[24:27], s[4:5], 0x70
	s_waitcnt vmcnt(0)
	v_mov_b32_e32 v2, 0
	s_and_saveexec_b64 s[14:15], s[2:3]
	s_cbranch_execz .LBB351_18
; %bb.17:
	s_load_dwordx2 s[8:9], s[4:5], 0x10
	s_waitcnt lgkmcnt(0)
	s_mul_hi_i32 s35, s27, s6
	s_mul_i32 s34, s27, s6
	v_cvt_f16_f32_e32 v2, v10
	v_cvt_f16_f32_e32 v3, v16
	;; [unrolled: 1-line block ×8, first 2 shown]
	s_lshl_b64 s[34:35], s[34:35], 1
	s_add_u32 s8, s8, s34
	s_addc_u32 s9, s9, s35
	s_mov_b32 s11, 0x20000
	s_and_b32 s9, s9, 0xffff
	v_pack_b32_f16 v5, v5, v6
	v_pack_b32_f16 v4, v4, v7
	;; [unrolled: 1-line block ×4, first 2 shown]
	v_lshlrev_b32_e32 v6, 4, v0
	buffer_store_dwordx4 v[2:5], v6, s[8:11], 0 offen
	;;#ASMSTART
	s_nop 0
	;;#ASMEND
	s_nop 0
	v_mov_b32_e32 v2, 0x2edbe6ff
.LBB351_18:
	s_or_b64 exec, exec, s[14:15]
	s_and_saveexec_b64 s[8:9], s[2:3]
	s_cbranch_execz .LBB351_20
; %bb.19:
	v_and_b32_e32 v3, 0x7fffffff, v10
	v_and_b32_e32 v4, 0x7fffffff, v11
	;;#ASMSTART
	v_max3_f32 v2, v2, v3, v4

	;;#ASMEND
	v_and_b32_e32 v3, 0x7fffffff, v16
	v_and_b32_e32 v4, 0x7fffffff, v17
	;;#ASMSTART
	v_max3_f32 v2, v2, v3, v4

	;;#ASMEND
	;; [unrolled: 6-line block ×4, first 2 shown]
.LBB351_20:
	s_or_b64 exec, exec, s[8:9]
	;;#ASMSTART
	v_max_f32 v3, v2, v2 quad_perm:[1,0,3,2] row_mask:0xf bank_mask:0xf bound_ctrl:1
	;;#ASMEND
	;;#ASMSTART
	v_max_f32 v2, v3, v3 quad_perm:[2,3,0,1] row_mask:0xf bank_mask:0xf bound_ctrl:1
	;;#ASMEND
	;;#ASMSTART
	v_max_f32 v3, v2, v2 row_half_mirror row_mask:0xf bank_mask:0xf bound_ctrl:1
	;;#ASMEND
	;;#ASMSTART
	v_max_f32 v2, v3, v3 row_mirror row_mask:0xf bank_mask:0xf bound_ctrl:1
	;;#ASMEND
	v_and_b32_e32 v3, 15, v0
	v_cmp_eq_u32_e32 vcc, 0, v3
	v_cmp_gt_i32_e64 s[8:9], s19, v1
	s_and_b64 s[10:11], vcc, s[8:9]
	s_and_saveexec_b64 s[8:9], s[10:11]
	s_cbranch_execz .LBB351_22
; %bb.21:
	s_load_dwordx2 s[10:11], s[4:5], 0x8
	v_mul_f32_e32 v2, 0x3e2aaaab, v2
	v_lshrrev_b32_e32 v3, 23, v2
	v_and_b32_e32 v4, 0x7f800000, v2
	v_and_b32_e32 v2, 0x7fffff, v2
	v_cmp_ne_u32_e32 vcc, 0, v2
	s_waitcnt lgkmcnt(0)
	s_mul_i32 s16, s25, s6
	s_mov_b32 s14, 0x7f800000
	v_addc_co_u32_e32 v2, vcc, 0, v3, vcc
	s_mul_hi_i32 s15, s25, s6
	s_add_u32 s10, s10, s16
	v_cmp_ne_u32_e32 vcc, s14, v4
	s_addc_u32 s11, s11, s15
	v_lshrrev_b32_e32 v5, 4, v0
	v_cndmask_b32_e32 v4, -1, v2, vcc
	v_pk_mov_b32 v[2:3], s[10:11], s[10:11] op_sel:[0,1]
	v_mad_i64_i32 v[2:3], s[10:11], s26, v5, v[2:3]
	global_store_byte v[2:3], v4, off
.LBB351_22:
	s_or_b64 exec, exec, s[8:9]
	s_and_saveexec_b64 s[8:9], s[2:3]
	s_cbranch_execz .LBB351_24
; %bb.23:
	s_load_dwordx2 s[2:3], s[4:5], 0x0
	s_waitcnt lgkmcnt(0)
	s_mul_i32 s11, s24, s6
	s_mul_hi_i32 s10, s24, s6
	v_lshlrev_b32_e32 v2, 2, v0
	s_mov_b32 s27, 0x20000
	s_add_u32 s24, s2, s11
	s_addc_u32 s2, s3, s10
	s_lshr_b32 s3, s19, 31
	s_add_i32 s3, s19, s3
	s_ashr_i32 s3, s3, 1
	s_add_i32 s3, s3, 3
	s_ashr_i32 s10, s3, 31
	s_lshr_b32 s10, s10, 30
	s_add_i32 s3, s3, s10
	s_and_b32 s26, s3, -4
	s_and_b32 s25, s2, 0xffff
	v_mov_b32_e32 v3, 0
	buffer_store_dword v3, v2, s[24:27], 0 offen
	;;#ASMSTART
	s_nop 0
	;;#ASMEND
.LBB351_24:
	s_or_b64 exec, exec, s[8:9]
	s_cmp_lt_i32 s20, 1
	s_cbranch_scc1 .LBB351_12
.LBB351_25:
	s_load_dword s2, s[4:5], 0x94
	s_waitcnt lgkmcnt(0)
	s_cmp_lg_u32 s2, 1
	s_cbranch_scc1 .LBB351_12
; %bb.26:
	s_lshl_b32 s2, s20, 1
	s_add_i32 s2, s2, 2
	v_cmp_gt_u32_e32 vcc, s20, v1
	s_and_b32 s14, s2, -4
	v_mov_b32_e32 v10, 0
	v_lshlrev_b32_e32 v1, 4, v0
	v_mov_b32_e32 v6, 0
	v_mov_b32_e32 v7, 0
	;; [unrolled: 1-line block ×4, first 2 shown]
	s_waitcnt vmcnt(0)
	v_mov_b32_e32 v2, 0
	v_mov_b32_e32 v3, 0
	;; [unrolled: 1-line block ×4, first 2 shown]
	s_barrier
	s_and_saveexec_b64 s[2:3], vcc
	s_cbranch_execz .LBB351_28
; %bb.27:
	s_mul_hi_i32 s5, s22, s6
	s_mul_i32 s4, s22, s6
	s_and_b32 s13, s13, 0xffff
	s_lshl_b64 s[4:5], s[4:5], 1
	s_add_u32 s8, s30, s4
	s_mov_b32 s15, 0x20000
	s_addc_u32 s4, s31, s5
	s_and_b32 s9, s4, 0xffff
	s_mov_b32 s10, s14
	s_mov_b32 s11, s15
	buffer_load_dwordx4 v[6:9], v1, s[8:11], 0 offen glc slc
	buffer_load_dwordx4 v[2:5], v1, s[12:15], 0 offen
.LBB351_28:
	s_or_b64 exec, exec, s[2:3]
	v_mov_b32_e32 v11, 0
	v_mov_b32_e32 v16, 0
	;; [unrolled: 1-line block ×7, first 2 shown]
	s_and_saveexec_b64 s[2:3], vcc
	s_cbranch_execz .LBB351_30
; %bb.29:
	s_waitcnt vmcnt(1)
	v_cvt_f32_f16_sdwa v11, v6 dst_sel:DWORD dst_unused:UNUSED_PAD src0_sel:WORD_1
	v_cvt_f32_f16_e32 v10, v6
	v_cvt_f32_f16_sdwa v17, v7 dst_sel:DWORD dst_unused:UNUSED_PAD src0_sel:WORD_1
	v_cvt_f32_f16_e32 v16, v7
	;; [unrolled: 2-line block ×4, first 2 shown]
.LBB351_30:
	s_or_b64 exec, exec, s[2:3]
	s_waitcnt vmcnt(1)
	v_mul_f32_e32 v6, v11, v11
	v_fmac_f32_e32 v6, v10, v10
	v_fmac_f32_e32 v6, v16, v16
	;; [unrolled: 1-line block ×7, first 2 shown]
	s_nop 1
	v_mov_b32_dpp v7, v6 quad_perm:[1,0,3,2] row_mask:0xf bank_mask:0xf
	v_add_f32_e32 v6, v6, v7
	s_nop 1
	v_mov_b32_dpp v7, v6 quad_perm:[2,3,0,1] row_mask:0xf bank_mask:0xf
	v_add_f32_e32 v6, v6, v7
	s_nop 1
	v_mov_b32_dpp v7, v6 row_half_mirror row_mask:0xf bank_mask:0xf
	v_add_f32_e32 v6, v6, v7
	s_nop 1
	v_mov_b32_dpp v7, v6 row_mirror row_mask:0xf bank_mask:0xf
	v_add_f32_e32 v6, v6, v7
	s_nop 1
	v_mov_b32_dpp v7, v6 row_bcast:15 row_mask:0xf bank_mask:0xf
	v_add_f32_e32 v6, v6, v7
	s_nop 1
	v_mov_b32_dpp v7, v6 row_bcast:31 row_mask:0xf bank_mask:0xf
	s_and_saveexec_b64 s[2:3], s[0:1]
	s_cbranch_execz .LBB351_32
; %bb.31:
	v_lshrrev_b32_e32 v0, 4, v0
	v_add_f32_e32 v6, v6, v7
	v_and_b32_e32 v0, 60, v0
	ds_write_b32 v0, v6
.LBB351_32:
	s_or_b64 exec, exec, s[2:3]
	s_waitcnt lgkmcnt(0)
	s_barrier
	ds_read_b32 v0, v18
	s_waitcnt lgkmcnt(0)
	s_nop 0
	v_mov_b32_dpp v6, v0 quad_perm:[1,0,3,2] row_mask:0xf bank_mask:0xf
	s_and_saveexec_b64 s[0:1], vcc
	s_cbranch_execz .LBB351_12
; %bb.33:
	v_cvt_f32_u32_e32 v7, s20
	v_add_f32_e32 v0, v0, v6
	s_mov_b32 s15, 0x20000
	v_div_scale_f32 v6, s[0:1], v7, v7, v0
	v_rcp_f32_e32 v8, v6
	v_div_scale_f32 v9, vcc, v0, v7, v0
	s_mov_b32 s0, 0x800000
	v_fma_f32 v18, -v6, v8, 1.0
	v_fmac_f32_e32 v8, v18, v8
	v_mul_f32_e32 v18, v9, v8
	v_fma_f32 v19, -v6, v18, v9
	v_fmac_f32_e32 v18, v19, v8
	v_fma_f32 v6, -v6, v18, v9
	v_div_fmas_f32 v6, v6, v8, v18
	v_div_fixup_f32 v0, v6, v7, v0
	v_add_f32_e32 v0, s17, v0
	v_mul_f32_e32 v6, 0x4b800000, v0
	v_cmp_gt_f32_e32 vcc, s0, v0
	v_cndmask_b32_e32 v0, v0, v6, vcc
	v_rsq_f32_e32 v0, v0
	s_waitcnt vmcnt(0)
	v_cvt_f32_f16_sdwa v19, v5 dst_sel:DWORD dst_unused:UNUSED_PAD src0_sel:WORD_1
	v_cvt_f32_f16_e32 v18, v5
	s_mul_hi_i32 s1, s7, s6
	v_mul_f32_e32 v6, 0x45800000, v0
	v_cndmask_b32_e32 v6, v0, v6, vcc
	v_mov_b32_e32 v7, v6
	;;#ASMSTART
	v_pk_mul_f32 v[8:9], v[10:11], v[6:7]
	;;#ASMEND
	;;#ASMSTART
	v_pk_mul_f32 v[10:11], v[16:17], v[6:7]
	;;#ASMEND
	;; [unrolled: 3-line block ×4, first 2 shown]
	v_cvt_f32_f16_sdwa v13, v2 dst_sel:DWORD dst_unused:UNUSED_PAD src0_sel:WORD_1
	v_cvt_f32_f16_e32 v12, v2
	v_cvt_f32_f16_sdwa v17, v3 dst_sel:DWORD dst_unused:UNUSED_PAD src0_sel:WORD_1
	v_cvt_f32_f16_e32 v16, v3
	;; [unrolled: 2-line block ×3, first 2 shown]
	;;#ASMSTART
	v_pk_mul_f32 v[4:5], v[8:9], v[12:13]
	;;#ASMEND
	;;#ASMSTART
	v_pk_mul_f32 v[8:9], v[10:11], v[16:17]
	;;#ASMEND
	;; [unrolled: 3-line block ×4, first 2 shown]
	s_mul_i32 s0, s7, s6
	v_cvt_f16_f32_e32 v0, v4
	v_cvt_f16_f32_e32 v4, v5
	;; [unrolled: 1-line block ×8, first 2 shown]
	s_lshl_b64 s[0:1], s[0:1], 1
	s_add_u32 s12, s28, s0
	s_addc_u32 s0, s29, s1
	s_and_b32 s13, s0, 0xffff
	v_pack_b32_f16 v2, v0, v4
	v_pack_b32_f16 v3, v5, v8
	;; [unrolled: 1-line block ×4, first 2 shown]
	buffer_store_dwordx4 v[2:5], v1, s[12:15], 0 offen
	;;#ASMSTART
	s_nop 0
	;;#ASMEND
	s_endpgm
	.section	.rodata,"a",@progbits
	.p2align	6, 0x0
	.amdhsa_kernel _ZN5aiter35fused_qk_rmsnorm_group_quant_kernelIDF16_N4opus5fp4_tELi128ELi8ELi16ELb0ELb1ELb0ELb0ELb0ELb0EEEvPT0_PvPT_S7_S7_PKS6_S9_S9_S9_S9_ffiiiiiiiiiiiii
		.amdhsa_group_segment_fixed_size 16
		.amdhsa_private_segment_fixed_size 0
		.amdhsa_kernarg_size 400
		.amdhsa_user_sgpr_count 6
		.amdhsa_user_sgpr_private_segment_buffer 1
		.amdhsa_user_sgpr_dispatch_ptr 0
		.amdhsa_user_sgpr_queue_ptr 0
		.amdhsa_user_sgpr_kernarg_segment_ptr 1
		.amdhsa_user_sgpr_dispatch_id 0
		.amdhsa_user_sgpr_flat_scratch_init 0
		.amdhsa_user_sgpr_kernarg_preload_length 0
		.amdhsa_user_sgpr_kernarg_preload_offset 0
		.amdhsa_user_sgpr_private_segment_size 0
		.amdhsa_uses_dynamic_stack 0
		.amdhsa_system_sgpr_private_segment_wavefront_offset 0
		.amdhsa_system_sgpr_workgroup_id_x 1
		.amdhsa_system_sgpr_workgroup_id_y 1
		.amdhsa_system_sgpr_workgroup_id_z 0
		.amdhsa_system_sgpr_workgroup_info 0
		.amdhsa_system_vgpr_workitem_id 0
		.amdhsa_next_free_vgpr 23
		.amdhsa_next_free_sgpr 36
		.amdhsa_accum_offset 24
		.amdhsa_reserve_vcc 1
		.amdhsa_reserve_flat_scratch 0
		.amdhsa_float_round_mode_32 0
		.amdhsa_float_round_mode_16_64 0
		.amdhsa_float_denorm_mode_32 3
		.amdhsa_float_denorm_mode_16_64 3
		.amdhsa_dx10_clamp 1
		.amdhsa_ieee_mode 1
		.amdhsa_fp16_overflow 0
		.amdhsa_tg_split 0
		.amdhsa_exception_fp_ieee_invalid_op 0
		.amdhsa_exception_fp_denorm_src 0
		.amdhsa_exception_fp_ieee_div_zero 0
		.amdhsa_exception_fp_ieee_overflow 0
		.amdhsa_exception_fp_ieee_underflow 0
		.amdhsa_exception_fp_ieee_inexact 0
		.amdhsa_exception_int_div_zero 0
	.end_amdhsa_kernel
	.section	.text._ZN5aiter35fused_qk_rmsnorm_group_quant_kernelIDF16_N4opus5fp4_tELi128ELi8ELi16ELb0ELb1ELb0ELb0ELb0ELb0EEEvPT0_PvPT_S7_S7_PKS6_S9_S9_S9_S9_ffiiiiiiiiiiiii,"axG",@progbits,_ZN5aiter35fused_qk_rmsnorm_group_quant_kernelIDF16_N4opus5fp4_tELi128ELi8ELi16ELb0ELb1ELb0ELb0ELb0ELb0EEEvPT0_PvPT_S7_S7_PKS6_S9_S9_S9_S9_ffiiiiiiiiiiiii,comdat
.Lfunc_end351:
	.size	_ZN5aiter35fused_qk_rmsnorm_group_quant_kernelIDF16_N4opus5fp4_tELi128ELi8ELi16ELb0ELb1ELb0ELb0ELb0ELb0EEEvPT0_PvPT_S7_S7_PKS6_S9_S9_S9_S9_ffiiiiiiiiiiiii, .Lfunc_end351-_ZN5aiter35fused_qk_rmsnorm_group_quant_kernelIDF16_N4opus5fp4_tELi128ELi8ELi16ELb0ELb1ELb0ELb0ELb0ELb0EEEvPT0_PvPT_S7_S7_PKS6_S9_S9_S9_S9_ffiiiiiiiiiiiii
                                        ; -- End function
	.section	.AMDGPU.csdata,"",@progbits
; Kernel info:
; codeLenInByte = 2420
; NumSgprs: 40
; NumVgprs: 23
; NumAgprs: 0
; TotalNumVgprs: 23
; ScratchSize: 0
; MemoryBound: 0
; FloatMode: 240
; IeeeMode: 1
; LDSByteSize: 16 bytes/workgroup (compile time only)
; SGPRBlocks: 4
; VGPRBlocks: 2
; NumSGPRsForWavesPerEU: 40
; NumVGPRsForWavesPerEU: 23
; AccumOffset: 24
; Occupancy: 8
; WaveLimiterHint : 0
; COMPUTE_PGM_RSRC2:SCRATCH_EN: 0
; COMPUTE_PGM_RSRC2:USER_SGPR: 6
; COMPUTE_PGM_RSRC2:TRAP_HANDLER: 0
; COMPUTE_PGM_RSRC2:TGID_X_EN: 1
; COMPUTE_PGM_RSRC2:TGID_Y_EN: 1
; COMPUTE_PGM_RSRC2:TGID_Z_EN: 0
; COMPUTE_PGM_RSRC2:TIDIG_COMP_CNT: 0
; COMPUTE_PGM_RSRC3_GFX90A:ACCUM_OFFSET: 5
; COMPUTE_PGM_RSRC3_GFX90A:TG_SPLIT: 0
	.section	.text._ZN5aiter35fused_qk_rmsnorm_group_quant_kernelItN4opus5fp4_tELi128ELi8ELi16ELb0ELb1ELb0ELb0ELb0ELb0EEEvPT0_PvPT_S7_S7_PKS6_S9_S9_S9_S9_ffiiiiiiiiiiiii,"axG",@progbits,_ZN5aiter35fused_qk_rmsnorm_group_quant_kernelItN4opus5fp4_tELi128ELi8ELi16ELb0ELb1ELb0ELb0ELb0ELb0EEEvPT0_PvPT_S7_S7_PKS6_S9_S9_S9_S9_ffiiiiiiiiiiiii,comdat
	.protected	_ZN5aiter35fused_qk_rmsnorm_group_quant_kernelItN4opus5fp4_tELi128ELi8ELi16ELb0ELb1ELb0ELb0ELb0ELb0EEEvPT0_PvPT_S7_S7_PKS6_S9_S9_S9_S9_ffiiiiiiiiiiiii ; -- Begin function _ZN5aiter35fused_qk_rmsnorm_group_quant_kernelItN4opus5fp4_tELi128ELi8ELi16ELb0ELb1ELb0ELb0ELb0ELb0EEEvPT0_PvPT_S7_S7_PKS6_S9_S9_S9_S9_ffiiiiiiiiiiiii
	.globl	_ZN5aiter35fused_qk_rmsnorm_group_quant_kernelItN4opus5fp4_tELi128ELi8ELi16ELb0ELb1ELb0ELb0ELb0ELb0EEEvPT0_PvPT_S7_S7_PKS6_S9_S9_S9_S9_ffiiiiiiiiiiiii
	.p2align	8
	.type	_ZN5aiter35fused_qk_rmsnorm_group_quant_kernelItN4opus5fp4_tELi128ELi8ELi16ELb0ELb1ELb0ELb0ELb0ELb0EEEvPT0_PvPT_S7_S7_PKS6_S9_S9_S9_S9_ffiiiiiiiiiiiii,@function
_ZN5aiter35fused_qk_rmsnorm_group_quant_kernelItN4opus5fp4_tELi128ELi8ELi16ELb0ELb1ELb0ELb0ELb0ELb0EEEvPT0_PvPT_S7_S7_PKS6_S9_S9_S9_S9_ffiiiiiiiiiiiii: ; @_ZN5aiter35fused_qk_rmsnorm_group_quant_kernelItN4opus5fp4_tELi128ELi8ELi16ELb0ELb1ELb0ELb0ELb0ELb0EEEvPT0_PvPT_S7_S7_PKS6_S9_S9_S9_S9_ffiiiiiiiiiiiii
; %bb.0:
	s_load_dwordx4 s[16:19], s[4:5], 0x50
	s_waitcnt lgkmcnt(0)
	s_cmp_ge_i32 s6, s18
	s_cbranch_scc1 .LBB352_10
; %bb.1:
	s_load_dwordx2 s[12:13], s[4:5], 0x48
	s_load_dwordx2 s[30:31], s[4:5], 0x30
	s_load_dwordx4 s[20:23], s[4:5], 0x60
	s_cmp_lg_u32 s7, 0
	s_cselect_b64 s[14:15], -1, 0
	s_cmp_eq_u32 s7, 0
	s_cselect_b64 vcc, -1, 0
	s_and_b64 s[0:1], vcc, exec
	s_waitcnt lgkmcnt(0)
	s_cselect_b32 s7, s19, s20
	s_add_i32 s0, s7, 1
	s_lshr_b32 s1, s0, 31
	s_add_i32 s0, s0, s1
	s_lshl_b32 s0, s0, 1
	v_lshlrev_b32_e32 v1, 3, v0
	s_and_b32 s10, s0, -4
	v_cmp_gt_i32_e64 s[2:3], s7, v1
	v_mov_b32_e32 v2, 0
	v_mov_b32_e32 v3, 0
	;; [unrolled: 1-line block ×8, first 2 shown]
	s_and_saveexec_b64 s[0:1], s[2:3]
	s_cbranch_execz .LBB352_3
; %bb.2:
	s_load_dwordx2 s[8:9], s[4:5], 0x28
	s_load_dwordx2 s[26:27], s[4:5], 0x40
	s_and_b64 s[24:25], vcc, exec
	s_cselect_b32 s11, s21, s22
	v_lshlrev_b32_e32 v10, 4, v0
	s_waitcnt lgkmcnt(0)
	s_cselect_b32 s18, s9, s31
	s_cselect_b32 s21, s8, s30
	s_mul_hi_i32 s9, s11, s6
	s_mul_i32 s8, s11, s6
	s_lshl_b64 s[8:9], s[8:9], 1
	s_add_u32 s24, s21, s8
	s_addc_u32 s18, s18, s9
	s_and_b64 s[8:9], vcc, exec
	s_mov_b32 s11, 0x20000
	s_cselect_b32 s8, s26, s12
	s_cselect_b32 s9, s27, s13
	s_and_b32 s25, s18, 0xffff
	s_mov_b32 s26, s10
	s_mov_b32 s27, s11
	s_and_b32 s9, s9, 0xffff
	buffer_load_dwordx4 v[6:9], v10, s[24:27], 0 offen glc slc
	buffer_load_dwordx4 v[2:5], v10, s[8:11], 0 offen
.LBB352_3:
	s_or_b64 exec, exec, s[0:1]
	s_waitcnt vmcnt(1)
	v_cvt_f32_u32_sdwa v13, v6 dst_sel:DWORD dst_unused:UNUSED_PAD src0_sel:WORD_1
	v_cvt_f32_u32_sdwa v12, v6 dst_sel:DWORD dst_unused:UNUSED_PAD src0_sel:WORD_0
	v_cvt_f32_u32_sdwa v6, v9 dst_sel:DWORD dst_unused:UNUSED_PAD src0_sel:WORD_1
	v_cvt_f32_u32_sdwa v9, v9 dst_sel:DWORD dst_unused:UNUSED_PAD src0_sel:WORD_0
	;; [unrolled: 2-line block ×4, first 2 shown]
	v_cndmask_b32_e64 v13, 0, v13, s[2:3]
	v_cndmask_b32_e64 v7, 0, v6, s[2:3]
	;; [unrolled: 1-line block ×5, first 2 shown]
	v_mul_f32_e32 v14, v13, v13
	v_cndmask_b32_e64 v10, 0, v10, s[2:3]
	v_fmac_f32_e32 v14, v12, v12
	v_cndmask_b32_e64 v11, 0, v11, s[2:3]
	v_fmac_f32_e32 v14, v10, v10
	;; [unrolled: 2-line block ×3, first 2 shown]
	v_fmac_f32_e32 v14, v8, v8
	v_fmac_f32_e32 v14, v9, v9
	;; [unrolled: 1-line block ×4, first 2 shown]
	v_and_b32_e32 v16, 63, v0
	v_cmp_eq_u32_e64 s[0:1], 63, v16
	v_mov_b32_dpp v15, v14 quad_perm:[1,0,3,2] row_mask:0xf bank_mask:0xf
	v_add_f32_e32 v14, v14, v15
	s_nop 1
	v_mov_b32_dpp v15, v14 quad_perm:[2,3,0,1] row_mask:0xf bank_mask:0xf
	v_add_f32_e32 v14, v14, v15
	s_nop 1
	v_mov_b32_dpp v15, v14 row_half_mirror row_mask:0xf bank_mask:0xf
	v_add_f32_e32 v14, v14, v15
	s_nop 1
	v_mov_b32_dpp v15, v14 row_mirror row_mask:0xf bank_mask:0xf
	v_add_f32_e32 v14, v14, v15
	s_nop 1
	v_mov_b32_dpp v15, v14 row_bcast:15 row_mask:0xf bank_mask:0xf
	v_add_f32_e32 v14, v14, v15
	s_nop 1
	v_mov_b32_dpp v15, v14 row_bcast:31 row_mask:0xf bank_mask:0xf
	s_and_saveexec_b64 s[8:9], s[0:1]
	s_cbranch_execz .LBB352_5
; %bb.4:
	v_add_f32_e32 v14, v14, v15
	v_lshrrev_b32_e32 v15, 4, v0
	v_and_b32_e32 v15, 60, v15
	ds_write_b32 v15, v14 offset:8
.LBB352_5:
	s_or_b64 exec, exec, s[8:9]
	v_and_b32_e32 v14, 1, v0
	v_lshlrev_b32_e32 v14, 2, v14
	s_waitcnt lgkmcnt(0)
	s_barrier
	ds_read_b32 v15, v14 offset:8
	s_load_dwordx2 s[28:29], s[4:5], 0x18
	s_waitcnt lgkmcnt(0)
	v_mov_b32_dpp v16, v15 quad_perm:[1,0,3,2] row_mask:0xf bank_mask:0xf
	s_and_saveexec_b64 s[8:9], s[2:3]
	s_cbranch_execz .LBB352_7
; %bb.6:
	v_cvt_f32_u32_e32 v17, s7
	v_add_f32_e32 v15, v15, v16
	v_mov_b32_e32 v19, s17
	v_mov_b32_e32 v20, s16
	v_div_scale_f32 v16, s[24:25], v17, v17, v15
	v_rcp_f32_e32 v18, v16
	v_cndmask_b32_e32 v19, v19, v20, vcc
	s_mov_b32 s7, 0x800000
	v_fma_f32 v20, -v16, v18, 1.0
	v_fmac_f32_e32 v18, v20, v18
	v_div_scale_f32 v20, vcc, v15, v17, v15
	v_mul_f32_e32 v21, v20, v18
	v_fma_f32 v22, -v16, v21, v20
	v_fmac_f32_e32 v21, v22, v18
	v_fma_f32 v16, -v16, v21, v20
	v_div_fmas_f32 v16, v16, v18, v21
	v_div_fixup_f32 v15, v16, v17, v15
	v_add_f32_e32 v15, v19, v15
	v_mul_f32_e32 v16, 0x4b800000, v15
	v_cmp_gt_f32_e32 vcc, s7, v15
	v_cndmask_b32_e32 v15, v15, v16, vcc
	v_rsq_f32_e32 v15, v15
	s_waitcnt vmcnt(0)
	v_cvt_f32_u32_sdwa v19, v3 dst_sel:DWORD dst_unused:UNUSED_PAD src0_sel:WORD_1
	v_cvt_f32_u32_sdwa v18, v3 dst_sel:DWORD dst_unused:UNUSED_PAD src0_sel:WORD_0
	v_cvt_f32_u32_sdwa v3, v4 dst_sel:DWORD dst_unused:UNUSED_PAD src0_sel:WORD_1
	v_mul_f32_e32 v16, 0x45800000, v15
	v_cndmask_b32_e32 v16, v15, v16, vcc
	v_mov_b32_e32 v17, v16
	;;#ASMSTART
	v_pk_mul_f32 v[12:13], v[12:13], v[16:17]
	;;#ASMEND
	;;#ASMSTART
	v_pk_mul_f32 v[10:11], v[10:11], v[16:17]
	;;#ASMEND
	;;#ASMSTART
	v_pk_mul_f32 v[8:9], v[8:9], v[16:17]
	;;#ASMEND
	;;#ASMSTART
	v_pk_mul_f32 v[6:7], v[6:7], v[16:17]
	;;#ASMEND
	v_cvt_f32_u32_sdwa v17, v2 dst_sel:DWORD dst_unused:UNUSED_PAD src0_sel:WORD_1
	v_cvt_f32_u32_sdwa v16, v2 dst_sel:DWORD dst_unused:UNUSED_PAD src0_sel:WORD_0
	v_cvt_f32_u32_sdwa v2, v4 dst_sel:DWORD dst_unused:UNUSED_PAD src0_sel:WORD_0
	v_cvt_f32_u32_sdwa v21, v5 dst_sel:DWORD dst_unused:UNUSED_PAD src0_sel:WORD_1
	v_cvt_f32_u32_sdwa v20, v5 dst_sel:DWORD dst_unused:UNUSED_PAD src0_sel:WORD_0
	;;#ASMSTART
	v_pk_mul_f32 v[12:13], v[12:13], v[16:17]
	;;#ASMEND
	;;#ASMSTART
	v_pk_mul_f32 v[10:11], v[10:11], v[18:19]
	;;#ASMEND
	;; [unrolled: 3-line block ×4, first 2 shown]
.LBB352_7:
	s_or_b64 exec, exec, s[8:9]
	s_load_dword s7, s[4:5], 0x80
	s_mov_b64 s[8:9], -1
	s_and_b64 vcc, exec, s[14:15]
	s_cbranch_vccnz .LBB352_11
; %bb.8:
	s_andn2_b64 vcc, exec, s[8:9]
	s_cbranch_vccz .LBB352_14
.LBB352_9:
	s_cmp_lt_i32 s20, 1
	s_cbranch_scc0 .LBB352_23
.LBB352_10:
	s_endpgm
.LBB352_11:
	s_and_saveexec_b64 s[14:15], s[2:3]
	s_cbranch_execz .LBB352_13
; %bb.12:
	s_waitcnt lgkmcnt(0)
	s_mul_hi_i32 s9, s7, s6
	s_mul_i32 s8, s7, s6
	s_lshl_b64 s[8:9], s[8:9], 1
	s_add_u32 s8, s28, s8
	s_addc_u32 s9, s29, s9
	s_mov_b32 s16, 0x7060302
	s_and_b32 s9, s9, 0xffff
	s_mov_b32 s11, 0x20000
	s_waitcnt vmcnt(0)
	v_perm_b32 v2, v13, v12, s16
	v_perm_b32 v3, v11, v10, s16
	v_perm_b32 v4, v9, v8, s16
	v_perm_b32 v5, v7, v6, s16
	v_lshlrev_b32_e32 v15, 4, v0
	buffer_store_dwordx4 v[2:5], v15, s[8:11], 0 offen
	;;#ASMSTART
	s_nop 0
	;;#ASMEND
.LBB352_13:
	s_or_b64 exec, exec, s[14:15]
	s_cbranch_execnz .LBB352_9
.LBB352_14:
	s_load_dwordx4 s[24:27], s[4:5], 0x70
	s_waitcnt vmcnt(0)
	v_mov_b32_e32 v2, 0
	s_and_saveexec_b64 s[14:15], s[2:3]
	s_cbranch_execz .LBB352_16
; %bb.15:
	s_load_dwordx2 s[8:9], s[4:5], 0x10
	s_waitcnt lgkmcnt(0)
	s_mul_hi_i32 s35, s27, s6
	s_mul_i32 s34, s27, s6
	s_lshl_b64 s[34:35], s[34:35], 1
	s_mov_b32 s16, 0x7060302
	s_add_u32 s8, s8, s34
	s_addc_u32 s9, s9, s35
	s_mov_b32 s11, 0x20000
	s_and_b32 s9, s9, 0xffff
	v_perm_b32 v2, v13, v12, s16
	v_perm_b32 v3, v11, v10, s16
	;; [unrolled: 1-line block ×4, first 2 shown]
	v_lshlrev_b32_e32 v15, 4, v0
	buffer_store_dwordx4 v[2:5], v15, s[8:11], 0 offen
	;;#ASMSTART
	s_nop 0
	;;#ASMEND
	s_nop 0
	v_mov_b32_e32 v2, 0x2edbe6ff
.LBB352_16:
	s_or_b64 exec, exec, s[14:15]
	s_and_saveexec_b64 s[8:9], s[2:3]
	s_cbranch_execz .LBB352_18
; %bb.17:
	v_and_b32_e32 v3, 0x7fffffff, v12
	v_and_b32_e32 v4, 0x7fffffff, v13
	;;#ASMSTART
	v_max3_f32 v2, v2, v3, v4

	;;#ASMEND
	v_and_b32_e32 v3, 0x7fffffff, v10
	v_and_b32_e32 v4, 0x7fffffff, v11
	;;#ASMSTART
	v_max3_f32 v2, v2, v3, v4

	;;#ASMEND
	v_and_b32_e32 v3, 0x7fffffff, v8
	v_and_b32_e32 v4, 0x7fffffff, v9
	;;#ASMSTART
	v_max3_f32 v2, v2, v3, v4

	;;#ASMEND
	v_and_b32_e32 v3, 0x7fffffff, v6
	v_and_b32_e32 v4, 0x7fffffff, v7
	;;#ASMSTART
	v_max3_f32 v2, v2, v3, v4

	;;#ASMEND
.LBB352_18:
	s_or_b64 exec, exec, s[8:9]
	;;#ASMSTART
	v_max_f32 v3, v2, v2 quad_perm:[1,0,3,2] row_mask:0xf bank_mask:0xf bound_ctrl:1
	;;#ASMEND
	;;#ASMSTART
	v_max_f32 v2, v3, v3 quad_perm:[2,3,0,1] row_mask:0xf bank_mask:0xf bound_ctrl:1
	;;#ASMEND
	;;#ASMSTART
	v_max_f32 v3, v2, v2 row_half_mirror row_mask:0xf bank_mask:0xf bound_ctrl:1
	;;#ASMEND
	;;#ASMSTART
	v_max_f32 v2, v3, v3 row_mirror row_mask:0xf bank_mask:0xf bound_ctrl:1
	;;#ASMEND
	v_and_b32_e32 v3, 15, v0
	v_cmp_eq_u32_e32 vcc, 0, v3
	v_cmp_gt_i32_e64 s[8:9], s19, v1
	s_and_b64 s[10:11], vcc, s[8:9]
	s_and_saveexec_b64 s[8:9], s[10:11]
	s_cbranch_execz .LBB352_20
; %bb.19:
	s_load_dwordx2 s[10:11], s[4:5], 0x8
	v_mul_f32_e32 v2, 0x3e2aaaab, v2
	v_lshrrev_b32_e32 v3, 23, v2
	v_and_b32_e32 v4, 0x7f800000, v2
	v_and_b32_e32 v2, 0x7fffff, v2
	v_cmp_ne_u32_e32 vcc, 0, v2
	s_waitcnt lgkmcnt(0)
	s_mul_i32 s16, s25, s6
	s_mov_b32 s14, 0x7f800000
	v_addc_co_u32_e32 v2, vcc, 0, v3, vcc
	s_mul_hi_i32 s15, s25, s6
	s_add_u32 s10, s10, s16
	v_cmp_ne_u32_e32 vcc, s14, v4
	s_addc_u32 s11, s11, s15
	v_lshrrev_b32_e32 v5, 4, v0
	v_cndmask_b32_e32 v4, -1, v2, vcc
	v_pk_mov_b32 v[2:3], s[10:11], s[10:11] op_sel:[0,1]
	v_mad_i64_i32 v[2:3], s[10:11], s26, v5, v[2:3]
	global_store_byte v[2:3], v4, off
.LBB352_20:
	s_or_b64 exec, exec, s[8:9]
	s_and_saveexec_b64 s[8:9], s[2:3]
	s_cbranch_execz .LBB352_22
; %bb.21:
	s_load_dwordx2 s[2:3], s[4:5], 0x0
	s_waitcnt lgkmcnt(0)
	s_mul_i32 s11, s24, s6
	s_mul_hi_i32 s10, s24, s6
	v_lshlrev_b32_e32 v2, 2, v0
	s_mov_b32 s27, 0x20000
	s_add_u32 s24, s2, s11
	s_addc_u32 s2, s3, s10
	s_lshr_b32 s3, s19, 31
	s_add_i32 s3, s19, s3
	s_ashr_i32 s3, s3, 1
	s_add_i32 s3, s3, 3
	s_ashr_i32 s10, s3, 31
	s_lshr_b32 s10, s10, 30
	s_add_i32 s3, s3, s10
	s_and_b32 s26, s3, -4
	s_and_b32 s25, s2, 0xffff
	v_mov_b32_e32 v3, 0
	buffer_store_dword v3, v2, s[24:27], 0 offen
	;;#ASMSTART
	s_nop 0
	;;#ASMEND
.LBB352_22:
	s_or_b64 exec, exec, s[8:9]
	s_cmp_lt_i32 s20, 1
	s_cbranch_scc1 .LBB352_10
.LBB352_23:
	s_load_dword s2, s[4:5], 0x94
	s_waitcnt lgkmcnt(0)
	s_cmp_lg_u32 s2, 1
	s_cbranch_scc1 .LBB352_10
; %bb.24:
	s_lshl_b32 s2, s20, 1
	s_add_i32 s2, s2, 2
	v_cmp_gt_u32_e32 vcc, s20, v1
	s_and_b32 s14, s2, -4
	v_mov_b32_e32 v6, 0
	v_lshlrev_b32_e32 v1, 4, v0
	v_mov_b32_e32 v7, 0
	v_mov_b32_e32 v8, 0
	;; [unrolled: 1-line block ×3, first 2 shown]
	s_waitcnt vmcnt(0)
	v_mov_b32_e32 v2, 0
	v_mov_b32_e32 v3, 0
	;; [unrolled: 1-line block ×4, first 2 shown]
	s_barrier
	s_and_saveexec_b64 s[2:3], vcc
	s_cbranch_execz .LBB352_26
; %bb.25:
	s_mul_hi_i32 s5, s22, s6
	s_mul_i32 s4, s22, s6
	s_and_b32 s13, s13, 0xffff
	s_lshl_b64 s[4:5], s[4:5], 1
	s_add_u32 s8, s30, s4
	s_mov_b32 s15, 0x20000
	s_addc_u32 s4, s31, s5
	s_and_b32 s9, s4, 0xffff
	s_mov_b32 s10, s14
	s_mov_b32 s11, s15
	buffer_load_dwordx4 v[6:9], v1, s[8:11], 0 offen glc slc
	buffer_load_dwordx4 v[2:5], v1, s[12:15], 0 offen
.LBB352_26:
	s_or_b64 exec, exec, s[2:3]
	s_waitcnt vmcnt(1)
	v_cvt_f32_u32_sdwa v13, v6 dst_sel:DWORD dst_unused:UNUSED_PAD src0_sel:WORD_1
	v_cvt_f32_u32_sdwa v12, v6 dst_sel:DWORD dst_unused:UNUSED_PAD src0_sel:WORD_0
	v_cvt_f32_u32_sdwa v6, v9 dst_sel:DWORD dst_unused:UNUSED_PAD src0_sel:WORD_1
	v_cvt_f32_u32_sdwa v9, v9 dst_sel:DWORD dst_unused:UNUSED_PAD src0_sel:WORD_0
	;; [unrolled: 2-line block ×4, first 2 shown]
	v_cndmask_b32_e32 v13, 0, v13, vcc
	v_cndmask_b32_e32 v7, 0, v6, vcc
	v_cndmask_b32_e32 v6, 0, v9, vcc
	v_cndmask_b32_e32 v9, 0, v15, vcc
	v_cndmask_b32_e32 v12, 0, v12, vcc
	v_mul_f32_e32 v15, v13, v13
	v_cndmask_b32_e32 v10, 0, v10, vcc
	v_fmac_f32_e32 v15, v12, v12
	v_cndmask_b32_e32 v11, 0, v11, vcc
	v_fmac_f32_e32 v15, v10, v10
	;; [unrolled: 2-line block ×3, first 2 shown]
	v_fmac_f32_e32 v15, v8, v8
	v_fmac_f32_e32 v15, v9, v9
	;; [unrolled: 1-line block ×4, first 2 shown]
	s_nop 1
	v_mov_b32_dpp v16, v15 quad_perm:[1,0,3,2] row_mask:0xf bank_mask:0xf
	v_add_f32_e32 v15, v15, v16
	s_nop 1
	v_mov_b32_dpp v16, v15 quad_perm:[2,3,0,1] row_mask:0xf bank_mask:0xf
	v_add_f32_e32 v15, v15, v16
	s_nop 1
	v_mov_b32_dpp v16, v15 row_half_mirror row_mask:0xf bank_mask:0xf
	v_add_f32_e32 v15, v15, v16
	s_nop 1
	v_mov_b32_dpp v16, v15 row_mirror row_mask:0xf bank_mask:0xf
	v_add_f32_e32 v15, v15, v16
	s_nop 1
	v_mov_b32_dpp v16, v15 row_bcast:15 row_mask:0xf bank_mask:0xf
	v_add_f32_e32 v15, v15, v16
	s_nop 1
	v_mov_b32_dpp v16, v15 row_bcast:31 row_mask:0xf bank_mask:0xf
	s_and_saveexec_b64 s[2:3], s[0:1]
	s_cbranch_execz .LBB352_28
; %bb.27:
	v_lshrrev_b32_e32 v0, 4, v0
	v_add_f32_e32 v15, v15, v16
	v_and_b32_e32 v0, 60, v0
	ds_write_b32 v0, v15
.LBB352_28:
	s_or_b64 exec, exec, s[2:3]
	s_waitcnt lgkmcnt(0)
	s_barrier
	ds_read_b32 v0, v14
	s_waitcnt lgkmcnt(0)
	s_nop 0
	v_mov_b32_dpp v14, v0 quad_perm:[1,0,3,2] row_mask:0xf bank_mask:0xf
	s_and_saveexec_b64 s[0:1], vcc
	s_cbranch_execz .LBB352_10
; %bb.29:
	v_cvt_f32_u32_e32 v15, s20
	v_add_f32_e32 v0, v0, v14
	s_mov_b32 s15, 0x20000
	v_div_scale_f32 v14, s[0:1], v15, v15, v0
	v_rcp_f32_e32 v16, v14
	v_div_scale_f32 v17, vcc, v0, v15, v0
	s_mov_b32 s0, 0x800000
	v_fma_f32 v18, -v14, v16, 1.0
	v_fmac_f32_e32 v16, v18, v16
	v_mul_f32_e32 v18, v17, v16
	v_fma_f32 v19, -v14, v18, v17
	v_fmac_f32_e32 v18, v19, v16
	v_fma_f32 v14, -v14, v18, v17
	v_div_fmas_f32 v14, v14, v16, v18
	v_div_fixup_f32 v0, v14, v15, v0
	v_add_f32_e32 v0, s17, v0
	v_mul_f32_e32 v14, 0x4b800000, v0
	v_cmp_gt_f32_e32 vcc, s0, v0
	v_cndmask_b32_e32 v0, v0, v14, vcc
	v_rsq_f32_e32 v0, v0
	s_mul_hi_i32 s1, s7, s6
	s_mul_i32 s0, s7, s6
	s_lshl_b64 s[0:1], s[0:1], 1
	v_mul_f32_e32 v14, 0x45800000, v0
	v_cndmask_b32_e32 v14, v0, v14, vcc
	s_add_u32 s12, s28, s0
	v_mov_b32_e32 v15, v14
	s_addc_u32 s0, s29, s1
	;;#ASMSTART
	v_pk_mul_f32 v[12:13], v[12:13], v[14:15]
	;;#ASMEND
	;;#ASMSTART
	v_pk_mul_f32 v[10:11], v[10:11], v[14:15]
	;;#ASMEND
	;; [unrolled: 3-line block ×4, first 2 shown]
	s_waitcnt vmcnt(0)
	v_cvt_f32_u32_sdwa v15, v2 dst_sel:DWORD dst_unused:UNUSED_PAD src0_sel:WORD_1
	v_cvt_f32_u32_sdwa v14, v2 dst_sel:DWORD dst_unused:UNUSED_PAD src0_sel:WORD_0
	v_cvt_f32_u32_sdwa v17, v3 dst_sel:DWORD dst_unused:UNUSED_PAD src0_sel:WORD_1
	v_cvt_f32_u32_sdwa v16, v3 dst_sel:DWORD dst_unused:UNUSED_PAD src0_sel:WORD_0
	;; [unrolled: 2-line block ×4, first 2 shown]
	;;#ASMSTART
	v_pk_mul_f32 v[4:5], v[12:13], v[14:15]
	;;#ASMEND
	s_and_b32 s13, s0, 0xffff
	s_mov_b32 s0, 0x7060302
	;;#ASMSTART
	v_pk_mul_f32 v[10:11], v[10:11], v[16:17]
	;;#ASMEND
	;;#ASMSTART
	v_pk_mul_f32 v[8:9], v[8:9], v[2:3]
	;;#ASMEND
	;; [unrolled: 3-line block ×3, first 2 shown]
	v_perm_b32 v2, v5, v4, s0
	v_perm_b32 v3, v11, v10, s0
	;; [unrolled: 1-line block ×4, first 2 shown]
	buffer_store_dwordx4 v[2:5], v1, s[12:15], 0 offen
	;;#ASMSTART
	s_nop 0
	;;#ASMEND
	s_endpgm
	.section	.rodata,"a",@progbits
	.p2align	6, 0x0
	.amdhsa_kernel _ZN5aiter35fused_qk_rmsnorm_group_quant_kernelItN4opus5fp4_tELi128ELi8ELi16ELb0ELb1ELb0ELb0ELb0ELb0EEEvPT0_PvPT_S7_S7_PKS6_S9_S9_S9_S9_ffiiiiiiiiiiiii
		.amdhsa_group_segment_fixed_size 16
		.amdhsa_private_segment_fixed_size 0
		.amdhsa_kernarg_size 400
		.amdhsa_user_sgpr_count 6
		.amdhsa_user_sgpr_private_segment_buffer 1
		.amdhsa_user_sgpr_dispatch_ptr 0
		.amdhsa_user_sgpr_queue_ptr 0
		.amdhsa_user_sgpr_kernarg_segment_ptr 1
		.amdhsa_user_sgpr_dispatch_id 0
		.amdhsa_user_sgpr_flat_scratch_init 0
		.amdhsa_user_sgpr_kernarg_preload_length 0
		.amdhsa_user_sgpr_kernarg_preload_offset 0
		.amdhsa_user_sgpr_private_segment_size 0
		.amdhsa_uses_dynamic_stack 0
		.amdhsa_system_sgpr_private_segment_wavefront_offset 0
		.amdhsa_system_sgpr_workgroup_id_x 1
		.amdhsa_system_sgpr_workgroup_id_y 1
		.amdhsa_system_sgpr_workgroup_id_z 0
		.amdhsa_system_sgpr_workgroup_info 0
		.amdhsa_system_vgpr_workitem_id 0
		.amdhsa_next_free_vgpr 23
		.amdhsa_next_free_sgpr 36
		.amdhsa_accum_offset 24
		.amdhsa_reserve_vcc 1
		.amdhsa_reserve_flat_scratch 0
		.amdhsa_float_round_mode_32 0
		.amdhsa_float_round_mode_16_64 0
		.amdhsa_float_denorm_mode_32 3
		.amdhsa_float_denorm_mode_16_64 3
		.amdhsa_dx10_clamp 1
		.amdhsa_ieee_mode 1
		.amdhsa_fp16_overflow 0
		.amdhsa_tg_split 0
		.amdhsa_exception_fp_ieee_invalid_op 0
		.amdhsa_exception_fp_denorm_src 0
		.amdhsa_exception_fp_ieee_div_zero 0
		.amdhsa_exception_fp_ieee_overflow 0
		.amdhsa_exception_fp_ieee_underflow 0
		.amdhsa_exception_fp_ieee_inexact 0
		.amdhsa_exception_int_div_zero 0
	.end_amdhsa_kernel
	.section	.text._ZN5aiter35fused_qk_rmsnorm_group_quant_kernelItN4opus5fp4_tELi128ELi8ELi16ELb0ELb1ELb0ELb0ELb0ELb0EEEvPT0_PvPT_S7_S7_PKS6_S9_S9_S9_S9_ffiiiiiiiiiiiii,"axG",@progbits,_ZN5aiter35fused_qk_rmsnorm_group_quant_kernelItN4opus5fp4_tELi128ELi8ELi16ELb0ELb1ELb0ELb0ELb0ELb0EEEvPT0_PvPT_S7_S7_PKS6_S9_S9_S9_S9_ffiiiiiiiiiiiii,comdat
.Lfunc_end352:
	.size	_ZN5aiter35fused_qk_rmsnorm_group_quant_kernelItN4opus5fp4_tELi128ELi8ELi16ELb0ELb1ELb0ELb0ELb0ELb0EEEvPT0_PvPT_S7_S7_PKS6_S9_S9_S9_S9_ffiiiiiiiiiiiii, .Lfunc_end352-_ZN5aiter35fused_qk_rmsnorm_group_quant_kernelItN4opus5fp4_tELi128ELi8ELi16ELb0ELb1ELb0ELb0ELb0ELb0EEEvPT0_PvPT_S7_S7_PKS6_S9_S9_S9_S9_ffiiiiiiiiiiiii
                                        ; -- End function
	.section	.AMDGPU.csdata,"",@progbits
; Kernel info:
; codeLenInByte = 2412
; NumSgprs: 40
; NumVgprs: 23
; NumAgprs: 0
; TotalNumVgprs: 23
; ScratchSize: 0
; MemoryBound: 0
; FloatMode: 240
; IeeeMode: 1
; LDSByteSize: 16 bytes/workgroup (compile time only)
; SGPRBlocks: 4
; VGPRBlocks: 2
; NumSGPRsForWavesPerEU: 40
; NumVGPRsForWavesPerEU: 23
; AccumOffset: 24
; Occupancy: 8
; WaveLimiterHint : 0
; COMPUTE_PGM_RSRC2:SCRATCH_EN: 0
; COMPUTE_PGM_RSRC2:USER_SGPR: 6
; COMPUTE_PGM_RSRC2:TRAP_HANDLER: 0
; COMPUTE_PGM_RSRC2:TGID_X_EN: 1
; COMPUTE_PGM_RSRC2:TGID_Y_EN: 1
; COMPUTE_PGM_RSRC2:TGID_Z_EN: 0
; COMPUTE_PGM_RSRC2:TIDIG_COMP_CNT: 0
; COMPUTE_PGM_RSRC3_GFX90A:ACCUM_OFFSET: 5
; COMPUTE_PGM_RSRC3_GFX90A:TG_SPLIT: 0
	.section	.text._ZN5aiter35fused_qk_rmsnorm_group_quant_kernelIDF16_DB8_Li128ELi8ELi16ELb0ELb0ELb1ELb0ELb0ELb0EEEvPT0_PvPT_S6_S6_PKS5_S8_S8_S8_S8_ffiiiiiiiiiiiii,"axG",@progbits,_ZN5aiter35fused_qk_rmsnorm_group_quant_kernelIDF16_DB8_Li128ELi8ELi16ELb0ELb0ELb1ELb0ELb0ELb0EEEvPT0_PvPT_S6_S6_PKS5_S8_S8_S8_S8_ffiiiiiiiiiiiii,comdat
	.protected	_ZN5aiter35fused_qk_rmsnorm_group_quant_kernelIDF16_DB8_Li128ELi8ELi16ELb0ELb0ELb1ELb0ELb0ELb0EEEvPT0_PvPT_S6_S6_PKS5_S8_S8_S8_S8_ffiiiiiiiiiiiii ; -- Begin function _ZN5aiter35fused_qk_rmsnorm_group_quant_kernelIDF16_DB8_Li128ELi8ELi16ELb0ELb0ELb1ELb0ELb0ELb0EEEvPT0_PvPT_S6_S6_PKS5_S8_S8_S8_S8_ffiiiiiiiiiiiii
	.globl	_ZN5aiter35fused_qk_rmsnorm_group_quant_kernelIDF16_DB8_Li128ELi8ELi16ELb0ELb0ELb1ELb0ELb0ELb0EEEvPT0_PvPT_S6_S6_PKS5_S8_S8_S8_S8_ffiiiiiiiiiiiii
	.p2align	8
	.type	_ZN5aiter35fused_qk_rmsnorm_group_quant_kernelIDF16_DB8_Li128ELi8ELi16ELb0ELb0ELb1ELb0ELb0ELb0EEEvPT0_PvPT_S6_S6_PKS5_S8_S8_S8_S8_ffiiiiiiiiiiiii,@function
_ZN5aiter35fused_qk_rmsnorm_group_quant_kernelIDF16_DB8_Li128ELi8ELi16ELb0ELb0ELb1ELb0ELb0ELb0EEEvPT0_PvPT_S6_S6_PKS5_S8_S8_S8_S8_ffiiiiiiiiiiiii: ; @_ZN5aiter35fused_qk_rmsnorm_group_quant_kernelIDF16_DB8_Li128ELi8ELi16ELb0ELb0ELb1ELb0ELb0ELb0EEEvPT0_PvPT_S6_S6_PKS5_S8_S8_S8_S8_ffiiiiiiiiiiiii
; %bb.0:
	s_load_dwordx4 s[16:19], s[4:5], 0x50
	s_waitcnt lgkmcnt(0)
	s_cmp_ge_i32 s6, s18
	s_cbranch_scc1 .LBB353_12
; %bb.1:
	s_load_dwordx2 s[12:13], s[4:5], 0x48
	s_load_dwordx2 s[30:31], s[4:5], 0x30
	s_load_dwordx4 s[20:23], s[4:5], 0x60
	s_cmp_lg_u32 s7, 0
	s_cselect_b64 s[14:15], -1, 0
	s_cmp_eq_u32 s7, 0
	s_cselect_b64 vcc, -1, 0
	s_and_b64 s[0:1], vcc, exec
	s_waitcnt lgkmcnt(0)
	s_cselect_b32 s7, s19, s20
	s_add_i32 s0, s7, 1
	s_lshr_b32 s1, s0, 31
	s_add_i32 s0, s0, s1
	s_lshl_b32 s0, s0, 1
	v_lshlrev_b32_e32 v1, 3, v0
	s_and_b32 s10, s0, -4
	v_cmp_gt_i32_e64 s[2:3], s7, v1
	v_mov_b32_e32 v10, 0
	v_mov_b32_e32 v2, 0
	;; [unrolled: 1-line block ×9, first 2 shown]
	s_and_saveexec_b64 s[0:1], s[2:3]
	s_cbranch_execz .LBB353_3
; %bb.2:
	s_load_dwordx2 s[8:9], s[4:5], 0x28
	s_load_dwordx2 s[26:27], s[4:5], 0x40
	s_and_b64 s[24:25], vcc, exec
	s_cselect_b32 s11, s21, s22
	v_lshlrev_b32_e32 v11, 4, v0
	s_waitcnt lgkmcnt(0)
	s_cselect_b32 s18, s9, s31
	s_cselect_b32 s21, s8, s30
	s_mul_hi_i32 s9, s11, s6
	s_mul_i32 s8, s11, s6
	s_lshl_b64 s[8:9], s[8:9], 1
	s_add_u32 s24, s21, s8
	s_addc_u32 s18, s18, s9
	s_and_b64 s[8:9], vcc, exec
	s_mov_b32 s11, 0x20000
	s_cselect_b32 s8, s26, s12
	s_cselect_b32 s9, s27, s13
	s_and_b32 s25, s18, 0xffff
	s_mov_b32 s26, s10
	s_mov_b32 s27, s11
	s_and_b32 s9, s9, 0xffff
	buffer_load_dwordx4 v[6:9], v11, s[24:27], 0 offen glc slc
	buffer_load_dwordx4 v[2:5], v11, s[8:11], 0 offen
.LBB353_3:
	s_or_b64 exec, exec, s[0:1]
	v_mov_b32_e32 v11, 0
	v_mov_b32_e32 v16, 0
	;; [unrolled: 1-line block ×7, first 2 shown]
	s_and_saveexec_b64 s[0:1], s[2:3]
	s_cbranch_execz .LBB353_5
; %bb.4:
	s_waitcnt vmcnt(1)
	v_cvt_f32_f16_sdwa v11, v6 dst_sel:DWORD dst_unused:UNUSED_PAD src0_sel:WORD_1
	v_cvt_f32_f16_e32 v10, v6
	v_cvt_f32_f16_sdwa v17, v7 dst_sel:DWORD dst_unused:UNUSED_PAD src0_sel:WORD_1
	v_cvt_f32_f16_e32 v16, v7
	;; [unrolled: 2-line block ×4, first 2 shown]
.LBB353_5:
	s_or_b64 exec, exec, s[0:1]
	s_waitcnt vmcnt(1)
	v_mul_f32_e32 v6, v11, v11
	v_fmac_f32_e32 v6, v10, v10
	v_fmac_f32_e32 v6, v16, v16
	;; [unrolled: 1-line block ×7, first 2 shown]
	v_and_b32_e32 v8, 63, v0
	v_cmp_eq_u32_e64 s[0:1], 63, v8
	v_mov_b32_dpp v7, v6 quad_perm:[1,0,3,2] row_mask:0xf bank_mask:0xf
	v_add_f32_e32 v6, v6, v7
	s_nop 1
	v_mov_b32_dpp v7, v6 quad_perm:[2,3,0,1] row_mask:0xf bank_mask:0xf
	v_add_f32_e32 v6, v6, v7
	s_nop 1
	v_mov_b32_dpp v7, v6 row_half_mirror row_mask:0xf bank_mask:0xf
	v_add_f32_e32 v6, v6, v7
	s_nop 1
	v_mov_b32_dpp v7, v6 row_mirror row_mask:0xf bank_mask:0xf
	v_add_f32_e32 v6, v6, v7
	s_nop 1
	v_mov_b32_dpp v7, v6 row_bcast:15 row_mask:0xf bank_mask:0xf
	v_add_f32_e32 v6, v6, v7
	s_nop 1
	v_mov_b32_dpp v7, v6 row_bcast:31 row_mask:0xf bank_mask:0xf
	s_and_saveexec_b64 s[8:9], s[0:1]
	s_cbranch_execz .LBB353_7
; %bb.6:
	v_add_f32_e32 v6, v6, v7
	v_lshrrev_b32_e32 v7, 4, v0
	v_and_b32_e32 v7, 60, v7
	ds_write_b32 v7, v6 offset:8
.LBB353_7:
	s_or_b64 exec, exec, s[8:9]
	v_and_b32_e32 v6, 1, v0
	v_lshlrev_b32_e32 v18, 2, v6
	s_waitcnt lgkmcnt(0)
	s_barrier
	ds_read_b32 v6, v18 offset:8
	s_load_dwordx2 s[28:29], s[4:5], 0x18
	s_waitcnt lgkmcnt(0)
	v_mov_b32_dpp v7, v6 quad_perm:[1,0,3,2] row_mask:0xf bank_mask:0xf
	s_and_saveexec_b64 s[8:9], s[2:3]
	s_cbranch_execz .LBB353_9
; %bb.8:
	v_cvt_f32_u32_e32 v8, s7
	v_add_f32_e32 v6, v6, v7
	v_mov_b32_e32 v19, s17
	v_mov_b32_e32 v20, s16
	v_div_scale_f32 v7, s[24:25], v8, v8, v6
	v_rcp_f32_e32 v9, v7
	v_cndmask_b32_e32 v19, v19, v20, vcc
	s_mov_b32 s7, 0x800000
	v_fma_f32 v20, -v7, v9, 1.0
	v_fmac_f32_e32 v9, v20, v9
	v_div_scale_f32 v20, vcc, v6, v8, v6
	v_mul_f32_e32 v21, v20, v9
	v_fma_f32 v22, -v7, v21, v20
	v_fmac_f32_e32 v21, v22, v9
	v_fma_f32 v7, -v7, v21, v20
	v_div_fmas_f32 v7, v7, v9, v21
	v_div_fixup_f32 v6, v7, v8, v6
	v_add_f32_e32 v6, v19, v6
	v_mul_f32_e32 v7, 0x4b800000, v6
	v_cmp_gt_f32_e32 vcc, s7, v6
	v_cndmask_b32_e32 v6, v6, v7, vcc
	v_rsq_f32_e32 v6, v6
	s_waitcnt vmcnt(0)
	v_cvt_f32_f16_sdwa v21, v3 dst_sel:DWORD dst_unused:UNUSED_PAD src0_sel:WORD_1
	v_cvt_f32_f16_e32 v20, v3
	v_mul_f32_e32 v7, 0x45800000, v6
	v_cndmask_b32_e32 v6, v6, v7, vcc
	v_mov_b32_e32 v7, v6
	;;#ASMSTART
	v_pk_mul_f32 v[8:9], v[10:11], v[6:7]
	;;#ASMEND
	v_cvt_f32_f16_sdwa v11, v2 dst_sel:DWORD dst_unused:UNUSED_PAD src0_sel:WORD_1
	v_cvt_f32_f16_e32 v10, v2
	;;#ASMSTART
	v_pk_mul_f32 v[16:17], v[16:17], v[6:7]
	;;#ASMEND
	;;#ASMSTART
	v_pk_mul_f32 v[14:15], v[14:15], v[6:7]
	;;#ASMEND
	;; [unrolled: 3-line block ×3, first 2 shown]
	v_pk_add_f32 v[6:7], v[10:11], 1.0 op_sel_hi:[1,0]
	;;#ASMSTART
	v_pk_mul_f32 v[10:11], v[8:9], v[6:7]
	;;#ASMEND
	v_cvt_f32_f16_sdwa v9, v4 dst_sel:DWORD dst_unused:UNUSED_PAD src0_sel:WORD_1
	v_cvt_f32_f16_e32 v8, v4
	v_cvt_f32_f16_sdwa v13, v5 dst_sel:DWORD dst_unused:UNUSED_PAD src0_sel:WORD_1
	v_cvt_f32_f16_e32 v12, v5
	v_pk_add_f32 v[6:7], v[20:21], 1.0 op_sel_hi:[1,0]
	v_pk_add_f32 v[4:5], v[8:9], 1.0 op_sel_hi:[1,0]
	;;#ASMSTART
	v_pk_mul_f32 v[16:17], v[16:17], v[6:7]
	;;#ASMEND
	;;#ASMSTART
	v_pk_mul_f32 v[14:15], v[14:15], v[4:5]
	;;#ASMEND
	v_pk_add_f32 v[4:5], v[12:13], 1.0 op_sel_hi:[1,0]
	;;#ASMSTART
	v_pk_mul_f32 v[12:13], v[2:3], v[4:5]
	;;#ASMEND
.LBB353_9:
	s_or_b64 exec, exec, s[8:9]
	s_load_dword s7, s[4:5], 0x80
	s_mov_b64 s[8:9], -1
	s_and_b64 vcc, exec, s[14:15]
	s_cbranch_vccnz .LBB353_13
; %bb.10:
	s_andn2_b64 vcc, exec, s[8:9]
	s_cbranch_vccz .LBB353_16
.LBB353_11:
	s_cmp_lt_i32 s20, 1
	s_cbranch_scc0 .LBB353_23
.LBB353_12:
	s_endpgm
.LBB353_13:
	s_and_saveexec_b64 s[14:15], s[2:3]
	s_cbranch_execz .LBB353_15
; %bb.14:
	s_waitcnt lgkmcnt(0)
	s_mul_hi_i32 s9, s7, s6
	s_mul_i32 s8, s7, s6
	s_waitcnt vmcnt(0)
	v_cvt_f16_f32_e32 v2, v10
	v_cvt_f16_f32_e32 v3, v16
	v_cvt_f16_f32_e32 v4, v14
	v_cvt_f16_f32_e32 v5, v12
	v_cvt_f16_f32_e32 v6, v13
	v_cvt_f16_f32_e32 v7, v15
	v_cvt_f16_f32_e32 v8, v17
	v_cvt_f16_f32_e32 v9, v11
	s_lshl_b64 s[8:9], s[8:9], 1
	s_add_u32 s8, s28, s8
	s_addc_u32 s9, s29, s9
	s_and_b32 s9, s9, 0xffff
	s_mov_b32 s11, 0x20000
	v_pack_b32_f16 v5, v5, v6
	v_pack_b32_f16 v4, v4, v7
	;; [unrolled: 1-line block ×4, first 2 shown]
	v_lshlrev_b32_e32 v6, 4, v0
	buffer_store_dwordx4 v[2:5], v6, s[8:11], 0 offen
	;;#ASMSTART
	s_nop 0
	;;#ASMEND
.LBB353_15:
	s_or_b64 exec, exec, s[14:15]
	s_cbranch_execnz .LBB353_11
.LBB353_16:
	s_waitcnt vmcnt(0)
	v_mov_b32_e32 v2, 0
	s_and_saveexec_b64 s[8:9], s[2:3]
	s_cbranch_execz .LBB353_18
; %bb.17:
	v_and_b32_e32 v2, 0x7fffffff, v10
	v_and_b32_e32 v3, 0x7fffffff, v11
	v_mov_b32_e32 v4, 0x2edbe6ff
	;;#ASMSTART
	v_max3_f32 v2, v4, v2, v3

	;;#ASMEND
	v_and_b32_e32 v3, 0x7fffffff, v16
	v_and_b32_e32 v4, 0x7fffffff, v17
	;;#ASMSTART
	v_max3_f32 v2, v2, v3, v4

	;;#ASMEND
	v_and_b32_e32 v3, 0x7fffffff, v14
	v_and_b32_e32 v4, 0x7fffffff, v15
	;; [unrolled: 6-line block ×3, first 2 shown]
	;;#ASMSTART
	v_max3_f32 v2, v2, v3, v4

	;;#ASMEND
.LBB353_18:
	s_or_b64 exec, exec, s[8:9]
	s_load_dwordx4 s[24:27], s[4:5], 0x70
	;;#ASMSTART
	v_max_f32 v3, v2, v2 quad_perm:[1,0,3,2] row_mask:0xf bank_mask:0xf bound_ctrl:1
	;;#ASMEND
	;;#ASMSTART
	v_max_f32 v2, v3, v3 quad_perm:[2,3,0,1] row_mask:0xf bank_mask:0xf bound_ctrl:1
	;;#ASMEND
	;;#ASMSTART
	v_max_f32 v3, v2, v2 row_half_mirror row_mask:0xf bank_mask:0xf bound_ctrl:1
	;;#ASMEND
	;;#ASMSTART
	v_max_f32 v2, v3, v3 row_mirror row_mask:0xf bank_mask:0xf bound_ctrl:1
	;;#ASMEND
	v_and_b32_e32 v3, 15, v0
	v_cmp_eq_u32_e32 vcc, 0, v3
	v_cmp_gt_i32_e64 s[8:9], s19, v1
	v_mul_f32_e32 v2, 0x3b124925, v2
	s_and_b64 s[10:11], vcc, s[8:9]
	s_and_saveexec_b64 s[8:9], s[10:11]
	s_cbranch_execz .LBB353_20
; %bb.19:
	s_load_dwordx2 s[10:11], s[4:5], 0x8
	s_waitcnt lgkmcnt(0)
	s_mul_hi_i32 s15, s25, s6
	s_mul_i32 s14, s25, s6
	v_lshrrev_b32_e32 v3, 4, v0
	s_lshl_b64 s[14:15], s[14:15], 2
	v_mad_i64_i32 v[4:5], s[26:27], s26, v3, 0
	s_add_u32 s10, s10, s14
	s_addc_u32 s11, s11, s15
	v_lshlrev_b64 v[4:5], 2, v[4:5]
	v_mov_b32_e32 v3, s11
	v_add_co_u32_e32 v4, vcc, s10, v4
	v_addc_co_u32_e32 v5, vcc, v3, v5, vcc
	global_store_dword v[4:5], v2, off
.LBB353_20:
	s_or_b64 exec, exec, s[8:9]
	;;#ASMSTART
	v_rcp_f32 v2, v2
	;;#ASMEND
	s_and_saveexec_b64 s[14:15], s[2:3]
	s_cbranch_execz .LBB353_22
; %bb.21:
	s_load_dwordx2 s[2:3], s[4:5], 0x0
	s_waitcnt lgkmcnt(0)
	s_mul_i32 s8, s24, s6
	s_mul_hi_i32 s9, s24, s6
	v_mov_b32_e32 v3, v2
	;;#ASMSTART
	v_pk_mul_f32 v[4:5], v[10:11], v[2:3]
	;;#ASMEND
	s_add_u32 s8, s2, s8
	s_addc_u32 s2, s3, s9
	s_add_i32 s3, s19, 3
	s_ashr_i32 s9, s3, 31
	v_mov_b32_e32 v8, 0xc3e00000
	v_mov_b32_e32 v9, 0x43e00000
	;;#ASMSTART
	v_med3_f32 v4, v4, v8, v9
v_med3_f32 v5, v5, v8, v9
v_cvt_pk_fp8_f32 v6, v4, v5
	;;#ASMEND
	s_lshr_b32 s9, s9, 30
	;;#ASMSTART
	v_pk_mul_f32 v[4:5], v[16:17], v[2:3]
	;;#ASMEND
	s_add_i32 s3, s3, s9
	s_and_b32 s9, s2, 0xffff
	;;#ASMSTART
	v_med3_f32 v4, v4, v8, v9
v_med3_f32 v5, v5, v8, v9
v_cvt_pk_fp8_f32 v7, v4, v5
	;;#ASMEND
	s_mov_b32 s2, 0x5040100
	v_perm_b32 v5, v7, v6, s2
	s_movk_i32 s2, 0xff
	v_and_b32_e32 v4, 0xffffff00, v7
	v_and_b32_sdwa v6, v5, s2 dst_sel:DWORD dst_unused:UNUSED_PAD src0_sel:WORD_1 src1_sel:DWORD
	s_mov_b32 s16, 0xffff
	v_or_b32_sdwa v4, v6, v4 dst_sel:WORD_1 dst_unused:UNUSED_PAD src0_sel:DWORD src1_sel:DWORD
	v_and_or_b32 v4, v5, s16, v4
	;;#ASMSTART
	v_pk_mul_f32 v[6:7], v[14:15], v[2:3]
	;;#ASMEND
	v_mov_b32_e32 v5, v6
	;;#ASMSTART
	v_med3_f32 v5, v5, v8, v9
v_med3_f32 v7, v7, v8, v9
v_cvt_pk_fp8_f32 v6, v5, v7
	;;#ASMEND
	;;#ASMSTART
	v_pk_mul_f32 v[2:3], v[12:13], v[2:3]
	;;#ASMEND
	;;#ASMSTART
	v_med3_f32 v2, v2, v8, v9
v_med3_f32 v3, v3, v8, v9
v_cvt_pk_fp8_f32 v5, v2, v3
	;;#ASMEND
	v_lshlrev_b32_e32 v2, 16, v5
	s_and_b32 s10, s3, -4
	s_mov_b32 s11, 0x20000
	v_and_or_b32 v5, v6, s16, v2
	buffer_store_dwordx2 v[4:5], v1, s[8:11], 0 offen
	;;#ASMSTART
	s_nop 0
	;;#ASMEND
.LBB353_22:
	s_or_b64 exec, exec, s[14:15]
	s_cmp_lt_i32 s20, 1
	s_cbranch_scc1 .LBB353_12
.LBB353_23:
	s_load_dword s2, s[4:5], 0x94
	s_waitcnt lgkmcnt(0)
	s_cmp_lg_u32 s2, 1
	s_cbranch_scc1 .LBB353_12
; %bb.24:
	s_lshl_b32 s2, s20, 1
	s_add_i32 s2, s2, 2
	v_cmp_gt_u32_e32 vcc, s20, v1
	s_and_b32 s14, s2, -4
	v_mov_b32_e32 v10, 0
	v_lshlrev_b32_e32 v1, 4, v0
	v_mov_b32_e32 v6, 0
	v_mov_b32_e32 v7, 0
	;; [unrolled: 1-line block ×4, first 2 shown]
	s_waitcnt vmcnt(0)
	v_mov_b32_e32 v2, 0
	v_mov_b32_e32 v3, 0
	;; [unrolled: 1-line block ×4, first 2 shown]
	s_barrier
	s_and_saveexec_b64 s[2:3], vcc
	s_cbranch_execz .LBB353_26
; %bb.25:
	s_mul_hi_i32 s5, s22, s6
	s_mul_i32 s4, s22, s6
	s_and_b32 s13, s13, 0xffff
	s_lshl_b64 s[4:5], s[4:5], 1
	s_add_u32 s8, s30, s4
	s_mov_b32 s15, 0x20000
	s_addc_u32 s4, s31, s5
	s_and_b32 s9, s4, 0xffff
	s_mov_b32 s10, s14
	s_mov_b32 s11, s15
	buffer_load_dwordx4 v[6:9], v1, s[8:11], 0 offen glc slc
	buffer_load_dwordx4 v[2:5], v1, s[12:15], 0 offen
.LBB353_26:
	s_or_b64 exec, exec, s[2:3]
	v_mov_b32_e32 v11, 0
	v_mov_b32_e32 v16, 0
	;; [unrolled: 1-line block ×7, first 2 shown]
	s_and_saveexec_b64 s[2:3], vcc
	s_cbranch_execz .LBB353_28
; %bb.27:
	s_waitcnt vmcnt(1)
	v_cvt_f32_f16_sdwa v11, v6 dst_sel:DWORD dst_unused:UNUSED_PAD src0_sel:WORD_1
	v_cvt_f32_f16_e32 v10, v6
	v_cvt_f32_f16_sdwa v17, v7 dst_sel:DWORD dst_unused:UNUSED_PAD src0_sel:WORD_1
	v_cvt_f32_f16_e32 v16, v7
	;; [unrolled: 2-line block ×4, first 2 shown]
.LBB353_28:
	s_or_b64 exec, exec, s[2:3]
	s_waitcnt vmcnt(1)
	v_mul_f32_e32 v6, v11, v11
	v_fmac_f32_e32 v6, v10, v10
	v_fmac_f32_e32 v6, v16, v16
	;; [unrolled: 1-line block ×7, first 2 shown]
	s_nop 1
	v_mov_b32_dpp v7, v6 quad_perm:[1,0,3,2] row_mask:0xf bank_mask:0xf
	v_add_f32_e32 v6, v6, v7
	s_nop 1
	v_mov_b32_dpp v7, v6 quad_perm:[2,3,0,1] row_mask:0xf bank_mask:0xf
	v_add_f32_e32 v6, v6, v7
	s_nop 1
	v_mov_b32_dpp v7, v6 row_half_mirror row_mask:0xf bank_mask:0xf
	v_add_f32_e32 v6, v6, v7
	s_nop 1
	v_mov_b32_dpp v7, v6 row_mirror row_mask:0xf bank_mask:0xf
	v_add_f32_e32 v6, v6, v7
	s_nop 1
	v_mov_b32_dpp v7, v6 row_bcast:15 row_mask:0xf bank_mask:0xf
	v_add_f32_e32 v6, v6, v7
	s_nop 1
	v_mov_b32_dpp v7, v6 row_bcast:31 row_mask:0xf bank_mask:0xf
	s_and_saveexec_b64 s[2:3], s[0:1]
	s_cbranch_execz .LBB353_30
; %bb.29:
	v_lshrrev_b32_e32 v0, 4, v0
	v_add_f32_e32 v6, v6, v7
	v_and_b32_e32 v0, 60, v0
	ds_write_b32 v0, v6
.LBB353_30:
	s_or_b64 exec, exec, s[2:3]
	s_waitcnt lgkmcnt(0)
	s_barrier
	ds_read_b32 v0, v18
	s_waitcnt lgkmcnt(0)
	s_nop 0
	v_mov_b32_dpp v6, v0 quad_perm:[1,0,3,2] row_mask:0xf bank_mask:0xf
	s_and_saveexec_b64 s[0:1], vcc
	s_cbranch_execz .LBB353_12
; %bb.31:
	v_cvt_f32_u32_e32 v7, s20
	v_add_f32_e32 v0, v0, v6
	s_mov_b32 s15, 0x20000
	v_div_scale_f32 v6, s[0:1], v7, v7, v0
	v_rcp_f32_e32 v8, v6
	v_div_scale_f32 v9, vcc, v0, v7, v0
	s_mov_b32 s0, 0x800000
	v_fma_f32 v18, -v6, v8, 1.0
	v_fmac_f32_e32 v8, v18, v8
	v_mul_f32_e32 v18, v9, v8
	v_fma_f32 v19, -v6, v18, v9
	v_fmac_f32_e32 v18, v19, v8
	v_fma_f32 v6, -v6, v18, v9
	v_div_fmas_f32 v6, v6, v8, v18
	v_div_fixup_f32 v0, v6, v7, v0
	v_add_f32_e32 v0, s17, v0
	v_mul_f32_e32 v6, 0x4b800000, v0
	v_cmp_gt_f32_e32 vcc, s0, v0
	v_cndmask_b32_e32 v0, v0, v6, vcc
	v_rsq_f32_e32 v0, v0
	s_waitcnt vmcnt(0)
	v_cvt_f32_f16_sdwa v19, v3 dst_sel:DWORD dst_unused:UNUSED_PAD src0_sel:WORD_1
	v_cvt_f32_f16_e32 v18, v3
	s_mul_hi_i32 s1, s7, s6
	v_mul_f32_e32 v6, 0x45800000, v0
	v_cndmask_b32_e32 v6, v0, v6, vcc
	v_mov_b32_e32 v7, v6
	;;#ASMSTART
	v_pk_mul_f32 v[8:9], v[10:11], v[6:7]
	;;#ASMEND
	;;#ASMSTART
	v_pk_mul_f32 v[10:11], v[16:17], v[6:7]
	;;#ASMEND
	v_cvt_f32_f16_sdwa v17, v2 dst_sel:DWORD dst_unused:UNUSED_PAD src0_sel:WORD_1
	v_cvt_f32_f16_e32 v16, v2
	;;#ASMSTART
	v_pk_mul_f32 v[14:15], v[14:15], v[6:7]
	;;#ASMEND
	;;#ASMSTART
	v_pk_mul_f32 v[2:3], v[12:13], v[6:7]
	;;#ASMEND
	v_cvt_f32_f16_sdwa v13, v4 dst_sel:DWORD dst_unused:UNUSED_PAD src0_sel:WORD_1
	v_cvt_f32_f16_e32 v12, v4
	v_pk_add_f32 v[6:7], v[16:17], 1.0 op_sel_hi:[1,0]
	v_cvt_f32_f16_sdwa v17, v5 dst_sel:DWORD dst_unused:UNUSED_PAD src0_sel:WORD_1
	v_cvt_f32_f16_e32 v16, v5
	;;#ASMSTART
	v_pk_mul_f32 v[6:7], v[8:9], v[6:7]
	;;#ASMEND
	v_pk_add_f32 v[8:9], v[18:19], 1.0 op_sel_hi:[1,0]
	;;#ASMSTART
	v_pk_mul_f32 v[4:5], v[10:11], v[8:9]
	;;#ASMEND
	v_pk_add_f32 v[8:9], v[12:13], 1.0 op_sel_hi:[1,0]
	;; [unrolled: 4-line block ×3, first 2 shown]
	;;#ASMSTART
	v_pk_mul_f32 v[2:3], v[2:3], v[10:11]
	;;#ASMEND
	s_mul_i32 s0, s7, s6
	v_cvt_f16_f32_e32 v0, v6
	v_cvt_f16_f32_e32 v6, v7
	;; [unrolled: 1-line block ×8, first 2 shown]
	s_lshl_b64 s[0:1], s[0:1], 1
	s_add_u32 s12, s28, s0
	s_addc_u32 s0, s29, s1
	s_and_b32 s13, s0, 0xffff
	v_pack_b32_f16 v2, v0, v6
	v_pack_b32_f16 v3, v4, v5
	;; [unrolled: 1-line block ×4, first 2 shown]
	buffer_store_dwordx4 v[2:5], v1, s[12:15], 0 offen
	;;#ASMSTART
	s_nop 0
	;;#ASMEND
	s_endpgm
	.section	.rodata,"a",@progbits
	.p2align	6, 0x0
	.amdhsa_kernel _ZN5aiter35fused_qk_rmsnorm_group_quant_kernelIDF16_DB8_Li128ELi8ELi16ELb0ELb0ELb1ELb0ELb0ELb0EEEvPT0_PvPT_S6_S6_PKS5_S8_S8_S8_S8_ffiiiiiiiiiiiii
		.amdhsa_group_segment_fixed_size 16
		.amdhsa_private_segment_fixed_size 0
		.amdhsa_kernarg_size 400
		.amdhsa_user_sgpr_count 6
		.amdhsa_user_sgpr_private_segment_buffer 1
		.amdhsa_user_sgpr_dispatch_ptr 0
		.amdhsa_user_sgpr_queue_ptr 0
		.amdhsa_user_sgpr_kernarg_segment_ptr 1
		.amdhsa_user_sgpr_dispatch_id 0
		.amdhsa_user_sgpr_flat_scratch_init 0
		.amdhsa_user_sgpr_kernarg_preload_length 0
		.amdhsa_user_sgpr_kernarg_preload_offset 0
		.amdhsa_user_sgpr_private_segment_size 0
		.amdhsa_uses_dynamic_stack 0
		.amdhsa_system_sgpr_private_segment_wavefront_offset 0
		.amdhsa_system_sgpr_workgroup_id_x 1
		.amdhsa_system_sgpr_workgroup_id_y 1
		.amdhsa_system_sgpr_workgroup_id_z 0
		.amdhsa_system_sgpr_workgroup_info 0
		.amdhsa_system_vgpr_workitem_id 0
		.amdhsa_next_free_vgpr 23
		.amdhsa_next_free_sgpr 32
		.amdhsa_accum_offset 24
		.amdhsa_reserve_vcc 1
		.amdhsa_reserve_flat_scratch 0
		.amdhsa_float_round_mode_32 0
		.amdhsa_float_round_mode_16_64 0
		.amdhsa_float_denorm_mode_32 3
		.amdhsa_float_denorm_mode_16_64 3
		.amdhsa_dx10_clamp 1
		.amdhsa_ieee_mode 1
		.amdhsa_fp16_overflow 0
		.amdhsa_tg_split 0
		.amdhsa_exception_fp_ieee_invalid_op 0
		.amdhsa_exception_fp_denorm_src 0
		.amdhsa_exception_fp_ieee_div_zero 0
		.amdhsa_exception_fp_ieee_overflow 0
		.amdhsa_exception_fp_ieee_underflow 0
		.amdhsa_exception_fp_ieee_inexact 0
		.amdhsa_exception_int_div_zero 0
	.end_amdhsa_kernel
	.section	.text._ZN5aiter35fused_qk_rmsnorm_group_quant_kernelIDF16_DB8_Li128ELi8ELi16ELb0ELb0ELb1ELb0ELb0ELb0EEEvPT0_PvPT_S6_S6_PKS5_S8_S8_S8_S8_ffiiiiiiiiiiiii,"axG",@progbits,_ZN5aiter35fused_qk_rmsnorm_group_quant_kernelIDF16_DB8_Li128ELi8ELi16ELb0ELb0ELb1ELb0ELb0ELb0EEEvPT0_PvPT_S6_S6_PKS5_S8_S8_S8_S8_ffiiiiiiiiiiiii,comdat
.Lfunc_end353:
	.size	_ZN5aiter35fused_qk_rmsnorm_group_quant_kernelIDF16_DB8_Li128ELi8ELi16ELb0ELb0ELb1ELb0ELb0ELb0EEEvPT0_PvPT_S6_S6_PKS5_S8_S8_S8_S8_ffiiiiiiiiiiiii, .Lfunc_end353-_ZN5aiter35fused_qk_rmsnorm_group_quant_kernelIDF16_DB8_Li128ELi8ELi16ELb0ELb0ELb1ELb0ELb0ELb0EEEvPT0_PvPT_S6_S6_PKS5_S8_S8_S8_S8_ffiiiiiiiiiiiii
                                        ; -- End function
	.section	.AMDGPU.csdata,"",@progbits
; Kernel info:
; codeLenInByte = 2520
; NumSgprs: 36
; NumVgprs: 23
; NumAgprs: 0
; TotalNumVgprs: 23
; ScratchSize: 0
; MemoryBound: 0
; FloatMode: 240
; IeeeMode: 1
; LDSByteSize: 16 bytes/workgroup (compile time only)
; SGPRBlocks: 4
; VGPRBlocks: 2
; NumSGPRsForWavesPerEU: 36
; NumVGPRsForWavesPerEU: 23
; AccumOffset: 24
; Occupancy: 8
; WaveLimiterHint : 0
; COMPUTE_PGM_RSRC2:SCRATCH_EN: 0
; COMPUTE_PGM_RSRC2:USER_SGPR: 6
; COMPUTE_PGM_RSRC2:TRAP_HANDLER: 0
; COMPUTE_PGM_RSRC2:TGID_X_EN: 1
; COMPUTE_PGM_RSRC2:TGID_Y_EN: 1
; COMPUTE_PGM_RSRC2:TGID_Z_EN: 0
; COMPUTE_PGM_RSRC2:TIDIG_COMP_CNT: 0
; COMPUTE_PGM_RSRC3_GFX90A:ACCUM_OFFSET: 5
; COMPUTE_PGM_RSRC3_GFX90A:TG_SPLIT: 0
	.section	.text._ZN5aiter35fused_qk_rmsnorm_group_quant_kernelItDB8_Li128ELi8ELi16ELb0ELb0ELb1ELb0ELb0ELb0EEEvPT0_PvPT_S6_S6_PKS5_S8_S8_S8_S8_ffiiiiiiiiiiiii,"axG",@progbits,_ZN5aiter35fused_qk_rmsnorm_group_quant_kernelItDB8_Li128ELi8ELi16ELb0ELb0ELb1ELb0ELb0ELb0EEEvPT0_PvPT_S6_S6_PKS5_S8_S8_S8_S8_ffiiiiiiiiiiiii,comdat
	.protected	_ZN5aiter35fused_qk_rmsnorm_group_quant_kernelItDB8_Li128ELi8ELi16ELb0ELb0ELb1ELb0ELb0ELb0EEEvPT0_PvPT_S6_S6_PKS5_S8_S8_S8_S8_ffiiiiiiiiiiiii ; -- Begin function _ZN5aiter35fused_qk_rmsnorm_group_quant_kernelItDB8_Li128ELi8ELi16ELb0ELb0ELb1ELb0ELb0ELb0EEEvPT0_PvPT_S6_S6_PKS5_S8_S8_S8_S8_ffiiiiiiiiiiiii
	.globl	_ZN5aiter35fused_qk_rmsnorm_group_quant_kernelItDB8_Li128ELi8ELi16ELb0ELb0ELb1ELb0ELb0ELb0EEEvPT0_PvPT_S6_S6_PKS5_S8_S8_S8_S8_ffiiiiiiiiiiiii
	.p2align	8
	.type	_ZN5aiter35fused_qk_rmsnorm_group_quant_kernelItDB8_Li128ELi8ELi16ELb0ELb0ELb1ELb0ELb0ELb0EEEvPT0_PvPT_S6_S6_PKS5_S8_S8_S8_S8_ffiiiiiiiiiiiii,@function
_ZN5aiter35fused_qk_rmsnorm_group_quant_kernelItDB8_Li128ELi8ELi16ELb0ELb0ELb1ELb0ELb0ELb0EEEvPT0_PvPT_S6_S6_PKS5_S8_S8_S8_S8_ffiiiiiiiiiiiii: ; @_ZN5aiter35fused_qk_rmsnorm_group_quant_kernelItDB8_Li128ELi8ELi16ELb0ELb0ELb1ELb0ELb0ELb0EEEvPT0_PvPT_S6_S6_PKS5_S8_S8_S8_S8_ffiiiiiiiiiiiii
; %bb.0:
	s_load_dwordx4 s[16:19], s[4:5], 0x50
	s_waitcnt lgkmcnt(0)
	s_cmp_ge_i32 s6, s18
	s_cbranch_scc1 .LBB354_10
; %bb.1:
	s_load_dwordx2 s[12:13], s[4:5], 0x48
	s_load_dwordx2 s[30:31], s[4:5], 0x30
	s_load_dwordx4 s[20:23], s[4:5], 0x60
	s_cmp_lg_u32 s7, 0
	s_cselect_b64 s[14:15], -1, 0
	s_cmp_eq_u32 s7, 0
	s_cselect_b64 vcc, -1, 0
	s_and_b64 s[0:1], vcc, exec
	s_waitcnt lgkmcnt(0)
	s_cselect_b32 s7, s19, s20
	s_add_i32 s0, s7, 1
	s_lshr_b32 s1, s0, 31
	s_add_i32 s0, s0, s1
	s_lshl_b32 s0, s0, 1
	v_lshlrev_b32_e32 v1, 3, v0
	s_and_b32 s10, s0, -4
	v_cmp_gt_i32_e64 s[2:3], s7, v1
	v_mov_b32_e32 v2, 0
	v_mov_b32_e32 v3, 0
	;; [unrolled: 1-line block ×8, first 2 shown]
	s_and_saveexec_b64 s[0:1], s[2:3]
	s_cbranch_execz .LBB354_3
; %bb.2:
	s_load_dwordx2 s[8:9], s[4:5], 0x28
	s_load_dwordx2 s[26:27], s[4:5], 0x40
	s_and_b64 s[24:25], vcc, exec
	s_cselect_b32 s11, s21, s22
	v_lshlrev_b32_e32 v10, 4, v0
	s_waitcnt lgkmcnt(0)
	s_cselect_b32 s18, s9, s31
	s_cselect_b32 s21, s8, s30
	s_mul_hi_i32 s9, s11, s6
	s_mul_i32 s8, s11, s6
	s_lshl_b64 s[8:9], s[8:9], 1
	s_add_u32 s24, s21, s8
	s_addc_u32 s18, s18, s9
	s_and_b64 s[8:9], vcc, exec
	s_mov_b32 s11, 0x20000
	s_cselect_b32 s8, s26, s12
	s_cselect_b32 s9, s27, s13
	s_and_b32 s25, s18, 0xffff
	s_mov_b32 s26, s10
	s_mov_b32 s27, s11
	s_and_b32 s9, s9, 0xffff
	buffer_load_dwordx4 v[6:9], v10, s[24:27], 0 offen glc slc
	buffer_load_dwordx4 v[2:5], v10, s[8:11], 0 offen
.LBB354_3:
	s_or_b64 exec, exec, s[0:1]
	s_waitcnt vmcnt(1)
	v_cvt_f32_u32_sdwa v13, v6 dst_sel:DWORD dst_unused:UNUSED_PAD src0_sel:WORD_1
	v_cvt_f32_u32_sdwa v12, v6 dst_sel:DWORD dst_unused:UNUSED_PAD src0_sel:WORD_0
	v_cvt_f32_u32_sdwa v6, v9 dst_sel:DWORD dst_unused:UNUSED_PAD src0_sel:WORD_1
	v_cvt_f32_u32_sdwa v9, v9 dst_sel:DWORD dst_unused:UNUSED_PAD src0_sel:WORD_0
	;; [unrolled: 2-line block ×4, first 2 shown]
	v_cndmask_b32_e64 v13, 0, v13, s[2:3]
	v_cndmask_b32_e64 v7, 0, v6, s[2:3]
	v_cndmask_b32_e64 v6, 0, v9, s[2:3]
	v_cndmask_b32_e64 v9, 0, v14, s[2:3]
	v_cndmask_b32_e64 v12, 0, v12, s[2:3]
	v_mul_f32_e32 v14, v13, v13
	v_cndmask_b32_e64 v10, 0, v10, s[2:3]
	v_fmac_f32_e32 v14, v12, v12
	v_cndmask_b32_e64 v11, 0, v11, s[2:3]
	v_fmac_f32_e32 v14, v10, v10
	;; [unrolled: 2-line block ×3, first 2 shown]
	v_fmac_f32_e32 v14, v8, v8
	v_fmac_f32_e32 v14, v9, v9
	;; [unrolled: 1-line block ×4, first 2 shown]
	v_and_b32_e32 v16, 63, v0
	v_cmp_eq_u32_e64 s[0:1], 63, v16
	v_mov_b32_dpp v15, v14 quad_perm:[1,0,3,2] row_mask:0xf bank_mask:0xf
	v_add_f32_e32 v14, v14, v15
	s_nop 1
	v_mov_b32_dpp v15, v14 quad_perm:[2,3,0,1] row_mask:0xf bank_mask:0xf
	v_add_f32_e32 v14, v14, v15
	s_nop 1
	v_mov_b32_dpp v15, v14 row_half_mirror row_mask:0xf bank_mask:0xf
	v_add_f32_e32 v14, v14, v15
	s_nop 1
	v_mov_b32_dpp v15, v14 row_mirror row_mask:0xf bank_mask:0xf
	v_add_f32_e32 v14, v14, v15
	s_nop 1
	v_mov_b32_dpp v15, v14 row_bcast:15 row_mask:0xf bank_mask:0xf
	v_add_f32_e32 v14, v14, v15
	s_nop 1
	v_mov_b32_dpp v15, v14 row_bcast:31 row_mask:0xf bank_mask:0xf
	s_and_saveexec_b64 s[8:9], s[0:1]
	s_cbranch_execz .LBB354_5
; %bb.4:
	v_add_f32_e32 v14, v14, v15
	v_lshrrev_b32_e32 v15, 4, v0
	v_and_b32_e32 v15, 60, v15
	ds_write_b32 v15, v14 offset:8
.LBB354_5:
	s_or_b64 exec, exec, s[8:9]
	v_and_b32_e32 v14, 1, v0
	v_lshlrev_b32_e32 v14, 2, v14
	s_waitcnt lgkmcnt(0)
	s_barrier
	ds_read_b32 v15, v14 offset:8
	s_load_dwordx2 s[28:29], s[4:5], 0x18
	s_waitcnt lgkmcnt(0)
	v_mov_b32_dpp v16, v15 quad_perm:[1,0,3,2] row_mask:0xf bank_mask:0xf
	s_and_saveexec_b64 s[8:9], s[2:3]
	s_cbranch_execz .LBB354_7
; %bb.6:
	v_cvt_f32_u32_e32 v17, s7
	v_add_f32_e32 v15, v15, v16
	v_mov_b32_e32 v19, s17
	v_mov_b32_e32 v20, s16
	v_div_scale_f32 v16, s[24:25], v17, v17, v15
	v_rcp_f32_e32 v18, v16
	v_cndmask_b32_e32 v19, v19, v20, vcc
	s_mov_b32 s7, 0x800000
	v_fma_f32 v20, -v16, v18, 1.0
	v_fmac_f32_e32 v18, v20, v18
	v_div_scale_f32 v20, vcc, v15, v17, v15
	v_mul_f32_e32 v21, v20, v18
	v_fma_f32 v22, -v16, v21, v20
	v_fmac_f32_e32 v21, v22, v18
	v_fma_f32 v16, -v16, v21, v20
	v_div_fmas_f32 v16, v16, v18, v21
	v_div_fixup_f32 v15, v16, v17, v15
	v_add_f32_e32 v15, v19, v15
	v_mul_f32_e32 v16, 0x4b800000, v15
	v_cmp_gt_f32_e32 vcc, s7, v15
	v_cndmask_b32_e32 v15, v15, v16, vcc
	v_rsq_f32_e32 v15, v15
	s_waitcnt vmcnt(0)
	v_cvt_f32_u32_sdwa v19, v2 dst_sel:DWORD dst_unused:UNUSED_PAD src0_sel:WORD_1
	v_cvt_f32_u32_sdwa v18, v2 dst_sel:DWORD dst_unused:UNUSED_PAD src0_sel:WORD_0
	v_cvt_f32_u32_sdwa v21, v3 dst_sel:DWORD dst_unused:UNUSED_PAD src0_sel:WORD_1
	v_mul_f32_e32 v16, 0x45800000, v15
	v_cndmask_b32_e32 v16, v15, v16, vcc
	v_mov_b32_e32 v17, v16
	;;#ASMSTART
	v_pk_mul_f32 v[12:13], v[12:13], v[16:17]
	;;#ASMEND
	;;#ASMSTART
	v_pk_mul_f32 v[10:11], v[10:11], v[16:17]
	;;#ASMEND
	;; [unrolled: 3-line block ×3, first 2 shown]
	v_cvt_f32_u32_sdwa v20, v3 dst_sel:DWORD dst_unused:UNUSED_PAD src0_sel:WORD_0
	;;#ASMSTART
	v_pk_mul_f32 v[2:3], v[6:7], v[16:17]
	;;#ASMEND
	v_cvt_f32_u32_sdwa v17, v4 dst_sel:DWORD dst_unused:UNUSED_PAD src0_sel:WORD_1
	v_cvt_f32_u32_sdwa v16, v4 dst_sel:DWORD dst_unused:UNUSED_PAD src0_sel:WORD_0
	v_pk_add_f32 v[6:7], v[18:19], 1.0 op_sel_hi:[1,0]
	v_cvt_f32_u32_sdwa v19, v5 dst_sel:DWORD dst_unused:UNUSED_PAD src0_sel:WORD_1
	v_cvt_f32_u32_sdwa v18, v5 dst_sel:DWORD dst_unused:UNUSED_PAD src0_sel:WORD_0
	;;#ASMSTART
	v_pk_mul_f32 v[12:13], v[12:13], v[6:7]
	;;#ASMEND
	v_pk_add_f32 v[6:7], v[20:21], 1.0 op_sel_hi:[1,0]
	v_pk_add_f32 v[4:5], v[16:17], 1.0 op_sel_hi:[1,0]
	;;#ASMSTART
	v_pk_mul_f32 v[10:11], v[10:11], v[6:7]
	;;#ASMEND
	;;#ASMSTART
	v_pk_mul_f32 v[8:9], v[8:9], v[4:5]
	;;#ASMEND
	v_pk_add_f32 v[4:5], v[18:19], 1.0 op_sel_hi:[1,0]
	;;#ASMSTART
	v_pk_mul_f32 v[6:7], v[2:3], v[4:5]
	;;#ASMEND
.LBB354_7:
	s_or_b64 exec, exec, s[8:9]
	s_load_dword s7, s[4:5], 0x80
	s_mov_b64 s[8:9], -1
	s_and_b64 vcc, exec, s[14:15]
	s_cbranch_vccnz .LBB354_11
; %bb.8:
	s_andn2_b64 vcc, exec, s[8:9]
	s_cbranch_vccz .LBB354_14
.LBB354_9:
	s_cmp_lt_i32 s20, 1
	s_cbranch_scc0 .LBB354_21
.LBB354_10:
	s_endpgm
.LBB354_11:
	s_and_saveexec_b64 s[14:15], s[2:3]
	s_cbranch_execz .LBB354_13
; %bb.12:
	s_waitcnt lgkmcnt(0)
	s_mul_hi_i32 s9, s7, s6
	s_mul_i32 s8, s7, s6
	s_lshl_b64 s[8:9], s[8:9], 1
	s_add_u32 s8, s28, s8
	s_addc_u32 s9, s29, s9
	s_mov_b32 s16, 0x7060302
	s_and_b32 s9, s9, 0xffff
	s_mov_b32 s11, 0x20000
	s_waitcnt vmcnt(0)
	v_perm_b32 v2, v13, v12, s16
	v_perm_b32 v3, v11, v10, s16
	;; [unrolled: 1-line block ×4, first 2 shown]
	v_lshlrev_b32_e32 v15, 4, v0
	buffer_store_dwordx4 v[2:5], v15, s[8:11], 0 offen
	;;#ASMSTART
	s_nop 0
	;;#ASMEND
.LBB354_13:
	s_or_b64 exec, exec, s[14:15]
	s_cbranch_execnz .LBB354_9
.LBB354_14:
	s_waitcnt vmcnt(0)
	v_mov_b32_e32 v2, 0
	s_and_saveexec_b64 s[8:9], s[2:3]
	s_cbranch_execz .LBB354_16
; %bb.15:
	v_and_b32_e32 v2, 0x7fffffff, v12
	v_and_b32_e32 v3, 0x7fffffff, v13
	v_mov_b32_e32 v4, 0x2edbe6ff
	;;#ASMSTART
	v_max3_f32 v2, v4, v2, v3

	;;#ASMEND
	v_and_b32_e32 v3, 0x7fffffff, v10
	v_and_b32_e32 v4, 0x7fffffff, v11
	;;#ASMSTART
	v_max3_f32 v2, v2, v3, v4

	;;#ASMEND
	v_and_b32_e32 v3, 0x7fffffff, v8
	v_and_b32_e32 v4, 0x7fffffff, v9
	;; [unrolled: 6-line block ×3, first 2 shown]
	;;#ASMSTART
	v_max3_f32 v2, v2, v3, v4

	;;#ASMEND
.LBB354_16:
	s_or_b64 exec, exec, s[8:9]
	s_load_dwordx4 s[24:27], s[4:5], 0x70
	;;#ASMSTART
	v_max_f32 v3, v2, v2 quad_perm:[1,0,3,2] row_mask:0xf bank_mask:0xf bound_ctrl:1
	;;#ASMEND
	;;#ASMSTART
	v_max_f32 v2, v3, v3 quad_perm:[2,3,0,1] row_mask:0xf bank_mask:0xf bound_ctrl:1
	;;#ASMEND
	;;#ASMSTART
	v_max_f32 v3, v2, v2 row_half_mirror row_mask:0xf bank_mask:0xf bound_ctrl:1
	;;#ASMEND
	;;#ASMSTART
	v_max_f32 v2, v3, v3 row_mirror row_mask:0xf bank_mask:0xf bound_ctrl:1
	;;#ASMEND
	v_and_b32_e32 v3, 15, v0
	v_cmp_eq_u32_e32 vcc, 0, v3
	v_cmp_gt_i32_e64 s[8:9], s19, v1
	v_mul_f32_e32 v2, 0x3b124925, v2
	s_and_b64 s[10:11], vcc, s[8:9]
	s_and_saveexec_b64 s[8:9], s[10:11]
	s_cbranch_execz .LBB354_18
; %bb.17:
	s_load_dwordx2 s[10:11], s[4:5], 0x8
	s_waitcnt lgkmcnt(0)
	s_mul_hi_i32 s15, s25, s6
	s_mul_i32 s14, s25, s6
	v_lshrrev_b32_e32 v3, 4, v0
	s_lshl_b64 s[14:15], s[14:15], 2
	v_mad_i64_i32 v[4:5], s[26:27], s26, v3, 0
	s_add_u32 s10, s10, s14
	s_addc_u32 s11, s11, s15
	v_lshlrev_b64 v[4:5], 2, v[4:5]
	v_mov_b32_e32 v3, s11
	v_add_co_u32_e32 v4, vcc, s10, v4
	v_addc_co_u32_e32 v5, vcc, v3, v5, vcc
	global_store_dword v[4:5], v2, off
.LBB354_18:
	s_or_b64 exec, exec, s[8:9]
	;;#ASMSTART
	v_rcp_f32 v2, v2
	;;#ASMEND
	s_and_saveexec_b64 s[14:15], s[2:3]
	s_cbranch_execz .LBB354_20
; %bb.19:
	s_load_dwordx2 s[2:3], s[4:5], 0x0
	s_waitcnt lgkmcnt(0)
	s_mul_i32 s8, s24, s6
	s_mul_hi_i32 s9, s24, s6
	v_mov_b32_e32 v3, v2
	;;#ASMSTART
	v_pk_mul_f32 v[4:5], v[12:13], v[2:3]
	;;#ASMEND
	s_add_u32 s8, s2, s8
	s_addc_u32 s2, s3, s9
	s_add_i32 s3, s19, 3
	s_ashr_i32 s9, s3, 31
	v_mov_b32_e32 v12, 0xc3e00000
	v_mov_b32_e32 v13, 0x43e00000
	;;#ASMSTART
	v_med3_f32 v4, v4, v12, v13
v_med3_f32 v5, v5, v12, v13
v_cvt_pk_fp8_f32 v15, v4, v5
	;;#ASMEND
	s_lshr_b32 s9, s9, 30
	;;#ASMSTART
	v_pk_mul_f32 v[4:5], v[10:11], v[2:3]
	;;#ASMEND
	s_add_i32 s3, s3, s9
	s_and_b32 s9, s2, 0xffff
	;;#ASMSTART
	v_med3_f32 v4, v4, v12, v13
v_med3_f32 v5, v5, v12, v13
v_cvt_pk_fp8_f32 v10, v4, v5
	;;#ASMEND
	s_mov_b32 s2, 0x5040100
	v_perm_b32 v5, v10, v15, s2
	s_movk_i32 s2, 0xff
	v_and_b32_e32 v4, 0xffffff00, v10
	v_and_b32_sdwa v10, v5, s2 dst_sel:DWORD dst_unused:UNUSED_PAD src0_sel:WORD_1 src1_sel:DWORD
	s_mov_b32 s16, 0xffff
	v_or_b32_sdwa v4, v10, v4 dst_sel:WORD_1 dst_unused:UNUSED_PAD src0_sel:DWORD src1_sel:DWORD
	v_and_or_b32 v4, v5, s16, v4
	;;#ASMSTART
	v_pk_mul_f32 v[8:9], v[8:9], v[2:3]
	;;#ASMEND
	v_mov_b32_e32 v5, v8
	;;#ASMSTART
	v_med3_f32 v5, v5, v12, v13
v_med3_f32 v9, v9, v12, v13
v_cvt_pk_fp8_f32 v8, v5, v9
	;;#ASMEND
	;;#ASMSTART
	v_pk_mul_f32 v[2:3], v[6:7], v[2:3]
	;;#ASMEND
	;;#ASMSTART
	v_med3_f32 v2, v2, v12, v13
v_med3_f32 v3, v3, v12, v13
v_cvt_pk_fp8_f32 v5, v2, v3
	;;#ASMEND
	v_lshlrev_b32_e32 v2, 16, v5
	s_and_b32 s10, s3, -4
	s_mov_b32 s11, 0x20000
	v_and_or_b32 v5, v8, s16, v2
	buffer_store_dwordx2 v[4:5], v1, s[8:11], 0 offen
	;;#ASMSTART
	s_nop 0
	;;#ASMEND
.LBB354_20:
	s_or_b64 exec, exec, s[14:15]
	s_cmp_lt_i32 s20, 1
	s_cbranch_scc1 .LBB354_10
.LBB354_21:
	s_load_dword s2, s[4:5], 0x94
	s_waitcnt lgkmcnt(0)
	s_cmp_lg_u32 s2, 1
	s_cbranch_scc1 .LBB354_10
; %bb.22:
	s_lshl_b32 s2, s20, 1
	s_add_i32 s2, s2, 2
	v_cmp_gt_u32_e32 vcc, s20, v1
	s_and_b32 s14, s2, -4
	v_mov_b32_e32 v6, 0
	v_lshlrev_b32_e32 v1, 4, v0
	v_mov_b32_e32 v7, 0
	v_mov_b32_e32 v8, 0
	;; [unrolled: 1-line block ×3, first 2 shown]
	s_waitcnt vmcnt(0)
	v_mov_b32_e32 v2, 0
	v_mov_b32_e32 v3, 0
	;; [unrolled: 1-line block ×4, first 2 shown]
	s_barrier
	s_and_saveexec_b64 s[2:3], vcc
	s_cbranch_execz .LBB354_24
; %bb.23:
	s_mul_hi_i32 s5, s22, s6
	s_mul_i32 s4, s22, s6
	s_and_b32 s13, s13, 0xffff
	s_lshl_b64 s[4:5], s[4:5], 1
	s_add_u32 s8, s30, s4
	s_mov_b32 s15, 0x20000
	s_addc_u32 s4, s31, s5
	s_and_b32 s9, s4, 0xffff
	s_mov_b32 s10, s14
	s_mov_b32 s11, s15
	buffer_load_dwordx4 v[6:9], v1, s[8:11], 0 offen glc slc
	buffer_load_dwordx4 v[2:5], v1, s[12:15], 0 offen
.LBB354_24:
	s_or_b64 exec, exec, s[2:3]
	s_waitcnt vmcnt(1)
	v_cvt_f32_u32_sdwa v13, v6 dst_sel:DWORD dst_unused:UNUSED_PAD src0_sel:WORD_1
	v_cvt_f32_u32_sdwa v12, v6 dst_sel:DWORD dst_unused:UNUSED_PAD src0_sel:WORD_0
	v_cvt_f32_u32_sdwa v6, v9 dst_sel:DWORD dst_unused:UNUSED_PAD src0_sel:WORD_1
	v_cvt_f32_u32_sdwa v9, v9 dst_sel:DWORD dst_unused:UNUSED_PAD src0_sel:WORD_0
	;; [unrolled: 2-line block ×4, first 2 shown]
	v_cndmask_b32_e32 v13, 0, v13, vcc
	v_cndmask_b32_e32 v7, 0, v6, vcc
	;; [unrolled: 1-line block ×5, first 2 shown]
	v_mul_f32_e32 v15, v13, v13
	v_cndmask_b32_e32 v10, 0, v10, vcc
	v_fmac_f32_e32 v15, v12, v12
	v_cndmask_b32_e32 v11, 0, v11, vcc
	v_fmac_f32_e32 v15, v10, v10
	;; [unrolled: 2-line block ×3, first 2 shown]
	v_fmac_f32_e32 v15, v8, v8
	v_fmac_f32_e32 v15, v9, v9
	;; [unrolled: 1-line block ×4, first 2 shown]
	s_nop 1
	v_mov_b32_dpp v16, v15 quad_perm:[1,0,3,2] row_mask:0xf bank_mask:0xf
	v_add_f32_e32 v15, v15, v16
	s_nop 1
	v_mov_b32_dpp v16, v15 quad_perm:[2,3,0,1] row_mask:0xf bank_mask:0xf
	v_add_f32_e32 v15, v15, v16
	s_nop 1
	v_mov_b32_dpp v16, v15 row_half_mirror row_mask:0xf bank_mask:0xf
	v_add_f32_e32 v15, v15, v16
	s_nop 1
	v_mov_b32_dpp v16, v15 row_mirror row_mask:0xf bank_mask:0xf
	v_add_f32_e32 v15, v15, v16
	s_nop 1
	v_mov_b32_dpp v16, v15 row_bcast:15 row_mask:0xf bank_mask:0xf
	v_add_f32_e32 v15, v15, v16
	s_nop 1
	v_mov_b32_dpp v16, v15 row_bcast:31 row_mask:0xf bank_mask:0xf
	s_and_saveexec_b64 s[2:3], s[0:1]
	s_cbranch_execz .LBB354_26
; %bb.25:
	v_lshrrev_b32_e32 v0, 4, v0
	v_add_f32_e32 v15, v15, v16
	v_and_b32_e32 v0, 60, v0
	ds_write_b32 v0, v15
.LBB354_26:
	s_or_b64 exec, exec, s[2:3]
	s_waitcnt lgkmcnt(0)
	s_barrier
	ds_read_b32 v0, v14
	s_waitcnt lgkmcnt(0)
	s_nop 0
	v_mov_b32_dpp v14, v0 quad_perm:[1,0,3,2] row_mask:0xf bank_mask:0xf
	s_and_saveexec_b64 s[0:1], vcc
	s_cbranch_execz .LBB354_10
; %bb.27:
	v_cvt_f32_u32_e32 v15, s20
	v_add_f32_e32 v0, v0, v14
	s_mov_b32 s15, 0x20000
	v_div_scale_f32 v14, s[0:1], v15, v15, v0
	v_rcp_f32_e32 v16, v14
	v_div_scale_f32 v17, vcc, v0, v15, v0
	s_mov_b32 s0, 0x800000
	v_fma_f32 v18, -v14, v16, 1.0
	v_fmac_f32_e32 v16, v18, v16
	v_mul_f32_e32 v18, v17, v16
	v_fma_f32 v19, -v14, v18, v17
	v_fmac_f32_e32 v18, v19, v16
	v_fma_f32 v14, -v14, v18, v17
	v_div_fmas_f32 v14, v14, v16, v18
	v_div_fixup_f32 v0, v14, v15, v0
	v_add_f32_e32 v0, s17, v0
	v_mul_f32_e32 v14, 0x4b800000, v0
	v_cmp_gt_f32_e32 vcc, s0, v0
	v_cndmask_b32_e32 v0, v0, v14, vcc
	v_rsq_f32_e32 v0, v0
	s_waitcnt vmcnt(0)
	v_cvt_f32_u32_sdwa v17, v2 dst_sel:DWORD dst_unused:UNUSED_PAD src0_sel:WORD_1
	v_cvt_f32_u32_sdwa v16, v2 dst_sel:DWORD dst_unused:UNUSED_PAD src0_sel:WORD_0
	v_cvt_f32_u32_sdwa v19, v3 dst_sel:DWORD dst_unused:UNUSED_PAD src0_sel:WORD_1
	v_mul_f32_e32 v14, 0x45800000, v0
	v_cndmask_b32_e32 v14, v0, v14, vcc
	v_mov_b32_e32 v15, v14
	;;#ASMSTART
	v_pk_mul_f32 v[12:13], v[12:13], v[14:15]
	;;#ASMEND
	;;#ASMSTART
	v_pk_mul_f32 v[10:11], v[10:11], v[14:15]
	;;#ASMEND
	;; [unrolled: 3-line block ×3, first 2 shown]
	v_cvt_f32_u32_sdwa v18, v3 dst_sel:DWORD dst_unused:UNUSED_PAD src0_sel:WORD_0
	;;#ASMSTART
	v_pk_mul_f32 v[2:3], v[6:7], v[14:15]
	;;#ASMEND
	v_cvt_f32_u32_sdwa v15, v4 dst_sel:DWORD dst_unused:UNUSED_PAD src0_sel:WORD_1
	v_cvt_f32_u32_sdwa v14, v4 dst_sel:DWORD dst_unused:UNUSED_PAD src0_sel:WORD_0
	v_pk_add_f32 v[6:7], v[16:17], 1.0 op_sel_hi:[1,0]
	v_cvt_f32_u32_sdwa v17, v5 dst_sel:DWORD dst_unused:UNUSED_PAD src0_sel:WORD_1
	v_cvt_f32_u32_sdwa v16, v5 dst_sel:DWORD dst_unused:UNUSED_PAD src0_sel:WORD_0
	s_mul_hi_i32 s1, s7, s6
	s_mul_i32 s0, s7, s6
	s_lshl_b64 s[0:1], s[0:1], 1
	s_add_u32 s12, s28, s0
	;;#ASMSTART
	v_pk_mul_f32 v[6:7], v[12:13], v[6:7]
	;;#ASMEND
	v_pk_add_f32 v[12:13], v[18:19], 1.0 op_sel_hi:[1,0]
	;;#ASMSTART
	v_pk_mul_f32 v[4:5], v[10:11], v[12:13]
	;;#ASMEND
	v_pk_add_f32 v[10:11], v[14:15], 1.0 op_sel_hi:[1,0]
	s_addc_u32 s0, s29, s1
	;;#ASMSTART
	v_pk_mul_f32 v[8:9], v[8:9], v[10:11]
	;;#ASMEND
	v_pk_add_f32 v[10:11], v[16:17], 1.0 op_sel_hi:[1,0]
	s_and_b32 s13, s0, 0xffff
	s_mov_b32 s0, 0x7060302
	;;#ASMSTART
	v_pk_mul_f32 v[10:11], v[2:3], v[10:11]
	;;#ASMEND
	v_perm_b32 v2, v7, v6, s0
	v_perm_b32 v3, v5, v4, s0
	;; [unrolled: 1-line block ×4, first 2 shown]
	buffer_store_dwordx4 v[2:5], v1, s[12:15], 0 offen
	;;#ASMSTART
	s_nop 0
	;;#ASMEND
	s_endpgm
	.section	.rodata,"a",@progbits
	.p2align	6, 0x0
	.amdhsa_kernel _ZN5aiter35fused_qk_rmsnorm_group_quant_kernelItDB8_Li128ELi8ELi16ELb0ELb0ELb1ELb0ELb0ELb0EEEvPT0_PvPT_S6_S6_PKS5_S8_S8_S8_S8_ffiiiiiiiiiiiii
		.amdhsa_group_segment_fixed_size 16
		.amdhsa_private_segment_fixed_size 0
		.amdhsa_kernarg_size 400
		.amdhsa_user_sgpr_count 6
		.amdhsa_user_sgpr_private_segment_buffer 1
		.amdhsa_user_sgpr_dispatch_ptr 0
		.amdhsa_user_sgpr_queue_ptr 0
		.amdhsa_user_sgpr_kernarg_segment_ptr 1
		.amdhsa_user_sgpr_dispatch_id 0
		.amdhsa_user_sgpr_flat_scratch_init 0
		.amdhsa_user_sgpr_kernarg_preload_length 0
		.amdhsa_user_sgpr_kernarg_preload_offset 0
		.amdhsa_user_sgpr_private_segment_size 0
		.amdhsa_uses_dynamic_stack 0
		.amdhsa_system_sgpr_private_segment_wavefront_offset 0
		.amdhsa_system_sgpr_workgroup_id_x 1
		.amdhsa_system_sgpr_workgroup_id_y 1
		.amdhsa_system_sgpr_workgroup_id_z 0
		.amdhsa_system_sgpr_workgroup_info 0
		.amdhsa_system_vgpr_workitem_id 0
		.amdhsa_next_free_vgpr 23
		.amdhsa_next_free_sgpr 32
		.amdhsa_accum_offset 24
		.amdhsa_reserve_vcc 1
		.amdhsa_reserve_flat_scratch 0
		.amdhsa_float_round_mode_32 0
		.amdhsa_float_round_mode_16_64 0
		.amdhsa_float_denorm_mode_32 3
		.amdhsa_float_denorm_mode_16_64 3
		.amdhsa_dx10_clamp 1
		.amdhsa_ieee_mode 1
		.amdhsa_fp16_overflow 0
		.amdhsa_tg_split 0
		.amdhsa_exception_fp_ieee_invalid_op 0
		.amdhsa_exception_fp_denorm_src 0
		.amdhsa_exception_fp_ieee_div_zero 0
		.amdhsa_exception_fp_ieee_overflow 0
		.amdhsa_exception_fp_ieee_underflow 0
		.amdhsa_exception_fp_ieee_inexact 0
		.amdhsa_exception_int_div_zero 0
	.end_amdhsa_kernel
	.section	.text._ZN5aiter35fused_qk_rmsnorm_group_quant_kernelItDB8_Li128ELi8ELi16ELb0ELb0ELb1ELb0ELb0ELb0EEEvPT0_PvPT_S6_S6_PKS5_S8_S8_S8_S8_ffiiiiiiiiiiiii,"axG",@progbits,_ZN5aiter35fused_qk_rmsnorm_group_quant_kernelItDB8_Li128ELi8ELi16ELb0ELb0ELb1ELb0ELb0ELb0EEEvPT0_PvPT_S6_S6_PKS5_S8_S8_S8_S8_ffiiiiiiiiiiiii,comdat
.Lfunc_end354:
	.size	_ZN5aiter35fused_qk_rmsnorm_group_quant_kernelItDB8_Li128ELi8ELi16ELb0ELb0ELb1ELb0ELb0ELb0EEEvPT0_PvPT_S6_S6_PKS5_S8_S8_S8_S8_ffiiiiiiiiiiiii, .Lfunc_end354-_ZN5aiter35fused_qk_rmsnorm_group_quant_kernelItDB8_Li128ELi8ELi16ELb0ELb0ELb1ELb0ELb0ELb0EEEvPT0_PvPT_S6_S6_PKS5_S8_S8_S8_S8_ffiiiiiiiiiiiii
                                        ; -- End function
	.section	.AMDGPU.csdata,"",@progbits
; Kernel info:
; codeLenInByte = 2536
; NumSgprs: 36
; NumVgprs: 23
; NumAgprs: 0
; TotalNumVgprs: 23
; ScratchSize: 0
; MemoryBound: 0
; FloatMode: 240
; IeeeMode: 1
; LDSByteSize: 16 bytes/workgroup (compile time only)
; SGPRBlocks: 4
; VGPRBlocks: 2
; NumSGPRsForWavesPerEU: 36
; NumVGPRsForWavesPerEU: 23
; AccumOffset: 24
; Occupancy: 8
; WaveLimiterHint : 0
; COMPUTE_PGM_RSRC2:SCRATCH_EN: 0
; COMPUTE_PGM_RSRC2:USER_SGPR: 6
; COMPUTE_PGM_RSRC2:TRAP_HANDLER: 0
; COMPUTE_PGM_RSRC2:TGID_X_EN: 1
; COMPUTE_PGM_RSRC2:TGID_Y_EN: 1
; COMPUTE_PGM_RSRC2:TGID_Z_EN: 0
; COMPUTE_PGM_RSRC2:TIDIG_COMP_CNT: 0
; COMPUTE_PGM_RSRC3_GFX90A:ACCUM_OFFSET: 5
; COMPUTE_PGM_RSRC3_GFX90A:TG_SPLIT: 0
	.section	.text._ZN5aiter35fused_qk_rmsnorm_group_quant_kernelIDF16_N4opus5fp4_tELi128ELi8ELi16ELb0ELb0ELb1ELb0ELb0ELb0EEEvPT0_PvPT_S7_S7_PKS6_S9_S9_S9_S9_ffiiiiiiiiiiiii,"axG",@progbits,_ZN5aiter35fused_qk_rmsnorm_group_quant_kernelIDF16_N4opus5fp4_tELi128ELi8ELi16ELb0ELb0ELb1ELb0ELb0ELb0EEEvPT0_PvPT_S7_S7_PKS6_S9_S9_S9_S9_ffiiiiiiiiiiiii,comdat
	.protected	_ZN5aiter35fused_qk_rmsnorm_group_quant_kernelIDF16_N4opus5fp4_tELi128ELi8ELi16ELb0ELb0ELb1ELb0ELb0ELb0EEEvPT0_PvPT_S7_S7_PKS6_S9_S9_S9_S9_ffiiiiiiiiiiiii ; -- Begin function _ZN5aiter35fused_qk_rmsnorm_group_quant_kernelIDF16_N4opus5fp4_tELi128ELi8ELi16ELb0ELb0ELb1ELb0ELb0ELb0EEEvPT0_PvPT_S7_S7_PKS6_S9_S9_S9_S9_ffiiiiiiiiiiiii
	.globl	_ZN5aiter35fused_qk_rmsnorm_group_quant_kernelIDF16_N4opus5fp4_tELi128ELi8ELi16ELb0ELb0ELb1ELb0ELb0ELb0EEEvPT0_PvPT_S7_S7_PKS6_S9_S9_S9_S9_ffiiiiiiiiiiiii
	.p2align	8
	.type	_ZN5aiter35fused_qk_rmsnorm_group_quant_kernelIDF16_N4opus5fp4_tELi128ELi8ELi16ELb0ELb0ELb1ELb0ELb0ELb0EEEvPT0_PvPT_S7_S7_PKS6_S9_S9_S9_S9_ffiiiiiiiiiiiii,@function
_ZN5aiter35fused_qk_rmsnorm_group_quant_kernelIDF16_N4opus5fp4_tELi128ELi8ELi16ELb0ELb0ELb1ELb0ELb0ELb0EEEvPT0_PvPT_S7_S7_PKS6_S9_S9_S9_S9_ffiiiiiiiiiiiii: ; @_ZN5aiter35fused_qk_rmsnorm_group_quant_kernelIDF16_N4opus5fp4_tELi128ELi8ELi16ELb0ELb0ELb1ELb0ELb0ELb0EEEvPT0_PvPT_S7_S7_PKS6_S9_S9_S9_S9_ffiiiiiiiiiiiii
; %bb.0:
	s_load_dwordx4 s[16:19], s[4:5], 0x50
	s_waitcnt lgkmcnt(0)
	s_cmp_ge_i32 s6, s18
	s_cbranch_scc1 .LBB355_12
; %bb.1:
	s_load_dwordx2 s[12:13], s[4:5], 0x48
	s_load_dwordx2 s[30:31], s[4:5], 0x30
	s_load_dwordx4 s[20:23], s[4:5], 0x60
	s_cmp_lg_u32 s7, 0
	s_cselect_b64 s[14:15], -1, 0
	s_cmp_eq_u32 s7, 0
	s_cselect_b64 vcc, -1, 0
	s_and_b64 s[0:1], vcc, exec
	s_waitcnt lgkmcnt(0)
	s_cselect_b32 s7, s19, s20
	s_add_i32 s0, s7, 1
	s_lshr_b32 s1, s0, 31
	s_add_i32 s0, s0, s1
	s_lshl_b32 s0, s0, 1
	v_lshlrev_b32_e32 v1, 3, v0
	s_and_b32 s10, s0, -4
	v_cmp_gt_i32_e64 s[2:3], s7, v1
	v_mov_b32_e32 v10, 0
	v_mov_b32_e32 v2, 0
	;; [unrolled: 1-line block ×9, first 2 shown]
	s_and_saveexec_b64 s[0:1], s[2:3]
	s_cbranch_execz .LBB355_3
; %bb.2:
	s_load_dwordx2 s[8:9], s[4:5], 0x28
	s_load_dwordx2 s[26:27], s[4:5], 0x40
	s_and_b64 s[24:25], vcc, exec
	s_cselect_b32 s11, s21, s22
	v_lshlrev_b32_e32 v11, 4, v0
	s_waitcnt lgkmcnt(0)
	s_cselect_b32 s18, s9, s31
	s_cselect_b32 s21, s8, s30
	s_mul_hi_i32 s9, s11, s6
	s_mul_i32 s8, s11, s6
	s_lshl_b64 s[8:9], s[8:9], 1
	s_add_u32 s24, s21, s8
	s_addc_u32 s18, s18, s9
	s_and_b64 s[8:9], vcc, exec
	s_mov_b32 s11, 0x20000
	s_cselect_b32 s8, s26, s12
	s_cselect_b32 s9, s27, s13
	s_and_b32 s25, s18, 0xffff
	s_mov_b32 s26, s10
	s_mov_b32 s27, s11
	s_and_b32 s9, s9, 0xffff
	buffer_load_dwordx4 v[6:9], v11, s[24:27], 0 offen glc slc
	buffer_load_dwordx4 v[2:5], v11, s[8:11], 0 offen
.LBB355_3:
	s_or_b64 exec, exec, s[0:1]
	v_mov_b32_e32 v11, 0
	v_mov_b32_e32 v16, 0
	;; [unrolled: 1-line block ×7, first 2 shown]
	s_and_saveexec_b64 s[0:1], s[2:3]
	s_cbranch_execz .LBB355_5
; %bb.4:
	s_waitcnt vmcnt(1)
	v_cvt_f32_f16_sdwa v11, v6 dst_sel:DWORD dst_unused:UNUSED_PAD src0_sel:WORD_1
	v_cvt_f32_f16_e32 v10, v6
	v_cvt_f32_f16_sdwa v17, v7 dst_sel:DWORD dst_unused:UNUSED_PAD src0_sel:WORD_1
	v_cvt_f32_f16_e32 v16, v7
	v_cvt_f32_f16_sdwa v15, v8 dst_sel:DWORD dst_unused:UNUSED_PAD src0_sel:WORD_1
	v_cvt_f32_f16_e32 v14, v8
	v_cvt_f32_f16_sdwa v13, v9 dst_sel:DWORD dst_unused:UNUSED_PAD src0_sel:WORD_1
	v_cvt_f32_f16_e32 v12, v9
.LBB355_5:
	s_or_b64 exec, exec, s[0:1]
	s_waitcnt vmcnt(1)
	v_mul_f32_e32 v6, v11, v11
	v_fmac_f32_e32 v6, v10, v10
	v_fmac_f32_e32 v6, v16, v16
	;; [unrolled: 1-line block ×7, first 2 shown]
	v_and_b32_e32 v8, 63, v0
	v_cmp_eq_u32_e64 s[0:1], 63, v8
	v_mov_b32_dpp v7, v6 quad_perm:[1,0,3,2] row_mask:0xf bank_mask:0xf
	v_add_f32_e32 v6, v6, v7
	s_nop 1
	v_mov_b32_dpp v7, v6 quad_perm:[2,3,0,1] row_mask:0xf bank_mask:0xf
	v_add_f32_e32 v6, v6, v7
	s_nop 1
	v_mov_b32_dpp v7, v6 row_half_mirror row_mask:0xf bank_mask:0xf
	v_add_f32_e32 v6, v6, v7
	s_nop 1
	v_mov_b32_dpp v7, v6 row_mirror row_mask:0xf bank_mask:0xf
	v_add_f32_e32 v6, v6, v7
	s_nop 1
	v_mov_b32_dpp v7, v6 row_bcast:15 row_mask:0xf bank_mask:0xf
	v_add_f32_e32 v6, v6, v7
	s_nop 1
	v_mov_b32_dpp v7, v6 row_bcast:31 row_mask:0xf bank_mask:0xf
	s_and_saveexec_b64 s[8:9], s[0:1]
	s_cbranch_execz .LBB355_7
; %bb.6:
	v_add_f32_e32 v6, v6, v7
	v_lshrrev_b32_e32 v7, 4, v0
	v_and_b32_e32 v7, 60, v7
	ds_write_b32 v7, v6 offset:8
.LBB355_7:
	s_or_b64 exec, exec, s[8:9]
	v_and_b32_e32 v6, 1, v0
	v_lshlrev_b32_e32 v18, 2, v6
	s_waitcnt lgkmcnt(0)
	s_barrier
	ds_read_b32 v6, v18 offset:8
	s_load_dwordx2 s[28:29], s[4:5], 0x18
	s_waitcnt lgkmcnt(0)
	v_mov_b32_dpp v7, v6 quad_perm:[1,0,3,2] row_mask:0xf bank_mask:0xf
	s_and_saveexec_b64 s[8:9], s[2:3]
	s_cbranch_execz .LBB355_9
; %bb.8:
	v_cvt_f32_u32_e32 v8, s7
	v_add_f32_e32 v6, v6, v7
	v_mov_b32_e32 v19, s17
	v_mov_b32_e32 v20, s16
	v_div_scale_f32 v7, s[24:25], v8, v8, v6
	v_rcp_f32_e32 v9, v7
	v_cndmask_b32_e32 v19, v19, v20, vcc
	s_mov_b32 s7, 0x800000
	v_fma_f32 v20, -v7, v9, 1.0
	v_fmac_f32_e32 v9, v20, v9
	v_div_scale_f32 v20, vcc, v6, v8, v6
	v_mul_f32_e32 v21, v20, v9
	v_fma_f32 v22, -v7, v21, v20
	v_fmac_f32_e32 v21, v22, v9
	v_fma_f32 v7, -v7, v21, v20
	v_div_fmas_f32 v7, v7, v9, v21
	v_div_fixup_f32 v6, v7, v8, v6
	v_add_f32_e32 v6, v19, v6
	v_mul_f32_e32 v7, 0x4b800000, v6
	v_cmp_gt_f32_e32 vcc, s7, v6
	v_cndmask_b32_e32 v6, v6, v7, vcc
	v_rsq_f32_e32 v6, v6
	s_waitcnt vmcnt(0)
	v_cvt_f32_f16_sdwa v21, v3 dst_sel:DWORD dst_unused:UNUSED_PAD src0_sel:WORD_1
	v_cvt_f32_f16_e32 v20, v3
	v_mul_f32_e32 v7, 0x45800000, v6
	v_cndmask_b32_e32 v6, v6, v7, vcc
	v_mov_b32_e32 v7, v6
	;;#ASMSTART
	v_pk_mul_f32 v[8:9], v[10:11], v[6:7]
	;;#ASMEND
	v_cvt_f32_f16_sdwa v11, v2 dst_sel:DWORD dst_unused:UNUSED_PAD src0_sel:WORD_1
	v_cvt_f32_f16_e32 v10, v2
	;;#ASMSTART
	v_pk_mul_f32 v[16:17], v[16:17], v[6:7]
	;;#ASMEND
	;;#ASMSTART
	v_pk_mul_f32 v[14:15], v[14:15], v[6:7]
	;;#ASMEND
	;; [unrolled: 3-line block ×3, first 2 shown]
	v_pk_add_f32 v[6:7], v[10:11], 1.0 op_sel_hi:[1,0]
	;;#ASMSTART
	v_pk_mul_f32 v[10:11], v[8:9], v[6:7]
	;;#ASMEND
	v_cvt_f32_f16_sdwa v9, v4 dst_sel:DWORD dst_unused:UNUSED_PAD src0_sel:WORD_1
	v_cvt_f32_f16_e32 v8, v4
	v_cvt_f32_f16_sdwa v13, v5 dst_sel:DWORD dst_unused:UNUSED_PAD src0_sel:WORD_1
	v_cvt_f32_f16_e32 v12, v5
	v_pk_add_f32 v[6:7], v[20:21], 1.0 op_sel_hi:[1,0]
	v_pk_add_f32 v[4:5], v[8:9], 1.0 op_sel_hi:[1,0]
	;;#ASMSTART
	v_pk_mul_f32 v[16:17], v[16:17], v[6:7]
	;;#ASMEND
	;;#ASMSTART
	v_pk_mul_f32 v[14:15], v[14:15], v[4:5]
	;;#ASMEND
	v_pk_add_f32 v[4:5], v[12:13], 1.0 op_sel_hi:[1,0]
	;;#ASMSTART
	v_pk_mul_f32 v[12:13], v[2:3], v[4:5]
	;;#ASMEND
.LBB355_9:
	s_or_b64 exec, exec, s[8:9]
	s_load_dword s7, s[4:5], 0x80
	s_mov_b64 s[8:9], -1
	s_and_b64 vcc, exec, s[14:15]
	s_cbranch_vccnz .LBB355_13
; %bb.10:
	s_andn2_b64 vcc, exec, s[8:9]
	s_cbranch_vccz .LBB355_16
.LBB355_11:
	s_cmp_lt_i32 s20, 1
	s_cbranch_scc0 .LBB355_23
.LBB355_12:
	s_endpgm
.LBB355_13:
	s_and_saveexec_b64 s[14:15], s[2:3]
	s_cbranch_execz .LBB355_15
; %bb.14:
	s_waitcnt lgkmcnt(0)
	s_mul_hi_i32 s9, s7, s6
	s_mul_i32 s8, s7, s6
	s_waitcnt vmcnt(0)
	v_cvt_f16_f32_e32 v2, v10
	v_cvt_f16_f32_e32 v3, v16
	;; [unrolled: 1-line block ×8, first 2 shown]
	s_lshl_b64 s[8:9], s[8:9], 1
	s_add_u32 s8, s28, s8
	s_addc_u32 s9, s29, s9
	s_and_b32 s9, s9, 0xffff
	s_mov_b32 s11, 0x20000
	v_pack_b32_f16 v5, v5, v6
	v_pack_b32_f16 v4, v4, v7
	v_pack_b32_f16 v3, v3, v8
	v_pack_b32_f16 v2, v2, v9
	v_lshlrev_b32_e32 v6, 4, v0
	buffer_store_dwordx4 v[2:5], v6, s[8:11], 0 offen
	;;#ASMSTART
	s_nop 0
	;;#ASMEND
.LBB355_15:
	s_or_b64 exec, exec, s[14:15]
	s_cbranch_execnz .LBB355_11
.LBB355_16:
	s_waitcnt vmcnt(0)
	v_mov_b32_e32 v2, 0
	s_and_saveexec_b64 s[8:9], s[2:3]
	s_cbranch_execz .LBB355_18
; %bb.17:
	v_and_b32_e32 v2, 0x7fffffff, v10
	v_and_b32_e32 v3, 0x7fffffff, v11
	v_mov_b32_e32 v4, 0x2edbe6ff
	;;#ASMSTART
	v_max3_f32 v2, v4, v2, v3

	;;#ASMEND
	v_and_b32_e32 v3, 0x7fffffff, v16
	v_and_b32_e32 v4, 0x7fffffff, v17
	;;#ASMSTART
	v_max3_f32 v2, v2, v3, v4

	;;#ASMEND
	v_and_b32_e32 v3, 0x7fffffff, v14
	v_and_b32_e32 v4, 0x7fffffff, v15
	;; [unrolled: 6-line block ×3, first 2 shown]
	;;#ASMSTART
	v_max3_f32 v2, v2, v3, v4

	;;#ASMEND
.LBB355_18:
	s_or_b64 exec, exec, s[8:9]
	s_load_dwordx4 s[24:27], s[4:5], 0x70
	;;#ASMSTART
	v_max_f32 v3, v2, v2 quad_perm:[1,0,3,2] row_mask:0xf bank_mask:0xf bound_ctrl:1
	;;#ASMEND
	;;#ASMSTART
	v_max_f32 v2, v3, v3 quad_perm:[2,3,0,1] row_mask:0xf bank_mask:0xf bound_ctrl:1
	;;#ASMEND
	;;#ASMSTART
	v_max_f32 v3, v2, v2 row_half_mirror row_mask:0xf bank_mask:0xf bound_ctrl:1
	;;#ASMEND
	;;#ASMSTART
	v_max_f32 v2, v3, v3 row_mirror row_mask:0xf bank_mask:0xf bound_ctrl:1
	;;#ASMEND
	v_and_b32_e32 v3, 15, v0
	v_cmp_eq_u32_e32 vcc, 0, v3
	v_cmp_gt_i32_e64 s[8:9], s19, v1
	s_and_b64 s[10:11], vcc, s[8:9]
	s_and_saveexec_b64 s[8:9], s[10:11]
	s_cbranch_execz .LBB355_20
; %bb.19:
	s_load_dwordx2 s[10:11], s[4:5], 0x8
	v_mul_f32_e32 v2, 0x3e2aaaab, v2
	v_lshrrev_b32_e32 v3, 23, v2
	v_and_b32_e32 v4, 0x7f800000, v2
	v_and_b32_e32 v2, 0x7fffff, v2
	v_cmp_ne_u32_e32 vcc, 0, v2
	s_waitcnt lgkmcnt(0)
	s_mul_i32 s16, s25, s6
	s_mov_b32 s14, 0x7f800000
	v_addc_co_u32_e32 v2, vcc, 0, v3, vcc
	s_mul_hi_i32 s15, s25, s6
	s_add_u32 s10, s10, s16
	v_cmp_ne_u32_e32 vcc, s14, v4
	s_addc_u32 s11, s11, s15
	v_lshrrev_b32_e32 v5, 4, v0
	v_cndmask_b32_e32 v4, -1, v2, vcc
	v_pk_mov_b32 v[2:3], s[10:11], s[10:11] op_sel:[0,1]
	v_mad_i64_i32 v[2:3], s[10:11], s26, v5, v[2:3]
	global_store_byte v[2:3], v4, off
.LBB355_20:
	s_or_b64 exec, exec, s[8:9]
	s_and_saveexec_b64 s[8:9], s[2:3]
	s_cbranch_execz .LBB355_22
; %bb.21:
	s_load_dwordx2 s[2:3], s[4:5], 0x0
	s_waitcnt lgkmcnt(0)
	s_mul_i32 s11, s24, s6
	s_mul_hi_i32 s10, s24, s6
	v_lshlrev_b32_e32 v2, 2, v0
	s_mov_b32 s27, 0x20000
	s_add_u32 s24, s2, s11
	s_addc_u32 s2, s3, s10
	s_lshr_b32 s3, s19, 31
	s_add_i32 s3, s19, s3
	s_ashr_i32 s3, s3, 1
	s_add_i32 s3, s3, 3
	s_ashr_i32 s10, s3, 31
	s_lshr_b32 s10, s10, 30
	s_add_i32 s3, s3, s10
	s_and_b32 s26, s3, -4
	s_and_b32 s25, s2, 0xffff
	v_mov_b32_e32 v3, 0
	buffer_store_dword v3, v2, s[24:27], 0 offen
	;;#ASMSTART
	s_nop 0
	;;#ASMEND
.LBB355_22:
	s_or_b64 exec, exec, s[8:9]
	s_cmp_lt_i32 s20, 1
	s_cbranch_scc1 .LBB355_12
.LBB355_23:
	s_load_dword s2, s[4:5], 0x94
	s_waitcnt lgkmcnt(0)
	s_cmp_lg_u32 s2, 1
	s_cbranch_scc1 .LBB355_12
; %bb.24:
	s_lshl_b32 s2, s20, 1
	s_add_i32 s2, s2, 2
	v_cmp_gt_u32_e32 vcc, s20, v1
	s_and_b32 s14, s2, -4
	v_mov_b32_e32 v10, 0
	v_lshlrev_b32_e32 v1, 4, v0
	v_mov_b32_e32 v6, 0
	v_mov_b32_e32 v7, 0
	v_mov_b32_e32 v8, 0
	v_mov_b32_e32 v9, 0
	s_waitcnt vmcnt(0)
	v_mov_b32_e32 v2, 0
	v_mov_b32_e32 v3, 0
	;; [unrolled: 1-line block ×4, first 2 shown]
	s_barrier
	s_and_saveexec_b64 s[2:3], vcc
	s_cbranch_execz .LBB355_26
; %bb.25:
	s_mul_hi_i32 s5, s22, s6
	s_mul_i32 s4, s22, s6
	s_and_b32 s13, s13, 0xffff
	s_lshl_b64 s[4:5], s[4:5], 1
	s_add_u32 s8, s30, s4
	s_mov_b32 s15, 0x20000
	s_addc_u32 s4, s31, s5
	s_and_b32 s9, s4, 0xffff
	s_mov_b32 s10, s14
	s_mov_b32 s11, s15
	buffer_load_dwordx4 v[6:9], v1, s[8:11], 0 offen glc slc
	buffer_load_dwordx4 v[2:5], v1, s[12:15], 0 offen
.LBB355_26:
	s_or_b64 exec, exec, s[2:3]
	v_mov_b32_e32 v11, 0
	v_mov_b32_e32 v16, 0
	;; [unrolled: 1-line block ×7, first 2 shown]
	s_and_saveexec_b64 s[2:3], vcc
	s_cbranch_execz .LBB355_28
; %bb.27:
	s_waitcnt vmcnt(1)
	v_cvt_f32_f16_sdwa v11, v6 dst_sel:DWORD dst_unused:UNUSED_PAD src0_sel:WORD_1
	v_cvt_f32_f16_e32 v10, v6
	v_cvt_f32_f16_sdwa v17, v7 dst_sel:DWORD dst_unused:UNUSED_PAD src0_sel:WORD_1
	v_cvt_f32_f16_e32 v16, v7
	;; [unrolled: 2-line block ×4, first 2 shown]
.LBB355_28:
	s_or_b64 exec, exec, s[2:3]
	s_waitcnt vmcnt(1)
	v_mul_f32_e32 v6, v11, v11
	v_fmac_f32_e32 v6, v10, v10
	v_fmac_f32_e32 v6, v16, v16
	v_fmac_f32_e32 v6, v17, v17
	v_fmac_f32_e32 v6, v14, v14
	v_fmac_f32_e32 v6, v15, v15
	v_fmac_f32_e32 v6, v12, v12
	v_fmac_f32_e32 v6, v13, v13
	s_nop 1
	v_mov_b32_dpp v7, v6 quad_perm:[1,0,3,2] row_mask:0xf bank_mask:0xf
	v_add_f32_e32 v6, v6, v7
	s_nop 1
	v_mov_b32_dpp v7, v6 quad_perm:[2,3,0,1] row_mask:0xf bank_mask:0xf
	v_add_f32_e32 v6, v6, v7
	s_nop 1
	v_mov_b32_dpp v7, v6 row_half_mirror row_mask:0xf bank_mask:0xf
	v_add_f32_e32 v6, v6, v7
	s_nop 1
	v_mov_b32_dpp v7, v6 row_mirror row_mask:0xf bank_mask:0xf
	v_add_f32_e32 v6, v6, v7
	s_nop 1
	v_mov_b32_dpp v7, v6 row_bcast:15 row_mask:0xf bank_mask:0xf
	v_add_f32_e32 v6, v6, v7
	s_nop 1
	v_mov_b32_dpp v7, v6 row_bcast:31 row_mask:0xf bank_mask:0xf
	s_and_saveexec_b64 s[2:3], s[0:1]
	s_cbranch_execz .LBB355_30
; %bb.29:
	v_lshrrev_b32_e32 v0, 4, v0
	v_add_f32_e32 v6, v6, v7
	v_and_b32_e32 v0, 60, v0
	ds_write_b32 v0, v6
.LBB355_30:
	s_or_b64 exec, exec, s[2:3]
	s_waitcnt lgkmcnt(0)
	s_barrier
	ds_read_b32 v0, v18
	s_waitcnt lgkmcnt(0)
	s_nop 0
	v_mov_b32_dpp v6, v0 quad_perm:[1,0,3,2] row_mask:0xf bank_mask:0xf
	s_and_saveexec_b64 s[0:1], vcc
	s_cbranch_execz .LBB355_12
; %bb.31:
	v_cvt_f32_u32_e32 v7, s20
	v_add_f32_e32 v0, v0, v6
	s_mov_b32 s15, 0x20000
	v_div_scale_f32 v6, s[0:1], v7, v7, v0
	v_rcp_f32_e32 v8, v6
	v_div_scale_f32 v9, vcc, v0, v7, v0
	s_mov_b32 s0, 0x800000
	v_fma_f32 v18, -v6, v8, 1.0
	v_fmac_f32_e32 v8, v18, v8
	v_mul_f32_e32 v18, v9, v8
	v_fma_f32 v19, -v6, v18, v9
	v_fmac_f32_e32 v18, v19, v8
	v_fma_f32 v6, -v6, v18, v9
	v_div_fmas_f32 v6, v6, v8, v18
	v_div_fixup_f32 v0, v6, v7, v0
	v_add_f32_e32 v0, s17, v0
	v_mul_f32_e32 v6, 0x4b800000, v0
	v_cmp_gt_f32_e32 vcc, s0, v0
	v_cndmask_b32_e32 v0, v0, v6, vcc
	v_rsq_f32_e32 v0, v0
	s_waitcnt vmcnt(0)
	v_cvt_f32_f16_sdwa v19, v3 dst_sel:DWORD dst_unused:UNUSED_PAD src0_sel:WORD_1
	v_cvt_f32_f16_e32 v18, v3
	s_mul_hi_i32 s1, s7, s6
	v_mul_f32_e32 v6, 0x45800000, v0
	v_cndmask_b32_e32 v6, v0, v6, vcc
	v_mov_b32_e32 v7, v6
	;;#ASMSTART
	v_pk_mul_f32 v[8:9], v[10:11], v[6:7]
	;;#ASMEND
	;;#ASMSTART
	v_pk_mul_f32 v[10:11], v[16:17], v[6:7]
	;;#ASMEND
	v_cvt_f32_f16_sdwa v17, v2 dst_sel:DWORD dst_unused:UNUSED_PAD src0_sel:WORD_1
	v_cvt_f32_f16_e32 v16, v2
	;;#ASMSTART
	v_pk_mul_f32 v[14:15], v[14:15], v[6:7]
	;;#ASMEND
	;;#ASMSTART
	v_pk_mul_f32 v[2:3], v[12:13], v[6:7]
	;;#ASMEND
	v_cvt_f32_f16_sdwa v13, v4 dst_sel:DWORD dst_unused:UNUSED_PAD src0_sel:WORD_1
	v_cvt_f32_f16_e32 v12, v4
	v_pk_add_f32 v[6:7], v[16:17], 1.0 op_sel_hi:[1,0]
	v_cvt_f32_f16_sdwa v17, v5 dst_sel:DWORD dst_unused:UNUSED_PAD src0_sel:WORD_1
	v_cvt_f32_f16_e32 v16, v5
	;;#ASMSTART
	v_pk_mul_f32 v[6:7], v[8:9], v[6:7]
	;;#ASMEND
	v_pk_add_f32 v[8:9], v[18:19], 1.0 op_sel_hi:[1,0]
	;;#ASMSTART
	v_pk_mul_f32 v[4:5], v[10:11], v[8:9]
	;;#ASMEND
	v_pk_add_f32 v[8:9], v[12:13], 1.0 op_sel_hi:[1,0]
	;; [unrolled: 4-line block ×3, first 2 shown]
	;;#ASMSTART
	v_pk_mul_f32 v[2:3], v[2:3], v[10:11]
	;;#ASMEND
	s_mul_i32 s0, s7, s6
	v_cvt_f16_f32_e32 v0, v6
	v_cvt_f16_f32_e32 v6, v7
	;; [unrolled: 1-line block ×8, first 2 shown]
	s_lshl_b64 s[0:1], s[0:1], 1
	s_add_u32 s12, s28, s0
	s_addc_u32 s0, s29, s1
	s_and_b32 s13, s0, 0xffff
	v_pack_b32_f16 v2, v0, v6
	v_pack_b32_f16 v3, v4, v5
	;; [unrolled: 1-line block ×4, first 2 shown]
	buffer_store_dwordx4 v[2:5], v1, s[12:15], 0 offen
	;;#ASMSTART
	s_nop 0
	;;#ASMEND
	s_endpgm
	.section	.rodata,"a",@progbits
	.p2align	6, 0x0
	.amdhsa_kernel _ZN5aiter35fused_qk_rmsnorm_group_quant_kernelIDF16_N4opus5fp4_tELi128ELi8ELi16ELb0ELb0ELb1ELb0ELb0ELb0EEEvPT0_PvPT_S7_S7_PKS6_S9_S9_S9_S9_ffiiiiiiiiiiiii
		.amdhsa_group_segment_fixed_size 16
		.amdhsa_private_segment_fixed_size 0
		.amdhsa_kernarg_size 400
		.amdhsa_user_sgpr_count 6
		.amdhsa_user_sgpr_private_segment_buffer 1
		.amdhsa_user_sgpr_dispatch_ptr 0
		.amdhsa_user_sgpr_queue_ptr 0
		.amdhsa_user_sgpr_kernarg_segment_ptr 1
		.amdhsa_user_sgpr_dispatch_id 0
		.amdhsa_user_sgpr_flat_scratch_init 0
		.amdhsa_user_sgpr_kernarg_preload_length 0
		.amdhsa_user_sgpr_kernarg_preload_offset 0
		.amdhsa_user_sgpr_private_segment_size 0
		.amdhsa_uses_dynamic_stack 0
		.amdhsa_system_sgpr_private_segment_wavefront_offset 0
		.amdhsa_system_sgpr_workgroup_id_x 1
		.amdhsa_system_sgpr_workgroup_id_y 1
		.amdhsa_system_sgpr_workgroup_id_z 0
		.amdhsa_system_sgpr_workgroup_info 0
		.amdhsa_system_vgpr_workitem_id 0
		.amdhsa_next_free_vgpr 23
		.amdhsa_next_free_sgpr 32
		.amdhsa_accum_offset 24
		.amdhsa_reserve_vcc 1
		.amdhsa_reserve_flat_scratch 0
		.amdhsa_float_round_mode_32 0
		.amdhsa_float_round_mode_16_64 0
		.amdhsa_float_denorm_mode_32 3
		.amdhsa_float_denorm_mode_16_64 3
		.amdhsa_dx10_clamp 1
		.amdhsa_ieee_mode 1
		.amdhsa_fp16_overflow 0
		.amdhsa_tg_split 0
		.amdhsa_exception_fp_ieee_invalid_op 0
		.amdhsa_exception_fp_denorm_src 0
		.amdhsa_exception_fp_ieee_div_zero 0
		.amdhsa_exception_fp_ieee_overflow 0
		.amdhsa_exception_fp_ieee_underflow 0
		.amdhsa_exception_fp_ieee_inexact 0
		.amdhsa_exception_int_div_zero 0
	.end_amdhsa_kernel
	.section	.text._ZN5aiter35fused_qk_rmsnorm_group_quant_kernelIDF16_N4opus5fp4_tELi128ELi8ELi16ELb0ELb0ELb1ELb0ELb0ELb0EEEvPT0_PvPT_S7_S7_PKS6_S9_S9_S9_S9_ffiiiiiiiiiiiii,"axG",@progbits,_ZN5aiter35fused_qk_rmsnorm_group_quant_kernelIDF16_N4opus5fp4_tELi128ELi8ELi16ELb0ELb0ELb1ELb0ELb0ELb0EEEvPT0_PvPT_S7_S7_PKS6_S9_S9_S9_S9_ffiiiiiiiiiiiii,comdat
.Lfunc_end355:
	.size	_ZN5aiter35fused_qk_rmsnorm_group_quant_kernelIDF16_N4opus5fp4_tELi128ELi8ELi16ELb0ELb0ELb1ELb0ELb0ELb0EEEvPT0_PvPT_S7_S7_PKS6_S9_S9_S9_S9_ffiiiiiiiiiiiii, .Lfunc_end355-_ZN5aiter35fused_qk_rmsnorm_group_quant_kernelIDF16_N4opus5fp4_tELi128ELi8ELi16ELb0ELb0ELb1ELb0ELb0ELb0EEEvPT0_PvPT_S7_S7_PKS6_S9_S9_S9_S9_ffiiiiiiiiiiiii
                                        ; -- End function
	.section	.AMDGPU.csdata,"",@progbits
; Kernel info:
; codeLenInByte = 2336
; NumSgprs: 36
; NumVgprs: 23
; NumAgprs: 0
; TotalNumVgprs: 23
; ScratchSize: 0
; MemoryBound: 0
; FloatMode: 240
; IeeeMode: 1
; LDSByteSize: 16 bytes/workgroup (compile time only)
; SGPRBlocks: 4
; VGPRBlocks: 2
; NumSGPRsForWavesPerEU: 36
; NumVGPRsForWavesPerEU: 23
; AccumOffset: 24
; Occupancy: 8
; WaveLimiterHint : 0
; COMPUTE_PGM_RSRC2:SCRATCH_EN: 0
; COMPUTE_PGM_RSRC2:USER_SGPR: 6
; COMPUTE_PGM_RSRC2:TRAP_HANDLER: 0
; COMPUTE_PGM_RSRC2:TGID_X_EN: 1
; COMPUTE_PGM_RSRC2:TGID_Y_EN: 1
; COMPUTE_PGM_RSRC2:TGID_Z_EN: 0
; COMPUTE_PGM_RSRC2:TIDIG_COMP_CNT: 0
; COMPUTE_PGM_RSRC3_GFX90A:ACCUM_OFFSET: 5
; COMPUTE_PGM_RSRC3_GFX90A:TG_SPLIT: 0
	.section	.text._ZN5aiter35fused_qk_rmsnorm_group_quant_kernelItN4opus5fp4_tELi128ELi8ELi16ELb0ELb0ELb1ELb0ELb0ELb0EEEvPT0_PvPT_S7_S7_PKS6_S9_S9_S9_S9_ffiiiiiiiiiiiii,"axG",@progbits,_ZN5aiter35fused_qk_rmsnorm_group_quant_kernelItN4opus5fp4_tELi128ELi8ELi16ELb0ELb0ELb1ELb0ELb0ELb0EEEvPT0_PvPT_S7_S7_PKS6_S9_S9_S9_S9_ffiiiiiiiiiiiii,comdat
	.protected	_ZN5aiter35fused_qk_rmsnorm_group_quant_kernelItN4opus5fp4_tELi128ELi8ELi16ELb0ELb0ELb1ELb0ELb0ELb0EEEvPT0_PvPT_S7_S7_PKS6_S9_S9_S9_S9_ffiiiiiiiiiiiii ; -- Begin function _ZN5aiter35fused_qk_rmsnorm_group_quant_kernelItN4opus5fp4_tELi128ELi8ELi16ELb0ELb0ELb1ELb0ELb0ELb0EEEvPT0_PvPT_S7_S7_PKS6_S9_S9_S9_S9_ffiiiiiiiiiiiii
	.globl	_ZN5aiter35fused_qk_rmsnorm_group_quant_kernelItN4opus5fp4_tELi128ELi8ELi16ELb0ELb0ELb1ELb0ELb0ELb0EEEvPT0_PvPT_S7_S7_PKS6_S9_S9_S9_S9_ffiiiiiiiiiiiii
	.p2align	8
	.type	_ZN5aiter35fused_qk_rmsnorm_group_quant_kernelItN4opus5fp4_tELi128ELi8ELi16ELb0ELb0ELb1ELb0ELb0ELb0EEEvPT0_PvPT_S7_S7_PKS6_S9_S9_S9_S9_ffiiiiiiiiiiiii,@function
_ZN5aiter35fused_qk_rmsnorm_group_quant_kernelItN4opus5fp4_tELi128ELi8ELi16ELb0ELb0ELb1ELb0ELb0ELb0EEEvPT0_PvPT_S7_S7_PKS6_S9_S9_S9_S9_ffiiiiiiiiiiiii: ; @_ZN5aiter35fused_qk_rmsnorm_group_quant_kernelItN4opus5fp4_tELi128ELi8ELi16ELb0ELb0ELb1ELb0ELb0ELb0EEEvPT0_PvPT_S7_S7_PKS6_S9_S9_S9_S9_ffiiiiiiiiiiiii
; %bb.0:
	s_load_dwordx4 s[16:19], s[4:5], 0x50
	s_waitcnt lgkmcnt(0)
	s_cmp_ge_i32 s6, s18
	s_cbranch_scc1 .LBB356_10
; %bb.1:
	s_load_dwordx2 s[12:13], s[4:5], 0x48
	s_load_dwordx2 s[30:31], s[4:5], 0x30
	s_load_dwordx4 s[20:23], s[4:5], 0x60
	s_cmp_lg_u32 s7, 0
	s_cselect_b64 s[14:15], -1, 0
	s_cmp_eq_u32 s7, 0
	s_cselect_b64 vcc, -1, 0
	s_and_b64 s[0:1], vcc, exec
	s_waitcnt lgkmcnt(0)
	s_cselect_b32 s7, s19, s20
	s_add_i32 s0, s7, 1
	s_lshr_b32 s1, s0, 31
	s_add_i32 s0, s0, s1
	s_lshl_b32 s0, s0, 1
	v_lshlrev_b32_e32 v1, 3, v0
	s_and_b32 s10, s0, -4
	v_cmp_gt_i32_e64 s[2:3], s7, v1
	v_mov_b32_e32 v2, 0
	v_mov_b32_e32 v3, 0
	;; [unrolled: 1-line block ×8, first 2 shown]
	s_and_saveexec_b64 s[0:1], s[2:3]
	s_cbranch_execz .LBB356_3
; %bb.2:
	s_load_dwordx2 s[8:9], s[4:5], 0x28
	s_load_dwordx2 s[26:27], s[4:5], 0x40
	s_and_b64 s[24:25], vcc, exec
	s_cselect_b32 s11, s21, s22
	v_lshlrev_b32_e32 v10, 4, v0
	s_waitcnt lgkmcnt(0)
	s_cselect_b32 s18, s9, s31
	s_cselect_b32 s21, s8, s30
	s_mul_hi_i32 s9, s11, s6
	s_mul_i32 s8, s11, s6
	s_lshl_b64 s[8:9], s[8:9], 1
	s_add_u32 s24, s21, s8
	s_addc_u32 s18, s18, s9
	s_and_b64 s[8:9], vcc, exec
	s_mov_b32 s11, 0x20000
	s_cselect_b32 s8, s26, s12
	s_cselect_b32 s9, s27, s13
	s_and_b32 s25, s18, 0xffff
	s_mov_b32 s26, s10
	s_mov_b32 s27, s11
	s_and_b32 s9, s9, 0xffff
	buffer_load_dwordx4 v[6:9], v10, s[24:27], 0 offen glc slc
	buffer_load_dwordx4 v[2:5], v10, s[8:11], 0 offen
.LBB356_3:
	s_or_b64 exec, exec, s[0:1]
	s_waitcnt vmcnt(1)
	v_cvt_f32_u32_sdwa v11, v6 dst_sel:DWORD dst_unused:UNUSED_PAD src0_sel:WORD_1
	v_cvt_f32_u32_sdwa v10, v6 dst_sel:DWORD dst_unused:UNUSED_PAD src0_sel:WORD_0
	v_cvt_f32_u32_sdwa v6, v9 dst_sel:DWORD dst_unused:UNUSED_PAD src0_sel:WORD_1
	v_cvt_f32_u32_sdwa v9, v9 dst_sel:DWORD dst_unused:UNUSED_PAD src0_sel:WORD_0
	;; [unrolled: 2-line block ×4, first 2 shown]
	v_cndmask_b32_e64 v11, 0, v11, s[2:3]
	v_cndmask_b32_e64 v7, 0, v6, s[2:3]
	;; [unrolled: 1-line block ×5, first 2 shown]
	v_mul_f32_e32 v14, v11, v11
	v_cndmask_b32_e64 v12, 0, v12, s[2:3]
	v_fmac_f32_e32 v14, v10, v10
	v_cndmask_b32_e64 v13, 0, v13, s[2:3]
	v_fmac_f32_e32 v14, v12, v12
	;; [unrolled: 2-line block ×3, first 2 shown]
	v_fmac_f32_e32 v14, v8, v8
	v_fmac_f32_e32 v14, v9, v9
	v_fmac_f32_e32 v14, v6, v6
	v_fmac_f32_e32 v14, v7, v7
	v_and_b32_e32 v16, 63, v0
	v_cmp_eq_u32_e64 s[0:1], 63, v16
	v_mov_b32_dpp v15, v14 quad_perm:[1,0,3,2] row_mask:0xf bank_mask:0xf
	v_add_f32_e32 v14, v14, v15
	s_nop 1
	v_mov_b32_dpp v15, v14 quad_perm:[2,3,0,1] row_mask:0xf bank_mask:0xf
	v_add_f32_e32 v14, v14, v15
	s_nop 1
	v_mov_b32_dpp v15, v14 row_half_mirror row_mask:0xf bank_mask:0xf
	v_add_f32_e32 v14, v14, v15
	s_nop 1
	v_mov_b32_dpp v15, v14 row_mirror row_mask:0xf bank_mask:0xf
	v_add_f32_e32 v14, v14, v15
	s_nop 1
	v_mov_b32_dpp v15, v14 row_bcast:15 row_mask:0xf bank_mask:0xf
	v_add_f32_e32 v14, v14, v15
	s_nop 1
	v_mov_b32_dpp v15, v14 row_bcast:31 row_mask:0xf bank_mask:0xf
	s_and_saveexec_b64 s[8:9], s[0:1]
	s_cbranch_execz .LBB356_5
; %bb.4:
	v_add_f32_e32 v14, v14, v15
	v_lshrrev_b32_e32 v15, 4, v0
	v_and_b32_e32 v15, 60, v15
	ds_write_b32 v15, v14 offset:8
.LBB356_5:
	s_or_b64 exec, exec, s[8:9]
	v_and_b32_e32 v14, 1, v0
	v_lshlrev_b32_e32 v14, 2, v14
	s_waitcnt lgkmcnt(0)
	s_barrier
	ds_read_b32 v15, v14 offset:8
	s_load_dwordx2 s[28:29], s[4:5], 0x18
	s_waitcnt lgkmcnt(0)
	v_mov_b32_dpp v16, v15 quad_perm:[1,0,3,2] row_mask:0xf bank_mask:0xf
	s_and_saveexec_b64 s[8:9], s[2:3]
	s_cbranch_execz .LBB356_7
; %bb.6:
	v_cvt_f32_u32_e32 v17, s7
	v_add_f32_e32 v15, v15, v16
	v_mov_b32_e32 v19, s17
	v_mov_b32_e32 v20, s16
	v_div_scale_f32 v16, s[24:25], v17, v17, v15
	v_rcp_f32_e32 v18, v16
	v_cndmask_b32_e32 v19, v19, v20, vcc
	s_mov_b32 s7, 0x800000
	v_fma_f32 v20, -v16, v18, 1.0
	v_fmac_f32_e32 v18, v20, v18
	v_div_scale_f32 v20, vcc, v15, v17, v15
	v_mul_f32_e32 v21, v20, v18
	v_fma_f32 v22, -v16, v21, v20
	v_fmac_f32_e32 v21, v22, v18
	v_fma_f32 v16, -v16, v21, v20
	v_div_fmas_f32 v16, v16, v18, v21
	v_div_fixup_f32 v15, v16, v17, v15
	v_add_f32_e32 v15, v19, v15
	v_mul_f32_e32 v16, 0x4b800000, v15
	v_cmp_gt_f32_e32 vcc, s7, v15
	v_cndmask_b32_e32 v15, v15, v16, vcc
	v_rsq_f32_e32 v15, v15
	s_waitcnt vmcnt(0)
	v_cvt_f32_u32_sdwa v19, v2 dst_sel:DWORD dst_unused:UNUSED_PAD src0_sel:WORD_1
	v_cvt_f32_u32_sdwa v18, v2 dst_sel:DWORD dst_unused:UNUSED_PAD src0_sel:WORD_0
	v_cvt_f32_u32_sdwa v21, v3 dst_sel:DWORD dst_unused:UNUSED_PAD src0_sel:WORD_1
	v_mul_f32_e32 v16, 0x45800000, v15
	v_cndmask_b32_e32 v16, v15, v16, vcc
	v_mov_b32_e32 v17, v16
	;;#ASMSTART
	v_pk_mul_f32 v[10:11], v[10:11], v[16:17]
	;;#ASMEND
	;;#ASMSTART
	v_pk_mul_f32 v[12:13], v[12:13], v[16:17]
	;;#ASMEND
	;; [unrolled: 3-line block ×3, first 2 shown]
	v_cvt_f32_u32_sdwa v20, v3 dst_sel:DWORD dst_unused:UNUSED_PAD src0_sel:WORD_0
	;;#ASMSTART
	v_pk_mul_f32 v[2:3], v[6:7], v[16:17]
	;;#ASMEND
	v_cvt_f32_u32_sdwa v17, v4 dst_sel:DWORD dst_unused:UNUSED_PAD src0_sel:WORD_1
	v_cvt_f32_u32_sdwa v16, v4 dst_sel:DWORD dst_unused:UNUSED_PAD src0_sel:WORD_0
	v_pk_add_f32 v[6:7], v[18:19], 1.0 op_sel_hi:[1,0]
	v_cvt_f32_u32_sdwa v19, v5 dst_sel:DWORD dst_unused:UNUSED_PAD src0_sel:WORD_1
	v_cvt_f32_u32_sdwa v18, v5 dst_sel:DWORD dst_unused:UNUSED_PAD src0_sel:WORD_0
	;;#ASMSTART
	v_pk_mul_f32 v[10:11], v[10:11], v[6:7]
	;;#ASMEND
	v_pk_add_f32 v[6:7], v[20:21], 1.0 op_sel_hi:[1,0]
	v_pk_add_f32 v[4:5], v[16:17], 1.0 op_sel_hi:[1,0]
	;;#ASMSTART
	v_pk_mul_f32 v[12:13], v[12:13], v[6:7]
	;;#ASMEND
	;;#ASMSTART
	v_pk_mul_f32 v[8:9], v[8:9], v[4:5]
	;;#ASMEND
	v_pk_add_f32 v[4:5], v[18:19], 1.0 op_sel_hi:[1,0]
	;;#ASMSTART
	v_pk_mul_f32 v[6:7], v[2:3], v[4:5]
	;;#ASMEND
.LBB356_7:
	s_or_b64 exec, exec, s[8:9]
	s_load_dword s7, s[4:5], 0x80
	s_mov_b64 s[8:9], -1
	s_and_b64 vcc, exec, s[14:15]
	s_cbranch_vccnz .LBB356_11
; %bb.8:
	s_andn2_b64 vcc, exec, s[8:9]
	s_cbranch_vccz .LBB356_14
.LBB356_9:
	s_cmp_lt_i32 s20, 1
	s_cbranch_scc0 .LBB356_21
.LBB356_10:
	s_endpgm
.LBB356_11:
	s_and_saveexec_b64 s[14:15], s[2:3]
	s_cbranch_execz .LBB356_13
; %bb.12:
	s_waitcnt lgkmcnt(0)
	s_mul_hi_i32 s9, s7, s6
	s_mul_i32 s8, s7, s6
	s_lshl_b64 s[8:9], s[8:9], 1
	s_add_u32 s8, s28, s8
	s_addc_u32 s9, s29, s9
	s_mov_b32 s16, 0x7060302
	s_and_b32 s9, s9, 0xffff
	s_mov_b32 s11, 0x20000
	s_waitcnt vmcnt(0)
	v_perm_b32 v2, v11, v10, s16
	v_perm_b32 v3, v13, v12, s16
	;; [unrolled: 1-line block ×4, first 2 shown]
	v_lshlrev_b32_e32 v15, 4, v0
	buffer_store_dwordx4 v[2:5], v15, s[8:11], 0 offen
	;;#ASMSTART
	s_nop 0
	;;#ASMEND
.LBB356_13:
	s_or_b64 exec, exec, s[14:15]
	s_cbranch_execnz .LBB356_9
.LBB356_14:
	s_waitcnt vmcnt(0)
	v_mov_b32_e32 v2, 0
	s_and_saveexec_b64 s[8:9], s[2:3]
	s_cbranch_execz .LBB356_16
; %bb.15:
	v_and_b32_e32 v2, 0x7fffffff, v10
	v_and_b32_e32 v3, 0x7fffffff, v11
	v_mov_b32_e32 v4, 0x2edbe6ff
	;;#ASMSTART
	v_max3_f32 v2, v4, v2, v3

	;;#ASMEND
	v_and_b32_e32 v3, 0x7fffffff, v12
	v_and_b32_e32 v4, 0x7fffffff, v13
	;;#ASMSTART
	v_max3_f32 v2, v2, v3, v4

	;;#ASMEND
	v_and_b32_e32 v3, 0x7fffffff, v8
	v_and_b32_e32 v4, 0x7fffffff, v9
	;; [unrolled: 6-line block ×3, first 2 shown]
	;;#ASMSTART
	v_max3_f32 v2, v2, v3, v4

	;;#ASMEND
.LBB356_16:
	s_or_b64 exec, exec, s[8:9]
	s_load_dwordx4 s[24:27], s[4:5], 0x70
	;;#ASMSTART
	v_max_f32 v3, v2, v2 quad_perm:[1,0,3,2] row_mask:0xf bank_mask:0xf bound_ctrl:1
	;;#ASMEND
	;;#ASMSTART
	v_max_f32 v2, v3, v3 quad_perm:[2,3,0,1] row_mask:0xf bank_mask:0xf bound_ctrl:1
	;;#ASMEND
	;;#ASMSTART
	v_max_f32 v3, v2, v2 row_half_mirror row_mask:0xf bank_mask:0xf bound_ctrl:1
	;;#ASMEND
	;;#ASMSTART
	v_max_f32 v2, v3, v3 row_mirror row_mask:0xf bank_mask:0xf bound_ctrl:1
	;;#ASMEND
	v_and_b32_e32 v3, 15, v0
	v_cmp_eq_u32_e32 vcc, 0, v3
	v_cmp_gt_i32_e64 s[8:9], s19, v1
	s_and_b64 s[10:11], vcc, s[8:9]
	s_and_saveexec_b64 s[8:9], s[10:11]
	s_cbranch_execz .LBB356_18
; %bb.17:
	s_load_dwordx2 s[10:11], s[4:5], 0x8
	v_mul_f32_e32 v2, 0x3e2aaaab, v2
	v_lshrrev_b32_e32 v3, 23, v2
	v_and_b32_e32 v4, 0x7f800000, v2
	v_and_b32_e32 v2, 0x7fffff, v2
	v_cmp_ne_u32_e32 vcc, 0, v2
	s_waitcnt lgkmcnt(0)
	s_mul_i32 s16, s25, s6
	s_mov_b32 s14, 0x7f800000
	v_addc_co_u32_e32 v2, vcc, 0, v3, vcc
	s_mul_hi_i32 s15, s25, s6
	s_add_u32 s10, s10, s16
	v_cmp_ne_u32_e32 vcc, s14, v4
	s_addc_u32 s11, s11, s15
	v_lshrrev_b32_e32 v5, 4, v0
	v_cndmask_b32_e32 v4, -1, v2, vcc
	v_pk_mov_b32 v[2:3], s[10:11], s[10:11] op_sel:[0,1]
	v_mad_i64_i32 v[2:3], s[10:11], s26, v5, v[2:3]
	global_store_byte v[2:3], v4, off
.LBB356_18:
	s_or_b64 exec, exec, s[8:9]
	s_and_saveexec_b64 s[8:9], s[2:3]
	s_cbranch_execz .LBB356_20
; %bb.19:
	s_load_dwordx2 s[2:3], s[4:5], 0x0
	s_waitcnt lgkmcnt(0)
	s_mul_i32 s11, s24, s6
	s_mul_hi_i32 s10, s24, s6
	v_lshlrev_b32_e32 v2, 2, v0
	s_mov_b32 s27, 0x20000
	s_add_u32 s24, s2, s11
	s_addc_u32 s2, s3, s10
	s_lshr_b32 s3, s19, 31
	s_add_i32 s3, s19, s3
	s_ashr_i32 s3, s3, 1
	s_add_i32 s3, s3, 3
	s_ashr_i32 s10, s3, 31
	s_lshr_b32 s10, s10, 30
	s_add_i32 s3, s3, s10
	s_and_b32 s26, s3, -4
	s_and_b32 s25, s2, 0xffff
	v_mov_b32_e32 v3, 0
	buffer_store_dword v3, v2, s[24:27], 0 offen
	;;#ASMSTART
	s_nop 0
	;;#ASMEND
.LBB356_20:
	s_or_b64 exec, exec, s[8:9]
	s_cmp_lt_i32 s20, 1
	s_cbranch_scc1 .LBB356_10
.LBB356_21:
	s_load_dword s2, s[4:5], 0x94
	s_waitcnt lgkmcnt(0)
	s_cmp_lg_u32 s2, 1
	s_cbranch_scc1 .LBB356_10
; %bb.22:
	s_lshl_b32 s2, s20, 1
	s_add_i32 s2, s2, 2
	v_cmp_gt_u32_e32 vcc, s20, v1
	s_and_b32 s14, s2, -4
	v_mov_b32_e32 v6, 0
	v_lshlrev_b32_e32 v1, 4, v0
	v_mov_b32_e32 v7, 0
	v_mov_b32_e32 v8, 0
	;; [unrolled: 1-line block ×3, first 2 shown]
	s_waitcnt vmcnt(0)
	v_mov_b32_e32 v2, 0
	v_mov_b32_e32 v3, 0
	;; [unrolled: 1-line block ×4, first 2 shown]
	s_barrier
	s_and_saveexec_b64 s[2:3], vcc
	s_cbranch_execz .LBB356_24
; %bb.23:
	s_mul_hi_i32 s5, s22, s6
	s_mul_i32 s4, s22, s6
	s_and_b32 s13, s13, 0xffff
	s_lshl_b64 s[4:5], s[4:5], 1
	s_add_u32 s8, s30, s4
	s_mov_b32 s15, 0x20000
	s_addc_u32 s4, s31, s5
	s_and_b32 s9, s4, 0xffff
	s_mov_b32 s10, s14
	s_mov_b32 s11, s15
	buffer_load_dwordx4 v[6:9], v1, s[8:11], 0 offen glc slc
	buffer_load_dwordx4 v[2:5], v1, s[12:15], 0 offen
.LBB356_24:
	s_or_b64 exec, exec, s[2:3]
	s_waitcnt vmcnt(1)
	v_cvt_f32_u32_sdwa v13, v6 dst_sel:DWORD dst_unused:UNUSED_PAD src0_sel:WORD_1
	v_cvt_f32_u32_sdwa v12, v6 dst_sel:DWORD dst_unused:UNUSED_PAD src0_sel:WORD_0
	v_cvt_f32_u32_sdwa v6, v9 dst_sel:DWORD dst_unused:UNUSED_PAD src0_sel:WORD_1
	v_cvt_f32_u32_sdwa v9, v9 dst_sel:DWORD dst_unused:UNUSED_PAD src0_sel:WORD_0
	;; [unrolled: 2-line block ×4, first 2 shown]
	v_cndmask_b32_e32 v13, 0, v13, vcc
	v_cndmask_b32_e32 v7, 0, v6, vcc
	;; [unrolled: 1-line block ×5, first 2 shown]
	v_mul_f32_e32 v15, v13, v13
	v_cndmask_b32_e32 v10, 0, v10, vcc
	v_fmac_f32_e32 v15, v12, v12
	v_cndmask_b32_e32 v11, 0, v11, vcc
	v_fmac_f32_e32 v15, v10, v10
	;; [unrolled: 2-line block ×3, first 2 shown]
	v_fmac_f32_e32 v15, v8, v8
	v_fmac_f32_e32 v15, v9, v9
	;; [unrolled: 1-line block ×4, first 2 shown]
	s_nop 1
	v_mov_b32_dpp v16, v15 quad_perm:[1,0,3,2] row_mask:0xf bank_mask:0xf
	v_add_f32_e32 v15, v15, v16
	s_nop 1
	v_mov_b32_dpp v16, v15 quad_perm:[2,3,0,1] row_mask:0xf bank_mask:0xf
	v_add_f32_e32 v15, v15, v16
	s_nop 1
	v_mov_b32_dpp v16, v15 row_half_mirror row_mask:0xf bank_mask:0xf
	v_add_f32_e32 v15, v15, v16
	s_nop 1
	v_mov_b32_dpp v16, v15 row_mirror row_mask:0xf bank_mask:0xf
	v_add_f32_e32 v15, v15, v16
	s_nop 1
	v_mov_b32_dpp v16, v15 row_bcast:15 row_mask:0xf bank_mask:0xf
	v_add_f32_e32 v15, v15, v16
	s_nop 1
	v_mov_b32_dpp v16, v15 row_bcast:31 row_mask:0xf bank_mask:0xf
	s_and_saveexec_b64 s[2:3], s[0:1]
	s_cbranch_execz .LBB356_26
; %bb.25:
	v_lshrrev_b32_e32 v0, 4, v0
	v_add_f32_e32 v15, v15, v16
	v_and_b32_e32 v0, 60, v0
	ds_write_b32 v0, v15
.LBB356_26:
	s_or_b64 exec, exec, s[2:3]
	s_waitcnt lgkmcnt(0)
	s_barrier
	ds_read_b32 v0, v14
	s_waitcnt lgkmcnt(0)
	s_nop 0
	v_mov_b32_dpp v14, v0 quad_perm:[1,0,3,2] row_mask:0xf bank_mask:0xf
	s_and_saveexec_b64 s[0:1], vcc
	s_cbranch_execz .LBB356_10
; %bb.27:
	v_cvt_f32_u32_e32 v15, s20
	v_add_f32_e32 v0, v0, v14
	s_mov_b32 s15, 0x20000
	v_div_scale_f32 v14, s[0:1], v15, v15, v0
	v_rcp_f32_e32 v16, v14
	v_div_scale_f32 v17, vcc, v0, v15, v0
	s_mov_b32 s0, 0x800000
	v_fma_f32 v18, -v14, v16, 1.0
	v_fmac_f32_e32 v16, v18, v16
	v_mul_f32_e32 v18, v17, v16
	v_fma_f32 v19, -v14, v18, v17
	v_fmac_f32_e32 v18, v19, v16
	v_fma_f32 v14, -v14, v18, v17
	v_div_fmas_f32 v14, v14, v16, v18
	v_div_fixup_f32 v0, v14, v15, v0
	v_add_f32_e32 v0, s17, v0
	v_mul_f32_e32 v14, 0x4b800000, v0
	v_cmp_gt_f32_e32 vcc, s0, v0
	v_cndmask_b32_e32 v0, v0, v14, vcc
	v_rsq_f32_e32 v0, v0
	s_waitcnt vmcnt(0)
	v_cvt_f32_u32_sdwa v17, v2 dst_sel:DWORD dst_unused:UNUSED_PAD src0_sel:WORD_1
	v_cvt_f32_u32_sdwa v16, v2 dst_sel:DWORD dst_unused:UNUSED_PAD src0_sel:WORD_0
	v_cvt_f32_u32_sdwa v19, v3 dst_sel:DWORD dst_unused:UNUSED_PAD src0_sel:WORD_1
	v_mul_f32_e32 v14, 0x45800000, v0
	v_cndmask_b32_e32 v14, v0, v14, vcc
	v_mov_b32_e32 v15, v14
	;;#ASMSTART
	v_pk_mul_f32 v[12:13], v[12:13], v[14:15]
	;;#ASMEND
	;;#ASMSTART
	v_pk_mul_f32 v[10:11], v[10:11], v[14:15]
	;;#ASMEND
	;; [unrolled: 3-line block ×3, first 2 shown]
	v_cvt_f32_u32_sdwa v18, v3 dst_sel:DWORD dst_unused:UNUSED_PAD src0_sel:WORD_0
	;;#ASMSTART
	v_pk_mul_f32 v[2:3], v[6:7], v[14:15]
	;;#ASMEND
	v_cvt_f32_u32_sdwa v15, v4 dst_sel:DWORD dst_unused:UNUSED_PAD src0_sel:WORD_1
	v_cvt_f32_u32_sdwa v14, v4 dst_sel:DWORD dst_unused:UNUSED_PAD src0_sel:WORD_0
	v_pk_add_f32 v[6:7], v[16:17], 1.0 op_sel_hi:[1,0]
	v_cvt_f32_u32_sdwa v17, v5 dst_sel:DWORD dst_unused:UNUSED_PAD src0_sel:WORD_1
	v_cvt_f32_u32_sdwa v16, v5 dst_sel:DWORD dst_unused:UNUSED_PAD src0_sel:WORD_0
	s_mul_hi_i32 s1, s7, s6
	s_mul_i32 s0, s7, s6
	s_lshl_b64 s[0:1], s[0:1], 1
	s_add_u32 s12, s28, s0
	;;#ASMSTART
	v_pk_mul_f32 v[6:7], v[12:13], v[6:7]
	;;#ASMEND
	v_pk_add_f32 v[12:13], v[18:19], 1.0 op_sel_hi:[1,0]
	;;#ASMSTART
	v_pk_mul_f32 v[4:5], v[10:11], v[12:13]
	;;#ASMEND
	v_pk_add_f32 v[10:11], v[14:15], 1.0 op_sel_hi:[1,0]
	s_addc_u32 s0, s29, s1
	;;#ASMSTART
	v_pk_mul_f32 v[8:9], v[8:9], v[10:11]
	;;#ASMEND
	v_pk_add_f32 v[10:11], v[16:17], 1.0 op_sel_hi:[1,0]
	s_and_b32 s13, s0, 0xffff
	s_mov_b32 s0, 0x7060302
	;;#ASMSTART
	v_pk_mul_f32 v[10:11], v[2:3], v[10:11]
	;;#ASMEND
	v_perm_b32 v2, v7, v6, s0
	v_perm_b32 v3, v5, v4, s0
	;; [unrolled: 1-line block ×4, first 2 shown]
	buffer_store_dwordx4 v[2:5], v1, s[12:15], 0 offen
	;;#ASMSTART
	s_nop 0
	;;#ASMEND
	s_endpgm
	.section	.rodata,"a",@progbits
	.p2align	6, 0x0
	.amdhsa_kernel _ZN5aiter35fused_qk_rmsnorm_group_quant_kernelItN4opus5fp4_tELi128ELi8ELi16ELb0ELb0ELb1ELb0ELb0ELb0EEEvPT0_PvPT_S7_S7_PKS6_S9_S9_S9_S9_ffiiiiiiiiiiiii
		.amdhsa_group_segment_fixed_size 16
		.amdhsa_private_segment_fixed_size 0
		.amdhsa_kernarg_size 400
		.amdhsa_user_sgpr_count 6
		.amdhsa_user_sgpr_private_segment_buffer 1
		.amdhsa_user_sgpr_dispatch_ptr 0
		.amdhsa_user_sgpr_queue_ptr 0
		.amdhsa_user_sgpr_kernarg_segment_ptr 1
		.amdhsa_user_sgpr_dispatch_id 0
		.amdhsa_user_sgpr_flat_scratch_init 0
		.amdhsa_user_sgpr_kernarg_preload_length 0
		.amdhsa_user_sgpr_kernarg_preload_offset 0
		.amdhsa_user_sgpr_private_segment_size 0
		.amdhsa_uses_dynamic_stack 0
		.amdhsa_system_sgpr_private_segment_wavefront_offset 0
		.amdhsa_system_sgpr_workgroup_id_x 1
		.amdhsa_system_sgpr_workgroup_id_y 1
		.amdhsa_system_sgpr_workgroup_id_z 0
		.amdhsa_system_sgpr_workgroup_info 0
		.amdhsa_system_vgpr_workitem_id 0
		.amdhsa_next_free_vgpr 23
		.amdhsa_next_free_sgpr 32
		.amdhsa_accum_offset 24
		.amdhsa_reserve_vcc 1
		.amdhsa_reserve_flat_scratch 0
		.amdhsa_float_round_mode_32 0
		.amdhsa_float_round_mode_16_64 0
		.amdhsa_float_denorm_mode_32 3
		.amdhsa_float_denorm_mode_16_64 3
		.amdhsa_dx10_clamp 1
		.amdhsa_ieee_mode 1
		.amdhsa_fp16_overflow 0
		.amdhsa_tg_split 0
		.amdhsa_exception_fp_ieee_invalid_op 0
		.amdhsa_exception_fp_denorm_src 0
		.amdhsa_exception_fp_ieee_div_zero 0
		.amdhsa_exception_fp_ieee_overflow 0
		.amdhsa_exception_fp_ieee_underflow 0
		.amdhsa_exception_fp_ieee_inexact 0
		.amdhsa_exception_int_div_zero 0
	.end_amdhsa_kernel
	.section	.text._ZN5aiter35fused_qk_rmsnorm_group_quant_kernelItN4opus5fp4_tELi128ELi8ELi16ELb0ELb0ELb1ELb0ELb0ELb0EEEvPT0_PvPT_S7_S7_PKS6_S9_S9_S9_S9_ffiiiiiiiiiiiii,"axG",@progbits,_ZN5aiter35fused_qk_rmsnorm_group_quant_kernelItN4opus5fp4_tELi128ELi8ELi16ELb0ELb0ELb1ELb0ELb0ELb0EEEvPT0_PvPT_S7_S7_PKS6_S9_S9_S9_S9_ffiiiiiiiiiiiii,comdat
.Lfunc_end356:
	.size	_ZN5aiter35fused_qk_rmsnorm_group_quant_kernelItN4opus5fp4_tELi128ELi8ELi16ELb0ELb0ELb1ELb0ELb0ELb0EEEvPT0_PvPT_S7_S7_PKS6_S9_S9_S9_S9_ffiiiiiiiiiiiii, .Lfunc_end356-_ZN5aiter35fused_qk_rmsnorm_group_quant_kernelItN4opus5fp4_tELi128ELi8ELi16ELb0ELb0ELb1ELb0ELb0ELb0EEEvPT0_PvPT_S7_S7_PKS6_S9_S9_S9_S9_ffiiiiiiiiiiiii
                                        ; -- End function
	.section	.AMDGPU.csdata,"",@progbits
; Kernel info:
; codeLenInByte = 2352
; NumSgprs: 36
; NumVgprs: 23
; NumAgprs: 0
; TotalNumVgprs: 23
; ScratchSize: 0
; MemoryBound: 0
; FloatMode: 240
; IeeeMode: 1
; LDSByteSize: 16 bytes/workgroup (compile time only)
; SGPRBlocks: 4
; VGPRBlocks: 2
; NumSGPRsForWavesPerEU: 36
; NumVGPRsForWavesPerEU: 23
; AccumOffset: 24
; Occupancy: 8
; WaveLimiterHint : 0
; COMPUTE_PGM_RSRC2:SCRATCH_EN: 0
; COMPUTE_PGM_RSRC2:USER_SGPR: 6
; COMPUTE_PGM_RSRC2:TRAP_HANDLER: 0
; COMPUTE_PGM_RSRC2:TGID_X_EN: 1
; COMPUTE_PGM_RSRC2:TGID_Y_EN: 1
; COMPUTE_PGM_RSRC2:TGID_Z_EN: 0
; COMPUTE_PGM_RSRC2:TIDIG_COMP_CNT: 0
; COMPUTE_PGM_RSRC3_GFX90A:ACCUM_OFFSET: 5
; COMPUTE_PGM_RSRC3_GFX90A:TG_SPLIT: 0
	.section	.text._ZN5aiter35fused_qk_rmsnorm_group_quant_kernelIDF16_DB8_Li128ELi8ELi16ELb0ELb0ELb0ELb0ELb0ELb0EEEvPT0_PvPT_S6_S6_PKS5_S8_S8_S8_S8_ffiiiiiiiiiiiii,"axG",@progbits,_ZN5aiter35fused_qk_rmsnorm_group_quant_kernelIDF16_DB8_Li128ELi8ELi16ELb0ELb0ELb0ELb0ELb0ELb0EEEvPT0_PvPT_S6_S6_PKS5_S8_S8_S8_S8_ffiiiiiiiiiiiii,comdat
	.protected	_ZN5aiter35fused_qk_rmsnorm_group_quant_kernelIDF16_DB8_Li128ELi8ELi16ELb0ELb0ELb0ELb0ELb0ELb0EEEvPT0_PvPT_S6_S6_PKS5_S8_S8_S8_S8_ffiiiiiiiiiiiii ; -- Begin function _ZN5aiter35fused_qk_rmsnorm_group_quant_kernelIDF16_DB8_Li128ELi8ELi16ELb0ELb0ELb0ELb0ELb0ELb0EEEvPT0_PvPT_S6_S6_PKS5_S8_S8_S8_S8_ffiiiiiiiiiiiii
	.globl	_ZN5aiter35fused_qk_rmsnorm_group_quant_kernelIDF16_DB8_Li128ELi8ELi16ELb0ELb0ELb0ELb0ELb0ELb0EEEvPT0_PvPT_S6_S6_PKS5_S8_S8_S8_S8_ffiiiiiiiiiiiii
	.p2align	8
	.type	_ZN5aiter35fused_qk_rmsnorm_group_quant_kernelIDF16_DB8_Li128ELi8ELi16ELb0ELb0ELb0ELb0ELb0ELb0EEEvPT0_PvPT_S6_S6_PKS5_S8_S8_S8_S8_ffiiiiiiiiiiiii,@function
_ZN5aiter35fused_qk_rmsnorm_group_quant_kernelIDF16_DB8_Li128ELi8ELi16ELb0ELb0ELb0ELb0ELb0ELb0EEEvPT0_PvPT_S6_S6_PKS5_S8_S8_S8_S8_ffiiiiiiiiiiiii: ; @_ZN5aiter35fused_qk_rmsnorm_group_quant_kernelIDF16_DB8_Li128ELi8ELi16ELb0ELb0ELb0ELb0ELb0ELb0EEEvPT0_PvPT_S6_S6_PKS5_S8_S8_S8_S8_ffiiiiiiiiiiiii
; %bb.0:
	s_load_dwordx4 s[16:19], s[4:5], 0x50
	s_waitcnt lgkmcnt(0)
	s_cmp_ge_i32 s6, s18
	s_cbranch_scc1 .LBB357_12
; %bb.1:
	s_load_dwordx2 s[12:13], s[4:5], 0x48
	s_load_dwordx2 s[30:31], s[4:5], 0x30
	s_load_dwordx4 s[20:23], s[4:5], 0x60
	s_cmp_lg_u32 s7, 0
	s_cselect_b64 s[14:15], -1, 0
	s_cmp_eq_u32 s7, 0
	s_cselect_b64 vcc, -1, 0
	s_and_b64 s[0:1], vcc, exec
	s_waitcnt lgkmcnt(0)
	s_cselect_b32 s7, s19, s20
	s_add_i32 s0, s7, 1
	s_lshr_b32 s1, s0, 31
	s_add_i32 s0, s0, s1
	s_lshl_b32 s0, s0, 1
	v_lshlrev_b32_e32 v1, 3, v0
	s_and_b32 s10, s0, -4
	v_cmp_gt_i32_e64 s[2:3], s7, v1
	v_mov_b32_e32 v10, 0
	v_mov_b32_e32 v2, 0
	v_mov_b32_e32 v3, 0
	v_mov_b32_e32 v4, 0
	v_mov_b32_e32 v5, 0
	v_mov_b32_e32 v6, 0
	v_mov_b32_e32 v7, 0
	v_mov_b32_e32 v8, 0
	v_mov_b32_e32 v9, 0
	s_and_saveexec_b64 s[0:1], s[2:3]
	s_cbranch_execz .LBB357_3
; %bb.2:
	s_load_dwordx2 s[8:9], s[4:5], 0x28
	s_load_dwordx2 s[26:27], s[4:5], 0x40
	s_and_b64 s[24:25], vcc, exec
	s_cselect_b32 s11, s21, s22
	v_lshlrev_b32_e32 v11, 4, v0
	s_waitcnt lgkmcnt(0)
	s_cselect_b32 s18, s9, s31
	s_cselect_b32 s21, s8, s30
	s_mul_hi_i32 s9, s11, s6
	s_mul_i32 s8, s11, s6
	s_lshl_b64 s[8:9], s[8:9], 1
	s_add_u32 s24, s21, s8
	s_addc_u32 s18, s18, s9
	s_and_b64 s[8:9], vcc, exec
	s_mov_b32 s11, 0x20000
	s_cselect_b32 s8, s26, s12
	s_cselect_b32 s9, s27, s13
	s_and_b32 s25, s18, 0xffff
	s_mov_b32 s26, s10
	s_mov_b32 s27, s11
	s_and_b32 s9, s9, 0xffff
	buffer_load_dwordx4 v[6:9], v11, s[24:27], 0 offen glc slc
	buffer_load_dwordx4 v[2:5], v11, s[8:11], 0 offen
.LBB357_3:
	s_or_b64 exec, exec, s[0:1]
	v_mov_b32_e32 v11, 0
	v_mov_b32_e32 v16, 0
	;; [unrolled: 1-line block ×7, first 2 shown]
	s_and_saveexec_b64 s[0:1], s[2:3]
	s_cbranch_execz .LBB357_5
; %bb.4:
	s_waitcnt vmcnt(1)
	v_cvt_f32_f16_sdwa v11, v6 dst_sel:DWORD dst_unused:UNUSED_PAD src0_sel:WORD_1
	v_cvt_f32_f16_e32 v10, v6
	v_cvt_f32_f16_sdwa v17, v7 dst_sel:DWORD dst_unused:UNUSED_PAD src0_sel:WORD_1
	v_cvt_f32_f16_e32 v16, v7
	;; [unrolled: 2-line block ×4, first 2 shown]
.LBB357_5:
	s_or_b64 exec, exec, s[0:1]
	s_waitcnt vmcnt(1)
	v_mul_f32_e32 v6, v11, v11
	v_fmac_f32_e32 v6, v10, v10
	v_fmac_f32_e32 v6, v16, v16
	;; [unrolled: 1-line block ×7, first 2 shown]
	v_and_b32_e32 v8, 63, v0
	v_cmp_eq_u32_e64 s[0:1], 63, v8
	v_mov_b32_dpp v7, v6 quad_perm:[1,0,3,2] row_mask:0xf bank_mask:0xf
	v_add_f32_e32 v6, v6, v7
	s_nop 1
	v_mov_b32_dpp v7, v6 quad_perm:[2,3,0,1] row_mask:0xf bank_mask:0xf
	v_add_f32_e32 v6, v6, v7
	s_nop 1
	v_mov_b32_dpp v7, v6 row_half_mirror row_mask:0xf bank_mask:0xf
	v_add_f32_e32 v6, v6, v7
	s_nop 1
	v_mov_b32_dpp v7, v6 row_mirror row_mask:0xf bank_mask:0xf
	v_add_f32_e32 v6, v6, v7
	s_nop 1
	v_mov_b32_dpp v7, v6 row_bcast:15 row_mask:0xf bank_mask:0xf
	v_add_f32_e32 v6, v6, v7
	s_nop 1
	v_mov_b32_dpp v7, v6 row_bcast:31 row_mask:0xf bank_mask:0xf
	s_and_saveexec_b64 s[8:9], s[0:1]
	s_cbranch_execz .LBB357_7
; %bb.6:
	v_add_f32_e32 v6, v6, v7
	v_lshrrev_b32_e32 v7, 4, v0
	v_and_b32_e32 v7, 60, v7
	ds_write_b32 v7, v6 offset:8
.LBB357_7:
	s_or_b64 exec, exec, s[8:9]
	v_and_b32_e32 v6, 1, v0
	v_lshlrev_b32_e32 v18, 2, v6
	s_waitcnt lgkmcnt(0)
	s_barrier
	ds_read_b32 v6, v18 offset:8
	s_load_dwordx2 s[28:29], s[4:5], 0x18
	s_waitcnt lgkmcnt(0)
	v_mov_b32_dpp v7, v6 quad_perm:[1,0,3,2] row_mask:0xf bank_mask:0xf
	s_and_saveexec_b64 s[8:9], s[2:3]
	s_cbranch_execz .LBB357_9
; %bb.8:
	v_cvt_f32_u32_e32 v8, s7
	v_add_f32_e32 v6, v6, v7
	v_mov_b32_e32 v19, s17
	v_mov_b32_e32 v20, s16
	v_div_scale_f32 v7, s[24:25], v8, v8, v6
	v_rcp_f32_e32 v9, v7
	v_cndmask_b32_e32 v19, v19, v20, vcc
	s_mov_b32 s7, 0x800000
	v_fma_f32 v20, -v7, v9, 1.0
	v_fmac_f32_e32 v9, v20, v9
	v_div_scale_f32 v20, vcc, v6, v8, v6
	v_mul_f32_e32 v21, v20, v9
	v_fma_f32 v22, -v7, v21, v20
	v_fmac_f32_e32 v21, v22, v9
	v_fma_f32 v7, -v7, v21, v20
	v_div_fmas_f32 v7, v7, v9, v21
	v_div_fixup_f32 v6, v7, v8, v6
	v_add_f32_e32 v6, v19, v6
	v_mul_f32_e32 v7, 0x4b800000, v6
	v_cmp_gt_f32_e32 vcc, s7, v6
	v_cndmask_b32_e32 v6, v6, v7, vcc
	v_rsq_f32_e32 v6, v6
	s_waitcnt vmcnt(0)
	v_cvt_f32_f16_sdwa v21, v5 dst_sel:DWORD dst_unused:UNUSED_PAD src0_sel:WORD_1
	v_cvt_f32_f16_e32 v20, v5
	v_mul_f32_e32 v7, 0x45800000, v6
	v_cndmask_b32_e32 v6, v6, v7, vcc
	v_mov_b32_e32 v7, v6
	;;#ASMSTART
	v_pk_mul_f32 v[8:9], v[10:11], v[6:7]
	;;#ASMEND
	;;#ASMSTART
	v_pk_mul_f32 v[16:17], v[16:17], v[6:7]
	;;#ASMEND
	;; [unrolled: 3-line block ×4, first 2 shown]
	v_cvt_f32_f16_sdwa v11, v2 dst_sel:DWORD dst_unused:UNUSED_PAD src0_sel:WORD_1
	v_cvt_f32_f16_e32 v10, v2
	v_cvt_f32_f16_sdwa v13, v3 dst_sel:DWORD dst_unused:UNUSED_PAD src0_sel:WORD_1
	v_cvt_f32_f16_e32 v12, v3
	;; [unrolled: 2-line block ×3, first 2 shown]
	;;#ASMSTART
	v_pk_mul_f32 v[10:11], v[8:9], v[10:11]
	;;#ASMEND
	;;#ASMSTART
	v_pk_mul_f32 v[16:17], v[16:17], v[12:13]
	;;#ASMEND
	;;#ASMSTART
	v_pk_mul_f32 v[14:15], v[14:15], v[2:3]
	;;#ASMEND
	;;#ASMSTART
	v_pk_mul_f32 v[12:13], v[6:7], v[20:21]
	;;#ASMEND
.LBB357_9:
	s_or_b64 exec, exec, s[8:9]
	s_load_dword s7, s[4:5], 0x80
	s_mov_b64 s[8:9], -1
	s_and_b64 vcc, exec, s[14:15]
	s_cbranch_vccnz .LBB357_13
; %bb.10:
	s_andn2_b64 vcc, exec, s[8:9]
	s_cbranch_vccz .LBB357_16
.LBB357_11:
	s_cmp_lt_i32 s20, 1
	s_cbranch_scc0 .LBB357_23
.LBB357_12:
	s_endpgm
.LBB357_13:
	s_and_saveexec_b64 s[14:15], s[2:3]
	s_cbranch_execz .LBB357_15
; %bb.14:
	s_waitcnt lgkmcnt(0)
	s_mul_hi_i32 s9, s7, s6
	s_mul_i32 s8, s7, s6
	s_waitcnt vmcnt(0)
	v_cvt_f16_f32_e32 v2, v10
	v_cvt_f16_f32_e32 v3, v16
	;; [unrolled: 1-line block ×8, first 2 shown]
	s_lshl_b64 s[8:9], s[8:9], 1
	s_add_u32 s8, s28, s8
	s_addc_u32 s9, s29, s9
	s_and_b32 s9, s9, 0xffff
	s_mov_b32 s11, 0x20000
	v_pack_b32_f16 v5, v5, v6
	v_pack_b32_f16 v4, v4, v7
	;; [unrolled: 1-line block ×4, first 2 shown]
	v_lshlrev_b32_e32 v6, 4, v0
	buffer_store_dwordx4 v[2:5], v6, s[8:11], 0 offen
	;;#ASMSTART
	s_nop 0
	;;#ASMEND
.LBB357_15:
	s_or_b64 exec, exec, s[14:15]
	s_cbranch_execnz .LBB357_11
.LBB357_16:
	s_waitcnt vmcnt(0)
	v_mov_b32_e32 v2, 0
	s_and_saveexec_b64 s[8:9], s[2:3]
	s_cbranch_execz .LBB357_18
; %bb.17:
	v_and_b32_e32 v2, 0x7fffffff, v10
	v_and_b32_e32 v3, 0x7fffffff, v11
	v_mov_b32_e32 v4, 0x2edbe6ff
	;;#ASMSTART
	v_max3_f32 v2, v4, v2, v3

	;;#ASMEND
	v_and_b32_e32 v3, 0x7fffffff, v16
	v_and_b32_e32 v4, 0x7fffffff, v17
	;;#ASMSTART
	v_max3_f32 v2, v2, v3, v4

	;;#ASMEND
	v_and_b32_e32 v3, 0x7fffffff, v14
	v_and_b32_e32 v4, 0x7fffffff, v15
	;; [unrolled: 6-line block ×3, first 2 shown]
	;;#ASMSTART
	v_max3_f32 v2, v2, v3, v4

	;;#ASMEND
.LBB357_18:
	s_or_b64 exec, exec, s[8:9]
	s_load_dwordx4 s[24:27], s[4:5], 0x70
	;;#ASMSTART
	v_max_f32 v3, v2, v2 quad_perm:[1,0,3,2] row_mask:0xf bank_mask:0xf bound_ctrl:1
	;;#ASMEND
	;;#ASMSTART
	v_max_f32 v2, v3, v3 quad_perm:[2,3,0,1] row_mask:0xf bank_mask:0xf bound_ctrl:1
	;;#ASMEND
	;;#ASMSTART
	v_max_f32 v3, v2, v2 row_half_mirror row_mask:0xf bank_mask:0xf bound_ctrl:1
	;;#ASMEND
	;;#ASMSTART
	v_max_f32 v2, v3, v3 row_mirror row_mask:0xf bank_mask:0xf bound_ctrl:1
	;;#ASMEND
	v_and_b32_e32 v3, 15, v0
	v_cmp_eq_u32_e32 vcc, 0, v3
	v_cmp_gt_i32_e64 s[8:9], s19, v1
	v_mul_f32_e32 v2, 0x3b124925, v2
	s_and_b64 s[10:11], vcc, s[8:9]
	s_and_saveexec_b64 s[8:9], s[10:11]
	s_cbranch_execz .LBB357_20
; %bb.19:
	s_load_dwordx2 s[10:11], s[4:5], 0x8
	s_waitcnt lgkmcnt(0)
	s_mul_hi_i32 s15, s25, s6
	s_mul_i32 s14, s25, s6
	v_lshrrev_b32_e32 v3, 4, v0
	s_lshl_b64 s[14:15], s[14:15], 2
	v_mad_i64_i32 v[4:5], s[26:27], s26, v3, 0
	s_add_u32 s10, s10, s14
	s_addc_u32 s11, s11, s15
	v_lshlrev_b64 v[4:5], 2, v[4:5]
	v_mov_b32_e32 v3, s11
	v_add_co_u32_e32 v4, vcc, s10, v4
	v_addc_co_u32_e32 v5, vcc, v3, v5, vcc
	global_store_dword v[4:5], v2, off
.LBB357_20:
	s_or_b64 exec, exec, s[8:9]
	;;#ASMSTART
	v_rcp_f32 v2, v2
	;;#ASMEND
	s_and_saveexec_b64 s[14:15], s[2:3]
	s_cbranch_execz .LBB357_22
; %bb.21:
	s_load_dwordx2 s[2:3], s[4:5], 0x0
	s_waitcnt lgkmcnt(0)
	s_mul_i32 s8, s24, s6
	s_mul_hi_i32 s9, s24, s6
	v_mov_b32_e32 v3, v2
	;;#ASMSTART
	v_pk_mul_f32 v[4:5], v[10:11], v[2:3]
	;;#ASMEND
	s_add_u32 s8, s2, s8
	s_addc_u32 s2, s3, s9
	s_add_i32 s3, s19, 3
	s_ashr_i32 s9, s3, 31
	v_mov_b32_e32 v8, 0xc3e00000
	v_mov_b32_e32 v9, 0x43e00000
	;;#ASMSTART
	v_med3_f32 v4, v4, v8, v9
v_med3_f32 v5, v5, v8, v9
v_cvt_pk_fp8_f32 v6, v4, v5
	;;#ASMEND
	s_lshr_b32 s9, s9, 30
	;;#ASMSTART
	v_pk_mul_f32 v[4:5], v[16:17], v[2:3]
	;;#ASMEND
	s_add_i32 s3, s3, s9
	s_and_b32 s9, s2, 0xffff
	;;#ASMSTART
	v_med3_f32 v4, v4, v8, v9
v_med3_f32 v5, v5, v8, v9
v_cvt_pk_fp8_f32 v7, v4, v5
	;;#ASMEND
	s_mov_b32 s2, 0x5040100
	v_perm_b32 v5, v7, v6, s2
	s_movk_i32 s2, 0xff
	v_and_b32_e32 v4, 0xffffff00, v7
	v_and_b32_sdwa v6, v5, s2 dst_sel:DWORD dst_unused:UNUSED_PAD src0_sel:WORD_1 src1_sel:DWORD
	s_mov_b32 s16, 0xffff
	v_or_b32_sdwa v4, v6, v4 dst_sel:WORD_1 dst_unused:UNUSED_PAD src0_sel:DWORD src1_sel:DWORD
	v_and_or_b32 v4, v5, s16, v4
	;;#ASMSTART
	v_pk_mul_f32 v[6:7], v[14:15], v[2:3]
	;;#ASMEND
	v_mov_b32_e32 v5, v6
	;;#ASMSTART
	v_med3_f32 v5, v5, v8, v9
v_med3_f32 v7, v7, v8, v9
v_cvt_pk_fp8_f32 v6, v5, v7
	;;#ASMEND
	;;#ASMSTART
	v_pk_mul_f32 v[2:3], v[12:13], v[2:3]
	;;#ASMEND
	;;#ASMSTART
	v_med3_f32 v2, v2, v8, v9
v_med3_f32 v3, v3, v8, v9
v_cvt_pk_fp8_f32 v5, v2, v3
	;;#ASMEND
	v_lshlrev_b32_e32 v2, 16, v5
	s_and_b32 s10, s3, -4
	s_mov_b32 s11, 0x20000
	v_and_or_b32 v5, v6, s16, v2
	buffer_store_dwordx2 v[4:5], v1, s[8:11], 0 offen
	;;#ASMSTART
	s_nop 0
	;;#ASMEND
.LBB357_22:
	s_or_b64 exec, exec, s[14:15]
	s_cmp_lt_i32 s20, 1
	s_cbranch_scc1 .LBB357_12
.LBB357_23:
	s_load_dword s2, s[4:5], 0x94
	s_waitcnt lgkmcnt(0)
	s_cmp_lg_u32 s2, 1
	s_cbranch_scc1 .LBB357_12
; %bb.24:
	s_lshl_b32 s2, s20, 1
	s_add_i32 s2, s2, 2
	v_cmp_gt_u32_e32 vcc, s20, v1
	s_and_b32 s14, s2, -4
	v_mov_b32_e32 v10, 0
	v_lshlrev_b32_e32 v1, 4, v0
	v_mov_b32_e32 v6, 0
	v_mov_b32_e32 v7, 0
	;; [unrolled: 1-line block ×4, first 2 shown]
	s_waitcnt vmcnt(0)
	v_mov_b32_e32 v2, 0
	v_mov_b32_e32 v3, 0
	;; [unrolled: 1-line block ×4, first 2 shown]
	s_barrier
	s_and_saveexec_b64 s[2:3], vcc
	s_cbranch_execz .LBB357_26
; %bb.25:
	s_mul_hi_i32 s5, s22, s6
	s_mul_i32 s4, s22, s6
	s_and_b32 s13, s13, 0xffff
	s_lshl_b64 s[4:5], s[4:5], 1
	s_add_u32 s8, s30, s4
	s_mov_b32 s15, 0x20000
	s_addc_u32 s4, s31, s5
	s_and_b32 s9, s4, 0xffff
	s_mov_b32 s10, s14
	s_mov_b32 s11, s15
	buffer_load_dwordx4 v[6:9], v1, s[8:11], 0 offen glc slc
	buffer_load_dwordx4 v[2:5], v1, s[12:15], 0 offen
.LBB357_26:
	s_or_b64 exec, exec, s[2:3]
	v_mov_b32_e32 v11, 0
	v_mov_b32_e32 v16, 0
	v_mov_b32_e32 v17, 0
	v_mov_b32_e32 v14, 0
	v_mov_b32_e32 v15, 0
	v_mov_b32_e32 v12, 0
	v_mov_b32_e32 v13, 0
	s_and_saveexec_b64 s[2:3], vcc
	s_cbranch_execz .LBB357_28
; %bb.27:
	s_waitcnt vmcnt(1)
	v_cvt_f32_f16_sdwa v11, v6 dst_sel:DWORD dst_unused:UNUSED_PAD src0_sel:WORD_1
	v_cvt_f32_f16_e32 v10, v6
	v_cvt_f32_f16_sdwa v17, v7 dst_sel:DWORD dst_unused:UNUSED_PAD src0_sel:WORD_1
	v_cvt_f32_f16_e32 v16, v7
	;; [unrolled: 2-line block ×4, first 2 shown]
.LBB357_28:
	s_or_b64 exec, exec, s[2:3]
	s_waitcnt vmcnt(1)
	v_mul_f32_e32 v6, v11, v11
	v_fmac_f32_e32 v6, v10, v10
	v_fmac_f32_e32 v6, v16, v16
	;; [unrolled: 1-line block ×7, first 2 shown]
	s_nop 1
	v_mov_b32_dpp v7, v6 quad_perm:[1,0,3,2] row_mask:0xf bank_mask:0xf
	v_add_f32_e32 v6, v6, v7
	s_nop 1
	v_mov_b32_dpp v7, v6 quad_perm:[2,3,0,1] row_mask:0xf bank_mask:0xf
	v_add_f32_e32 v6, v6, v7
	s_nop 1
	v_mov_b32_dpp v7, v6 row_half_mirror row_mask:0xf bank_mask:0xf
	v_add_f32_e32 v6, v6, v7
	s_nop 1
	v_mov_b32_dpp v7, v6 row_mirror row_mask:0xf bank_mask:0xf
	v_add_f32_e32 v6, v6, v7
	s_nop 1
	v_mov_b32_dpp v7, v6 row_bcast:15 row_mask:0xf bank_mask:0xf
	v_add_f32_e32 v6, v6, v7
	s_nop 1
	v_mov_b32_dpp v7, v6 row_bcast:31 row_mask:0xf bank_mask:0xf
	s_and_saveexec_b64 s[2:3], s[0:1]
	s_cbranch_execz .LBB357_30
; %bb.29:
	v_lshrrev_b32_e32 v0, 4, v0
	v_add_f32_e32 v6, v6, v7
	v_and_b32_e32 v0, 60, v0
	ds_write_b32 v0, v6
.LBB357_30:
	s_or_b64 exec, exec, s[2:3]
	s_waitcnt lgkmcnt(0)
	s_barrier
	ds_read_b32 v0, v18
	s_waitcnt lgkmcnt(0)
	s_nop 0
	v_mov_b32_dpp v6, v0 quad_perm:[1,0,3,2] row_mask:0xf bank_mask:0xf
	s_and_saveexec_b64 s[0:1], vcc
	s_cbranch_execz .LBB357_12
; %bb.31:
	v_cvt_f32_u32_e32 v7, s20
	v_add_f32_e32 v0, v0, v6
	s_mov_b32 s15, 0x20000
	v_div_scale_f32 v6, s[0:1], v7, v7, v0
	v_rcp_f32_e32 v8, v6
	v_div_scale_f32 v9, vcc, v0, v7, v0
	s_mov_b32 s0, 0x800000
	v_fma_f32 v18, -v6, v8, 1.0
	v_fmac_f32_e32 v8, v18, v8
	v_mul_f32_e32 v18, v9, v8
	v_fma_f32 v19, -v6, v18, v9
	v_fmac_f32_e32 v18, v19, v8
	v_fma_f32 v6, -v6, v18, v9
	v_div_fmas_f32 v6, v6, v8, v18
	v_div_fixup_f32 v0, v6, v7, v0
	v_add_f32_e32 v0, s17, v0
	v_mul_f32_e32 v6, 0x4b800000, v0
	v_cmp_gt_f32_e32 vcc, s0, v0
	v_cndmask_b32_e32 v0, v0, v6, vcc
	v_rsq_f32_e32 v0, v0
	s_waitcnt vmcnt(0)
	v_cvt_f32_f16_sdwa v19, v5 dst_sel:DWORD dst_unused:UNUSED_PAD src0_sel:WORD_1
	v_cvt_f32_f16_e32 v18, v5
	s_mul_hi_i32 s1, s7, s6
	v_mul_f32_e32 v6, 0x45800000, v0
	v_cndmask_b32_e32 v6, v0, v6, vcc
	v_mov_b32_e32 v7, v6
	;;#ASMSTART
	v_pk_mul_f32 v[8:9], v[10:11], v[6:7]
	;;#ASMEND
	;;#ASMSTART
	v_pk_mul_f32 v[10:11], v[16:17], v[6:7]
	;;#ASMEND
	;; [unrolled: 3-line block ×4, first 2 shown]
	v_cvt_f32_f16_sdwa v13, v2 dst_sel:DWORD dst_unused:UNUSED_PAD src0_sel:WORD_1
	v_cvt_f32_f16_e32 v12, v2
	v_cvt_f32_f16_sdwa v17, v3 dst_sel:DWORD dst_unused:UNUSED_PAD src0_sel:WORD_1
	v_cvt_f32_f16_e32 v16, v3
	;; [unrolled: 2-line block ×3, first 2 shown]
	;;#ASMSTART
	v_pk_mul_f32 v[4:5], v[8:9], v[12:13]
	;;#ASMEND
	;;#ASMSTART
	v_pk_mul_f32 v[8:9], v[10:11], v[16:17]
	;;#ASMEND
	;; [unrolled: 3-line block ×4, first 2 shown]
	s_mul_i32 s0, s7, s6
	v_cvt_f16_f32_e32 v0, v4
	v_cvt_f16_f32_e32 v4, v5
	;; [unrolled: 1-line block ×8, first 2 shown]
	s_lshl_b64 s[0:1], s[0:1], 1
	s_add_u32 s12, s28, s0
	s_addc_u32 s0, s29, s1
	s_and_b32 s13, s0, 0xffff
	v_pack_b32_f16 v2, v0, v4
	v_pack_b32_f16 v3, v5, v8
	;; [unrolled: 1-line block ×4, first 2 shown]
	buffer_store_dwordx4 v[2:5], v1, s[12:15], 0 offen
	;;#ASMSTART
	s_nop 0
	;;#ASMEND
	s_endpgm
	.section	.rodata,"a",@progbits
	.p2align	6, 0x0
	.amdhsa_kernel _ZN5aiter35fused_qk_rmsnorm_group_quant_kernelIDF16_DB8_Li128ELi8ELi16ELb0ELb0ELb0ELb0ELb0ELb0EEEvPT0_PvPT_S6_S6_PKS5_S8_S8_S8_S8_ffiiiiiiiiiiiii
		.amdhsa_group_segment_fixed_size 16
		.amdhsa_private_segment_fixed_size 0
		.amdhsa_kernarg_size 400
		.amdhsa_user_sgpr_count 6
		.amdhsa_user_sgpr_private_segment_buffer 1
		.amdhsa_user_sgpr_dispatch_ptr 0
		.amdhsa_user_sgpr_queue_ptr 0
		.amdhsa_user_sgpr_kernarg_segment_ptr 1
		.amdhsa_user_sgpr_dispatch_id 0
		.amdhsa_user_sgpr_flat_scratch_init 0
		.amdhsa_user_sgpr_kernarg_preload_length 0
		.amdhsa_user_sgpr_kernarg_preload_offset 0
		.amdhsa_user_sgpr_private_segment_size 0
		.amdhsa_uses_dynamic_stack 0
		.amdhsa_system_sgpr_private_segment_wavefront_offset 0
		.amdhsa_system_sgpr_workgroup_id_x 1
		.amdhsa_system_sgpr_workgroup_id_y 1
		.amdhsa_system_sgpr_workgroup_id_z 0
		.amdhsa_system_sgpr_workgroup_info 0
		.amdhsa_system_vgpr_workitem_id 0
		.amdhsa_next_free_vgpr 23
		.amdhsa_next_free_sgpr 32
		.amdhsa_accum_offset 24
		.amdhsa_reserve_vcc 1
		.amdhsa_reserve_flat_scratch 0
		.amdhsa_float_round_mode_32 0
		.amdhsa_float_round_mode_16_64 0
		.amdhsa_float_denorm_mode_32 3
		.amdhsa_float_denorm_mode_16_64 3
		.amdhsa_dx10_clamp 1
		.amdhsa_ieee_mode 1
		.amdhsa_fp16_overflow 0
		.amdhsa_tg_split 0
		.amdhsa_exception_fp_ieee_invalid_op 0
		.amdhsa_exception_fp_denorm_src 0
		.amdhsa_exception_fp_ieee_div_zero 0
		.amdhsa_exception_fp_ieee_overflow 0
		.amdhsa_exception_fp_ieee_underflow 0
		.amdhsa_exception_fp_ieee_inexact 0
		.amdhsa_exception_int_div_zero 0
	.end_amdhsa_kernel
	.section	.text._ZN5aiter35fused_qk_rmsnorm_group_quant_kernelIDF16_DB8_Li128ELi8ELi16ELb0ELb0ELb0ELb0ELb0ELb0EEEvPT0_PvPT_S6_S6_PKS5_S8_S8_S8_S8_ffiiiiiiiiiiiii,"axG",@progbits,_ZN5aiter35fused_qk_rmsnorm_group_quant_kernelIDF16_DB8_Li128ELi8ELi16ELb0ELb0ELb0ELb0ELb0ELb0EEEvPT0_PvPT_S6_S6_PKS5_S8_S8_S8_S8_ffiiiiiiiiiiiii,comdat
.Lfunc_end357:
	.size	_ZN5aiter35fused_qk_rmsnorm_group_quant_kernelIDF16_DB8_Li128ELi8ELi16ELb0ELb0ELb0ELb0ELb0ELb0EEEvPT0_PvPT_S6_S6_PKS5_S8_S8_S8_S8_ffiiiiiiiiiiiii, .Lfunc_end357-_ZN5aiter35fused_qk_rmsnorm_group_quant_kernelIDF16_DB8_Li128ELi8ELi16ELb0ELb0ELb0ELb0ELb0ELb0EEEvPT0_PvPT_S6_S6_PKS5_S8_S8_S8_S8_ffiiiiiiiiiiiii
                                        ; -- End function
	.section	.AMDGPU.csdata,"",@progbits
; Kernel info:
; codeLenInByte = 2456
; NumSgprs: 36
; NumVgprs: 23
; NumAgprs: 0
; TotalNumVgprs: 23
; ScratchSize: 0
; MemoryBound: 0
; FloatMode: 240
; IeeeMode: 1
; LDSByteSize: 16 bytes/workgroup (compile time only)
; SGPRBlocks: 4
; VGPRBlocks: 2
; NumSGPRsForWavesPerEU: 36
; NumVGPRsForWavesPerEU: 23
; AccumOffset: 24
; Occupancy: 8
; WaveLimiterHint : 0
; COMPUTE_PGM_RSRC2:SCRATCH_EN: 0
; COMPUTE_PGM_RSRC2:USER_SGPR: 6
; COMPUTE_PGM_RSRC2:TRAP_HANDLER: 0
; COMPUTE_PGM_RSRC2:TGID_X_EN: 1
; COMPUTE_PGM_RSRC2:TGID_Y_EN: 1
; COMPUTE_PGM_RSRC2:TGID_Z_EN: 0
; COMPUTE_PGM_RSRC2:TIDIG_COMP_CNT: 0
; COMPUTE_PGM_RSRC3_GFX90A:ACCUM_OFFSET: 5
; COMPUTE_PGM_RSRC3_GFX90A:TG_SPLIT: 0
	.section	.text._ZN5aiter35fused_qk_rmsnorm_group_quant_kernelItDB8_Li128ELi8ELi16ELb0ELb0ELb0ELb0ELb0ELb0EEEvPT0_PvPT_S6_S6_PKS5_S8_S8_S8_S8_ffiiiiiiiiiiiii,"axG",@progbits,_ZN5aiter35fused_qk_rmsnorm_group_quant_kernelItDB8_Li128ELi8ELi16ELb0ELb0ELb0ELb0ELb0ELb0EEEvPT0_PvPT_S6_S6_PKS5_S8_S8_S8_S8_ffiiiiiiiiiiiii,comdat
	.protected	_ZN5aiter35fused_qk_rmsnorm_group_quant_kernelItDB8_Li128ELi8ELi16ELb0ELb0ELb0ELb0ELb0ELb0EEEvPT0_PvPT_S6_S6_PKS5_S8_S8_S8_S8_ffiiiiiiiiiiiii ; -- Begin function _ZN5aiter35fused_qk_rmsnorm_group_quant_kernelItDB8_Li128ELi8ELi16ELb0ELb0ELb0ELb0ELb0ELb0EEEvPT0_PvPT_S6_S6_PKS5_S8_S8_S8_S8_ffiiiiiiiiiiiii
	.globl	_ZN5aiter35fused_qk_rmsnorm_group_quant_kernelItDB8_Li128ELi8ELi16ELb0ELb0ELb0ELb0ELb0ELb0EEEvPT0_PvPT_S6_S6_PKS5_S8_S8_S8_S8_ffiiiiiiiiiiiii
	.p2align	8
	.type	_ZN5aiter35fused_qk_rmsnorm_group_quant_kernelItDB8_Li128ELi8ELi16ELb0ELb0ELb0ELb0ELb0ELb0EEEvPT0_PvPT_S6_S6_PKS5_S8_S8_S8_S8_ffiiiiiiiiiiiii,@function
_ZN5aiter35fused_qk_rmsnorm_group_quant_kernelItDB8_Li128ELi8ELi16ELb0ELb0ELb0ELb0ELb0ELb0EEEvPT0_PvPT_S6_S6_PKS5_S8_S8_S8_S8_ffiiiiiiiiiiiii: ; @_ZN5aiter35fused_qk_rmsnorm_group_quant_kernelItDB8_Li128ELi8ELi16ELb0ELb0ELb0ELb0ELb0ELb0EEEvPT0_PvPT_S6_S6_PKS5_S8_S8_S8_S8_ffiiiiiiiiiiiii
; %bb.0:
	s_load_dwordx4 s[16:19], s[4:5], 0x50
	s_waitcnt lgkmcnt(0)
	s_cmp_ge_i32 s6, s18
	s_cbranch_scc1 .LBB358_10
; %bb.1:
	s_load_dwordx2 s[12:13], s[4:5], 0x48
	s_load_dwordx2 s[30:31], s[4:5], 0x30
	s_load_dwordx4 s[20:23], s[4:5], 0x60
	s_cmp_lg_u32 s7, 0
	s_cselect_b64 s[14:15], -1, 0
	s_cmp_eq_u32 s7, 0
	s_cselect_b64 vcc, -1, 0
	s_and_b64 s[0:1], vcc, exec
	s_waitcnt lgkmcnt(0)
	s_cselect_b32 s7, s19, s20
	s_add_i32 s0, s7, 1
	s_lshr_b32 s1, s0, 31
	s_add_i32 s0, s0, s1
	s_lshl_b32 s0, s0, 1
	v_lshlrev_b32_e32 v1, 3, v0
	s_and_b32 s10, s0, -4
	v_cmp_gt_i32_e64 s[2:3], s7, v1
	v_mov_b32_e32 v2, 0
	v_mov_b32_e32 v3, 0
	v_mov_b32_e32 v4, 0
	v_mov_b32_e32 v5, 0
	v_mov_b32_e32 v6, 0
	v_mov_b32_e32 v7, 0
	v_mov_b32_e32 v8, 0
	v_mov_b32_e32 v9, 0
	s_and_saveexec_b64 s[0:1], s[2:3]
	s_cbranch_execz .LBB358_3
; %bb.2:
	s_load_dwordx2 s[8:9], s[4:5], 0x28
	s_load_dwordx2 s[26:27], s[4:5], 0x40
	s_and_b64 s[24:25], vcc, exec
	s_cselect_b32 s11, s21, s22
	v_lshlrev_b32_e32 v10, 4, v0
	s_waitcnt lgkmcnt(0)
	s_cselect_b32 s18, s9, s31
	s_cselect_b32 s21, s8, s30
	s_mul_hi_i32 s9, s11, s6
	s_mul_i32 s8, s11, s6
	s_lshl_b64 s[8:9], s[8:9], 1
	s_add_u32 s24, s21, s8
	s_addc_u32 s18, s18, s9
	s_and_b64 s[8:9], vcc, exec
	s_mov_b32 s11, 0x20000
	s_cselect_b32 s8, s26, s12
	s_cselect_b32 s9, s27, s13
	s_and_b32 s25, s18, 0xffff
	s_mov_b32 s26, s10
	s_mov_b32 s27, s11
	s_and_b32 s9, s9, 0xffff
	buffer_load_dwordx4 v[6:9], v10, s[24:27], 0 offen glc slc
	buffer_load_dwordx4 v[2:5], v10, s[8:11], 0 offen
.LBB358_3:
	s_or_b64 exec, exec, s[0:1]
	s_waitcnt vmcnt(1)
	v_cvt_f32_u32_sdwa v13, v6 dst_sel:DWORD dst_unused:UNUSED_PAD src0_sel:WORD_1
	v_cvt_f32_u32_sdwa v12, v6 dst_sel:DWORD dst_unused:UNUSED_PAD src0_sel:WORD_0
	v_cvt_f32_u32_sdwa v6, v9 dst_sel:DWORD dst_unused:UNUSED_PAD src0_sel:WORD_1
	v_cvt_f32_u32_sdwa v9, v9 dst_sel:DWORD dst_unused:UNUSED_PAD src0_sel:WORD_0
	;; [unrolled: 2-line block ×4, first 2 shown]
	v_cndmask_b32_e64 v13, 0, v13, s[2:3]
	v_cndmask_b32_e64 v7, 0, v6, s[2:3]
	;; [unrolled: 1-line block ×5, first 2 shown]
	v_mul_f32_e32 v14, v13, v13
	v_cndmask_b32_e64 v10, 0, v10, s[2:3]
	v_fmac_f32_e32 v14, v12, v12
	v_cndmask_b32_e64 v11, 0, v11, s[2:3]
	v_fmac_f32_e32 v14, v10, v10
	;; [unrolled: 2-line block ×3, first 2 shown]
	v_fmac_f32_e32 v14, v8, v8
	v_fmac_f32_e32 v14, v9, v9
	v_fmac_f32_e32 v14, v6, v6
	v_fmac_f32_e32 v14, v7, v7
	v_and_b32_e32 v16, 63, v0
	v_cmp_eq_u32_e64 s[0:1], 63, v16
	v_mov_b32_dpp v15, v14 quad_perm:[1,0,3,2] row_mask:0xf bank_mask:0xf
	v_add_f32_e32 v14, v14, v15
	s_nop 1
	v_mov_b32_dpp v15, v14 quad_perm:[2,3,0,1] row_mask:0xf bank_mask:0xf
	v_add_f32_e32 v14, v14, v15
	s_nop 1
	v_mov_b32_dpp v15, v14 row_half_mirror row_mask:0xf bank_mask:0xf
	v_add_f32_e32 v14, v14, v15
	s_nop 1
	v_mov_b32_dpp v15, v14 row_mirror row_mask:0xf bank_mask:0xf
	v_add_f32_e32 v14, v14, v15
	s_nop 1
	v_mov_b32_dpp v15, v14 row_bcast:15 row_mask:0xf bank_mask:0xf
	v_add_f32_e32 v14, v14, v15
	s_nop 1
	v_mov_b32_dpp v15, v14 row_bcast:31 row_mask:0xf bank_mask:0xf
	s_and_saveexec_b64 s[8:9], s[0:1]
	s_cbranch_execz .LBB358_5
; %bb.4:
	v_add_f32_e32 v14, v14, v15
	v_lshrrev_b32_e32 v15, 4, v0
	v_and_b32_e32 v15, 60, v15
	ds_write_b32 v15, v14 offset:8
.LBB358_5:
	s_or_b64 exec, exec, s[8:9]
	v_and_b32_e32 v14, 1, v0
	v_lshlrev_b32_e32 v14, 2, v14
	s_waitcnt lgkmcnt(0)
	s_barrier
	ds_read_b32 v15, v14 offset:8
	s_load_dwordx2 s[28:29], s[4:5], 0x18
	s_waitcnt lgkmcnt(0)
	v_mov_b32_dpp v16, v15 quad_perm:[1,0,3,2] row_mask:0xf bank_mask:0xf
	s_and_saveexec_b64 s[8:9], s[2:3]
	s_cbranch_execz .LBB358_7
; %bb.6:
	v_cvt_f32_u32_e32 v17, s7
	v_add_f32_e32 v15, v15, v16
	v_mov_b32_e32 v19, s17
	v_mov_b32_e32 v20, s16
	v_div_scale_f32 v16, s[24:25], v17, v17, v15
	v_rcp_f32_e32 v18, v16
	v_cndmask_b32_e32 v19, v19, v20, vcc
	s_mov_b32 s7, 0x800000
	v_fma_f32 v20, -v16, v18, 1.0
	v_fmac_f32_e32 v18, v20, v18
	v_div_scale_f32 v20, vcc, v15, v17, v15
	v_mul_f32_e32 v21, v20, v18
	v_fma_f32 v22, -v16, v21, v20
	v_fmac_f32_e32 v21, v22, v18
	v_fma_f32 v16, -v16, v21, v20
	v_div_fmas_f32 v16, v16, v18, v21
	v_div_fixup_f32 v15, v16, v17, v15
	v_add_f32_e32 v15, v19, v15
	v_mul_f32_e32 v16, 0x4b800000, v15
	v_cmp_gt_f32_e32 vcc, s7, v15
	v_cndmask_b32_e32 v15, v15, v16, vcc
	v_rsq_f32_e32 v15, v15
	s_waitcnt vmcnt(0)
	v_cvt_f32_u32_sdwa v19, v3 dst_sel:DWORD dst_unused:UNUSED_PAD src0_sel:WORD_1
	v_cvt_f32_u32_sdwa v18, v3 dst_sel:DWORD dst_unused:UNUSED_PAD src0_sel:WORD_0
	v_cvt_f32_u32_sdwa v3, v4 dst_sel:DWORD dst_unused:UNUSED_PAD src0_sel:WORD_1
	v_mul_f32_e32 v16, 0x45800000, v15
	v_cndmask_b32_e32 v16, v15, v16, vcc
	v_mov_b32_e32 v17, v16
	;;#ASMSTART
	v_pk_mul_f32 v[12:13], v[12:13], v[16:17]
	;;#ASMEND
	;;#ASMSTART
	v_pk_mul_f32 v[10:11], v[10:11], v[16:17]
	;;#ASMEND
	;; [unrolled: 3-line block ×4, first 2 shown]
	v_cvt_f32_u32_sdwa v17, v2 dst_sel:DWORD dst_unused:UNUSED_PAD src0_sel:WORD_1
	v_cvt_f32_u32_sdwa v16, v2 dst_sel:DWORD dst_unused:UNUSED_PAD src0_sel:WORD_0
	v_cvt_f32_u32_sdwa v2, v4 dst_sel:DWORD dst_unused:UNUSED_PAD src0_sel:WORD_0
	v_cvt_f32_u32_sdwa v21, v5 dst_sel:DWORD dst_unused:UNUSED_PAD src0_sel:WORD_1
	v_cvt_f32_u32_sdwa v20, v5 dst_sel:DWORD dst_unused:UNUSED_PAD src0_sel:WORD_0
	;;#ASMSTART
	v_pk_mul_f32 v[12:13], v[12:13], v[16:17]
	;;#ASMEND
	;;#ASMSTART
	v_pk_mul_f32 v[10:11], v[10:11], v[18:19]
	;;#ASMEND
	;; [unrolled: 3-line block ×4, first 2 shown]
.LBB358_7:
	s_or_b64 exec, exec, s[8:9]
	s_load_dword s7, s[4:5], 0x80
	s_mov_b64 s[8:9], -1
	s_and_b64 vcc, exec, s[14:15]
	s_cbranch_vccnz .LBB358_11
; %bb.8:
	s_andn2_b64 vcc, exec, s[8:9]
	s_cbranch_vccz .LBB358_14
.LBB358_9:
	s_cmp_lt_i32 s20, 1
	s_cbranch_scc0 .LBB358_21
.LBB358_10:
	s_endpgm
.LBB358_11:
	s_and_saveexec_b64 s[14:15], s[2:3]
	s_cbranch_execz .LBB358_13
; %bb.12:
	s_waitcnt lgkmcnt(0)
	s_mul_hi_i32 s9, s7, s6
	s_mul_i32 s8, s7, s6
	s_lshl_b64 s[8:9], s[8:9], 1
	s_add_u32 s8, s28, s8
	s_addc_u32 s9, s29, s9
	s_mov_b32 s16, 0x7060302
	s_and_b32 s9, s9, 0xffff
	s_mov_b32 s11, 0x20000
	s_waitcnt vmcnt(0)
	v_perm_b32 v2, v13, v12, s16
	v_perm_b32 v3, v11, v10, s16
	;; [unrolled: 1-line block ×4, first 2 shown]
	v_lshlrev_b32_e32 v15, 4, v0
	buffer_store_dwordx4 v[2:5], v15, s[8:11], 0 offen
	;;#ASMSTART
	s_nop 0
	;;#ASMEND
.LBB358_13:
	s_or_b64 exec, exec, s[14:15]
	s_cbranch_execnz .LBB358_9
.LBB358_14:
	s_waitcnt vmcnt(0)
	v_mov_b32_e32 v2, 0
	s_and_saveexec_b64 s[8:9], s[2:3]
	s_cbranch_execz .LBB358_16
; %bb.15:
	v_and_b32_e32 v2, 0x7fffffff, v12
	v_and_b32_e32 v3, 0x7fffffff, v13
	v_mov_b32_e32 v4, 0x2edbe6ff
	;;#ASMSTART
	v_max3_f32 v2, v4, v2, v3

	;;#ASMEND
	v_and_b32_e32 v3, 0x7fffffff, v10
	v_and_b32_e32 v4, 0x7fffffff, v11
	;;#ASMSTART
	v_max3_f32 v2, v2, v3, v4

	;;#ASMEND
	v_and_b32_e32 v3, 0x7fffffff, v8
	v_and_b32_e32 v4, 0x7fffffff, v9
	;; [unrolled: 6-line block ×3, first 2 shown]
	;;#ASMSTART
	v_max3_f32 v2, v2, v3, v4

	;;#ASMEND
.LBB358_16:
	s_or_b64 exec, exec, s[8:9]
	s_load_dwordx4 s[24:27], s[4:5], 0x70
	;;#ASMSTART
	v_max_f32 v3, v2, v2 quad_perm:[1,0,3,2] row_mask:0xf bank_mask:0xf bound_ctrl:1
	;;#ASMEND
	;;#ASMSTART
	v_max_f32 v2, v3, v3 quad_perm:[2,3,0,1] row_mask:0xf bank_mask:0xf bound_ctrl:1
	;;#ASMEND
	;;#ASMSTART
	v_max_f32 v3, v2, v2 row_half_mirror row_mask:0xf bank_mask:0xf bound_ctrl:1
	;;#ASMEND
	;;#ASMSTART
	v_max_f32 v2, v3, v3 row_mirror row_mask:0xf bank_mask:0xf bound_ctrl:1
	;;#ASMEND
	v_and_b32_e32 v3, 15, v0
	v_cmp_eq_u32_e32 vcc, 0, v3
	v_cmp_gt_i32_e64 s[8:9], s19, v1
	v_mul_f32_e32 v2, 0x3b124925, v2
	s_and_b64 s[10:11], vcc, s[8:9]
	s_and_saveexec_b64 s[8:9], s[10:11]
	s_cbranch_execz .LBB358_18
; %bb.17:
	s_load_dwordx2 s[10:11], s[4:5], 0x8
	s_waitcnt lgkmcnt(0)
	s_mul_hi_i32 s15, s25, s6
	s_mul_i32 s14, s25, s6
	v_lshrrev_b32_e32 v3, 4, v0
	s_lshl_b64 s[14:15], s[14:15], 2
	v_mad_i64_i32 v[4:5], s[26:27], s26, v3, 0
	s_add_u32 s10, s10, s14
	s_addc_u32 s11, s11, s15
	v_lshlrev_b64 v[4:5], 2, v[4:5]
	v_mov_b32_e32 v3, s11
	v_add_co_u32_e32 v4, vcc, s10, v4
	v_addc_co_u32_e32 v5, vcc, v3, v5, vcc
	global_store_dword v[4:5], v2, off
.LBB358_18:
	s_or_b64 exec, exec, s[8:9]
	;;#ASMSTART
	v_rcp_f32 v2, v2
	;;#ASMEND
	s_and_saveexec_b64 s[14:15], s[2:3]
	s_cbranch_execz .LBB358_20
; %bb.19:
	s_load_dwordx2 s[2:3], s[4:5], 0x0
	s_waitcnt lgkmcnt(0)
	s_mul_i32 s8, s24, s6
	s_mul_hi_i32 s9, s24, s6
	v_mov_b32_e32 v3, v2
	;;#ASMSTART
	v_pk_mul_f32 v[4:5], v[12:13], v[2:3]
	;;#ASMEND
	s_add_u32 s8, s2, s8
	s_addc_u32 s2, s3, s9
	s_add_i32 s3, s19, 3
	s_ashr_i32 s9, s3, 31
	v_mov_b32_e32 v12, 0xc3e00000
	v_mov_b32_e32 v13, 0x43e00000
	;;#ASMSTART
	v_med3_f32 v4, v4, v12, v13
v_med3_f32 v5, v5, v12, v13
v_cvt_pk_fp8_f32 v15, v4, v5
	;;#ASMEND
	s_lshr_b32 s9, s9, 30
	;;#ASMSTART
	v_pk_mul_f32 v[4:5], v[10:11], v[2:3]
	;;#ASMEND
	s_add_i32 s3, s3, s9
	s_and_b32 s9, s2, 0xffff
	;;#ASMSTART
	v_med3_f32 v4, v4, v12, v13
v_med3_f32 v5, v5, v12, v13
v_cvt_pk_fp8_f32 v10, v4, v5
	;;#ASMEND
	s_mov_b32 s2, 0x5040100
	v_perm_b32 v5, v10, v15, s2
	s_movk_i32 s2, 0xff
	v_and_b32_e32 v4, 0xffffff00, v10
	v_and_b32_sdwa v10, v5, s2 dst_sel:DWORD dst_unused:UNUSED_PAD src0_sel:WORD_1 src1_sel:DWORD
	s_mov_b32 s16, 0xffff
	v_or_b32_sdwa v4, v10, v4 dst_sel:WORD_1 dst_unused:UNUSED_PAD src0_sel:DWORD src1_sel:DWORD
	v_and_or_b32 v4, v5, s16, v4
	;;#ASMSTART
	v_pk_mul_f32 v[8:9], v[8:9], v[2:3]
	;;#ASMEND
	v_mov_b32_e32 v5, v8
	;;#ASMSTART
	v_med3_f32 v5, v5, v12, v13
v_med3_f32 v9, v9, v12, v13
v_cvt_pk_fp8_f32 v8, v5, v9
	;;#ASMEND
	;;#ASMSTART
	v_pk_mul_f32 v[2:3], v[6:7], v[2:3]
	;;#ASMEND
	;;#ASMSTART
	v_med3_f32 v2, v2, v12, v13
v_med3_f32 v3, v3, v12, v13
v_cvt_pk_fp8_f32 v5, v2, v3
	;;#ASMEND
	v_lshlrev_b32_e32 v2, 16, v5
	s_and_b32 s10, s3, -4
	s_mov_b32 s11, 0x20000
	v_and_or_b32 v5, v8, s16, v2
	buffer_store_dwordx2 v[4:5], v1, s[8:11], 0 offen
	;;#ASMSTART
	s_nop 0
	;;#ASMEND
.LBB358_20:
	s_or_b64 exec, exec, s[14:15]
	s_cmp_lt_i32 s20, 1
	s_cbranch_scc1 .LBB358_10
.LBB358_21:
	s_load_dword s2, s[4:5], 0x94
	s_waitcnt lgkmcnt(0)
	s_cmp_lg_u32 s2, 1
	s_cbranch_scc1 .LBB358_10
; %bb.22:
	s_lshl_b32 s2, s20, 1
	s_add_i32 s2, s2, 2
	v_cmp_gt_u32_e32 vcc, s20, v1
	s_and_b32 s14, s2, -4
	v_mov_b32_e32 v6, 0
	v_lshlrev_b32_e32 v1, 4, v0
	v_mov_b32_e32 v7, 0
	v_mov_b32_e32 v8, 0
	;; [unrolled: 1-line block ×3, first 2 shown]
	s_waitcnt vmcnt(0)
	v_mov_b32_e32 v2, 0
	v_mov_b32_e32 v3, 0
	;; [unrolled: 1-line block ×4, first 2 shown]
	s_barrier
	s_and_saveexec_b64 s[2:3], vcc
	s_cbranch_execz .LBB358_24
; %bb.23:
	s_mul_hi_i32 s5, s22, s6
	s_mul_i32 s4, s22, s6
	s_and_b32 s13, s13, 0xffff
	s_lshl_b64 s[4:5], s[4:5], 1
	s_add_u32 s8, s30, s4
	s_mov_b32 s15, 0x20000
	s_addc_u32 s4, s31, s5
	s_and_b32 s9, s4, 0xffff
	s_mov_b32 s10, s14
	s_mov_b32 s11, s15
	buffer_load_dwordx4 v[6:9], v1, s[8:11], 0 offen glc slc
	buffer_load_dwordx4 v[2:5], v1, s[12:15], 0 offen
.LBB358_24:
	s_or_b64 exec, exec, s[2:3]
	s_waitcnt vmcnt(1)
	v_cvt_f32_u32_sdwa v13, v6 dst_sel:DWORD dst_unused:UNUSED_PAD src0_sel:WORD_1
	v_cvt_f32_u32_sdwa v12, v6 dst_sel:DWORD dst_unused:UNUSED_PAD src0_sel:WORD_0
	v_cvt_f32_u32_sdwa v6, v9 dst_sel:DWORD dst_unused:UNUSED_PAD src0_sel:WORD_1
	v_cvt_f32_u32_sdwa v9, v9 dst_sel:DWORD dst_unused:UNUSED_PAD src0_sel:WORD_0
	;; [unrolled: 2-line block ×4, first 2 shown]
	v_cndmask_b32_e32 v13, 0, v13, vcc
	v_cndmask_b32_e32 v7, 0, v6, vcc
	v_cndmask_b32_e32 v6, 0, v9, vcc
	v_cndmask_b32_e32 v9, 0, v15, vcc
	v_cndmask_b32_e32 v12, 0, v12, vcc
	v_mul_f32_e32 v15, v13, v13
	v_cndmask_b32_e32 v10, 0, v10, vcc
	v_fmac_f32_e32 v15, v12, v12
	v_cndmask_b32_e32 v11, 0, v11, vcc
	v_fmac_f32_e32 v15, v10, v10
	;; [unrolled: 2-line block ×3, first 2 shown]
	v_fmac_f32_e32 v15, v8, v8
	v_fmac_f32_e32 v15, v9, v9
	;; [unrolled: 1-line block ×4, first 2 shown]
	s_nop 1
	v_mov_b32_dpp v16, v15 quad_perm:[1,0,3,2] row_mask:0xf bank_mask:0xf
	v_add_f32_e32 v15, v15, v16
	s_nop 1
	v_mov_b32_dpp v16, v15 quad_perm:[2,3,0,1] row_mask:0xf bank_mask:0xf
	v_add_f32_e32 v15, v15, v16
	s_nop 1
	v_mov_b32_dpp v16, v15 row_half_mirror row_mask:0xf bank_mask:0xf
	v_add_f32_e32 v15, v15, v16
	s_nop 1
	v_mov_b32_dpp v16, v15 row_mirror row_mask:0xf bank_mask:0xf
	v_add_f32_e32 v15, v15, v16
	s_nop 1
	v_mov_b32_dpp v16, v15 row_bcast:15 row_mask:0xf bank_mask:0xf
	v_add_f32_e32 v15, v15, v16
	s_nop 1
	v_mov_b32_dpp v16, v15 row_bcast:31 row_mask:0xf bank_mask:0xf
	s_and_saveexec_b64 s[2:3], s[0:1]
	s_cbranch_execz .LBB358_26
; %bb.25:
	v_lshrrev_b32_e32 v0, 4, v0
	v_add_f32_e32 v15, v15, v16
	v_and_b32_e32 v0, 60, v0
	ds_write_b32 v0, v15
.LBB358_26:
	s_or_b64 exec, exec, s[2:3]
	s_waitcnt lgkmcnt(0)
	s_barrier
	ds_read_b32 v0, v14
	s_waitcnt lgkmcnt(0)
	s_nop 0
	v_mov_b32_dpp v14, v0 quad_perm:[1,0,3,2] row_mask:0xf bank_mask:0xf
	s_and_saveexec_b64 s[0:1], vcc
	s_cbranch_execz .LBB358_10
; %bb.27:
	v_cvt_f32_u32_e32 v15, s20
	v_add_f32_e32 v0, v0, v14
	s_mov_b32 s15, 0x20000
	v_div_scale_f32 v14, s[0:1], v15, v15, v0
	v_rcp_f32_e32 v16, v14
	v_div_scale_f32 v17, vcc, v0, v15, v0
	s_mov_b32 s0, 0x800000
	v_fma_f32 v18, -v14, v16, 1.0
	v_fmac_f32_e32 v16, v18, v16
	v_mul_f32_e32 v18, v17, v16
	v_fma_f32 v19, -v14, v18, v17
	v_fmac_f32_e32 v18, v19, v16
	v_fma_f32 v14, -v14, v18, v17
	v_div_fmas_f32 v14, v14, v16, v18
	v_div_fixup_f32 v0, v14, v15, v0
	v_add_f32_e32 v0, s17, v0
	v_mul_f32_e32 v14, 0x4b800000, v0
	v_cmp_gt_f32_e32 vcc, s0, v0
	v_cndmask_b32_e32 v0, v0, v14, vcc
	v_rsq_f32_e32 v0, v0
	s_mul_hi_i32 s1, s7, s6
	s_mul_i32 s0, s7, s6
	s_lshl_b64 s[0:1], s[0:1], 1
	v_mul_f32_e32 v14, 0x45800000, v0
	v_cndmask_b32_e32 v14, v0, v14, vcc
	s_add_u32 s12, s28, s0
	v_mov_b32_e32 v15, v14
	s_addc_u32 s0, s29, s1
	;;#ASMSTART
	v_pk_mul_f32 v[12:13], v[12:13], v[14:15]
	;;#ASMEND
	;;#ASMSTART
	v_pk_mul_f32 v[10:11], v[10:11], v[14:15]
	;;#ASMEND
	;; [unrolled: 3-line block ×4, first 2 shown]
	s_waitcnt vmcnt(0)
	v_cvt_f32_u32_sdwa v15, v2 dst_sel:DWORD dst_unused:UNUSED_PAD src0_sel:WORD_1
	v_cvt_f32_u32_sdwa v14, v2 dst_sel:DWORD dst_unused:UNUSED_PAD src0_sel:WORD_0
	v_cvt_f32_u32_sdwa v17, v3 dst_sel:DWORD dst_unused:UNUSED_PAD src0_sel:WORD_1
	v_cvt_f32_u32_sdwa v16, v3 dst_sel:DWORD dst_unused:UNUSED_PAD src0_sel:WORD_0
	;; [unrolled: 2-line block ×4, first 2 shown]
	;;#ASMSTART
	v_pk_mul_f32 v[4:5], v[12:13], v[14:15]
	;;#ASMEND
	s_and_b32 s13, s0, 0xffff
	s_mov_b32 s0, 0x7060302
	;;#ASMSTART
	v_pk_mul_f32 v[10:11], v[10:11], v[16:17]
	;;#ASMEND
	;;#ASMSTART
	v_pk_mul_f32 v[8:9], v[8:9], v[2:3]
	;;#ASMEND
	;; [unrolled: 3-line block ×3, first 2 shown]
	v_perm_b32 v2, v5, v4, s0
	v_perm_b32 v3, v11, v10, s0
	;; [unrolled: 1-line block ×4, first 2 shown]
	buffer_store_dwordx4 v[2:5], v1, s[12:15], 0 offen
	;;#ASMSTART
	s_nop 0
	;;#ASMEND
	s_endpgm
	.section	.rodata,"a",@progbits
	.p2align	6, 0x0
	.amdhsa_kernel _ZN5aiter35fused_qk_rmsnorm_group_quant_kernelItDB8_Li128ELi8ELi16ELb0ELb0ELb0ELb0ELb0ELb0EEEvPT0_PvPT_S6_S6_PKS5_S8_S8_S8_S8_ffiiiiiiiiiiiii
		.amdhsa_group_segment_fixed_size 16
		.amdhsa_private_segment_fixed_size 0
		.amdhsa_kernarg_size 400
		.amdhsa_user_sgpr_count 6
		.amdhsa_user_sgpr_private_segment_buffer 1
		.amdhsa_user_sgpr_dispatch_ptr 0
		.amdhsa_user_sgpr_queue_ptr 0
		.amdhsa_user_sgpr_kernarg_segment_ptr 1
		.amdhsa_user_sgpr_dispatch_id 0
		.amdhsa_user_sgpr_flat_scratch_init 0
		.amdhsa_user_sgpr_kernarg_preload_length 0
		.amdhsa_user_sgpr_kernarg_preload_offset 0
		.amdhsa_user_sgpr_private_segment_size 0
		.amdhsa_uses_dynamic_stack 0
		.amdhsa_system_sgpr_private_segment_wavefront_offset 0
		.amdhsa_system_sgpr_workgroup_id_x 1
		.amdhsa_system_sgpr_workgroup_id_y 1
		.amdhsa_system_sgpr_workgroup_id_z 0
		.amdhsa_system_sgpr_workgroup_info 0
		.amdhsa_system_vgpr_workitem_id 0
		.amdhsa_next_free_vgpr 23
		.amdhsa_next_free_sgpr 32
		.amdhsa_accum_offset 24
		.amdhsa_reserve_vcc 1
		.amdhsa_reserve_flat_scratch 0
		.amdhsa_float_round_mode_32 0
		.amdhsa_float_round_mode_16_64 0
		.amdhsa_float_denorm_mode_32 3
		.amdhsa_float_denorm_mode_16_64 3
		.amdhsa_dx10_clamp 1
		.amdhsa_ieee_mode 1
		.amdhsa_fp16_overflow 0
		.amdhsa_tg_split 0
		.amdhsa_exception_fp_ieee_invalid_op 0
		.amdhsa_exception_fp_denorm_src 0
		.amdhsa_exception_fp_ieee_div_zero 0
		.amdhsa_exception_fp_ieee_overflow 0
		.amdhsa_exception_fp_ieee_underflow 0
		.amdhsa_exception_fp_ieee_inexact 0
		.amdhsa_exception_int_div_zero 0
	.end_amdhsa_kernel
	.section	.text._ZN5aiter35fused_qk_rmsnorm_group_quant_kernelItDB8_Li128ELi8ELi16ELb0ELb0ELb0ELb0ELb0ELb0EEEvPT0_PvPT_S6_S6_PKS5_S8_S8_S8_S8_ffiiiiiiiiiiiii,"axG",@progbits,_ZN5aiter35fused_qk_rmsnorm_group_quant_kernelItDB8_Li128ELi8ELi16ELb0ELb0ELb0ELb0ELb0ELb0EEEvPT0_PvPT_S6_S6_PKS5_S8_S8_S8_S8_ffiiiiiiiiiiiii,comdat
.Lfunc_end358:
	.size	_ZN5aiter35fused_qk_rmsnorm_group_quant_kernelItDB8_Li128ELi8ELi16ELb0ELb0ELb0ELb0ELb0ELb0EEEvPT0_PvPT_S6_S6_PKS5_S8_S8_S8_S8_ffiiiiiiiiiiiii, .Lfunc_end358-_ZN5aiter35fused_qk_rmsnorm_group_quant_kernelItDB8_Li128ELi8ELi16ELb0ELb0ELb0ELb0ELb0ELb0EEEvPT0_PvPT_S6_S6_PKS5_S8_S8_S8_S8_ffiiiiiiiiiiiii
                                        ; -- End function
	.section	.AMDGPU.csdata,"",@progbits
; Kernel info:
; codeLenInByte = 2472
; NumSgprs: 36
; NumVgprs: 23
; NumAgprs: 0
; TotalNumVgprs: 23
; ScratchSize: 0
; MemoryBound: 0
; FloatMode: 240
; IeeeMode: 1
; LDSByteSize: 16 bytes/workgroup (compile time only)
; SGPRBlocks: 4
; VGPRBlocks: 2
; NumSGPRsForWavesPerEU: 36
; NumVGPRsForWavesPerEU: 23
; AccumOffset: 24
; Occupancy: 8
; WaveLimiterHint : 0
; COMPUTE_PGM_RSRC2:SCRATCH_EN: 0
; COMPUTE_PGM_RSRC2:USER_SGPR: 6
; COMPUTE_PGM_RSRC2:TRAP_HANDLER: 0
; COMPUTE_PGM_RSRC2:TGID_X_EN: 1
; COMPUTE_PGM_RSRC2:TGID_Y_EN: 1
; COMPUTE_PGM_RSRC2:TGID_Z_EN: 0
; COMPUTE_PGM_RSRC2:TIDIG_COMP_CNT: 0
; COMPUTE_PGM_RSRC3_GFX90A:ACCUM_OFFSET: 5
; COMPUTE_PGM_RSRC3_GFX90A:TG_SPLIT: 0
	.section	.text._ZN5aiter35fused_qk_rmsnorm_group_quant_kernelIDF16_N4opus5fp4_tELi128ELi8ELi16ELb0ELb0ELb0ELb0ELb0ELb0EEEvPT0_PvPT_S7_S7_PKS6_S9_S9_S9_S9_ffiiiiiiiiiiiii,"axG",@progbits,_ZN5aiter35fused_qk_rmsnorm_group_quant_kernelIDF16_N4opus5fp4_tELi128ELi8ELi16ELb0ELb0ELb0ELb0ELb0ELb0EEEvPT0_PvPT_S7_S7_PKS6_S9_S9_S9_S9_ffiiiiiiiiiiiii,comdat
	.protected	_ZN5aiter35fused_qk_rmsnorm_group_quant_kernelIDF16_N4opus5fp4_tELi128ELi8ELi16ELb0ELb0ELb0ELb0ELb0ELb0EEEvPT0_PvPT_S7_S7_PKS6_S9_S9_S9_S9_ffiiiiiiiiiiiii ; -- Begin function _ZN5aiter35fused_qk_rmsnorm_group_quant_kernelIDF16_N4opus5fp4_tELi128ELi8ELi16ELb0ELb0ELb0ELb0ELb0ELb0EEEvPT0_PvPT_S7_S7_PKS6_S9_S9_S9_S9_ffiiiiiiiiiiiii
	.globl	_ZN5aiter35fused_qk_rmsnorm_group_quant_kernelIDF16_N4opus5fp4_tELi128ELi8ELi16ELb0ELb0ELb0ELb0ELb0ELb0EEEvPT0_PvPT_S7_S7_PKS6_S9_S9_S9_S9_ffiiiiiiiiiiiii
	.p2align	8
	.type	_ZN5aiter35fused_qk_rmsnorm_group_quant_kernelIDF16_N4opus5fp4_tELi128ELi8ELi16ELb0ELb0ELb0ELb0ELb0ELb0EEEvPT0_PvPT_S7_S7_PKS6_S9_S9_S9_S9_ffiiiiiiiiiiiii,@function
_ZN5aiter35fused_qk_rmsnorm_group_quant_kernelIDF16_N4opus5fp4_tELi128ELi8ELi16ELb0ELb0ELb0ELb0ELb0ELb0EEEvPT0_PvPT_S7_S7_PKS6_S9_S9_S9_S9_ffiiiiiiiiiiiii: ; @_ZN5aiter35fused_qk_rmsnorm_group_quant_kernelIDF16_N4opus5fp4_tELi128ELi8ELi16ELb0ELb0ELb0ELb0ELb0ELb0EEEvPT0_PvPT_S7_S7_PKS6_S9_S9_S9_S9_ffiiiiiiiiiiiii
; %bb.0:
	s_load_dwordx4 s[16:19], s[4:5], 0x50
	s_waitcnt lgkmcnt(0)
	s_cmp_ge_i32 s6, s18
	s_cbranch_scc1 .LBB359_12
; %bb.1:
	s_load_dwordx2 s[12:13], s[4:5], 0x48
	s_load_dwordx2 s[30:31], s[4:5], 0x30
	s_load_dwordx4 s[20:23], s[4:5], 0x60
	s_cmp_lg_u32 s7, 0
	s_cselect_b64 s[14:15], -1, 0
	s_cmp_eq_u32 s7, 0
	s_cselect_b64 vcc, -1, 0
	s_and_b64 s[0:1], vcc, exec
	s_waitcnt lgkmcnt(0)
	s_cselect_b32 s7, s19, s20
	s_add_i32 s0, s7, 1
	s_lshr_b32 s1, s0, 31
	s_add_i32 s0, s0, s1
	s_lshl_b32 s0, s0, 1
	v_lshlrev_b32_e32 v1, 3, v0
	s_and_b32 s10, s0, -4
	v_cmp_gt_i32_e64 s[2:3], s7, v1
	v_mov_b32_e32 v10, 0
	v_mov_b32_e32 v2, 0
	;; [unrolled: 1-line block ×9, first 2 shown]
	s_and_saveexec_b64 s[0:1], s[2:3]
	s_cbranch_execz .LBB359_3
; %bb.2:
	s_load_dwordx2 s[8:9], s[4:5], 0x28
	s_load_dwordx2 s[26:27], s[4:5], 0x40
	s_and_b64 s[24:25], vcc, exec
	s_cselect_b32 s11, s21, s22
	v_lshlrev_b32_e32 v11, 4, v0
	s_waitcnt lgkmcnt(0)
	s_cselect_b32 s18, s9, s31
	s_cselect_b32 s21, s8, s30
	s_mul_hi_i32 s9, s11, s6
	s_mul_i32 s8, s11, s6
	s_lshl_b64 s[8:9], s[8:9], 1
	s_add_u32 s24, s21, s8
	s_addc_u32 s18, s18, s9
	s_and_b64 s[8:9], vcc, exec
	s_mov_b32 s11, 0x20000
	s_cselect_b32 s8, s26, s12
	s_cselect_b32 s9, s27, s13
	s_and_b32 s25, s18, 0xffff
	s_mov_b32 s26, s10
	s_mov_b32 s27, s11
	s_and_b32 s9, s9, 0xffff
	buffer_load_dwordx4 v[6:9], v11, s[24:27], 0 offen glc slc
	buffer_load_dwordx4 v[2:5], v11, s[8:11], 0 offen
.LBB359_3:
	s_or_b64 exec, exec, s[0:1]
	v_mov_b32_e32 v11, 0
	v_mov_b32_e32 v16, 0
	;; [unrolled: 1-line block ×7, first 2 shown]
	s_and_saveexec_b64 s[0:1], s[2:3]
	s_cbranch_execz .LBB359_5
; %bb.4:
	s_waitcnt vmcnt(1)
	v_cvt_f32_f16_sdwa v11, v6 dst_sel:DWORD dst_unused:UNUSED_PAD src0_sel:WORD_1
	v_cvt_f32_f16_e32 v10, v6
	v_cvt_f32_f16_sdwa v17, v7 dst_sel:DWORD dst_unused:UNUSED_PAD src0_sel:WORD_1
	v_cvt_f32_f16_e32 v16, v7
	;; [unrolled: 2-line block ×4, first 2 shown]
.LBB359_5:
	s_or_b64 exec, exec, s[0:1]
	s_waitcnt vmcnt(1)
	v_mul_f32_e32 v6, v11, v11
	v_fmac_f32_e32 v6, v10, v10
	v_fmac_f32_e32 v6, v16, v16
	;; [unrolled: 1-line block ×7, first 2 shown]
	v_and_b32_e32 v8, 63, v0
	v_cmp_eq_u32_e64 s[0:1], 63, v8
	v_mov_b32_dpp v7, v6 quad_perm:[1,0,3,2] row_mask:0xf bank_mask:0xf
	v_add_f32_e32 v6, v6, v7
	s_nop 1
	v_mov_b32_dpp v7, v6 quad_perm:[2,3,0,1] row_mask:0xf bank_mask:0xf
	v_add_f32_e32 v6, v6, v7
	s_nop 1
	v_mov_b32_dpp v7, v6 row_half_mirror row_mask:0xf bank_mask:0xf
	v_add_f32_e32 v6, v6, v7
	s_nop 1
	v_mov_b32_dpp v7, v6 row_mirror row_mask:0xf bank_mask:0xf
	v_add_f32_e32 v6, v6, v7
	s_nop 1
	v_mov_b32_dpp v7, v6 row_bcast:15 row_mask:0xf bank_mask:0xf
	v_add_f32_e32 v6, v6, v7
	s_nop 1
	v_mov_b32_dpp v7, v6 row_bcast:31 row_mask:0xf bank_mask:0xf
	s_and_saveexec_b64 s[8:9], s[0:1]
	s_cbranch_execz .LBB359_7
; %bb.6:
	v_add_f32_e32 v6, v6, v7
	v_lshrrev_b32_e32 v7, 4, v0
	v_and_b32_e32 v7, 60, v7
	ds_write_b32 v7, v6 offset:8
.LBB359_7:
	s_or_b64 exec, exec, s[8:9]
	v_and_b32_e32 v6, 1, v0
	v_lshlrev_b32_e32 v18, 2, v6
	s_waitcnt lgkmcnt(0)
	s_barrier
	ds_read_b32 v6, v18 offset:8
	s_load_dwordx2 s[28:29], s[4:5], 0x18
	s_waitcnt lgkmcnt(0)
	v_mov_b32_dpp v7, v6 quad_perm:[1,0,3,2] row_mask:0xf bank_mask:0xf
	s_and_saveexec_b64 s[8:9], s[2:3]
	s_cbranch_execz .LBB359_9
; %bb.8:
	v_cvt_f32_u32_e32 v8, s7
	v_add_f32_e32 v6, v6, v7
	v_mov_b32_e32 v19, s17
	v_mov_b32_e32 v20, s16
	v_div_scale_f32 v7, s[24:25], v8, v8, v6
	v_rcp_f32_e32 v9, v7
	v_cndmask_b32_e32 v19, v19, v20, vcc
	s_mov_b32 s7, 0x800000
	v_fma_f32 v20, -v7, v9, 1.0
	v_fmac_f32_e32 v9, v20, v9
	v_div_scale_f32 v20, vcc, v6, v8, v6
	v_mul_f32_e32 v21, v20, v9
	v_fma_f32 v22, -v7, v21, v20
	v_fmac_f32_e32 v21, v22, v9
	v_fma_f32 v7, -v7, v21, v20
	v_div_fmas_f32 v7, v7, v9, v21
	v_div_fixup_f32 v6, v7, v8, v6
	v_add_f32_e32 v6, v19, v6
	v_mul_f32_e32 v7, 0x4b800000, v6
	v_cmp_gt_f32_e32 vcc, s7, v6
	v_cndmask_b32_e32 v6, v6, v7, vcc
	v_rsq_f32_e32 v6, v6
	s_waitcnt vmcnt(0)
	v_cvt_f32_f16_sdwa v21, v5 dst_sel:DWORD dst_unused:UNUSED_PAD src0_sel:WORD_1
	v_cvt_f32_f16_e32 v20, v5
	v_mul_f32_e32 v7, 0x45800000, v6
	v_cndmask_b32_e32 v6, v6, v7, vcc
	v_mov_b32_e32 v7, v6
	;;#ASMSTART
	v_pk_mul_f32 v[8:9], v[10:11], v[6:7]
	;;#ASMEND
	;;#ASMSTART
	v_pk_mul_f32 v[16:17], v[16:17], v[6:7]
	;;#ASMEND
	;; [unrolled: 3-line block ×4, first 2 shown]
	v_cvt_f32_f16_sdwa v11, v2 dst_sel:DWORD dst_unused:UNUSED_PAD src0_sel:WORD_1
	v_cvt_f32_f16_e32 v10, v2
	v_cvt_f32_f16_sdwa v15, v3 dst_sel:DWORD dst_unused:UNUSED_PAD src0_sel:WORD_1
	v_cvt_f32_f16_e32 v14, v3
	;; [unrolled: 2-line block ×3, first 2 shown]
	;;#ASMSTART
	v_pk_mul_f32 v[10:11], v[8:9], v[10:11]
	;;#ASMEND
	;;#ASMSTART
	v_pk_mul_f32 v[16:17], v[16:17], v[14:15]
	;;#ASMEND
	;; [unrolled: 3-line block ×4, first 2 shown]
.LBB359_9:
	s_or_b64 exec, exec, s[8:9]
	s_load_dword s7, s[4:5], 0x80
	s_mov_b64 s[8:9], -1
	s_and_b64 vcc, exec, s[14:15]
	s_cbranch_vccnz .LBB359_13
; %bb.10:
	s_andn2_b64 vcc, exec, s[8:9]
	s_cbranch_vccz .LBB359_16
.LBB359_11:
	s_cmp_lt_i32 s20, 1
	s_cbranch_scc0 .LBB359_23
.LBB359_12:
	s_endpgm
.LBB359_13:
	s_and_saveexec_b64 s[14:15], s[2:3]
	s_cbranch_execz .LBB359_15
; %bb.14:
	s_waitcnt lgkmcnt(0)
	s_mul_hi_i32 s9, s7, s6
	s_mul_i32 s8, s7, s6
	s_waitcnt vmcnt(0)
	v_cvt_f16_f32_e32 v2, v10
	v_cvt_f16_f32_e32 v3, v16
	v_cvt_f16_f32_e32 v4, v12
	v_cvt_f16_f32_e32 v5, v14
	v_cvt_f16_f32_e32 v6, v15
	v_cvt_f16_f32_e32 v7, v13
	v_cvt_f16_f32_e32 v8, v17
	v_cvt_f16_f32_e32 v9, v11
	s_lshl_b64 s[8:9], s[8:9], 1
	s_add_u32 s8, s28, s8
	s_addc_u32 s9, s29, s9
	s_and_b32 s9, s9, 0xffff
	s_mov_b32 s11, 0x20000
	v_pack_b32_f16 v5, v5, v6
	v_pack_b32_f16 v4, v4, v7
	;; [unrolled: 1-line block ×4, first 2 shown]
	v_lshlrev_b32_e32 v6, 4, v0
	buffer_store_dwordx4 v[2:5], v6, s[8:11], 0 offen
	;;#ASMSTART
	s_nop 0
	;;#ASMEND
.LBB359_15:
	s_or_b64 exec, exec, s[14:15]
	s_cbranch_execnz .LBB359_11
.LBB359_16:
	s_waitcnt vmcnt(0)
	v_mov_b32_e32 v2, 0
	s_and_saveexec_b64 s[8:9], s[2:3]
	s_cbranch_execz .LBB359_18
; %bb.17:
	v_and_b32_e32 v2, 0x7fffffff, v10
	v_and_b32_e32 v3, 0x7fffffff, v11
	v_mov_b32_e32 v4, 0x2edbe6ff
	;;#ASMSTART
	v_max3_f32 v2, v4, v2, v3

	;;#ASMEND
	v_and_b32_e32 v3, 0x7fffffff, v16
	v_and_b32_e32 v4, 0x7fffffff, v17
	;;#ASMSTART
	v_max3_f32 v2, v2, v3, v4

	;;#ASMEND
	v_and_b32_e32 v3, 0x7fffffff, v12
	v_and_b32_e32 v4, 0x7fffffff, v13
	;; [unrolled: 6-line block ×3, first 2 shown]
	;;#ASMSTART
	v_max3_f32 v2, v2, v3, v4

	;;#ASMEND
.LBB359_18:
	s_or_b64 exec, exec, s[8:9]
	s_load_dwordx4 s[24:27], s[4:5], 0x70
	;;#ASMSTART
	v_max_f32 v3, v2, v2 quad_perm:[1,0,3,2] row_mask:0xf bank_mask:0xf bound_ctrl:1
	;;#ASMEND
	;;#ASMSTART
	v_max_f32 v2, v3, v3 quad_perm:[2,3,0,1] row_mask:0xf bank_mask:0xf bound_ctrl:1
	;;#ASMEND
	;;#ASMSTART
	v_max_f32 v3, v2, v2 row_half_mirror row_mask:0xf bank_mask:0xf bound_ctrl:1
	;;#ASMEND
	;;#ASMSTART
	v_max_f32 v2, v3, v3 row_mirror row_mask:0xf bank_mask:0xf bound_ctrl:1
	;;#ASMEND
	v_and_b32_e32 v3, 15, v0
	v_cmp_eq_u32_e32 vcc, 0, v3
	v_cmp_gt_i32_e64 s[8:9], s19, v1
	s_and_b64 s[10:11], vcc, s[8:9]
	s_and_saveexec_b64 s[8:9], s[10:11]
	s_cbranch_execz .LBB359_20
; %bb.19:
	s_load_dwordx2 s[10:11], s[4:5], 0x8
	v_mul_f32_e32 v2, 0x3e2aaaab, v2
	v_lshrrev_b32_e32 v3, 23, v2
	v_and_b32_e32 v4, 0x7f800000, v2
	v_and_b32_e32 v2, 0x7fffff, v2
	v_cmp_ne_u32_e32 vcc, 0, v2
	s_waitcnt lgkmcnt(0)
	s_mul_i32 s16, s25, s6
	s_mov_b32 s14, 0x7f800000
	v_addc_co_u32_e32 v2, vcc, 0, v3, vcc
	s_mul_hi_i32 s15, s25, s6
	s_add_u32 s10, s10, s16
	v_cmp_ne_u32_e32 vcc, s14, v4
	s_addc_u32 s11, s11, s15
	v_lshrrev_b32_e32 v5, 4, v0
	v_cndmask_b32_e32 v4, -1, v2, vcc
	v_pk_mov_b32 v[2:3], s[10:11], s[10:11] op_sel:[0,1]
	v_mad_i64_i32 v[2:3], s[10:11], s26, v5, v[2:3]
	global_store_byte v[2:3], v4, off
.LBB359_20:
	s_or_b64 exec, exec, s[8:9]
	s_and_saveexec_b64 s[8:9], s[2:3]
	s_cbranch_execz .LBB359_22
; %bb.21:
	s_load_dwordx2 s[2:3], s[4:5], 0x0
	s_waitcnt lgkmcnt(0)
	s_mul_i32 s11, s24, s6
	s_mul_hi_i32 s10, s24, s6
	v_lshlrev_b32_e32 v2, 2, v0
	s_mov_b32 s27, 0x20000
	s_add_u32 s24, s2, s11
	s_addc_u32 s2, s3, s10
	s_lshr_b32 s3, s19, 31
	s_add_i32 s3, s19, s3
	s_ashr_i32 s3, s3, 1
	s_add_i32 s3, s3, 3
	s_ashr_i32 s10, s3, 31
	s_lshr_b32 s10, s10, 30
	s_add_i32 s3, s3, s10
	s_and_b32 s26, s3, -4
	s_and_b32 s25, s2, 0xffff
	v_mov_b32_e32 v3, 0
	buffer_store_dword v3, v2, s[24:27], 0 offen
	;;#ASMSTART
	s_nop 0
	;;#ASMEND
.LBB359_22:
	s_or_b64 exec, exec, s[8:9]
	s_cmp_lt_i32 s20, 1
	s_cbranch_scc1 .LBB359_12
.LBB359_23:
	s_load_dword s2, s[4:5], 0x94
	s_waitcnt lgkmcnt(0)
	s_cmp_lg_u32 s2, 1
	s_cbranch_scc1 .LBB359_12
; %bb.24:
	s_lshl_b32 s2, s20, 1
	s_add_i32 s2, s2, 2
	v_cmp_gt_u32_e32 vcc, s20, v1
	s_and_b32 s14, s2, -4
	v_mov_b32_e32 v10, 0
	v_lshlrev_b32_e32 v1, 4, v0
	v_mov_b32_e32 v6, 0
	v_mov_b32_e32 v7, 0
	;; [unrolled: 1-line block ×4, first 2 shown]
	s_waitcnt vmcnt(0)
	v_mov_b32_e32 v2, 0
	v_mov_b32_e32 v3, 0
	;; [unrolled: 1-line block ×4, first 2 shown]
	s_barrier
	s_and_saveexec_b64 s[2:3], vcc
	s_cbranch_execz .LBB359_26
; %bb.25:
	s_mul_hi_i32 s5, s22, s6
	s_mul_i32 s4, s22, s6
	s_and_b32 s13, s13, 0xffff
	s_lshl_b64 s[4:5], s[4:5], 1
	s_add_u32 s8, s30, s4
	s_mov_b32 s15, 0x20000
	s_addc_u32 s4, s31, s5
	s_and_b32 s9, s4, 0xffff
	s_mov_b32 s10, s14
	s_mov_b32 s11, s15
	buffer_load_dwordx4 v[6:9], v1, s[8:11], 0 offen glc slc
	buffer_load_dwordx4 v[2:5], v1, s[12:15], 0 offen
.LBB359_26:
	s_or_b64 exec, exec, s[2:3]
	v_mov_b32_e32 v11, 0
	v_mov_b32_e32 v16, 0
	;; [unrolled: 1-line block ×7, first 2 shown]
	s_and_saveexec_b64 s[2:3], vcc
	s_cbranch_execz .LBB359_28
; %bb.27:
	s_waitcnt vmcnt(1)
	v_cvt_f32_f16_sdwa v11, v6 dst_sel:DWORD dst_unused:UNUSED_PAD src0_sel:WORD_1
	v_cvt_f32_f16_e32 v10, v6
	v_cvt_f32_f16_sdwa v17, v7 dst_sel:DWORD dst_unused:UNUSED_PAD src0_sel:WORD_1
	v_cvt_f32_f16_e32 v16, v7
	;; [unrolled: 2-line block ×4, first 2 shown]
.LBB359_28:
	s_or_b64 exec, exec, s[2:3]
	s_waitcnt vmcnt(1)
	v_mul_f32_e32 v6, v11, v11
	v_fmac_f32_e32 v6, v10, v10
	v_fmac_f32_e32 v6, v16, v16
	;; [unrolled: 1-line block ×7, first 2 shown]
	s_nop 1
	v_mov_b32_dpp v7, v6 quad_perm:[1,0,3,2] row_mask:0xf bank_mask:0xf
	v_add_f32_e32 v6, v6, v7
	s_nop 1
	v_mov_b32_dpp v7, v6 quad_perm:[2,3,0,1] row_mask:0xf bank_mask:0xf
	v_add_f32_e32 v6, v6, v7
	s_nop 1
	v_mov_b32_dpp v7, v6 row_half_mirror row_mask:0xf bank_mask:0xf
	v_add_f32_e32 v6, v6, v7
	s_nop 1
	v_mov_b32_dpp v7, v6 row_mirror row_mask:0xf bank_mask:0xf
	v_add_f32_e32 v6, v6, v7
	s_nop 1
	v_mov_b32_dpp v7, v6 row_bcast:15 row_mask:0xf bank_mask:0xf
	v_add_f32_e32 v6, v6, v7
	s_nop 1
	v_mov_b32_dpp v7, v6 row_bcast:31 row_mask:0xf bank_mask:0xf
	s_and_saveexec_b64 s[2:3], s[0:1]
	s_cbranch_execz .LBB359_30
; %bb.29:
	v_lshrrev_b32_e32 v0, 4, v0
	v_add_f32_e32 v6, v6, v7
	v_and_b32_e32 v0, 60, v0
	ds_write_b32 v0, v6
.LBB359_30:
	s_or_b64 exec, exec, s[2:3]
	s_waitcnt lgkmcnt(0)
	s_barrier
	ds_read_b32 v0, v18
	s_waitcnt lgkmcnt(0)
	s_nop 0
	v_mov_b32_dpp v6, v0 quad_perm:[1,0,3,2] row_mask:0xf bank_mask:0xf
	s_and_saveexec_b64 s[0:1], vcc
	s_cbranch_execz .LBB359_12
; %bb.31:
	v_cvt_f32_u32_e32 v7, s20
	v_add_f32_e32 v0, v0, v6
	s_mov_b32 s15, 0x20000
	v_div_scale_f32 v6, s[0:1], v7, v7, v0
	v_rcp_f32_e32 v8, v6
	v_div_scale_f32 v9, vcc, v0, v7, v0
	s_mov_b32 s0, 0x800000
	v_fma_f32 v18, -v6, v8, 1.0
	v_fmac_f32_e32 v8, v18, v8
	v_mul_f32_e32 v18, v9, v8
	v_fma_f32 v19, -v6, v18, v9
	v_fmac_f32_e32 v18, v19, v8
	v_fma_f32 v6, -v6, v18, v9
	v_div_fmas_f32 v6, v6, v8, v18
	v_div_fixup_f32 v0, v6, v7, v0
	v_add_f32_e32 v0, s17, v0
	v_mul_f32_e32 v6, 0x4b800000, v0
	v_cmp_gt_f32_e32 vcc, s0, v0
	v_cndmask_b32_e32 v0, v0, v6, vcc
	v_rsq_f32_e32 v0, v0
	s_waitcnt vmcnt(0)
	v_cvt_f32_f16_sdwa v19, v5 dst_sel:DWORD dst_unused:UNUSED_PAD src0_sel:WORD_1
	v_cvt_f32_f16_e32 v18, v5
	s_mul_hi_i32 s1, s7, s6
	v_mul_f32_e32 v6, 0x45800000, v0
	v_cndmask_b32_e32 v6, v0, v6, vcc
	v_mov_b32_e32 v7, v6
	;;#ASMSTART
	v_pk_mul_f32 v[8:9], v[10:11], v[6:7]
	;;#ASMEND
	;;#ASMSTART
	v_pk_mul_f32 v[10:11], v[16:17], v[6:7]
	;;#ASMEND
	;; [unrolled: 3-line block ×4, first 2 shown]
	v_cvt_f32_f16_sdwa v13, v2 dst_sel:DWORD dst_unused:UNUSED_PAD src0_sel:WORD_1
	v_cvt_f32_f16_e32 v12, v2
	v_cvt_f32_f16_sdwa v17, v3 dst_sel:DWORD dst_unused:UNUSED_PAD src0_sel:WORD_1
	v_cvt_f32_f16_e32 v16, v3
	;; [unrolled: 2-line block ×3, first 2 shown]
	;;#ASMSTART
	v_pk_mul_f32 v[4:5], v[8:9], v[12:13]
	;;#ASMEND
	;;#ASMSTART
	v_pk_mul_f32 v[8:9], v[10:11], v[16:17]
	;;#ASMEND
	;; [unrolled: 3-line block ×4, first 2 shown]
	s_mul_i32 s0, s7, s6
	v_cvt_f16_f32_e32 v0, v4
	v_cvt_f16_f32_e32 v4, v5
	;; [unrolled: 1-line block ×8, first 2 shown]
	s_lshl_b64 s[0:1], s[0:1], 1
	s_add_u32 s12, s28, s0
	s_addc_u32 s0, s29, s1
	s_and_b32 s13, s0, 0xffff
	v_pack_b32_f16 v2, v0, v4
	v_pack_b32_f16 v3, v5, v8
	;; [unrolled: 1-line block ×4, first 2 shown]
	buffer_store_dwordx4 v[2:5], v1, s[12:15], 0 offen
	;;#ASMSTART
	s_nop 0
	;;#ASMEND
	s_endpgm
	.section	.rodata,"a",@progbits
	.p2align	6, 0x0
	.amdhsa_kernel _ZN5aiter35fused_qk_rmsnorm_group_quant_kernelIDF16_N4opus5fp4_tELi128ELi8ELi16ELb0ELb0ELb0ELb0ELb0ELb0EEEvPT0_PvPT_S7_S7_PKS6_S9_S9_S9_S9_ffiiiiiiiiiiiii
		.amdhsa_group_segment_fixed_size 16
		.amdhsa_private_segment_fixed_size 0
		.amdhsa_kernarg_size 400
		.amdhsa_user_sgpr_count 6
		.amdhsa_user_sgpr_private_segment_buffer 1
		.amdhsa_user_sgpr_dispatch_ptr 0
		.amdhsa_user_sgpr_queue_ptr 0
		.amdhsa_user_sgpr_kernarg_segment_ptr 1
		.amdhsa_user_sgpr_dispatch_id 0
		.amdhsa_user_sgpr_flat_scratch_init 0
		.amdhsa_user_sgpr_kernarg_preload_length 0
		.amdhsa_user_sgpr_kernarg_preload_offset 0
		.amdhsa_user_sgpr_private_segment_size 0
		.amdhsa_uses_dynamic_stack 0
		.amdhsa_system_sgpr_private_segment_wavefront_offset 0
		.amdhsa_system_sgpr_workgroup_id_x 1
		.amdhsa_system_sgpr_workgroup_id_y 1
		.amdhsa_system_sgpr_workgroup_id_z 0
		.amdhsa_system_sgpr_workgroup_info 0
		.amdhsa_system_vgpr_workitem_id 0
		.amdhsa_next_free_vgpr 23
		.amdhsa_next_free_sgpr 32
		.amdhsa_accum_offset 24
		.amdhsa_reserve_vcc 1
		.amdhsa_reserve_flat_scratch 0
		.amdhsa_float_round_mode_32 0
		.amdhsa_float_round_mode_16_64 0
		.amdhsa_float_denorm_mode_32 3
		.amdhsa_float_denorm_mode_16_64 3
		.amdhsa_dx10_clamp 1
		.amdhsa_ieee_mode 1
		.amdhsa_fp16_overflow 0
		.amdhsa_tg_split 0
		.amdhsa_exception_fp_ieee_invalid_op 0
		.amdhsa_exception_fp_denorm_src 0
		.amdhsa_exception_fp_ieee_div_zero 0
		.amdhsa_exception_fp_ieee_overflow 0
		.amdhsa_exception_fp_ieee_underflow 0
		.amdhsa_exception_fp_ieee_inexact 0
		.amdhsa_exception_int_div_zero 0
	.end_amdhsa_kernel
	.section	.text._ZN5aiter35fused_qk_rmsnorm_group_quant_kernelIDF16_N4opus5fp4_tELi128ELi8ELi16ELb0ELb0ELb0ELb0ELb0ELb0EEEvPT0_PvPT_S7_S7_PKS6_S9_S9_S9_S9_ffiiiiiiiiiiiii,"axG",@progbits,_ZN5aiter35fused_qk_rmsnorm_group_quant_kernelIDF16_N4opus5fp4_tELi128ELi8ELi16ELb0ELb0ELb0ELb0ELb0ELb0EEEvPT0_PvPT_S7_S7_PKS6_S9_S9_S9_S9_ffiiiiiiiiiiiii,comdat
.Lfunc_end359:
	.size	_ZN5aiter35fused_qk_rmsnorm_group_quant_kernelIDF16_N4opus5fp4_tELi128ELi8ELi16ELb0ELb0ELb0ELb0ELb0ELb0EEEvPT0_PvPT_S7_S7_PKS6_S9_S9_S9_S9_ffiiiiiiiiiiiii, .Lfunc_end359-_ZN5aiter35fused_qk_rmsnorm_group_quant_kernelIDF16_N4opus5fp4_tELi128ELi8ELi16ELb0ELb0ELb0ELb0ELb0ELb0EEEvPT0_PvPT_S7_S7_PKS6_S9_S9_S9_S9_ffiiiiiiiiiiiii
                                        ; -- End function
	.section	.AMDGPU.csdata,"",@progbits
; Kernel info:
; codeLenInByte = 2272
; NumSgprs: 36
; NumVgprs: 23
; NumAgprs: 0
; TotalNumVgprs: 23
; ScratchSize: 0
; MemoryBound: 0
; FloatMode: 240
; IeeeMode: 1
; LDSByteSize: 16 bytes/workgroup (compile time only)
; SGPRBlocks: 4
; VGPRBlocks: 2
; NumSGPRsForWavesPerEU: 36
; NumVGPRsForWavesPerEU: 23
; AccumOffset: 24
; Occupancy: 8
; WaveLimiterHint : 0
; COMPUTE_PGM_RSRC2:SCRATCH_EN: 0
; COMPUTE_PGM_RSRC2:USER_SGPR: 6
; COMPUTE_PGM_RSRC2:TRAP_HANDLER: 0
; COMPUTE_PGM_RSRC2:TGID_X_EN: 1
; COMPUTE_PGM_RSRC2:TGID_Y_EN: 1
; COMPUTE_PGM_RSRC2:TGID_Z_EN: 0
; COMPUTE_PGM_RSRC2:TIDIG_COMP_CNT: 0
; COMPUTE_PGM_RSRC3_GFX90A:ACCUM_OFFSET: 5
; COMPUTE_PGM_RSRC3_GFX90A:TG_SPLIT: 0
	.section	.text._ZN5aiter35fused_qk_rmsnorm_group_quant_kernelItN4opus5fp4_tELi128ELi8ELi16ELb0ELb0ELb0ELb0ELb0ELb0EEEvPT0_PvPT_S7_S7_PKS6_S9_S9_S9_S9_ffiiiiiiiiiiiii,"axG",@progbits,_ZN5aiter35fused_qk_rmsnorm_group_quant_kernelItN4opus5fp4_tELi128ELi8ELi16ELb0ELb0ELb0ELb0ELb0ELb0EEEvPT0_PvPT_S7_S7_PKS6_S9_S9_S9_S9_ffiiiiiiiiiiiii,comdat
	.protected	_ZN5aiter35fused_qk_rmsnorm_group_quant_kernelItN4opus5fp4_tELi128ELi8ELi16ELb0ELb0ELb0ELb0ELb0ELb0EEEvPT0_PvPT_S7_S7_PKS6_S9_S9_S9_S9_ffiiiiiiiiiiiii ; -- Begin function _ZN5aiter35fused_qk_rmsnorm_group_quant_kernelItN4opus5fp4_tELi128ELi8ELi16ELb0ELb0ELb0ELb0ELb0ELb0EEEvPT0_PvPT_S7_S7_PKS6_S9_S9_S9_S9_ffiiiiiiiiiiiii
	.globl	_ZN5aiter35fused_qk_rmsnorm_group_quant_kernelItN4opus5fp4_tELi128ELi8ELi16ELb0ELb0ELb0ELb0ELb0ELb0EEEvPT0_PvPT_S7_S7_PKS6_S9_S9_S9_S9_ffiiiiiiiiiiiii
	.p2align	8
	.type	_ZN5aiter35fused_qk_rmsnorm_group_quant_kernelItN4opus5fp4_tELi128ELi8ELi16ELb0ELb0ELb0ELb0ELb0ELb0EEEvPT0_PvPT_S7_S7_PKS6_S9_S9_S9_S9_ffiiiiiiiiiiiii,@function
_ZN5aiter35fused_qk_rmsnorm_group_quant_kernelItN4opus5fp4_tELi128ELi8ELi16ELb0ELb0ELb0ELb0ELb0ELb0EEEvPT0_PvPT_S7_S7_PKS6_S9_S9_S9_S9_ffiiiiiiiiiiiii: ; @_ZN5aiter35fused_qk_rmsnorm_group_quant_kernelItN4opus5fp4_tELi128ELi8ELi16ELb0ELb0ELb0ELb0ELb0ELb0EEEvPT0_PvPT_S7_S7_PKS6_S9_S9_S9_S9_ffiiiiiiiiiiiii
; %bb.0:
	s_load_dwordx4 s[16:19], s[4:5], 0x50
	s_waitcnt lgkmcnt(0)
	s_cmp_ge_i32 s6, s18
	s_cbranch_scc1 .LBB360_10
; %bb.1:
	s_load_dwordx2 s[12:13], s[4:5], 0x48
	s_load_dwordx2 s[30:31], s[4:5], 0x30
	s_load_dwordx4 s[20:23], s[4:5], 0x60
	s_cmp_lg_u32 s7, 0
	s_cselect_b64 s[14:15], -1, 0
	s_cmp_eq_u32 s7, 0
	s_cselect_b64 vcc, -1, 0
	s_and_b64 s[0:1], vcc, exec
	s_waitcnt lgkmcnt(0)
	s_cselect_b32 s7, s19, s20
	s_add_i32 s0, s7, 1
	s_lshr_b32 s1, s0, 31
	s_add_i32 s0, s0, s1
	s_lshl_b32 s0, s0, 1
	v_lshlrev_b32_e32 v1, 3, v0
	s_and_b32 s10, s0, -4
	v_cmp_gt_i32_e64 s[2:3], s7, v1
	v_mov_b32_e32 v2, 0
	v_mov_b32_e32 v3, 0
	;; [unrolled: 1-line block ×8, first 2 shown]
	s_and_saveexec_b64 s[0:1], s[2:3]
	s_cbranch_execz .LBB360_3
; %bb.2:
	s_load_dwordx2 s[8:9], s[4:5], 0x28
	s_load_dwordx2 s[26:27], s[4:5], 0x40
	s_and_b64 s[24:25], vcc, exec
	s_cselect_b32 s11, s21, s22
	v_lshlrev_b32_e32 v10, 4, v0
	s_waitcnt lgkmcnt(0)
	s_cselect_b32 s18, s9, s31
	s_cselect_b32 s21, s8, s30
	s_mul_hi_i32 s9, s11, s6
	s_mul_i32 s8, s11, s6
	s_lshl_b64 s[8:9], s[8:9], 1
	s_add_u32 s24, s21, s8
	s_addc_u32 s18, s18, s9
	s_and_b64 s[8:9], vcc, exec
	s_mov_b32 s11, 0x20000
	s_cselect_b32 s8, s26, s12
	s_cselect_b32 s9, s27, s13
	s_and_b32 s25, s18, 0xffff
	s_mov_b32 s26, s10
	s_mov_b32 s27, s11
	s_and_b32 s9, s9, 0xffff
	buffer_load_dwordx4 v[6:9], v10, s[24:27], 0 offen glc slc
	buffer_load_dwordx4 v[2:5], v10, s[8:11], 0 offen
.LBB360_3:
	s_or_b64 exec, exec, s[0:1]
	s_waitcnt vmcnt(1)
	v_cvt_f32_u32_sdwa v13, v6 dst_sel:DWORD dst_unused:UNUSED_PAD src0_sel:WORD_1
	v_cvt_f32_u32_sdwa v12, v6 dst_sel:DWORD dst_unused:UNUSED_PAD src0_sel:WORD_0
	v_cvt_f32_u32_sdwa v6, v9 dst_sel:DWORD dst_unused:UNUSED_PAD src0_sel:WORD_1
	v_cvt_f32_u32_sdwa v9, v9 dst_sel:DWORD dst_unused:UNUSED_PAD src0_sel:WORD_0
	;; [unrolled: 2-line block ×4, first 2 shown]
	v_cndmask_b32_e64 v13, 0, v13, s[2:3]
	v_cndmask_b32_e64 v7, 0, v6, s[2:3]
	;; [unrolled: 1-line block ×5, first 2 shown]
	v_mul_f32_e32 v14, v13, v13
	v_cndmask_b32_e64 v10, 0, v10, s[2:3]
	v_fmac_f32_e32 v14, v12, v12
	v_cndmask_b32_e64 v11, 0, v11, s[2:3]
	v_fmac_f32_e32 v14, v10, v10
	;; [unrolled: 2-line block ×3, first 2 shown]
	v_fmac_f32_e32 v14, v8, v8
	v_fmac_f32_e32 v14, v9, v9
	v_fmac_f32_e32 v14, v6, v6
	v_fmac_f32_e32 v14, v7, v7
	v_and_b32_e32 v16, 63, v0
	v_cmp_eq_u32_e64 s[0:1], 63, v16
	v_mov_b32_dpp v15, v14 quad_perm:[1,0,3,2] row_mask:0xf bank_mask:0xf
	v_add_f32_e32 v14, v14, v15
	s_nop 1
	v_mov_b32_dpp v15, v14 quad_perm:[2,3,0,1] row_mask:0xf bank_mask:0xf
	v_add_f32_e32 v14, v14, v15
	s_nop 1
	v_mov_b32_dpp v15, v14 row_half_mirror row_mask:0xf bank_mask:0xf
	v_add_f32_e32 v14, v14, v15
	s_nop 1
	v_mov_b32_dpp v15, v14 row_mirror row_mask:0xf bank_mask:0xf
	v_add_f32_e32 v14, v14, v15
	s_nop 1
	v_mov_b32_dpp v15, v14 row_bcast:15 row_mask:0xf bank_mask:0xf
	v_add_f32_e32 v14, v14, v15
	s_nop 1
	v_mov_b32_dpp v15, v14 row_bcast:31 row_mask:0xf bank_mask:0xf
	s_and_saveexec_b64 s[8:9], s[0:1]
	s_cbranch_execz .LBB360_5
; %bb.4:
	v_add_f32_e32 v14, v14, v15
	v_lshrrev_b32_e32 v15, 4, v0
	v_and_b32_e32 v15, 60, v15
	ds_write_b32 v15, v14 offset:8
.LBB360_5:
	s_or_b64 exec, exec, s[8:9]
	v_and_b32_e32 v14, 1, v0
	v_lshlrev_b32_e32 v14, 2, v14
	s_waitcnt lgkmcnt(0)
	s_barrier
	ds_read_b32 v15, v14 offset:8
	s_load_dwordx2 s[28:29], s[4:5], 0x18
	s_waitcnt lgkmcnt(0)
	v_mov_b32_dpp v16, v15 quad_perm:[1,0,3,2] row_mask:0xf bank_mask:0xf
	s_and_saveexec_b64 s[8:9], s[2:3]
	s_cbranch_execz .LBB360_7
; %bb.6:
	v_cvt_f32_u32_e32 v17, s7
	v_add_f32_e32 v15, v15, v16
	v_mov_b32_e32 v19, s17
	v_mov_b32_e32 v20, s16
	v_div_scale_f32 v16, s[24:25], v17, v17, v15
	v_rcp_f32_e32 v18, v16
	v_cndmask_b32_e32 v19, v19, v20, vcc
	s_mov_b32 s7, 0x800000
	v_fma_f32 v20, -v16, v18, 1.0
	v_fmac_f32_e32 v18, v20, v18
	v_div_scale_f32 v20, vcc, v15, v17, v15
	v_mul_f32_e32 v21, v20, v18
	v_fma_f32 v22, -v16, v21, v20
	v_fmac_f32_e32 v21, v22, v18
	v_fma_f32 v16, -v16, v21, v20
	v_div_fmas_f32 v16, v16, v18, v21
	v_div_fixup_f32 v15, v16, v17, v15
	v_add_f32_e32 v15, v19, v15
	v_mul_f32_e32 v16, 0x4b800000, v15
	v_cmp_gt_f32_e32 vcc, s7, v15
	v_cndmask_b32_e32 v15, v15, v16, vcc
	v_rsq_f32_e32 v15, v15
	s_waitcnt vmcnt(0)
	v_cvt_f32_u32_sdwa v19, v3 dst_sel:DWORD dst_unused:UNUSED_PAD src0_sel:WORD_1
	v_cvt_f32_u32_sdwa v18, v3 dst_sel:DWORD dst_unused:UNUSED_PAD src0_sel:WORD_0
	v_cvt_f32_u32_sdwa v3, v4 dst_sel:DWORD dst_unused:UNUSED_PAD src0_sel:WORD_1
	v_mul_f32_e32 v16, 0x45800000, v15
	v_cndmask_b32_e32 v16, v15, v16, vcc
	v_mov_b32_e32 v17, v16
	;;#ASMSTART
	v_pk_mul_f32 v[12:13], v[12:13], v[16:17]
	;;#ASMEND
	;;#ASMSTART
	v_pk_mul_f32 v[10:11], v[10:11], v[16:17]
	;;#ASMEND
	;; [unrolled: 3-line block ×4, first 2 shown]
	v_cvt_f32_u32_sdwa v17, v2 dst_sel:DWORD dst_unused:UNUSED_PAD src0_sel:WORD_1
	v_cvt_f32_u32_sdwa v16, v2 dst_sel:DWORD dst_unused:UNUSED_PAD src0_sel:WORD_0
	v_cvt_f32_u32_sdwa v2, v4 dst_sel:DWORD dst_unused:UNUSED_PAD src0_sel:WORD_0
	v_cvt_f32_u32_sdwa v21, v5 dst_sel:DWORD dst_unused:UNUSED_PAD src0_sel:WORD_1
	v_cvt_f32_u32_sdwa v20, v5 dst_sel:DWORD dst_unused:UNUSED_PAD src0_sel:WORD_0
	;;#ASMSTART
	v_pk_mul_f32 v[12:13], v[12:13], v[16:17]
	;;#ASMEND
	;;#ASMSTART
	v_pk_mul_f32 v[10:11], v[10:11], v[18:19]
	;;#ASMEND
	;; [unrolled: 3-line block ×4, first 2 shown]
.LBB360_7:
	s_or_b64 exec, exec, s[8:9]
	s_load_dword s7, s[4:5], 0x80
	s_mov_b64 s[8:9], -1
	s_and_b64 vcc, exec, s[14:15]
	s_cbranch_vccnz .LBB360_11
; %bb.8:
	s_andn2_b64 vcc, exec, s[8:9]
	s_cbranch_vccz .LBB360_14
.LBB360_9:
	s_cmp_lt_i32 s20, 1
	s_cbranch_scc0 .LBB360_21
.LBB360_10:
	s_endpgm
.LBB360_11:
	s_and_saveexec_b64 s[14:15], s[2:3]
	s_cbranch_execz .LBB360_13
; %bb.12:
	s_waitcnt lgkmcnt(0)
	s_mul_hi_i32 s9, s7, s6
	s_mul_i32 s8, s7, s6
	s_lshl_b64 s[8:9], s[8:9], 1
	s_add_u32 s8, s28, s8
	s_addc_u32 s9, s29, s9
	s_mov_b32 s16, 0x7060302
	s_and_b32 s9, s9, 0xffff
	s_mov_b32 s11, 0x20000
	s_waitcnt vmcnt(0)
	v_perm_b32 v2, v13, v12, s16
	v_perm_b32 v3, v11, v10, s16
	;; [unrolled: 1-line block ×4, first 2 shown]
	v_lshlrev_b32_e32 v15, 4, v0
	buffer_store_dwordx4 v[2:5], v15, s[8:11], 0 offen
	;;#ASMSTART
	s_nop 0
	;;#ASMEND
.LBB360_13:
	s_or_b64 exec, exec, s[14:15]
	s_cbranch_execnz .LBB360_9
.LBB360_14:
	s_waitcnt vmcnt(0)
	v_mov_b32_e32 v2, 0
	s_and_saveexec_b64 s[8:9], s[2:3]
	s_cbranch_execz .LBB360_16
; %bb.15:
	v_and_b32_e32 v2, 0x7fffffff, v12
	v_and_b32_e32 v3, 0x7fffffff, v13
	v_mov_b32_e32 v4, 0x2edbe6ff
	;;#ASMSTART
	v_max3_f32 v2, v4, v2, v3

	;;#ASMEND
	v_and_b32_e32 v3, 0x7fffffff, v10
	v_and_b32_e32 v4, 0x7fffffff, v11
	;;#ASMSTART
	v_max3_f32 v2, v2, v3, v4

	;;#ASMEND
	v_and_b32_e32 v3, 0x7fffffff, v8
	v_and_b32_e32 v4, 0x7fffffff, v9
	;; [unrolled: 6-line block ×3, first 2 shown]
	;;#ASMSTART
	v_max3_f32 v2, v2, v3, v4

	;;#ASMEND
.LBB360_16:
	s_or_b64 exec, exec, s[8:9]
	s_load_dwordx4 s[24:27], s[4:5], 0x70
	;;#ASMSTART
	v_max_f32 v3, v2, v2 quad_perm:[1,0,3,2] row_mask:0xf bank_mask:0xf bound_ctrl:1
	;;#ASMEND
	;;#ASMSTART
	v_max_f32 v2, v3, v3 quad_perm:[2,3,0,1] row_mask:0xf bank_mask:0xf bound_ctrl:1
	;;#ASMEND
	;;#ASMSTART
	v_max_f32 v3, v2, v2 row_half_mirror row_mask:0xf bank_mask:0xf bound_ctrl:1
	;;#ASMEND
	;;#ASMSTART
	v_max_f32 v2, v3, v3 row_mirror row_mask:0xf bank_mask:0xf bound_ctrl:1
	;;#ASMEND
	v_and_b32_e32 v3, 15, v0
	v_cmp_eq_u32_e32 vcc, 0, v3
	v_cmp_gt_i32_e64 s[8:9], s19, v1
	s_and_b64 s[10:11], vcc, s[8:9]
	s_and_saveexec_b64 s[8:9], s[10:11]
	s_cbranch_execz .LBB360_18
; %bb.17:
	s_load_dwordx2 s[10:11], s[4:5], 0x8
	v_mul_f32_e32 v2, 0x3e2aaaab, v2
	v_lshrrev_b32_e32 v3, 23, v2
	v_and_b32_e32 v4, 0x7f800000, v2
	v_and_b32_e32 v2, 0x7fffff, v2
	v_cmp_ne_u32_e32 vcc, 0, v2
	s_waitcnt lgkmcnt(0)
	s_mul_i32 s16, s25, s6
	s_mov_b32 s14, 0x7f800000
	v_addc_co_u32_e32 v2, vcc, 0, v3, vcc
	s_mul_hi_i32 s15, s25, s6
	s_add_u32 s10, s10, s16
	v_cmp_ne_u32_e32 vcc, s14, v4
	s_addc_u32 s11, s11, s15
	v_lshrrev_b32_e32 v5, 4, v0
	v_cndmask_b32_e32 v4, -1, v2, vcc
	v_pk_mov_b32 v[2:3], s[10:11], s[10:11] op_sel:[0,1]
	v_mad_i64_i32 v[2:3], s[10:11], s26, v5, v[2:3]
	global_store_byte v[2:3], v4, off
.LBB360_18:
	s_or_b64 exec, exec, s[8:9]
	s_and_saveexec_b64 s[8:9], s[2:3]
	s_cbranch_execz .LBB360_20
; %bb.19:
	s_load_dwordx2 s[2:3], s[4:5], 0x0
	s_waitcnt lgkmcnt(0)
	s_mul_i32 s11, s24, s6
	s_mul_hi_i32 s10, s24, s6
	v_lshlrev_b32_e32 v2, 2, v0
	s_mov_b32 s27, 0x20000
	s_add_u32 s24, s2, s11
	s_addc_u32 s2, s3, s10
	s_lshr_b32 s3, s19, 31
	s_add_i32 s3, s19, s3
	s_ashr_i32 s3, s3, 1
	s_add_i32 s3, s3, 3
	s_ashr_i32 s10, s3, 31
	s_lshr_b32 s10, s10, 30
	s_add_i32 s3, s3, s10
	s_and_b32 s26, s3, -4
	s_and_b32 s25, s2, 0xffff
	v_mov_b32_e32 v3, 0
	buffer_store_dword v3, v2, s[24:27], 0 offen
	;;#ASMSTART
	s_nop 0
	;;#ASMEND
.LBB360_20:
	s_or_b64 exec, exec, s[8:9]
	s_cmp_lt_i32 s20, 1
	s_cbranch_scc1 .LBB360_10
.LBB360_21:
	s_load_dword s2, s[4:5], 0x94
	s_waitcnt lgkmcnt(0)
	s_cmp_lg_u32 s2, 1
	s_cbranch_scc1 .LBB360_10
; %bb.22:
	s_lshl_b32 s2, s20, 1
	s_add_i32 s2, s2, 2
	v_cmp_gt_u32_e32 vcc, s20, v1
	s_and_b32 s14, s2, -4
	v_mov_b32_e32 v6, 0
	v_lshlrev_b32_e32 v1, 4, v0
	v_mov_b32_e32 v7, 0
	v_mov_b32_e32 v8, 0
	;; [unrolled: 1-line block ×3, first 2 shown]
	s_waitcnt vmcnt(0)
	v_mov_b32_e32 v2, 0
	v_mov_b32_e32 v3, 0
	;; [unrolled: 1-line block ×4, first 2 shown]
	s_barrier
	s_and_saveexec_b64 s[2:3], vcc
	s_cbranch_execz .LBB360_24
; %bb.23:
	s_mul_hi_i32 s5, s22, s6
	s_mul_i32 s4, s22, s6
	s_and_b32 s13, s13, 0xffff
	s_lshl_b64 s[4:5], s[4:5], 1
	s_add_u32 s8, s30, s4
	s_mov_b32 s15, 0x20000
	s_addc_u32 s4, s31, s5
	s_and_b32 s9, s4, 0xffff
	s_mov_b32 s10, s14
	s_mov_b32 s11, s15
	buffer_load_dwordx4 v[6:9], v1, s[8:11], 0 offen glc slc
	buffer_load_dwordx4 v[2:5], v1, s[12:15], 0 offen
.LBB360_24:
	s_or_b64 exec, exec, s[2:3]
	s_waitcnt vmcnt(1)
	v_cvt_f32_u32_sdwa v13, v6 dst_sel:DWORD dst_unused:UNUSED_PAD src0_sel:WORD_1
	v_cvt_f32_u32_sdwa v12, v6 dst_sel:DWORD dst_unused:UNUSED_PAD src0_sel:WORD_0
	v_cvt_f32_u32_sdwa v6, v9 dst_sel:DWORD dst_unused:UNUSED_PAD src0_sel:WORD_1
	v_cvt_f32_u32_sdwa v9, v9 dst_sel:DWORD dst_unused:UNUSED_PAD src0_sel:WORD_0
	v_cvt_f32_u32_sdwa v15, v8 dst_sel:DWORD dst_unused:UNUSED_PAD src0_sel:WORD_1
	v_cvt_f32_u32_sdwa v10, v7 dst_sel:DWORD dst_unused:UNUSED_PAD src0_sel:WORD_0
	v_cvt_f32_u32_sdwa v11, v7 dst_sel:DWORD dst_unused:UNUSED_PAD src0_sel:WORD_1
	v_cvt_f32_u32_sdwa v8, v8 dst_sel:DWORD dst_unused:UNUSED_PAD src0_sel:WORD_0
	v_cndmask_b32_e32 v13, 0, v13, vcc
	v_cndmask_b32_e32 v7, 0, v6, vcc
	;; [unrolled: 1-line block ×5, first 2 shown]
	v_mul_f32_e32 v15, v13, v13
	v_cndmask_b32_e32 v10, 0, v10, vcc
	v_fmac_f32_e32 v15, v12, v12
	v_cndmask_b32_e32 v11, 0, v11, vcc
	v_fmac_f32_e32 v15, v10, v10
	v_cndmask_b32_e32 v8, 0, v8, vcc
	v_fmac_f32_e32 v15, v11, v11
	v_fmac_f32_e32 v15, v8, v8
	v_fmac_f32_e32 v15, v9, v9
	;; [unrolled: 1-line block ×4, first 2 shown]
	s_nop 1
	v_mov_b32_dpp v16, v15 quad_perm:[1,0,3,2] row_mask:0xf bank_mask:0xf
	v_add_f32_e32 v15, v15, v16
	s_nop 1
	v_mov_b32_dpp v16, v15 quad_perm:[2,3,0,1] row_mask:0xf bank_mask:0xf
	v_add_f32_e32 v15, v15, v16
	s_nop 1
	v_mov_b32_dpp v16, v15 row_half_mirror row_mask:0xf bank_mask:0xf
	v_add_f32_e32 v15, v15, v16
	s_nop 1
	v_mov_b32_dpp v16, v15 row_mirror row_mask:0xf bank_mask:0xf
	v_add_f32_e32 v15, v15, v16
	s_nop 1
	v_mov_b32_dpp v16, v15 row_bcast:15 row_mask:0xf bank_mask:0xf
	v_add_f32_e32 v15, v15, v16
	s_nop 1
	v_mov_b32_dpp v16, v15 row_bcast:31 row_mask:0xf bank_mask:0xf
	s_and_saveexec_b64 s[2:3], s[0:1]
	s_cbranch_execz .LBB360_26
; %bb.25:
	v_lshrrev_b32_e32 v0, 4, v0
	v_add_f32_e32 v15, v15, v16
	v_and_b32_e32 v0, 60, v0
	ds_write_b32 v0, v15
.LBB360_26:
	s_or_b64 exec, exec, s[2:3]
	s_waitcnt lgkmcnt(0)
	s_barrier
	ds_read_b32 v0, v14
	s_waitcnt lgkmcnt(0)
	s_nop 0
	v_mov_b32_dpp v14, v0 quad_perm:[1,0,3,2] row_mask:0xf bank_mask:0xf
	s_and_saveexec_b64 s[0:1], vcc
	s_cbranch_execz .LBB360_10
; %bb.27:
	v_cvt_f32_u32_e32 v15, s20
	v_add_f32_e32 v0, v0, v14
	s_mov_b32 s15, 0x20000
	v_div_scale_f32 v14, s[0:1], v15, v15, v0
	v_rcp_f32_e32 v16, v14
	v_div_scale_f32 v17, vcc, v0, v15, v0
	s_mov_b32 s0, 0x800000
	v_fma_f32 v18, -v14, v16, 1.0
	v_fmac_f32_e32 v16, v18, v16
	v_mul_f32_e32 v18, v17, v16
	v_fma_f32 v19, -v14, v18, v17
	v_fmac_f32_e32 v18, v19, v16
	v_fma_f32 v14, -v14, v18, v17
	v_div_fmas_f32 v14, v14, v16, v18
	v_div_fixup_f32 v0, v14, v15, v0
	v_add_f32_e32 v0, s17, v0
	v_mul_f32_e32 v14, 0x4b800000, v0
	v_cmp_gt_f32_e32 vcc, s0, v0
	v_cndmask_b32_e32 v0, v0, v14, vcc
	v_rsq_f32_e32 v0, v0
	s_mul_hi_i32 s1, s7, s6
	s_mul_i32 s0, s7, s6
	s_lshl_b64 s[0:1], s[0:1], 1
	v_mul_f32_e32 v14, 0x45800000, v0
	v_cndmask_b32_e32 v14, v0, v14, vcc
	s_add_u32 s12, s28, s0
	v_mov_b32_e32 v15, v14
	s_addc_u32 s0, s29, s1
	;;#ASMSTART
	v_pk_mul_f32 v[12:13], v[12:13], v[14:15]
	;;#ASMEND
	;;#ASMSTART
	v_pk_mul_f32 v[10:11], v[10:11], v[14:15]
	;;#ASMEND
	;;#ASMSTART
	v_pk_mul_f32 v[8:9], v[8:9], v[14:15]
	;;#ASMEND
	;;#ASMSTART
	v_pk_mul_f32 v[6:7], v[6:7], v[14:15]
	;;#ASMEND
	s_waitcnt vmcnt(0)
	v_cvt_f32_u32_sdwa v15, v2 dst_sel:DWORD dst_unused:UNUSED_PAD src0_sel:WORD_1
	v_cvt_f32_u32_sdwa v14, v2 dst_sel:DWORD dst_unused:UNUSED_PAD src0_sel:WORD_0
	v_cvt_f32_u32_sdwa v17, v3 dst_sel:DWORD dst_unused:UNUSED_PAD src0_sel:WORD_1
	v_cvt_f32_u32_sdwa v16, v3 dst_sel:DWORD dst_unused:UNUSED_PAD src0_sel:WORD_0
	;; [unrolled: 2-line block ×4, first 2 shown]
	;;#ASMSTART
	v_pk_mul_f32 v[4:5], v[12:13], v[14:15]
	;;#ASMEND
	s_and_b32 s13, s0, 0xffff
	s_mov_b32 s0, 0x7060302
	;;#ASMSTART
	v_pk_mul_f32 v[10:11], v[10:11], v[16:17]
	;;#ASMEND
	;;#ASMSTART
	v_pk_mul_f32 v[8:9], v[8:9], v[2:3]
	;;#ASMEND
	;; [unrolled: 3-line block ×3, first 2 shown]
	v_perm_b32 v2, v5, v4, s0
	v_perm_b32 v3, v11, v10, s0
	v_perm_b32 v4, v9, v8, s0
	v_perm_b32 v5, v7, v6, s0
	buffer_store_dwordx4 v[2:5], v1, s[12:15], 0 offen
	;;#ASMSTART
	s_nop 0
	;;#ASMEND
	s_endpgm
	.section	.rodata,"a",@progbits
	.p2align	6, 0x0
	.amdhsa_kernel _ZN5aiter35fused_qk_rmsnorm_group_quant_kernelItN4opus5fp4_tELi128ELi8ELi16ELb0ELb0ELb0ELb0ELb0ELb0EEEvPT0_PvPT_S7_S7_PKS6_S9_S9_S9_S9_ffiiiiiiiiiiiii
		.amdhsa_group_segment_fixed_size 16
		.amdhsa_private_segment_fixed_size 0
		.amdhsa_kernarg_size 400
		.amdhsa_user_sgpr_count 6
		.amdhsa_user_sgpr_private_segment_buffer 1
		.amdhsa_user_sgpr_dispatch_ptr 0
		.amdhsa_user_sgpr_queue_ptr 0
		.amdhsa_user_sgpr_kernarg_segment_ptr 1
		.amdhsa_user_sgpr_dispatch_id 0
		.amdhsa_user_sgpr_flat_scratch_init 0
		.amdhsa_user_sgpr_kernarg_preload_length 0
		.amdhsa_user_sgpr_kernarg_preload_offset 0
		.amdhsa_user_sgpr_private_segment_size 0
		.amdhsa_uses_dynamic_stack 0
		.amdhsa_system_sgpr_private_segment_wavefront_offset 0
		.amdhsa_system_sgpr_workgroup_id_x 1
		.amdhsa_system_sgpr_workgroup_id_y 1
		.amdhsa_system_sgpr_workgroup_id_z 0
		.amdhsa_system_sgpr_workgroup_info 0
		.amdhsa_system_vgpr_workitem_id 0
		.amdhsa_next_free_vgpr 23
		.amdhsa_next_free_sgpr 32
		.amdhsa_accum_offset 24
		.amdhsa_reserve_vcc 1
		.amdhsa_reserve_flat_scratch 0
		.amdhsa_float_round_mode_32 0
		.amdhsa_float_round_mode_16_64 0
		.amdhsa_float_denorm_mode_32 3
		.amdhsa_float_denorm_mode_16_64 3
		.amdhsa_dx10_clamp 1
		.amdhsa_ieee_mode 1
		.amdhsa_fp16_overflow 0
		.amdhsa_tg_split 0
		.amdhsa_exception_fp_ieee_invalid_op 0
		.amdhsa_exception_fp_denorm_src 0
		.amdhsa_exception_fp_ieee_div_zero 0
		.amdhsa_exception_fp_ieee_overflow 0
		.amdhsa_exception_fp_ieee_underflow 0
		.amdhsa_exception_fp_ieee_inexact 0
		.amdhsa_exception_int_div_zero 0
	.end_amdhsa_kernel
	.section	.text._ZN5aiter35fused_qk_rmsnorm_group_quant_kernelItN4opus5fp4_tELi128ELi8ELi16ELb0ELb0ELb0ELb0ELb0ELb0EEEvPT0_PvPT_S7_S7_PKS6_S9_S9_S9_S9_ffiiiiiiiiiiiii,"axG",@progbits,_ZN5aiter35fused_qk_rmsnorm_group_quant_kernelItN4opus5fp4_tELi128ELi8ELi16ELb0ELb0ELb0ELb0ELb0ELb0EEEvPT0_PvPT_S7_S7_PKS6_S9_S9_S9_S9_ffiiiiiiiiiiiii,comdat
.Lfunc_end360:
	.size	_ZN5aiter35fused_qk_rmsnorm_group_quant_kernelItN4opus5fp4_tELi128ELi8ELi16ELb0ELb0ELb0ELb0ELb0ELb0EEEvPT0_PvPT_S7_S7_PKS6_S9_S9_S9_S9_ffiiiiiiiiiiiii, .Lfunc_end360-_ZN5aiter35fused_qk_rmsnorm_group_quant_kernelItN4opus5fp4_tELi128ELi8ELi16ELb0ELb0ELb0ELb0ELb0ELb0EEEvPT0_PvPT_S7_S7_PKS6_S9_S9_S9_S9_ffiiiiiiiiiiiii
                                        ; -- End function
	.section	.AMDGPU.csdata,"",@progbits
; Kernel info:
; codeLenInByte = 2288
; NumSgprs: 36
; NumVgprs: 23
; NumAgprs: 0
; TotalNumVgprs: 23
; ScratchSize: 0
; MemoryBound: 0
; FloatMode: 240
; IeeeMode: 1
; LDSByteSize: 16 bytes/workgroup (compile time only)
; SGPRBlocks: 4
; VGPRBlocks: 2
; NumSGPRsForWavesPerEU: 36
; NumVGPRsForWavesPerEU: 23
; AccumOffset: 24
; Occupancy: 8
; WaveLimiterHint : 0
; COMPUTE_PGM_RSRC2:SCRATCH_EN: 0
; COMPUTE_PGM_RSRC2:USER_SGPR: 6
; COMPUTE_PGM_RSRC2:TRAP_HANDLER: 0
; COMPUTE_PGM_RSRC2:TGID_X_EN: 1
; COMPUTE_PGM_RSRC2:TGID_Y_EN: 1
; COMPUTE_PGM_RSRC2:TGID_Z_EN: 0
; COMPUTE_PGM_RSRC2:TIDIG_COMP_CNT: 0
; COMPUTE_PGM_RSRC3_GFX90A:ACCUM_OFFSET: 5
; COMPUTE_PGM_RSRC3_GFX90A:TG_SPLIT: 0
	.section	.text._ZN5aiter35fused_qk_rmsnorm_group_quant_kernelIDF16_DB8_Li128ELi8ELi8ELb1ELb1ELb1ELb1ELb0ELb0EEEvPT0_PvPT_S6_S6_PKS5_S8_S8_S8_S8_ffiiiiiiiiiiiii,"axG",@progbits,_ZN5aiter35fused_qk_rmsnorm_group_quant_kernelIDF16_DB8_Li128ELi8ELi8ELb1ELb1ELb1ELb1ELb0ELb0EEEvPT0_PvPT_S6_S6_PKS5_S8_S8_S8_S8_ffiiiiiiiiiiiii,comdat
	.protected	_ZN5aiter35fused_qk_rmsnorm_group_quant_kernelIDF16_DB8_Li128ELi8ELi8ELb1ELb1ELb1ELb1ELb0ELb0EEEvPT0_PvPT_S6_S6_PKS5_S8_S8_S8_S8_ffiiiiiiiiiiiii ; -- Begin function _ZN5aiter35fused_qk_rmsnorm_group_quant_kernelIDF16_DB8_Li128ELi8ELi8ELb1ELb1ELb1ELb1ELb0ELb0EEEvPT0_PvPT_S6_S6_PKS5_S8_S8_S8_S8_ffiiiiiiiiiiiii
	.globl	_ZN5aiter35fused_qk_rmsnorm_group_quant_kernelIDF16_DB8_Li128ELi8ELi8ELb1ELb1ELb1ELb1ELb0ELb0EEEvPT0_PvPT_S6_S6_PKS5_S8_S8_S8_S8_ffiiiiiiiiiiiii
	.p2align	8
	.type	_ZN5aiter35fused_qk_rmsnorm_group_quant_kernelIDF16_DB8_Li128ELi8ELi8ELb1ELb1ELb1ELb1ELb0ELb0EEEvPT0_PvPT_S6_S6_PKS5_S8_S8_S8_S8_ffiiiiiiiiiiiii,@function
_ZN5aiter35fused_qk_rmsnorm_group_quant_kernelIDF16_DB8_Li128ELi8ELi8ELb1ELb1ELb1ELb1ELb0ELb0EEEvPT0_PvPT_S6_S6_PKS5_S8_S8_S8_S8_ffiiiiiiiiiiiii: ; @_ZN5aiter35fused_qk_rmsnorm_group_quant_kernelIDF16_DB8_Li128ELi8ELi8ELb1ELb1ELb1ELb1ELb0ELb0EEEvPT0_PvPT_S6_S6_PKS5_S8_S8_S8_S8_ffiiiiiiiiiiiii
; %bb.0:
	s_load_dwordx8 s[12:19], s[4:5], 0x50
	s_waitcnt lgkmcnt(0)
	s_cmp_ge_i32 s6, s14
	s_cbranch_scc1 .LBB361_17
; %bb.1:
	s_cmp_lg_u32 s7, 0
	s_cselect_b64 s[22:23], -1, 0
	s_cmp_eq_u32 s7, 0
	s_cselect_b64 s[2:3], -1, 0
	s_and_b64 s[0:1], s[2:3], exec
	s_cselect_b32 s7, s15, s16
	s_load_dwordx2 s[10:11], s[4:5], 0x30
	s_load_dwordx2 s[20:21], s[4:5], 0x48
	s_add_i32 s0, s7, 1
	s_lshr_b32 s1, s0, 31
	s_add_i32 s0, s0, s1
	s_lshl_b32 s0, s0, 1
	v_lshlrev_b32_e32 v1, 3, v0
	s_and_b32 s30, s0, -4
	v_cmp_gt_i32_e64 s[0:1], s7, v1
	v_mov_b32_e32 v2, 0
	v_mov_b32_e32 v3, 0
	;; [unrolled: 1-line block ×8, first 2 shown]
	s_and_saveexec_b64 s[8:9], s[0:1]
	s_cbranch_execz .LBB361_3
; %bb.2:
	s_load_dwordx2 s[14:15], s[4:5], 0x28
	s_load_dwordx2 s[26:27], s[4:5], 0x40
	s_and_b64 s[24:25], s[2:3], exec
	s_cselect_b32 s17, s17, s18
	s_mov_b32 s31, 0x20000
	s_waitcnt lgkmcnt(0)
	s_cselect_b32 s25, s15, s11
	s_cselect_b32 s24, s14, s10
	s_mul_hi_i32 s15, s17, s6
	s_mul_i32 s14, s17, s6
	s_lshl_b64 s[14:15], s[14:15], 1
	s_add_u32 s24, s24, s14
	s_addc_u32 s17, s25, s15
	s_and_b64 s[14:15], s[2:3], exec
	s_cselect_b32 s28, s26, s20
	s_cselect_b32 s14, s27, s21
	v_lshlrev_b32_e32 v10, 4, v0
	s_and_b32 s25, s17, 0xffff
	s_mov_b32 s26, s30
	s_mov_b32 s27, s31
	s_and_b32 s29, s14, 0xffff
	buffer_load_dwordx4 v[6:9], v10, s[24:27], 0 offen glc slc
	buffer_load_dwordx4 v[2:5], v10, s[28:31], 0 offen
.LBB361_3:
	s_or_b64 exec, exec, s[8:9]
	s_load_dwordx4 s[24:27], s[4:5], 0x7c
	s_and_b64 vcc, exec, s[22:23]
	s_cbranch_vccz .LBB361_7
; %bb.4:
	v_mov_b32_e32 v11, 0
	v_mov_b32_e32 v10, 0
	;; [unrolled: 1-line block ×8, first 2 shown]
	s_and_saveexec_b64 s[8:9], s[0:1]
	s_cbranch_execz .LBB361_6
; %bb.5:
	s_waitcnt vmcnt(1)
	v_cvt_f32_f16_sdwa v13, v6 dst_sel:DWORD dst_unused:UNUSED_PAD src0_sel:WORD_1
	v_cvt_f32_f16_e32 v12, v6
	v_cvt_f32_f16_sdwa v17, v7 dst_sel:DWORD dst_unused:UNUSED_PAD src0_sel:WORD_1
	v_cvt_f32_f16_e32 v16, v7
	;; [unrolled: 2-line block ×4, first 2 shown]
.LBB361_6:
	s_or_b64 exec, exec, s[8:9]
	s_cbranch_execz .LBB361_8
	s_branch .LBB361_11
.LBB361_7:
                                        ; implicit-def: $vgpr11
                                        ; implicit-def: $vgpr15
                                        ; implicit-def: $vgpr17
                                        ; implicit-def: $vgpr13
.LBB361_8:
	v_mov_b32_e32 v11, 0
	v_mov_b32_e32 v10, 0
	;; [unrolled: 1-line block ×8, first 2 shown]
	s_and_saveexec_b64 s[8:9], s[0:1]
	s_cbranch_execz .LBB361_10
; %bb.9:
	s_load_dwordx2 s[14:15], s[4:5], 0x38
	s_mul_hi_i32 s29, s19, s6
	s_mul_i32 s28, s19, s6
	s_lshl_b64 s[28:29], s[28:29], 1
	s_mov_b32 s31, 0x20000
	s_waitcnt lgkmcnt(0)
	s_add_u32 s28, s14, s28
	s_addc_u32 s14, s15, s29
	s_and_b32 s29, s14, 0xffff
	v_lshlrev_b32_e32 v24, 4, v0
	buffer_load_dwordx4 v[10:13], v24, s[28:31], 0 offen glc slc
	s_waitcnt vmcnt(2)
	v_cvt_f32_f16_sdwa v15, v6 dst_sel:DWORD dst_unused:UNUSED_PAD src0_sel:WORD_1
	v_cvt_f32_f16_e32 v14, v6
	v_cvt_f32_f16_sdwa v17, v7 dst_sel:DWORD dst_unused:UNUSED_PAD src0_sel:WORD_1
	v_cvt_f32_f16_e32 v16, v7
	;; [unrolled: 2-line block ×4, first 2 shown]
	s_load_dwordx2 s[14:15], s[4:5], 0x20
	s_mul_hi_i32 s27, s26, s6
	s_mul_i32 s26, s26, s6
	s_lshl_b64 s[26:27], s[26:27], 1
	s_waitcnt lgkmcnt(0)
	s_add_u32 s28, s14, s26
	s_addc_u32 s14, s15, s27
	s_and_b32 s29, s14, 0xffff
	s_waitcnt vmcnt(0)
	v_cvt_f32_f16_e32 v8, v10
	v_cvt_f32_f16_sdwa v9, v10 dst_sel:DWORD dst_unused:UNUSED_PAD src0_sel:WORD_1
	v_cvt_f32_f16_e32 v10, v11
	v_cvt_f32_f16_sdwa v11, v11 dst_sel:DWORD dst_unused:UNUSED_PAD src0_sel:WORD_1
	;; [unrolled: 2-line block ×4, first 2 shown]
	v_pk_add_f32 v[12:13], v[14:15], v[8:9]
	v_pk_add_f32 v[16:17], v[16:17], v[10:11]
	;; [unrolled: 1-line block ×4, first 2 shown]
	v_cvt_f16_f32_e32 v6, v13
	v_cvt_f16_f32_e32 v7, v17
	v_cvt_f16_f32_e32 v8, v15
	v_cvt_f16_f32_e32 v9, v11
	v_cvt_f16_f32_e32 v18, v10
	v_cvt_f16_f32_e32 v19, v14
	v_cvt_f16_f32_e32 v20, v16
	v_cvt_f16_f32_e32 v21, v12
	v_pack_b32_f16 v9, v18, v9
	v_pack_b32_f16 v8, v19, v8
	;; [unrolled: 1-line block ×4, first 2 shown]
	buffer_store_dwordx4 v[6:9], v24, s[28:31], 0 offen glc slc
	;;#ASMSTART
	s_nop 0
	;;#ASMEND
.LBB361_10:
	s_or_b64 exec, exec, s[8:9]
.LBB361_11:
	s_waitcnt vmcnt(1)
	v_mul_f32_e32 v6, v13, v13
	v_fmac_f32_e32 v6, v12, v12
	v_fmac_f32_e32 v6, v16, v16
	;; [unrolled: 1-line block ×7, first 2 shown]
	v_and_b32_e32 v8, 63, v0
	v_cmp_eq_u32_e64 s[8:9], 63, v8
	v_mov_b32_dpp v7, v6 quad_perm:[1,0,3,2] row_mask:0xf bank_mask:0xf
	v_add_f32_e32 v6, v6, v7
	s_nop 1
	v_mov_b32_dpp v7, v6 quad_perm:[2,3,0,1] row_mask:0xf bank_mask:0xf
	v_add_f32_e32 v6, v6, v7
	s_nop 1
	v_mov_b32_dpp v7, v6 row_half_mirror row_mask:0xf bank_mask:0xf
	v_add_f32_e32 v6, v6, v7
	s_nop 1
	v_mov_b32_dpp v7, v6 row_mirror row_mask:0xf bank_mask:0xf
	v_add_f32_e32 v6, v6, v7
	s_nop 1
	v_mov_b32_dpp v7, v6 row_bcast:15 row_mask:0xf bank_mask:0xf
	v_add_f32_e32 v6, v6, v7
	s_nop 1
	v_mov_b32_dpp v7, v6 row_bcast:31 row_mask:0xf bank_mask:0xf
	s_and_saveexec_b64 s[14:15], s[8:9]
	s_cbranch_execz .LBB361_13
; %bb.12:
	v_add_f32_e32 v6, v6, v7
	v_lshrrev_b32_e32 v7, 4, v0
	v_and_b32_e32 v7, 60, v7
	ds_write_b32 v7, v6 offset:8
.LBB361_13:
	s_or_b64 exec, exec, s[14:15]
	v_and_b32_e32 v6, 1, v0
	v_lshlrev_b32_e32 v18, 2, v6
	s_waitcnt lgkmcnt(0)
	s_barrier
	ds_read_b32 v6, v18 offset:8
	s_load_dwordx2 s[14:15], s[4:5], 0x18
	s_waitcnt lgkmcnt(0)
	v_mov_b32_dpp v7, v6 quad_perm:[1,0,3,2] row_mask:0xf bank_mask:0xf
	s_and_saveexec_b64 s[26:27], s[0:1]
	s_cbranch_execnz .LBB361_18
; %bb.14:
	s_or_b64 exec, exec, s[26:27]
	s_mov_b64 s[2:3], -1
	s_and_b64 vcc, exec, s[22:23]
	s_cbranch_vccnz .LBB361_19
.LBB361_15:
	s_andn2_b64 vcc, exec, s[2:3]
	s_cbranch_vccz .LBB361_22
.LBB361_16:
	s_cmp_lt_i32 s16, 1
	s_cbranch_scc0 .LBB361_25
.LBB361_17:
	s_endpgm
.LBB361_18:
	v_cvt_f32_u32_e32 v8, s7
	v_add_f32_e32 v6, v6, v7
	v_mov_b32_e32 v19, s13
	v_mov_b32_e32 v20, s12
	v_div_scale_f32 v7, s[28:29], v8, v8, v6
	v_rcp_f32_e32 v9, v7
	v_cndmask_b32_e64 v19, v19, v20, s[2:3]
	s_mov_b32 s2, 0x800000
	v_fma_f32 v20, -v7, v9, 1.0
	v_fmac_f32_e32 v9, v20, v9
	v_div_scale_f32 v20, vcc, v6, v8, v6
	v_mul_f32_e32 v21, v20, v9
	v_fma_f32 v22, -v7, v21, v20
	v_fmac_f32_e32 v21, v22, v9
	v_fma_f32 v7, -v7, v21, v20
	v_div_fmas_f32 v7, v7, v9, v21
	v_div_fixup_f32 v6, v7, v8, v6
	v_add_f32_e32 v6, v19, v6
	v_mul_f32_e32 v7, 0x4b800000, v6
	v_cmp_gt_f32_e32 vcc, s2, v6
	v_cndmask_b32_e32 v6, v6, v7, vcc
	v_rsq_f32_e32 v6, v6
	s_waitcnt vmcnt(0)
	v_cvt_f32_f16_sdwa v21, v3 dst_sel:DWORD dst_unused:UNUSED_PAD src0_sel:WORD_1
	v_cvt_f32_f16_e32 v20, v3
	v_mul_f32_e32 v7, 0x45800000, v6
	v_cndmask_b32_e32 v6, v6, v7, vcc
	v_mov_b32_e32 v7, v6
	;;#ASMSTART
	v_pk_mul_f32 v[8:9], v[12:13], v[6:7]
	;;#ASMEND
	v_cvt_f32_f16_sdwa v13, v2 dst_sel:DWORD dst_unused:UNUSED_PAD src0_sel:WORD_1
	v_cvt_f32_f16_e32 v12, v2
	;;#ASMSTART
	v_pk_mul_f32 v[16:17], v[16:17], v[6:7]
	;;#ASMEND
	;;#ASMSTART
	v_pk_mul_f32 v[14:15], v[14:15], v[6:7]
	;;#ASMEND
	;; [unrolled: 3-line block ×3, first 2 shown]
	v_pk_add_f32 v[6:7], v[12:13], 1.0 op_sel_hi:[1,0]
	;;#ASMSTART
	v_pk_mul_f32 v[12:13], v[8:9], v[6:7]
	;;#ASMEND
	v_cvt_f32_f16_sdwa v9, v4 dst_sel:DWORD dst_unused:UNUSED_PAD src0_sel:WORD_1
	v_cvt_f32_f16_e32 v8, v4
	v_cvt_f32_f16_sdwa v11, v5 dst_sel:DWORD dst_unused:UNUSED_PAD src0_sel:WORD_1
	v_cvt_f32_f16_e32 v10, v5
	v_pk_add_f32 v[6:7], v[20:21], 1.0 op_sel_hi:[1,0]
	v_pk_add_f32 v[4:5], v[8:9], 1.0 op_sel_hi:[1,0]
	;;#ASMSTART
	v_pk_mul_f32 v[16:17], v[16:17], v[6:7]
	;;#ASMEND
	;;#ASMSTART
	v_pk_mul_f32 v[14:15], v[14:15], v[4:5]
	;;#ASMEND
	v_pk_add_f32 v[4:5], v[10:11], 1.0 op_sel_hi:[1,0]
	;;#ASMSTART
	v_pk_mul_f32 v[10:11], v[2:3], v[4:5]
	;;#ASMEND
	s_or_b64 exec, exec, s[26:27]
	s_mov_b64 s[2:3], -1
	s_and_b64 vcc, exec, s[22:23]
	s_cbranch_vccz .LBB361_15
.LBB361_19:
	s_and_saveexec_b64 s[2:3], s[0:1]
	s_cbranch_execz .LBB361_21
; %bb.20:
	s_mul_hi_i32 s23, s25, s6
	s_mul_i32 s22, s25, s6
	s_waitcnt vmcnt(0)
	v_cvt_f16_f32_e32 v2, v12
	v_cvt_f16_f32_e32 v3, v16
	;; [unrolled: 1-line block ×8, first 2 shown]
	s_lshl_b64 s[22:23], s[22:23], 1
	s_add_u32 s28, s14, s22
	s_addc_u32 s7, s15, s23
	s_and_b32 s29, s7, 0xffff
	s_mov_b32 s31, 0x20000
	v_pack_b32_f16 v5, v5, v6
	v_pack_b32_f16 v4, v4, v7
	;; [unrolled: 1-line block ×4, first 2 shown]
	v_lshlrev_b32_e32 v6, 4, v0
	buffer_store_dwordx4 v[2:5], v6, s[28:31], 0 offen
	;;#ASMSTART
	s_nop 0
	;;#ASMEND
.LBB361_21:
	s_or_b64 exec, exec, s[2:3]
	s_cbranch_execnz .LBB361_16
.LBB361_22:
	s_and_saveexec_b64 s[2:3], s[0:1]
	s_cbranch_execz .LBB361_24
; %bb.23:
	s_load_dwordx2 s[0:1], s[4:5], 0x10
	s_mul_hi_i32 s23, s24, s6
	s_mul_i32 s22, s24, s6
	s_waitcnt vmcnt(0)
	v_cvt_f16_f32_e32 v2, v12
	v_cvt_f16_f32_e32 v3, v16
	;; [unrolled: 1-line block ×8, first 2 shown]
	s_lshl_b64 s[22:23], s[22:23], 1
	s_waitcnt lgkmcnt(0)
	s_add_u32 s28, s0, s22
	s_addc_u32 s0, s1, s23
	s_mov_b32 s31, 0x20000
	s_and_b32 s29, s0, 0xffff
	v_pack_b32_f16 v5, v5, v6
	v_pack_b32_f16 v4, v4, v7
	;; [unrolled: 1-line block ×4, first 2 shown]
	v_lshlrev_b32_e32 v6, 4, v0
	buffer_store_dwordx4 v[2:5], v6, s[28:31], 0 offen
	;;#ASMSTART
	s_nop 0
	;;#ASMEND
.LBB361_24:
	s_or_b64 exec, exec, s[2:3]
	s_cmp_lt_i32 s16, 1
	s_cbranch_scc1 .LBB361_17
.LBB361_25:
	s_load_dword s0, s[4:5], 0x94
	s_waitcnt lgkmcnt(0)
	s_cmp_lg_u32 s0, 1
	s_cbranch_scc1 .LBB361_17
; %bb.26:
	s_lshl_b32 s0, s16, 1
	s_add_i32 s0, s0, 2
	v_cmp_gt_u32_e32 vcc, s16, v1
	s_and_b32 s22, s0, -4
	v_mov_b32_e32 v10, 0
	v_lshlrev_b32_e32 v1, 4, v0
	v_mov_b32_e32 v6, 0
	v_mov_b32_e32 v7, 0
	;; [unrolled: 1-line block ×4, first 2 shown]
	s_waitcnt vmcnt(0)
	v_mov_b32_e32 v2, 0
	v_mov_b32_e32 v3, 0
	;; [unrolled: 1-line block ×4, first 2 shown]
	s_barrier
	s_and_saveexec_b64 s[0:1], vcc
	s_cbranch_execz .LBB361_28
; %bb.27:
	s_mul_hi_i32 s3, s18, s6
	s_mul_i32 s2, s18, s6
	s_and_b32 s21, s21, 0xffff
	s_lshl_b64 s[2:3], s[2:3], 1
	s_add_u32 s28, s10, s2
	s_mov_b32 s23, 0x20000
	s_addc_u32 s2, s11, s3
	s_and_b32 s29, s2, 0xffff
	s_mov_b32 s30, s22
	s_mov_b32 s31, s23
	buffer_load_dwordx4 v[6:9], v1, s[28:31], 0 offen glc slc
	buffer_load_dwordx4 v[2:5], v1, s[20:23], 0 offen
.LBB361_28:
	s_or_b64 exec, exec, s[0:1]
	v_mov_b32_e32 v11, 0
	v_mov_b32_e32 v16, 0
	;; [unrolled: 1-line block ×7, first 2 shown]
	s_and_saveexec_b64 s[0:1], vcc
	s_cbranch_execz .LBB361_30
; %bb.29:
	s_waitcnt vmcnt(1)
	v_cvt_f32_f16_sdwa v11, v6 dst_sel:DWORD dst_unused:UNUSED_PAD src0_sel:WORD_1
	v_cvt_f32_f16_e32 v10, v6
	v_cvt_f32_f16_sdwa v17, v7 dst_sel:DWORD dst_unused:UNUSED_PAD src0_sel:WORD_1
	v_cvt_f32_f16_e32 v16, v7
	v_cvt_f32_f16_sdwa v15, v8 dst_sel:DWORD dst_unused:UNUSED_PAD src0_sel:WORD_1
	v_cvt_f32_f16_e32 v14, v8
	v_cvt_f32_f16_sdwa v13, v9 dst_sel:DWORD dst_unused:UNUSED_PAD src0_sel:WORD_1
	v_cvt_f32_f16_e32 v12, v9
.LBB361_30:
	s_or_b64 exec, exec, s[0:1]
	s_waitcnt vmcnt(1)
	v_mul_f32_e32 v6, v11, v11
	v_fmac_f32_e32 v6, v10, v10
	v_fmac_f32_e32 v6, v16, v16
	;; [unrolled: 1-line block ×7, first 2 shown]
	s_nop 1
	v_mov_b32_dpp v7, v6 quad_perm:[1,0,3,2] row_mask:0xf bank_mask:0xf
	v_add_f32_e32 v6, v6, v7
	s_nop 1
	v_mov_b32_dpp v7, v6 quad_perm:[2,3,0,1] row_mask:0xf bank_mask:0xf
	v_add_f32_e32 v6, v6, v7
	s_nop 1
	v_mov_b32_dpp v7, v6 row_half_mirror row_mask:0xf bank_mask:0xf
	v_add_f32_e32 v6, v6, v7
	s_nop 1
	v_mov_b32_dpp v7, v6 row_mirror row_mask:0xf bank_mask:0xf
	v_add_f32_e32 v6, v6, v7
	s_nop 1
	v_mov_b32_dpp v7, v6 row_bcast:15 row_mask:0xf bank_mask:0xf
	v_add_f32_e32 v6, v6, v7
	s_nop 1
	v_mov_b32_dpp v7, v6 row_bcast:31 row_mask:0xf bank_mask:0xf
	s_and_saveexec_b64 s[0:1], s[8:9]
	s_cbranch_execz .LBB361_32
; %bb.31:
	v_lshrrev_b32_e32 v0, 4, v0
	v_add_f32_e32 v6, v6, v7
	v_and_b32_e32 v0, 60, v0
	ds_write_b32 v0, v6
.LBB361_32:
	s_or_b64 exec, exec, s[0:1]
	s_waitcnt lgkmcnt(0)
	s_barrier
	ds_read_b32 v0, v18
	s_waitcnt lgkmcnt(0)
	s_nop 0
	v_mov_b32_dpp v6, v0 quad_perm:[1,0,3,2] row_mask:0xf bank_mask:0xf
	s_and_saveexec_b64 s[0:1], vcc
	s_cbranch_execz .LBB361_17
; %bb.33:
	v_cvt_f32_u32_e32 v7, s16
	v_add_f32_e32 v0, v0, v6
	s_mov_b32 s23, 0x20000
	v_div_scale_f32 v6, s[0:1], v7, v7, v0
	v_rcp_f32_e32 v8, v6
	v_div_scale_f32 v9, vcc, v0, v7, v0
	s_mov_b32 s0, 0x800000
	v_fma_f32 v18, -v6, v8, 1.0
	v_fmac_f32_e32 v8, v18, v8
	v_mul_f32_e32 v18, v9, v8
	v_fma_f32 v19, -v6, v18, v9
	v_fmac_f32_e32 v18, v19, v8
	v_fma_f32 v6, -v6, v18, v9
	v_div_fmas_f32 v6, v6, v8, v18
	v_div_fixup_f32 v0, v6, v7, v0
	v_add_f32_e32 v0, s13, v0
	v_mul_f32_e32 v6, 0x4b800000, v0
	v_cmp_gt_f32_e32 vcc, s0, v0
	v_cndmask_b32_e32 v0, v0, v6, vcc
	v_rsq_f32_e32 v0, v0
	s_waitcnt vmcnt(0)
	v_cvt_f32_f16_sdwa v19, v3 dst_sel:DWORD dst_unused:UNUSED_PAD src0_sel:WORD_1
	v_cvt_f32_f16_e32 v18, v3
	s_mul_hi_i32 s1, s25, s6
	v_mul_f32_e32 v6, 0x45800000, v0
	v_cndmask_b32_e32 v6, v0, v6, vcc
	v_mov_b32_e32 v7, v6
	;;#ASMSTART
	v_pk_mul_f32 v[8:9], v[10:11], v[6:7]
	;;#ASMEND
	;;#ASMSTART
	v_pk_mul_f32 v[10:11], v[16:17], v[6:7]
	;;#ASMEND
	v_cvt_f32_f16_sdwa v17, v2 dst_sel:DWORD dst_unused:UNUSED_PAD src0_sel:WORD_1
	v_cvt_f32_f16_e32 v16, v2
	;;#ASMSTART
	v_pk_mul_f32 v[14:15], v[14:15], v[6:7]
	;;#ASMEND
	;;#ASMSTART
	v_pk_mul_f32 v[2:3], v[12:13], v[6:7]
	;;#ASMEND
	v_cvt_f32_f16_sdwa v13, v4 dst_sel:DWORD dst_unused:UNUSED_PAD src0_sel:WORD_1
	v_cvt_f32_f16_e32 v12, v4
	v_pk_add_f32 v[6:7], v[16:17], 1.0 op_sel_hi:[1,0]
	v_cvt_f32_f16_sdwa v17, v5 dst_sel:DWORD dst_unused:UNUSED_PAD src0_sel:WORD_1
	v_cvt_f32_f16_e32 v16, v5
	;;#ASMSTART
	v_pk_mul_f32 v[6:7], v[8:9], v[6:7]
	;;#ASMEND
	v_pk_add_f32 v[8:9], v[18:19], 1.0 op_sel_hi:[1,0]
	;;#ASMSTART
	v_pk_mul_f32 v[4:5], v[10:11], v[8:9]
	;;#ASMEND
	v_pk_add_f32 v[8:9], v[12:13], 1.0 op_sel_hi:[1,0]
	;; [unrolled: 4-line block ×3, first 2 shown]
	;;#ASMSTART
	v_pk_mul_f32 v[2:3], v[2:3], v[10:11]
	;;#ASMEND
	s_mul_i32 s0, s25, s6
	v_cvt_f16_f32_e32 v0, v6
	v_cvt_f16_f32_e32 v6, v7
	;; [unrolled: 1-line block ×8, first 2 shown]
	s_lshl_b64 s[0:1], s[0:1], 1
	s_add_u32 s20, s14, s0
	s_addc_u32 s0, s15, s1
	s_and_b32 s21, s0, 0xffff
	v_pack_b32_f16 v2, v0, v6
	v_pack_b32_f16 v3, v4, v5
	;; [unrolled: 1-line block ×4, first 2 shown]
	buffer_store_dwordx4 v[2:5], v1, s[20:23], 0 offen
	;;#ASMSTART
	s_nop 0
	;;#ASMEND
	s_endpgm
	.section	.rodata,"a",@progbits
	.p2align	6, 0x0
	.amdhsa_kernel _ZN5aiter35fused_qk_rmsnorm_group_quant_kernelIDF16_DB8_Li128ELi8ELi8ELb1ELb1ELb1ELb1ELb0ELb0EEEvPT0_PvPT_S6_S6_PKS5_S8_S8_S8_S8_ffiiiiiiiiiiiii
		.amdhsa_group_segment_fixed_size 16
		.amdhsa_private_segment_fixed_size 0
		.amdhsa_kernarg_size 400
		.amdhsa_user_sgpr_count 6
		.amdhsa_user_sgpr_private_segment_buffer 1
		.amdhsa_user_sgpr_dispatch_ptr 0
		.amdhsa_user_sgpr_queue_ptr 0
		.amdhsa_user_sgpr_kernarg_segment_ptr 1
		.amdhsa_user_sgpr_dispatch_id 0
		.amdhsa_user_sgpr_flat_scratch_init 0
		.amdhsa_user_sgpr_kernarg_preload_length 0
		.amdhsa_user_sgpr_kernarg_preload_offset 0
		.amdhsa_user_sgpr_private_segment_size 0
		.amdhsa_uses_dynamic_stack 0
		.amdhsa_system_sgpr_private_segment_wavefront_offset 0
		.amdhsa_system_sgpr_workgroup_id_x 1
		.amdhsa_system_sgpr_workgroup_id_y 1
		.amdhsa_system_sgpr_workgroup_id_z 0
		.amdhsa_system_sgpr_workgroup_info 0
		.amdhsa_system_vgpr_workitem_id 0
		.amdhsa_next_free_vgpr 25
		.amdhsa_next_free_sgpr 32
		.amdhsa_accum_offset 28
		.amdhsa_reserve_vcc 1
		.amdhsa_reserve_flat_scratch 0
		.amdhsa_float_round_mode_32 0
		.amdhsa_float_round_mode_16_64 0
		.amdhsa_float_denorm_mode_32 3
		.amdhsa_float_denorm_mode_16_64 3
		.amdhsa_dx10_clamp 1
		.amdhsa_ieee_mode 1
		.amdhsa_fp16_overflow 0
		.amdhsa_tg_split 0
		.amdhsa_exception_fp_ieee_invalid_op 0
		.amdhsa_exception_fp_denorm_src 0
		.amdhsa_exception_fp_ieee_div_zero 0
		.amdhsa_exception_fp_ieee_overflow 0
		.amdhsa_exception_fp_ieee_underflow 0
		.amdhsa_exception_fp_ieee_inexact 0
		.amdhsa_exception_int_div_zero 0
	.end_amdhsa_kernel
	.section	.text._ZN5aiter35fused_qk_rmsnorm_group_quant_kernelIDF16_DB8_Li128ELi8ELi8ELb1ELb1ELb1ELb1ELb0ELb0EEEvPT0_PvPT_S6_S6_PKS5_S8_S8_S8_S8_ffiiiiiiiiiiiii,"axG",@progbits,_ZN5aiter35fused_qk_rmsnorm_group_quant_kernelIDF16_DB8_Li128ELi8ELi8ELb1ELb1ELb1ELb1ELb0ELb0EEEvPT0_PvPT_S6_S6_PKS5_S8_S8_S8_S8_ffiiiiiiiiiiiii,comdat
.Lfunc_end361:
	.size	_ZN5aiter35fused_qk_rmsnorm_group_quant_kernelIDF16_DB8_Li128ELi8ELi8ELb1ELb1ELb1ELb1ELb0ELb0EEEvPT0_PvPT_S6_S6_PKS5_S8_S8_S8_S8_ffiiiiiiiiiiiii, .Lfunc_end361-_ZN5aiter35fused_qk_rmsnorm_group_quant_kernelIDF16_DB8_Li128ELi8ELi8ELb1ELb1ELb1ELb1ELb0ELb0EEEvPT0_PvPT_S6_S6_PKS5_S8_S8_S8_S8_ffiiiiiiiiiiiii
                                        ; -- End function
	.section	.AMDGPU.csdata,"",@progbits
; Kernel info:
; codeLenInByte = 2448
; NumSgprs: 36
; NumVgprs: 25
; NumAgprs: 0
; TotalNumVgprs: 25
; ScratchSize: 0
; MemoryBound: 0
; FloatMode: 240
; IeeeMode: 1
; LDSByteSize: 16 bytes/workgroup (compile time only)
; SGPRBlocks: 4
; VGPRBlocks: 3
; NumSGPRsForWavesPerEU: 36
; NumVGPRsForWavesPerEU: 25
; AccumOffset: 28
; Occupancy: 8
; WaveLimiterHint : 0
; COMPUTE_PGM_RSRC2:SCRATCH_EN: 0
; COMPUTE_PGM_RSRC2:USER_SGPR: 6
; COMPUTE_PGM_RSRC2:TRAP_HANDLER: 0
; COMPUTE_PGM_RSRC2:TGID_X_EN: 1
; COMPUTE_PGM_RSRC2:TGID_Y_EN: 1
; COMPUTE_PGM_RSRC2:TGID_Z_EN: 0
; COMPUTE_PGM_RSRC2:TIDIG_COMP_CNT: 0
; COMPUTE_PGM_RSRC3_GFX90A:ACCUM_OFFSET: 6
; COMPUTE_PGM_RSRC3_GFX90A:TG_SPLIT: 0
	.section	.text._ZN5aiter35fused_qk_rmsnorm_group_quant_kernelItDB8_Li128ELi8ELi8ELb1ELb1ELb1ELb1ELb0ELb0EEEvPT0_PvPT_S6_S6_PKS5_S8_S8_S8_S8_ffiiiiiiiiiiiii,"axG",@progbits,_ZN5aiter35fused_qk_rmsnorm_group_quant_kernelItDB8_Li128ELi8ELi8ELb1ELb1ELb1ELb1ELb0ELb0EEEvPT0_PvPT_S6_S6_PKS5_S8_S8_S8_S8_ffiiiiiiiiiiiii,comdat
	.protected	_ZN5aiter35fused_qk_rmsnorm_group_quant_kernelItDB8_Li128ELi8ELi8ELb1ELb1ELb1ELb1ELb0ELb0EEEvPT0_PvPT_S6_S6_PKS5_S8_S8_S8_S8_ffiiiiiiiiiiiii ; -- Begin function _ZN5aiter35fused_qk_rmsnorm_group_quant_kernelItDB8_Li128ELi8ELi8ELb1ELb1ELb1ELb1ELb0ELb0EEEvPT0_PvPT_S6_S6_PKS5_S8_S8_S8_S8_ffiiiiiiiiiiiii
	.globl	_ZN5aiter35fused_qk_rmsnorm_group_quant_kernelItDB8_Li128ELi8ELi8ELb1ELb1ELb1ELb1ELb0ELb0EEEvPT0_PvPT_S6_S6_PKS5_S8_S8_S8_S8_ffiiiiiiiiiiiii
	.p2align	8
	.type	_ZN5aiter35fused_qk_rmsnorm_group_quant_kernelItDB8_Li128ELi8ELi8ELb1ELb1ELb1ELb1ELb0ELb0EEEvPT0_PvPT_S6_S6_PKS5_S8_S8_S8_S8_ffiiiiiiiiiiiii,@function
_ZN5aiter35fused_qk_rmsnorm_group_quant_kernelItDB8_Li128ELi8ELi8ELb1ELb1ELb1ELb1ELb0ELb0EEEvPT0_PvPT_S6_S6_PKS5_S8_S8_S8_S8_ffiiiiiiiiiiiii: ; @_ZN5aiter35fused_qk_rmsnorm_group_quant_kernelItDB8_Li128ELi8ELi8ELb1ELb1ELb1ELb1ELb0ELb0EEEvPT0_PvPT_S6_S6_PKS5_S8_S8_S8_S8_ffiiiiiiiiiiiii
; %bb.0:
	s_load_dwordx8 s[12:19], s[4:5], 0x50
	s_waitcnt lgkmcnt(0)
	s_cmp_ge_i32 s6, s14
	s_cbranch_scc1 .LBB362_17
; %bb.1:
	s_cmp_lg_u32 s7, 0
	s_cselect_b64 s[22:23], -1, 0
	s_cmp_eq_u32 s7, 0
	s_cselect_b64 s[8:9], -1, 0
	s_and_b64 s[0:1], s[8:9], exec
	s_cselect_b32 s7, s15, s16
	s_load_dwordx2 s[10:11], s[4:5], 0x30
	s_load_dwordx2 s[20:21], s[4:5], 0x48
	s_add_i32 s0, s7, 1
	s_lshr_b32 s1, s0, 31
	s_add_i32 s0, s0, s1
	s_lshl_b32 s0, s0, 1
	v_lshlrev_b32_e32 v1, 3, v0
	s_and_b32 s30, s0, -4
	v_cmp_gt_i32_e64 s[0:1], s7, v1
	v_mov_b32_e32 v10, 0
	v_mov_b32_e32 v11, 0
	;; [unrolled: 1-line block ×8, first 2 shown]
	s_and_saveexec_b64 s[2:3], s[0:1]
	s_cbranch_execz .LBB362_3
; %bb.2:
	s_load_dwordx2 s[14:15], s[4:5], 0x28
	s_load_dwordx2 s[26:27], s[4:5], 0x40
	s_and_b64 s[24:25], s[8:9], exec
	s_cselect_b32 s17, s17, s18
	s_mov_b32 s31, 0x20000
	s_waitcnt lgkmcnt(0)
	s_cselect_b32 s25, s15, s11
	s_cselect_b32 s24, s14, s10
	s_mul_hi_i32 s15, s17, s6
	s_mul_i32 s14, s17, s6
	s_lshl_b64 s[14:15], s[14:15], 1
	s_add_u32 s24, s24, s14
	s_addc_u32 s17, s25, s15
	s_and_b64 s[14:15], s[8:9], exec
	s_cselect_b32 s28, s26, s20
	s_cselect_b32 s14, s27, s21
	v_lshlrev_b32_e32 v2, 4, v0
	s_and_b32 s25, s17, 0xffff
	s_mov_b32 s26, s30
	s_mov_b32 s27, s31
	s_and_b32 s29, s14, 0xffff
	buffer_load_dwordx4 v[14:17], v2, s[24:27], 0 offen glc slc
	buffer_load_dwordx4 v[10:13], v2, s[28:31], 0 offen
.LBB362_3:
	s_or_b64 exec, exec, s[2:3]
	s_load_dwordx4 s[24:27], s[4:5], 0x7c
	s_and_b64 vcc, exec, s[22:23]
	s_cbranch_vccz .LBB362_7
; %bb.4:
	s_mov_b32 s36, 0
	s_mov_b32 s37, s36
	;; [unrolled: 1-line block ×8, first 2 shown]
	v_pk_mov_b32 v[2:3], s[36:37], s[36:37] op_sel:[0,1]
	v_pk_mov_b32 v[4:5], s[38:39], s[38:39] op_sel:[0,1]
	v_pk_mov_b32 v[6:7], s[40:41], s[40:41] op_sel:[0,1]
	v_pk_mov_b32 v[8:9], s[42:43], s[42:43] op_sel:[0,1]
	s_and_saveexec_b64 s[2:3], s[0:1]
	s_cbranch_execz .LBB362_6
; %bb.5:
	s_waitcnt vmcnt(1)
	v_cvt_f32_u32_sdwa v3, v14 dst_sel:DWORD dst_unused:UNUSED_PAD src0_sel:WORD_1
	v_cvt_f32_u32_sdwa v2, v14 dst_sel:DWORD dst_unused:UNUSED_PAD src0_sel:WORD_0
	v_cvt_f32_u32_sdwa v5, v15 dst_sel:DWORD dst_unused:UNUSED_PAD src0_sel:WORD_1
	v_cvt_f32_u32_sdwa v4, v15 dst_sel:DWORD dst_unused:UNUSED_PAD src0_sel:WORD_0
	;; [unrolled: 2-line block ×4, first 2 shown]
.LBB362_6:
	s_or_b64 exec, exec, s[2:3]
	s_cbranch_execz .LBB362_8
	s_branch .LBB362_11
.LBB362_7:
                                        ; implicit-def: $vgpr2_vgpr3_vgpr4_vgpr5_vgpr6_vgpr7_vgpr8_vgpr9
.LBB362_8:
	s_mov_b32 s36, 0
	s_mov_b32 s37, s36
	;; [unrolled: 1-line block ×8, first 2 shown]
	v_pk_mov_b32 v[2:3], s[36:37], s[36:37] op_sel:[0,1]
	v_pk_mov_b32 v[4:5], s[38:39], s[38:39] op_sel:[0,1]
	;; [unrolled: 1-line block ×4, first 2 shown]
	s_and_saveexec_b64 s[2:3], s[0:1]
	s_cbranch_execz .LBB362_10
; %bb.9:
	s_load_dwordx2 s[14:15], s[4:5], 0x38
	s_mul_hi_i32 s29, s19, s6
	s_mul_i32 s28, s19, s6
	s_lshl_b64 s[28:29], s[28:29], 1
	s_mov_b32 s31, 0x20000
	s_waitcnt lgkmcnt(0)
	s_add_u32 s28, s14, s28
	s_addc_u32 s14, s15, s29
	s_and_b32 s29, s14, 0xffff
	v_lshlrev_b32_e32 v26, 4, v0
	buffer_load_dwordx4 v[2:5], v26, s[28:31], 0 offen glc slc
	s_load_dwordx2 s[14:15], s[4:5], 0x20
	s_waitcnt vmcnt(2)
	v_cvt_f32_u32_sdwa v7, v14 dst_sel:DWORD dst_unused:UNUSED_PAD src0_sel:WORD_1
	v_cvt_f32_u32_sdwa v6, v14 dst_sel:DWORD dst_unused:UNUSED_PAD src0_sel:WORD_0
	v_cvt_f32_u32_sdwa v9, v15 dst_sel:DWORD dst_unused:UNUSED_PAD src0_sel:WORD_1
	v_cvt_f32_u32_sdwa v8, v15 dst_sel:DWORD dst_unused:UNUSED_PAD src0_sel:WORD_0
	;; [unrolled: 2-line block ×4, first 2 shown]
	s_mul_hi_i32 s27, s26, s6
	s_mul_i32 s26, s26, s6
	s_lshl_b64 s[26:27], s[26:27], 1
	s_waitcnt lgkmcnt(0)
	s_add_u32 s28, s14, s26
	s_mov_b32 s17, 0x7060302
	s_addc_u32 s14, s15, s27
	s_and_b32 s29, s14, 0xffff
	s_waitcnt vmcnt(0)
	v_cvt_f32_u32_sdwa v17, v2 dst_sel:DWORD dst_unused:UNUSED_PAD src0_sel:WORD_1
	v_cvt_f32_u32_sdwa v16, v2 dst_sel:DWORD dst_unused:UNUSED_PAD src0_sel:WORD_0
	v_cvt_f32_u32_sdwa v21, v3 dst_sel:DWORD dst_unused:UNUSED_PAD src0_sel:WORD_1
	v_cvt_f32_u32_sdwa v20, v3 dst_sel:DWORD dst_unused:UNUSED_PAD src0_sel:WORD_0
	v_cvt_f32_u32_sdwa v23, v4 dst_sel:DWORD dst_unused:UNUSED_PAD src0_sel:WORD_1
	v_cvt_f32_u32_sdwa v22, v4 dst_sel:DWORD dst_unused:UNUSED_PAD src0_sel:WORD_0
	v_cvt_f32_u32_sdwa v25, v5 dst_sel:DWORD dst_unused:UNUSED_PAD src0_sel:WORD_1
	v_cvt_f32_u32_sdwa v24, v5 dst_sel:DWORD dst_unused:UNUSED_PAD src0_sel:WORD_0
	v_pk_add_f32 v[2:3], v[6:7], v[16:17]
	v_pk_add_f32 v[4:5], v[8:9], v[20:21]
	;; [unrolled: 1-line block ×4, first 2 shown]
	v_perm_b32 v17, v9, v8, s17
	v_perm_b32 v16, v7, v6, s17
	;; [unrolled: 1-line block ×4, first 2 shown]
	buffer_store_dwordx4 v[14:17], v26, s[28:31], 0 offen glc slc
	;;#ASMSTART
	s_nop 0
	;;#ASMEND
.LBB362_10:
	s_or_b64 exec, exec, s[2:3]
.LBB362_11:
	s_waitcnt vmcnt(1)
	v_mul_f32_e32 v14, v3, v3
	v_fmac_f32_e32 v14, v2, v2
	v_fmac_f32_e32 v14, v4, v4
	;; [unrolled: 1-line block ×7, first 2 shown]
	v_and_b32_e32 v16, 63, v0
	v_cmp_eq_u32_e64 s[2:3], 63, v16
	v_mov_b32_dpp v15, v14 quad_perm:[1,0,3,2] row_mask:0xf bank_mask:0xf
	v_add_f32_e32 v14, v14, v15
	s_nop 1
	v_mov_b32_dpp v15, v14 quad_perm:[2,3,0,1] row_mask:0xf bank_mask:0xf
	v_add_f32_e32 v14, v14, v15
	s_nop 1
	v_mov_b32_dpp v15, v14 row_half_mirror row_mask:0xf bank_mask:0xf
	v_add_f32_e32 v14, v14, v15
	s_nop 1
	v_mov_b32_dpp v15, v14 row_mirror row_mask:0xf bank_mask:0xf
	v_add_f32_e32 v14, v14, v15
	s_nop 1
	v_mov_b32_dpp v15, v14 row_bcast:15 row_mask:0xf bank_mask:0xf
	v_add_f32_e32 v14, v14, v15
	s_nop 1
	v_mov_b32_dpp v15, v14 row_bcast:31 row_mask:0xf bank_mask:0xf
	s_and_saveexec_b64 s[14:15], s[2:3]
	s_cbranch_execz .LBB362_13
; %bb.12:
	v_add_f32_e32 v14, v14, v15
	v_lshrrev_b32_e32 v15, 4, v0
	v_and_b32_e32 v15, 60, v15
	ds_write_b32 v15, v14 offset:8
.LBB362_13:
	s_or_b64 exec, exec, s[14:15]
	v_and_b32_e32 v14, 1, v0
	v_lshlrev_b32_e32 v14, 2, v14
	s_waitcnt lgkmcnt(0)
	s_barrier
	ds_read_b32 v15, v14 offset:8
	s_load_dwordx2 s[14:15], s[4:5], 0x18
	s_waitcnt lgkmcnt(0)
	v_mov_b32_dpp v16, v15 quad_perm:[1,0,3,2] row_mask:0xf bank_mask:0xf
	s_and_saveexec_b64 s[26:27], s[0:1]
	s_cbranch_execnz .LBB362_18
; %bb.14:
	s_or_b64 exec, exec, s[26:27]
	s_mov_b64 s[8:9], -1
	s_and_b64 vcc, exec, s[22:23]
	s_cbranch_vccnz .LBB362_19
.LBB362_15:
	s_andn2_b64 vcc, exec, s[8:9]
	s_cbranch_vccz .LBB362_22
.LBB362_16:
	s_cmp_lt_i32 s16, 1
	s_cbranch_scc0 .LBB362_25
.LBB362_17:
	s_endpgm
.LBB362_18:
	v_cvt_f32_u32_e32 v17, s7
	v_add_f32_e32 v15, v15, v16
	v_mov_b32_e32 v19, s13
	v_mov_b32_e32 v20, s12
	v_div_scale_f32 v16, s[28:29], v17, v17, v15
	v_rcp_f32_e32 v18, v16
	v_cndmask_b32_e64 v19, v19, v20, s[8:9]
	s_mov_b32 s7, 0x800000
	v_fma_f32 v20, -v16, v18, 1.0
	v_fmac_f32_e32 v18, v20, v18
	v_div_scale_f32 v20, vcc, v15, v17, v15
	v_mul_f32_e32 v21, v20, v18
	v_fma_f32 v22, -v16, v21, v20
	v_fmac_f32_e32 v21, v22, v18
	v_fma_f32 v16, -v16, v21, v20
	v_div_fmas_f32 v16, v16, v18, v21
	v_div_fixup_f32 v15, v16, v17, v15
	v_add_f32_e32 v15, v19, v15
	v_mul_f32_e32 v16, 0x4b800000, v15
	v_cmp_gt_f32_e32 vcc, s7, v15
	v_cndmask_b32_e32 v15, v15, v16, vcc
	v_rsq_f32_e32 v15, v15
	s_waitcnt vmcnt(0)
	v_cvt_f32_u32_sdwa v19, v10 dst_sel:DWORD dst_unused:UNUSED_PAD src0_sel:WORD_1
	v_cvt_f32_u32_sdwa v18, v10 dst_sel:DWORD dst_unused:UNUSED_PAD src0_sel:WORD_0
	v_cvt_f32_u32_sdwa v21, v11 dst_sel:DWORD dst_unused:UNUSED_PAD src0_sel:WORD_1
	v_mul_f32_e32 v16, 0x45800000, v15
	v_cndmask_b32_e32 v16, v15, v16, vcc
	v_mov_b32_e32 v17, v16
	v_cvt_f32_u32_sdwa v20, v11 dst_sel:DWORD dst_unused:UNUSED_PAD src0_sel:WORD_0
	;;#ASMSTART
	v_pk_mul_f32 v[2:3], v[2:3], v[16:17]
	;;#ASMEND
	;;#ASMSTART
	v_pk_mul_f32 v[4:5], v[4:5], v[16:17]
	;;#ASMEND
	;; [unrolled: 3-line block ×4, first 2 shown]
	v_cvt_f32_u32_sdwa v17, v12 dst_sel:DWORD dst_unused:UNUSED_PAD src0_sel:WORD_1
	v_cvt_f32_u32_sdwa v16, v12 dst_sel:DWORD dst_unused:UNUSED_PAD src0_sel:WORD_0
	v_pk_add_f32 v[10:11], v[18:19], 1.0 op_sel_hi:[1,0]
	v_cvt_f32_u32_sdwa v19, v13 dst_sel:DWORD dst_unused:UNUSED_PAD src0_sel:WORD_1
	v_cvt_f32_u32_sdwa v18, v13 dst_sel:DWORD dst_unused:UNUSED_PAD src0_sel:WORD_0
	;;#ASMSTART
	v_pk_mul_f32 v[2:3], v[2:3], v[10:11]
	;;#ASMEND
	v_pk_add_f32 v[10:11], v[20:21], 1.0 op_sel_hi:[1,0]
	;;#ASMSTART
	v_pk_mul_f32 v[4:5], v[4:5], v[10:11]
	;;#ASMEND
	v_pk_add_f32 v[10:11], v[16:17], 1.0 op_sel_hi:[1,0]
	;; [unrolled: 4-line block ×3, first 2 shown]
	;;#ASMSTART
	v_pk_mul_f32 v[8:9], v[8:9], v[10:11]
	;;#ASMEND
	s_or_b64 exec, exec, s[26:27]
	s_mov_b64 s[8:9], -1
	s_and_b64 vcc, exec, s[22:23]
	s_cbranch_vccz .LBB362_15
.LBB362_19:
	s_and_saveexec_b64 s[8:9], s[0:1]
	s_cbranch_execz .LBB362_21
; %bb.20:
	s_mul_hi_i32 s23, s25, s6
	s_mul_i32 s22, s25, s6
	s_lshl_b64 s[22:23], s[22:23], 1
	s_add_u32 s28, s14, s22
	s_addc_u32 s7, s15, s23
	s_and_b32 s29, s7, 0xffff
	s_mov_b32 s7, 0x7060302
	s_mov_b32 s31, 0x20000
	s_waitcnt vmcnt(0)
	v_perm_b32 v10, v3, v2, s7
	v_perm_b32 v11, v5, v4, s7
	;; [unrolled: 1-line block ×4, first 2 shown]
	v_lshlrev_b32_e32 v15, 4, v0
	buffer_store_dwordx4 v[10:13], v15, s[28:31], 0 offen
	;;#ASMSTART
	s_nop 0
	;;#ASMEND
.LBB362_21:
	s_or_b64 exec, exec, s[8:9]
	s_cbranch_execnz .LBB362_16
.LBB362_22:
	s_and_saveexec_b64 s[8:9], s[0:1]
	s_cbranch_execz .LBB362_24
; %bb.23:
	s_load_dwordx2 s[0:1], s[4:5], 0x10
	s_mul_hi_i32 s23, s24, s6
	s_mul_i32 s22, s24, s6
	s_lshl_b64 s[22:23], s[22:23], 1
	s_mov_b32 s31, 0x20000
	s_waitcnt lgkmcnt(0)
	s_add_u32 s28, s0, s22
	s_addc_u32 s0, s1, s23
	s_and_b32 s29, s0, 0xffff
	s_mov_b32 s0, 0x7060302
	v_perm_b32 v2, v3, v2, s0
	v_perm_b32 v3, v5, v4, s0
	;; [unrolled: 1-line block ×4, first 2 shown]
	v_lshlrev_b32_e32 v6, 4, v0
	buffer_store_dwordx4 v[2:5], v6, s[28:31], 0 offen
	;;#ASMSTART
	s_nop 0
	;;#ASMEND
.LBB362_24:
	s_or_b64 exec, exec, s[8:9]
	s_cmp_lt_i32 s16, 1
	s_cbranch_scc1 .LBB362_17
.LBB362_25:
	s_load_dword s0, s[4:5], 0x94
	s_waitcnt lgkmcnt(0)
	s_cmp_lg_u32 s0, 1
	s_cbranch_scc1 .LBB362_17
; %bb.26:
	s_lshl_b32 s0, s16, 1
	s_add_i32 s0, s0, 2
	v_cmp_gt_u32_e32 vcc, s16, v1
	s_and_b32 s22, s0, -4
	v_mov_b32_e32 v6, 0
	v_lshlrev_b32_e32 v1, 4, v0
	v_mov_b32_e32 v7, 0
	v_mov_b32_e32 v8, 0
	;; [unrolled: 1-line block ×7, first 2 shown]
	s_barrier
	s_and_saveexec_b64 s[0:1], vcc
	s_cbranch_execz .LBB362_28
; %bb.27:
	s_mul_hi_i32 s5, s18, s6
	s_mul_i32 s4, s18, s6
	s_and_b32 s21, s21, 0xffff
	s_lshl_b64 s[4:5], s[4:5], 1
	s_add_u32 s8, s10, s4
	s_mov_b32 s23, 0x20000
	s_addc_u32 s4, s11, s5
	s_and_b32 s9, s4, 0xffff
	s_mov_b32 s10, s22
	s_mov_b32 s11, s23
	buffer_load_dwordx4 v[6:9], v1, s[8:11], 0 offen glc slc
	buffer_load_dwordx4 v[2:5], v1, s[20:23], 0 offen
.LBB362_28:
	s_or_b64 exec, exec, s[0:1]
	s_waitcnt vmcnt(0)
	v_cvt_f32_u32_sdwa v13, v6 dst_sel:DWORD dst_unused:UNUSED_PAD src0_sel:WORD_1
	v_cvt_f32_u32_sdwa v12, v6 dst_sel:DWORD dst_unused:UNUSED_PAD src0_sel:WORD_0
	v_cvt_f32_u32_sdwa v6, v9 dst_sel:DWORD dst_unused:UNUSED_PAD src0_sel:WORD_1
	v_cvt_f32_u32_sdwa v9, v9 dst_sel:DWORD dst_unused:UNUSED_PAD src0_sel:WORD_0
	;; [unrolled: 2-line block ×4, first 2 shown]
	v_cndmask_b32_e32 v13, 0, v13, vcc
	v_cndmask_b32_e32 v7, 0, v6, vcc
	;; [unrolled: 1-line block ×5, first 2 shown]
	v_mul_f32_e32 v15, v13, v13
	v_cndmask_b32_e32 v10, 0, v10, vcc
	v_fmac_f32_e32 v15, v12, v12
	v_cndmask_b32_e32 v11, 0, v11, vcc
	v_fmac_f32_e32 v15, v10, v10
	;; [unrolled: 2-line block ×3, first 2 shown]
	v_fmac_f32_e32 v15, v8, v8
	v_fmac_f32_e32 v15, v9, v9
	;; [unrolled: 1-line block ×4, first 2 shown]
	s_nop 1
	v_mov_b32_dpp v16, v15 quad_perm:[1,0,3,2] row_mask:0xf bank_mask:0xf
	v_add_f32_e32 v15, v15, v16
	s_nop 1
	v_mov_b32_dpp v16, v15 quad_perm:[2,3,0,1] row_mask:0xf bank_mask:0xf
	v_add_f32_e32 v15, v15, v16
	s_nop 1
	v_mov_b32_dpp v16, v15 row_half_mirror row_mask:0xf bank_mask:0xf
	v_add_f32_e32 v15, v15, v16
	s_nop 1
	v_mov_b32_dpp v16, v15 row_mirror row_mask:0xf bank_mask:0xf
	v_add_f32_e32 v15, v15, v16
	s_nop 1
	v_mov_b32_dpp v16, v15 row_bcast:15 row_mask:0xf bank_mask:0xf
	v_add_f32_e32 v15, v15, v16
	s_nop 1
	v_mov_b32_dpp v16, v15 row_bcast:31 row_mask:0xf bank_mask:0xf
	s_and_saveexec_b64 s[0:1], s[2:3]
	s_cbranch_execz .LBB362_30
; %bb.29:
	v_lshrrev_b32_e32 v0, 4, v0
	v_add_f32_e32 v15, v15, v16
	v_and_b32_e32 v0, 60, v0
	ds_write_b32 v0, v15
.LBB362_30:
	s_or_b64 exec, exec, s[0:1]
	s_waitcnt lgkmcnt(0)
	s_barrier
	ds_read_b32 v0, v14
	s_waitcnt lgkmcnt(0)
	s_nop 0
	v_mov_b32_dpp v14, v0 quad_perm:[1,0,3,2] row_mask:0xf bank_mask:0xf
	s_and_saveexec_b64 s[0:1], vcc
	s_cbranch_execz .LBB362_17
; %bb.31:
	v_cvt_f32_u32_e32 v15, s16
	v_add_f32_e32 v0, v0, v14
	s_mov_b32 s23, 0x20000
	v_div_scale_f32 v14, s[0:1], v15, v15, v0
	v_rcp_f32_e32 v16, v14
	v_div_scale_f32 v17, vcc, v0, v15, v0
	s_mov_b32 s0, 0x800000
	v_fma_f32 v18, -v14, v16, 1.0
	v_fmac_f32_e32 v16, v18, v16
	v_mul_f32_e32 v18, v17, v16
	v_fma_f32 v19, -v14, v18, v17
	v_fmac_f32_e32 v18, v19, v16
	v_fma_f32 v14, -v14, v18, v17
	v_div_fmas_f32 v14, v14, v16, v18
	v_div_fixup_f32 v0, v14, v15, v0
	v_add_f32_e32 v0, s13, v0
	v_mul_f32_e32 v14, 0x4b800000, v0
	v_cmp_gt_f32_e32 vcc, s0, v0
	v_cndmask_b32_e32 v0, v0, v14, vcc
	v_rsq_f32_e32 v0, v0
	v_cvt_f32_u32_sdwa v17, v2 dst_sel:DWORD dst_unused:UNUSED_PAD src0_sel:WORD_1
	v_cvt_f32_u32_sdwa v16, v2 dst_sel:DWORD dst_unused:UNUSED_PAD src0_sel:WORD_0
	v_cvt_f32_u32_sdwa v19, v3 dst_sel:DWORD dst_unused:UNUSED_PAD src0_sel:WORD_1
	v_mul_f32_e32 v14, 0x45800000, v0
	v_cndmask_b32_e32 v14, v0, v14, vcc
	v_mov_b32_e32 v15, v14
	;;#ASMSTART
	v_pk_mul_f32 v[12:13], v[12:13], v[14:15]
	;;#ASMEND
	;;#ASMSTART
	v_pk_mul_f32 v[10:11], v[10:11], v[14:15]
	;;#ASMEND
	;; [unrolled: 3-line block ×3, first 2 shown]
	v_cvt_f32_u32_sdwa v18, v3 dst_sel:DWORD dst_unused:UNUSED_PAD src0_sel:WORD_0
	;;#ASMSTART
	v_pk_mul_f32 v[2:3], v[6:7], v[14:15]
	;;#ASMEND
	v_cvt_f32_u32_sdwa v15, v4 dst_sel:DWORD dst_unused:UNUSED_PAD src0_sel:WORD_1
	v_cvt_f32_u32_sdwa v14, v4 dst_sel:DWORD dst_unused:UNUSED_PAD src0_sel:WORD_0
	v_pk_add_f32 v[6:7], v[16:17], 1.0 op_sel_hi:[1,0]
	v_cvt_f32_u32_sdwa v17, v5 dst_sel:DWORD dst_unused:UNUSED_PAD src0_sel:WORD_1
	v_cvt_f32_u32_sdwa v16, v5 dst_sel:DWORD dst_unused:UNUSED_PAD src0_sel:WORD_0
	s_mul_hi_i32 s1, s25, s6
	s_mul_i32 s0, s25, s6
	s_lshl_b64 s[0:1], s[0:1], 1
	s_add_u32 s20, s14, s0
	;;#ASMSTART
	v_pk_mul_f32 v[6:7], v[12:13], v[6:7]
	;;#ASMEND
	v_pk_add_f32 v[12:13], v[18:19], 1.0 op_sel_hi:[1,0]
	;;#ASMSTART
	v_pk_mul_f32 v[4:5], v[10:11], v[12:13]
	;;#ASMEND
	v_pk_add_f32 v[10:11], v[14:15], 1.0 op_sel_hi:[1,0]
	s_addc_u32 s0, s15, s1
	;;#ASMSTART
	v_pk_mul_f32 v[8:9], v[8:9], v[10:11]
	;;#ASMEND
	v_pk_add_f32 v[10:11], v[16:17], 1.0 op_sel_hi:[1,0]
	s_and_b32 s21, s0, 0xffff
	s_mov_b32 s0, 0x7060302
	;;#ASMSTART
	v_pk_mul_f32 v[10:11], v[2:3], v[10:11]
	;;#ASMEND
	v_perm_b32 v2, v7, v6, s0
	v_perm_b32 v3, v5, v4, s0
	v_perm_b32 v4, v9, v8, s0
	v_perm_b32 v5, v11, v10, s0
	buffer_store_dwordx4 v[2:5], v1, s[20:23], 0 offen
	;;#ASMSTART
	s_nop 0
	;;#ASMEND
	s_endpgm
	.section	.rodata,"a",@progbits
	.p2align	6, 0x0
	.amdhsa_kernel _ZN5aiter35fused_qk_rmsnorm_group_quant_kernelItDB8_Li128ELi8ELi8ELb1ELb1ELb1ELb1ELb0ELb0EEEvPT0_PvPT_S6_S6_PKS5_S8_S8_S8_S8_ffiiiiiiiiiiiii
		.amdhsa_group_segment_fixed_size 16
		.amdhsa_private_segment_fixed_size 0
		.amdhsa_kernarg_size 400
		.amdhsa_user_sgpr_count 6
		.amdhsa_user_sgpr_private_segment_buffer 1
		.amdhsa_user_sgpr_dispatch_ptr 0
		.amdhsa_user_sgpr_queue_ptr 0
		.amdhsa_user_sgpr_kernarg_segment_ptr 1
		.amdhsa_user_sgpr_dispatch_id 0
		.amdhsa_user_sgpr_flat_scratch_init 0
		.amdhsa_user_sgpr_kernarg_preload_length 0
		.amdhsa_user_sgpr_kernarg_preload_offset 0
		.amdhsa_user_sgpr_private_segment_size 0
		.amdhsa_uses_dynamic_stack 0
		.amdhsa_system_sgpr_private_segment_wavefront_offset 0
		.amdhsa_system_sgpr_workgroup_id_x 1
		.amdhsa_system_sgpr_workgroup_id_y 1
		.amdhsa_system_sgpr_workgroup_id_z 0
		.amdhsa_system_sgpr_workgroup_info 0
		.amdhsa_system_vgpr_workitem_id 0
		.amdhsa_next_free_vgpr 27
		.amdhsa_next_free_sgpr 44
		.amdhsa_accum_offset 28
		.amdhsa_reserve_vcc 1
		.amdhsa_reserve_flat_scratch 0
		.amdhsa_float_round_mode_32 0
		.amdhsa_float_round_mode_16_64 0
		.amdhsa_float_denorm_mode_32 3
		.amdhsa_float_denorm_mode_16_64 3
		.amdhsa_dx10_clamp 1
		.amdhsa_ieee_mode 1
		.amdhsa_fp16_overflow 0
		.amdhsa_tg_split 0
		.amdhsa_exception_fp_ieee_invalid_op 0
		.amdhsa_exception_fp_denorm_src 0
		.amdhsa_exception_fp_ieee_div_zero 0
		.amdhsa_exception_fp_ieee_overflow 0
		.amdhsa_exception_fp_ieee_underflow 0
		.amdhsa_exception_fp_ieee_inexact 0
		.amdhsa_exception_int_div_zero 0
	.end_amdhsa_kernel
	.section	.text._ZN5aiter35fused_qk_rmsnorm_group_quant_kernelItDB8_Li128ELi8ELi8ELb1ELb1ELb1ELb1ELb0ELb0EEEvPT0_PvPT_S6_S6_PKS5_S8_S8_S8_S8_ffiiiiiiiiiiiii,"axG",@progbits,_ZN5aiter35fused_qk_rmsnorm_group_quant_kernelItDB8_Li128ELi8ELi8ELb1ELb1ELb1ELb1ELb0ELb0EEEvPT0_PvPT_S6_S6_PKS5_S8_S8_S8_S8_ffiiiiiiiiiiiii,comdat
.Lfunc_end362:
	.size	_ZN5aiter35fused_qk_rmsnorm_group_quant_kernelItDB8_Li128ELi8ELi8ELb1ELb1ELb1ELb1ELb0ELb0EEEvPT0_PvPT_S6_S6_PKS5_S8_S8_S8_S8_ffiiiiiiiiiiiii, .Lfunc_end362-_ZN5aiter35fused_qk_rmsnorm_group_quant_kernelItDB8_Li128ELi8ELi8ELb1ELb1ELb1ELb1ELb0ELb0EEEvPT0_PvPT_S6_S6_PKS5_S8_S8_S8_S8_ffiiiiiiiiiiiii
                                        ; -- End function
	.section	.AMDGPU.csdata,"",@progbits
; Kernel info:
; codeLenInByte = 2484
; NumSgprs: 48
; NumVgprs: 27
; NumAgprs: 0
; TotalNumVgprs: 27
; ScratchSize: 0
; MemoryBound: 0
; FloatMode: 240
; IeeeMode: 1
; LDSByteSize: 16 bytes/workgroup (compile time only)
; SGPRBlocks: 5
; VGPRBlocks: 3
; NumSGPRsForWavesPerEU: 48
; NumVGPRsForWavesPerEU: 27
; AccumOffset: 28
; Occupancy: 8
; WaveLimiterHint : 0
; COMPUTE_PGM_RSRC2:SCRATCH_EN: 0
; COMPUTE_PGM_RSRC2:USER_SGPR: 6
; COMPUTE_PGM_RSRC2:TRAP_HANDLER: 0
; COMPUTE_PGM_RSRC2:TGID_X_EN: 1
; COMPUTE_PGM_RSRC2:TGID_Y_EN: 1
; COMPUTE_PGM_RSRC2:TGID_Z_EN: 0
; COMPUTE_PGM_RSRC2:TIDIG_COMP_CNT: 0
; COMPUTE_PGM_RSRC3_GFX90A:ACCUM_OFFSET: 6
; COMPUTE_PGM_RSRC3_GFX90A:TG_SPLIT: 0
	.section	.text._ZN5aiter35fused_qk_rmsnorm_group_quant_kernelIDF16_N4opus5fp4_tELi128ELi8ELi8ELb1ELb1ELb1ELb1ELb0ELb0EEEvPT0_PvPT_S7_S7_PKS6_S9_S9_S9_S9_ffiiiiiiiiiiiii,"axG",@progbits,_ZN5aiter35fused_qk_rmsnorm_group_quant_kernelIDF16_N4opus5fp4_tELi128ELi8ELi8ELb1ELb1ELb1ELb1ELb0ELb0EEEvPT0_PvPT_S7_S7_PKS6_S9_S9_S9_S9_ffiiiiiiiiiiiii,comdat
	.protected	_ZN5aiter35fused_qk_rmsnorm_group_quant_kernelIDF16_N4opus5fp4_tELi128ELi8ELi8ELb1ELb1ELb1ELb1ELb0ELb0EEEvPT0_PvPT_S7_S7_PKS6_S9_S9_S9_S9_ffiiiiiiiiiiiii ; -- Begin function _ZN5aiter35fused_qk_rmsnorm_group_quant_kernelIDF16_N4opus5fp4_tELi128ELi8ELi8ELb1ELb1ELb1ELb1ELb0ELb0EEEvPT0_PvPT_S7_S7_PKS6_S9_S9_S9_S9_ffiiiiiiiiiiiii
	.globl	_ZN5aiter35fused_qk_rmsnorm_group_quant_kernelIDF16_N4opus5fp4_tELi128ELi8ELi8ELb1ELb1ELb1ELb1ELb0ELb0EEEvPT0_PvPT_S7_S7_PKS6_S9_S9_S9_S9_ffiiiiiiiiiiiii
	.p2align	8
	.type	_ZN5aiter35fused_qk_rmsnorm_group_quant_kernelIDF16_N4opus5fp4_tELi128ELi8ELi8ELb1ELb1ELb1ELb1ELb0ELb0EEEvPT0_PvPT_S7_S7_PKS6_S9_S9_S9_S9_ffiiiiiiiiiiiii,@function
_ZN5aiter35fused_qk_rmsnorm_group_quant_kernelIDF16_N4opus5fp4_tELi128ELi8ELi8ELb1ELb1ELb1ELb1ELb0ELb0EEEvPT0_PvPT_S7_S7_PKS6_S9_S9_S9_S9_ffiiiiiiiiiiiii: ; @_ZN5aiter35fused_qk_rmsnorm_group_quant_kernelIDF16_N4opus5fp4_tELi128ELi8ELi8ELb1ELb1ELb1ELb1ELb0ELb0EEEvPT0_PvPT_S7_S7_PKS6_S9_S9_S9_S9_ffiiiiiiiiiiiii
; %bb.0:
	s_load_dwordx8 s[12:19], s[4:5], 0x50
	s_waitcnt lgkmcnt(0)
	s_cmp_ge_i32 s6, s14
	s_cbranch_scc1 .LBB363_17
; %bb.1:
	s_cmp_lg_u32 s7, 0
	s_cselect_b64 s[22:23], -1, 0
	s_cmp_eq_u32 s7, 0
	s_cselect_b64 s[2:3], -1, 0
	s_and_b64 s[0:1], s[2:3], exec
	s_cselect_b32 s7, s15, s16
	s_load_dwordx2 s[10:11], s[4:5], 0x30
	s_load_dwordx2 s[20:21], s[4:5], 0x48
	s_add_i32 s0, s7, 1
	s_lshr_b32 s1, s0, 31
	s_add_i32 s0, s0, s1
	s_lshl_b32 s0, s0, 1
	v_lshlrev_b32_e32 v1, 3, v0
	s_and_b32 s30, s0, -4
	v_cmp_gt_i32_e64 s[0:1], s7, v1
	v_mov_b32_e32 v2, 0
	v_mov_b32_e32 v3, 0
	;; [unrolled: 1-line block ×8, first 2 shown]
	s_and_saveexec_b64 s[8:9], s[0:1]
	s_cbranch_execz .LBB363_3
; %bb.2:
	s_load_dwordx2 s[14:15], s[4:5], 0x28
	s_load_dwordx2 s[26:27], s[4:5], 0x40
	s_and_b64 s[24:25], s[2:3], exec
	s_cselect_b32 s17, s17, s18
	s_mov_b32 s31, 0x20000
	s_waitcnt lgkmcnt(0)
	s_cselect_b32 s25, s15, s11
	s_cselect_b32 s24, s14, s10
	s_mul_hi_i32 s15, s17, s6
	s_mul_i32 s14, s17, s6
	s_lshl_b64 s[14:15], s[14:15], 1
	s_add_u32 s24, s24, s14
	s_addc_u32 s17, s25, s15
	s_and_b64 s[14:15], s[2:3], exec
	s_cselect_b32 s28, s26, s20
	s_cselect_b32 s14, s27, s21
	v_lshlrev_b32_e32 v10, 4, v0
	s_and_b32 s25, s17, 0xffff
	s_mov_b32 s26, s30
	s_mov_b32 s27, s31
	s_and_b32 s29, s14, 0xffff
	buffer_load_dwordx4 v[6:9], v10, s[24:27], 0 offen glc slc
	buffer_load_dwordx4 v[2:5], v10, s[28:31], 0 offen
.LBB363_3:
	s_or_b64 exec, exec, s[8:9]
	s_load_dwordx4 s[24:27], s[4:5], 0x7c
	s_and_b64 vcc, exec, s[22:23]
	s_cbranch_vccz .LBB363_7
; %bb.4:
	v_mov_b32_e32 v11, 0
	v_mov_b32_e32 v10, 0
	;; [unrolled: 1-line block ×8, first 2 shown]
	s_and_saveexec_b64 s[8:9], s[0:1]
	s_cbranch_execz .LBB363_6
; %bb.5:
	s_waitcnt vmcnt(1)
	v_cvt_f32_f16_sdwa v13, v6 dst_sel:DWORD dst_unused:UNUSED_PAD src0_sel:WORD_1
	v_cvt_f32_f16_e32 v12, v6
	v_cvt_f32_f16_sdwa v17, v7 dst_sel:DWORD dst_unused:UNUSED_PAD src0_sel:WORD_1
	v_cvt_f32_f16_e32 v16, v7
	;; [unrolled: 2-line block ×4, first 2 shown]
.LBB363_6:
	s_or_b64 exec, exec, s[8:9]
	s_cbranch_execz .LBB363_8
	s_branch .LBB363_11
.LBB363_7:
                                        ; implicit-def: $vgpr11
                                        ; implicit-def: $vgpr15
                                        ; implicit-def: $vgpr17
                                        ; implicit-def: $vgpr13
.LBB363_8:
	v_mov_b32_e32 v11, 0
	v_mov_b32_e32 v10, 0
	;; [unrolled: 1-line block ×8, first 2 shown]
	s_and_saveexec_b64 s[8:9], s[0:1]
	s_cbranch_execz .LBB363_10
; %bb.9:
	s_load_dwordx2 s[14:15], s[4:5], 0x38
	s_mul_hi_i32 s29, s19, s6
	s_mul_i32 s28, s19, s6
	s_lshl_b64 s[28:29], s[28:29], 1
	s_mov_b32 s31, 0x20000
	s_waitcnt lgkmcnt(0)
	s_add_u32 s28, s14, s28
	s_addc_u32 s14, s15, s29
	s_and_b32 s29, s14, 0xffff
	v_lshlrev_b32_e32 v24, 4, v0
	buffer_load_dwordx4 v[10:13], v24, s[28:31], 0 offen glc slc
	s_waitcnt vmcnt(2)
	v_cvt_f32_f16_sdwa v15, v6 dst_sel:DWORD dst_unused:UNUSED_PAD src0_sel:WORD_1
	v_cvt_f32_f16_e32 v14, v6
	v_cvt_f32_f16_sdwa v17, v7 dst_sel:DWORD dst_unused:UNUSED_PAD src0_sel:WORD_1
	v_cvt_f32_f16_e32 v16, v7
	;; [unrolled: 2-line block ×4, first 2 shown]
	s_load_dwordx2 s[14:15], s[4:5], 0x20
	s_mul_hi_i32 s27, s26, s6
	s_mul_i32 s26, s26, s6
	s_lshl_b64 s[26:27], s[26:27], 1
	s_waitcnt lgkmcnt(0)
	s_add_u32 s28, s14, s26
	s_addc_u32 s14, s15, s27
	s_and_b32 s29, s14, 0xffff
	s_waitcnt vmcnt(0)
	v_cvt_f32_f16_e32 v8, v10
	v_cvt_f32_f16_sdwa v9, v10 dst_sel:DWORD dst_unused:UNUSED_PAD src0_sel:WORD_1
	v_cvt_f32_f16_e32 v10, v11
	v_cvt_f32_f16_sdwa v11, v11 dst_sel:DWORD dst_unused:UNUSED_PAD src0_sel:WORD_1
	;; [unrolled: 2-line block ×4, first 2 shown]
	v_pk_add_f32 v[12:13], v[14:15], v[8:9]
	v_pk_add_f32 v[16:17], v[16:17], v[10:11]
	;; [unrolled: 1-line block ×4, first 2 shown]
	v_cvt_f16_f32_e32 v6, v13
	v_cvt_f16_f32_e32 v7, v17
	;; [unrolled: 1-line block ×8, first 2 shown]
	v_pack_b32_f16 v9, v18, v9
	v_pack_b32_f16 v8, v19, v8
	;; [unrolled: 1-line block ×4, first 2 shown]
	buffer_store_dwordx4 v[6:9], v24, s[28:31], 0 offen glc slc
	;;#ASMSTART
	s_nop 0
	;;#ASMEND
.LBB363_10:
	s_or_b64 exec, exec, s[8:9]
.LBB363_11:
	s_waitcnt vmcnt(1)
	v_mul_f32_e32 v6, v13, v13
	v_fmac_f32_e32 v6, v12, v12
	v_fmac_f32_e32 v6, v16, v16
	;; [unrolled: 1-line block ×7, first 2 shown]
	v_and_b32_e32 v8, 63, v0
	v_cmp_eq_u32_e64 s[8:9], 63, v8
	v_mov_b32_dpp v7, v6 quad_perm:[1,0,3,2] row_mask:0xf bank_mask:0xf
	v_add_f32_e32 v6, v6, v7
	s_nop 1
	v_mov_b32_dpp v7, v6 quad_perm:[2,3,0,1] row_mask:0xf bank_mask:0xf
	v_add_f32_e32 v6, v6, v7
	s_nop 1
	v_mov_b32_dpp v7, v6 row_half_mirror row_mask:0xf bank_mask:0xf
	v_add_f32_e32 v6, v6, v7
	s_nop 1
	v_mov_b32_dpp v7, v6 row_mirror row_mask:0xf bank_mask:0xf
	v_add_f32_e32 v6, v6, v7
	s_nop 1
	v_mov_b32_dpp v7, v6 row_bcast:15 row_mask:0xf bank_mask:0xf
	v_add_f32_e32 v6, v6, v7
	s_nop 1
	v_mov_b32_dpp v7, v6 row_bcast:31 row_mask:0xf bank_mask:0xf
	s_and_saveexec_b64 s[14:15], s[8:9]
	s_cbranch_execz .LBB363_13
; %bb.12:
	v_add_f32_e32 v6, v6, v7
	v_lshrrev_b32_e32 v7, 4, v0
	v_and_b32_e32 v7, 60, v7
	ds_write_b32 v7, v6 offset:8
.LBB363_13:
	s_or_b64 exec, exec, s[14:15]
	v_and_b32_e32 v6, 1, v0
	v_lshlrev_b32_e32 v18, 2, v6
	s_waitcnt lgkmcnt(0)
	s_barrier
	ds_read_b32 v6, v18 offset:8
	s_load_dwordx2 s[14:15], s[4:5], 0x18
	s_waitcnt lgkmcnt(0)
	v_mov_b32_dpp v7, v6 quad_perm:[1,0,3,2] row_mask:0xf bank_mask:0xf
	s_and_saveexec_b64 s[26:27], s[0:1]
	s_cbranch_execnz .LBB363_18
; %bb.14:
	s_or_b64 exec, exec, s[26:27]
	s_mov_b64 s[2:3], -1
	s_and_b64 vcc, exec, s[22:23]
	s_cbranch_vccnz .LBB363_19
.LBB363_15:
	s_andn2_b64 vcc, exec, s[2:3]
	s_cbranch_vccz .LBB363_22
.LBB363_16:
	s_cmp_lt_i32 s16, 1
	s_cbranch_scc0 .LBB363_25
.LBB363_17:
	s_endpgm
.LBB363_18:
	v_cvt_f32_u32_e32 v8, s7
	v_add_f32_e32 v6, v6, v7
	v_mov_b32_e32 v19, s13
	v_mov_b32_e32 v20, s12
	v_div_scale_f32 v7, s[28:29], v8, v8, v6
	v_rcp_f32_e32 v9, v7
	v_cndmask_b32_e64 v19, v19, v20, s[2:3]
	s_mov_b32 s2, 0x800000
	v_fma_f32 v20, -v7, v9, 1.0
	v_fmac_f32_e32 v9, v20, v9
	v_div_scale_f32 v20, vcc, v6, v8, v6
	v_mul_f32_e32 v21, v20, v9
	v_fma_f32 v22, -v7, v21, v20
	v_fmac_f32_e32 v21, v22, v9
	v_fma_f32 v7, -v7, v21, v20
	v_div_fmas_f32 v7, v7, v9, v21
	v_div_fixup_f32 v6, v7, v8, v6
	v_add_f32_e32 v6, v19, v6
	v_mul_f32_e32 v7, 0x4b800000, v6
	v_cmp_gt_f32_e32 vcc, s2, v6
	v_cndmask_b32_e32 v6, v6, v7, vcc
	v_rsq_f32_e32 v6, v6
	s_waitcnt vmcnt(0)
	v_cvt_f32_f16_sdwa v21, v3 dst_sel:DWORD dst_unused:UNUSED_PAD src0_sel:WORD_1
	v_cvt_f32_f16_e32 v20, v3
	v_mul_f32_e32 v7, 0x45800000, v6
	v_cndmask_b32_e32 v6, v6, v7, vcc
	v_mov_b32_e32 v7, v6
	;;#ASMSTART
	v_pk_mul_f32 v[8:9], v[12:13], v[6:7]
	;;#ASMEND
	v_cvt_f32_f16_sdwa v13, v2 dst_sel:DWORD dst_unused:UNUSED_PAD src0_sel:WORD_1
	v_cvt_f32_f16_e32 v12, v2
	;;#ASMSTART
	v_pk_mul_f32 v[16:17], v[16:17], v[6:7]
	;;#ASMEND
	;;#ASMSTART
	v_pk_mul_f32 v[14:15], v[14:15], v[6:7]
	;;#ASMEND
	;; [unrolled: 3-line block ×3, first 2 shown]
	v_pk_add_f32 v[6:7], v[12:13], 1.0 op_sel_hi:[1,0]
	;;#ASMSTART
	v_pk_mul_f32 v[12:13], v[8:9], v[6:7]
	;;#ASMEND
	v_cvt_f32_f16_sdwa v9, v4 dst_sel:DWORD dst_unused:UNUSED_PAD src0_sel:WORD_1
	v_cvt_f32_f16_e32 v8, v4
	v_cvt_f32_f16_sdwa v11, v5 dst_sel:DWORD dst_unused:UNUSED_PAD src0_sel:WORD_1
	v_cvt_f32_f16_e32 v10, v5
	v_pk_add_f32 v[6:7], v[20:21], 1.0 op_sel_hi:[1,0]
	v_pk_add_f32 v[4:5], v[8:9], 1.0 op_sel_hi:[1,0]
	;;#ASMSTART
	v_pk_mul_f32 v[16:17], v[16:17], v[6:7]
	;;#ASMEND
	;;#ASMSTART
	v_pk_mul_f32 v[14:15], v[14:15], v[4:5]
	;;#ASMEND
	v_pk_add_f32 v[4:5], v[10:11], 1.0 op_sel_hi:[1,0]
	;;#ASMSTART
	v_pk_mul_f32 v[10:11], v[2:3], v[4:5]
	;;#ASMEND
	s_or_b64 exec, exec, s[26:27]
	s_mov_b64 s[2:3], -1
	s_and_b64 vcc, exec, s[22:23]
	s_cbranch_vccz .LBB363_15
.LBB363_19:
	s_and_saveexec_b64 s[2:3], s[0:1]
	s_cbranch_execz .LBB363_21
; %bb.20:
	s_mul_hi_i32 s23, s25, s6
	s_mul_i32 s22, s25, s6
	s_waitcnt vmcnt(0)
	v_cvt_f16_f32_e32 v2, v12
	v_cvt_f16_f32_e32 v3, v16
	;; [unrolled: 1-line block ×8, first 2 shown]
	s_lshl_b64 s[22:23], s[22:23], 1
	s_add_u32 s28, s14, s22
	s_addc_u32 s7, s15, s23
	s_and_b32 s29, s7, 0xffff
	s_mov_b32 s31, 0x20000
	v_pack_b32_f16 v5, v5, v6
	v_pack_b32_f16 v4, v4, v7
	v_pack_b32_f16 v3, v3, v8
	v_pack_b32_f16 v2, v2, v9
	v_lshlrev_b32_e32 v6, 4, v0
	buffer_store_dwordx4 v[2:5], v6, s[28:31], 0 offen
	;;#ASMSTART
	s_nop 0
	;;#ASMEND
.LBB363_21:
	s_or_b64 exec, exec, s[2:3]
	s_cbranch_execnz .LBB363_16
.LBB363_22:
	s_and_saveexec_b64 s[2:3], s[0:1]
	s_cbranch_execz .LBB363_24
; %bb.23:
	s_load_dwordx2 s[0:1], s[4:5], 0x10
	s_mul_hi_i32 s23, s24, s6
	s_mul_i32 s22, s24, s6
	s_waitcnt vmcnt(0)
	v_cvt_f16_f32_e32 v2, v12
	v_cvt_f16_f32_e32 v3, v16
	;; [unrolled: 1-line block ×8, first 2 shown]
	s_lshl_b64 s[22:23], s[22:23], 1
	s_waitcnt lgkmcnt(0)
	s_add_u32 s28, s0, s22
	s_addc_u32 s0, s1, s23
	s_mov_b32 s31, 0x20000
	s_and_b32 s29, s0, 0xffff
	v_pack_b32_f16 v5, v5, v6
	v_pack_b32_f16 v4, v4, v7
	;; [unrolled: 1-line block ×4, first 2 shown]
	v_lshlrev_b32_e32 v6, 4, v0
	buffer_store_dwordx4 v[2:5], v6, s[28:31], 0 offen
	;;#ASMSTART
	s_nop 0
	;;#ASMEND
.LBB363_24:
	s_or_b64 exec, exec, s[2:3]
	s_cmp_lt_i32 s16, 1
	s_cbranch_scc1 .LBB363_17
.LBB363_25:
	s_load_dword s0, s[4:5], 0x94
	s_waitcnt lgkmcnt(0)
	s_cmp_lg_u32 s0, 1
	s_cbranch_scc1 .LBB363_17
; %bb.26:
	s_lshl_b32 s0, s16, 1
	s_add_i32 s0, s0, 2
	v_cmp_gt_u32_e32 vcc, s16, v1
	s_and_b32 s22, s0, -4
	v_mov_b32_e32 v10, 0
	v_lshlrev_b32_e32 v1, 4, v0
	v_mov_b32_e32 v6, 0
	v_mov_b32_e32 v7, 0
	;; [unrolled: 1-line block ×4, first 2 shown]
	s_waitcnt vmcnt(0)
	v_mov_b32_e32 v2, 0
	v_mov_b32_e32 v3, 0
	;; [unrolled: 1-line block ×4, first 2 shown]
	s_barrier
	s_and_saveexec_b64 s[0:1], vcc
	s_cbranch_execz .LBB363_28
; %bb.27:
	s_mul_hi_i32 s3, s18, s6
	s_mul_i32 s2, s18, s6
	s_and_b32 s21, s21, 0xffff
	s_lshl_b64 s[2:3], s[2:3], 1
	s_add_u32 s28, s10, s2
	s_mov_b32 s23, 0x20000
	s_addc_u32 s2, s11, s3
	s_and_b32 s29, s2, 0xffff
	s_mov_b32 s30, s22
	s_mov_b32 s31, s23
	buffer_load_dwordx4 v[6:9], v1, s[28:31], 0 offen glc slc
	buffer_load_dwordx4 v[2:5], v1, s[20:23], 0 offen
.LBB363_28:
	s_or_b64 exec, exec, s[0:1]
	v_mov_b32_e32 v11, 0
	v_mov_b32_e32 v16, 0
	;; [unrolled: 1-line block ×7, first 2 shown]
	s_and_saveexec_b64 s[0:1], vcc
	s_cbranch_execz .LBB363_30
; %bb.29:
	s_waitcnt vmcnt(1)
	v_cvt_f32_f16_sdwa v11, v6 dst_sel:DWORD dst_unused:UNUSED_PAD src0_sel:WORD_1
	v_cvt_f32_f16_e32 v10, v6
	v_cvt_f32_f16_sdwa v17, v7 dst_sel:DWORD dst_unused:UNUSED_PAD src0_sel:WORD_1
	v_cvt_f32_f16_e32 v16, v7
	;; [unrolled: 2-line block ×4, first 2 shown]
.LBB363_30:
	s_or_b64 exec, exec, s[0:1]
	s_waitcnt vmcnt(1)
	v_mul_f32_e32 v6, v11, v11
	v_fmac_f32_e32 v6, v10, v10
	v_fmac_f32_e32 v6, v16, v16
	;; [unrolled: 1-line block ×7, first 2 shown]
	s_nop 1
	v_mov_b32_dpp v7, v6 quad_perm:[1,0,3,2] row_mask:0xf bank_mask:0xf
	v_add_f32_e32 v6, v6, v7
	s_nop 1
	v_mov_b32_dpp v7, v6 quad_perm:[2,3,0,1] row_mask:0xf bank_mask:0xf
	v_add_f32_e32 v6, v6, v7
	s_nop 1
	v_mov_b32_dpp v7, v6 row_half_mirror row_mask:0xf bank_mask:0xf
	v_add_f32_e32 v6, v6, v7
	s_nop 1
	v_mov_b32_dpp v7, v6 row_mirror row_mask:0xf bank_mask:0xf
	v_add_f32_e32 v6, v6, v7
	s_nop 1
	v_mov_b32_dpp v7, v6 row_bcast:15 row_mask:0xf bank_mask:0xf
	v_add_f32_e32 v6, v6, v7
	s_nop 1
	v_mov_b32_dpp v7, v6 row_bcast:31 row_mask:0xf bank_mask:0xf
	s_and_saveexec_b64 s[0:1], s[8:9]
	s_cbranch_execz .LBB363_32
; %bb.31:
	v_lshrrev_b32_e32 v0, 4, v0
	v_add_f32_e32 v6, v6, v7
	v_and_b32_e32 v0, 60, v0
	ds_write_b32 v0, v6
.LBB363_32:
	s_or_b64 exec, exec, s[0:1]
	s_waitcnt lgkmcnt(0)
	s_barrier
	ds_read_b32 v0, v18
	s_waitcnt lgkmcnt(0)
	s_nop 0
	v_mov_b32_dpp v6, v0 quad_perm:[1,0,3,2] row_mask:0xf bank_mask:0xf
	s_and_saveexec_b64 s[0:1], vcc
	s_cbranch_execz .LBB363_17
; %bb.33:
	v_cvt_f32_u32_e32 v7, s16
	v_add_f32_e32 v0, v0, v6
	s_mov_b32 s23, 0x20000
	v_div_scale_f32 v6, s[0:1], v7, v7, v0
	v_rcp_f32_e32 v8, v6
	v_div_scale_f32 v9, vcc, v0, v7, v0
	s_mov_b32 s0, 0x800000
	v_fma_f32 v18, -v6, v8, 1.0
	v_fmac_f32_e32 v8, v18, v8
	v_mul_f32_e32 v18, v9, v8
	v_fma_f32 v19, -v6, v18, v9
	v_fmac_f32_e32 v18, v19, v8
	v_fma_f32 v6, -v6, v18, v9
	v_div_fmas_f32 v6, v6, v8, v18
	v_div_fixup_f32 v0, v6, v7, v0
	v_add_f32_e32 v0, s13, v0
	v_mul_f32_e32 v6, 0x4b800000, v0
	v_cmp_gt_f32_e32 vcc, s0, v0
	v_cndmask_b32_e32 v0, v0, v6, vcc
	v_rsq_f32_e32 v0, v0
	s_waitcnt vmcnt(0)
	v_cvt_f32_f16_sdwa v19, v3 dst_sel:DWORD dst_unused:UNUSED_PAD src0_sel:WORD_1
	v_cvt_f32_f16_e32 v18, v3
	s_mul_hi_i32 s1, s25, s6
	v_mul_f32_e32 v6, 0x45800000, v0
	v_cndmask_b32_e32 v6, v0, v6, vcc
	v_mov_b32_e32 v7, v6
	;;#ASMSTART
	v_pk_mul_f32 v[8:9], v[10:11], v[6:7]
	;;#ASMEND
	;;#ASMSTART
	v_pk_mul_f32 v[10:11], v[16:17], v[6:7]
	;;#ASMEND
	v_cvt_f32_f16_sdwa v17, v2 dst_sel:DWORD dst_unused:UNUSED_PAD src0_sel:WORD_1
	v_cvt_f32_f16_e32 v16, v2
	;;#ASMSTART
	v_pk_mul_f32 v[14:15], v[14:15], v[6:7]
	;;#ASMEND
	;;#ASMSTART
	v_pk_mul_f32 v[2:3], v[12:13], v[6:7]
	;;#ASMEND
	v_cvt_f32_f16_sdwa v13, v4 dst_sel:DWORD dst_unused:UNUSED_PAD src0_sel:WORD_1
	v_cvt_f32_f16_e32 v12, v4
	v_pk_add_f32 v[6:7], v[16:17], 1.0 op_sel_hi:[1,0]
	v_cvt_f32_f16_sdwa v17, v5 dst_sel:DWORD dst_unused:UNUSED_PAD src0_sel:WORD_1
	v_cvt_f32_f16_e32 v16, v5
	;;#ASMSTART
	v_pk_mul_f32 v[6:7], v[8:9], v[6:7]
	;;#ASMEND
	v_pk_add_f32 v[8:9], v[18:19], 1.0 op_sel_hi:[1,0]
	;;#ASMSTART
	v_pk_mul_f32 v[4:5], v[10:11], v[8:9]
	;;#ASMEND
	v_pk_add_f32 v[8:9], v[12:13], 1.0 op_sel_hi:[1,0]
	;; [unrolled: 4-line block ×3, first 2 shown]
	;;#ASMSTART
	v_pk_mul_f32 v[2:3], v[2:3], v[10:11]
	;;#ASMEND
	s_mul_i32 s0, s25, s6
	v_cvt_f16_f32_e32 v0, v6
	v_cvt_f16_f32_e32 v6, v7
	;; [unrolled: 1-line block ×8, first 2 shown]
	s_lshl_b64 s[0:1], s[0:1], 1
	s_add_u32 s20, s14, s0
	s_addc_u32 s0, s15, s1
	s_and_b32 s21, s0, 0xffff
	v_pack_b32_f16 v2, v0, v6
	v_pack_b32_f16 v3, v4, v5
	;; [unrolled: 1-line block ×4, first 2 shown]
	buffer_store_dwordx4 v[2:5], v1, s[20:23], 0 offen
	;;#ASMSTART
	s_nop 0
	;;#ASMEND
	s_endpgm
	.section	.rodata,"a",@progbits
	.p2align	6, 0x0
	.amdhsa_kernel _ZN5aiter35fused_qk_rmsnorm_group_quant_kernelIDF16_N4opus5fp4_tELi128ELi8ELi8ELb1ELb1ELb1ELb1ELb0ELb0EEEvPT0_PvPT_S7_S7_PKS6_S9_S9_S9_S9_ffiiiiiiiiiiiii
		.amdhsa_group_segment_fixed_size 16
		.amdhsa_private_segment_fixed_size 0
		.amdhsa_kernarg_size 400
		.amdhsa_user_sgpr_count 6
		.amdhsa_user_sgpr_private_segment_buffer 1
		.amdhsa_user_sgpr_dispatch_ptr 0
		.amdhsa_user_sgpr_queue_ptr 0
		.amdhsa_user_sgpr_kernarg_segment_ptr 1
		.amdhsa_user_sgpr_dispatch_id 0
		.amdhsa_user_sgpr_flat_scratch_init 0
		.amdhsa_user_sgpr_kernarg_preload_length 0
		.amdhsa_user_sgpr_kernarg_preload_offset 0
		.amdhsa_user_sgpr_private_segment_size 0
		.amdhsa_uses_dynamic_stack 0
		.amdhsa_system_sgpr_private_segment_wavefront_offset 0
		.amdhsa_system_sgpr_workgroup_id_x 1
		.amdhsa_system_sgpr_workgroup_id_y 1
		.amdhsa_system_sgpr_workgroup_id_z 0
		.amdhsa_system_sgpr_workgroup_info 0
		.amdhsa_system_vgpr_workitem_id 0
		.amdhsa_next_free_vgpr 25
		.amdhsa_next_free_sgpr 32
		.amdhsa_accum_offset 28
		.amdhsa_reserve_vcc 1
		.amdhsa_reserve_flat_scratch 0
		.amdhsa_float_round_mode_32 0
		.amdhsa_float_round_mode_16_64 0
		.amdhsa_float_denorm_mode_32 3
		.amdhsa_float_denorm_mode_16_64 3
		.amdhsa_dx10_clamp 1
		.amdhsa_ieee_mode 1
		.amdhsa_fp16_overflow 0
		.amdhsa_tg_split 0
		.amdhsa_exception_fp_ieee_invalid_op 0
		.amdhsa_exception_fp_denorm_src 0
		.amdhsa_exception_fp_ieee_div_zero 0
		.amdhsa_exception_fp_ieee_overflow 0
		.amdhsa_exception_fp_ieee_underflow 0
		.amdhsa_exception_fp_ieee_inexact 0
		.amdhsa_exception_int_div_zero 0
	.end_amdhsa_kernel
	.section	.text._ZN5aiter35fused_qk_rmsnorm_group_quant_kernelIDF16_N4opus5fp4_tELi128ELi8ELi8ELb1ELb1ELb1ELb1ELb0ELb0EEEvPT0_PvPT_S7_S7_PKS6_S9_S9_S9_S9_ffiiiiiiiiiiiii,"axG",@progbits,_ZN5aiter35fused_qk_rmsnorm_group_quant_kernelIDF16_N4opus5fp4_tELi128ELi8ELi8ELb1ELb1ELb1ELb1ELb0ELb0EEEvPT0_PvPT_S7_S7_PKS6_S9_S9_S9_S9_ffiiiiiiiiiiiii,comdat
.Lfunc_end363:
	.size	_ZN5aiter35fused_qk_rmsnorm_group_quant_kernelIDF16_N4opus5fp4_tELi128ELi8ELi8ELb1ELb1ELb1ELb1ELb0ELb0EEEvPT0_PvPT_S7_S7_PKS6_S9_S9_S9_S9_ffiiiiiiiiiiiii, .Lfunc_end363-_ZN5aiter35fused_qk_rmsnorm_group_quant_kernelIDF16_N4opus5fp4_tELi128ELi8ELi8ELb1ELb1ELb1ELb1ELb0ELb0EEEvPT0_PvPT_S7_S7_PKS6_S9_S9_S9_S9_ffiiiiiiiiiiiii
                                        ; -- End function
	.section	.AMDGPU.csdata,"",@progbits
; Kernel info:
; codeLenInByte = 2448
; NumSgprs: 36
; NumVgprs: 25
; NumAgprs: 0
; TotalNumVgprs: 25
; ScratchSize: 0
; MemoryBound: 0
; FloatMode: 240
; IeeeMode: 1
; LDSByteSize: 16 bytes/workgroup (compile time only)
; SGPRBlocks: 4
; VGPRBlocks: 3
; NumSGPRsForWavesPerEU: 36
; NumVGPRsForWavesPerEU: 25
; AccumOffset: 28
; Occupancy: 8
; WaveLimiterHint : 0
; COMPUTE_PGM_RSRC2:SCRATCH_EN: 0
; COMPUTE_PGM_RSRC2:USER_SGPR: 6
; COMPUTE_PGM_RSRC2:TRAP_HANDLER: 0
; COMPUTE_PGM_RSRC2:TGID_X_EN: 1
; COMPUTE_PGM_RSRC2:TGID_Y_EN: 1
; COMPUTE_PGM_RSRC2:TGID_Z_EN: 0
; COMPUTE_PGM_RSRC2:TIDIG_COMP_CNT: 0
; COMPUTE_PGM_RSRC3_GFX90A:ACCUM_OFFSET: 6
; COMPUTE_PGM_RSRC3_GFX90A:TG_SPLIT: 0
	.section	.text._ZN5aiter35fused_qk_rmsnorm_group_quant_kernelItN4opus5fp4_tELi128ELi8ELi8ELb1ELb1ELb1ELb1ELb0ELb0EEEvPT0_PvPT_S7_S7_PKS6_S9_S9_S9_S9_ffiiiiiiiiiiiii,"axG",@progbits,_ZN5aiter35fused_qk_rmsnorm_group_quant_kernelItN4opus5fp4_tELi128ELi8ELi8ELb1ELb1ELb1ELb1ELb0ELb0EEEvPT0_PvPT_S7_S7_PKS6_S9_S9_S9_S9_ffiiiiiiiiiiiii,comdat
	.protected	_ZN5aiter35fused_qk_rmsnorm_group_quant_kernelItN4opus5fp4_tELi128ELi8ELi8ELb1ELb1ELb1ELb1ELb0ELb0EEEvPT0_PvPT_S7_S7_PKS6_S9_S9_S9_S9_ffiiiiiiiiiiiii ; -- Begin function _ZN5aiter35fused_qk_rmsnorm_group_quant_kernelItN4opus5fp4_tELi128ELi8ELi8ELb1ELb1ELb1ELb1ELb0ELb0EEEvPT0_PvPT_S7_S7_PKS6_S9_S9_S9_S9_ffiiiiiiiiiiiii
	.globl	_ZN5aiter35fused_qk_rmsnorm_group_quant_kernelItN4opus5fp4_tELi128ELi8ELi8ELb1ELb1ELb1ELb1ELb0ELb0EEEvPT0_PvPT_S7_S7_PKS6_S9_S9_S9_S9_ffiiiiiiiiiiiii
	.p2align	8
	.type	_ZN5aiter35fused_qk_rmsnorm_group_quant_kernelItN4opus5fp4_tELi128ELi8ELi8ELb1ELb1ELb1ELb1ELb0ELb0EEEvPT0_PvPT_S7_S7_PKS6_S9_S9_S9_S9_ffiiiiiiiiiiiii,@function
_ZN5aiter35fused_qk_rmsnorm_group_quant_kernelItN4opus5fp4_tELi128ELi8ELi8ELb1ELb1ELb1ELb1ELb0ELb0EEEvPT0_PvPT_S7_S7_PKS6_S9_S9_S9_S9_ffiiiiiiiiiiiii: ; @_ZN5aiter35fused_qk_rmsnorm_group_quant_kernelItN4opus5fp4_tELi128ELi8ELi8ELb1ELb1ELb1ELb1ELb0ELb0EEEvPT0_PvPT_S7_S7_PKS6_S9_S9_S9_S9_ffiiiiiiiiiiiii
; %bb.0:
	s_load_dwordx8 s[12:19], s[4:5], 0x50
	s_waitcnt lgkmcnt(0)
	s_cmp_ge_i32 s6, s14
	s_cbranch_scc1 .LBB364_17
; %bb.1:
	s_cmp_lg_u32 s7, 0
	s_cselect_b64 s[22:23], -1, 0
	s_cmp_eq_u32 s7, 0
	s_cselect_b64 s[8:9], -1, 0
	s_and_b64 s[0:1], s[8:9], exec
	s_cselect_b32 s7, s15, s16
	s_load_dwordx2 s[10:11], s[4:5], 0x30
	s_load_dwordx2 s[20:21], s[4:5], 0x48
	s_add_i32 s0, s7, 1
	s_lshr_b32 s1, s0, 31
	s_add_i32 s0, s0, s1
	s_lshl_b32 s0, s0, 1
	v_lshlrev_b32_e32 v1, 3, v0
	s_and_b32 s30, s0, -4
	v_cmp_gt_i32_e64 s[0:1], s7, v1
	v_mov_b32_e32 v10, 0
	v_mov_b32_e32 v11, 0
	;; [unrolled: 1-line block ×8, first 2 shown]
	s_and_saveexec_b64 s[2:3], s[0:1]
	s_cbranch_execz .LBB364_3
; %bb.2:
	s_load_dwordx2 s[14:15], s[4:5], 0x28
	s_load_dwordx2 s[26:27], s[4:5], 0x40
	s_and_b64 s[24:25], s[8:9], exec
	s_cselect_b32 s17, s17, s18
	s_mov_b32 s31, 0x20000
	s_waitcnt lgkmcnt(0)
	s_cselect_b32 s25, s15, s11
	s_cselect_b32 s24, s14, s10
	s_mul_hi_i32 s15, s17, s6
	s_mul_i32 s14, s17, s6
	s_lshl_b64 s[14:15], s[14:15], 1
	s_add_u32 s24, s24, s14
	s_addc_u32 s17, s25, s15
	s_and_b64 s[14:15], s[8:9], exec
	s_cselect_b32 s28, s26, s20
	s_cselect_b32 s14, s27, s21
	v_lshlrev_b32_e32 v2, 4, v0
	s_and_b32 s25, s17, 0xffff
	s_mov_b32 s26, s30
	s_mov_b32 s27, s31
	s_and_b32 s29, s14, 0xffff
	buffer_load_dwordx4 v[14:17], v2, s[24:27], 0 offen glc slc
	buffer_load_dwordx4 v[10:13], v2, s[28:31], 0 offen
.LBB364_3:
	s_or_b64 exec, exec, s[2:3]
	s_load_dwordx4 s[24:27], s[4:5], 0x7c
	s_and_b64 vcc, exec, s[22:23]
	s_cbranch_vccz .LBB364_7
; %bb.4:
	s_mov_b32 s36, 0
	s_mov_b32 s37, s36
	;; [unrolled: 1-line block ×8, first 2 shown]
	v_pk_mov_b32 v[2:3], s[36:37], s[36:37] op_sel:[0,1]
	v_pk_mov_b32 v[4:5], s[38:39], s[38:39] op_sel:[0,1]
	;; [unrolled: 1-line block ×4, first 2 shown]
	s_and_saveexec_b64 s[2:3], s[0:1]
	s_cbranch_execz .LBB364_6
; %bb.5:
	s_waitcnt vmcnt(1)
	v_cvt_f32_u32_sdwa v3, v14 dst_sel:DWORD dst_unused:UNUSED_PAD src0_sel:WORD_1
	v_cvt_f32_u32_sdwa v2, v14 dst_sel:DWORD dst_unused:UNUSED_PAD src0_sel:WORD_0
	v_cvt_f32_u32_sdwa v5, v15 dst_sel:DWORD dst_unused:UNUSED_PAD src0_sel:WORD_1
	v_cvt_f32_u32_sdwa v4, v15 dst_sel:DWORD dst_unused:UNUSED_PAD src0_sel:WORD_0
	;; [unrolled: 2-line block ×4, first 2 shown]
.LBB364_6:
	s_or_b64 exec, exec, s[2:3]
	s_cbranch_execz .LBB364_8
	s_branch .LBB364_11
.LBB364_7:
                                        ; implicit-def: $vgpr2_vgpr3_vgpr4_vgpr5_vgpr6_vgpr7_vgpr8_vgpr9
.LBB364_8:
	s_mov_b32 s36, 0
	s_mov_b32 s37, s36
	;; [unrolled: 1-line block ×8, first 2 shown]
	v_pk_mov_b32 v[2:3], s[36:37], s[36:37] op_sel:[0,1]
	v_pk_mov_b32 v[4:5], s[38:39], s[38:39] op_sel:[0,1]
	;; [unrolled: 1-line block ×4, first 2 shown]
	s_and_saveexec_b64 s[2:3], s[0:1]
	s_cbranch_execz .LBB364_10
; %bb.9:
	s_load_dwordx2 s[14:15], s[4:5], 0x38
	s_mul_hi_i32 s29, s19, s6
	s_mul_i32 s28, s19, s6
	s_lshl_b64 s[28:29], s[28:29], 1
	s_mov_b32 s31, 0x20000
	s_waitcnt lgkmcnt(0)
	s_add_u32 s28, s14, s28
	s_addc_u32 s14, s15, s29
	s_and_b32 s29, s14, 0xffff
	v_lshlrev_b32_e32 v26, 4, v0
	buffer_load_dwordx4 v[2:5], v26, s[28:31], 0 offen glc slc
	s_load_dwordx2 s[14:15], s[4:5], 0x20
	s_waitcnt vmcnt(2)
	v_cvt_f32_u32_sdwa v7, v14 dst_sel:DWORD dst_unused:UNUSED_PAD src0_sel:WORD_1
	v_cvt_f32_u32_sdwa v6, v14 dst_sel:DWORD dst_unused:UNUSED_PAD src0_sel:WORD_0
	v_cvt_f32_u32_sdwa v9, v15 dst_sel:DWORD dst_unused:UNUSED_PAD src0_sel:WORD_1
	v_cvt_f32_u32_sdwa v8, v15 dst_sel:DWORD dst_unused:UNUSED_PAD src0_sel:WORD_0
	;; [unrolled: 2-line block ×4, first 2 shown]
	s_mul_hi_i32 s27, s26, s6
	s_mul_i32 s26, s26, s6
	s_lshl_b64 s[26:27], s[26:27], 1
	s_waitcnt lgkmcnt(0)
	s_add_u32 s28, s14, s26
	s_mov_b32 s17, 0x7060302
	s_addc_u32 s14, s15, s27
	s_and_b32 s29, s14, 0xffff
	s_waitcnt vmcnt(0)
	v_cvt_f32_u32_sdwa v17, v2 dst_sel:DWORD dst_unused:UNUSED_PAD src0_sel:WORD_1
	v_cvt_f32_u32_sdwa v16, v2 dst_sel:DWORD dst_unused:UNUSED_PAD src0_sel:WORD_0
	v_cvt_f32_u32_sdwa v21, v3 dst_sel:DWORD dst_unused:UNUSED_PAD src0_sel:WORD_1
	v_cvt_f32_u32_sdwa v20, v3 dst_sel:DWORD dst_unused:UNUSED_PAD src0_sel:WORD_0
	;; [unrolled: 2-line block ×4, first 2 shown]
	v_pk_add_f32 v[2:3], v[6:7], v[16:17]
	v_pk_add_f32 v[4:5], v[8:9], v[20:21]
	;; [unrolled: 1-line block ×4, first 2 shown]
	v_perm_b32 v17, v9, v8, s17
	v_perm_b32 v16, v7, v6, s17
	;; [unrolled: 1-line block ×4, first 2 shown]
	buffer_store_dwordx4 v[14:17], v26, s[28:31], 0 offen glc slc
	;;#ASMSTART
	s_nop 0
	;;#ASMEND
.LBB364_10:
	s_or_b64 exec, exec, s[2:3]
.LBB364_11:
	s_waitcnt vmcnt(1)
	v_mul_f32_e32 v14, v3, v3
	v_fmac_f32_e32 v14, v2, v2
	v_fmac_f32_e32 v14, v4, v4
	;; [unrolled: 1-line block ×7, first 2 shown]
	v_and_b32_e32 v16, 63, v0
	v_cmp_eq_u32_e64 s[2:3], 63, v16
	v_mov_b32_dpp v15, v14 quad_perm:[1,0,3,2] row_mask:0xf bank_mask:0xf
	v_add_f32_e32 v14, v14, v15
	s_nop 1
	v_mov_b32_dpp v15, v14 quad_perm:[2,3,0,1] row_mask:0xf bank_mask:0xf
	v_add_f32_e32 v14, v14, v15
	s_nop 1
	v_mov_b32_dpp v15, v14 row_half_mirror row_mask:0xf bank_mask:0xf
	v_add_f32_e32 v14, v14, v15
	s_nop 1
	v_mov_b32_dpp v15, v14 row_mirror row_mask:0xf bank_mask:0xf
	v_add_f32_e32 v14, v14, v15
	s_nop 1
	v_mov_b32_dpp v15, v14 row_bcast:15 row_mask:0xf bank_mask:0xf
	v_add_f32_e32 v14, v14, v15
	s_nop 1
	v_mov_b32_dpp v15, v14 row_bcast:31 row_mask:0xf bank_mask:0xf
	s_and_saveexec_b64 s[14:15], s[2:3]
	s_cbranch_execz .LBB364_13
; %bb.12:
	v_add_f32_e32 v14, v14, v15
	v_lshrrev_b32_e32 v15, 4, v0
	v_and_b32_e32 v15, 60, v15
	ds_write_b32 v15, v14 offset:8
.LBB364_13:
	s_or_b64 exec, exec, s[14:15]
	v_and_b32_e32 v14, 1, v0
	v_lshlrev_b32_e32 v14, 2, v14
	s_waitcnt lgkmcnt(0)
	s_barrier
	ds_read_b32 v15, v14 offset:8
	s_load_dwordx2 s[14:15], s[4:5], 0x18
	s_waitcnt lgkmcnt(0)
	v_mov_b32_dpp v16, v15 quad_perm:[1,0,3,2] row_mask:0xf bank_mask:0xf
	s_and_saveexec_b64 s[26:27], s[0:1]
	s_cbranch_execnz .LBB364_18
; %bb.14:
	s_or_b64 exec, exec, s[26:27]
	s_mov_b64 s[8:9], -1
	s_and_b64 vcc, exec, s[22:23]
	s_cbranch_vccnz .LBB364_19
.LBB364_15:
	s_andn2_b64 vcc, exec, s[8:9]
	s_cbranch_vccz .LBB364_22
.LBB364_16:
	s_cmp_lt_i32 s16, 1
	s_cbranch_scc0 .LBB364_25
.LBB364_17:
	s_endpgm
.LBB364_18:
	v_cvt_f32_u32_e32 v17, s7
	v_add_f32_e32 v15, v15, v16
	v_mov_b32_e32 v19, s13
	v_mov_b32_e32 v20, s12
	v_div_scale_f32 v16, s[28:29], v17, v17, v15
	v_rcp_f32_e32 v18, v16
	v_cndmask_b32_e64 v19, v19, v20, s[8:9]
	s_mov_b32 s7, 0x800000
	v_fma_f32 v20, -v16, v18, 1.0
	v_fmac_f32_e32 v18, v20, v18
	v_div_scale_f32 v20, vcc, v15, v17, v15
	v_mul_f32_e32 v21, v20, v18
	v_fma_f32 v22, -v16, v21, v20
	v_fmac_f32_e32 v21, v22, v18
	v_fma_f32 v16, -v16, v21, v20
	v_div_fmas_f32 v16, v16, v18, v21
	v_div_fixup_f32 v15, v16, v17, v15
	v_add_f32_e32 v15, v19, v15
	v_mul_f32_e32 v16, 0x4b800000, v15
	v_cmp_gt_f32_e32 vcc, s7, v15
	v_cndmask_b32_e32 v15, v15, v16, vcc
	v_rsq_f32_e32 v15, v15
	s_waitcnt vmcnt(0)
	v_cvt_f32_u32_sdwa v19, v10 dst_sel:DWORD dst_unused:UNUSED_PAD src0_sel:WORD_1
	v_cvt_f32_u32_sdwa v18, v10 dst_sel:DWORD dst_unused:UNUSED_PAD src0_sel:WORD_0
	v_cvt_f32_u32_sdwa v21, v11 dst_sel:DWORD dst_unused:UNUSED_PAD src0_sel:WORD_1
	v_mul_f32_e32 v16, 0x45800000, v15
	v_cndmask_b32_e32 v16, v15, v16, vcc
	v_mov_b32_e32 v17, v16
	v_cvt_f32_u32_sdwa v20, v11 dst_sel:DWORD dst_unused:UNUSED_PAD src0_sel:WORD_0
	;;#ASMSTART
	v_pk_mul_f32 v[2:3], v[2:3], v[16:17]
	;;#ASMEND
	;;#ASMSTART
	v_pk_mul_f32 v[4:5], v[4:5], v[16:17]
	;;#ASMEND
	;; [unrolled: 3-line block ×4, first 2 shown]
	v_cvt_f32_u32_sdwa v17, v12 dst_sel:DWORD dst_unused:UNUSED_PAD src0_sel:WORD_1
	v_cvt_f32_u32_sdwa v16, v12 dst_sel:DWORD dst_unused:UNUSED_PAD src0_sel:WORD_0
	v_pk_add_f32 v[10:11], v[18:19], 1.0 op_sel_hi:[1,0]
	v_cvt_f32_u32_sdwa v19, v13 dst_sel:DWORD dst_unused:UNUSED_PAD src0_sel:WORD_1
	v_cvt_f32_u32_sdwa v18, v13 dst_sel:DWORD dst_unused:UNUSED_PAD src0_sel:WORD_0
	;;#ASMSTART
	v_pk_mul_f32 v[2:3], v[2:3], v[10:11]
	;;#ASMEND
	v_pk_add_f32 v[10:11], v[20:21], 1.0 op_sel_hi:[1,0]
	;;#ASMSTART
	v_pk_mul_f32 v[4:5], v[4:5], v[10:11]
	;;#ASMEND
	v_pk_add_f32 v[10:11], v[16:17], 1.0 op_sel_hi:[1,0]
	;; [unrolled: 4-line block ×3, first 2 shown]
	;;#ASMSTART
	v_pk_mul_f32 v[8:9], v[8:9], v[10:11]
	;;#ASMEND
	s_or_b64 exec, exec, s[26:27]
	s_mov_b64 s[8:9], -1
	s_and_b64 vcc, exec, s[22:23]
	s_cbranch_vccz .LBB364_15
.LBB364_19:
	s_and_saveexec_b64 s[8:9], s[0:1]
	s_cbranch_execz .LBB364_21
; %bb.20:
	s_mul_hi_i32 s23, s25, s6
	s_mul_i32 s22, s25, s6
	s_lshl_b64 s[22:23], s[22:23], 1
	s_add_u32 s28, s14, s22
	s_addc_u32 s7, s15, s23
	s_and_b32 s29, s7, 0xffff
	s_mov_b32 s7, 0x7060302
	s_mov_b32 s31, 0x20000
	s_waitcnt vmcnt(0)
	v_perm_b32 v10, v3, v2, s7
	v_perm_b32 v11, v5, v4, s7
	v_perm_b32 v12, v7, v6, s7
	v_perm_b32 v13, v9, v8, s7
	v_lshlrev_b32_e32 v15, 4, v0
	buffer_store_dwordx4 v[10:13], v15, s[28:31], 0 offen
	;;#ASMSTART
	s_nop 0
	;;#ASMEND
.LBB364_21:
	s_or_b64 exec, exec, s[8:9]
	s_cbranch_execnz .LBB364_16
.LBB364_22:
	s_and_saveexec_b64 s[8:9], s[0:1]
	s_cbranch_execz .LBB364_24
; %bb.23:
	s_load_dwordx2 s[0:1], s[4:5], 0x10
	s_mul_hi_i32 s23, s24, s6
	s_mul_i32 s22, s24, s6
	s_lshl_b64 s[22:23], s[22:23], 1
	s_mov_b32 s31, 0x20000
	s_waitcnt lgkmcnt(0)
	s_add_u32 s28, s0, s22
	s_addc_u32 s0, s1, s23
	s_and_b32 s29, s0, 0xffff
	s_mov_b32 s0, 0x7060302
	v_perm_b32 v2, v3, v2, s0
	v_perm_b32 v3, v5, v4, s0
	;; [unrolled: 1-line block ×4, first 2 shown]
	v_lshlrev_b32_e32 v6, 4, v0
	buffer_store_dwordx4 v[2:5], v6, s[28:31], 0 offen
	;;#ASMSTART
	s_nop 0
	;;#ASMEND
.LBB364_24:
	s_or_b64 exec, exec, s[8:9]
	s_cmp_lt_i32 s16, 1
	s_cbranch_scc1 .LBB364_17
.LBB364_25:
	s_load_dword s0, s[4:5], 0x94
	s_waitcnt lgkmcnt(0)
	s_cmp_lg_u32 s0, 1
	s_cbranch_scc1 .LBB364_17
; %bb.26:
	s_lshl_b32 s0, s16, 1
	s_add_i32 s0, s0, 2
	v_cmp_gt_u32_e32 vcc, s16, v1
	s_and_b32 s22, s0, -4
	v_mov_b32_e32 v6, 0
	v_lshlrev_b32_e32 v1, 4, v0
	v_mov_b32_e32 v7, 0
	v_mov_b32_e32 v8, 0
	;; [unrolled: 1-line block ×7, first 2 shown]
	s_barrier
	s_and_saveexec_b64 s[0:1], vcc
	s_cbranch_execz .LBB364_28
; %bb.27:
	s_mul_hi_i32 s5, s18, s6
	s_mul_i32 s4, s18, s6
	s_and_b32 s21, s21, 0xffff
	s_lshl_b64 s[4:5], s[4:5], 1
	s_add_u32 s8, s10, s4
	s_mov_b32 s23, 0x20000
	s_addc_u32 s4, s11, s5
	s_and_b32 s9, s4, 0xffff
	s_mov_b32 s10, s22
	s_mov_b32 s11, s23
	buffer_load_dwordx4 v[6:9], v1, s[8:11], 0 offen glc slc
	buffer_load_dwordx4 v[2:5], v1, s[20:23], 0 offen
.LBB364_28:
	s_or_b64 exec, exec, s[0:1]
	s_waitcnt vmcnt(0)
	v_cvt_f32_u32_sdwa v13, v6 dst_sel:DWORD dst_unused:UNUSED_PAD src0_sel:WORD_1
	v_cvt_f32_u32_sdwa v12, v6 dst_sel:DWORD dst_unused:UNUSED_PAD src0_sel:WORD_0
	v_cvt_f32_u32_sdwa v6, v9 dst_sel:DWORD dst_unused:UNUSED_PAD src0_sel:WORD_1
	v_cvt_f32_u32_sdwa v9, v9 dst_sel:DWORD dst_unused:UNUSED_PAD src0_sel:WORD_0
	v_cvt_f32_u32_sdwa v15, v8 dst_sel:DWORD dst_unused:UNUSED_PAD src0_sel:WORD_1
	v_cvt_f32_u32_sdwa v10, v7 dst_sel:DWORD dst_unused:UNUSED_PAD src0_sel:WORD_0
	v_cvt_f32_u32_sdwa v11, v7 dst_sel:DWORD dst_unused:UNUSED_PAD src0_sel:WORD_1
	v_cvt_f32_u32_sdwa v8, v8 dst_sel:DWORD dst_unused:UNUSED_PAD src0_sel:WORD_0
	v_cndmask_b32_e32 v13, 0, v13, vcc
	v_cndmask_b32_e32 v7, 0, v6, vcc
	;; [unrolled: 1-line block ×5, first 2 shown]
	v_mul_f32_e32 v15, v13, v13
	v_cndmask_b32_e32 v10, 0, v10, vcc
	v_fmac_f32_e32 v15, v12, v12
	v_cndmask_b32_e32 v11, 0, v11, vcc
	v_fmac_f32_e32 v15, v10, v10
	;; [unrolled: 2-line block ×3, first 2 shown]
	v_fmac_f32_e32 v15, v8, v8
	v_fmac_f32_e32 v15, v9, v9
	;; [unrolled: 1-line block ×4, first 2 shown]
	s_nop 1
	v_mov_b32_dpp v16, v15 quad_perm:[1,0,3,2] row_mask:0xf bank_mask:0xf
	v_add_f32_e32 v15, v15, v16
	s_nop 1
	v_mov_b32_dpp v16, v15 quad_perm:[2,3,0,1] row_mask:0xf bank_mask:0xf
	v_add_f32_e32 v15, v15, v16
	s_nop 1
	v_mov_b32_dpp v16, v15 row_half_mirror row_mask:0xf bank_mask:0xf
	v_add_f32_e32 v15, v15, v16
	s_nop 1
	v_mov_b32_dpp v16, v15 row_mirror row_mask:0xf bank_mask:0xf
	v_add_f32_e32 v15, v15, v16
	s_nop 1
	v_mov_b32_dpp v16, v15 row_bcast:15 row_mask:0xf bank_mask:0xf
	v_add_f32_e32 v15, v15, v16
	s_nop 1
	v_mov_b32_dpp v16, v15 row_bcast:31 row_mask:0xf bank_mask:0xf
	s_and_saveexec_b64 s[0:1], s[2:3]
	s_cbranch_execz .LBB364_30
; %bb.29:
	v_lshrrev_b32_e32 v0, 4, v0
	v_add_f32_e32 v15, v15, v16
	v_and_b32_e32 v0, 60, v0
	ds_write_b32 v0, v15
.LBB364_30:
	s_or_b64 exec, exec, s[0:1]
	s_waitcnt lgkmcnt(0)
	s_barrier
	ds_read_b32 v0, v14
	s_waitcnt lgkmcnt(0)
	s_nop 0
	v_mov_b32_dpp v14, v0 quad_perm:[1,0,3,2] row_mask:0xf bank_mask:0xf
	s_and_saveexec_b64 s[0:1], vcc
	s_cbranch_execz .LBB364_17
; %bb.31:
	v_cvt_f32_u32_e32 v15, s16
	v_add_f32_e32 v0, v0, v14
	s_mov_b32 s23, 0x20000
	v_div_scale_f32 v14, s[0:1], v15, v15, v0
	v_rcp_f32_e32 v16, v14
	v_div_scale_f32 v17, vcc, v0, v15, v0
	s_mov_b32 s0, 0x800000
	v_fma_f32 v18, -v14, v16, 1.0
	v_fmac_f32_e32 v16, v18, v16
	v_mul_f32_e32 v18, v17, v16
	v_fma_f32 v19, -v14, v18, v17
	v_fmac_f32_e32 v18, v19, v16
	v_fma_f32 v14, -v14, v18, v17
	v_div_fmas_f32 v14, v14, v16, v18
	v_div_fixup_f32 v0, v14, v15, v0
	v_add_f32_e32 v0, s13, v0
	v_mul_f32_e32 v14, 0x4b800000, v0
	v_cmp_gt_f32_e32 vcc, s0, v0
	v_cndmask_b32_e32 v0, v0, v14, vcc
	v_rsq_f32_e32 v0, v0
	v_cvt_f32_u32_sdwa v17, v2 dst_sel:DWORD dst_unused:UNUSED_PAD src0_sel:WORD_1
	v_cvt_f32_u32_sdwa v16, v2 dst_sel:DWORD dst_unused:UNUSED_PAD src0_sel:WORD_0
	v_cvt_f32_u32_sdwa v19, v3 dst_sel:DWORD dst_unused:UNUSED_PAD src0_sel:WORD_1
	v_mul_f32_e32 v14, 0x45800000, v0
	v_cndmask_b32_e32 v14, v0, v14, vcc
	v_mov_b32_e32 v15, v14
	;;#ASMSTART
	v_pk_mul_f32 v[12:13], v[12:13], v[14:15]
	;;#ASMEND
	;;#ASMSTART
	v_pk_mul_f32 v[10:11], v[10:11], v[14:15]
	;;#ASMEND
	;; [unrolled: 3-line block ×3, first 2 shown]
	v_cvt_f32_u32_sdwa v18, v3 dst_sel:DWORD dst_unused:UNUSED_PAD src0_sel:WORD_0
	;;#ASMSTART
	v_pk_mul_f32 v[2:3], v[6:7], v[14:15]
	;;#ASMEND
	v_cvt_f32_u32_sdwa v15, v4 dst_sel:DWORD dst_unused:UNUSED_PAD src0_sel:WORD_1
	v_cvt_f32_u32_sdwa v14, v4 dst_sel:DWORD dst_unused:UNUSED_PAD src0_sel:WORD_0
	v_pk_add_f32 v[6:7], v[16:17], 1.0 op_sel_hi:[1,0]
	v_cvt_f32_u32_sdwa v17, v5 dst_sel:DWORD dst_unused:UNUSED_PAD src0_sel:WORD_1
	v_cvt_f32_u32_sdwa v16, v5 dst_sel:DWORD dst_unused:UNUSED_PAD src0_sel:WORD_0
	s_mul_hi_i32 s1, s25, s6
	s_mul_i32 s0, s25, s6
	s_lshl_b64 s[0:1], s[0:1], 1
	s_add_u32 s20, s14, s0
	;;#ASMSTART
	v_pk_mul_f32 v[6:7], v[12:13], v[6:7]
	;;#ASMEND
	v_pk_add_f32 v[12:13], v[18:19], 1.0 op_sel_hi:[1,0]
	;;#ASMSTART
	v_pk_mul_f32 v[4:5], v[10:11], v[12:13]
	;;#ASMEND
	v_pk_add_f32 v[10:11], v[14:15], 1.0 op_sel_hi:[1,0]
	s_addc_u32 s0, s15, s1
	;;#ASMSTART
	v_pk_mul_f32 v[8:9], v[8:9], v[10:11]
	;;#ASMEND
	v_pk_add_f32 v[10:11], v[16:17], 1.0 op_sel_hi:[1,0]
	s_and_b32 s21, s0, 0xffff
	s_mov_b32 s0, 0x7060302
	;;#ASMSTART
	v_pk_mul_f32 v[10:11], v[2:3], v[10:11]
	;;#ASMEND
	v_perm_b32 v2, v7, v6, s0
	v_perm_b32 v3, v5, v4, s0
	;; [unrolled: 1-line block ×4, first 2 shown]
	buffer_store_dwordx4 v[2:5], v1, s[20:23], 0 offen
	;;#ASMSTART
	s_nop 0
	;;#ASMEND
	s_endpgm
	.section	.rodata,"a",@progbits
	.p2align	6, 0x0
	.amdhsa_kernel _ZN5aiter35fused_qk_rmsnorm_group_quant_kernelItN4opus5fp4_tELi128ELi8ELi8ELb1ELb1ELb1ELb1ELb0ELb0EEEvPT0_PvPT_S7_S7_PKS6_S9_S9_S9_S9_ffiiiiiiiiiiiii
		.amdhsa_group_segment_fixed_size 16
		.amdhsa_private_segment_fixed_size 0
		.amdhsa_kernarg_size 400
		.amdhsa_user_sgpr_count 6
		.amdhsa_user_sgpr_private_segment_buffer 1
		.amdhsa_user_sgpr_dispatch_ptr 0
		.amdhsa_user_sgpr_queue_ptr 0
		.amdhsa_user_sgpr_kernarg_segment_ptr 1
		.amdhsa_user_sgpr_dispatch_id 0
		.amdhsa_user_sgpr_flat_scratch_init 0
		.amdhsa_user_sgpr_kernarg_preload_length 0
		.amdhsa_user_sgpr_kernarg_preload_offset 0
		.amdhsa_user_sgpr_private_segment_size 0
		.amdhsa_uses_dynamic_stack 0
		.amdhsa_system_sgpr_private_segment_wavefront_offset 0
		.amdhsa_system_sgpr_workgroup_id_x 1
		.amdhsa_system_sgpr_workgroup_id_y 1
		.amdhsa_system_sgpr_workgroup_id_z 0
		.amdhsa_system_sgpr_workgroup_info 0
		.amdhsa_system_vgpr_workitem_id 0
		.amdhsa_next_free_vgpr 27
		.amdhsa_next_free_sgpr 44
		.amdhsa_accum_offset 28
		.amdhsa_reserve_vcc 1
		.amdhsa_reserve_flat_scratch 0
		.amdhsa_float_round_mode_32 0
		.amdhsa_float_round_mode_16_64 0
		.amdhsa_float_denorm_mode_32 3
		.amdhsa_float_denorm_mode_16_64 3
		.amdhsa_dx10_clamp 1
		.amdhsa_ieee_mode 1
		.amdhsa_fp16_overflow 0
		.amdhsa_tg_split 0
		.amdhsa_exception_fp_ieee_invalid_op 0
		.amdhsa_exception_fp_denorm_src 0
		.amdhsa_exception_fp_ieee_div_zero 0
		.amdhsa_exception_fp_ieee_overflow 0
		.amdhsa_exception_fp_ieee_underflow 0
		.amdhsa_exception_fp_ieee_inexact 0
		.amdhsa_exception_int_div_zero 0
	.end_amdhsa_kernel
	.section	.text._ZN5aiter35fused_qk_rmsnorm_group_quant_kernelItN4opus5fp4_tELi128ELi8ELi8ELb1ELb1ELb1ELb1ELb0ELb0EEEvPT0_PvPT_S7_S7_PKS6_S9_S9_S9_S9_ffiiiiiiiiiiiii,"axG",@progbits,_ZN5aiter35fused_qk_rmsnorm_group_quant_kernelItN4opus5fp4_tELi128ELi8ELi8ELb1ELb1ELb1ELb1ELb0ELb0EEEvPT0_PvPT_S7_S7_PKS6_S9_S9_S9_S9_ffiiiiiiiiiiiii,comdat
.Lfunc_end364:
	.size	_ZN5aiter35fused_qk_rmsnorm_group_quant_kernelItN4opus5fp4_tELi128ELi8ELi8ELb1ELb1ELb1ELb1ELb0ELb0EEEvPT0_PvPT_S7_S7_PKS6_S9_S9_S9_S9_ffiiiiiiiiiiiii, .Lfunc_end364-_ZN5aiter35fused_qk_rmsnorm_group_quant_kernelItN4opus5fp4_tELi128ELi8ELi8ELb1ELb1ELb1ELb1ELb0ELb0EEEvPT0_PvPT_S7_S7_PKS6_S9_S9_S9_S9_ffiiiiiiiiiiiii
                                        ; -- End function
	.section	.AMDGPU.csdata,"",@progbits
; Kernel info:
; codeLenInByte = 2484
; NumSgprs: 48
; NumVgprs: 27
; NumAgprs: 0
; TotalNumVgprs: 27
; ScratchSize: 0
; MemoryBound: 0
; FloatMode: 240
; IeeeMode: 1
; LDSByteSize: 16 bytes/workgroup (compile time only)
; SGPRBlocks: 5
; VGPRBlocks: 3
; NumSGPRsForWavesPerEU: 48
; NumVGPRsForWavesPerEU: 27
; AccumOffset: 28
; Occupancy: 8
; WaveLimiterHint : 0
; COMPUTE_PGM_RSRC2:SCRATCH_EN: 0
; COMPUTE_PGM_RSRC2:USER_SGPR: 6
; COMPUTE_PGM_RSRC2:TRAP_HANDLER: 0
; COMPUTE_PGM_RSRC2:TGID_X_EN: 1
; COMPUTE_PGM_RSRC2:TGID_Y_EN: 1
; COMPUTE_PGM_RSRC2:TGID_Z_EN: 0
; COMPUTE_PGM_RSRC2:TIDIG_COMP_CNT: 0
; COMPUTE_PGM_RSRC3_GFX90A:ACCUM_OFFSET: 6
; COMPUTE_PGM_RSRC3_GFX90A:TG_SPLIT: 0
	.section	.text._ZN5aiter35fused_qk_rmsnorm_group_quant_kernelIDF16_DB8_Li128ELi8ELi8ELb1ELb1ELb0ELb1ELb0ELb0EEEvPT0_PvPT_S6_S6_PKS5_S8_S8_S8_S8_ffiiiiiiiiiiiii,"axG",@progbits,_ZN5aiter35fused_qk_rmsnorm_group_quant_kernelIDF16_DB8_Li128ELi8ELi8ELb1ELb1ELb0ELb1ELb0ELb0EEEvPT0_PvPT_S6_S6_PKS5_S8_S8_S8_S8_ffiiiiiiiiiiiii,comdat
	.protected	_ZN5aiter35fused_qk_rmsnorm_group_quant_kernelIDF16_DB8_Li128ELi8ELi8ELb1ELb1ELb0ELb1ELb0ELb0EEEvPT0_PvPT_S6_S6_PKS5_S8_S8_S8_S8_ffiiiiiiiiiiiii ; -- Begin function _ZN5aiter35fused_qk_rmsnorm_group_quant_kernelIDF16_DB8_Li128ELi8ELi8ELb1ELb1ELb0ELb1ELb0ELb0EEEvPT0_PvPT_S6_S6_PKS5_S8_S8_S8_S8_ffiiiiiiiiiiiii
	.globl	_ZN5aiter35fused_qk_rmsnorm_group_quant_kernelIDF16_DB8_Li128ELi8ELi8ELb1ELb1ELb0ELb1ELb0ELb0EEEvPT0_PvPT_S6_S6_PKS5_S8_S8_S8_S8_ffiiiiiiiiiiiii
	.p2align	8
	.type	_ZN5aiter35fused_qk_rmsnorm_group_quant_kernelIDF16_DB8_Li128ELi8ELi8ELb1ELb1ELb0ELb1ELb0ELb0EEEvPT0_PvPT_S6_S6_PKS5_S8_S8_S8_S8_ffiiiiiiiiiiiii,@function
_ZN5aiter35fused_qk_rmsnorm_group_quant_kernelIDF16_DB8_Li128ELi8ELi8ELb1ELb1ELb0ELb1ELb0ELb0EEEvPT0_PvPT_S6_S6_PKS5_S8_S8_S8_S8_ffiiiiiiiiiiiii: ; @_ZN5aiter35fused_qk_rmsnorm_group_quant_kernelIDF16_DB8_Li128ELi8ELi8ELb1ELb1ELb0ELb1ELb0ELb0EEEvPT0_PvPT_S6_S6_PKS5_S8_S8_S8_S8_ffiiiiiiiiiiiii
; %bb.0:
	s_load_dwordx8 s[12:19], s[4:5], 0x50
	s_waitcnt lgkmcnt(0)
	s_cmp_ge_i32 s6, s14
	s_cbranch_scc1 .LBB365_17
; %bb.1:
	s_cmp_lg_u32 s7, 0
	s_cselect_b64 s[22:23], -1, 0
	s_cmp_eq_u32 s7, 0
	s_cselect_b64 s[2:3], -1, 0
	s_and_b64 s[0:1], s[2:3], exec
	s_cselect_b32 s7, s15, s16
	s_load_dwordx2 s[10:11], s[4:5], 0x30
	s_load_dwordx2 s[20:21], s[4:5], 0x48
	s_add_i32 s0, s7, 1
	s_lshr_b32 s1, s0, 31
	s_add_i32 s0, s0, s1
	s_lshl_b32 s0, s0, 1
	v_lshlrev_b32_e32 v1, 3, v0
	s_and_b32 s30, s0, -4
	v_cmp_gt_i32_e64 s[0:1], s7, v1
	v_mov_b32_e32 v2, 0
	v_mov_b32_e32 v3, 0
	v_mov_b32_e32 v4, 0
	v_mov_b32_e32 v5, 0
	v_mov_b32_e32 v6, 0
	v_mov_b32_e32 v7, 0
	v_mov_b32_e32 v8, 0
	v_mov_b32_e32 v9, 0
	s_and_saveexec_b64 s[8:9], s[0:1]
	s_cbranch_execz .LBB365_3
; %bb.2:
	s_load_dwordx2 s[14:15], s[4:5], 0x28
	s_load_dwordx2 s[26:27], s[4:5], 0x40
	s_and_b64 s[24:25], s[2:3], exec
	s_cselect_b32 s17, s17, s18
	s_mov_b32 s31, 0x20000
	s_waitcnt lgkmcnt(0)
	s_cselect_b32 s25, s15, s11
	s_cselect_b32 s24, s14, s10
	s_mul_hi_i32 s15, s17, s6
	s_mul_i32 s14, s17, s6
	s_lshl_b64 s[14:15], s[14:15], 1
	s_add_u32 s24, s24, s14
	s_addc_u32 s17, s25, s15
	s_and_b64 s[14:15], s[2:3], exec
	s_cselect_b32 s28, s26, s20
	s_cselect_b32 s14, s27, s21
	v_lshlrev_b32_e32 v10, 4, v0
	s_and_b32 s25, s17, 0xffff
	s_mov_b32 s26, s30
	s_mov_b32 s27, s31
	s_and_b32 s29, s14, 0xffff
	buffer_load_dwordx4 v[6:9], v10, s[24:27], 0 offen glc slc
	buffer_load_dwordx4 v[2:5], v10, s[28:31], 0 offen
.LBB365_3:
	s_or_b64 exec, exec, s[8:9]
	s_load_dwordx4 s[24:27], s[4:5], 0x7c
	s_and_b64 vcc, exec, s[22:23]
	s_cbranch_vccz .LBB365_7
; %bb.4:
	v_mov_b32_e32 v11, 0
	v_mov_b32_e32 v10, 0
	v_mov_b32_e32 v13, 0
	v_mov_b32_e32 v12, 0
	v_mov_b32_e32 v15, 0
	v_mov_b32_e32 v14, 0
	v_mov_b32_e32 v17, 0
	v_mov_b32_e32 v16, 0
	s_and_saveexec_b64 s[8:9], s[0:1]
	s_cbranch_execz .LBB365_6
; %bb.5:
	s_waitcnt vmcnt(1)
	v_cvt_f32_f16_sdwa v17, v6 dst_sel:DWORD dst_unused:UNUSED_PAD src0_sel:WORD_1
	v_cvt_f32_f16_e32 v16, v6
	v_cvt_f32_f16_sdwa v15, v7 dst_sel:DWORD dst_unused:UNUSED_PAD src0_sel:WORD_1
	v_cvt_f32_f16_e32 v14, v7
	;; [unrolled: 2-line block ×4, first 2 shown]
.LBB365_6:
	s_or_b64 exec, exec, s[8:9]
	s_cbranch_execz .LBB365_8
	s_branch .LBB365_11
.LBB365_7:
                                        ; implicit-def: $vgpr11
                                        ; implicit-def: $vgpr13
                                        ; implicit-def: $vgpr15
                                        ; implicit-def: $vgpr17
.LBB365_8:
	v_mov_b32_e32 v11, 0
	v_mov_b32_e32 v10, 0
	v_mov_b32_e32 v13, 0
	v_mov_b32_e32 v12, 0
	v_mov_b32_e32 v15, 0
	v_mov_b32_e32 v14, 0
	v_mov_b32_e32 v17, 0
	v_mov_b32_e32 v16, 0
	s_and_saveexec_b64 s[8:9], s[0:1]
	s_cbranch_execz .LBB365_10
; %bb.9:
	s_load_dwordx2 s[14:15], s[4:5], 0x38
	s_mul_hi_i32 s29, s19, s6
	s_mul_i32 s28, s19, s6
	s_lshl_b64 s[28:29], s[28:29], 1
	s_mov_b32 s31, 0x20000
	s_waitcnt lgkmcnt(0)
	s_add_u32 s28, s14, s28
	s_addc_u32 s14, s15, s29
	s_and_b32 s29, s14, 0xffff
	v_lshlrev_b32_e32 v26, 4, v0
	buffer_load_dwordx4 v[10:13], v26, s[28:31], 0 offen glc slc
	s_waitcnt vmcnt(2)
	v_cvt_f32_f16_sdwa v15, v6 dst_sel:DWORD dst_unused:UNUSED_PAD src0_sel:WORD_1
	v_cvt_f32_f16_e32 v14, v6
	v_cvt_f32_f16_sdwa v19, v7 dst_sel:DWORD dst_unused:UNUSED_PAD src0_sel:WORD_1
	v_cvt_f32_f16_e32 v18, v7
	;; [unrolled: 2-line block ×4, first 2 shown]
	s_load_dwordx2 s[14:15], s[4:5], 0x20
	s_mul_hi_i32 s27, s26, s6
	s_mul_i32 s26, s26, s6
	s_lshl_b64 s[26:27], s[26:27], 1
	s_waitcnt lgkmcnt(0)
	s_add_u32 s28, s14, s26
	s_addc_u32 s14, s15, s27
	s_and_b32 s29, s14, 0xffff
	s_waitcnt vmcnt(0)
	v_cvt_f32_f16_e32 v8, v10
	v_cvt_f32_f16_sdwa v9, v10 dst_sel:DWORD dst_unused:UNUSED_PAD src0_sel:WORD_1
	v_cvt_f32_f16_e32 v10, v11
	v_cvt_f32_f16_sdwa v11, v11 dst_sel:DWORD dst_unused:UNUSED_PAD src0_sel:WORD_1
	;; [unrolled: 2-line block ×4, first 2 shown]
	v_pk_add_f32 v[16:17], v[14:15], v[8:9]
	v_pk_add_f32 v[14:15], v[18:19], v[10:11]
	;; [unrolled: 1-line block ×4, first 2 shown]
	v_cvt_f16_f32_e32 v6, v17
	v_cvt_f16_f32_e32 v7, v15
	;; [unrolled: 1-line block ×8, first 2 shown]
	v_pack_b32_f16 v9, v18, v9
	v_pack_b32_f16 v8, v19, v8
	v_pack_b32_f16 v7, v20, v7
	v_pack_b32_f16 v6, v21, v6
	buffer_store_dwordx4 v[6:9], v26, s[28:31], 0 offen glc slc
	;;#ASMSTART
	s_nop 0
	;;#ASMEND
.LBB365_10:
	s_or_b64 exec, exec, s[8:9]
.LBB365_11:
	s_waitcnt vmcnt(1)
	v_mul_f32_e32 v6, v17, v17
	v_fmac_f32_e32 v6, v16, v16
	v_fmac_f32_e32 v6, v14, v14
	;; [unrolled: 1-line block ×7, first 2 shown]
	v_and_b32_e32 v8, 63, v0
	v_cmp_eq_u32_e64 s[8:9], 63, v8
	v_mov_b32_dpp v7, v6 quad_perm:[1,0,3,2] row_mask:0xf bank_mask:0xf
	v_add_f32_e32 v6, v6, v7
	s_nop 1
	v_mov_b32_dpp v7, v6 quad_perm:[2,3,0,1] row_mask:0xf bank_mask:0xf
	v_add_f32_e32 v6, v6, v7
	s_nop 1
	v_mov_b32_dpp v7, v6 row_half_mirror row_mask:0xf bank_mask:0xf
	v_add_f32_e32 v6, v6, v7
	s_nop 1
	v_mov_b32_dpp v7, v6 row_mirror row_mask:0xf bank_mask:0xf
	v_add_f32_e32 v6, v6, v7
	s_nop 1
	v_mov_b32_dpp v7, v6 row_bcast:15 row_mask:0xf bank_mask:0xf
	v_add_f32_e32 v6, v6, v7
	s_nop 1
	v_mov_b32_dpp v7, v6 row_bcast:31 row_mask:0xf bank_mask:0xf
	s_and_saveexec_b64 s[14:15], s[8:9]
	s_cbranch_execz .LBB365_13
; %bb.12:
	v_add_f32_e32 v6, v6, v7
	v_lshrrev_b32_e32 v7, 4, v0
	v_and_b32_e32 v7, 60, v7
	ds_write_b32 v7, v6 offset:8
.LBB365_13:
	s_or_b64 exec, exec, s[14:15]
	v_and_b32_e32 v6, 1, v0
	v_lshlrev_b32_e32 v18, 2, v6
	s_waitcnt lgkmcnt(0)
	s_barrier
	ds_read_b32 v6, v18 offset:8
	s_load_dwordx2 s[14:15], s[4:5], 0x18
	s_waitcnt lgkmcnt(0)
	v_mov_b32_dpp v7, v6 quad_perm:[1,0,3,2] row_mask:0xf bank_mask:0xf
	s_and_saveexec_b64 s[26:27], s[0:1]
	s_cbranch_execnz .LBB365_18
; %bb.14:
	s_or_b64 exec, exec, s[26:27]
	s_mov_b64 s[2:3], -1
	s_and_b64 vcc, exec, s[22:23]
	s_cbranch_vccnz .LBB365_19
.LBB365_15:
	s_andn2_b64 vcc, exec, s[2:3]
	s_cbranch_vccz .LBB365_22
.LBB365_16:
	s_cmp_lt_i32 s16, 1
	s_cbranch_scc0 .LBB365_25
.LBB365_17:
	s_endpgm
.LBB365_18:
	v_cvt_f32_u32_e32 v8, s7
	v_add_f32_e32 v6, v6, v7
	v_mov_b32_e32 v19, s13
	v_mov_b32_e32 v20, s12
	v_div_scale_f32 v7, s[28:29], v8, v8, v6
	v_rcp_f32_e32 v9, v7
	v_cndmask_b32_e64 v19, v19, v20, s[2:3]
	s_mov_b32 s2, 0x800000
	s_waitcnt vmcnt(0)
	v_cvt_f32_f16_sdwa v23, v5 dst_sel:DWORD dst_unused:UNUSED_PAD src0_sel:WORD_1
	v_fma_f32 v20, -v7, v9, 1.0
	v_fmac_f32_e32 v9, v20, v9
	v_div_scale_f32 v20, vcc, v6, v8, v6
	v_mul_f32_e32 v21, v20, v9
	v_fma_f32 v22, -v7, v21, v20
	v_fmac_f32_e32 v21, v22, v9
	v_fma_f32 v7, -v7, v21, v20
	v_div_fmas_f32 v7, v7, v9, v21
	v_div_fixup_f32 v6, v7, v8, v6
	v_add_f32_e32 v6, v19, v6
	v_mul_f32_e32 v7, 0x4b800000, v6
	v_cmp_gt_f32_e32 vcc, s2, v6
	v_cndmask_b32_e32 v6, v6, v7, vcc
	v_rsq_f32_e32 v6, v6
	v_cvt_f32_f16_sdwa v21, v3 dst_sel:DWORD dst_unused:UNUSED_PAD src0_sel:WORD_1
	v_cvt_f32_f16_e32 v20, v3
	v_cvt_f32_f16_sdwa v3, v4 dst_sel:DWORD dst_unused:UNUSED_PAD src0_sel:WORD_1
	v_mul_f32_e32 v7, 0x45800000, v6
	v_cndmask_b32_e32 v6, v6, v7, vcc
	v_mov_b32_e32 v7, v6
	;;#ASMSTART
	v_pk_mul_f32 v[8:9], v[16:17], v[6:7]
	;;#ASMEND
	;;#ASMSTART
	v_pk_mul_f32 v[14:15], v[14:15], v[6:7]
	;;#ASMEND
	;; [unrolled: 3-line block ×4, first 2 shown]
	v_cvt_f32_f16_sdwa v11, v2 dst_sel:DWORD dst_unused:UNUSED_PAD src0_sel:WORD_1
	v_cvt_f32_f16_e32 v10, v2
	v_cvt_f32_f16_e32 v2, v4
	;; [unrolled: 1-line block ×3, first 2 shown]
	;;#ASMSTART
	v_pk_mul_f32 v[16:17], v[8:9], v[10:11]
	;;#ASMEND
	;;#ASMSTART
	v_pk_mul_f32 v[14:15], v[14:15], v[20:21]
	;;#ASMEND
	;; [unrolled: 3-line block ×4, first 2 shown]
	s_or_b64 exec, exec, s[26:27]
	s_mov_b64 s[2:3], -1
	s_and_b64 vcc, exec, s[22:23]
	s_cbranch_vccz .LBB365_15
.LBB365_19:
	s_and_saveexec_b64 s[2:3], s[0:1]
	s_cbranch_execz .LBB365_21
; %bb.20:
	s_mul_hi_i32 s23, s25, s6
	s_mul_i32 s22, s25, s6
	s_waitcnt vmcnt(0)
	v_cvt_f16_f32_e32 v2, v16
	v_cvt_f16_f32_e32 v3, v14
	;; [unrolled: 1-line block ×8, first 2 shown]
	s_lshl_b64 s[22:23], s[22:23], 1
	s_add_u32 s28, s14, s22
	s_addc_u32 s7, s15, s23
	s_and_b32 s29, s7, 0xffff
	s_mov_b32 s31, 0x20000
	v_pack_b32_f16 v5, v5, v6
	v_pack_b32_f16 v4, v4, v7
	;; [unrolled: 1-line block ×4, first 2 shown]
	v_lshlrev_b32_e32 v6, 4, v0
	buffer_store_dwordx4 v[2:5], v6, s[28:31], 0 offen
	;;#ASMSTART
	s_nop 0
	;;#ASMEND
.LBB365_21:
	s_or_b64 exec, exec, s[2:3]
	s_cbranch_execnz .LBB365_16
.LBB365_22:
	s_and_saveexec_b64 s[2:3], s[0:1]
	s_cbranch_execz .LBB365_24
; %bb.23:
	s_load_dwordx2 s[0:1], s[4:5], 0x10
	s_mul_hi_i32 s23, s24, s6
	s_mul_i32 s22, s24, s6
	s_waitcnt vmcnt(0)
	v_cvt_f16_f32_e32 v2, v16
	v_cvt_f16_f32_e32 v3, v14
	;; [unrolled: 1-line block ×8, first 2 shown]
	s_lshl_b64 s[22:23], s[22:23], 1
	s_waitcnt lgkmcnt(0)
	s_add_u32 s28, s0, s22
	s_addc_u32 s0, s1, s23
	s_mov_b32 s31, 0x20000
	s_and_b32 s29, s0, 0xffff
	v_pack_b32_f16 v5, v5, v6
	v_pack_b32_f16 v4, v4, v7
	v_pack_b32_f16 v3, v3, v8
	v_pack_b32_f16 v2, v2, v9
	v_lshlrev_b32_e32 v6, 4, v0
	buffer_store_dwordx4 v[2:5], v6, s[28:31], 0 offen
	;;#ASMSTART
	s_nop 0
	;;#ASMEND
.LBB365_24:
	s_or_b64 exec, exec, s[2:3]
	s_cmp_lt_i32 s16, 1
	s_cbranch_scc1 .LBB365_17
.LBB365_25:
	s_load_dword s0, s[4:5], 0x94
	s_waitcnt lgkmcnt(0)
	s_cmp_lg_u32 s0, 1
	s_cbranch_scc1 .LBB365_17
; %bb.26:
	s_lshl_b32 s0, s16, 1
	s_add_i32 s0, s0, 2
	v_cmp_gt_u32_e32 vcc, s16, v1
	s_and_b32 s22, s0, -4
	v_mov_b32_e32 v10, 0
	v_lshlrev_b32_e32 v1, 4, v0
	v_mov_b32_e32 v6, 0
	v_mov_b32_e32 v7, 0
	;; [unrolled: 1-line block ×4, first 2 shown]
	s_waitcnt vmcnt(0)
	v_mov_b32_e32 v2, 0
	v_mov_b32_e32 v3, 0
	;; [unrolled: 1-line block ×4, first 2 shown]
	s_barrier
	s_and_saveexec_b64 s[0:1], vcc
	s_cbranch_execz .LBB365_28
; %bb.27:
	s_mul_hi_i32 s3, s18, s6
	s_mul_i32 s2, s18, s6
	s_and_b32 s21, s21, 0xffff
	s_lshl_b64 s[2:3], s[2:3], 1
	s_add_u32 s28, s10, s2
	s_mov_b32 s23, 0x20000
	s_addc_u32 s2, s11, s3
	s_and_b32 s29, s2, 0xffff
	s_mov_b32 s30, s22
	s_mov_b32 s31, s23
	buffer_load_dwordx4 v[6:9], v1, s[28:31], 0 offen glc slc
	buffer_load_dwordx4 v[2:5], v1, s[20:23], 0 offen
.LBB365_28:
	s_or_b64 exec, exec, s[0:1]
	v_mov_b32_e32 v11, 0
	v_mov_b32_e32 v16, 0
	;; [unrolled: 1-line block ×7, first 2 shown]
	s_and_saveexec_b64 s[0:1], vcc
	s_cbranch_execz .LBB365_30
; %bb.29:
	s_waitcnt vmcnt(1)
	v_cvt_f32_f16_sdwa v11, v6 dst_sel:DWORD dst_unused:UNUSED_PAD src0_sel:WORD_1
	v_cvt_f32_f16_e32 v10, v6
	v_cvt_f32_f16_sdwa v17, v7 dst_sel:DWORD dst_unused:UNUSED_PAD src0_sel:WORD_1
	v_cvt_f32_f16_e32 v16, v7
	;; [unrolled: 2-line block ×4, first 2 shown]
.LBB365_30:
	s_or_b64 exec, exec, s[0:1]
	s_waitcnt vmcnt(1)
	v_mul_f32_e32 v6, v11, v11
	v_fmac_f32_e32 v6, v10, v10
	v_fmac_f32_e32 v6, v16, v16
	;; [unrolled: 1-line block ×7, first 2 shown]
	s_nop 1
	v_mov_b32_dpp v7, v6 quad_perm:[1,0,3,2] row_mask:0xf bank_mask:0xf
	v_add_f32_e32 v6, v6, v7
	s_nop 1
	v_mov_b32_dpp v7, v6 quad_perm:[2,3,0,1] row_mask:0xf bank_mask:0xf
	v_add_f32_e32 v6, v6, v7
	s_nop 1
	v_mov_b32_dpp v7, v6 row_half_mirror row_mask:0xf bank_mask:0xf
	v_add_f32_e32 v6, v6, v7
	s_nop 1
	v_mov_b32_dpp v7, v6 row_mirror row_mask:0xf bank_mask:0xf
	v_add_f32_e32 v6, v6, v7
	s_nop 1
	v_mov_b32_dpp v7, v6 row_bcast:15 row_mask:0xf bank_mask:0xf
	v_add_f32_e32 v6, v6, v7
	s_nop 1
	v_mov_b32_dpp v7, v6 row_bcast:31 row_mask:0xf bank_mask:0xf
	s_and_saveexec_b64 s[0:1], s[8:9]
	s_cbranch_execz .LBB365_32
; %bb.31:
	v_lshrrev_b32_e32 v0, 4, v0
	v_add_f32_e32 v6, v6, v7
	v_and_b32_e32 v0, 60, v0
	ds_write_b32 v0, v6
.LBB365_32:
	s_or_b64 exec, exec, s[0:1]
	s_waitcnt lgkmcnt(0)
	s_barrier
	ds_read_b32 v0, v18
	s_waitcnt lgkmcnt(0)
	s_nop 0
	v_mov_b32_dpp v6, v0 quad_perm:[1,0,3,2] row_mask:0xf bank_mask:0xf
	s_and_saveexec_b64 s[0:1], vcc
	s_cbranch_execz .LBB365_17
; %bb.33:
	v_cvt_f32_u32_e32 v7, s16
	v_add_f32_e32 v0, v0, v6
	s_mov_b32 s23, 0x20000
	v_div_scale_f32 v6, s[0:1], v7, v7, v0
	v_rcp_f32_e32 v8, v6
	v_div_scale_f32 v9, vcc, v0, v7, v0
	s_mov_b32 s0, 0x800000
	v_fma_f32 v18, -v6, v8, 1.0
	v_fmac_f32_e32 v8, v18, v8
	v_mul_f32_e32 v18, v9, v8
	v_fma_f32 v19, -v6, v18, v9
	v_fmac_f32_e32 v18, v19, v8
	v_fma_f32 v6, -v6, v18, v9
	v_div_fmas_f32 v6, v6, v8, v18
	v_div_fixup_f32 v0, v6, v7, v0
	v_add_f32_e32 v0, s13, v0
	v_mul_f32_e32 v6, 0x4b800000, v0
	v_cmp_gt_f32_e32 vcc, s0, v0
	v_cndmask_b32_e32 v0, v0, v6, vcc
	v_rsq_f32_e32 v0, v0
	s_waitcnt vmcnt(0)
	v_cvt_f32_f16_sdwa v19, v5 dst_sel:DWORD dst_unused:UNUSED_PAD src0_sel:WORD_1
	v_cvt_f32_f16_e32 v18, v5
	s_mul_hi_i32 s1, s25, s6
	v_mul_f32_e32 v6, 0x45800000, v0
	v_cndmask_b32_e32 v6, v0, v6, vcc
	v_mov_b32_e32 v7, v6
	;;#ASMSTART
	v_pk_mul_f32 v[8:9], v[10:11], v[6:7]
	;;#ASMEND
	;;#ASMSTART
	v_pk_mul_f32 v[10:11], v[16:17], v[6:7]
	;;#ASMEND
	;; [unrolled: 3-line block ×4, first 2 shown]
	v_cvt_f32_f16_sdwa v13, v2 dst_sel:DWORD dst_unused:UNUSED_PAD src0_sel:WORD_1
	v_cvt_f32_f16_e32 v12, v2
	v_cvt_f32_f16_sdwa v17, v3 dst_sel:DWORD dst_unused:UNUSED_PAD src0_sel:WORD_1
	v_cvt_f32_f16_e32 v16, v3
	;; [unrolled: 2-line block ×3, first 2 shown]
	;;#ASMSTART
	v_pk_mul_f32 v[4:5], v[8:9], v[12:13]
	;;#ASMEND
	;;#ASMSTART
	v_pk_mul_f32 v[8:9], v[10:11], v[16:17]
	;;#ASMEND
	;; [unrolled: 3-line block ×4, first 2 shown]
	s_mul_i32 s0, s25, s6
	v_cvt_f16_f32_e32 v0, v4
	v_cvt_f16_f32_e32 v4, v5
	v_cvt_f16_f32_e32 v5, v8
	v_cvt_f16_f32_e32 v8, v9
	v_cvt_f16_f32_e32 v9, v2
	v_cvt_f16_f32_e32 v10, v3
	v_cvt_f16_f32_e32 v6, v6
	v_cvt_f16_f32_e32 v7, v7
	s_lshl_b64 s[0:1], s[0:1], 1
	s_add_u32 s20, s14, s0
	s_addc_u32 s0, s15, s1
	s_and_b32 s21, s0, 0xffff
	v_pack_b32_f16 v2, v0, v4
	v_pack_b32_f16 v3, v5, v8
	;; [unrolled: 1-line block ×4, first 2 shown]
	buffer_store_dwordx4 v[2:5], v1, s[20:23], 0 offen
	;;#ASMSTART
	s_nop 0
	;;#ASMEND
	s_endpgm
	.section	.rodata,"a",@progbits
	.p2align	6, 0x0
	.amdhsa_kernel _ZN5aiter35fused_qk_rmsnorm_group_quant_kernelIDF16_DB8_Li128ELi8ELi8ELb1ELb1ELb0ELb1ELb0ELb0EEEvPT0_PvPT_S6_S6_PKS5_S8_S8_S8_S8_ffiiiiiiiiiiiii
		.amdhsa_group_segment_fixed_size 16
		.amdhsa_private_segment_fixed_size 0
		.amdhsa_kernarg_size 400
		.amdhsa_user_sgpr_count 6
		.amdhsa_user_sgpr_private_segment_buffer 1
		.amdhsa_user_sgpr_dispatch_ptr 0
		.amdhsa_user_sgpr_queue_ptr 0
		.amdhsa_user_sgpr_kernarg_segment_ptr 1
		.amdhsa_user_sgpr_dispatch_id 0
		.amdhsa_user_sgpr_flat_scratch_init 0
		.amdhsa_user_sgpr_kernarg_preload_length 0
		.amdhsa_user_sgpr_kernarg_preload_offset 0
		.amdhsa_user_sgpr_private_segment_size 0
		.amdhsa_uses_dynamic_stack 0
		.amdhsa_system_sgpr_private_segment_wavefront_offset 0
		.amdhsa_system_sgpr_workgroup_id_x 1
		.amdhsa_system_sgpr_workgroup_id_y 1
		.amdhsa_system_sgpr_workgroup_id_z 0
		.amdhsa_system_sgpr_workgroup_info 0
		.amdhsa_system_vgpr_workitem_id 0
		.amdhsa_next_free_vgpr 27
		.amdhsa_next_free_sgpr 32
		.amdhsa_accum_offset 28
		.amdhsa_reserve_vcc 1
		.amdhsa_reserve_flat_scratch 0
		.amdhsa_float_round_mode_32 0
		.amdhsa_float_round_mode_16_64 0
		.amdhsa_float_denorm_mode_32 3
		.amdhsa_float_denorm_mode_16_64 3
		.amdhsa_dx10_clamp 1
		.amdhsa_ieee_mode 1
		.amdhsa_fp16_overflow 0
		.amdhsa_tg_split 0
		.amdhsa_exception_fp_ieee_invalid_op 0
		.amdhsa_exception_fp_denorm_src 0
		.amdhsa_exception_fp_ieee_div_zero 0
		.amdhsa_exception_fp_ieee_overflow 0
		.amdhsa_exception_fp_ieee_underflow 0
		.amdhsa_exception_fp_ieee_inexact 0
		.amdhsa_exception_int_div_zero 0
	.end_amdhsa_kernel
	.section	.text._ZN5aiter35fused_qk_rmsnorm_group_quant_kernelIDF16_DB8_Li128ELi8ELi8ELb1ELb1ELb0ELb1ELb0ELb0EEEvPT0_PvPT_S6_S6_PKS5_S8_S8_S8_S8_ffiiiiiiiiiiiii,"axG",@progbits,_ZN5aiter35fused_qk_rmsnorm_group_quant_kernelIDF16_DB8_Li128ELi8ELi8ELb1ELb1ELb0ELb1ELb0ELb0EEEvPT0_PvPT_S6_S6_PKS5_S8_S8_S8_S8_ffiiiiiiiiiiiii,comdat
.Lfunc_end365:
	.size	_ZN5aiter35fused_qk_rmsnorm_group_quant_kernelIDF16_DB8_Li128ELi8ELi8ELb1ELb1ELb0ELb1ELb0ELb0EEEvPT0_PvPT_S6_S6_PKS5_S8_S8_S8_S8_ffiiiiiiiiiiiii, .Lfunc_end365-_ZN5aiter35fused_qk_rmsnorm_group_quant_kernelIDF16_DB8_Li128ELi8ELi8ELb1ELb1ELb0ELb1ELb0ELb0EEEvPT0_PvPT_S6_S6_PKS5_S8_S8_S8_S8_ffiiiiiiiiiiiii
                                        ; -- End function
	.section	.AMDGPU.csdata,"",@progbits
; Kernel info:
; codeLenInByte = 2384
; NumSgprs: 36
; NumVgprs: 27
; NumAgprs: 0
; TotalNumVgprs: 27
; ScratchSize: 0
; MemoryBound: 0
; FloatMode: 240
; IeeeMode: 1
; LDSByteSize: 16 bytes/workgroup (compile time only)
; SGPRBlocks: 4
; VGPRBlocks: 3
; NumSGPRsForWavesPerEU: 36
; NumVGPRsForWavesPerEU: 27
; AccumOffset: 28
; Occupancy: 8
; WaveLimiterHint : 0
; COMPUTE_PGM_RSRC2:SCRATCH_EN: 0
; COMPUTE_PGM_RSRC2:USER_SGPR: 6
; COMPUTE_PGM_RSRC2:TRAP_HANDLER: 0
; COMPUTE_PGM_RSRC2:TGID_X_EN: 1
; COMPUTE_PGM_RSRC2:TGID_Y_EN: 1
; COMPUTE_PGM_RSRC2:TGID_Z_EN: 0
; COMPUTE_PGM_RSRC2:TIDIG_COMP_CNT: 0
; COMPUTE_PGM_RSRC3_GFX90A:ACCUM_OFFSET: 6
; COMPUTE_PGM_RSRC3_GFX90A:TG_SPLIT: 0
	.section	.text._ZN5aiter35fused_qk_rmsnorm_group_quant_kernelItDB8_Li128ELi8ELi8ELb1ELb1ELb0ELb1ELb0ELb0EEEvPT0_PvPT_S6_S6_PKS5_S8_S8_S8_S8_ffiiiiiiiiiiiii,"axG",@progbits,_ZN5aiter35fused_qk_rmsnorm_group_quant_kernelItDB8_Li128ELi8ELi8ELb1ELb1ELb0ELb1ELb0ELb0EEEvPT0_PvPT_S6_S6_PKS5_S8_S8_S8_S8_ffiiiiiiiiiiiii,comdat
	.protected	_ZN5aiter35fused_qk_rmsnorm_group_quant_kernelItDB8_Li128ELi8ELi8ELb1ELb1ELb0ELb1ELb0ELb0EEEvPT0_PvPT_S6_S6_PKS5_S8_S8_S8_S8_ffiiiiiiiiiiiii ; -- Begin function _ZN5aiter35fused_qk_rmsnorm_group_quant_kernelItDB8_Li128ELi8ELi8ELb1ELb1ELb0ELb1ELb0ELb0EEEvPT0_PvPT_S6_S6_PKS5_S8_S8_S8_S8_ffiiiiiiiiiiiii
	.globl	_ZN5aiter35fused_qk_rmsnorm_group_quant_kernelItDB8_Li128ELi8ELi8ELb1ELb1ELb0ELb1ELb0ELb0EEEvPT0_PvPT_S6_S6_PKS5_S8_S8_S8_S8_ffiiiiiiiiiiiii
	.p2align	8
	.type	_ZN5aiter35fused_qk_rmsnorm_group_quant_kernelItDB8_Li128ELi8ELi8ELb1ELb1ELb0ELb1ELb0ELb0EEEvPT0_PvPT_S6_S6_PKS5_S8_S8_S8_S8_ffiiiiiiiiiiiii,@function
_ZN5aiter35fused_qk_rmsnorm_group_quant_kernelItDB8_Li128ELi8ELi8ELb1ELb1ELb0ELb1ELb0ELb0EEEvPT0_PvPT_S6_S6_PKS5_S8_S8_S8_S8_ffiiiiiiiiiiiii: ; @_ZN5aiter35fused_qk_rmsnorm_group_quant_kernelItDB8_Li128ELi8ELi8ELb1ELb1ELb0ELb1ELb0ELb0EEEvPT0_PvPT_S6_S6_PKS5_S8_S8_S8_S8_ffiiiiiiiiiiiii
; %bb.0:
	s_load_dwordx8 s[12:19], s[4:5], 0x50
	s_waitcnt lgkmcnt(0)
	s_cmp_ge_i32 s6, s14
	s_cbranch_scc1 .LBB366_17
; %bb.1:
	s_cmp_lg_u32 s7, 0
	s_cselect_b64 s[22:23], -1, 0
	s_cmp_eq_u32 s7, 0
	s_cselect_b64 s[8:9], -1, 0
	s_and_b64 s[0:1], s[8:9], exec
	s_cselect_b32 s7, s15, s16
	s_load_dwordx2 s[10:11], s[4:5], 0x30
	s_load_dwordx2 s[20:21], s[4:5], 0x48
	s_add_i32 s0, s7, 1
	s_lshr_b32 s1, s0, 31
	s_add_i32 s0, s0, s1
	s_lshl_b32 s0, s0, 1
	v_lshlrev_b32_e32 v1, 3, v0
	s_and_b32 s30, s0, -4
	v_cmp_gt_i32_e64 s[0:1], s7, v1
	v_mov_b32_e32 v10, 0
	v_mov_b32_e32 v11, 0
	;; [unrolled: 1-line block ×8, first 2 shown]
	s_and_saveexec_b64 s[2:3], s[0:1]
	s_cbranch_execz .LBB366_3
; %bb.2:
	s_load_dwordx2 s[14:15], s[4:5], 0x28
	s_load_dwordx2 s[26:27], s[4:5], 0x40
	s_and_b64 s[24:25], s[8:9], exec
	s_cselect_b32 s17, s17, s18
	s_mov_b32 s31, 0x20000
	s_waitcnt lgkmcnt(0)
	s_cselect_b32 s25, s15, s11
	s_cselect_b32 s24, s14, s10
	s_mul_hi_i32 s15, s17, s6
	s_mul_i32 s14, s17, s6
	s_lshl_b64 s[14:15], s[14:15], 1
	s_add_u32 s24, s24, s14
	s_addc_u32 s17, s25, s15
	s_and_b64 s[14:15], s[8:9], exec
	s_cselect_b32 s28, s26, s20
	s_cselect_b32 s14, s27, s21
	v_lshlrev_b32_e32 v2, 4, v0
	s_and_b32 s25, s17, 0xffff
	s_mov_b32 s26, s30
	s_mov_b32 s27, s31
	s_and_b32 s29, s14, 0xffff
	buffer_load_dwordx4 v[14:17], v2, s[24:27], 0 offen glc slc
	buffer_load_dwordx4 v[10:13], v2, s[28:31], 0 offen
.LBB366_3:
	s_or_b64 exec, exec, s[2:3]
	s_load_dwordx4 s[24:27], s[4:5], 0x7c
	s_and_b64 vcc, exec, s[22:23]
	s_cbranch_vccz .LBB366_7
; %bb.4:
	s_mov_b32 s36, 0
	s_mov_b32 s37, s36
	;; [unrolled: 1-line block ×8, first 2 shown]
	v_pk_mov_b32 v[2:3], s[36:37], s[36:37] op_sel:[0,1]
	v_pk_mov_b32 v[4:5], s[38:39], s[38:39] op_sel:[0,1]
	;; [unrolled: 1-line block ×4, first 2 shown]
	s_and_saveexec_b64 s[2:3], s[0:1]
	s_cbranch_execz .LBB366_6
; %bb.5:
	s_waitcnt vmcnt(1)
	v_cvt_f32_u32_sdwa v3, v14 dst_sel:DWORD dst_unused:UNUSED_PAD src0_sel:WORD_1
	v_cvt_f32_u32_sdwa v2, v14 dst_sel:DWORD dst_unused:UNUSED_PAD src0_sel:WORD_0
	v_cvt_f32_u32_sdwa v5, v15 dst_sel:DWORD dst_unused:UNUSED_PAD src0_sel:WORD_1
	v_cvt_f32_u32_sdwa v4, v15 dst_sel:DWORD dst_unused:UNUSED_PAD src0_sel:WORD_0
	;; [unrolled: 2-line block ×4, first 2 shown]
.LBB366_6:
	s_or_b64 exec, exec, s[2:3]
	s_cbranch_execz .LBB366_8
	s_branch .LBB366_11
.LBB366_7:
                                        ; implicit-def: $vgpr2_vgpr3_vgpr4_vgpr5_vgpr6_vgpr7_vgpr8_vgpr9
.LBB366_8:
	s_mov_b32 s36, 0
	s_mov_b32 s37, s36
	s_mov_b32 s38, s36
	s_mov_b32 s39, s36
	s_mov_b32 s40, s36
	s_mov_b32 s41, s36
	s_mov_b32 s42, s36
	s_mov_b32 s43, s36
	v_pk_mov_b32 v[2:3], s[36:37], s[36:37] op_sel:[0,1]
	v_pk_mov_b32 v[4:5], s[38:39], s[38:39] op_sel:[0,1]
	;; [unrolled: 1-line block ×4, first 2 shown]
	s_and_saveexec_b64 s[2:3], s[0:1]
	s_cbranch_execz .LBB366_10
; %bb.9:
	s_load_dwordx2 s[14:15], s[4:5], 0x38
	s_mul_hi_i32 s29, s19, s6
	s_mul_i32 s28, s19, s6
	s_lshl_b64 s[28:29], s[28:29], 1
	s_mov_b32 s31, 0x20000
	s_waitcnt lgkmcnt(0)
	s_add_u32 s28, s14, s28
	s_addc_u32 s14, s15, s29
	s_and_b32 s29, s14, 0xffff
	v_lshlrev_b32_e32 v26, 4, v0
	buffer_load_dwordx4 v[2:5], v26, s[28:31], 0 offen glc slc
	s_load_dwordx2 s[14:15], s[4:5], 0x20
	s_waitcnt vmcnt(2)
	v_cvt_f32_u32_sdwa v7, v14 dst_sel:DWORD dst_unused:UNUSED_PAD src0_sel:WORD_1
	v_cvt_f32_u32_sdwa v6, v14 dst_sel:DWORD dst_unused:UNUSED_PAD src0_sel:WORD_0
	v_cvt_f32_u32_sdwa v9, v15 dst_sel:DWORD dst_unused:UNUSED_PAD src0_sel:WORD_1
	v_cvt_f32_u32_sdwa v8, v15 dst_sel:DWORD dst_unused:UNUSED_PAD src0_sel:WORD_0
	;; [unrolled: 2-line block ×4, first 2 shown]
	s_mul_hi_i32 s27, s26, s6
	s_mul_i32 s26, s26, s6
	s_lshl_b64 s[26:27], s[26:27], 1
	s_waitcnt lgkmcnt(0)
	s_add_u32 s28, s14, s26
	s_mov_b32 s17, 0x7060302
	s_addc_u32 s14, s15, s27
	s_and_b32 s29, s14, 0xffff
	s_waitcnt vmcnt(0)
	v_cvt_f32_u32_sdwa v17, v2 dst_sel:DWORD dst_unused:UNUSED_PAD src0_sel:WORD_1
	v_cvt_f32_u32_sdwa v16, v2 dst_sel:DWORD dst_unused:UNUSED_PAD src0_sel:WORD_0
	v_cvt_f32_u32_sdwa v21, v3 dst_sel:DWORD dst_unused:UNUSED_PAD src0_sel:WORD_1
	v_cvt_f32_u32_sdwa v20, v3 dst_sel:DWORD dst_unused:UNUSED_PAD src0_sel:WORD_0
	;; [unrolled: 2-line block ×4, first 2 shown]
	v_pk_add_f32 v[2:3], v[6:7], v[16:17]
	v_pk_add_f32 v[4:5], v[8:9], v[20:21]
	;; [unrolled: 1-line block ×4, first 2 shown]
	v_perm_b32 v17, v9, v8, s17
	v_perm_b32 v16, v7, v6, s17
	;; [unrolled: 1-line block ×4, first 2 shown]
	buffer_store_dwordx4 v[14:17], v26, s[28:31], 0 offen glc slc
	;;#ASMSTART
	s_nop 0
	;;#ASMEND
.LBB366_10:
	s_or_b64 exec, exec, s[2:3]
.LBB366_11:
	s_waitcnt vmcnt(1)
	v_mul_f32_e32 v14, v3, v3
	v_fmac_f32_e32 v14, v2, v2
	v_fmac_f32_e32 v14, v4, v4
	;; [unrolled: 1-line block ×7, first 2 shown]
	v_and_b32_e32 v16, 63, v0
	v_cmp_eq_u32_e64 s[2:3], 63, v16
	v_mov_b32_dpp v15, v14 quad_perm:[1,0,3,2] row_mask:0xf bank_mask:0xf
	v_add_f32_e32 v14, v14, v15
	s_nop 1
	v_mov_b32_dpp v15, v14 quad_perm:[2,3,0,1] row_mask:0xf bank_mask:0xf
	v_add_f32_e32 v14, v14, v15
	s_nop 1
	v_mov_b32_dpp v15, v14 row_half_mirror row_mask:0xf bank_mask:0xf
	v_add_f32_e32 v14, v14, v15
	s_nop 1
	v_mov_b32_dpp v15, v14 row_mirror row_mask:0xf bank_mask:0xf
	v_add_f32_e32 v14, v14, v15
	s_nop 1
	v_mov_b32_dpp v15, v14 row_bcast:15 row_mask:0xf bank_mask:0xf
	v_add_f32_e32 v14, v14, v15
	s_nop 1
	v_mov_b32_dpp v15, v14 row_bcast:31 row_mask:0xf bank_mask:0xf
	s_and_saveexec_b64 s[14:15], s[2:3]
	s_cbranch_execz .LBB366_13
; %bb.12:
	v_add_f32_e32 v14, v14, v15
	v_lshrrev_b32_e32 v15, 4, v0
	v_and_b32_e32 v15, 60, v15
	ds_write_b32 v15, v14 offset:8
.LBB366_13:
	s_or_b64 exec, exec, s[14:15]
	v_and_b32_e32 v14, 1, v0
	v_lshlrev_b32_e32 v14, 2, v14
	s_waitcnt lgkmcnt(0)
	s_barrier
	ds_read_b32 v15, v14 offset:8
	s_load_dwordx2 s[14:15], s[4:5], 0x18
	s_waitcnt lgkmcnt(0)
	v_mov_b32_dpp v16, v15 quad_perm:[1,0,3,2] row_mask:0xf bank_mask:0xf
	s_and_saveexec_b64 s[26:27], s[0:1]
	s_cbranch_execnz .LBB366_18
; %bb.14:
	s_or_b64 exec, exec, s[26:27]
	s_mov_b64 s[8:9], -1
	s_and_b64 vcc, exec, s[22:23]
	s_cbranch_vccnz .LBB366_19
.LBB366_15:
	s_andn2_b64 vcc, exec, s[8:9]
	s_cbranch_vccz .LBB366_22
.LBB366_16:
	s_cmp_lt_i32 s16, 1
	s_cbranch_scc0 .LBB366_25
.LBB366_17:
	s_endpgm
.LBB366_18:
	v_cvt_f32_u32_e32 v17, s7
	v_add_f32_e32 v15, v15, v16
	v_mov_b32_e32 v19, s13
	v_mov_b32_e32 v20, s12
	v_div_scale_f32 v16, s[28:29], v17, v17, v15
	v_rcp_f32_e32 v18, v16
	v_cndmask_b32_e64 v19, v19, v20, s[8:9]
	s_mov_b32 s7, 0x800000
	v_fma_f32 v20, -v16, v18, 1.0
	v_fmac_f32_e32 v18, v20, v18
	v_div_scale_f32 v20, vcc, v15, v17, v15
	v_mul_f32_e32 v21, v20, v18
	v_fma_f32 v22, -v16, v21, v20
	v_fmac_f32_e32 v21, v22, v18
	v_fma_f32 v16, -v16, v21, v20
	v_div_fmas_f32 v16, v16, v18, v21
	v_div_fixup_f32 v15, v16, v17, v15
	v_add_f32_e32 v15, v19, v15
	v_mul_f32_e32 v16, 0x4b800000, v15
	v_cmp_gt_f32_e32 vcc, s7, v15
	v_cndmask_b32_e32 v15, v15, v16, vcc
	v_rsq_f32_e32 v15, v15
	s_waitcnt vmcnt(0)
	v_cvt_f32_u32_sdwa v19, v11 dst_sel:DWORD dst_unused:UNUSED_PAD src0_sel:WORD_1
	v_cvt_f32_u32_sdwa v18, v11 dst_sel:DWORD dst_unused:UNUSED_PAD src0_sel:WORD_0
	v_cvt_f32_u32_sdwa v11, v12 dst_sel:DWORD dst_unused:UNUSED_PAD src0_sel:WORD_1
	v_mul_f32_e32 v16, 0x45800000, v15
	v_cndmask_b32_e32 v16, v15, v16, vcc
	v_mov_b32_e32 v17, v16
	;;#ASMSTART
	v_pk_mul_f32 v[2:3], v[2:3], v[16:17]
	;;#ASMEND
	;;#ASMSTART
	v_pk_mul_f32 v[4:5], v[4:5], v[16:17]
	;;#ASMEND
	;; [unrolled: 3-line block ×4, first 2 shown]
	v_cvt_f32_u32_sdwa v17, v10 dst_sel:DWORD dst_unused:UNUSED_PAD src0_sel:WORD_1
	v_cvt_f32_u32_sdwa v16, v10 dst_sel:DWORD dst_unused:UNUSED_PAD src0_sel:WORD_0
	v_cvt_f32_u32_sdwa v10, v12 dst_sel:DWORD dst_unused:UNUSED_PAD src0_sel:WORD_0
	v_cvt_f32_u32_sdwa v21, v13 dst_sel:DWORD dst_unused:UNUSED_PAD src0_sel:WORD_1
	v_cvt_f32_u32_sdwa v20, v13 dst_sel:DWORD dst_unused:UNUSED_PAD src0_sel:WORD_0
	;;#ASMSTART
	v_pk_mul_f32 v[2:3], v[2:3], v[16:17]
	;;#ASMEND
	;;#ASMSTART
	v_pk_mul_f32 v[4:5], v[4:5], v[18:19]
	;;#ASMEND
	;; [unrolled: 3-line block ×4, first 2 shown]
	s_or_b64 exec, exec, s[26:27]
	s_mov_b64 s[8:9], -1
	s_and_b64 vcc, exec, s[22:23]
	s_cbranch_vccz .LBB366_15
.LBB366_19:
	s_and_saveexec_b64 s[8:9], s[0:1]
	s_cbranch_execz .LBB366_21
; %bb.20:
	s_mul_hi_i32 s23, s25, s6
	s_mul_i32 s22, s25, s6
	s_lshl_b64 s[22:23], s[22:23], 1
	s_add_u32 s28, s14, s22
	s_addc_u32 s7, s15, s23
	s_and_b32 s29, s7, 0xffff
	s_mov_b32 s7, 0x7060302
	s_mov_b32 s31, 0x20000
	s_waitcnt vmcnt(0)
	v_perm_b32 v10, v3, v2, s7
	v_perm_b32 v11, v5, v4, s7
	;; [unrolled: 1-line block ×4, first 2 shown]
	v_lshlrev_b32_e32 v15, 4, v0
	buffer_store_dwordx4 v[10:13], v15, s[28:31], 0 offen
	;;#ASMSTART
	s_nop 0
	;;#ASMEND
.LBB366_21:
	s_or_b64 exec, exec, s[8:9]
	s_cbranch_execnz .LBB366_16
.LBB366_22:
	s_and_saveexec_b64 s[8:9], s[0:1]
	s_cbranch_execz .LBB366_24
; %bb.23:
	s_load_dwordx2 s[0:1], s[4:5], 0x10
	s_mul_hi_i32 s23, s24, s6
	s_mul_i32 s22, s24, s6
	s_lshl_b64 s[22:23], s[22:23], 1
	s_mov_b32 s31, 0x20000
	s_waitcnt lgkmcnt(0)
	s_add_u32 s28, s0, s22
	s_addc_u32 s0, s1, s23
	s_and_b32 s29, s0, 0xffff
	s_mov_b32 s0, 0x7060302
	v_perm_b32 v2, v3, v2, s0
	v_perm_b32 v3, v5, v4, s0
	;; [unrolled: 1-line block ×4, first 2 shown]
	v_lshlrev_b32_e32 v6, 4, v0
	buffer_store_dwordx4 v[2:5], v6, s[28:31], 0 offen
	;;#ASMSTART
	s_nop 0
	;;#ASMEND
.LBB366_24:
	s_or_b64 exec, exec, s[8:9]
	s_cmp_lt_i32 s16, 1
	s_cbranch_scc1 .LBB366_17
.LBB366_25:
	s_load_dword s0, s[4:5], 0x94
	s_waitcnt lgkmcnt(0)
	s_cmp_lg_u32 s0, 1
	s_cbranch_scc1 .LBB366_17
; %bb.26:
	s_lshl_b32 s0, s16, 1
	s_add_i32 s0, s0, 2
	v_cmp_gt_u32_e32 vcc, s16, v1
	s_and_b32 s22, s0, -4
	v_mov_b32_e32 v6, 0
	v_lshlrev_b32_e32 v1, 4, v0
	v_mov_b32_e32 v7, 0
	v_mov_b32_e32 v8, 0
	;; [unrolled: 1-line block ×7, first 2 shown]
	s_barrier
	s_and_saveexec_b64 s[0:1], vcc
	s_cbranch_execz .LBB366_28
; %bb.27:
	s_mul_hi_i32 s5, s18, s6
	s_mul_i32 s4, s18, s6
	s_and_b32 s21, s21, 0xffff
	s_lshl_b64 s[4:5], s[4:5], 1
	s_add_u32 s8, s10, s4
	s_mov_b32 s23, 0x20000
	s_addc_u32 s4, s11, s5
	s_and_b32 s9, s4, 0xffff
	s_mov_b32 s10, s22
	s_mov_b32 s11, s23
	buffer_load_dwordx4 v[6:9], v1, s[8:11], 0 offen glc slc
	buffer_load_dwordx4 v[2:5], v1, s[20:23], 0 offen
.LBB366_28:
	s_or_b64 exec, exec, s[0:1]
	s_waitcnt vmcnt(0)
	v_cvt_f32_u32_sdwa v13, v6 dst_sel:DWORD dst_unused:UNUSED_PAD src0_sel:WORD_1
	v_cvt_f32_u32_sdwa v12, v6 dst_sel:DWORD dst_unused:UNUSED_PAD src0_sel:WORD_0
	v_cvt_f32_u32_sdwa v6, v9 dst_sel:DWORD dst_unused:UNUSED_PAD src0_sel:WORD_1
	v_cvt_f32_u32_sdwa v9, v9 dst_sel:DWORD dst_unused:UNUSED_PAD src0_sel:WORD_0
	;; [unrolled: 2-line block ×4, first 2 shown]
	v_cndmask_b32_e32 v13, 0, v13, vcc
	v_cndmask_b32_e32 v7, 0, v6, vcc
	v_cndmask_b32_e32 v6, 0, v9, vcc
	v_cndmask_b32_e32 v9, 0, v15, vcc
	v_cndmask_b32_e32 v12, 0, v12, vcc
	v_mul_f32_e32 v15, v13, v13
	v_cndmask_b32_e32 v10, 0, v10, vcc
	v_fmac_f32_e32 v15, v12, v12
	v_cndmask_b32_e32 v11, 0, v11, vcc
	v_fmac_f32_e32 v15, v10, v10
	;; [unrolled: 2-line block ×3, first 2 shown]
	v_fmac_f32_e32 v15, v8, v8
	v_fmac_f32_e32 v15, v9, v9
	;; [unrolled: 1-line block ×4, first 2 shown]
	s_nop 1
	v_mov_b32_dpp v16, v15 quad_perm:[1,0,3,2] row_mask:0xf bank_mask:0xf
	v_add_f32_e32 v15, v15, v16
	s_nop 1
	v_mov_b32_dpp v16, v15 quad_perm:[2,3,0,1] row_mask:0xf bank_mask:0xf
	v_add_f32_e32 v15, v15, v16
	s_nop 1
	v_mov_b32_dpp v16, v15 row_half_mirror row_mask:0xf bank_mask:0xf
	v_add_f32_e32 v15, v15, v16
	s_nop 1
	v_mov_b32_dpp v16, v15 row_mirror row_mask:0xf bank_mask:0xf
	v_add_f32_e32 v15, v15, v16
	s_nop 1
	v_mov_b32_dpp v16, v15 row_bcast:15 row_mask:0xf bank_mask:0xf
	v_add_f32_e32 v15, v15, v16
	s_nop 1
	v_mov_b32_dpp v16, v15 row_bcast:31 row_mask:0xf bank_mask:0xf
	s_and_saveexec_b64 s[0:1], s[2:3]
	s_cbranch_execz .LBB366_30
; %bb.29:
	v_lshrrev_b32_e32 v0, 4, v0
	v_add_f32_e32 v15, v15, v16
	v_and_b32_e32 v0, 60, v0
	ds_write_b32 v0, v15
.LBB366_30:
	s_or_b64 exec, exec, s[0:1]
	s_waitcnt lgkmcnt(0)
	s_barrier
	ds_read_b32 v0, v14
	s_waitcnt lgkmcnt(0)
	s_nop 0
	v_mov_b32_dpp v14, v0 quad_perm:[1,0,3,2] row_mask:0xf bank_mask:0xf
	s_and_saveexec_b64 s[0:1], vcc
	s_cbranch_execz .LBB366_17
; %bb.31:
	v_cvt_f32_u32_e32 v15, s16
	v_add_f32_e32 v0, v0, v14
	s_mov_b32 s23, 0x20000
	v_div_scale_f32 v14, s[0:1], v15, v15, v0
	v_rcp_f32_e32 v16, v14
	v_div_scale_f32 v17, vcc, v0, v15, v0
	s_mov_b32 s0, 0x800000
	v_fma_f32 v18, -v14, v16, 1.0
	v_fmac_f32_e32 v16, v18, v16
	v_mul_f32_e32 v18, v17, v16
	v_fma_f32 v19, -v14, v18, v17
	v_fmac_f32_e32 v18, v19, v16
	v_fma_f32 v14, -v14, v18, v17
	v_div_fmas_f32 v14, v14, v16, v18
	v_div_fixup_f32 v0, v14, v15, v0
	v_add_f32_e32 v0, s13, v0
	v_mul_f32_e32 v14, 0x4b800000, v0
	v_cmp_gt_f32_e32 vcc, s0, v0
	v_cndmask_b32_e32 v0, v0, v14, vcc
	v_rsq_f32_e32 v0, v0
	s_mul_hi_i32 s1, s25, s6
	s_mul_i32 s0, s25, s6
	s_lshl_b64 s[0:1], s[0:1], 1
	v_mul_f32_e32 v14, 0x45800000, v0
	v_cndmask_b32_e32 v14, v0, v14, vcc
	s_add_u32 s20, s14, s0
	v_mov_b32_e32 v15, v14
	s_addc_u32 s0, s15, s1
	;;#ASMSTART
	v_pk_mul_f32 v[12:13], v[12:13], v[14:15]
	;;#ASMEND
	;;#ASMSTART
	v_pk_mul_f32 v[10:11], v[10:11], v[14:15]
	;;#ASMEND
	;; [unrolled: 3-line block ×4, first 2 shown]
	v_cvt_f32_u32_sdwa v15, v2 dst_sel:DWORD dst_unused:UNUSED_PAD src0_sel:WORD_1
	v_cvt_f32_u32_sdwa v14, v2 dst_sel:DWORD dst_unused:UNUSED_PAD src0_sel:WORD_0
	v_cvt_f32_u32_sdwa v17, v3 dst_sel:DWORD dst_unused:UNUSED_PAD src0_sel:WORD_1
	v_cvt_f32_u32_sdwa v16, v3 dst_sel:DWORD dst_unused:UNUSED_PAD src0_sel:WORD_0
	;; [unrolled: 2-line block ×4, first 2 shown]
	;;#ASMSTART
	v_pk_mul_f32 v[4:5], v[12:13], v[14:15]
	;;#ASMEND
	s_and_b32 s21, s0, 0xffff
	s_mov_b32 s0, 0x7060302
	;;#ASMSTART
	v_pk_mul_f32 v[10:11], v[10:11], v[16:17]
	;;#ASMEND
	;;#ASMSTART
	v_pk_mul_f32 v[8:9], v[8:9], v[2:3]
	;;#ASMEND
	;; [unrolled: 3-line block ×3, first 2 shown]
	v_perm_b32 v2, v5, v4, s0
	v_perm_b32 v3, v11, v10, s0
	;; [unrolled: 1-line block ×4, first 2 shown]
	buffer_store_dwordx4 v[2:5], v1, s[20:23], 0 offen
	;;#ASMSTART
	s_nop 0
	;;#ASMEND
	s_endpgm
	.section	.rodata,"a",@progbits
	.p2align	6, 0x0
	.amdhsa_kernel _ZN5aiter35fused_qk_rmsnorm_group_quant_kernelItDB8_Li128ELi8ELi8ELb1ELb1ELb0ELb1ELb0ELb0EEEvPT0_PvPT_S6_S6_PKS5_S8_S8_S8_S8_ffiiiiiiiiiiiii
		.amdhsa_group_segment_fixed_size 16
		.amdhsa_private_segment_fixed_size 0
		.amdhsa_kernarg_size 400
		.amdhsa_user_sgpr_count 6
		.amdhsa_user_sgpr_private_segment_buffer 1
		.amdhsa_user_sgpr_dispatch_ptr 0
		.amdhsa_user_sgpr_queue_ptr 0
		.amdhsa_user_sgpr_kernarg_segment_ptr 1
		.amdhsa_user_sgpr_dispatch_id 0
		.amdhsa_user_sgpr_flat_scratch_init 0
		.amdhsa_user_sgpr_kernarg_preload_length 0
		.amdhsa_user_sgpr_kernarg_preload_offset 0
		.amdhsa_user_sgpr_private_segment_size 0
		.amdhsa_uses_dynamic_stack 0
		.amdhsa_system_sgpr_private_segment_wavefront_offset 0
		.amdhsa_system_sgpr_workgroup_id_x 1
		.amdhsa_system_sgpr_workgroup_id_y 1
		.amdhsa_system_sgpr_workgroup_id_z 0
		.amdhsa_system_sgpr_workgroup_info 0
		.amdhsa_system_vgpr_workitem_id 0
		.amdhsa_next_free_vgpr 27
		.amdhsa_next_free_sgpr 44
		.amdhsa_accum_offset 28
		.amdhsa_reserve_vcc 1
		.amdhsa_reserve_flat_scratch 0
		.amdhsa_float_round_mode_32 0
		.amdhsa_float_round_mode_16_64 0
		.amdhsa_float_denorm_mode_32 3
		.amdhsa_float_denorm_mode_16_64 3
		.amdhsa_dx10_clamp 1
		.amdhsa_ieee_mode 1
		.amdhsa_fp16_overflow 0
		.amdhsa_tg_split 0
		.amdhsa_exception_fp_ieee_invalid_op 0
		.amdhsa_exception_fp_denorm_src 0
		.amdhsa_exception_fp_ieee_div_zero 0
		.amdhsa_exception_fp_ieee_overflow 0
		.amdhsa_exception_fp_ieee_underflow 0
		.amdhsa_exception_fp_ieee_inexact 0
		.amdhsa_exception_int_div_zero 0
	.end_amdhsa_kernel
	.section	.text._ZN5aiter35fused_qk_rmsnorm_group_quant_kernelItDB8_Li128ELi8ELi8ELb1ELb1ELb0ELb1ELb0ELb0EEEvPT0_PvPT_S6_S6_PKS5_S8_S8_S8_S8_ffiiiiiiiiiiiii,"axG",@progbits,_ZN5aiter35fused_qk_rmsnorm_group_quant_kernelItDB8_Li128ELi8ELi8ELb1ELb1ELb0ELb1ELb0ELb0EEEvPT0_PvPT_S6_S6_PKS5_S8_S8_S8_S8_ffiiiiiiiiiiiii,comdat
.Lfunc_end366:
	.size	_ZN5aiter35fused_qk_rmsnorm_group_quant_kernelItDB8_Li128ELi8ELi8ELb1ELb1ELb0ELb1ELb0ELb0EEEvPT0_PvPT_S6_S6_PKS5_S8_S8_S8_S8_ffiiiiiiiiiiiii, .Lfunc_end366-_ZN5aiter35fused_qk_rmsnorm_group_quant_kernelItDB8_Li128ELi8ELi8ELb1ELb1ELb0ELb1ELb0ELb0EEEvPT0_PvPT_S6_S6_PKS5_S8_S8_S8_S8_ffiiiiiiiiiiiii
                                        ; -- End function
	.section	.AMDGPU.csdata,"",@progbits
; Kernel info:
; codeLenInByte = 2420
; NumSgprs: 48
; NumVgprs: 27
; NumAgprs: 0
; TotalNumVgprs: 27
; ScratchSize: 0
; MemoryBound: 0
; FloatMode: 240
; IeeeMode: 1
; LDSByteSize: 16 bytes/workgroup (compile time only)
; SGPRBlocks: 5
; VGPRBlocks: 3
; NumSGPRsForWavesPerEU: 48
; NumVGPRsForWavesPerEU: 27
; AccumOffset: 28
; Occupancy: 8
; WaveLimiterHint : 0
; COMPUTE_PGM_RSRC2:SCRATCH_EN: 0
; COMPUTE_PGM_RSRC2:USER_SGPR: 6
; COMPUTE_PGM_RSRC2:TRAP_HANDLER: 0
; COMPUTE_PGM_RSRC2:TGID_X_EN: 1
; COMPUTE_PGM_RSRC2:TGID_Y_EN: 1
; COMPUTE_PGM_RSRC2:TGID_Z_EN: 0
; COMPUTE_PGM_RSRC2:TIDIG_COMP_CNT: 0
; COMPUTE_PGM_RSRC3_GFX90A:ACCUM_OFFSET: 6
; COMPUTE_PGM_RSRC3_GFX90A:TG_SPLIT: 0
	.section	.text._ZN5aiter35fused_qk_rmsnorm_group_quant_kernelIDF16_N4opus5fp4_tELi128ELi8ELi8ELb1ELb1ELb0ELb1ELb0ELb0EEEvPT0_PvPT_S7_S7_PKS6_S9_S9_S9_S9_ffiiiiiiiiiiiii,"axG",@progbits,_ZN5aiter35fused_qk_rmsnorm_group_quant_kernelIDF16_N4opus5fp4_tELi128ELi8ELi8ELb1ELb1ELb0ELb1ELb0ELb0EEEvPT0_PvPT_S7_S7_PKS6_S9_S9_S9_S9_ffiiiiiiiiiiiii,comdat
	.protected	_ZN5aiter35fused_qk_rmsnorm_group_quant_kernelIDF16_N4opus5fp4_tELi128ELi8ELi8ELb1ELb1ELb0ELb1ELb0ELb0EEEvPT0_PvPT_S7_S7_PKS6_S9_S9_S9_S9_ffiiiiiiiiiiiii ; -- Begin function _ZN5aiter35fused_qk_rmsnorm_group_quant_kernelIDF16_N4opus5fp4_tELi128ELi8ELi8ELb1ELb1ELb0ELb1ELb0ELb0EEEvPT0_PvPT_S7_S7_PKS6_S9_S9_S9_S9_ffiiiiiiiiiiiii
	.globl	_ZN5aiter35fused_qk_rmsnorm_group_quant_kernelIDF16_N4opus5fp4_tELi128ELi8ELi8ELb1ELb1ELb0ELb1ELb0ELb0EEEvPT0_PvPT_S7_S7_PKS6_S9_S9_S9_S9_ffiiiiiiiiiiiii
	.p2align	8
	.type	_ZN5aiter35fused_qk_rmsnorm_group_quant_kernelIDF16_N4opus5fp4_tELi128ELi8ELi8ELb1ELb1ELb0ELb1ELb0ELb0EEEvPT0_PvPT_S7_S7_PKS6_S9_S9_S9_S9_ffiiiiiiiiiiiii,@function
_ZN5aiter35fused_qk_rmsnorm_group_quant_kernelIDF16_N4opus5fp4_tELi128ELi8ELi8ELb1ELb1ELb0ELb1ELb0ELb0EEEvPT0_PvPT_S7_S7_PKS6_S9_S9_S9_S9_ffiiiiiiiiiiiii: ; @_ZN5aiter35fused_qk_rmsnorm_group_quant_kernelIDF16_N4opus5fp4_tELi128ELi8ELi8ELb1ELb1ELb0ELb1ELb0ELb0EEEvPT0_PvPT_S7_S7_PKS6_S9_S9_S9_S9_ffiiiiiiiiiiiii
; %bb.0:
	s_load_dwordx8 s[12:19], s[4:5], 0x50
	s_waitcnt lgkmcnt(0)
	s_cmp_ge_i32 s6, s14
	s_cbranch_scc1 .LBB367_17
; %bb.1:
	s_cmp_lg_u32 s7, 0
	s_cselect_b64 s[22:23], -1, 0
	s_cmp_eq_u32 s7, 0
	s_cselect_b64 s[2:3], -1, 0
	s_and_b64 s[0:1], s[2:3], exec
	s_cselect_b32 s7, s15, s16
	s_load_dwordx2 s[10:11], s[4:5], 0x30
	s_load_dwordx2 s[20:21], s[4:5], 0x48
	s_add_i32 s0, s7, 1
	s_lshr_b32 s1, s0, 31
	s_add_i32 s0, s0, s1
	s_lshl_b32 s0, s0, 1
	v_lshlrev_b32_e32 v1, 3, v0
	s_and_b32 s30, s0, -4
	v_cmp_gt_i32_e64 s[0:1], s7, v1
	v_mov_b32_e32 v2, 0
	v_mov_b32_e32 v3, 0
	;; [unrolled: 1-line block ×8, first 2 shown]
	s_and_saveexec_b64 s[8:9], s[0:1]
	s_cbranch_execz .LBB367_3
; %bb.2:
	s_load_dwordx2 s[14:15], s[4:5], 0x28
	s_load_dwordx2 s[26:27], s[4:5], 0x40
	s_and_b64 s[24:25], s[2:3], exec
	s_cselect_b32 s17, s17, s18
	s_mov_b32 s31, 0x20000
	s_waitcnt lgkmcnt(0)
	s_cselect_b32 s25, s15, s11
	s_cselect_b32 s24, s14, s10
	s_mul_hi_i32 s15, s17, s6
	s_mul_i32 s14, s17, s6
	s_lshl_b64 s[14:15], s[14:15], 1
	s_add_u32 s24, s24, s14
	s_addc_u32 s17, s25, s15
	s_and_b64 s[14:15], s[2:3], exec
	s_cselect_b32 s28, s26, s20
	s_cselect_b32 s14, s27, s21
	v_lshlrev_b32_e32 v10, 4, v0
	s_and_b32 s25, s17, 0xffff
	s_mov_b32 s26, s30
	s_mov_b32 s27, s31
	s_and_b32 s29, s14, 0xffff
	buffer_load_dwordx4 v[6:9], v10, s[24:27], 0 offen glc slc
	buffer_load_dwordx4 v[2:5], v10, s[28:31], 0 offen
.LBB367_3:
	s_or_b64 exec, exec, s[8:9]
	s_load_dwordx4 s[24:27], s[4:5], 0x7c
	s_and_b64 vcc, exec, s[22:23]
	s_cbranch_vccz .LBB367_7
; %bb.4:
	v_mov_b32_e32 v11, 0
	v_mov_b32_e32 v10, 0
	;; [unrolled: 1-line block ×8, first 2 shown]
	s_and_saveexec_b64 s[8:9], s[0:1]
	s_cbranch_execz .LBB367_6
; %bb.5:
	s_waitcnt vmcnt(1)
	v_cvt_f32_f16_sdwa v17, v6 dst_sel:DWORD dst_unused:UNUSED_PAD src0_sel:WORD_1
	v_cvt_f32_f16_e32 v16, v6
	v_cvt_f32_f16_sdwa v15, v7 dst_sel:DWORD dst_unused:UNUSED_PAD src0_sel:WORD_1
	v_cvt_f32_f16_e32 v14, v7
	;; [unrolled: 2-line block ×4, first 2 shown]
.LBB367_6:
	s_or_b64 exec, exec, s[8:9]
	s_cbranch_execz .LBB367_8
	s_branch .LBB367_11
.LBB367_7:
                                        ; implicit-def: $vgpr11
                                        ; implicit-def: $vgpr13
                                        ; implicit-def: $vgpr15
                                        ; implicit-def: $vgpr17
.LBB367_8:
	v_mov_b32_e32 v11, 0
	v_mov_b32_e32 v10, 0
	;; [unrolled: 1-line block ×8, first 2 shown]
	s_and_saveexec_b64 s[8:9], s[0:1]
	s_cbranch_execz .LBB367_10
; %bb.9:
	s_load_dwordx2 s[14:15], s[4:5], 0x38
	s_mul_hi_i32 s29, s19, s6
	s_mul_i32 s28, s19, s6
	s_lshl_b64 s[28:29], s[28:29], 1
	s_mov_b32 s31, 0x20000
	s_waitcnt lgkmcnt(0)
	s_add_u32 s28, s14, s28
	s_addc_u32 s14, s15, s29
	s_and_b32 s29, s14, 0xffff
	v_lshlrev_b32_e32 v26, 4, v0
	buffer_load_dwordx4 v[10:13], v26, s[28:31], 0 offen glc slc
	s_waitcnt vmcnt(2)
	v_cvt_f32_f16_sdwa v15, v6 dst_sel:DWORD dst_unused:UNUSED_PAD src0_sel:WORD_1
	v_cvt_f32_f16_e32 v14, v6
	v_cvt_f32_f16_sdwa v19, v7 dst_sel:DWORD dst_unused:UNUSED_PAD src0_sel:WORD_1
	v_cvt_f32_f16_e32 v18, v7
	v_cvt_f32_f16_sdwa v7, v8 dst_sel:DWORD dst_unused:UNUSED_PAD src0_sel:WORD_1
	v_cvt_f32_f16_e32 v6, v8
	v_cvt_f32_f16_sdwa v21, v9 dst_sel:DWORD dst_unused:UNUSED_PAD src0_sel:WORD_1
	v_cvt_f32_f16_e32 v20, v9
	s_load_dwordx2 s[14:15], s[4:5], 0x20
	s_mul_hi_i32 s27, s26, s6
	s_mul_i32 s26, s26, s6
	s_lshl_b64 s[26:27], s[26:27], 1
	s_waitcnt lgkmcnt(0)
	s_add_u32 s28, s14, s26
	s_addc_u32 s14, s15, s27
	s_and_b32 s29, s14, 0xffff
	s_waitcnt vmcnt(0)
	v_cvt_f32_f16_e32 v8, v10
	v_cvt_f32_f16_sdwa v9, v10 dst_sel:DWORD dst_unused:UNUSED_PAD src0_sel:WORD_1
	v_cvt_f32_f16_e32 v10, v11
	v_cvt_f32_f16_sdwa v11, v11 dst_sel:DWORD dst_unused:UNUSED_PAD src0_sel:WORD_1
	;; [unrolled: 2-line block ×4, first 2 shown]
	v_pk_add_f32 v[16:17], v[14:15], v[8:9]
	v_pk_add_f32 v[14:15], v[18:19], v[10:11]
	;; [unrolled: 1-line block ×4, first 2 shown]
	v_cvt_f16_f32_e32 v6, v17
	v_cvt_f16_f32_e32 v7, v15
	;; [unrolled: 1-line block ×8, first 2 shown]
	v_pack_b32_f16 v9, v18, v9
	v_pack_b32_f16 v8, v19, v8
	;; [unrolled: 1-line block ×4, first 2 shown]
	buffer_store_dwordx4 v[6:9], v26, s[28:31], 0 offen glc slc
	;;#ASMSTART
	s_nop 0
	;;#ASMEND
.LBB367_10:
	s_or_b64 exec, exec, s[8:9]
.LBB367_11:
	s_waitcnt vmcnt(1)
	v_mul_f32_e32 v6, v17, v17
	v_fmac_f32_e32 v6, v16, v16
	v_fmac_f32_e32 v6, v14, v14
	v_fmac_f32_e32 v6, v15, v15
	v_fmac_f32_e32 v6, v12, v12
	v_fmac_f32_e32 v6, v13, v13
	v_fmac_f32_e32 v6, v10, v10
	v_fmac_f32_e32 v6, v11, v11
	v_and_b32_e32 v8, 63, v0
	v_cmp_eq_u32_e64 s[8:9], 63, v8
	v_mov_b32_dpp v7, v6 quad_perm:[1,0,3,2] row_mask:0xf bank_mask:0xf
	v_add_f32_e32 v6, v6, v7
	s_nop 1
	v_mov_b32_dpp v7, v6 quad_perm:[2,3,0,1] row_mask:0xf bank_mask:0xf
	v_add_f32_e32 v6, v6, v7
	s_nop 1
	v_mov_b32_dpp v7, v6 row_half_mirror row_mask:0xf bank_mask:0xf
	v_add_f32_e32 v6, v6, v7
	s_nop 1
	v_mov_b32_dpp v7, v6 row_mirror row_mask:0xf bank_mask:0xf
	v_add_f32_e32 v6, v6, v7
	s_nop 1
	v_mov_b32_dpp v7, v6 row_bcast:15 row_mask:0xf bank_mask:0xf
	v_add_f32_e32 v6, v6, v7
	s_nop 1
	v_mov_b32_dpp v7, v6 row_bcast:31 row_mask:0xf bank_mask:0xf
	s_and_saveexec_b64 s[14:15], s[8:9]
	s_cbranch_execz .LBB367_13
; %bb.12:
	v_add_f32_e32 v6, v6, v7
	v_lshrrev_b32_e32 v7, 4, v0
	v_and_b32_e32 v7, 60, v7
	ds_write_b32 v7, v6 offset:8
.LBB367_13:
	s_or_b64 exec, exec, s[14:15]
	v_and_b32_e32 v6, 1, v0
	v_lshlrev_b32_e32 v18, 2, v6
	s_waitcnt lgkmcnt(0)
	s_barrier
	ds_read_b32 v6, v18 offset:8
	s_load_dwordx2 s[14:15], s[4:5], 0x18
	s_waitcnt lgkmcnt(0)
	v_mov_b32_dpp v7, v6 quad_perm:[1,0,3,2] row_mask:0xf bank_mask:0xf
	s_and_saveexec_b64 s[26:27], s[0:1]
	s_cbranch_execnz .LBB367_18
; %bb.14:
	s_or_b64 exec, exec, s[26:27]
	s_mov_b64 s[2:3], -1
	s_and_b64 vcc, exec, s[22:23]
	s_cbranch_vccnz .LBB367_19
.LBB367_15:
	s_andn2_b64 vcc, exec, s[2:3]
	s_cbranch_vccz .LBB367_22
.LBB367_16:
	s_cmp_lt_i32 s16, 1
	s_cbranch_scc0 .LBB367_25
.LBB367_17:
	s_endpgm
.LBB367_18:
	v_cvt_f32_u32_e32 v8, s7
	v_add_f32_e32 v6, v6, v7
	v_mov_b32_e32 v19, s13
	v_mov_b32_e32 v20, s12
	v_div_scale_f32 v7, s[28:29], v8, v8, v6
	v_rcp_f32_e32 v9, v7
	v_cndmask_b32_e64 v19, v19, v20, s[2:3]
	s_mov_b32 s2, 0x800000
	s_waitcnt vmcnt(0)
	v_cvt_f32_f16_sdwa v23, v5 dst_sel:DWORD dst_unused:UNUSED_PAD src0_sel:WORD_1
	v_fma_f32 v20, -v7, v9, 1.0
	v_fmac_f32_e32 v9, v20, v9
	v_div_scale_f32 v20, vcc, v6, v8, v6
	v_mul_f32_e32 v21, v20, v9
	v_fma_f32 v22, -v7, v21, v20
	v_fmac_f32_e32 v21, v22, v9
	v_fma_f32 v7, -v7, v21, v20
	v_div_fmas_f32 v7, v7, v9, v21
	v_div_fixup_f32 v6, v7, v8, v6
	v_add_f32_e32 v6, v19, v6
	v_mul_f32_e32 v7, 0x4b800000, v6
	v_cmp_gt_f32_e32 vcc, s2, v6
	v_cndmask_b32_e32 v6, v6, v7, vcc
	v_rsq_f32_e32 v6, v6
	v_cvt_f32_f16_sdwa v21, v3 dst_sel:DWORD dst_unused:UNUSED_PAD src0_sel:WORD_1
	v_cvt_f32_f16_e32 v20, v3
	v_cvt_f32_f16_sdwa v3, v4 dst_sel:DWORD dst_unused:UNUSED_PAD src0_sel:WORD_1
	v_mul_f32_e32 v7, 0x45800000, v6
	v_cndmask_b32_e32 v6, v6, v7, vcc
	v_mov_b32_e32 v7, v6
	;;#ASMSTART
	v_pk_mul_f32 v[8:9], v[16:17], v[6:7]
	;;#ASMEND
	;;#ASMSTART
	v_pk_mul_f32 v[14:15], v[14:15], v[6:7]
	;;#ASMEND
	;; [unrolled: 3-line block ×4, first 2 shown]
	v_cvt_f32_f16_sdwa v11, v2 dst_sel:DWORD dst_unused:UNUSED_PAD src0_sel:WORD_1
	v_cvt_f32_f16_e32 v10, v2
	v_cvt_f32_f16_e32 v2, v4
	;; [unrolled: 1-line block ×3, first 2 shown]
	;;#ASMSTART
	v_pk_mul_f32 v[16:17], v[8:9], v[10:11]
	;;#ASMEND
	;;#ASMSTART
	v_pk_mul_f32 v[14:15], v[14:15], v[20:21]
	;;#ASMEND
	;; [unrolled: 3-line block ×4, first 2 shown]
	s_or_b64 exec, exec, s[26:27]
	s_mov_b64 s[2:3], -1
	s_and_b64 vcc, exec, s[22:23]
	s_cbranch_vccz .LBB367_15
.LBB367_19:
	s_and_saveexec_b64 s[2:3], s[0:1]
	s_cbranch_execz .LBB367_21
; %bb.20:
	s_mul_hi_i32 s23, s25, s6
	s_mul_i32 s22, s25, s6
	s_waitcnt vmcnt(0)
	v_cvt_f16_f32_e32 v2, v16
	v_cvt_f16_f32_e32 v3, v14
	v_cvt_f16_f32_e32 v4, v12
	v_cvt_f16_f32_e32 v5, v10
	v_cvt_f16_f32_e32 v6, v11
	v_cvt_f16_f32_e32 v7, v13
	v_cvt_f16_f32_e32 v8, v15
	v_cvt_f16_f32_e32 v9, v17
	s_lshl_b64 s[22:23], s[22:23], 1
	s_add_u32 s28, s14, s22
	s_addc_u32 s7, s15, s23
	s_and_b32 s29, s7, 0xffff
	s_mov_b32 s31, 0x20000
	v_pack_b32_f16 v5, v5, v6
	v_pack_b32_f16 v4, v4, v7
	;; [unrolled: 1-line block ×4, first 2 shown]
	v_lshlrev_b32_e32 v6, 4, v0
	buffer_store_dwordx4 v[2:5], v6, s[28:31], 0 offen
	;;#ASMSTART
	s_nop 0
	;;#ASMEND
.LBB367_21:
	s_or_b64 exec, exec, s[2:3]
	s_cbranch_execnz .LBB367_16
.LBB367_22:
	s_and_saveexec_b64 s[2:3], s[0:1]
	s_cbranch_execz .LBB367_24
; %bb.23:
	s_load_dwordx2 s[0:1], s[4:5], 0x10
	s_mul_hi_i32 s23, s24, s6
	s_mul_i32 s22, s24, s6
	s_waitcnt vmcnt(0)
	v_cvt_f16_f32_e32 v2, v16
	v_cvt_f16_f32_e32 v3, v14
	;; [unrolled: 1-line block ×8, first 2 shown]
	s_lshl_b64 s[22:23], s[22:23], 1
	s_waitcnt lgkmcnt(0)
	s_add_u32 s28, s0, s22
	s_addc_u32 s0, s1, s23
	s_mov_b32 s31, 0x20000
	s_and_b32 s29, s0, 0xffff
	v_pack_b32_f16 v5, v5, v6
	v_pack_b32_f16 v4, v4, v7
	v_pack_b32_f16 v3, v3, v8
	v_pack_b32_f16 v2, v2, v9
	v_lshlrev_b32_e32 v6, 4, v0
	buffer_store_dwordx4 v[2:5], v6, s[28:31], 0 offen
	;;#ASMSTART
	s_nop 0
	;;#ASMEND
.LBB367_24:
	s_or_b64 exec, exec, s[2:3]
	s_cmp_lt_i32 s16, 1
	s_cbranch_scc1 .LBB367_17
.LBB367_25:
	s_load_dword s0, s[4:5], 0x94
	s_waitcnt lgkmcnt(0)
	s_cmp_lg_u32 s0, 1
	s_cbranch_scc1 .LBB367_17
; %bb.26:
	s_lshl_b32 s0, s16, 1
	s_add_i32 s0, s0, 2
	v_cmp_gt_u32_e32 vcc, s16, v1
	s_and_b32 s22, s0, -4
	v_mov_b32_e32 v10, 0
	v_lshlrev_b32_e32 v1, 4, v0
	v_mov_b32_e32 v6, 0
	v_mov_b32_e32 v7, 0
	v_mov_b32_e32 v8, 0
	v_mov_b32_e32 v9, 0
	s_waitcnt vmcnt(0)
	v_mov_b32_e32 v2, 0
	v_mov_b32_e32 v3, 0
	;; [unrolled: 1-line block ×4, first 2 shown]
	s_barrier
	s_and_saveexec_b64 s[0:1], vcc
	s_cbranch_execz .LBB367_28
; %bb.27:
	s_mul_hi_i32 s3, s18, s6
	s_mul_i32 s2, s18, s6
	s_and_b32 s21, s21, 0xffff
	s_lshl_b64 s[2:3], s[2:3], 1
	s_add_u32 s28, s10, s2
	s_mov_b32 s23, 0x20000
	s_addc_u32 s2, s11, s3
	s_and_b32 s29, s2, 0xffff
	s_mov_b32 s30, s22
	s_mov_b32 s31, s23
	buffer_load_dwordx4 v[6:9], v1, s[28:31], 0 offen glc slc
	buffer_load_dwordx4 v[2:5], v1, s[20:23], 0 offen
.LBB367_28:
	s_or_b64 exec, exec, s[0:1]
	v_mov_b32_e32 v11, 0
	v_mov_b32_e32 v16, 0
	;; [unrolled: 1-line block ×7, first 2 shown]
	s_and_saveexec_b64 s[0:1], vcc
	s_cbranch_execz .LBB367_30
; %bb.29:
	s_waitcnt vmcnt(1)
	v_cvt_f32_f16_sdwa v11, v6 dst_sel:DWORD dst_unused:UNUSED_PAD src0_sel:WORD_1
	v_cvt_f32_f16_e32 v10, v6
	v_cvt_f32_f16_sdwa v17, v7 dst_sel:DWORD dst_unused:UNUSED_PAD src0_sel:WORD_1
	v_cvt_f32_f16_e32 v16, v7
	;; [unrolled: 2-line block ×4, first 2 shown]
.LBB367_30:
	s_or_b64 exec, exec, s[0:1]
	s_waitcnt vmcnt(1)
	v_mul_f32_e32 v6, v11, v11
	v_fmac_f32_e32 v6, v10, v10
	v_fmac_f32_e32 v6, v16, v16
	;; [unrolled: 1-line block ×7, first 2 shown]
	s_nop 1
	v_mov_b32_dpp v7, v6 quad_perm:[1,0,3,2] row_mask:0xf bank_mask:0xf
	v_add_f32_e32 v6, v6, v7
	s_nop 1
	v_mov_b32_dpp v7, v6 quad_perm:[2,3,0,1] row_mask:0xf bank_mask:0xf
	v_add_f32_e32 v6, v6, v7
	s_nop 1
	v_mov_b32_dpp v7, v6 row_half_mirror row_mask:0xf bank_mask:0xf
	v_add_f32_e32 v6, v6, v7
	s_nop 1
	v_mov_b32_dpp v7, v6 row_mirror row_mask:0xf bank_mask:0xf
	v_add_f32_e32 v6, v6, v7
	s_nop 1
	v_mov_b32_dpp v7, v6 row_bcast:15 row_mask:0xf bank_mask:0xf
	v_add_f32_e32 v6, v6, v7
	s_nop 1
	v_mov_b32_dpp v7, v6 row_bcast:31 row_mask:0xf bank_mask:0xf
	s_and_saveexec_b64 s[0:1], s[8:9]
	s_cbranch_execz .LBB367_32
; %bb.31:
	v_lshrrev_b32_e32 v0, 4, v0
	v_add_f32_e32 v6, v6, v7
	v_and_b32_e32 v0, 60, v0
	ds_write_b32 v0, v6
.LBB367_32:
	s_or_b64 exec, exec, s[0:1]
	s_waitcnt lgkmcnt(0)
	s_barrier
	ds_read_b32 v0, v18
	s_waitcnt lgkmcnt(0)
	s_nop 0
	v_mov_b32_dpp v6, v0 quad_perm:[1,0,3,2] row_mask:0xf bank_mask:0xf
	s_and_saveexec_b64 s[0:1], vcc
	s_cbranch_execz .LBB367_17
; %bb.33:
	v_cvt_f32_u32_e32 v7, s16
	v_add_f32_e32 v0, v0, v6
	s_mov_b32 s23, 0x20000
	v_div_scale_f32 v6, s[0:1], v7, v7, v0
	v_rcp_f32_e32 v8, v6
	v_div_scale_f32 v9, vcc, v0, v7, v0
	s_mov_b32 s0, 0x800000
	v_fma_f32 v18, -v6, v8, 1.0
	v_fmac_f32_e32 v8, v18, v8
	v_mul_f32_e32 v18, v9, v8
	v_fma_f32 v19, -v6, v18, v9
	v_fmac_f32_e32 v18, v19, v8
	v_fma_f32 v6, -v6, v18, v9
	v_div_fmas_f32 v6, v6, v8, v18
	v_div_fixup_f32 v0, v6, v7, v0
	v_add_f32_e32 v0, s13, v0
	v_mul_f32_e32 v6, 0x4b800000, v0
	v_cmp_gt_f32_e32 vcc, s0, v0
	v_cndmask_b32_e32 v0, v0, v6, vcc
	v_rsq_f32_e32 v0, v0
	s_waitcnt vmcnt(0)
	v_cvt_f32_f16_sdwa v19, v5 dst_sel:DWORD dst_unused:UNUSED_PAD src0_sel:WORD_1
	v_cvt_f32_f16_e32 v18, v5
	s_mul_hi_i32 s1, s25, s6
	v_mul_f32_e32 v6, 0x45800000, v0
	v_cndmask_b32_e32 v6, v0, v6, vcc
	v_mov_b32_e32 v7, v6
	;;#ASMSTART
	v_pk_mul_f32 v[8:9], v[10:11], v[6:7]
	;;#ASMEND
	;;#ASMSTART
	v_pk_mul_f32 v[10:11], v[16:17], v[6:7]
	;;#ASMEND
	;;#ASMSTART
	v_pk_mul_f32 v[14:15], v[14:15], v[6:7]
	;;#ASMEND
	;;#ASMSTART
	v_pk_mul_f32 v[6:7], v[12:13], v[6:7]
	;;#ASMEND
	v_cvt_f32_f16_sdwa v13, v2 dst_sel:DWORD dst_unused:UNUSED_PAD src0_sel:WORD_1
	v_cvt_f32_f16_e32 v12, v2
	v_cvt_f32_f16_sdwa v17, v3 dst_sel:DWORD dst_unused:UNUSED_PAD src0_sel:WORD_1
	v_cvt_f32_f16_e32 v16, v3
	;; [unrolled: 2-line block ×3, first 2 shown]
	;;#ASMSTART
	v_pk_mul_f32 v[4:5], v[8:9], v[12:13]
	;;#ASMEND
	;;#ASMSTART
	v_pk_mul_f32 v[8:9], v[10:11], v[16:17]
	;;#ASMEND
	;; [unrolled: 3-line block ×4, first 2 shown]
	s_mul_i32 s0, s25, s6
	v_cvt_f16_f32_e32 v0, v4
	v_cvt_f16_f32_e32 v4, v5
	;; [unrolled: 1-line block ×8, first 2 shown]
	s_lshl_b64 s[0:1], s[0:1], 1
	s_add_u32 s20, s14, s0
	s_addc_u32 s0, s15, s1
	s_and_b32 s21, s0, 0xffff
	v_pack_b32_f16 v2, v0, v4
	v_pack_b32_f16 v3, v5, v8
	;; [unrolled: 1-line block ×4, first 2 shown]
	buffer_store_dwordx4 v[2:5], v1, s[20:23], 0 offen
	;;#ASMSTART
	s_nop 0
	;;#ASMEND
	s_endpgm
	.section	.rodata,"a",@progbits
	.p2align	6, 0x0
	.amdhsa_kernel _ZN5aiter35fused_qk_rmsnorm_group_quant_kernelIDF16_N4opus5fp4_tELi128ELi8ELi8ELb1ELb1ELb0ELb1ELb0ELb0EEEvPT0_PvPT_S7_S7_PKS6_S9_S9_S9_S9_ffiiiiiiiiiiiii
		.amdhsa_group_segment_fixed_size 16
		.amdhsa_private_segment_fixed_size 0
		.amdhsa_kernarg_size 400
		.amdhsa_user_sgpr_count 6
		.amdhsa_user_sgpr_private_segment_buffer 1
		.amdhsa_user_sgpr_dispatch_ptr 0
		.amdhsa_user_sgpr_queue_ptr 0
		.amdhsa_user_sgpr_kernarg_segment_ptr 1
		.amdhsa_user_sgpr_dispatch_id 0
		.amdhsa_user_sgpr_flat_scratch_init 0
		.amdhsa_user_sgpr_kernarg_preload_length 0
		.amdhsa_user_sgpr_kernarg_preload_offset 0
		.amdhsa_user_sgpr_private_segment_size 0
		.amdhsa_uses_dynamic_stack 0
		.amdhsa_system_sgpr_private_segment_wavefront_offset 0
		.amdhsa_system_sgpr_workgroup_id_x 1
		.amdhsa_system_sgpr_workgroup_id_y 1
		.amdhsa_system_sgpr_workgroup_id_z 0
		.amdhsa_system_sgpr_workgroup_info 0
		.amdhsa_system_vgpr_workitem_id 0
		.amdhsa_next_free_vgpr 27
		.amdhsa_next_free_sgpr 32
		.amdhsa_accum_offset 28
		.amdhsa_reserve_vcc 1
		.amdhsa_reserve_flat_scratch 0
		.amdhsa_float_round_mode_32 0
		.amdhsa_float_round_mode_16_64 0
		.amdhsa_float_denorm_mode_32 3
		.amdhsa_float_denorm_mode_16_64 3
		.amdhsa_dx10_clamp 1
		.amdhsa_ieee_mode 1
		.amdhsa_fp16_overflow 0
		.amdhsa_tg_split 0
		.amdhsa_exception_fp_ieee_invalid_op 0
		.amdhsa_exception_fp_denorm_src 0
		.amdhsa_exception_fp_ieee_div_zero 0
		.amdhsa_exception_fp_ieee_overflow 0
		.amdhsa_exception_fp_ieee_underflow 0
		.amdhsa_exception_fp_ieee_inexact 0
		.amdhsa_exception_int_div_zero 0
	.end_amdhsa_kernel
	.section	.text._ZN5aiter35fused_qk_rmsnorm_group_quant_kernelIDF16_N4opus5fp4_tELi128ELi8ELi8ELb1ELb1ELb0ELb1ELb0ELb0EEEvPT0_PvPT_S7_S7_PKS6_S9_S9_S9_S9_ffiiiiiiiiiiiii,"axG",@progbits,_ZN5aiter35fused_qk_rmsnorm_group_quant_kernelIDF16_N4opus5fp4_tELi128ELi8ELi8ELb1ELb1ELb0ELb1ELb0ELb0EEEvPT0_PvPT_S7_S7_PKS6_S9_S9_S9_S9_ffiiiiiiiiiiiii,comdat
.Lfunc_end367:
	.size	_ZN5aiter35fused_qk_rmsnorm_group_quant_kernelIDF16_N4opus5fp4_tELi128ELi8ELi8ELb1ELb1ELb0ELb1ELb0ELb0EEEvPT0_PvPT_S7_S7_PKS6_S9_S9_S9_S9_ffiiiiiiiiiiiii, .Lfunc_end367-_ZN5aiter35fused_qk_rmsnorm_group_quant_kernelIDF16_N4opus5fp4_tELi128ELi8ELi8ELb1ELb1ELb0ELb1ELb0ELb0EEEvPT0_PvPT_S7_S7_PKS6_S9_S9_S9_S9_ffiiiiiiiiiiiii
                                        ; -- End function
	.section	.AMDGPU.csdata,"",@progbits
; Kernel info:
; codeLenInByte = 2384
; NumSgprs: 36
; NumVgprs: 27
; NumAgprs: 0
; TotalNumVgprs: 27
; ScratchSize: 0
; MemoryBound: 0
; FloatMode: 240
; IeeeMode: 1
; LDSByteSize: 16 bytes/workgroup (compile time only)
; SGPRBlocks: 4
; VGPRBlocks: 3
; NumSGPRsForWavesPerEU: 36
; NumVGPRsForWavesPerEU: 27
; AccumOffset: 28
; Occupancy: 8
; WaveLimiterHint : 0
; COMPUTE_PGM_RSRC2:SCRATCH_EN: 0
; COMPUTE_PGM_RSRC2:USER_SGPR: 6
; COMPUTE_PGM_RSRC2:TRAP_HANDLER: 0
; COMPUTE_PGM_RSRC2:TGID_X_EN: 1
; COMPUTE_PGM_RSRC2:TGID_Y_EN: 1
; COMPUTE_PGM_RSRC2:TGID_Z_EN: 0
; COMPUTE_PGM_RSRC2:TIDIG_COMP_CNT: 0
; COMPUTE_PGM_RSRC3_GFX90A:ACCUM_OFFSET: 6
; COMPUTE_PGM_RSRC3_GFX90A:TG_SPLIT: 0
	.section	.text._ZN5aiter35fused_qk_rmsnorm_group_quant_kernelItN4opus5fp4_tELi128ELi8ELi8ELb1ELb1ELb0ELb1ELb0ELb0EEEvPT0_PvPT_S7_S7_PKS6_S9_S9_S9_S9_ffiiiiiiiiiiiii,"axG",@progbits,_ZN5aiter35fused_qk_rmsnorm_group_quant_kernelItN4opus5fp4_tELi128ELi8ELi8ELb1ELb1ELb0ELb1ELb0ELb0EEEvPT0_PvPT_S7_S7_PKS6_S9_S9_S9_S9_ffiiiiiiiiiiiii,comdat
	.protected	_ZN5aiter35fused_qk_rmsnorm_group_quant_kernelItN4opus5fp4_tELi128ELi8ELi8ELb1ELb1ELb0ELb1ELb0ELb0EEEvPT0_PvPT_S7_S7_PKS6_S9_S9_S9_S9_ffiiiiiiiiiiiii ; -- Begin function _ZN5aiter35fused_qk_rmsnorm_group_quant_kernelItN4opus5fp4_tELi128ELi8ELi8ELb1ELb1ELb0ELb1ELb0ELb0EEEvPT0_PvPT_S7_S7_PKS6_S9_S9_S9_S9_ffiiiiiiiiiiiii
	.globl	_ZN5aiter35fused_qk_rmsnorm_group_quant_kernelItN4opus5fp4_tELi128ELi8ELi8ELb1ELb1ELb0ELb1ELb0ELb0EEEvPT0_PvPT_S7_S7_PKS6_S9_S9_S9_S9_ffiiiiiiiiiiiii
	.p2align	8
	.type	_ZN5aiter35fused_qk_rmsnorm_group_quant_kernelItN4opus5fp4_tELi128ELi8ELi8ELb1ELb1ELb0ELb1ELb0ELb0EEEvPT0_PvPT_S7_S7_PKS6_S9_S9_S9_S9_ffiiiiiiiiiiiii,@function
_ZN5aiter35fused_qk_rmsnorm_group_quant_kernelItN4opus5fp4_tELi128ELi8ELi8ELb1ELb1ELb0ELb1ELb0ELb0EEEvPT0_PvPT_S7_S7_PKS6_S9_S9_S9_S9_ffiiiiiiiiiiiii: ; @_ZN5aiter35fused_qk_rmsnorm_group_quant_kernelItN4opus5fp4_tELi128ELi8ELi8ELb1ELb1ELb0ELb1ELb0ELb0EEEvPT0_PvPT_S7_S7_PKS6_S9_S9_S9_S9_ffiiiiiiiiiiiii
; %bb.0:
	s_load_dwordx8 s[12:19], s[4:5], 0x50
	s_waitcnt lgkmcnt(0)
	s_cmp_ge_i32 s6, s14
	s_cbranch_scc1 .LBB368_17
; %bb.1:
	s_cmp_lg_u32 s7, 0
	s_cselect_b64 s[22:23], -1, 0
	s_cmp_eq_u32 s7, 0
	s_cselect_b64 s[8:9], -1, 0
	s_and_b64 s[0:1], s[8:9], exec
	s_cselect_b32 s7, s15, s16
	s_load_dwordx2 s[10:11], s[4:5], 0x30
	s_load_dwordx2 s[20:21], s[4:5], 0x48
	s_add_i32 s0, s7, 1
	s_lshr_b32 s1, s0, 31
	s_add_i32 s0, s0, s1
	s_lshl_b32 s0, s0, 1
	v_lshlrev_b32_e32 v1, 3, v0
	s_and_b32 s30, s0, -4
	v_cmp_gt_i32_e64 s[0:1], s7, v1
	v_mov_b32_e32 v10, 0
	v_mov_b32_e32 v11, 0
	;; [unrolled: 1-line block ×8, first 2 shown]
	s_and_saveexec_b64 s[2:3], s[0:1]
	s_cbranch_execz .LBB368_3
; %bb.2:
	s_load_dwordx2 s[14:15], s[4:5], 0x28
	s_load_dwordx2 s[26:27], s[4:5], 0x40
	s_and_b64 s[24:25], s[8:9], exec
	s_cselect_b32 s17, s17, s18
	s_mov_b32 s31, 0x20000
	s_waitcnt lgkmcnt(0)
	s_cselect_b32 s25, s15, s11
	s_cselect_b32 s24, s14, s10
	s_mul_hi_i32 s15, s17, s6
	s_mul_i32 s14, s17, s6
	s_lshl_b64 s[14:15], s[14:15], 1
	s_add_u32 s24, s24, s14
	s_addc_u32 s17, s25, s15
	s_and_b64 s[14:15], s[8:9], exec
	s_cselect_b32 s28, s26, s20
	s_cselect_b32 s14, s27, s21
	v_lshlrev_b32_e32 v2, 4, v0
	s_and_b32 s25, s17, 0xffff
	s_mov_b32 s26, s30
	s_mov_b32 s27, s31
	s_and_b32 s29, s14, 0xffff
	buffer_load_dwordx4 v[14:17], v2, s[24:27], 0 offen glc slc
	buffer_load_dwordx4 v[10:13], v2, s[28:31], 0 offen
.LBB368_3:
	s_or_b64 exec, exec, s[2:3]
	s_load_dwordx4 s[24:27], s[4:5], 0x7c
	s_and_b64 vcc, exec, s[22:23]
	s_cbranch_vccz .LBB368_7
; %bb.4:
	s_mov_b32 s36, 0
	s_mov_b32 s37, s36
	;; [unrolled: 1-line block ×8, first 2 shown]
	v_pk_mov_b32 v[2:3], s[36:37], s[36:37] op_sel:[0,1]
	v_pk_mov_b32 v[4:5], s[38:39], s[38:39] op_sel:[0,1]
	;; [unrolled: 1-line block ×4, first 2 shown]
	s_and_saveexec_b64 s[2:3], s[0:1]
	s_cbranch_execz .LBB368_6
; %bb.5:
	s_waitcnt vmcnt(1)
	v_cvt_f32_u32_sdwa v3, v14 dst_sel:DWORD dst_unused:UNUSED_PAD src0_sel:WORD_1
	v_cvt_f32_u32_sdwa v2, v14 dst_sel:DWORD dst_unused:UNUSED_PAD src0_sel:WORD_0
	v_cvt_f32_u32_sdwa v5, v15 dst_sel:DWORD dst_unused:UNUSED_PAD src0_sel:WORD_1
	v_cvt_f32_u32_sdwa v4, v15 dst_sel:DWORD dst_unused:UNUSED_PAD src0_sel:WORD_0
	;; [unrolled: 2-line block ×4, first 2 shown]
.LBB368_6:
	s_or_b64 exec, exec, s[2:3]
	s_cbranch_execz .LBB368_8
	s_branch .LBB368_11
.LBB368_7:
                                        ; implicit-def: $vgpr2_vgpr3_vgpr4_vgpr5_vgpr6_vgpr7_vgpr8_vgpr9
.LBB368_8:
	s_mov_b32 s36, 0
	s_mov_b32 s37, s36
	;; [unrolled: 1-line block ×8, first 2 shown]
	v_pk_mov_b32 v[2:3], s[36:37], s[36:37] op_sel:[0,1]
	v_pk_mov_b32 v[4:5], s[38:39], s[38:39] op_sel:[0,1]
	;; [unrolled: 1-line block ×4, first 2 shown]
	s_and_saveexec_b64 s[2:3], s[0:1]
	s_cbranch_execz .LBB368_10
; %bb.9:
	s_load_dwordx2 s[14:15], s[4:5], 0x38
	s_mul_hi_i32 s29, s19, s6
	s_mul_i32 s28, s19, s6
	s_lshl_b64 s[28:29], s[28:29], 1
	s_mov_b32 s31, 0x20000
	s_waitcnt lgkmcnt(0)
	s_add_u32 s28, s14, s28
	s_addc_u32 s14, s15, s29
	s_and_b32 s29, s14, 0xffff
	v_lshlrev_b32_e32 v26, 4, v0
	buffer_load_dwordx4 v[2:5], v26, s[28:31], 0 offen glc slc
	s_load_dwordx2 s[14:15], s[4:5], 0x20
	s_waitcnt vmcnt(2)
	v_cvt_f32_u32_sdwa v7, v14 dst_sel:DWORD dst_unused:UNUSED_PAD src0_sel:WORD_1
	v_cvt_f32_u32_sdwa v6, v14 dst_sel:DWORD dst_unused:UNUSED_PAD src0_sel:WORD_0
	v_cvt_f32_u32_sdwa v9, v15 dst_sel:DWORD dst_unused:UNUSED_PAD src0_sel:WORD_1
	v_cvt_f32_u32_sdwa v8, v15 dst_sel:DWORD dst_unused:UNUSED_PAD src0_sel:WORD_0
	;; [unrolled: 2-line block ×4, first 2 shown]
	s_mul_hi_i32 s27, s26, s6
	s_mul_i32 s26, s26, s6
	s_lshl_b64 s[26:27], s[26:27], 1
	s_waitcnt lgkmcnt(0)
	s_add_u32 s28, s14, s26
	s_mov_b32 s17, 0x7060302
	s_addc_u32 s14, s15, s27
	s_and_b32 s29, s14, 0xffff
	s_waitcnt vmcnt(0)
	v_cvt_f32_u32_sdwa v17, v2 dst_sel:DWORD dst_unused:UNUSED_PAD src0_sel:WORD_1
	v_cvt_f32_u32_sdwa v16, v2 dst_sel:DWORD dst_unused:UNUSED_PAD src0_sel:WORD_0
	v_cvt_f32_u32_sdwa v21, v3 dst_sel:DWORD dst_unused:UNUSED_PAD src0_sel:WORD_1
	v_cvt_f32_u32_sdwa v20, v3 dst_sel:DWORD dst_unused:UNUSED_PAD src0_sel:WORD_0
	;; [unrolled: 2-line block ×4, first 2 shown]
	v_pk_add_f32 v[2:3], v[6:7], v[16:17]
	v_pk_add_f32 v[4:5], v[8:9], v[20:21]
	;; [unrolled: 1-line block ×4, first 2 shown]
	v_perm_b32 v17, v9, v8, s17
	v_perm_b32 v16, v7, v6, s17
	;; [unrolled: 1-line block ×4, first 2 shown]
	buffer_store_dwordx4 v[14:17], v26, s[28:31], 0 offen glc slc
	;;#ASMSTART
	s_nop 0
	;;#ASMEND
.LBB368_10:
	s_or_b64 exec, exec, s[2:3]
.LBB368_11:
	s_waitcnt vmcnt(1)
	v_mul_f32_e32 v14, v3, v3
	v_fmac_f32_e32 v14, v2, v2
	v_fmac_f32_e32 v14, v4, v4
	v_fmac_f32_e32 v14, v5, v5
	v_fmac_f32_e32 v14, v6, v6
	v_fmac_f32_e32 v14, v7, v7
	v_fmac_f32_e32 v14, v8, v8
	v_fmac_f32_e32 v14, v9, v9
	v_and_b32_e32 v16, 63, v0
	v_cmp_eq_u32_e64 s[2:3], 63, v16
	v_mov_b32_dpp v15, v14 quad_perm:[1,0,3,2] row_mask:0xf bank_mask:0xf
	v_add_f32_e32 v14, v14, v15
	s_nop 1
	v_mov_b32_dpp v15, v14 quad_perm:[2,3,0,1] row_mask:0xf bank_mask:0xf
	v_add_f32_e32 v14, v14, v15
	s_nop 1
	v_mov_b32_dpp v15, v14 row_half_mirror row_mask:0xf bank_mask:0xf
	v_add_f32_e32 v14, v14, v15
	s_nop 1
	v_mov_b32_dpp v15, v14 row_mirror row_mask:0xf bank_mask:0xf
	v_add_f32_e32 v14, v14, v15
	s_nop 1
	v_mov_b32_dpp v15, v14 row_bcast:15 row_mask:0xf bank_mask:0xf
	v_add_f32_e32 v14, v14, v15
	s_nop 1
	v_mov_b32_dpp v15, v14 row_bcast:31 row_mask:0xf bank_mask:0xf
	s_and_saveexec_b64 s[14:15], s[2:3]
	s_cbranch_execz .LBB368_13
; %bb.12:
	v_add_f32_e32 v14, v14, v15
	v_lshrrev_b32_e32 v15, 4, v0
	v_and_b32_e32 v15, 60, v15
	ds_write_b32 v15, v14 offset:8
.LBB368_13:
	s_or_b64 exec, exec, s[14:15]
	v_and_b32_e32 v14, 1, v0
	v_lshlrev_b32_e32 v14, 2, v14
	s_waitcnt lgkmcnt(0)
	s_barrier
	ds_read_b32 v15, v14 offset:8
	s_load_dwordx2 s[14:15], s[4:5], 0x18
	s_waitcnt lgkmcnt(0)
	v_mov_b32_dpp v16, v15 quad_perm:[1,0,3,2] row_mask:0xf bank_mask:0xf
	s_and_saveexec_b64 s[26:27], s[0:1]
	s_cbranch_execnz .LBB368_18
; %bb.14:
	s_or_b64 exec, exec, s[26:27]
	s_mov_b64 s[8:9], -1
	s_and_b64 vcc, exec, s[22:23]
	s_cbranch_vccnz .LBB368_19
.LBB368_15:
	s_andn2_b64 vcc, exec, s[8:9]
	s_cbranch_vccz .LBB368_22
.LBB368_16:
	s_cmp_lt_i32 s16, 1
	s_cbranch_scc0 .LBB368_25
.LBB368_17:
	s_endpgm
.LBB368_18:
	v_cvt_f32_u32_e32 v17, s7
	v_add_f32_e32 v15, v15, v16
	v_mov_b32_e32 v19, s13
	v_mov_b32_e32 v20, s12
	v_div_scale_f32 v16, s[28:29], v17, v17, v15
	v_rcp_f32_e32 v18, v16
	v_cndmask_b32_e64 v19, v19, v20, s[8:9]
	s_mov_b32 s7, 0x800000
	v_fma_f32 v20, -v16, v18, 1.0
	v_fmac_f32_e32 v18, v20, v18
	v_div_scale_f32 v20, vcc, v15, v17, v15
	v_mul_f32_e32 v21, v20, v18
	v_fma_f32 v22, -v16, v21, v20
	v_fmac_f32_e32 v21, v22, v18
	v_fma_f32 v16, -v16, v21, v20
	v_div_fmas_f32 v16, v16, v18, v21
	v_div_fixup_f32 v15, v16, v17, v15
	v_add_f32_e32 v15, v19, v15
	v_mul_f32_e32 v16, 0x4b800000, v15
	v_cmp_gt_f32_e32 vcc, s7, v15
	v_cndmask_b32_e32 v15, v15, v16, vcc
	v_rsq_f32_e32 v15, v15
	s_waitcnt vmcnt(0)
	v_cvt_f32_u32_sdwa v19, v11 dst_sel:DWORD dst_unused:UNUSED_PAD src0_sel:WORD_1
	v_cvt_f32_u32_sdwa v18, v11 dst_sel:DWORD dst_unused:UNUSED_PAD src0_sel:WORD_0
	v_cvt_f32_u32_sdwa v11, v12 dst_sel:DWORD dst_unused:UNUSED_PAD src0_sel:WORD_1
	v_mul_f32_e32 v16, 0x45800000, v15
	v_cndmask_b32_e32 v16, v15, v16, vcc
	v_mov_b32_e32 v17, v16
	;;#ASMSTART
	v_pk_mul_f32 v[2:3], v[2:3], v[16:17]
	;;#ASMEND
	;;#ASMSTART
	v_pk_mul_f32 v[4:5], v[4:5], v[16:17]
	;;#ASMEND
	;; [unrolled: 3-line block ×4, first 2 shown]
	v_cvt_f32_u32_sdwa v17, v10 dst_sel:DWORD dst_unused:UNUSED_PAD src0_sel:WORD_1
	v_cvt_f32_u32_sdwa v16, v10 dst_sel:DWORD dst_unused:UNUSED_PAD src0_sel:WORD_0
	v_cvt_f32_u32_sdwa v10, v12 dst_sel:DWORD dst_unused:UNUSED_PAD src0_sel:WORD_0
	v_cvt_f32_u32_sdwa v21, v13 dst_sel:DWORD dst_unused:UNUSED_PAD src0_sel:WORD_1
	v_cvt_f32_u32_sdwa v20, v13 dst_sel:DWORD dst_unused:UNUSED_PAD src0_sel:WORD_0
	;;#ASMSTART
	v_pk_mul_f32 v[2:3], v[2:3], v[16:17]
	;;#ASMEND
	;;#ASMSTART
	v_pk_mul_f32 v[4:5], v[4:5], v[18:19]
	;;#ASMEND
	;; [unrolled: 3-line block ×4, first 2 shown]
	s_or_b64 exec, exec, s[26:27]
	s_mov_b64 s[8:9], -1
	s_and_b64 vcc, exec, s[22:23]
	s_cbranch_vccz .LBB368_15
.LBB368_19:
	s_and_saveexec_b64 s[8:9], s[0:1]
	s_cbranch_execz .LBB368_21
; %bb.20:
	s_mul_hi_i32 s23, s25, s6
	s_mul_i32 s22, s25, s6
	s_lshl_b64 s[22:23], s[22:23], 1
	s_add_u32 s28, s14, s22
	s_addc_u32 s7, s15, s23
	s_and_b32 s29, s7, 0xffff
	s_mov_b32 s7, 0x7060302
	s_mov_b32 s31, 0x20000
	s_waitcnt vmcnt(0)
	v_perm_b32 v10, v3, v2, s7
	v_perm_b32 v11, v5, v4, s7
	;; [unrolled: 1-line block ×4, first 2 shown]
	v_lshlrev_b32_e32 v15, 4, v0
	buffer_store_dwordx4 v[10:13], v15, s[28:31], 0 offen
	;;#ASMSTART
	s_nop 0
	;;#ASMEND
.LBB368_21:
	s_or_b64 exec, exec, s[8:9]
	s_cbranch_execnz .LBB368_16
.LBB368_22:
	s_and_saveexec_b64 s[8:9], s[0:1]
	s_cbranch_execz .LBB368_24
; %bb.23:
	s_load_dwordx2 s[0:1], s[4:5], 0x10
	s_mul_hi_i32 s23, s24, s6
	s_mul_i32 s22, s24, s6
	s_lshl_b64 s[22:23], s[22:23], 1
	s_mov_b32 s31, 0x20000
	s_waitcnt lgkmcnt(0)
	s_add_u32 s28, s0, s22
	s_addc_u32 s0, s1, s23
	s_and_b32 s29, s0, 0xffff
	s_mov_b32 s0, 0x7060302
	v_perm_b32 v2, v3, v2, s0
	v_perm_b32 v3, v5, v4, s0
	;; [unrolled: 1-line block ×4, first 2 shown]
	v_lshlrev_b32_e32 v6, 4, v0
	buffer_store_dwordx4 v[2:5], v6, s[28:31], 0 offen
	;;#ASMSTART
	s_nop 0
	;;#ASMEND
.LBB368_24:
	s_or_b64 exec, exec, s[8:9]
	s_cmp_lt_i32 s16, 1
	s_cbranch_scc1 .LBB368_17
.LBB368_25:
	s_load_dword s0, s[4:5], 0x94
	s_waitcnt lgkmcnt(0)
	s_cmp_lg_u32 s0, 1
	s_cbranch_scc1 .LBB368_17
; %bb.26:
	s_lshl_b32 s0, s16, 1
	s_add_i32 s0, s0, 2
	v_cmp_gt_u32_e32 vcc, s16, v1
	s_and_b32 s22, s0, -4
	v_mov_b32_e32 v6, 0
	v_lshlrev_b32_e32 v1, 4, v0
	v_mov_b32_e32 v7, 0
	v_mov_b32_e32 v8, 0
	;; [unrolled: 1-line block ×7, first 2 shown]
	s_barrier
	s_and_saveexec_b64 s[0:1], vcc
	s_cbranch_execz .LBB368_28
; %bb.27:
	s_mul_hi_i32 s5, s18, s6
	s_mul_i32 s4, s18, s6
	s_and_b32 s21, s21, 0xffff
	s_lshl_b64 s[4:5], s[4:5], 1
	s_add_u32 s8, s10, s4
	s_mov_b32 s23, 0x20000
	s_addc_u32 s4, s11, s5
	s_and_b32 s9, s4, 0xffff
	s_mov_b32 s10, s22
	s_mov_b32 s11, s23
	buffer_load_dwordx4 v[6:9], v1, s[8:11], 0 offen glc slc
	buffer_load_dwordx4 v[2:5], v1, s[20:23], 0 offen
.LBB368_28:
	s_or_b64 exec, exec, s[0:1]
	s_waitcnt vmcnt(0)
	v_cvt_f32_u32_sdwa v13, v6 dst_sel:DWORD dst_unused:UNUSED_PAD src0_sel:WORD_1
	v_cvt_f32_u32_sdwa v12, v6 dst_sel:DWORD dst_unused:UNUSED_PAD src0_sel:WORD_0
	v_cvt_f32_u32_sdwa v6, v9 dst_sel:DWORD dst_unused:UNUSED_PAD src0_sel:WORD_1
	v_cvt_f32_u32_sdwa v9, v9 dst_sel:DWORD dst_unused:UNUSED_PAD src0_sel:WORD_0
	;; [unrolled: 2-line block ×4, first 2 shown]
	v_cndmask_b32_e32 v13, 0, v13, vcc
	v_cndmask_b32_e32 v7, 0, v6, vcc
	;; [unrolled: 1-line block ×5, first 2 shown]
	v_mul_f32_e32 v15, v13, v13
	v_cndmask_b32_e32 v10, 0, v10, vcc
	v_fmac_f32_e32 v15, v12, v12
	v_cndmask_b32_e32 v11, 0, v11, vcc
	v_fmac_f32_e32 v15, v10, v10
	;; [unrolled: 2-line block ×3, first 2 shown]
	v_fmac_f32_e32 v15, v8, v8
	v_fmac_f32_e32 v15, v9, v9
	;; [unrolled: 1-line block ×4, first 2 shown]
	s_nop 1
	v_mov_b32_dpp v16, v15 quad_perm:[1,0,3,2] row_mask:0xf bank_mask:0xf
	v_add_f32_e32 v15, v15, v16
	s_nop 1
	v_mov_b32_dpp v16, v15 quad_perm:[2,3,0,1] row_mask:0xf bank_mask:0xf
	v_add_f32_e32 v15, v15, v16
	s_nop 1
	v_mov_b32_dpp v16, v15 row_half_mirror row_mask:0xf bank_mask:0xf
	v_add_f32_e32 v15, v15, v16
	s_nop 1
	v_mov_b32_dpp v16, v15 row_mirror row_mask:0xf bank_mask:0xf
	v_add_f32_e32 v15, v15, v16
	s_nop 1
	v_mov_b32_dpp v16, v15 row_bcast:15 row_mask:0xf bank_mask:0xf
	v_add_f32_e32 v15, v15, v16
	s_nop 1
	v_mov_b32_dpp v16, v15 row_bcast:31 row_mask:0xf bank_mask:0xf
	s_and_saveexec_b64 s[0:1], s[2:3]
	s_cbranch_execz .LBB368_30
; %bb.29:
	v_lshrrev_b32_e32 v0, 4, v0
	v_add_f32_e32 v15, v15, v16
	v_and_b32_e32 v0, 60, v0
	ds_write_b32 v0, v15
.LBB368_30:
	s_or_b64 exec, exec, s[0:1]
	s_waitcnt lgkmcnt(0)
	s_barrier
	ds_read_b32 v0, v14
	s_waitcnt lgkmcnt(0)
	s_nop 0
	v_mov_b32_dpp v14, v0 quad_perm:[1,0,3,2] row_mask:0xf bank_mask:0xf
	s_and_saveexec_b64 s[0:1], vcc
	s_cbranch_execz .LBB368_17
; %bb.31:
	v_cvt_f32_u32_e32 v15, s16
	v_add_f32_e32 v0, v0, v14
	s_mov_b32 s23, 0x20000
	v_div_scale_f32 v14, s[0:1], v15, v15, v0
	v_rcp_f32_e32 v16, v14
	v_div_scale_f32 v17, vcc, v0, v15, v0
	s_mov_b32 s0, 0x800000
	v_fma_f32 v18, -v14, v16, 1.0
	v_fmac_f32_e32 v16, v18, v16
	v_mul_f32_e32 v18, v17, v16
	v_fma_f32 v19, -v14, v18, v17
	v_fmac_f32_e32 v18, v19, v16
	v_fma_f32 v14, -v14, v18, v17
	v_div_fmas_f32 v14, v14, v16, v18
	v_div_fixup_f32 v0, v14, v15, v0
	v_add_f32_e32 v0, s13, v0
	v_mul_f32_e32 v14, 0x4b800000, v0
	v_cmp_gt_f32_e32 vcc, s0, v0
	v_cndmask_b32_e32 v0, v0, v14, vcc
	v_rsq_f32_e32 v0, v0
	s_mul_hi_i32 s1, s25, s6
	s_mul_i32 s0, s25, s6
	s_lshl_b64 s[0:1], s[0:1], 1
	v_mul_f32_e32 v14, 0x45800000, v0
	v_cndmask_b32_e32 v14, v0, v14, vcc
	s_add_u32 s20, s14, s0
	v_mov_b32_e32 v15, v14
	s_addc_u32 s0, s15, s1
	;;#ASMSTART
	v_pk_mul_f32 v[12:13], v[12:13], v[14:15]
	;;#ASMEND
	;;#ASMSTART
	v_pk_mul_f32 v[10:11], v[10:11], v[14:15]
	;;#ASMEND
	;; [unrolled: 3-line block ×4, first 2 shown]
	v_cvt_f32_u32_sdwa v15, v2 dst_sel:DWORD dst_unused:UNUSED_PAD src0_sel:WORD_1
	v_cvt_f32_u32_sdwa v14, v2 dst_sel:DWORD dst_unused:UNUSED_PAD src0_sel:WORD_0
	v_cvt_f32_u32_sdwa v17, v3 dst_sel:DWORD dst_unused:UNUSED_PAD src0_sel:WORD_1
	v_cvt_f32_u32_sdwa v16, v3 dst_sel:DWORD dst_unused:UNUSED_PAD src0_sel:WORD_0
	;; [unrolled: 2-line block ×4, first 2 shown]
	;;#ASMSTART
	v_pk_mul_f32 v[4:5], v[12:13], v[14:15]
	;;#ASMEND
	s_and_b32 s21, s0, 0xffff
	s_mov_b32 s0, 0x7060302
	;;#ASMSTART
	v_pk_mul_f32 v[10:11], v[10:11], v[16:17]
	;;#ASMEND
	;;#ASMSTART
	v_pk_mul_f32 v[8:9], v[8:9], v[2:3]
	;;#ASMEND
	;; [unrolled: 3-line block ×3, first 2 shown]
	v_perm_b32 v2, v5, v4, s0
	v_perm_b32 v3, v11, v10, s0
	v_perm_b32 v4, v9, v8, s0
	v_perm_b32 v5, v7, v6, s0
	buffer_store_dwordx4 v[2:5], v1, s[20:23], 0 offen
	;;#ASMSTART
	s_nop 0
	;;#ASMEND
	s_endpgm
	.section	.rodata,"a",@progbits
	.p2align	6, 0x0
	.amdhsa_kernel _ZN5aiter35fused_qk_rmsnorm_group_quant_kernelItN4opus5fp4_tELi128ELi8ELi8ELb1ELb1ELb0ELb1ELb0ELb0EEEvPT0_PvPT_S7_S7_PKS6_S9_S9_S9_S9_ffiiiiiiiiiiiii
		.amdhsa_group_segment_fixed_size 16
		.amdhsa_private_segment_fixed_size 0
		.amdhsa_kernarg_size 400
		.amdhsa_user_sgpr_count 6
		.amdhsa_user_sgpr_private_segment_buffer 1
		.amdhsa_user_sgpr_dispatch_ptr 0
		.amdhsa_user_sgpr_queue_ptr 0
		.amdhsa_user_sgpr_kernarg_segment_ptr 1
		.amdhsa_user_sgpr_dispatch_id 0
		.amdhsa_user_sgpr_flat_scratch_init 0
		.amdhsa_user_sgpr_kernarg_preload_length 0
		.amdhsa_user_sgpr_kernarg_preload_offset 0
		.amdhsa_user_sgpr_private_segment_size 0
		.amdhsa_uses_dynamic_stack 0
		.amdhsa_system_sgpr_private_segment_wavefront_offset 0
		.amdhsa_system_sgpr_workgroup_id_x 1
		.amdhsa_system_sgpr_workgroup_id_y 1
		.amdhsa_system_sgpr_workgroup_id_z 0
		.amdhsa_system_sgpr_workgroup_info 0
		.amdhsa_system_vgpr_workitem_id 0
		.amdhsa_next_free_vgpr 27
		.amdhsa_next_free_sgpr 44
		.amdhsa_accum_offset 28
		.amdhsa_reserve_vcc 1
		.amdhsa_reserve_flat_scratch 0
		.amdhsa_float_round_mode_32 0
		.amdhsa_float_round_mode_16_64 0
		.amdhsa_float_denorm_mode_32 3
		.amdhsa_float_denorm_mode_16_64 3
		.amdhsa_dx10_clamp 1
		.amdhsa_ieee_mode 1
		.amdhsa_fp16_overflow 0
		.amdhsa_tg_split 0
		.amdhsa_exception_fp_ieee_invalid_op 0
		.amdhsa_exception_fp_denorm_src 0
		.amdhsa_exception_fp_ieee_div_zero 0
		.amdhsa_exception_fp_ieee_overflow 0
		.amdhsa_exception_fp_ieee_underflow 0
		.amdhsa_exception_fp_ieee_inexact 0
		.amdhsa_exception_int_div_zero 0
	.end_amdhsa_kernel
	.section	.text._ZN5aiter35fused_qk_rmsnorm_group_quant_kernelItN4opus5fp4_tELi128ELi8ELi8ELb1ELb1ELb0ELb1ELb0ELb0EEEvPT0_PvPT_S7_S7_PKS6_S9_S9_S9_S9_ffiiiiiiiiiiiii,"axG",@progbits,_ZN5aiter35fused_qk_rmsnorm_group_quant_kernelItN4opus5fp4_tELi128ELi8ELi8ELb1ELb1ELb0ELb1ELb0ELb0EEEvPT0_PvPT_S7_S7_PKS6_S9_S9_S9_S9_ffiiiiiiiiiiiii,comdat
.Lfunc_end368:
	.size	_ZN5aiter35fused_qk_rmsnorm_group_quant_kernelItN4opus5fp4_tELi128ELi8ELi8ELb1ELb1ELb0ELb1ELb0ELb0EEEvPT0_PvPT_S7_S7_PKS6_S9_S9_S9_S9_ffiiiiiiiiiiiii, .Lfunc_end368-_ZN5aiter35fused_qk_rmsnorm_group_quant_kernelItN4opus5fp4_tELi128ELi8ELi8ELb1ELb1ELb0ELb1ELb0ELb0EEEvPT0_PvPT_S7_S7_PKS6_S9_S9_S9_S9_ffiiiiiiiiiiiii
                                        ; -- End function
	.section	.AMDGPU.csdata,"",@progbits
; Kernel info:
; codeLenInByte = 2420
; NumSgprs: 48
; NumVgprs: 27
; NumAgprs: 0
; TotalNumVgprs: 27
; ScratchSize: 0
; MemoryBound: 0
; FloatMode: 240
; IeeeMode: 1
; LDSByteSize: 16 bytes/workgroup (compile time only)
; SGPRBlocks: 5
; VGPRBlocks: 3
; NumSGPRsForWavesPerEU: 48
; NumVGPRsForWavesPerEU: 27
; AccumOffset: 28
; Occupancy: 8
; WaveLimiterHint : 0
; COMPUTE_PGM_RSRC2:SCRATCH_EN: 0
; COMPUTE_PGM_RSRC2:USER_SGPR: 6
; COMPUTE_PGM_RSRC2:TRAP_HANDLER: 0
; COMPUTE_PGM_RSRC2:TGID_X_EN: 1
; COMPUTE_PGM_RSRC2:TGID_Y_EN: 1
; COMPUTE_PGM_RSRC2:TGID_Z_EN: 0
; COMPUTE_PGM_RSRC2:TIDIG_COMP_CNT: 0
; COMPUTE_PGM_RSRC3_GFX90A:ACCUM_OFFSET: 6
; COMPUTE_PGM_RSRC3_GFX90A:TG_SPLIT: 0
	.section	.text._ZN5aiter35fused_qk_rmsnorm_group_quant_kernelIDF16_DB8_Li128ELi8ELi8ELb0ELb1ELb1ELb1ELb0ELb0EEEvPT0_PvPT_S6_S6_PKS5_S8_S8_S8_S8_ffiiiiiiiiiiiii,"axG",@progbits,_ZN5aiter35fused_qk_rmsnorm_group_quant_kernelIDF16_DB8_Li128ELi8ELi8ELb0ELb1ELb1ELb1ELb0ELb0EEEvPT0_PvPT_S6_S6_PKS5_S8_S8_S8_S8_ffiiiiiiiiiiiii,comdat
	.protected	_ZN5aiter35fused_qk_rmsnorm_group_quant_kernelIDF16_DB8_Li128ELi8ELi8ELb0ELb1ELb1ELb1ELb0ELb0EEEvPT0_PvPT_S6_S6_PKS5_S8_S8_S8_S8_ffiiiiiiiiiiiii ; -- Begin function _ZN5aiter35fused_qk_rmsnorm_group_quant_kernelIDF16_DB8_Li128ELi8ELi8ELb0ELb1ELb1ELb1ELb0ELb0EEEvPT0_PvPT_S6_S6_PKS5_S8_S8_S8_S8_ffiiiiiiiiiiiii
	.globl	_ZN5aiter35fused_qk_rmsnorm_group_quant_kernelIDF16_DB8_Li128ELi8ELi8ELb0ELb1ELb1ELb1ELb0ELb0EEEvPT0_PvPT_S6_S6_PKS5_S8_S8_S8_S8_ffiiiiiiiiiiiii
	.p2align	8
	.type	_ZN5aiter35fused_qk_rmsnorm_group_quant_kernelIDF16_DB8_Li128ELi8ELi8ELb0ELb1ELb1ELb1ELb0ELb0EEEvPT0_PvPT_S6_S6_PKS5_S8_S8_S8_S8_ffiiiiiiiiiiiii,@function
_ZN5aiter35fused_qk_rmsnorm_group_quant_kernelIDF16_DB8_Li128ELi8ELi8ELb0ELb1ELb1ELb1ELb0ELb0EEEvPT0_PvPT_S6_S6_PKS5_S8_S8_S8_S8_ffiiiiiiiiiiiii: ; @_ZN5aiter35fused_qk_rmsnorm_group_quant_kernelIDF16_DB8_Li128ELi8ELi8ELb0ELb1ELb1ELb1ELb0ELb0EEEvPT0_PvPT_S6_S6_PKS5_S8_S8_S8_S8_ffiiiiiiiiiiiii
; %bb.0:
	s_load_dwordx4 s[12:15], s[4:5], 0x50
	s_waitcnt lgkmcnt(0)
	s_cmp_ge_i32 s6, s14
	s_cbranch_scc1 .LBB369_12
; %bb.1:
	s_load_dwordx2 s[24:25], s[4:5], 0x30
	s_load_dwordx2 s[8:9], s[4:5], 0x48
	s_load_dwordx4 s[16:19], s[4:5], 0x60
	s_cmp_lg_u32 s7, 0
	s_cselect_b64 s[10:11], -1, 0
	s_cmp_eq_u32 s7, 0
	s_cselect_b64 vcc, -1, 0
	s_and_b64 s[0:1], vcc, exec
	s_waitcnt lgkmcnt(0)
	s_cselect_b32 s7, s15, s16
	s_add_i32 s0, s7, 1
	s_lshr_b32 s1, s0, 31
	s_add_i32 s0, s0, s1
	s_lshl_b32 s0, s0, 1
	v_lshlrev_b32_e32 v1, 3, v0
	s_and_b32 s22, s0, -4
	v_cmp_gt_i32_e64 s[2:3], s7, v1
	v_mov_b32_e32 v10, 0
	v_mov_b32_e32 v2, 0
	;; [unrolled: 1-line block ×9, first 2 shown]
	s_and_saveexec_b64 s[0:1], s[2:3]
	s_cbranch_execz .LBB369_3
; %bb.2:
	s_load_dwordx2 s[14:15], s[4:5], 0x28
	s_load_dwordx2 s[20:21], s[4:5], 0x40
	s_and_b64 s[26:27], vcc, exec
	s_cselect_b32 s17, s17, s18
	v_lshlrev_b32_e32 v11, 4, v0
	s_waitcnt lgkmcnt(0)
	s_cselect_b32 s19, s15, s25
	s_cselect_b32 s23, s14, s24
	s_mul_hi_i32 s15, s17, s6
	s_mul_i32 s14, s17, s6
	s_lshl_b64 s[14:15], s[14:15], 1
	s_add_u32 s28, s23, s14
	s_addc_u32 s17, s19, s15
	s_and_b64 s[14:15], vcc, exec
	s_mov_b32 s23, 0x20000
	s_cselect_b32 s20, s20, s8
	s_cselect_b32 s14, s21, s9
	s_and_b32 s29, s17, 0xffff
	s_mov_b32 s30, s22
	s_mov_b32 s31, s23
	s_and_b32 s21, s14, 0xffff
	buffer_load_dwordx4 v[6:9], v11, s[28:31], 0 offen glc slc
	buffer_load_dwordx4 v[2:5], v11, s[20:23], 0 offen
.LBB369_3:
	s_or_b64 exec, exec, s[0:1]
	v_mov_b32_e32 v11, 0
	v_mov_b32_e32 v14, 0
	;; [unrolled: 1-line block ×7, first 2 shown]
	s_and_saveexec_b64 s[0:1], s[2:3]
	s_cbranch_execz .LBB369_5
; %bb.4:
	s_waitcnt vmcnt(1)
	v_cvt_f32_f16_sdwa v11, v6 dst_sel:DWORD dst_unused:UNUSED_PAD src0_sel:WORD_1
	v_cvt_f32_f16_e32 v10, v6
	v_cvt_f32_f16_sdwa v15, v7 dst_sel:DWORD dst_unused:UNUSED_PAD src0_sel:WORD_1
	v_cvt_f32_f16_e32 v14, v7
	;; [unrolled: 2-line block ×4, first 2 shown]
.LBB369_5:
	s_or_b64 exec, exec, s[0:1]
	s_waitcnt vmcnt(1)
	v_mul_f32_e32 v6, v11, v11
	v_fmac_f32_e32 v6, v10, v10
	v_fmac_f32_e32 v6, v14, v14
	;; [unrolled: 1-line block ×7, first 2 shown]
	v_and_b32_e32 v8, 63, v0
	v_cmp_eq_u32_e64 s[0:1], 63, v8
	v_mov_b32_dpp v7, v6 quad_perm:[1,0,3,2] row_mask:0xf bank_mask:0xf
	v_add_f32_e32 v6, v6, v7
	s_nop 1
	v_mov_b32_dpp v7, v6 quad_perm:[2,3,0,1] row_mask:0xf bank_mask:0xf
	v_add_f32_e32 v6, v6, v7
	s_nop 1
	v_mov_b32_dpp v7, v6 row_half_mirror row_mask:0xf bank_mask:0xf
	v_add_f32_e32 v6, v6, v7
	s_nop 1
	v_mov_b32_dpp v7, v6 row_mirror row_mask:0xf bank_mask:0xf
	v_add_f32_e32 v6, v6, v7
	s_nop 1
	v_mov_b32_dpp v7, v6 row_bcast:15 row_mask:0xf bank_mask:0xf
	v_add_f32_e32 v6, v6, v7
	s_nop 1
	v_mov_b32_dpp v7, v6 row_bcast:31 row_mask:0xf bank_mask:0xf
	s_and_saveexec_b64 s[14:15], s[0:1]
	s_cbranch_execz .LBB369_7
; %bb.6:
	v_add_f32_e32 v6, v6, v7
	v_lshrrev_b32_e32 v7, 4, v0
	v_and_b32_e32 v7, 60, v7
	ds_write_b32 v7, v6 offset:8
.LBB369_7:
	s_or_b64 exec, exec, s[14:15]
	v_and_b32_e32 v6, 1, v0
	v_lshlrev_b32_e32 v18, 2, v6
	s_waitcnt lgkmcnt(0)
	s_barrier
	ds_read_b32 v6, v18 offset:8
	s_load_dwordx2 s[14:15], s[4:5], 0x18
	s_waitcnt lgkmcnt(0)
	v_mov_b32_dpp v7, v6 quad_perm:[1,0,3,2] row_mask:0xf bank_mask:0xf
	s_and_saveexec_b64 s[20:21], s[2:3]
	s_cbranch_execz .LBB369_9
; %bb.8:
	v_cvt_f32_u32_e32 v8, s7
	v_add_f32_e32 v6, v6, v7
	v_mov_b32_e32 v19, s13
	v_mov_b32_e32 v20, s12
	v_div_scale_f32 v7, s[26:27], v8, v8, v6
	v_rcp_f32_e32 v9, v7
	v_cndmask_b32_e32 v19, v19, v20, vcc
	s_mov_b32 s7, 0x800000
	v_fma_f32 v20, -v7, v9, 1.0
	v_fmac_f32_e32 v9, v20, v9
	v_div_scale_f32 v20, vcc, v6, v8, v6
	v_mul_f32_e32 v21, v20, v9
	v_fma_f32 v22, -v7, v21, v20
	v_fmac_f32_e32 v21, v22, v9
	v_fma_f32 v7, -v7, v21, v20
	v_div_fmas_f32 v7, v7, v9, v21
	v_div_fixup_f32 v6, v7, v8, v6
	v_add_f32_e32 v6, v19, v6
	v_mul_f32_e32 v7, 0x4b800000, v6
	v_cmp_gt_f32_e32 vcc, s7, v6
	v_cndmask_b32_e32 v6, v6, v7, vcc
	v_rsq_f32_e32 v6, v6
	s_waitcnt vmcnt(0)
	v_cvt_f32_f16_sdwa v21, v3 dst_sel:DWORD dst_unused:UNUSED_PAD src0_sel:WORD_1
	v_cvt_f32_f16_e32 v20, v3
	v_mul_f32_e32 v7, 0x45800000, v6
	v_cndmask_b32_e32 v6, v6, v7, vcc
	v_mov_b32_e32 v7, v6
	;;#ASMSTART
	v_pk_mul_f32 v[8:9], v[10:11], v[6:7]
	;;#ASMEND
	v_cvt_f32_f16_sdwa v11, v2 dst_sel:DWORD dst_unused:UNUSED_PAD src0_sel:WORD_1
	v_cvt_f32_f16_e32 v10, v2
	;;#ASMSTART
	v_pk_mul_f32 v[14:15], v[14:15], v[6:7]
	;;#ASMEND
	;;#ASMSTART
	v_pk_mul_f32 v[16:17], v[16:17], v[6:7]
	;;#ASMEND
	;; [unrolled: 3-line block ×3, first 2 shown]
	v_pk_add_f32 v[6:7], v[10:11], 1.0 op_sel_hi:[1,0]
	;;#ASMSTART
	v_pk_mul_f32 v[10:11], v[8:9], v[6:7]
	;;#ASMEND
	v_cvt_f32_f16_sdwa v9, v4 dst_sel:DWORD dst_unused:UNUSED_PAD src0_sel:WORD_1
	v_cvt_f32_f16_e32 v8, v4
	v_cvt_f32_f16_sdwa v13, v5 dst_sel:DWORD dst_unused:UNUSED_PAD src0_sel:WORD_1
	v_cvt_f32_f16_e32 v12, v5
	v_pk_add_f32 v[6:7], v[20:21], 1.0 op_sel_hi:[1,0]
	v_pk_add_f32 v[4:5], v[8:9], 1.0 op_sel_hi:[1,0]
	;;#ASMSTART
	v_pk_mul_f32 v[14:15], v[14:15], v[6:7]
	;;#ASMEND
	;;#ASMSTART
	v_pk_mul_f32 v[16:17], v[16:17], v[4:5]
	;;#ASMEND
	v_pk_add_f32 v[4:5], v[12:13], 1.0 op_sel_hi:[1,0]
	;;#ASMSTART
	v_pk_mul_f32 v[12:13], v[2:3], v[4:5]
	;;#ASMEND
.LBB369_9:
	s_or_b64 exec, exec, s[20:21]
	s_load_dwordx2 s[26:27], s[4:5], 0x7c
	s_mov_b64 s[20:21], -1
	s_and_b64 vcc, exec, s[10:11]
	s_cbranch_vccnz .LBB369_13
; %bb.10:
	s_andn2_b64 vcc, exec, s[20:21]
	s_cbranch_vccz .LBB369_16
.LBB369_11:
	s_cmp_lt_i32 s16, 1
	s_cbranch_scc0 .LBB369_19
.LBB369_12:
	s_endpgm
.LBB369_13:
	s_and_saveexec_b64 s[10:11], s[2:3]
	s_cbranch_execz .LBB369_15
; %bb.14:
	s_waitcnt lgkmcnt(0)
	s_mul_hi_i32 s21, s27, s6
	s_mul_i32 s20, s27, s6
	s_waitcnt vmcnt(0)
	v_cvt_f16_f32_e32 v2, v10
	v_cvt_f16_f32_e32 v3, v14
	;; [unrolled: 1-line block ×8, first 2 shown]
	s_lshl_b64 s[20:21], s[20:21], 1
	s_add_u32 s20, s14, s20
	s_addc_u32 s7, s15, s21
	s_and_b32 s21, s7, 0xffff
	s_mov_b32 s23, 0x20000
	v_pack_b32_f16 v5, v5, v6
	v_pack_b32_f16 v4, v4, v7
	;; [unrolled: 1-line block ×4, first 2 shown]
	v_lshlrev_b32_e32 v6, 4, v0
	buffer_store_dwordx4 v[2:5], v6, s[20:23], 0 offen
	;;#ASMSTART
	s_nop 0
	;;#ASMEND
.LBB369_15:
	s_or_b64 exec, exec, s[10:11]
	s_cbranch_execnz .LBB369_11
.LBB369_16:
	s_and_saveexec_b64 s[10:11], s[2:3]
	s_cbranch_execz .LBB369_18
; %bb.17:
	s_load_dwordx2 s[2:3], s[4:5], 0x10
	s_waitcnt lgkmcnt(0)
	s_mul_hi_i32 s21, s26, s6
	s_mul_i32 s20, s26, s6
	s_waitcnt vmcnt(0)
	v_cvt_f16_f32_e32 v2, v10
	v_cvt_f16_f32_e32 v3, v14
	;; [unrolled: 1-line block ×8, first 2 shown]
	s_lshl_b64 s[20:21], s[20:21], 1
	s_add_u32 s20, s2, s20
	s_addc_u32 s2, s3, s21
	s_mov_b32 s23, 0x20000
	s_and_b32 s21, s2, 0xffff
	v_pack_b32_f16 v5, v5, v6
	v_pack_b32_f16 v4, v4, v7
	;; [unrolled: 1-line block ×4, first 2 shown]
	v_lshlrev_b32_e32 v6, 4, v0
	buffer_store_dwordx4 v[2:5], v6, s[20:23], 0 offen
	;;#ASMSTART
	s_nop 0
	;;#ASMEND
.LBB369_18:
	s_or_b64 exec, exec, s[10:11]
	s_cmp_lt_i32 s16, 1
	s_cbranch_scc1 .LBB369_12
.LBB369_19:
	s_load_dword s2, s[4:5], 0x94
	s_waitcnt lgkmcnt(0)
	s_cmp_lg_u32 s2, 1
	s_cbranch_scc1 .LBB369_12
; %bb.20:
	s_lshl_b32 s2, s16, 1
	s_add_i32 s2, s2, 2
	v_cmp_gt_u32_e32 vcc, s16, v1
	s_and_b32 s10, s2, -4
	v_mov_b32_e32 v10, 0
	v_lshlrev_b32_e32 v1, 4, v0
	v_mov_b32_e32 v6, 0
	v_mov_b32_e32 v7, 0
	;; [unrolled: 1-line block ×4, first 2 shown]
	s_waitcnt vmcnt(0)
	v_mov_b32_e32 v2, 0
	v_mov_b32_e32 v3, 0
	;; [unrolled: 1-line block ×4, first 2 shown]
	s_barrier
	s_and_saveexec_b64 s[2:3], vcc
	s_cbranch_execz .LBB369_22
; %bb.21:
	s_mul_hi_i32 s5, s18, s6
	s_mul_i32 s4, s18, s6
	s_and_b32 s9, s9, 0xffff
	s_lshl_b64 s[4:5], s[4:5], 1
	s_add_u32 s20, s24, s4
	s_mov_b32 s11, 0x20000
	s_addc_u32 s4, s25, s5
	s_and_b32 s21, s4, 0xffff
	s_mov_b32 s22, s10
	s_mov_b32 s23, s11
	buffer_load_dwordx4 v[6:9], v1, s[20:23], 0 offen glc slc
	buffer_load_dwordx4 v[2:5], v1, s[8:11], 0 offen
.LBB369_22:
	s_or_b64 exec, exec, s[2:3]
	v_mov_b32_e32 v11, 0
	v_mov_b32_e32 v16, 0
	;; [unrolled: 1-line block ×7, first 2 shown]
	s_and_saveexec_b64 s[2:3], vcc
	s_cbranch_execz .LBB369_24
; %bb.23:
	s_waitcnt vmcnt(1)
	v_cvt_f32_f16_sdwa v11, v6 dst_sel:DWORD dst_unused:UNUSED_PAD src0_sel:WORD_1
	v_cvt_f32_f16_e32 v10, v6
	v_cvt_f32_f16_sdwa v17, v7 dst_sel:DWORD dst_unused:UNUSED_PAD src0_sel:WORD_1
	v_cvt_f32_f16_e32 v16, v7
	;; [unrolled: 2-line block ×4, first 2 shown]
.LBB369_24:
	s_or_b64 exec, exec, s[2:3]
	s_waitcnt vmcnt(1)
	v_mul_f32_e32 v6, v11, v11
	v_fmac_f32_e32 v6, v10, v10
	v_fmac_f32_e32 v6, v16, v16
	;; [unrolled: 1-line block ×7, first 2 shown]
	s_nop 1
	v_mov_b32_dpp v7, v6 quad_perm:[1,0,3,2] row_mask:0xf bank_mask:0xf
	v_add_f32_e32 v6, v6, v7
	s_nop 1
	v_mov_b32_dpp v7, v6 quad_perm:[2,3,0,1] row_mask:0xf bank_mask:0xf
	v_add_f32_e32 v6, v6, v7
	s_nop 1
	v_mov_b32_dpp v7, v6 row_half_mirror row_mask:0xf bank_mask:0xf
	v_add_f32_e32 v6, v6, v7
	s_nop 1
	v_mov_b32_dpp v7, v6 row_mirror row_mask:0xf bank_mask:0xf
	v_add_f32_e32 v6, v6, v7
	s_nop 1
	v_mov_b32_dpp v7, v6 row_bcast:15 row_mask:0xf bank_mask:0xf
	v_add_f32_e32 v6, v6, v7
	s_nop 1
	v_mov_b32_dpp v7, v6 row_bcast:31 row_mask:0xf bank_mask:0xf
	s_and_saveexec_b64 s[2:3], s[0:1]
	s_cbranch_execz .LBB369_26
; %bb.25:
	v_lshrrev_b32_e32 v0, 4, v0
	v_add_f32_e32 v6, v6, v7
	v_and_b32_e32 v0, 60, v0
	ds_write_b32 v0, v6
.LBB369_26:
	s_or_b64 exec, exec, s[2:3]
	s_waitcnt lgkmcnt(0)
	s_barrier
	ds_read_b32 v0, v18
	s_waitcnt lgkmcnt(0)
	s_nop 0
	v_mov_b32_dpp v6, v0 quad_perm:[1,0,3,2] row_mask:0xf bank_mask:0xf
	s_and_saveexec_b64 s[0:1], vcc
	s_cbranch_execz .LBB369_12
; %bb.27:
	v_cvt_f32_u32_e32 v7, s16
	v_add_f32_e32 v0, v0, v6
	s_mov_b32 s11, 0x20000
	v_div_scale_f32 v6, s[0:1], v7, v7, v0
	v_rcp_f32_e32 v8, v6
	v_div_scale_f32 v9, vcc, v0, v7, v0
	s_mov_b32 s0, 0x800000
	v_fma_f32 v18, -v6, v8, 1.0
	v_fmac_f32_e32 v8, v18, v8
	v_mul_f32_e32 v18, v9, v8
	v_fma_f32 v19, -v6, v18, v9
	v_fmac_f32_e32 v18, v19, v8
	v_fma_f32 v6, -v6, v18, v9
	v_div_fmas_f32 v6, v6, v8, v18
	v_div_fixup_f32 v0, v6, v7, v0
	v_add_f32_e32 v0, s13, v0
	v_mul_f32_e32 v6, 0x4b800000, v0
	v_cmp_gt_f32_e32 vcc, s0, v0
	v_cndmask_b32_e32 v0, v0, v6, vcc
	v_rsq_f32_e32 v0, v0
	s_waitcnt vmcnt(0)
	v_cvt_f32_f16_sdwa v19, v3 dst_sel:DWORD dst_unused:UNUSED_PAD src0_sel:WORD_1
	v_cvt_f32_f16_e32 v18, v3
	s_mul_hi_i32 s1, s27, s6
	v_mul_f32_e32 v6, 0x45800000, v0
	v_cndmask_b32_e32 v6, v0, v6, vcc
	v_mov_b32_e32 v7, v6
	;;#ASMSTART
	v_pk_mul_f32 v[8:9], v[10:11], v[6:7]
	;;#ASMEND
	;;#ASMSTART
	v_pk_mul_f32 v[10:11], v[16:17], v[6:7]
	;;#ASMEND
	v_cvt_f32_f16_sdwa v17, v2 dst_sel:DWORD dst_unused:UNUSED_PAD src0_sel:WORD_1
	v_cvt_f32_f16_e32 v16, v2
	;;#ASMSTART
	v_pk_mul_f32 v[14:15], v[14:15], v[6:7]
	;;#ASMEND
	;;#ASMSTART
	v_pk_mul_f32 v[2:3], v[12:13], v[6:7]
	;;#ASMEND
	v_cvt_f32_f16_sdwa v13, v4 dst_sel:DWORD dst_unused:UNUSED_PAD src0_sel:WORD_1
	v_cvt_f32_f16_e32 v12, v4
	v_pk_add_f32 v[6:7], v[16:17], 1.0 op_sel_hi:[1,0]
	v_cvt_f32_f16_sdwa v17, v5 dst_sel:DWORD dst_unused:UNUSED_PAD src0_sel:WORD_1
	v_cvt_f32_f16_e32 v16, v5
	;;#ASMSTART
	v_pk_mul_f32 v[6:7], v[8:9], v[6:7]
	;;#ASMEND
	v_pk_add_f32 v[8:9], v[18:19], 1.0 op_sel_hi:[1,0]
	;;#ASMSTART
	v_pk_mul_f32 v[4:5], v[10:11], v[8:9]
	;;#ASMEND
	v_pk_add_f32 v[8:9], v[12:13], 1.0 op_sel_hi:[1,0]
	;; [unrolled: 4-line block ×3, first 2 shown]
	;;#ASMSTART
	v_pk_mul_f32 v[2:3], v[2:3], v[10:11]
	;;#ASMEND
	s_mul_i32 s0, s27, s6
	v_cvt_f16_f32_e32 v0, v6
	v_cvt_f16_f32_e32 v6, v7
	;; [unrolled: 1-line block ×8, first 2 shown]
	s_lshl_b64 s[0:1], s[0:1], 1
	s_add_u32 s8, s14, s0
	s_addc_u32 s0, s15, s1
	s_and_b32 s9, s0, 0xffff
	v_pack_b32_f16 v2, v0, v6
	v_pack_b32_f16 v3, v4, v5
	;; [unrolled: 1-line block ×4, first 2 shown]
	buffer_store_dwordx4 v[2:5], v1, s[8:11], 0 offen
	;;#ASMSTART
	s_nop 0
	;;#ASMEND
	s_endpgm
	.section	.rodata,"a",@progbits
	.p2align	6, 0x0
	.amdhsa_kernel _ZN5aiter35fused_qk_rmsnorm_group_quant_kernelIDF16_DB8_Li128ELi8ELi8ELb0ELb1ELb1ELb1ELb0ELb0EEEvPT0_PvPT_S6_S6_PKS5_S8_S8_S8_S8_ffiiiiiiiiiiiii
		.amdhsa_group_segment_fixed_size 16
		.amdhsa_private_segment_fixed_size 0
		.amdhsa_kernarg_size 400
		.amdhsa_user_sgpr_count 6
		.amdhsa_user_sgpr_private_segment_buffer 1
		.amdhsa_user_sgpr_dispatch_ptr 0
		.amdhsa_user_sgpr_queue_ptr 0
		.amdhsa_user_sgpr_kernarg_segment_ptr 1
		.amdhsa_user_sgpr_dispatch_id 0
		.amdhsa_user_sgpr_flat_scratch_init 0
		.amdhsa_user_sgpr_kernarg_preload_length 0
		.amdhsa_user_sgpr_kernarg_preload_offset 0
		.amdhsa_user_sgpr_private_segment_size 0
		.amdhsa_uses_dynamic_stack 0
		.amdhsa_system_sgpr_private_segment_wavefront_offset 0
		.amdhsa_system_sgpr_workgroup_id_x 1
		.amdhsa_system_sgpr_workgroup_id_y 1
		.amdhsa_system_sgpr_workgroup_id_z 0
		.amdhsa_system_sgpr_workgroup_info 0
		.amdhsa_system_vgpr_workitem_id 0
		.amdhsa_next_free_vgpr 23
		.amdhsa_next_free_sgpr 32
		.amdhsa_accum_offset 24
		.amdhsa_reserve_vcc 1
		.amdhsa_reserve_flat_scratch 0
		.amdhsa_float_round_mode_32 0
		.amdhsa_float_round_mode_16_64 0
		.amdhsa_float_denorm_mode_32 3
		.amdhsa_float_denorm_mode_16_64 3
		.amdhsa_dx10_clamp 1
		.amdhsa_ieee_mode 1
		.amdhsa_fp16_overflow 0
		.amdhsa_tg_split 0
		.amdhsa_exception_fp_ieee_invalid_op 0
		.amdhsa_exception_fp_denorm_src 0
		.amdhsa_exception_fp_ieee_div_zero 0
		.amdhsa_exception_fp_ieee_overflow 0
		.amdhsa_exception_fp_ieee_underflow 0
		.amdhsa_exception_fp_ieee_inexact 0
		.amdhsa_exception_int_div_zero 0
	.end_amdhsa_kernel
	.section	.text._ZN5aiter35fused_qk_rmsnorm_group_quant_kernelIDF16_DB8_Li128ELi8ELi8ELb0ELb1ELb1ELb1ELb0ELb0EEEvPT0_PvPT_S6_S6_PKS5_S8_S8_S8_S8_ffiiiiiiiiiiiii,"axG",@progbits,_ZN5aiter35fused_qk_rmsnorm_group_quant_kernelIDF16_DB8_Li128ELi8ELi8ELb0ELb1ELb1ELb1ELb0ELb0EEEvPT0_PvPT_S6_S6_PKS5_S8_S8_S8_S8_ffiiiiiiiiiiiii,comdat
.Lfunc_end369:
	.size	_ZN5aiter35fused_qk_rmsnorm_group_quant_kernelIDF16_DB8_Li128ELi8ELi8ELb0ELb1ELb1ELb1ELb0ELb0EEEvPT0_PvPT_S6_S6_PKS5_S8_S8_S8_S8_ffiiiiiiiiiiiii, .Lfunc_end369-_ZN5aiter35fused_qk_rmsnorm_group_quant_kernelIDF16_DB8_Li128ELi8ELi8ELb0ELb1ELb1ELb1ELb0ELb0EEEvPT0_PvPT_S6_S6_PKS5_S8_S8_S8_S8_ffiiiiiiiiiiiii
                                        ; -- End function
	.section	.AMDGPU.csdata,"",@progbits
; Kernel info:
; codeLenInByte = 2068
; NumSgprs: 36
; NumVgprs: 23
; NumAgprs: 0
; TotalNumVgprs: 23
; ScratchSize: 0
; MemoryBound: 0
; FloatMode: 240
; IeeeMode: 1
; LDSByteSize: 16 bytes/workgroup (compile time only)
; SGPRBlocks: 4
; VGPRBlocks: 2
; NumSGPRsForWavesPerEU: 36
; NumVGPRsForWavesPerEU: 23
; AccumOffset: 24
; Occupancy: 8
; WaveLimiterHint : 0
; COMPUTE_PGM_RSRC2:SCRATCH_EN: 0
; COMPUTE_PGM_RSRC2:USER_SGPR: 6
; COMPUTE_PGM_RSRC2:TRAP_HANDLER: 0
; COMPUTE_PGM_RSRC2:TGID_X_EN: 1
; COMPUTE_PGM_RSRC2:TGID_Y_EN: 1
; COMPUTE_PGM_RSRC2:TGID_Z_EN: 0
; COMPUTE_PGM_RSRC2:TIDIG_COMP_CNT: 0
; COMPUTE_PGM_RSRC3_GFX90A:ACCUM_OFFSET: 5
; COMPUTE_PGM_RSRC3_GFX90A:TG_SPLIT: 0
	.section	.text._ZN5aiter35fused_qk_rmsnorm_group_quant_kernelItDB8_Li128ELi8ELi8ELb0ELb1ELb1ELb1ELb0ELb0EEEvPT0_PvPT_S6_S6_PKS5_S8_S8_S8_S8_ffiiiiiiiiiiiii,"axG",@progbits,_ZN5aiter35fused_qk_rmsnorm_group_quant_kernelItDB8_Li128ELi8ELi8ELb0ELb1ELb1ELb1ELb0ELb0EEEvPT0_PvPT_S6_S6_PKS5_S8_S8_S8_S8_ffiiiiiiiiiiiii,comdat
	.protected	_ZN5aiter35fused_qk_rmsnorm_group_quant_kernelItDB8_Li128ELi8ELi8ELb0ELb1ELb1ELb1ELb0ELb0EEEvPT0_PvPT_S6_S6_PKS5_S8_S8_S8_S8_ffiiiiiiiiiiiii ; -- Begin function _ZN5aiter35fused_qk_rmsnorm_group_quant_kernelItDB8_Li128ELi8ELi8ELb0ELb1ELb1ELb1ELb0ELb0EEEvPT0_PvPT_S6_S6_PKS5_S8_S8_S8_S8_ffiiiiiiiiiiiii
	.globl	_ZN5aiter35fused_qk_rmsnorm_group_quant_kernelItDB8_Li128ELi8ELi8ELb0ELb1ELb1ELb1ELb0ELb0EEEvPT0_PvPT_S6_S6_PKS5_S8_S8_S8_S8_ffiiiiiiiiiiiii
	.p2align	8
	.type	_ZN5aiter35fused_qk_rmsnorm_group_quant_kernelItDB8_Li128ELi8ELi8ELb0ELb1ELb1ELb1ELb0ELb0EEEvPT0_PvPT_S6_S6_PKS5_S8_S8_S8_S8_ffiiiiiiiiiiiii,@function
_ZN5aiter35fused_qk_rmsnorm_group_quant_kernelItDB8_Li128ELi8ELi8ELb0ELb1ELb1ELb1ELb0ELb0EEEvPT0_PvPT_S6_S6_PKS5_S8_S8_S8_S8_ffiiiiiiiiiiiii: ; @_ZN5aiter35fused_qk_rmsnorm_group_quant_kernelItDB8_Li128ELi8ELi8ELb0ELb1ELb1ELb1ELb0ELb0EEEvPT0_PvPT_S6_S6_PKS5_S8_S8_S8_S8_ffiiiiiiiiiiiii
; %bb.0:
	s_load_dwordx4 s[12:15], s[4:5], 0x50
	s_waitcnt lgkmcnt(0)
	s_cmp_ge_i32 s6, s14
	s_cbranch_scc1 .LBB370_10
; %bb.1:
	s_load_dwordx2 s[24:25], s[4:5], 0x30
	s_load_dwordx2 s[8:9], s[4:5], 0x48
	s_load_dwordx4 s[16:19], s[4:5], 0x60
	s_cmp_lg_u32 s7, 0
	s_cselect_b64 s[10:11], -1, 0
	s_cmp_eq_u32 s7, 0
	s_cselect_b64 vcc, -1, 0
	s_and_b64 s[0:1], vcc, exec
	s_waitcnt lgkmcnt(0)
	s_cselect_b32 s7, s15, s16
	s_add_i32 s0, s7, 1
	s_lshr_b32 s1, s0, 31
	s_add_i32 s0, s0, s1
	s_lshl_b32 s0, s0, 1
	v_lshlrev_b32_e32 v1, 3, v0
	s_and_b32 s22, s0, -4
	v_cmp_gt_i32_e64 s[2:3], s7, v1
	v_mov_b32_e32 v2, 0
	v_mov_b32_e32 v3, 0
	v_mov_b32_e32 v4, 0
	v_mov_b32_e32 v5, 0
	v_mov_b32_e32 v6, 0
	v_mov_b32_e32 v7, 0
	v_mov_b32_e32 v8, 0
	v_mov_b32_e32 v9, 0
	s_and_saveexec_b64 s[0:1], s[2:3]
	s_cbranch_execz .LBB370_3
; %bb.2:
	s_load_dwordx2 s[14:15], s[4:5], 0x28
	s_load_dwordx2 s[20:21], s[4:5], 0x40
	s_and_b64 s[26:27], vcc, exec
	s_cselect_b32 s17, s17, s18
	v_lshlrev_b32_e32 v10, 4, v0
	s_waitcnt lgkmcnt(0)
	s_cselect_b32 s19, s15, s25
	s_cselect_b32 s23, s14, s24
	s_mul_hi_i32 s15, s17, s6
	s_mul_i32 s14, s17, s6
	s_lshl_b64 s[14:15], s[14:15], 1
	s_add_u32 s28, s23, s14
	s_addc_u32 s17, s19, s15
	s_and_b64 s[14:15], vcc, exec
	s_mov_b32 s23, 0x20000
	s_cselect_b32 s20, s20, s8
	s_cselect_b32 s14, s21, s9
	s_and_b32 s29, s17, 0xffff
	s_mov_b32 s30, s22
	s_mov_b32 s31, s23
	s_and_b32 s21, s14, 0xffff
	buffer_load_dwordx4 v[6:9], v10, s[28:31], 0 offen glc slc
	buffer_load_dwordx4 v[2:5], v10, s[20:23], 0 offen
.LBB370_3:
	s_or_b64 exec, exec, s[0:1]
	s_waitcnt vmcnt(1)
	v_cvt_f32_u32_sdwa v14, v6 dst_sel:DWORD dst_unused:UNUSED_PAD src0_sel:WORD_0
	v_cvt_f32_u32_sdwa v15, v6 dst_sel:DWORD dst_unused:UNUSED_PAD src0_sel:WORD_1
	v_cvt_f32_u32_sdwa v6, v9 dst_sel:DWORD dst_unused:UNUSED_PAD src0_sel:WORD_1
	v_cvt_f32_u32_sdwa v9, v9 dst_sel:DWORD dst_unused:UNUSED_PAD src0_sel:WORD_0
	v_cvt_f32_u32_sdwa v10, v8 dst_sel:DWORD dst_unused:UNUSED_PAD src0_sel:WORD_1
	v_cvt_f32_u32_sdwa v8, v8 dst_sel:DWORD dst_unused:UNUSED_PAD src0_sel:WORD_0
	v_cvt_f32_u32_sdwa v12, v7 dst_sel:DWORD dst_unused:UNUSED_PAD src0_sel:WORD_0
	v_cvt_f32_u32_sdwa v13, v7 dst_sel:DWORD dst_unused:UNUSED_PAD src0_sel:WORD_1
	v_cndmask_b32_e64 v7, 0, v6, s[2:3]
	v_cndmask_b32_e64 v6, 0, v9, s[2:3]
	;; [unrolled: 1-line block ×6, first 2 shown]
	v_mul_f32_e32 v14, v9, v9
	v_cndmask_b32_e64 v12, 0, v12, s[2:3]
	v_fmac_f32_e32 v14, v8, v8
	v_cndmask_b32_e64 v13, 0, v13, s[2:3]
	v_fmac_f32_e32 v14, v12, v12
	v_fmac_f32_e32 v14, v13, v13
	;; [unrolled: 1-line block ×6, first 2 shown]
	v_and_b32_e32 v16, 63, v0
	v_cmp_eq_u32_e64 s[0:1], 63, v16
	v_mov_b32_dpp v15, v14 quad_perm:[1,0,3,2] row_mask:0xf bank_mask:0xf
	v_add_f32_e32 v14, v14, v15
	s_nop 1
	v_mov_b32_dpp v15, v14 quad_perm:[2,3,0,1] row_mask:0xf bank_mask:0xf
	v_add_f32_e32 v14, v14, v15
	s_nop 1
	v_mov_b32_dpp v15, v14 row_half_mirror row_mask:0xf bank_mask:0xf
	v_add_f32_e32 v14, v14, v15
	s_nop 1
	v_mov_b32_dpp v15, v14 row_mirror row_mask:0xf bank_mask:0xf
	v_add_f32_e32 v14, v14, v15
	s_nop 1
	v_mov_b32_dpp v15, v14 row_bcast:15 row_mask:0xf bank_mask:0xf
	v_add_f32_e32 v14, v14, v15
	s_nop 1
	v_mov_b32_dpp v15, v14 row_bcast:31 row_mask:0xf bank_mask:0xf
	s_and_saveexec_b64 s[14:15], s[0:1]
	s_cbranch_execz .LBB370_5
; %bb.4:
	v_add_f32_e32 v14, v14, v15
	v_lshrrev_b32_e32 v15, 4, v0
	v_and_b32_e32 v15, 60, v15
	ds_write_b32 v15, v14 offset:8
.LBB370_5:
	s_or_b64 exec, exec, s[14:15]
	v_and_b32_e32 v14, 1, v0
	v_lshlrev_b32_e32 v14, 2, v14
	s_waitcnt lgkmcnt(0)
	s_barrier
	ds_read_b32 v15, v14 offset:8
	s_load_dwordx2 s[14:15], s[4:5], 0x18
	s_waitcnt lgkmcnt(0)
	v_mov_b32_dpp v16, v15 quad_perm:[1,0,3,2] row_mask:0xf bank_mask:0xf
	s_and_saveexec_b64 s[20:21], s[2:3]
	s_cbranch_execz .LBB370_7
; %bb.6:
	v_cvt_f32_u32_e32 v17, s7
	v_add_f32_e32 v15, v15, v16
	v_mov_b32_e32 v19, s13
	v_mov_b32_e32 v20, s12
	v_div_scale_f32 v16, s[26:27], v17, v17, v15
	v_rcp_f32_e32 v18, v16
	v_cndmask_b32_e32 v19, v19, v20, vcc
	s_mov_b32 s7, 0x800000
	v_fma_f32 v20, -v16, v18, 1.0
	v_fmac_f32_e32 v18, v20, v18
	v_div_scale_f32 v20, vcc, v15, v17, v15
	v_mul_f32_e32 v21, v20, v18
	v_fma_f32 v22, -v16, v21, v20
	v_fmac_f32_e32 v21, v22, v18
	v_fma_f32 v16, -v16, v21, v20
	v_div_fmas_f32 v16, v16, v18, v21
	v_div_fixup_f32 v15, v16, v17, v15
	v_add_f32_e32 v15, v19, v15
	v_mul_f32_e32 v16, 0x4b800000, v15
	v_cmp_gt_f32_e32 vcc, s7, v15
	v_cndmask_b32_e32 v15, v15, v16, vcc
	v_rsq_f32_e32 v15, v15
	s_waitcnt vmcnt(0)
	v_cvt_f32_u32_sdwa v19, v2 dst_sel:DWORD dst_unused:UNUSED_PAD src0_sel:WORD_1
	v_cvt_f32_u32_sdwa v18, v2 dst_sel:DWORD dst_unused:UNUSED_PAD src0_sel:WORD_0
	v_cvt_f32_u32_sdwa v21, v3 dst_sel:DWORD dst_unused:UNUSED_PAD src0_sel:WORD_1
	v_mul_f32_e32 v16, 0x45800000, v15
	v_cndmask_b32_e32 v16, v15, v16, vcc
	v_mov_b32_e32 v17, v16
	;;#ASMSTART
	v_pk_mul_f32 v[8:9], v[8:9], v[16:17]
	;;#ASMEND
	;;#ASMSTART
	v_pk_mul_f32 v[12:13], v[12:13], v[16:17]
	;;#ASMEND
	;; [unrolled: 3-line block ×3, first 2 shown]
	v_cvt_f32_u32_sdwa v20, v3 dst_sel:DWORD dst_unused:UNUSED_PAD src0_sel:WORD_0
	;;#ASMSTART
	v_pk_mul_f32 v[2:3], v[6:7], v[16:17]
	;;#ASMEND
	v_cvt_f32_u32_sdwa v17, v4 dst_sel:DWORD dst_unused:UNUSED_PAD src0_sel:WORD_1
	v_cvt_f32_u32_sdwa v16, v4 dst_sel:DWORD dst_unused:UNUSED_PAD src0_sel:WORD_0
	v_pk_add_f32 v[6:7], v[18:19], 1.0 op_sel_hi:[1,0]
	v_cvt_f32_u32_sdwa v19, v5 dst_sel:DWORD dst_unused:UNUSED_PAD src0_sel:WORD_1
	v_cvt_f32_u32_sdwa v18, v5 dst_sel:DWORD dst_unused:UNUSED_PAD src0_sel:WORD_0
	;;#ASMSTART
	v_pk_mul_f32 v[8:9], v[8:9], v[6:7]
	;;#ASMEND
	v_pk_add_f32 v[6:7], v[20:21], 1.0 op_sel_hi:[1,0]
	v_pk_add_f32 v[4:5], v[16:17], 1.0 op_sel_hi:[1,0]
	;;#ASMSTART
	v_pk_mul_f32 v[12:13], v[12:13], v[6:7]
	;;#ASMEND
	;;#ASMSTART
	v_pk_mul_f32 v[10:11], v[10:11], v[4:5]
	;;#ASMEND
	v_pk_add_f32 v[4:5], v[18:19], 1.0 op_sel_hi:[1,0]
	;;#ASMSTART
	v_pk_mul_f32 v[6:7], v[2:3], v[4:5]
	;;#ASMEND
.LBB370_7:
	s_or_b64 exec, exec, s[20:21]
	s_load_dwordx2 s[26:27], s[4:5], 0x7c
	s_mov_b64 s[20:21], -1
	s_and_b64 vcc, exec, s[10:11]
	s_cbranch_vccnz .LBB370_11
; %bb.8:
	s_andn2_b64 vcc, exec, s[20:21]
	s_cbranch_vccz .LBB370_14
.LBB370_9:
	s_cmp_lt_i32 s16, 1
	s_cbranch_scc0 .LBB370_17
.LBB370_10:
	s_endpgm
.LBB370_11:
	s_and_saveexec_b64 s[10:11], s[2:3]
	s_cbranch_execz .LBB370_13
; %bb.12:
	s_waitcnt lgkmcnt(0)
	s_mul_hi_i32 s21, s27, s6
	s_mul_i32 s20, s27, s6
	s_lshl_b64 s[20:21], s[20:21], 1
	s_add_u32 s20, s14, s20
	s_addc_u32 s7, s15, s21
	s_and_b32 s21, s7, 0xffff
	s_mov_b32 s7, 0x7060302
	s_mov_b32 s23, 0x20000
	s_waitcnt vmcnt(0)
	v_perm_b32 v2, v9, v8, s7
	v_perm_b32 v3, v13, v12, s7
	;; [unrolled: 1-line block ×4, first 2 shown]
	v_lshlrev_b32_e32 v15, 4, v0
	buffer_store_dwordx4 v[2:5], v15, s[20:23], 0 offen
	;;#ASMSTART
	s_nop 0
	;;#ASMEND
.LBB370_13:
	s_or_b64 exec, exec, s[10:11]
	s_cbranch_execnz .LBB370_9
.LBB370_14:
	s_and_saveexec_b64 s[10:11], s[2:3]
	s_cbranch_execz .LBB370_16
; %bb.15:
	s_load_dwordx2 s[2:3], s[4:5], 0x10
	s_waitcnt lgkmcnt(0)
	s_mul_hi_i32 s21, s26, s6
	s_mul_i32 s20, s26, s6
	s_lshl_b64 s[20:21], s[20:21], 1
	s_mov_b32 s23, 0x20000
	s_add_u32 s20, s2, s20
	s_addc_u32 s2, s3, s21
	s_and_b32 s21, s2, 0xffff
	s_mov_b32 s2, 0x7060302
	s_waitcnt vmcnt(0)
	v_perm_b32 v2, v9, v8, s2
	v_perm_b32 v3, v13, v12, s2
	;; [unrolled: 1-line block ×4, first 2 shown]
	v_lshlrev_b32_e32 v6, 4, v0
	buffer_store_dwordx4 v[2:5], v6, s[20:23], 0 offen
	;;#ASMSTART
	s_nop 0
	;;#ASMEND
.LBB370_16:
	s_or_b64 exec, exec, s[10:11]
	s_cmp_lt_i32 s16, 1
	s_cbranch_scc1 .LBB370_10
.LBB370_17:
	s_load_dword s2, s[4:5], 0x94
	s_waitcnt lgkmcnt(0)
	s_cmp_lg_u32 s2, 1
	s_cbranch_scc1 .LBB370_10
; %bb.18:
	s_lshl_b32 s2, s16, 1
	s_add_i32 s2, s2, 2
	v_cmp_gt_u32_e32 vcc, s16, v1
	s_and_b32 s10, s2, -4
	v_mov_b32_e32 v6, 0
	v_lshlrev_b32_e32 v1, 4, v0
	v_mov_b32_e32 v7, 0
	v_mov_b32_e32 v8, 0
	;; [unrolled: 1-line block ×3, first 2 shown]
	s_waitcnt vmcnt(0)
	v_mov_b32_e32 v2, 0
	v_mov_b32_e32 v3, 0
	;; [unrolled: 1-line block ×4, first 2 shown]
	s_barrier
	s_and_saveexec_b64 s[2:3], vcc
	s_cbranch_execz .LBB370_20
; %bb.19:
	s_mul_hi_i32 s5, s18, s6
	s_mul_i32 s4, s18, s6
	s_and_b32 s9, s9, 0xffff
	s_lshl_b64 s[4:5], s[4:5], 1
	s_add_u32 s20, s24, s4
	s_mov_b32 s11, 0x20000
	s_addc_u32 s4, s25, s5
	s_and_b32 s21, s4, 0xffff
	s_mov_b32 s22, s10
	s_mov_b32 s23, s11
	buffer_load_dwordx4 v[6:9], v1, s[20:23], 0 offen glc slc
	buffer_load_dwordx4 v[2:5], v1, s[8:11], 0 offen
.LBB370_20:
	s_or_b64 exec, exec, s[2:3]
	s_waitcnt vmcnt(1)
	v_cvt_f32_u32_sdwa v13, v6 dst_sel:DWORD dst_unused:UNUSED_PAD src0_sel:WORD_1
	v_cvt_f32_u32_sdwa v12, v6 dst_sel:DWORD dst_unused:UNUSED_PAD src0_sel:WORD_0
	v_cvt_f32_u32_sdwa v6, v9 dst_sel:DWORD dst_unused:UNUSED_PAD src0_sel:WORD_1
	v_cvt_f32_u32_sdwa v9, v9 dst_sel:DWORD dst_unused:UNUSED_PAD src0_sel:WORD_0
	v_cvt_f32_u32_sdwa v15, v8 dst_sel:DWORD dst_unused:UNUSED_PAD src0_sel:WORD_1
	v_cvt_f32_u32_sdwa v10, v7 dst_sel:DWORD dst_unused:UNUSED_PAD src0_sel:WORD_0
	v_cvt_f32_u32_sdwa v11, v7 dst_sel:DWORD dst_unused:UNUSED_PAD src0_sel:WORD_1
	v_cvt_f32_u32_sdwa v8, v8 dst_sel:DWORD dst_unused:UNUSED_PAD src0_sel:WORD_0
	v_cndmask_b32_e32 v13, 0, v13, vcc
	v_cndmask_b32_e32 v7, 0, v6, vcc
	;; [unrolled: 1-line block ×5, first 2 shown]
	v_mul_f32_e32 v15, v13, v13
	v_cndmask_b32_e32 v10, 0, v10, vcc
	v_fmac_f32_e32 v15, v12, v12
	v_cndmask_b32_e32 v11, 0, v11, vcc
	v_fmac_f32_e32 v15, v10, v10
	;; [unrolled: 2-line block ×3, first 2 shown]
	v_fmac_f32_e32 v15, v8, v8
	v_fmac_f32_e32 v15, v9, v9
	;; [unrolled: 1-line block ×4, first 2 shown]
	s_nop 1
	v_mov_b32_dpp v16, v15 quad_perm:[1,0,3,2] row_mask:0xf bank_mask:0xf
	v_add_f32_e32 v15, v15, v16
	s_nop 1
	v_mov_b32_dpp v16, v15 quad_perm:[2,3,0,1] row_mask:0xf bank_mask:0xf
	v_add_f32_e32 v15, v15, v16
	s_nop 1
	v_mov_b32_dpp v16, v15 row_half_mirror row_mask:0xf bank_mask:0xf
	v_add_f32_e32 v15, v15, v16
	s_nop 1
	v_mov_b32_dpp v16, v15 row_mirror row_mask:0xf bank_mask:0xf
	v_add_f32_e32 v15, v15, v16
	s_nop 1
	v_mov_b32_dpp v16, v15 row_bcast:15 row_mask:0xf bank_mask:0xf
	v_add_f32_e32 v15, v15, v16
	s_nop 1
	v_mov_b32_dpp v16, v15 row_bcast:31 row_mask:0xf bank_mask:0xf
	s_and_saveexec_b64 s[2:3], s[0:1]
	s_cbranch_execz .LBB370_22
; %bb.21:
	v_lshrrev_b32_e32 v0, 4, v0
	v_add_f32_e32 v15, v15, v16
	v_and_b32_e32 v0, 60, v0
	ds_write_b32 v0, v15
.LBB370_22:
	s_or_b64 exec, exec, s[2:3]
	s_waitcnt lgkmcnt(0)
	s_barrier
	ds_read_b32 v0, v14
	s_waitcnt lgkmcnt(0)
	s_nop 0
	v_mov_b32_dpp v14, v0 quad_perm:[1,0,3,2] row_mask:0xf bank_mask:0xf
	s_and_saveexec_b64 s[0:1], vcc
	s_cbranch_execz .LBB370_10
; %bb.23:
	v_cvt_f32_u32_e32 v15, s16
	v_add_f32_e32 v0, v0, v14
	s_mov_b32 s11, 0x20000
	v_div_scale_f32 v14, s[0:1], v15, v15, v0
	v_rcp_f32_e32 v16, v14
	v_div_scale_f32 v17, vcc, v0, v15, v0
	s_mov_b32 s0, 0x800000
	v_fma_f32 v18, -v14, v16, 1.0
	v_fmac_f32_e32 v16, v18, v16
	v_mul_f32_e32 v18, v17, v16
	v_fma_f32 v19, -v14, v18, v17
	v_fmac_f32_e32 v18, v19, v16
	v_fma_f32 v14, -v14, v18, v17
	v_div_fmas_f32 v14, v14, v16, v18
	v_div_fixup_f32 v0, v14, v15, v0
	v_add_f32_e32 v0, s13, v0
	v_mul_f32_e32 v14, 0x4b800000, v0
	v_cmp_gt_f32_e32 vcc, s0, v0
	v_cndmask_b32_e32 v0, v0, v14, vcc
	v_rsq_f32_e32 v0, v0
	s_waitcnt vmcnt(0)
	v_cvt_f32_u32_sdwa v17, v2 dst_sel:DWORD dst_unused:UNUSED_PAD src0_sel:WORD_1
	v_cvt_f32_u32_sdwa v16, v2 dst_sel:DWORD dst_unused:UNUSED_PAD src0_sel:WORD_0
	v_cvt_f32_u32_sdwa v19, v3 dst_sel:DWORD dst_unused:UNUSED_PAD src0_sel:WORD_1
	v_mul_f32_e32 v14, 0x45800000, v0
	v_cndmask_b32_e32 v14, v0, v14, vcc
	v_mov_b32_e32 v15, v14
	;;#ASMSTART
	v_pk_mul_f32 v[12:13], v[12:13], v[14:15]
	;;#ASMEND
	;;#ASMSTART
	v_pk_mul_f32 v[10:11], v[10:11], v[14:15]
	;;#ASMEND
	;; [unrolled: 3-line block ×3, first 2 shown]
	v_cvt_f32_u32_sdwa v18, v3 dst_sel:DWORD dst_unused:UNUSED_PAD src0_sel:WORD_0
	;;#ASMSTART
	v_pk_mul_f32 v[2:3], v[6:7], v[14:15]
	;;#ASMEND
	v_cvt_f32_u32_sdwa v15, v4 dst_sel:DWORD dst_unused:UNUSED_PAD src0_sel:WORD_1
	v_cvt_f32_u32_sdwa v14, v4 dst_sel:DWORD dst_unused:UNUSED_PAD src0_sel:WORD_0
	v_pk_add_f32 v[6:7], v[16:17], 1.0 op_sel_hi:[1,0]
	v_cvt_f32_u32_sdwa v17, v5 dst_sel:DWORD dst_unused:UNUSED_PAD src0_sel:WORD_1
	v_cvt_f32_u32_sdwa v16, v5 dst_sel:DWORD dst_unused:UNUSED_PAD src0_sel:WORD_0
	s_mul_hi_i32 s1, s27, s6
	s_mul_i32 s0, s27, s6
	s_lshl_b64 s[0:1], s[0:1], 1
	s_add_u32 s8, s14, s0
	;;#ASMSTART
	v_pk_mul_f32 v[6:7], v[12:13], v[6:7]
	;;#ASMEND
	v_pk_add_f32 v[12:13], v[18:19], 1.0 op_sel_hi:[1,0]
	;;#ASMSTART
	v_pk_mul_f32 v[4:5], v[10:11], v[12:13]
	;;#ASMEND
	v_pk_add_f32 v[10:11], v[14:15], 1.0 op_sel_hi:[1,0]
	s_addc_u32 s0, s15, s1
	;;#ASMSTART
	v_pk_mul_f32 v[8:9], v[8:9], v[10:11]
	;;#ASMEND
	v_pk_add_f32 v[10:11], v[16:17], 1.0 op_sel_hi:[1,0]
	s_and_b32 s9, s0, 0xffff
	s_mov_b32 s0, 0x7060302
	;;#ASMSTART
	v_pk_mul_f32 v[10:11], v[2:3], v[10:11]
	;;#ASMEND
	v_perm_b32 v2, v7, v6, s0
	v_perm_b32 v3, v5, v4, s0
	;; [unrolled: 1-line block ×4, first 2 shown]
	buffer_store_dwordx4 v[2:5], v1, s[8:11], 0 offen
	;;#ASMSTART
	s_nop 0
	;;#ASMEND
	s_endpgm
	.section	.rodata,"a",@progbits
	.p2align	6, 0x0
	.amdhsa_kernel _ZN5aiter35fused_qk_rmsnorm_group_quant_kernelItDB8_Li128ELi8ELi8ELb0ELb1ELb1ELb1ELb0ELb0EEEvPT0_PvPT_S6_S6_PKS5_S8_S8_S8_S8_ffiiiiiiiiiiiii
		.amdhsa_group_segment_fixed_size 16
		.amdhsa_private_segment_fixed_size 0
		.amdhsa_kernarg_size 400
		.amdhsa_user_sgpr_count 6
		.amdhsa_user_sgpr_private_segment_buffer 1
		.amdhsa_user_sgpr_dispatch_ptr 0
		.amdhsa_user_sgpr_queue_ptr 0
		.amdhsa_user_sgpr_kernarg_segment_ptr 1
		.amdhsa_user_sgpr_dispatch_id 0
		.amdhsa_user_sgpr_flat_scratch_init 0
		.amdhsa_user_sgpr_kernarg_preload_length 0
		.amdhsa_user_sgpr_kernarg_preload_offset 0
		.amdhsa_user_sgpr_private_segment_size 0
		.amdhsa_uses_dynamic_stack 0
		.amdhsa_system_sgpr_private_segment_wavefront_offset 0
		.amdhsa_system_sgpr_workgroup_id_x 1
		.amdhsa_system_sgpr_workgroup_id_y 1
		.amdhsa_system_sgpr_workgroup_id_z 0
		.amdhsa_system_sgpr_workgroup_info 0
		.amdhsa_system_vgpr_workitem_id 0
		.amdhsa_next_free_vgpr 23
		.amdhsa_next_free_sgpr 32
		.amdhsa_accum_offset 24
		.amdhsa_reserve_vcc 1
		.amdhsa_reserve_flat_scratch 0
		.amdhsa_float_round_mode_32 0
		.amdhsa_float_round_mode_16_64 0
		.amdhsa_float_denorm_mode_32 3
		.amdhsa_float_denorm_mode_16_64 3
		.amdhsa_dx10_clamp 1
		.amdhsa_ieee_mode 1
		.amdhsa_fp16_overflow 0
		.amdhsa_tg_split 0
		.amdhsa_exception_fp_ieee_invalid_op 0
		.amdhsa_exception_fp_denorm_src 0
		.amdhsa_exception_fp_ieee_div_zero 0
		.amdhsa_exception_fp_ieee_overflow 0
		.amdhsa_exception_fp_ieee_underflow 0
		.amdhsa_exception_fp_ieee_inexact 0
		.amdhsa_exception_int_div_zero 0
	.end_amdhsa_kernel
	.section	.text._ZN5aiter35fused_qk_rmsnorm_group_quant_kernelItDB8_Li128ELi8ELi8ELb0ELb1ELb1ELb1ELb0ELb0EEEvPT0_PvPT_S6_S6_PKS5_S8_S8_S8_S8_ffiiiiiiiiiiiii,"axG",@progbits,_ZN5aiter35fused_qk_rmsnorm_group_quant_kernelItDB8_Li128ELi8ELi8ELb0ELb1ELb1ELb1ELb0ELb0EEEvPT0_PvPT_S6_S6_PKS5_S8_S8_S8_S8_ffiiiiiiiiiiiii,comdat
.Lfunc_end370:
	.size	_ZN5aiter35fused_qk_rmsnorm_group_quant_kernelItDB8_Li128ELi8ELi8ELb0ELb1ELb1ELb1ELb0ELb0EEEvPT0_PvPT_S6_S6_PKS5_S8_S8_S8_S8_ffiiiiiiiiiiiii, .Lfunc_end370-_ZN5aiter35fused_qk_rmsnorm_group_quant_kernelItDB8_Li128ELi8ELi8ELb0ELb1ELb1ELb1ELb0ELb0EEEvPT0_PvPT_S6_S6_PKS5_S8_S8_S8_S8_ffiiiiiiiiiiiii
                                        ; -- End function
	.section	.AMDGPU.csdata,"",@progbits
; Kernel info:
; codeLenInByte = 2060
; NumSgprs: 36
; NumVgprs: 23
; NumAgprs: 0
; TotalNumVgprs: 23
; ScratchSize: 0
; MemoryBound: 0
; FloatMode: 240
; IeeeMode: 1
; LDSByteSize: 16 bytes/workgroup (compile time only)
; SGPRBlocks: 4
; VGPRBlocks: 2
; NumSGPRsForWavesPerEU: 36
; NumVGPRsForWavesPerEU: 23
; AccumOffset: 24
; Occupancy: 8
; WaveLimiterHint : 0
; COMPUTE_PGM_RSRC2:SCRATCH_EN: 0
; COMPUTE_PGM_RSRC2:USER_SGPR: 6
; COMPUTE_PGM_RSRC2:TRAP_HANDLER: 0
; COMPUTE_PGM_RSRC2:TGID_X_EN: 1
; COMPUTE_PGM_RSRC2:TGID_Y_EN: 1
; COMPUTE_PGM_RSRC2:TGID_Z_EN: 0
; COMPUTE_PGM_RSRC2:TIDIG_COMP_CNT: 0
; COMPUTE_PGM_RSRC3_GFX90A:ACCUM_OFFSET: 5
; COMPUTE_PGM_RSRC3_GFX90A:TG_SPLIT: 0
	.section	.text._ZN5aiter35fused_qk_rmsnorm_group_quant_kernelIDF16_N4opus5fp4_tELi128ELi8ELi8ELb0ELb1ELb1ELb1ELb0ELb0EEEvPT0_PvPT_S7_S7_PKS6_S9_S9_S9_S9_ffiiiiiiiiiiiii,"axG",@progbits,_ZN5aiter35fused_qk_rmsnorm_group_quant_kernelIDF16_N4opus5fp4_tELi128ELi8ELi8ELb0ELb1ELb1ELb1ELb0ELb0EEEvPT0_PvPT_S7_S7_PKS6_S9_S9_S9_S9_ffiiiiiiiiiiiii,comdat
	.protected	_ZN5aiter35fused_qk_rmsnorm_group_quant_kernelIDF16_N4opus5fp4_tELi128ELi8ELi8ELb0ELb1ELb1ELb1ELb0ELb0EEEvPT0_PvPT_S7_S7_PKS6_S9_S9_S9_S9_ffiiiiiiiiiiiii ; -- Begin function _ZN5aiter35fused_qk_rmsnorm_group_quant_kernelIDF16_N4opus5fp4_tELi128ELi8ELi8ELb0ELb1ELb1ELb1ELb0ELb0EEEvPT0_PvPT_S7_S7_PKS6_S9_S9_S9_S9_ffiiiiiiiiiiiii
	.globl	_ZN5aiter35fused_qk_rmsnorm_group_quant_kernelIDF16_N4opus5fp4_tELi128ELi8ELi8ELb0ELb1ELb1ELb1ELb0ELb0EEEvPT0_PvPT_S7_S7_PKS6_S9_S9_S9_S9_ffiiiiiiiiiiiii
	.p2align	8
	.type	_ZN5aiter35fused_qk_rmsnorm_group_quant_kernelIDF16_N4opus5fp4_tELi128ELi8ELi8ELb0ELb1ELb1ELb1ELb0ELb0EEEvPT0_PvPT_S7_S7_PKS6_S9_S9_S9_S9_ffiiiiiiiiiiiii,@function
_ZN5aiter35fused_qk_rmsnorm_group_quant_kernelIDF16_N4opus5fp4_tELi128ELi8ELi8ELb0ELb1ELb1ELb1ELb0ELb0EEEvPT0_PvPT_S7_S7_PKS6_S9_S9_S9_S9_ffiiiiiiiiiiiii: ; @_ZN5aiter35fused_qk_rmsnorm_group_quant_kernelIDF16_N4opus5fp4_tELi128ELi8ELi8ELb0ELb1ELb1ELb1ELb0ELb0EEEvPT0_PvPT_S7_S7_PKS6_S9_S9_S9_S9_ffiiiiiiiiiiiii
; %bb.0:
	s_load_dwordx4 s[12:15], s[4:5], 0x50
	s_waitcnt lgkmcnt(0)
	s_cmp_ge_i32 s6, s14
	s_cbranch_scc1 .LBB371_12
; %bb.1:
	s_load_dwordx2 s[24:25], s[4:5], 0x30
	s_load_dwordx2 s[8:9], s[4:5], 0x48
	s_load_dwordx4 s[16:19], s[4:5], 0x60
	s_cmp_lg_u32 s7, 0
	s_cselect_b64 s[10:11], -1, 0
	s_cmp_eq_u32 s7, 0
	s_cselect_b64 vcc, -1, 0
	s_and_b64 s[0:1], vcc, exec
	s_waitcnt lgkmcnt(0)
	s_cselect_b32 s7, s15, s16
	s_add_i32 s0, s7, 1
	s_lshr_b32 s1, s0, 31
	s_add_i32 s0, s0, s1
	s_lshl_b32 s0, s0, 1
	v_lshlrev_b32_e32 v1, 3, v0
	s_and_b32 s22, s0, -4
	v_cmp_gt_i32_e64 s[2:3], s7, v1
	v_mov_b32_e32 v10, 0
	v_mov_b32_e32 v2, 0
	;; [unrolled: 1-line block ×9, first 2 shown]
	s_and_saveexec_b64 s[0:1], s[2:3]
	s_cbranch_execz .LBB371_3
; %bb.2:
	s_load_dwordx2 s[14:15], s[4:5], 0x28
	s_load_dwordx2 s[20:21], s[4:5], 0x40
	s_and_b64 s[26:27], vcc, exec
	s_cselect_b32 s17, s17, s18
	v_lshlrev_b32_e32 v11, 4, v0
	s_waitcnt lgkmcnt(0)
	s_cselect_b32 s19, s15, s25
	s_cselect_b32 s23, s14, s24
	s_mul_hi_i32 s15, s17, s6
	s_mul_i32 s14, s17, s6
	s_lshl_b64 s[14:15], s[14:15], 1
	s_add_u32 s28, s23, s14
	s_addc_u32 s17, s19, s15
	s_and_b64 s[14:15], vcc, exec
	s_mov_b32 s23, 0x20000
	s_cselect_b32 s20, s20, s8
	s_cselect_b32 s14, s21, s9
	s_and_b32 s29, s17, 0xffff
	s_mov_b32 s30, s22
	s_mov_b32 s31, s23
	s_and_b32 s21, s14, 0xffff
	buffer_load_dwordx4 v[6:9], v11, s[28:31], 0 offen glc slc
	buffer_load_dwordx4 v[2:5], v11, s[20:23], 0 offen
.LBB371_3:
	s_or_b64 exec, exec, s[0:1]
	v_mov_b32_e32 v11, 0
	v_mov_b32_e32 v14, 0
	;; [unrolled: 1-line block ×7, first 2 shown]
	s_and_saveexec_b64 s[0:1], s[2:3]
	s_cbranch_execz .LBB371_5
; %bb.4:
	s_waitcnt vmcnt(1)
	v_cvt_f32_f16_sdwa v11, v6 dst_sel:DWORD dst_unused:UNUSED_PAD src0_sel:WORD_1
	v_cvt_f32_f16_e32 v10, v6
	v_cvt_f32_f16_sdwa v15, v7 dst_sel:DWORD dst_unused:UNUSED_PAD src0_sel:WORD_1
	v_cvt_f32_f16_e32 v14, v7
	;; [unrolled: 2-line block ×4, first 2 shown]
.LBB371_5:
	s_or_b64 exec, exec, s[0:1]
	s_waitcnt vmcnt(1)
	v_mul_f32_e32 v6, v11, v11
	v_fmac_f32_e32 v6, v10, v10
	v_fmac_f32_e32 v6, v14, v14
	;; [unrolled: 1-line block ×7, first 2 shown]
	v_and_b32_e32 v8, 63, v0
	v_cmp_eq_u32_e64 s[0:1], 63, v8
	v_mov_b32_dpp v7, v6 quad_perm:[1,0,3,2] row_mask:0xf bank_mask:0xf
	v_add_f32_e32 v6, v6, v7
	s_nop 1
	v_mov_b32_dpp v7, v6 quad_perm:[2,3,0,1] row_mask:0xf bank_mask:0xf
	v_add_f32_e32 v6, v6, v7
	s_nop 1
	v_mov_b32_dpp v7, v6 row_half_mirror row_mask:0xf bank_mask:0xf
	v_add_f32_e32 v6, v6, v7
	s_nop 1
	v_mov_b32_dpp v7, v6 row_mirror row_mask:0xf bank_mask:0xf
	v_add_f32_e32 v6, v6, v7
	s_nop 1
	v_mov_b32_dpp v7, v6 row_bcast:15 row_mask:0xf bank_mask:0xf
	v_add_f32_e32 v6, v6, v7
	s_nop 1
	v_mov_b32_dpp v7, v6 row_bcast:31 row_mask:0xf bank_mask:0xf
	s_and_saveexec_b64 s[14:15], s[0:1]
	s_cbranch_execz .LBB371_7
; %bb.6:
	v_add_f32_e32 v6, v6, v7
	v_lshrrev_b32_e32 v7, 4, v0
	v_and_b32_e32 v7, 60, v7
	ds_write_b32 v7, v6 offset:8
.LBB371_7:
	s_or_b64 exec, exec, s[14:15]
	v_and_b32_e32 v6, 1, v0
	v_lshlrev_b32_e32 v18, 2, v6
	s_waitcnt lgkmcnt(0)
	s_barrier
	ds_read_b32 v6, v18 offset:8
	s_load_dwordx2 s[14:15], s[4:5], 0x18
	s_waitcnt lgkmcnt(0)
	v_mov_b32_dpp v7, v6 quad_perm:[1,0,3,2] row_mask:0xf bank_mask:0xf
	s_and_saveexec_b64 s[20:21], s[2:3]
	s_cbranch_execz .LBB371_9
; %bb.8:
	v_cvt_f32_u32_e32 v8, s7
	v_add_f32_e32 v6, v6, v7
	v_mov_b32_e32 v19, s13
	v_mov_b32_e32 v20, s12
	v_div_scale_f32 v7, s[26:27], v8, v8, v6
	v_rcp_f32_e32 v9, v7
	v_cndmask_b32_e32 v19, v19, v20, vcc
	s_mov_b32 s7, 0x800000
	v_fma_f32 v20, -v7, v9, 1.0
	v_fmac_f32_e32 v9, v20, v9
	v_div_scale_f32 v20, vcc, v6, v8, v6
	v_mul_f32_e32 v21, v20, v9
	v_fma_f32 v22, -v7, v21, v20
	v_fmac_f32_e32 v21, v22, v9
	v_fma_f32 v7, -v7, v21, v20
	v_div_fmas_f32 v7, v7, v9, v21
	v_div_fixup_f32 v6, v7, v8, v6
	v_add_f32_e32 v6, v19, v6
	v_mul_f32_e32 v7, 0x4b800000, v6
	v_cmp_gt_f32_e32 vcc, s7, v6
	v_cndmask_b32_e32 v6, v6, v7, vcc
	v_rsq_f32_e32 v6, v6
	s_waitcnt vmcnt(0)
	v_cvt_f32_f16_sdwa v21, v3 dst_sel:DWORD dst_unused:UNUSED_PAD src0_sel:WORD_1
	v_cvt_f32_f16_e32 v20, v3
	v_mul_f32_e32 v7, 0x45800000, v6
	v_cndmask_b32_e32 v6, v6, v7, vcc
	v_mov_b32_e32 v7, v6
	;;#ASMSTART
	v_pk_mul_f32 v[8:9], v[10:11], v[6:7]
	;;#ASMEND
	v_cvt_f32_f16_sdwa v11, v2 dst_sel:DWORD dst_unused:UNUSED_PAD src0_sel:WORD_1
	v_cvt_f32_f16_e32 v10, v2
	;;#ASMSTART
	v_pk_mul_f32 v[14:15], v[14:15], v[6:7]
	;;#ASMEND
	;;#ASMSTART
	v_pk_mul_f32 v[16:17], v[16:17], v[6:7]
	;;#ASMEND
	;;#ASMSTART
	v_pk_mul_f32 v[2:3], v[12:13], v[6:7]
	;;#ASMEND
	v_pk_add_f32 v[6:7], v[10:11], 1.0 op_sel_hi:[1,0]
	;;#ASMSTART
	v_pk_mul_f32 v[10:11], v[8:9], v[6:7]
	;;#ASMEND
	v_cvt_f32_f16_sdwa v9, v4 dst_sel:DWORD dst_unused:UNUSED_PAD src0_sel:WORD_1
	v_cvt_f32_f16_e32 v8, v4
	v_cvt_f32_f16_sdwa v13, v5 dst_sel:DWORD dst_unused:UNUSED_PAD src0_sel:WORD_1
	v_cvt_f32_f16_e32 v12, v5
	v_pk_add_f32 v[6:7], v[20:21], 1.0 op_sel_hi:[1,0]
	v_pk_add_f32 v[4:5], v[8:9], 1.0 op_sel_hi:[1,0]
	;;#ASMSTART
	v_pk_mul_f32 v[14:15], v[14:15], v[6:7]
	;;#ASMEND
	;;#ASMSTART
	v_pk_mul_f32 v[16:17], v[16:17], v[4:5]
	;;#ASMEND
	v_pk_add_f32 v[4:5], v[12:13], 1.0 op_sel_hi:[1,0]
	;;#ASMSTART
	v_pk_mul_f32 v[12:13], v[2:3], v[4:5]
	;;#ASMEND
.LBB371_9:
	s_or_b64 exec, exec, s[20:21]
	s_load_dwordx2 s[26:27], s[4:5], 0x7c
	s_mov_b64 s[20:21], -1
	s_and_b64 vcc, exec, s[10:11]
	s_cbranch_vccnz .LBB371_13
; %bb.10:
	s_andn2_b64 vcc, exec, s[20:21]
	s_cbranch_vccz .LBB371_16
.LBB371_11:
	s_cmp_lt_i32 s16, 1
	s_cbranch_scc0 .LBB371_19
.LBB371_12:
	s_endpgm
.LBB371_13:
	s_and_saveexec_b64 s[10:11], s[2:3]
	s_cbranch_execz .LBB371_15
; %bb.14:
	s_waitcnt lgkmcnt(0)
	s_mul_hi_i32 s21, s27, s6
	s_mul_i32 s20, s27, s6
	s_waitcnt vmcnt(0)
	v_cvt_f16_f32_e32 v2, v10
	v_cvt_f16_f32_e32 v3, v14
	;; [unrolled: 1-line block ×8, first 2 shown]
	s_lshl_b64 s[20:21], s[20:21], 1
	s_add_u32 s20, s14, s20
	s_addc_u32 s7, s15, s21
	s_and_b32 s21, s7, 0xffff
	s_mov_b32 s23, 0x20000
	v_pack_b32_f16 v5, v5, v6
	v_pack_b32_f16 v4, v4, v7
	;; [unrolled: 1-line block ×4, first 2 shown]
	v_lshlrev_b32_e32 v6, 4, v0
	buffer_store_dwordx4 v[2:5], v6, s[20:23], 0 offen
	;;#ASMSTART
	s_nop 0
	;;#ASMEND
.LBB371_15:
	s_or_b64 exec, exec, s[10:11]
	s_cbranch_execnz .LBB371_11
.LBB371_16:
	s_and_saveexec_b64 s[10:11], s[2:3]
	s_cbranch_execz .LBB371_18
; %bb.17:
	s_load_dwordx2 s[2:3], s[4:5], 0x10
	s_waitcnt lgkmcnt(0)
	s_mul_hi_i32 s21, s26, s6
	s_mul_i32 s20, s26, s6
	s_waitcnt vmcnt(0)
	v_cvt_f16_f32_e32 v2, v10
	v_cvt_f16_f32_e32 v3, v14
	;; [unrolled: 1-line block ×8, first 2 shown]
	s_lshl_b64 s[20:21], s[20:21], 1
	s_add_u32 s20, s2, s20
	s_addc_u32 s2, s3, s21
	s_mov_b32 s23, 0x20000
	s_and_b32 s21, s2, 0xffff
	v_pack_b32_f16 v5, v5, v6
	v_pack_b32_f16 v4, v4, v7
	v_pack_b32_f16 v3, v3, v8
	v_pack_b32_f16 v2, v2, v9
	v_lshlrev_b32_e32 v6, 4, v0
	buffer_store_dwordx4 v[2:5], v6, s[20:23], 0 offen
	;;#ASMSTART
	s_nop 0
	;;#ASMEND
.LBB371_18:
	s_or_b64 exec, exec, s[10:11]
	s_cmp_lt_i32 s16, 1
	s_cbranch_scc1 .LBB371_12
.LBB371_19:
	s_load_dword s2, s[4:5], 0x94
	s_waitcnt lgkmcnt(0)
	s_cmp_lg_u32 s2, 1
	s_cbranch_scc1 .LBB371_12
; %bb.20:
	s_lshl_b32 s2, s16, 1
	s_add_i32 s2, s2, 2
	v_cmp_gt_u32_e32 vcc, s16, v1
	s_and_b32 s10, s2, -4
	v_mov_b32_e32 v10, 0
	v_lshlrev_b32_e32 v1, 4, v0
	v_mov_b32_e32 v6, 0
	v_mov_b32_e32 v7, 0
	;; [unrolled: 1-line block ×4, first 2 shown]
	s_waitcnt vmcnt(0)
	v_mov_b32_e32 v2, 0
	v_mov_b32_e32 v3, 0
	;; [unrolled: 1-line block ×4, first 2 shown]
	s_barrier
	s_and_saveexec_b64 s[2:3], vcc
	s_cbranch_execz .LBB371_22
; %bb.21:
	s_mul_hi_i32 s5, s18, s6
	s_mul_i32 s4, s18, s6
	s_and_b32 s9, s9, 0xffff
	s_lshl_b64 s[4:5], s[4:5], 1
	s_add_u32 s20, s24, s4
	s_mov_b32 s11, 0x20000
	s_addc_u32 s4, s25, s5
	s_and_b32 s21, s4, 0xffff
	s_mov_b32 s22, s10
	s_mov_b32 s23, s11
	buffer_load_dwordx4 v[6:9], v1, s[20:23], 0 offen glc slc
	buffer_load_dwordx4 v[2:5], v1, s[8:11], 0 offen
.LBB371_22:
	s_or_b64 exec, exec, s[2:3]
	v_mov_b32_e32 v11, 0
	v_mov_b32_e32 v16, 0
	;; [unrolled: 1-line block ×7, first 2 shown]
	s_and_saveexec_b64 s[2:3], vcc
	s_cbranch_execz .LBB371_24
; %bb.23:
	s_waitcnt vmcnt(1)
	v_cvt_f32_f16_sdwa v11, v6 dst_sel:DWORD dst_unused:UNUSED_PAD src0_sel:WORD_1
	v_cvt_f32_f16_e32 v10, v6
	v_cvt_f32_f16_sdwa v17, v7 dst_sel:DWORD dst_unused:UNUSED_PAD src0_sel:WORD_1
	v_cvt_f32_f16_e32 v16, v7
	;; [unrolled: 2-line block ×4, first 2 shown]
.LBB371_24:
	s_or_b64 exec, exec, s[2:3]
	s_waitcnt vmcnt(1)
	v_mul_f32_e32 v6, v11, v11
	v_fmac_f32_e32 v6, v10, v10
	v_fmac_f32_e32 v6, v16, v16
	;; [unrolled: 1-line block ×7, first 2 shown]
	s_nop 1
	v_mov_b32_dpp v7, v6 quad_perm:[1,0,3,2] row_mask:0xf bank_mask:0xf
	v_add_f32_e32 v6, v6, v7
	s_nop 1
	v_mov_b32_dpp v7, v6 quad_perm:[2,3,0,1] row_mask:0xf bank_mask:0xf
	v_add_f32_e32 v6, v6, v7
	s_nop 1
	v_mov_b32_dpp v7, v6 row_half_mirror row_mask:0xf bank_mask:0xf
	v_add_f32_e32 v6, v6, v7
	s_nop 1
	v_mov_b32_dpp v7, v6 row_mirror row_mask:0xf bank_mask:0xf
	v_add_f32_e32 v6, v6, v7
	s_nop 1
	v_mov_b32_dpp v7, v6 row_bcast:15 row_mask:0xf bank_mask:0xf
	v_add_f32_e32 v6, v6, v7
	s_nop 1
	v_mov_b32_dpp v7, v6 row_bcast:31 row_mask:0xf bank_mask:0xf
	s_and_saveexec_b64 s[2:3], s[0:1]
	s_cbranch_execz .LBB371_26
; %bb.25:
	v_lshrrev_b32_e32 v0, 4, v0
	v_add_f32_e32 v6, v6, v7
	v_and_b32_e32 v0, 60, v0
	ds_write_b32 v0, v6
.LBB371_26:
	s_or_b64 exec, exec, s[2:3]
	s_waitcnt lgkmcnt(0)
	s_barrier
	ds_read_b32 v0, v18
	s_waitcnt lgkmcnt(0)
	s_nop 0
	v_mov_b32_dpp v6, v0 quad_perm:[1,0,3,2] row_mask:0xf bank_mask:0xf
	s_and_saveexec_b64 s[0:1], vcc
	s_cbranch_execz .LBB371_12
; %bb.27:
	v_cvt_f32_u32_e32 v7, s16
	v_add_f32_e32 v0, v0, v6
	s_mov_b32 s11, 0x20000
	v_div_scale_f32 v6, s[0:1], v7, v7, v0
	v_rcp_f32_e32 v8, v6
	v_div_scale_f32 v9, vcc, v0, v7, v0
	s_mov_b32 s0, 0x800000
	v_fma_f32 v18, -v6, v8, 1.0
	v_fmac_f32_e32 v8, v18, v8
	v_mul_f32_e32 v18, v9, v8
	v_fma_f32 v19, -v6, v18, v9
	v_fmac_f32_e32 v18, v19, v8
	v_fma_f32 v6, -v6, v18, v9
	v_div_fmas_f32 v6, v6, v8, v18
	v_div_fixup_f32 v0, v6, v7, v0
	v_add_f32_e32 v0, s13, v0
	v_mul_f32_e32 v6, 0x4b800000, v0
	v_cmp_gt_f32_e32 vcc, s0, v0
	v_cndmask_b32_e32 v0, v0, v6, vcc
	v_rsq_f32_e32 v0, v0
	s_waitcnt vmcnt(0)
	v_cvt_f32_f16_sdwa v19, v3 dst_sel:DWORD dst_unused:UNUSED_PAD src0_sel:WORD_1
	v_cvt_f32_f16_e32 v18, v3
	s_mul_hi_i32 s1, s27, s6
	v_mul_f32_e32 v6, 0x45800000, v0
	v_cndmask_b32_e32 v6, v0, v6, vcc
	v_mov_b32_e32 v7, v6
	;;#ASMSTART
	v_pk_mul_f32 v[8:9], v[10:11], v[6:7]
	;;#ASMEND
	;;#ASMSTART
	v_pk_mul_f32 v[10:11], v[16:17], v[6:7]
	;;#ASMEND
	v_cvt_f32_f16_sdwa v17, v2 dst_sel:DWORD dst_unused:UNUSED_PAD src0_sel:WORD_1
	v_cvt_f32_f16_e32 v16, v2
	;;#ASMSTART
	v_pk_mul_f32 v[14:15], v[14:15], v[6:7]
	;;#ASMEND
	;;#ASMSTART
	v_pk_mul_f32 v[2:3], v[12:13], v[6:7]
	;;#ASMEND
	v_cvt_f32_f16_sdwa v13, v4 dst_sel:DWORD dst_unused:UNUSED_PAD src0_sel:WORD_1
	v_cvt_f32_f16_e32 v12, v4
	v_pk_add_f32 v[6:7], v[16:17], 1.0 op_sel_hi:[1,0]
	v_cvt_f32_f16_sdwa v17, v5 dst_sel:DWORD dst_unused:UNUSED_PAD src0_sel:WORD_1
	v_cvt_f32_f16_e32 v16, v5
	;;#ASMSTART
	v_pk_mul_f32 v[6:7], v[8:9], v[6:7]
	;;#ASMEND
	v_pk_add_f32 v[8:9], v[18:19], 1.0 op_sel_hi:[1,0]
	;;#ASMSTART
	v_pk_mul_f32 v[4:5], v[10:11], v[8:9]
	;;#ASMEND
	v_pk_add_f32 v[8:9], v[12:13], 1.0 op_sel_hi:[1,0]
	;; [unrolled: 4-line block ×3, first 2 shown]
	;;#ASMSTART
	v_pk_mul_f32 v[2:3], v[2:3], v[10:11]
	;;#ASMEND
	s_mul_i32 s0, s27, s6
	v_cvt_f16_f32_e32 v0, v6
	v_cvt_f16_f32_e32 v6, v7
	;; [unrolled: 1-line block ×8, first 2 shown]
	s_lshl_b64 s[0:1], s[0:1], 1
	s_add_u32 s8, s14, s0
	s_addc_u32 s0, s15, s1
	s_and_b32 s9, s0, 0xffff
	v_pack_b32_f16 v2, v0, v6
	v_pack_b32_f16 v3, v4, v5
	;; [unrolled: 1-line block ×4, first 2 shown]
	buffer_store_dwordx4 v[2:5], v1, s[8:11], 0 offen
	;;#ASMSTART
	s_nop 0
	;;#ASMEND
	s_endpgm
	.section	.rodata,"a",@progbits
	.p2align	6, 0x0
	.amdhsa_kernel _ZN5aiter35fused_qk_rmsnorm_group_quant_kernelIDF16_N4opus5fp4_tELi128ELi8ELi8ELb0ELb1ELb1ELb1ELb0ELb0EEEvPT0_PvPT_S7_S7_PKS6_S9_S9_S9_S9_ffiiiiiiiiiiiii
		.amdhsa_group_segment_fixed_size 16
		.amdhsa_private_segment_fixed_size 0
		.amdhsa_kernarg_size 400
		.amdhsa_user_sgpr_count 6
		.amdhsa_user_sgpr_private_segment_buffer 1
		.amdhsa_user_sgpr_dispatch_ptr 0
		.amdhsa_user_sgpr_queue_ptr 0
		.amdhsa_user_sgpr_kernarg_segment_ptr 1
		.amdhsa_user_sgpr_dispatch_id 0
		.amdhsa_user_sgpr_flat_scratch_init 0
		.amdhsa_user_sgpr_kernarg_preload_length 0
		.amdhsa_user_sgpr_kernarg_preload_offset 0
		.amdhsa_user_sgpr_private_segment_size 0
		.amdhsa_uses_dynamic_stack 0
		.amdhsa_system_sgpr_private_segment_wavefront_offset 0
		.amdhsa_system_sgpr_workgroup_id_x 1
		.amdhsa_system_sgpr_workgroup_id_y 1
		.amdhsa_system_sgpr_workgroup_id_z 0
		.amdhsa_system_sgpr_workgroup_info 0
		.amdhsa_system_vgpr_workitem_id 0
		.amdhsa_next_free_vgpr 23
		.amdhsa_next_free_sgpr 32
		.amdhsa_accum_offset 24
		.amdhsa_reserve_vcc 1
		.amdhsa_reserve_flat_scratch 0
		.amdhsa_float_round_mode_32 0
		.amdhsa_float_round_mode_16_64 0
		.amdhsa_float_denorm_mode_32 3
		.amdhsa_float_denorm_mode_16_64 3
		.amdhsa_dx10_clamp 1
		.amdhsa_ieee_mode 1
		.amdhsa_fp16_overflow 0
		.amdhsa_tg_split 0
		.amdhsa_exception_fp_ieee_invalid_op 0
		.amdhsa_exception_fp_denorm_src 0
		.amdhsa_exception_fp_ieee_div_zero 0
		.amdhsa_exception_fp_ieee_overflow 0
		.amdhsa_exception_fp_ieee_underflow 0
		.amdhsa_exception_fp_ieee_inexact 0
		.amdhsa_exception_int_div_zero 0
	.end_amdhsa_kernel
	.section	.text._ZN5aiter35fused_qk_rmsnorm_group_quant_kernelIDF16_N4opus5fp4_tELi128ELi8ELi8ELb0ELb1ELb1ELb1ELb0ELb0EEEvPT0_PvPT_S7_S7_PKS6_S9_S9_S9_S9_ffiiiiiiiiiiiii,"axG",@progbits,_ZN5aiter35fused_qk_rmsnorm_group_quant_kernelIDF16_N4opus5fp4_tELi128ELi8ELi8ELb0ELb1ELb1ELb1ELb0ELb0EEEvPT0_PvPT_S7_S7_PKS6_S9_S9_S9_S9_ffiiiiiiiiiiiii,comdat
.Lfunc_end371:
	.size	_ZN5aiter35fused_qk_rmsnorm_group_quant_kernelIDF16_N4opus5fp4_tELi128ELi8ELi8ELb0ELb1ELb1ELb1ELb0ELb0EEEvPT0_PvPT_S7_S7_PKS6_S9_S9_S9_S9_ffiiiiiiiiiiiii, .Lfunc_end371-_ZN5aiter35fused_qk_rmsnorm_group_quant_kernelIDF16_N4opus5fp4_tELi128ELi8ELi8ELb0ELb1ELb1ELb1ELb0ELb0EEEvPT0_PvPT_S7_S7_PKS6_S9_S9_S9_S9_ffiiiiiiiiiiiii
                                        ; -- End function
	.section	.AMDGPU.csdata,"",@progbits
; Kernel info:
; codeLenInByte = 2068
; NumSgprs: 36
; NumVgprs: 23
; NumAgprs: 0
; TotalNumVgprs: 23
; ScratchSize: 0
; MemoryBound: 0
; FloatMode: 240
; IeeeMode: 1
; LDSByteSize: 16 bytes/workgroup (compile time only)
; SGPRBlocks: 4
; VGPRBlocks: 2
; NumSGPRsForWavesPerEU: 36
; NumVGPRsForWavesPerEU: 23
; AccumOffset: 24
; Occupancy: 8
; WaveLimiterHint : 0
; COMPUTE_PGM_RSRC2:SCRATCH_EN: 0
; COMPUTE_PGM_RSRC2:USER_SGPR: 6
; COMPUTE_PGM_RSRC2:TRAP_HANDLER: 0
; COMPUTE_PGM_RSRC2:TGID_X_EN: 1
; COMPUTE_PGM_RSRC2:TGID_Y_EN: 1
; COMPUTE_PGM_RSRC2:TGID_Z_EN: 0
; COMPUTE_PGM_RSRC2:TIDIG_COMP_CNT: 0
; COMPUTE_PGM_RSRC3_GFX90A:ACCUM_OFFSET: 5
; COMPUTE_PGM_RSRC3_GFX90A:TG_SPLIT: 0
	.section	.text._ZN5aiter35fused_qk_rmsnorm_group_quant_kernelItN4opus5fp4_tELi128ELi8ELi8ELb0ELb1ELb1ELb1ELb0ELb0EEEvPT0_PvPT_S7_S7_PKS6_S9_S9_S9_S9_ffiiiiiiiiiiiii,"axG",@progbits,_ZN5aiter35fused_qk_rmsnorm_group_quant_kernelItN4opus5fp4_tELi128ELi8ELi8ELb0ELb1ELb1ELb1ELb0ELb0EEEvPT0_PvPT_S7_S7_PKS6_S9_S9_S9_S9_ffiiiiiiiiiiiii,comdat
	.protected	_ZN5aiter35fused_qk_rmsnorm_group_quant_kernelItN4opus5fp4_tELi128ELi8ELi8ELb0ELb1ELb1ELb1ELb0ELb0EEEvPT0_PvPT_S7_S7_PKS6_S9_S9_S9_S9_ffiiiiiiiiiiiii ; -- Begin function _ZN5aiter35fused_qk_rmsnorm_group_quant_kernelItN4opus5fp4_tELi128ELi8ELi8ELb0ELb1ELb1ELb1ELb0ELb0EEEvPT0_PvPT_S7_S7_PKS6_S9_S9_S9_S9_ffiiiiiiiiiiiii
	.globl	_ZN5aiter35fused_qk_rmsnorm_group_quant_kernelItN4opus5fp4_tELi128ELi8ELi8ELb0ELb1ELb1ELb1ELb0ELb0EEEvPT0_PvPT_S7_S7_PKS6_S9_S9_S9_S9_ffiiiiiiiiiiiii
	.p2align	8
	.type	_ZN5aiter35fused_qk_rmsnorm_group_quant_kernelItN4opus5fp4_tELi128ELi8ELi8ELb0ELb1ELb1ELb1ELb0ELb0EEEvPT0_PvPT_S7_S7_PKS6_S9_S9_S9_S9_ffiiiiiiiiiiiii,@function
_ZN5aiter35fused_qk_rmsnorm_group_quant_kernelItN4opus5fp4_tELi128ELi8ELi8ELb0ELb1ELb1ELb1ELb0ELb0EEEvPT0_PvPT_S7_S7_PKS6_S9_S9_S9_S9_ffiiiiiiiiiiiii: ; @_ZN5aiter35fused_qk_rmsnorm_group_quant_kernelItN4opus5fp4_tELi128ELi8ELi8ELb0ELb1ELb1ELb1ELb0ELb0EEEvPT0_PvPT_S7_S7_PKS6_S9_S9_S9_S9_ffiiiiiiiiiiiii
; %bb.0:
	s_load_dwordx4 s[12:15], s[4:5], 0x50
	s_waitcnt lgkmcnt(0)
	s_cmp_ge_i32 s6, s14
	s_cbranch_scc1 .LBB372_10
; %bb.1:
	s_load_dwordx2 s[24:25], s[4:5], 0x30
	s_load_dwordx2 s[8:9], s[4:5], 0x48
	s_load_dwordx4 s[16:19], s[4:5], 0x60
	s_cmp_lg_u32 s7, 0
	s_cselect_b64 s[10:11], -1, 0
	s_cmp_eq_u32 s7, 0
	s_cselect_b64 vcc, -1, 0
	s_and_b64 s[0:1], vcc, exec
	s_waitcnt lgkmcnt(0)
	s_cselect_b32 s7, s15, s16
	s_add_i32 s0, s7, 1
	s_lshr_b32 s1, s0, 31
	s_add_i32 s0, s0, s1
	s_lshl_b32 s0, s0, 1
	v_lshlrev_b32_e32 v1, 3, v0
	s_and_b32 s22, s0, -4
	v_cmp_gt_i32_e64 s[2:3], s7, v1
	v_mov_b32_e32 v2, 0
	v_mov_b32_e32 v3, 0
	v_mov_b32_e32 v4, 0
	v_mov_b32_e32 v5, 0
	v_mov_b32_e32 v6, 0
	v_mov_b32_e32 v7, 0
	v_mov_b32_e32 v8, 0
	v_mov_b32_e32 v9, 0
	s_and_saveexec_b64 s[0:1], s[2:3]
	s_cbranch_execz .LBB372_3
; %bb.2:
	s_load_dwordx2 s[14:15], s[4:5], 0x28
	s_load_dwordx2 s[20:21], s[4:5], 0x40
	s_and_b64 s[26:27], vcc, exec
	s_cselect_b32 s17, s17, s18
	v_lshlrev_b32_e32 v10, 4, v0
	s_waitcnt lgkmcnt(0)
	s_cselect_b32 s19, s15, s25
	s_cselect_b32 s23, s14, s24
	s_mul_hi_i32 s15, s17, s6
	s_mul_i32 s14, s17, s6
	s_lshl_b64 s[14:15], s[14:15], 1
	s_add_u32 s28, s23, s14
	s_addc_u32 s17, s19, s15
	s_and_b64 s[14:15], vcc, exec
	s_mov_b32 s23, 0x20000
	s_cselect_b32 s20, s20, s8
	s_cselect_b32 s14, s21, s9
	s_and_b32 s29, s17, 0xffff
	s_mov_b32 s30, s22
	s_mov_b32 s31, s23
	s_and_b32 s21, s14, 0xffff
	buffer_load_dwordx4 v[6:9], v10, s[28:31], 0 offen glc slc
	buffer_load_dwordx4 v[2:5], v10, s[20:23], 0 offen
.LBB372_3:
	s_or_b64 exec, exec, s[0:1]
	s_waitcnt vmcnt(1)
	v_cvt_f32_u32_sdwa v14, v6 dst_sel:DWORD dst_unused:UNUSED_PAD src0_sel:WORD_0
	v_cvt_f32_u32_sdwa v15, v6 dst_sel:DWORD dst_unused:UNUSED_PAD src0_sel:WORD_1
	v_cvt_f32_u32_sdwa v6, v9 dst_sel:DWORD dst_unused:UNUSED_PAD src0_sel:WORD_1
	v_cvt_f32_u32_sdwa v9, v9 dst_sel:DWORD dst_unused:UNUSED_PAD src0_sel:WORD_0
	v_cvt_f32_u32_sdwa v10, v8 dst_sel:DWORD dst_unused:UNUSED_PAD src0_sel:WORD_1
	v_cvt_f32_u32_sdwa v8, v8 dst_sel:DWORD dst_unused:UNUSED_PAD src0_sel:WORD_0
	v_cvt_f32_u32_sdwa v12, v7 dst_sel:DWORD dst_unused:UNUSED_PAD src0_sel:WORD_0
	v_cvt_f32_u32_sdwa v13, v7 dst_sel:DWORD dst_unused:UNUSED_PAD src0_sel:WORD_1
	v_cndmask_b32_e64 v7, 0, v6, s[2:3]
	v_cndmask_b32_e64 v6, 0, v9, s[2:3]
	;; [unrolled: 1-line block ×6, first 2 shown]
	v_mul_f32_e32 v14, v9, v9
	v_cndmask_b32_e64 v12, 0, v12, s[2:3]
	v_fmac_f32_e32 v14, v8, v8
	v_cndmask_b32_e64 v13, 0, v13, s[2:3]
	v_fmac_f32_e32 v14, v12, v12
	v_fmac_f32_e32 v14, v13, v13
	;; [unrolled: 1-line block ×6, first 2 shown]
	v_and_b32_e32 v16, 63, v0
	v_cmp_eq_u32_e64 s[0:1], 63, v16
	v_mov_b32_dpp v15, v14 quad_perm:[1,0,3,2] row_mask:0xf bank_mask:0xf
	v_add_f32_e32 v14, v14, v15
	s_nop 1
	v_mov_b32_dpp v15, v14 quad_perm:[2,3,0,1] row_mask:0xf bank_mask:0xf
	v_add_f32_e32 v14, v14, v15
	s_nop 1
	v_mov_b32_dpp v15, v14 row_half_mirror row_mask:0xf bank_mask:0xf
	v_add_f32_e32 v14, v14, v15
	s_nop 1
	v_mov_b32_dpp v15, v14 row_mirror row_mask:0xf bank_mask:0xf
	v_add_f32_e32 v14, v14, v15
	s_nop 1
	v_mov_b32_dpp v15, v14 row_bcast:15 row_mask:0xf bank_mask:0xf
	v_add_f32_e32 v14, v14, v15
	s_nop 1
	v_mov_b32_dpp v15, v14 row_bcast:31 row_mask:0xf bank_mask:0xf
	s_and_saveexec_b64 s[14:15], s[0:1]
	s_cbranch_execz .LBB372_5
; %bb.4:
	v_add_f32_e32 v14, v14, v15
	v_lshrrev_b32_e32 v15, 4, v0
	v_and_b32_e32 v15, 60, v15
	ds_write_b32 v15, v14 offset:8
.LBB372_5:
	s_or_b64 exec, exec, s[14:15]
	v_and_b32_e32 v14, 1, v0
	v_lshlrev_b32_e32 v14, 2, v14
	s_waitcnt lgkmcnt(0)
	s_barrier
	ds_read_b32 v15, v14 offset:8
	s_load_dwordx2 s[14:15], s[4:5], 0x18
	s_waitcnt lgkmcnt(0)
	v_mov_b32_dpp v16, v15 quad_perm:[1,0,3,2] row_mask:0xf bank_mask:0xf
	s_and_saveexec_b64 s[20:21], s[2:3]
	s_cbranch_execz .LBB372_7
; %bb.6:
	v_cvt_f32_u32_e32 v17, s7
	v_add_f32_e32 v15, v15, v16
	v_mov_b32_e32 v19, s13
	v_mov_b32_e32 v20, s12
	v_div_scale_f32 v16, s[26:27], v17, v17, v15
	v_rcp_f32_e32 v18, v16
	v_cndmask_b32_e32 v19, v19, v20, vcc
	s_mov_b32 s7, 0x800000
	v_fma_f32 v20, -v16, v18, 1.0
	v_fmac_f32_e32 v18, v20, v18
	v_div_scale_f32 v20, vcc, v15, v17, v15
	v_mul_f32_e32 v21, v20, v18
	v_fma_f32 v22, -v16, v21, v20
	v_fmac_f32_e32 v21, v22, v18
	v_fma_f32 v16, -v16, v21, v20
	v_div_fmas_f32 v16, v16, v18, v21
	v_div_fixup_f32 v15, v16, v17, v15
	v_add_f32_e32 v15, v19, v15
	v_mul_f32_e32 v16, 0x4b800000, v15
	v_cmp_gt_f32_e32 vcc, s7, v15
	v_cndmask_b32_e32 v15, v15, v16, vcc
	v_rsq_f32_e32 v15, v15
	s_waitcnt vmcnt(0)
	v_cvt_f32_u32_sdwa v19, v2 dst_sel:DWORD dst_unused:UNUSED_PAD src0_sel:WORD_1
	v_cvt_f32_u32_sdwa v18, v2 dst_sel:DWORD dst_unused:UNUSED_PAD src0_sel:WORD_0
	v_cvt_f32_u32_sdwa v21, v3 dst_sel:DWORD dst_unused:UNUSED_PAD src0_sel:WORD_1
	v_mul_f32_e32 v16, 0x45800000, v15
	v_cndmask_b32_e32 v16, v15, v16, vcc
	v_mov_b32_e32 v17, v16
	;;#ASMSTART
	v_pk_mul_f32 v[8:9], v[8:9], v[16:17]
	;;#ASMEND
	;;#ASMSTART
	v_pk_mul_f32 v[12:13], v[12:13], v[16:17]
	;;#ASMEND
	;; [unrolled: 3-line block ×3, first 2 shown]
	v_cvt_f32_u32_sdwa v20, v3 dst_sel:DWORD dst_unused:UNUSED_PAD src0_sel:WORD_0
	;;#ASMSTART
	v_pk_mul_f32 v[2:3], v[6:7], v[16:17]
	;;#ASMEND
	v_cvt_f32_u32_sdwa v17, v4 dst_sel:DWORD dst_unused:UNUSED_PAD src0_sel:WORD_1
	v_cvt_f32_u32_sdwa v16, v4 dst_sel:DWORD dst_unused:UNUSED_PAD src0_sel:WORD_0
	v_pk_add_f32 v[6:7], v[18:19], 1.0 op_sel_hi:[1,0]
	v_cvt_f32_u32_sdwa v19, v5 dst_sel:DWORD dst_unused:UNUSED_PAD src0_sel:WORD_1
	v_cvt_f32_u32_sdwa v18, v5 dst_sel:DWORD dst_unused:UNUSED_PAD src0_sel:WORD_0
	;;#ASMSTART
	v_pk_mul_f32 v[8:9], v[8:9], v[6:7]
	;;#ASMEND
	v_pk_add_f32 v[6:7], v[20:21], 1.0 op_sel_hi:[1,0]
	v_pk_add_f32 v[4:5], v[16:17], 1.0 op_sel_hi:[1,0]
	;;#ASMSTART
	v_pk_mul_f32 v[12:13], v[12:13], v[6:7]
	;;#ASMEND
	;;#ASMSTART
	v_pk_mul_f32 v[10:11], v[10:11], v[4:5]
	;;#ASMEND
	v_pk_add_f32 v[4:5], v[18:19], 1.0 op_sel_hi:[1,0]
	;;#ASMSTART
	v_pk_mul_f32 v[6:7], v[2:3], v[4:5]
	;;#ASMEND
.LBB372_7:
	s_or_b64 exec, exec, s[20:21]
	s_load_dwordx2 s[26:27], s[4:5], 0x7c
	s_mov_b64 s[20:21], -1
	s_and_b64 vcc, exec, s[10:11]
	s_cbranch_vccnz .LBB372_11
; %bb.8:
	s_andn2_b64 vcc, exec, s[20:21]
	s_cbranch_vccz .LBB372_14
.LBB372_9:
	s_cmp_lt_i32 s16, 1
	s_cbranch_scc0 .LBB372_17
.LBB372_10:
	s_endpgm
.LBB372_11:
	s_and_saveexec_b64 s[10:11], s[2:3]
	s_cbranch_execz .LBB372_13
; %bb.12:
	s_waitcnt lgkmcnt(0)
	s_mul_hi_i32 s21, s27, s6
	s_mul_i32 s20, s27, s6
	s_lshl_b64 s[20:21], s[20:21], 1
	s_add_u32 s20, s14, s20
	s_addc_u32 s7, s15, s21
	s_and_b32 s21, s7, 0xffff
	s_mov_b32 s7, 0x7060302
	s_mov_b32 s23, 0x20000
	s_waitcnt vmcnt(0)
	v_perm_b32 v2, v9, v8, s7
	v_perm_b32 v3, v13, v12, s7
	;; [unrolled: 1-line block ×4, first 2 shown]
	v_lshlrev_b32_e32 v15, 4, v0
	buffer_store_dwordx4 v[2:5], v15, s[20:23], 0 offen
	;;#ASMSTART
	s_nop 0
	;;#ASMEND
.LBB372_13:
	s_or_b64 exec, exec, s[10:11]
	s_cbranch_execnz .LBB372_9
.LBB372_14:
	s_and_saveexec_b64 s[10:11], s[2:3]
	s_cbranch_execz .LBB372_16
; %bb.15:
	s_load_dwordx2 s[2:3], s[4:5], 0x10
	s_waitcnt lgkmcnt(0)
	s_mul_hi_i32 s21, s26, s6
	s_mul_i32 s20, s26, s6
	s_lshl_b64 s[20:21], s[20:21], 1
	s_mov_b32 s23, 0x20000
	s_add_u32 s20, s2, s20
	s_addc_u32 s2, s3, s21
	s_and_b32 s21, s2, 0xffff
	s_mov_b32 s2, 0x7060302
	s_waitcnt vmcnt(0)
	v_perm_b32 v2, v9, v8, s2
	v_perm_b32 v3, v13, v12, s2
	;; [unrolled: 1-line block ×4, first 2 shown]
	v_lshlrev_b32_e32 v6, 4, v0
	buffer_store_dwordx4 v[2:5], v6, s[20:23], 0 offen
	;;#ASMSTART
	s_nop 0
	;;#ASMEND
.LBB372_16:
	s_or_b64 exec, exec, s[10:11]
	s_cmp_lt_i32 s16, 1
	s_cbranch_scc1 .LBB372_10
.LBB372_17:
	s_load_dword s2, s[4:5], 0x94
	s_waitcnt lgkmcnt(0)
	s_cmp_lg_u32 s2, 1
	s_cbranch_scc1 .LBB372_10
; %bb.18:
	s_lshl_b32 s2, s16, 1
	s_add_i32 s2, s2, 2
	v_cmp_gt_u32_e32 vcc, s16, v1
	s_and_b32 s10, s2, -4
	v_mov_b32_e32 v6, 0
	v_lshlrev_b32_e32 v1, 4, v0
	v_mov_b32_e32 v7, 0
	v_mov_b32_e32 v8, 0
	v_mov_b32_e32 v9, 0
	s_waitcnt vmcnt(0)
	v_mov_b32_e32 v2, 0
	v_mov_b32_e32 v3, 0
	;; [unrolled: 1-line block ×4, first 2 shown]
	s_barrier
	s_and_saveexec_b64 s[2:3], vcc
	s_cbranch_execz .LBB372_20
; %bb.19:
	s_mul_hi_i32 s5, s18, s6
	s_mul_i32 s4, s18, s6
	s_and_b32 s9, s9, 0xffff
	s_lshl_b64 s[4:5], s[4:5], 1
	s_add_u32 s20, s24, s4
	s_mov_b32 s11, 0x20000
	s_addc_u32 s4, s25, s5
	s_and_b32 s21, s4, 0xffff
	s_mov_b32 s22, s10
	s_mov_b32 s23, s11
	buffer_load_dwordx4 v[6:9], v1, s[20:23], 0 offen glc slc
	buffer_load_dwordx4 v[2:5], v1, s[8:11], 0 offen
.LBB372_20:
	s_or_b64 exec, exec, s[2:3]
	s_waitcnt vmcnt(1)
	v_cvt_f32_u32_sdwa v13, v6 dst_sel:DWORD dst_unused:UNUSED_PAD src0_sel:WORD_1
	v_cvt_f32_u32_sdwa v12, v6 dst_sel:DWORD dst_unused:UNUSED_PAD src0_sel:WORD_0
	v_cvt_f32_u32_sdwa v6, v9 dst_sel:DWORD dst_unused:UNUSED_PAD src0_sel:WORD_1
	v_cvt_f32_u32_sdwa v9, v9 dst_sel:DWORD dst_unused:UNUSED_PAD src0_sel:WORD_0
	;; [unrolled: 2-line block ×4, first 2 shown]
	v_cndmask_b32_e32 v13, 0, v13, vcc
	v_cndmask_b32_e32 v7, 0, v6, vcc
	;; [unrolled: 1-line block ×5, first 2 shown]
	v_mul_f32_e32 v15, v13, v13
	v_cndmask_b32_e32 v10, 0, v10, vcc
	v_fmac_f32_e32 v15, v12, v12
	v_cndmask_b32_e32 v11, 0, v11, vcc
	v_fmac_f32_e32 v15, v10, v10
	;; [unrolled: 2-line block ×3, first 2 shown]
	v_fmac_f32_e32 v15, v8, v8
	v_fmac_f32_e32 v15, v9, v9
	;; [unrolled: 1-line block ×4, first 2 shown]
	s_nop 1
	v_mov_b32_dpp v16, v15 quad_perm:[1,0,3,2] row_mask:0xf bank_mask:0xf
	v_add_f32_e32 v15, v15, v16
	s_nop 1
	v_mov_b32_dpp v16, v15 quad_perm:[2,3,0,1] row_mask:0xf bank_mask:0xf
	v_add_f32_e32 v15, v15, v16
	s_nop 1
	v_mov_b32_dpp v16, v15 row_half_mirror row_mask:0xf bank_mask:0xf
	v_add_f32_e32 v15, v15, v16
	s_nop 1
	v_mov_b32_dpp v16, v15 row_mirror row_mask:0xf bank_mask:0xf
	v_add_f32_e32 v15, v15, v16
	s_nop 1
	v_mov_b32_dpp v16, v15 row_bcast:15 row_mask:0xf bank_mask:0xf
	v_add_f32_e32 v15, v15, v16
	s_nop 1
	v_mov_b32_dpp v16, v15 row_bcast:31 row_mask:0xf bank_mask:0xf
	s_and_saveexec_b64 s[2:3], s[0:1]
	s_cbranch_execz .LBB372_22
; %bb.21:
	v_lshrrev_b32_e32 v0, 4, v0
	v_add_f32_e32 v15, v15, v16
	v_and_b32_e32 v0, 60, v0
	ds_write_b32 v0, v15
.LBB372_22:
	s_or_b64 exec, exec, s[2:3]
	s_waitcnt lgkmcnt(0)
	s_barrier
	ds_read_b32 v0, v14
	s_waitcnt lgkmcnt(0)
	s_nop 0
	v_mov_b32_dpp v14, v0 quad_perm:[1,0,3,2] row_mask:0xf bank_mask:0xf
	s_and_saveexec_b64 s[0:1], vcc
	s_cbranch_execz .LBB372_10
; %bb.23:
	v_cvt_f32_u32_e32 v15, s16
	v_add_f32_e32 v0, v0, v14
	s_mov_b32 s11, 0x20000
	v_div_scale_f32 v14, s[0:1], v15, v15, v0
	v_rcp_f32_e32 v16, v14
	v_div_scale_f32 v17, vcc, v0, v15, v0
	s_mov_b32 s0, 0x800000
	v_fma_f32 v18, -v14, v16, 1.0
	v_fmac_f32_e32 v16, v18, v16
	v_mul_f32_e32 v18, v17, v16
	v_fma_f32 v19, -v14, v18, v17
	v_fmac_f32_e32 v18, v19, v16
	v_fma_f32 v14, -v14, v18, v17
	v_div_fmas_f32 v14, v14, v16, v18
	v_div_fixup_f32 v0, v14, v15, v0
	v_add_f32_e32 v0, s13, v0
	v_mul_f32_e32 v14, 0x4b800000, v0
	v_cmp_gt_f32_e32 vcc, s0, v0
	v_cndmask_b32_e32 v0, v0, v14, vcc
	v_rsq_f32_e32 v0, v0
	s_waitcnt vmcnt(0)
	v_cvt_f32_u32_sdwa v17, v2 dst_sel:DWORD dst_unused:UNUSED_PAD src0_sel:WORD_1
	v_cvt_f32_u32_sdwa v16, v2 dst_sel:DWORD dst_unused:UNUSED_PAD src0_sel:WORD_0
	v_cvt_f32_u32_sdwa v19, v3 dst_sel:DWORD dst_unused:UNUSED_PAD src0_sel:WORD_1
	v_mul_f32_e32 v14, 0x45800000, v0
	v_cndmask_b32_e32 v14, v0, v14, vcc
	v_mov_b32_e32 v15, v14
	;;#ASMSTART
	v_pk_mul_f32 v[12:13], v[12:13], v[14:15]
	;;#ASMEND
	;;#ASMSTART
	v_pk_mul_f32 v[10:11], v[10:11], v[14:15]
	;;#ASMEND
	;; [unrolled: 3-line block ×3, first 2 shown]
	v_cvt_f32_u32_sdwa v18, v3 dst_sel:DWORD dst_unused:UNUSED_PAD src0_sel:WORD_0
	;;#ASMSTART
	v_pk_mul_f32 v[2:3], v[6:7], v[14:15]
	;;#ASMEND
	v_cvt_f32_u32_sdwa v15, v4 dst_sel:DWORD dst_unused:UNUSED_PAD src0_sel:WORD_1
	v_cvt_f32_u32_sdwa v14, v4 dst_sel:DWORD dst_unused:UNUSED_PAD src0_sel:WORD_0
	v_pk_add_f32 v[6:7], v[16:17], 1.0 op_sel_hi:[1,0]
	v_cvt_f32_u32_sdwa v17, v5 dst_sel:DWORD dst_unused:UNUSED_PAD src0_sel:WORD_1
	v_cvt_f32_u32_sdwa v16, v5 dst_sel:DWORD dst_unused:UNUSED_PAD src0_sel:WORD_0
	s_mul_hi_i32 s1, s27, s6
	s_mul_i32 s0, s27, s6
	s_lshl_b64 s[0:1], s[0:1], 1
	s_add_u32 s8, s14, s0
	;;#ASMSTART
	v_pk_mul_f32 v[6:7], v[12:13], v[6:7]
	;;#ASMEND
	v_pk_add_f32 v[12:13], v[18:19], 1.0 op_sel_hi:[1,0]
	;;#ASMSTART
	v_pk_mul_f32 v[4:5], v[10:11], v[12:13]
	;;#ASMEND
	v_pk_add_f32 v[10:11], v[14:15], 1.0 op_sel_hi:[1,0]
	s_addc_u32 s0, s15, s1
	;;#ASMSTART
	v_pk_mul_f32 v[8:9], v[8:9], v[10:11]
	;;#ASMEND
	v_pk_add_f32 v[10:11], v[16:17], 1.0 op_sel_hi:[1,0]
	s_and_b32 s9, s0, 0xffff
	s_mov_b32 s0, 0x7060302
	;;#ASMSTART
	v_pk_mul_f32 v[10:11], v[2:3], v[10:11]
	;;#ASMEND
	v_perm_b32 v2, v7, v6, s0
	v_perm_b32 v3, v5, v4, s0
	;; [unrolled: 1-line block ×4, first 2 shown]
	buffer_store_dwordx4 v[2:5], v1, s[8:11], 0 offen
	;;#ASMSTART
	s_nop 0
	;;#ASMEND
	s_endpgm
	.section	.rodata,"a",@progbits
	.p2align	6, 0x0
	.amdhsa_kernel _ZN5aiter35fused_qk_rmsnorm_group_quant_kernelItN4opus5fp4_tELi128ELi8ELi8ELb0ELb1ELb1ELb1ELb0ELb0EEEvPT0_PvPT_S7_S7_PKS6_S9_S9_S9_S9_ffiiiiiiiiiiiii
		.amdhsa_group_segment_fixed_size 16
		.amdhsa_private_segment_fixed_size 0
		.amdhsa_kernarg_size 400
		.amdhsa_user_sgpr_count 6
		.amdhsa_user_sgpr_private_segment_buffer 1
		.amdhsa_user_sgpr_dispatch_ptr 0
		.amdhsa_user_sgpr_queue_ptr 0
		.amdhsa_user_sgpr_kernarg_segment_ptr 1
		.amdhsa_user_sgpr_dispatch_id 0
		.amdhsa_user_sgpr_flat_scratch_init 0
		.amdhsa_user_sgpr_kernarg_preload_length 0
		.amdhsa_user_sgpr_kernarg_preload_offset 0
		.amdhsa_user_sgpr_private_segment_size 0
		.amdhsa_uses_dynamic_stack 0
		.amdhsa_system_sgpr_private_segment_wavefront_offset 0
		.amdhsa_system_sgpr_workgroup_id_x 1
		.amdhsa_system_sgpr_workgroup_id_y 1
		.amdhsa_system_sgpr_workgroup_id_z 0
		.amdhsa_system_sgpr_workgroup_info 0
		.amdhsa_system_vgpr_workitem_id 0
		.amdhsa_next_free_vgpr 23
		.amdhsa_next_free_sgpr 32
		.amdhsa_accum_offset 24
		.amdhsa_reserve_vcc 1
		.amdhsa_reserve_flat_scratch 0
		.amdhsa_float_round_mode_32 0
		.amdhsa_float_round_mode_16_64 0
		.amdhsa_float_denorm_mode_32 3
		.amdhsa_float_denorm_mode_16_64 3
		.amdhsa_dx10_clamp 1
		.amdhsa_ieee_mode 1
		.amdhsa_fp16_overflow 0
		.amdhsa_tg_split 0
		.amdhsa_exception_fp_ieee_invalid_op 0
		.amdhsa_exception_fp_denorm_src 0
		.amdhsa_exception_fp_ieee_div_zero 0
		.amdhsa_exception_fp_ieee_overflow 0
		.amdhsa_exception_fp_ieee_underflow 0
		.amdhsa_exception_fp_ieee_inexact 0
		.amdhsa_exception_int_div_zero 0
	.end_amdhsa_kernel
	.section	.text._ZN5aiter35fused_qk_rmsnorm_group_quant_kernelItN4opus5fp4_tELi128ELi8ELi8ELb0ELb1ELb1ELb1ELb0ELb0EEEvPT0_PvPT_S7_S7_PKS6_S9_S9_S9_S9_ffiiiiiiiiiiiii,"axG",@progbits,_ZN5aiter35fused_qk_rmsnorm_group_quant_kernelItN4opus5fp4_tELi128ELi8ELi8ELb0ELb1ELb1ELb1ELb0ELb0EEEvPT0_PvPT_S7_S7_PKS6_S9_S9_S9_S9_ffiiiiiiiiiiiii,comdat
.Lfunc_end372:
	.size	_ZN5aiter35fused_qk_rmsnorm_group_quant_kernelItN4opus5fp4_tELi128ELi8ELi8ELb0ELb1ELb1ELb1ELb0ELb0EEEvPT0_PvPT_S7_S7_PKS6_S9_S9_S9_S9_ffiiiiiiiiiiiii, .Lfunc_end372-_ZN5aiter35fused_qk_rmsnorm_group_quant_kernelItN4opus5fp4_tELi128ELi8ELi8ELb0ELb1ELb1ELb1ELb0ELb0EEEvPT0_PvPT_S7_S7_PKS6_S9_S9_S9_S9_ffiiiiiiiiiiiii
                                        ; -- End function
	.section	.AMDGPU.csdata,"",@progbits
; Kernel info:
; codeLenInByte = 2060
; NumSgprs: 36
; NumVgprs: 23
; NumAgprs: 0
; TotalNumVgprs: 23
; ScratchSize: 0
; MemoryBound: 0
; FloatMode: 240
; IeeeMode: 1
; LDSByteSize: 16 bytes/workgroup (compile time only)
; SGPRBlocks: 4
; VGPRBlocks: 2
; NumSGPRsForWavesPerEU: 36
; NumVGPRsForWavesPerEU: 23
; AccumOffset: 24
; Occupancy: 8
; WaveLimiterHint : 0
; COMPUTE_PGM_RSRC2:SCRATCH_EN: 0
; COMPUTE_PGM_RSRC2:USER_SGPR: 6
; COMPUTE_PGM_RSRC2:TRAP_HANDLER: 0
; COMPUTE_PGM_RSRC2:TGID_X_EN: 1
; COMPUTE_PGM_RSRC2:TGID_Y_EN: 1
; COMPUTE_PGM_RSRC2:TGID_Z_EN: 0
; COMPUTE_PGM_RSRC2:TIDIG_COMP_CNT: 0
; COMPUTE_PGM_RSRC3_GFX90A:ACCUM_OFFSET: 5
; COMPUTE_PGM_RSRC3_GFX90A:TG_SPLIT: 0
	.section	.text._ZN5aiter35fused_qk_rmsnorm_group_quant_kernelIDF16_DB8_Li128ELi8ELi8ELb0ELb1ELb0ELb1ELb0ELb0EEEvPT0_PvPT_S6_S6_PKS5_S8_S8_S8_S8_ffiiiiiiiiiiiii,"axG",@progbits,_ZN5aiter35fused_qk_rmsnorm_group_quant_kernelIDF16_DB8_Li128ELi8ELi8ELb0ELb1ELb0ELb1ELb0ELb0EEEvPT0_PvPT_S6_S6_PKS5_S8_S8_S8_S8_ffiiiiiiiiiiiii,comdat
	.protected	_ZN5aiter35fused_qk_rmsnorm_group_quant_kernelIDF16_DB8_Li128ELi8ELi8ELb0ELb1ELb0ELb1ELb0ELb0EEEvPT0_PvPT_S6_S6_PKS5_S8_S8_S8_S8_ffiiiiiiiiiiiii ; -- Begin function _ZN5aiter35fused_qk_rmsnorm_group_quant_kernelIDF16_DB8_Li128ELi8ELi8ELb0ELb1ELb0ELb1ELb0ELb0EEEvPT0_PvPT_S6_S6_PKS5_S8_S8_S8_S8_ffiiiiiiiiiiiii
	.globl	_ZN5aiter35fused_qk_rmsnorm_group_quant_kernelIDF16_DB8_Li128ELi8ELi8ELb0ELb1ELb0ELb1ELb0ELb0EEEvPT0_PvPT_S6_S6_PKS5_S8_S8_S8_S8_ffiiiiiiiiiiiii
	.p2align	8
	.type	_ZN5aiter35fused_qk_rmsnorm_group_quant_kernelIDF16_DB8_Li128ELi8ELi8ELb0ELb1ELb0ELb1ELb0ELb0EEEvPT0_PvPT_S6_S6_PKS5_S8_S8_S8_S8_ffiiiiiiiiiiiii,@function
_ZN5aiter35fused_qk_rmsnorm_group_quant_kernelIDF16_DB8_Li128ELi8ELi8ELb0ELb1ELb0ELb1ELb0ELb0EEEvPT0_PvPT_S6_S6_PKS5_S8_S8_S8_S8_ffiiiiiiiiiiiii: ; @_ZN5aiter35fused_qk_rmsnorm_group_quant_kernelIDF16_DB8_Li128ELi8ELi8ELb0ELb1ELb0ELb1ELb0ELb0EEEvPT0_PvPT_S6_S6_PKS5_S8_S8_S8_S8_ffiiiiiiiiiiiii
; %bb.0:
	s_load_dwordx4 s[12:15], s[4:5], 0x50
	s_waitcnt lgkmcnt(0)
	s_cmp_ge_i32 s6, s14
	s_cbranch_scc1 .LBB373_12
; %bb.1:
	s_load_dwordx2 s[24:25], s[4:5], 0x30
	s_load_dwordx2 s[8:9], s[4:5], 0x48
	s_load_dwordx4 s[16:19], s[4:5], 0x60
	s_cmp_lg_u32 s7, 0
	s_cselect_b64 s[10:11], -1, 0
	s_cmp_eq_u32 s7, 0
	s_cselect_b64 vcc, -1, 0
	s_and_b64 s[0:1], vcc, exec
	s_waitcnt lgkmcnt(0)
	s_cselect_b32 s7, s15, s16
	s_add_i32 s0, s7, 1
	s_lshr_b32 s1, s0, 31
	s_add_i32 s0, s0, s1
	s_lshl_b32 s0, s0, 1
	v_lshlrev_b32_e32 v1, 3, v0
	s_and_b32 s22, s0, -4
	v_cmp_gt_i32_e64 s[2:3], s7, v1
	v_mov_b32_e32 v10, 0
	v_mov_b32_e32 v2, 0
	v_mov_b32_e32 v3, 0
	v_mov_b32_e32 v4, 0
	v_mov_b32_e32 v5, 0
	v_mov_b32_e32 v6, 0
	v_mov_b32_e32 v7, 0
	v_mov_b32_e32 v8, 0
	v_mov_b32_e32 v9, 0
	s_and_saveexec_b64 s[0:1], s[2:3]
	s_cbranch_execz .LBB373_3
; %bb.2:
	s_load_dwordx2 s[14:15], s[4:5], 0x28
	s_load_dwordx2 s[20:21], s[4:5], 0x40
	s_and_b64 s[26:27], vcc, exec
	s_cselect_b32 s17, s17, s18
	v_lshlrev_b32_e32 v11, 4, v0
	s_waitcnt lgkmcnt(0)
	s_cselect_b32 s19, s15, s25
	s_cselect_b32 s23, s14, s24
	s_mul_hi_i32 s15, s17, s6
	s_mul_i32 s14, s17, s6
	s_lshl_b64 s[14:15], s[14:15], 1
	s_add_u32 s28, s23, s14
	s_addc_u32 s17, s19, s15
	s_and_b64 s[14:15], vcc, exec
	s_mov_b32 s23, 0x20000
	s_cselect_b32 s20, s20, s8
	s_cselect_b32 s14, s21, s9
	s_and_b32 s29, s17, 0xffff
	s_mov_b32 s30, s22
	s_mov_b32 s31, s23
	s_and_b32 s21, s14, 0xffff
	buffer_load_dwordx4 v[6:9], v11, s[28:31], 0 offen glc slc
	buffer_load_dwordx4 v[2:5], v11, s[20:23], 0 offen
.LBB373_3:
	s_or_b64 exec, exec, s[0:1]
	v_mov_b32_e32 v11, 0
	v_mov_b32_e32 v12, 0
	;; [unrolled: 1-line block ×7, first 2 shown]
	s_and_saveexec_b64 s[0:1], s[2:3]
	s_cbranch_execz .LBB373_5
; %bb.4:
	s_waitcnt vmcnt(1)
	v_cvt_f32_f16_sdwa v11, v6 dst_sel:DWORD dst_unused:UNUSED_PAD src0_sel:WORD_1
	v_cvt_f32_f16_e32 v10, v6
	v_cvt_f32_f16_sdwa v13, v7 dst_sel:DWORD dst_unused:UNUSED_PAD src0_sel:WORD_1
	v_cvt_f32_f16_e32 v12, v7
	;; [unrolled: 2-line block ×4, first 2 shown]
.LBB373_5:
	s_or_b64 exec, exec, s[0:1]
	s_waitcnt vmcnt(1)
	v_mul_f32_e32 v6, v11, v11
	v_fmac_f32_e32 v6, v10, v10
	v_fmac_f32_e32 v6, v12, v12
	;; [unrolled: 1-line block ×7, first 2 shown]
	v_and_b32_e32 v8, 63, v0
	v_cmp_eq_u32_e64 s[0:1], 63, v8
	v_mov_b32_dpp v7, v6 quad_perm:[1,0,3,2] row_mask:0xf bank_mask:0xf
	v_add_f32_e32 v6, v6, v7
	s_nop 1
	v_mov_b32_dpp v7, v6 quad_perm:[2,3,0,1] row_mask:0xf bank_mask:0xf
	v_add_f32_e32 v6, v6, v7
	s_nop 1
	v_mov_b32_dpp v7, v6 row_half_mirror row_mask:0xf bank_mask:0xf
	v_add_f32_e32 v6, v6, v7
	s_nop 1
	v_mov_b32_dpp v7, v6 row_mirror row_mask:0xf bank_mask:0xf
	v_add_f32_e32 v6, v6, v7
	s_nop 1
	v_mov_b32_dpp v7, v6 row_bcast:15 row_mask:0xf bank_mask:0xf
	v_add_f32_e32 v6, v6, v7
	s_nop 1
	v_mov_b32_dpp v7, v6 row_bcast:31 row_mask:0xf bank_mask:0xf
	s_and_saveexec_b64 s[14:15], s[0:1]
	s_cbranch_execz .LBB373_7
; %bb.6:
	v_add_f32_e32 v6, v6, v7
	v_lshrrev_b32_e32 v7, 4, v0
	v_and_b32_e32 v7, 60, v7
	ds_write_b32 v7, v6 offset:8
.LBB373_7:
	s_or_b64 exec, exec, s[14:15]
	v_and_b32_e32 v6, 1, v0
	v_lshlrev_b32_e32 v18, 2, v6
	s_waitcnt lgkmcnt(0)
	s_barrier
	ds_read_b32 v6, v18 offset:8
	s_load_dwordx2 s[14:15], s[4:5], 0x18
	s_waitcnt lgkmcnt(0)
	v_mov_b32_dpp v7, v6 quad_perm:[1,0,3,2] row_mask:0xf bank_mask:0xf
	s_and_saveexec_b64 s[20:21], s[2:3]
	s_cbranch_execz .LBB373_9
; %bb.8:
	v_cvt_f32_u32_e32 v8, s7
	v_add_f32_e32 v6, v6, v7
	v_mov_b32_e32 v19, s13
	v_mov_b32_e32 v20, s12
	v_div_scale_f32 v7, s[26:27], v8, v8, v6
	v_rcp_f32_e32 v9, v7
	v_cndmask_b32_e32 v19, v19, v20, vcc
	s_mov_b32 s7, 0x800000
	v_fma_f32 v20, -v7, v9, 1.0
	v_fmac_f32_e32 v9, v20, v9
	v_div_scale_f32 v20, vcc, v6, v8, v6
	v_mul_f32_e32 v21, v20, v9
	v_fma_f32 v22, -v7, v21, v20
	v_fmac_f32_e32 v21, v22, v9
	v_fma_f32 v7, -v7, v21, v20
	v_div_fmas_f32 v7, v7, v9, v21
	v_div_fixup_f32 v6, v7, v8, v6
	v_add_f32_e32 v6, v19, v6
	v_mul_f32_e32 v7, 0x4b800000, v6
	v_cmp_gt_f32_e32 vcc, s7, v6
	v_cndmask_b32_e32 v6, v6, v7, vcc
	v_rsq_f32_e32 v6, v6
	s_waitcnt vmcnt(0)
	v_cvt_f32_f16_sdwa v21, v5 dst_sel:DWORD dst_unused:UNUSED_PAD src0_sel:WORD_1
	v_cvt_f32_f16_e32 v20, v5
	v_mul_f32_e32 v7, 0x45800000, v6
	v_cndmask_b32_e32 v6, v6, v7, vcc
	v_mov_b32_e32 v7, v6
	;;#ASMSTART
	v_pk_mul_f32 v[8:9], v[10:11], v[6:7]
	;;#ASMEND
	;;#ASMSTART
	v_pk_mul_f32 v[12:13], v[12:13], v[6:7]
	;;#ASMEND
	;; [unrolled: 3-line block ×4, first 2 shown]
	v_cvt_f32_f16_sdwa v11, v2 dst_sel:DWORD dst_unused:UNUSED_PAD src0_sel:WORD_1
	v_cvt_f32_f16_e32 v10, v2
	v_cvt_f32_f16_sdwa v17, v3 dst_sel:DWORD dst_unused:UNUSED_PAD src0_sel:WORD_1
	v_cvt_f32_f16_e32 v16, v3
	;; [unrolled: 2-line block ×3, first 2 shown]
	;;#ASMSTART
	v_pk_mul_f32 v[10:11], v[8:9], v[10:11]
	;;#ASMEND
	;;#ASMSTART
	v_pk_mul_f32 v[12:13], v[12:13], v[16:17]
	;;#ASMEND
	;;#ASMSTART
	v_pk_mul_f32 v[14:15], v[14:15], v[2:3]
	;;#ASMEND
	;;#ASMSTART
	v_pk_mul_f32 v[16:17], v[6:7], v[20:21]
	;;#ASMEND
.LBB373_9:
	s_or_b64 exec, exec, s[20:21]
	s_load_dwordx2 s[26:27], s[4:5], 0x7c
	s_mov_b64 s[20:21], -1
	s_and_b64 vcc, exec, s[10:11]
	s_cbranch_vccnz .LBB373_13
; %bb.10:
	s_andn2_b64 vcc, exec, s[20:21]
	s_cbranch_vccz .LBB373_16
.LBB373_11:
	s_cmp_lt_i32 s16, 1
	s_cbranch_scc0 .LBB373_19
.LBB373_12:
	s_endpgm
.LBB373_13:
	s_and_saveexec_b64 s[10:11], s[2:3]
	s_cbranch_execz .LBB373_15
; %bb.14:
	s_waitcnt lgkmcnt(0)
	s_mul_hi_i32 s21, s27, s6
	s_mul_i32 s20, s27, s6
	s_waitcnt vmcnt(0)
	v_cvt_f16_f32_e32 v2, v10
	v_cvt_f16_f32_e32 v3, v12
	;; [unrolled: 1-line block ×8, first 2 shown]
	s_lshl_b64 s[20:21], s[20:21], 1
	s_add_u32 s20, s14, s20
	s_addc_u32 s7, s15, s21
	s_and_b32 s21, s7, 0xffff
	s_mov_b32 s23, 0x20000
	v_pack_b32_f16 v5, v5, v6
	v_pack_b32_f16 v4, v4, v7
	;; [unrolled: 1-line block ×4, first 2 shown]
	v_lshlrev_b32_e32 v6, 4, v0
	buffer_store_dwordx4 v[2:5], v6, s[20:23], 0 offen
	;;#ASMSTART
	s_nop 0
	;;#ASMEND
.LBB373_15:
	s_or_b64 exec, exec, s[10:11]
	s_cbranch_execnz .LBB373_11
.LBB373_16:
	s_and_saveexec_b64 s[10:11], s[2:3]
	s_cbranch_execz .LBB373_18
; %bb.17:
	s_load_dwordx2 s[2:3], s[4:5], 0x10
	s_waitcnt lgkmcnt(0)
	s_mul_hi_i32 s21, s26, s6
	s_mul_i32 s20, s26, s6
	s_waitcnt vmcnt(0)
	v_cvt_f16_f32_e32 v2, v10
	v_cvt_f16_f32_e32 v3, v12
	;; [unrolled: 1-line block ×8, first 2 shown]
	s_lshl_b64 s[20:21], s[20:21], 1
	s_add_u32 s20, s2, s20
	s_addc_u32 s2, s3, s21
	s_mov_b32 s23, 0x20000
	s_and_b32 s21, s2, 0xffff
	v_pack_b32_f16 v5, v5, v6
	v_pack_b32_f16 v4, v4, v7
	;; [unrolled: 1-line block ×4, first 2 shown]
	v_lshlrev_b32_e32 v6, 4, v0
	buffer_store_dwordx4 v[2:5], v6, s[20:23], 0 offen
	;;#ASMSTART
	s_nop 0
	;;#ASMEND
.LBB373_18:
	s_or_b64 exec, exec, s[10:11]
	s_cmp_lt_i32 s16, 1
	s_cbranch_scc1 .LBB373_12
.LBB373_19:
	s_load_dword s2, s[4:5], 0x94
	s_waitcnt lgkmcnt(0)
	s_cmp_lg_u32 s2, 1
	s_cbranch_scc1 .LBB373_12
; %bb.20:
	s_lshl_b32 s2, s16, 1
	s_add_i32 s2, s2, 2
	v_cmp_gt_u32_e32 vcc, s16, v1
	s_and_b32 s10, s2, -4
	v_mov_b32_e32 v10, 0
	v_lshlrev_b32_e32 v1, 4, v0
	v_mov_b32_e32 v6, 0
	v_mov_b32_e32 v7, 0
	v_mov_b32_e32 v8, 0
	v_mov_b32_e32 v9, 0
	s_waitcnt vmcnt(0)
	v_mov_b32_e32 v2, 0
	v_mov_b32_e32 v3, 0
	;; [unrolled: 1-line block ×4, first 2 shown]
	s_barrier
	s_and_saveexec_b64 s[2:3], vcc
	s_cbranch_execz .LBB373_22
; %bb.21:
	s_mul_hi_i32 s5, s18, s6
	s_mul_i32 s4, s18, s6
	s_and_b32 s9, s9, 0xffff
	s_lshl_b64 s[4:5], s[4:5], 1
	s_add_u32 s20, s24, s4
	s_mov_b32 s11, 0x20000
	s_addc_u32 s4, s25, s5
	s_and_b32 s21, s4, 0xffff
	s_mov_b32 s22, s10
	s_mov_b32 s23, s11
	buffer_load_dwordx4 v[6:9], v1, s[20:23], 0 offen glc slc
	buffer_load_dwordx4 v[2:5], v1, s[8:11], 0 offen
.LBB373_22:
	s_or_b64 exec, exec, s[2:3]
	v_mov_b32_e32 v11, 0
	v_mov_b32_e32 v16, 0
	;; [unrolled: 1-line block ×7, first 2 shown]
	s_and_saveexec_b64 s[2:3], vcc
	s_cbranch_execz .LBB373_24
; %bb.23:
	s_waitcnt vmcnt(1)
	v_cvt_f32_f16_sdwa v11, v6 dst_sel:DWORD dst_unused:UNUSED_PAD src0_sel:WORD_1
	v_cvt_f32_f16_e32 v10, v6
	v_cvt_f32_f16_sdwa v17, v7 dst_sel:DWORD dst_unused:UNUSED_PAD src0_sel:WORD_1
	v_cvt_f32_f16_e32 v16, v7
	;; [unrolled: 2-line block ×4, first 2 shown]
.LBB373_24:
	s_or_b64 exec, exec, s[2:3]
	s_waitcnt vmcnt(1)
	v_mul_f32_e32 v6, v11, v11
	v_fmac_f32_e32 v6, v10, v10
	v_fmac_f32_e32 v6, v16, v16
	v_fmac_f32_e32 v6, v17, v17
	v_fmac_f32_e32 v6, v14, v14
	v_fmac_f32_e32 v6, v15, v15
	v_fmac_f32_e32 v6, v12, v12
	v_fmac_f32_e32 v6, v13, v13
	s_nop 1
	v_mov_b32_dpp v7, v6 quad_perm:[1,0,3,2] row_mask:0xf bank_mask:0xf
	v_add_f32_e32 v6, v6, v7
	s_nop 1
	v_mov_b32_dpp v7, v6 quad_perm:[2,3,0,1] row_mask:0xf bank_mask:0xf
	v_add_f32_e32 v6, v6, v7
	s_nop 1
	v_mov_b32_dpp v7, v6 row_half_mirror row_mask:0xf bank_mask:0xf
	v_add_f32_e32 v6, v6, v7
	s_nop 1
	v_mov_b32_dpp v7, v6 row_mirror row_mask:0xf bank_mask:0xf
	v_add_f32_e32 v6, v6, v7
	s_nop 1
	v_mov_b32_dpp v7, v6 row_bcast:15 row_mask:0xf bank_mask:0xf
	v_add_f32_e32 v6, v6, v7
	s_nop 1
	v_mov_b32_dpp v7, v6 row_bcast:31 row_mask:0xf bank_mask:0xf
	s_and_saveexec_b64 s[2:3], s[0:1]
	s_cbranch_execz .LBB373_26
; %bb.25:
	v_lshrrev_b32_e32 v0, 4, v0
	v_add_f32_e32 v6, v6, v7
	v_and_b32_e32 v0, 60, v0
	ds_write_b32 v0, v6
.LBB373_26:
	s_or_b64 exec, exec, s[2:3]
	s_waitcnt lgkmcnt(0)
	s_barrier
	ds_read_b32 v0, v18
	s_waitcnt lgkmcnt(0)
	s_nop 0
	v_mov_b32_dpp v6, v0 quad_perm:[1,0,3,2] row_mask:0xf bank_mask:0xf
	s_and_saveexec_b64 s[0:1], vcc
	s_cbranch_execz .LBB373_12
; %bb.27:
	v_cvt_f32_u32_e32 v7, s16
	v_add_f32_e32 v0, v0, v6
	s_mov_b32 s11, 0x20000
	v_div_scale_f32 v6, s[0:1], v7, v7, v0
	v_rcp_f32_e32 v8, v6
	v_div_scale_f32 v9, vcc, v0, v7, v0
	s_mov_b32 s0, 0x800000
	v_fma_f32 v18, -v6, v8, 1.0
	v_fmac_f32_e32 v8, v18, v8
	v_mul_f32_e32 v18, v9, v8
	v_fma_f32 v19, -v6, v18, v9
	v_fmac_f32_e32 v18, v19, v8
	v_fma_f32 v6, -v6, v18, v9
	v_div_fmas_f32 v6, v6, v8, v18
	v_div_fixup_f32 v0, v6, v7, v0
	v_add_f32_e32 v0, s13, v0
	v_mul_f32_e32 v6, 0x4b800000, v0
	v_cmp_gt_f32_e32 vcc, s0, v0
	v_cndmask_b32_e32 v0, v0, v6, vcc
	v_rsq_f32_e32 v0, v0
	s_waitcnt vmcnt(0)
	v_cvt_f32_f16_sdwa v19, v5 dst_sel:DWORD dst_unused:UNUSED_PAD src0_sel:WORD_1
	v_cvt_f32_f16_e32 v18, v5
	s_mul_hi_i32 s1, s27, s6
	v_mul_f32_e32 v6, 0x45800000, v0
	v_cndmask_b32_e32 v6, v0, v6, vcc
	v_mov_b32_e32 v7, v6
	;;#ASMSTART
	v_pk_mul_f32 v[8:9], v[10:11], v[6:7]
	;;#ASMEND
	;;#ASMSTART
	v_pk_mul_f32 v[10:11], v[16:17], v[6:7]
	;;#ASMEND
	;; [unrolled: 3-line block ×4, first 2 shown]
	v_cvt_f32_f16_sdwa v13, v2 dst_sel:DWORD dst_unused:UNUSED_PAD src0_sel:WORD_1
	v_cvt_f32_f16_e32 v12, v2
	v_cvt_f32_f16_sdwa v17, v3 dst_sel:DWORD dst_unused:UNUSED_PAD src0_sel:WORD_1
	v_cvt_f32_f16_e32 v16, v3
	;; [unrolled: 2-line block ×3, first 2 shown]
	;;#ASMSTART
	v_pk_mul_f32 v[4:5], v[8:9], v[12:13]
	;;#ASMEND
	;;#ASMSTART
	v_pk_mul_f32 v[8:9], v[10:11], v[16:17]
	;;#ASMEND
	;; [unrolled: 3-line block ×4, first 2 shown]
	s_mul_i32 s0, s27, s6
	v_cvt_f16_f32_e32 v0, v4
	v_cvt_f16_f32_e32 v4, v5
	;; [unrolled: 1-line block ×8, first 2 shown]
	s_lshl_b64 s[0:1], s[0:1], 1
	s_add_u32 s8, s14, s0
	s_addc_u32 s0, s15, s1
	s_and_b32 s9, s0, 0xffff
	v_pack_b32_f16 v2, v0, v4
	v_pack_b32_f16 v3, v5, v8
	v_pack_b32_f16 v4, v9, v10
	v_pack_b32_f16 v5, v6, v7
	buffer_store_dwordx4 v[2:5], v1, s[8:11], 0 offen
	;;#ASMSTART
	s_nop 0
	;;#ASMEND
	s_endpgm
	.section	.rodata,"a",@progbits
	.p2align	6, 0x0
	.amdhsa_kernel _ZN5aiter35fused_qk_rmsnorm_group_quant_kernelIDF16_DB8_Li128ELi8ELi8ELb0ELb1ELb0ELb1ELb0ELb0EEEvPT0_PvPT_S6_S6_PKS5_S8_S8_S8_S8_ffiiiiiiiiiiiii
		.amdhsa_group_segment_fixed_size 16
		.amdhsa_private_segment_fixed_size 0
		.amdhsa_kernarg_size 400
		.amdhsa_user_sgpr_count 6
		.amdhsa_user_sgpr_private_segment_buffer 1
		.amdhsa_user_sgpr_dispatch_ptr 0
		.amdhsa_user_sgpr_queue_ptr 0
		.amdhsa_user_sgpr_kernarg_segment_ptr 1
		.amdhsa_user_sgpr_dispatch_id 0
		.amdhsa_user_sgpr_flat_scratch_init 0
		.amdhsa_user_sgpr_kernarg_preload_length 0
		.amdhsa_user_sgpr_kernarg_preload_offset 0
		.amdhsa_user_sgpr_private_segment_size 0
		.amdhsa_uses_dynamic_stack 0
		.amdhsa_system_sgpr_private_segment_wavefront_offset 0
		.amdhsa_system_sgpr_workgroup_id_x 1
		.amdhsa_system_sgpr_workgroup_id_y 1
		.amdhsa_system_sgpr_workgroup_id_z 0
		.amdhsa_system_sgpr_workgroup_info 0
		.amdhsa_system_vgpr_workitem_id 0
		.amdhsa_next_free_vgpr 23
		.amdhsa_next_free_sgpr 32
		.amdhsa_accum_offset 24
		.amdhsa_reserve_vcc 1
		.amdhsa_reserve_flat_scratch 0
		.amdhsa_float_round_mode_32 0
		.amdhsa_float_round_mode_16_64 0
		.amdhsa_float_denorm_mode_32 3
		.amdhsa_float_denorm_mode_16_64 3
		.amdhsa_dx10_clamp 1
		.amdhsa_ieee_mode 1
		.amdhsa_fp16_overflow 0
		.amdhsa_tg_split 0
		.amdhsa_exception_fp_ieee_invalid_op 0
		.amdhsa_exception_fp_denorm_src 0
		.amdhsa_exception_fp_ieee_div_zero 0
		.amdhsa_exception_fp_ieee_overflow 0
		.amdhsa_exception_fp_ieee_underflow 0
		.amdhsa_exception_fp_ieee_inexact 0
		.amdhsa_exception_int_div_zero 0
	.end_amdhsa_kernel
	.section	.text._ZN5aiter35fused_qk_rmsnorm_group_quant_kernelIDF16_DB8_Li128ELi8ELi8ELb0ELb1ELb0ELb1ELb0ELb0EEEvPT0_PvPT_S6_S6_PKS5_S8_S8_S8_S8_ffiiiiiiiiiiiii,"axG",@progbits,_ZN5aiter35fused_qk_rmsnorm_group_quant_kernelIDF16_DB8_Li128ELi8ELi8ELb0ELb1ELb0ELb1ELb0ELb0EEEvPT0_PvPT_S6_S6_PKS5_S8_S8_S8_S8_ffiiiiiiiiiiiii,comdat
.Lfunc_end373:
	.size	_ZN5aiter35fused_qk_rmsnorm_group_quant_kernelIDF16_DB8_Li128ELi8ELi8ELb0ELb1ELb0ELb1ELb0ELb0EEEvPT0_PvPT_S6_S6_PKS5_S8_S8_S8_S8_ffiiiiiiiiiiiii, .Lfunc_end373-_ZN5aiter35fused_qk_rmsnorm_group_quant_kernelIDF16_DB8_Li128ELi8ELi8ELb0ELb1ELb0ELb1ELb0ELb0EEEvPT0_PvPT_S6_S6_PKS5_S8_S8_S8_S8_ffiiiiiiiiiiiii
                                        ; -- End function
	.section	.AMDGPU.csdata,"",@progbits
; Kernel info:
; codeLenInByte = 2004
; NumSgprs: 36
; NumVgprs: 23
; NumAgprs: 0
; TotalNumVgprs: 23
; ScratchSize: 0
; MemoryBound: 0
; FloatMode: 240
; IeeeMode: 1
; LDSByteSize: 16 bytes/workgroup (compile time only)
; SGPRBlocks: 4
; VGPRBlocks: 2
; NumSGPRsForWavesPerEU: 36
; NumVGPRsForWavesPerEU: 23
; AccumOffset: 24
; Occupancy: 8
; WaveLimiterHint : 0
; COMPUTE_PGM_RSRC2:SCRATCH_EN: 0
; COMPUTE_PGM_RSRC2:USER_SGPR: 6
; COMPUTE_PGM_RSRC2:TRAP_HANDLER: 0
; COMPUTE_PGM_RSRC2:TGID_X_EN: 1
; COMPUTE_PGM_RSRC2:TGID_Y_EN: 1
; COMPUTE_PGM_RSRC2:TGID_Z_EN: 0
; COMPUTE_PGM_RSRC2:TIDIG_COMP_CNT: 0
; COMPUTE_PGM_RSRC3_GFX90A:ACCUM_OFFSET: 5
; COMPUTE_PGM_RSRC3_GFX90A:TG_SPLIT: 0
	.section	.text._ZN5aiter35fused_qk_rmsnorm_group_quant_kernelItDB8_Li128ELi8ELi8ELb0ELb1ELb0ELb1ELb0ELb0EEEvPT0_PvPT_S6_S6_PKS5_S8_S8_S8_S8_ffiiiiiiiiiiiii,"axG",@progbits,_ZN5aiter35fused_qk_rmsnorm_group_quant_kernelItDB8_Li128ELi8ELi8ELb0ELb1ELb0ELb1ELb0ELb0EEEvPT0_PvPT_S6_S6_PKS5_S8_S8_S8_S8_ffiiiiiiiiiiiii,comdat
	.protected	_ZN5aiter35fused_qk_rmsnorm_group_quant_kernelItDB8_Li128ELi8ELi8ELb0ELb1ELb0ELb1ELb0ELb0EEEvPT0_PvPT_S6_S6_PKS5_S8_S8_S8_S8_ffiiiiiiiiiiiii ; -- Begin function _ZN5aiter35fused_qk_rmsnorm_group_quant_kernelItDB8_Li128ELi8ELi8ELb0ELb1ELb0ELb1ELb0ELb0EEEvPT0_PvPT_S6_S6_PKS5_S8_S8_S8_S8_ffiiiiiiiiiiiii
	.globl	_ZN5aiter35fused_qk_rmsnorm_group_quant_kernelItDB8_Li128ELi8ELi8ELb0ELb1ELb0ELb1ELb0ELb0EEEvPT0_PvPT_S6_S6_PKS5_S8_S8_S8_S8_ffiiiiiiiiiiiii
	.p2align	8
	.type	_ZN5aiter35fused_qk_rmsnorm_group_quant_kernelItDB8_Li128ELi8ELi8ELb0ELb1ELb0ELb1ELb0ELb0EEEvPT0_PvPT_S6_S6_PKS5_S8_S8_S8_S8_ffiiiiiiiiiiiii,@function
_ZN5aiter35fused_qk_rmsnorm_group_quant_kernelItDB8_Li128ELi8ELi8ELb0ELb1ELb0ELb1ELb0ELb0EEEvPT0_PvPT_S6_S6_PKS5_S8_S8_S8_S8_ffiiiiiiiiiiiii: ; @_ZN5aiter35fused_qk_rmsnorm_group_quant_kernelItDB8_Li128ELi8ELi8ELb0ELb1ELb0ELb1ELb0ELb0EEEvPT0_PvPT_S6_S6_PKS5_S8_S8_S8_S8_ffiiiiiiiiiiiii
; %bb.0:
	s_load_dwordx4 s[12:15], s[4:5], 0x50
	s_waitcnt lgkmcnt(0)
	s_cmp_ge_i32 s6, s14
	s_cbranch_scc1 .LBB374_10
; %bb.1:
	s_load_dwordx2 s[24:25], s[4:5], 0x30
	s_load_dwordx2 s[8:9], s[4:5], 0x48
	s_load_dwordx4 s[16:19], s[4:5], 0x60
	s_cmp_lg_u32 s7, 0
	s_cselect_b64 s[10:11], -1, 0
	s_cmp_eq_u32 s7, 0
	s_cselect_b64 vcc, -1, 0
	s_and_b64 s[0:1], vcc, exec
	s_waitcnt lgkmcnt(0)
	s_cselect_b32 s7, s15, s16
	s_add_i32 s0, s7, 1
	s_lshr_b32 s1, s0, 31
	s_add_i32 s0, s0, s1
	s_lshl_b32 s0, s0, 1
	v_lshlrev_b32_e32 v1, 3, v0
	s_and_b32 s22, s0, -4
	v_cmp_gt_i32_e64 s[2:3], s7, v1
	v_mov_b32_e32 v2, 0
	v_mov_b32_e32 v3, 0
	;; [unrolled: 1-line block ×8, first 2 shown]
	s_and_saveexec_b64 s[0:1], s[2:3]
	s_cbranch_execz .LBB374_3
; %bb.2:
	s_load_dwordx2 s[14:15], s[4:5], 0x28
	s_load_dwordx2 s[20:21], s[4:5], 0x40
	s_and_b64 s[26:27], vcc, exec
	s_cselect_b32 s17, s17, s18
	v_lshlrev_b32_e32 v10, 4, v0
	s_waitcnt lgkmcnt(0)
	s_cselect_b32 s19, s15, s25
	s_cselect_b32 s23, s14, s24
	s_mul_hi_i32 s15, s17, s6
	s_mul_i32 s14, s17, s6
	s_lshl_b64 s[14:15], s[14:15], 1
	s_add_u32 s28, s23, s14
	s_addc_u32 s17, s19, s15
	s_and_b64 s[14:15], vcc, exec
	s_mov_b32 s23, 0x20000
	s_cselect_b32 s20, s20, s8
	s_cselect_b32 s14, s21, s9
	s_and_b32 s29, s17, 0xffff
	s_mov_b32 s30, s22
	s_mov_b32 s31, s23
	s_and_b32 s21, s14, 0xffff
	buffer_load_dwordx4 v[6:9], v10, s[28:31], 0 offen glc slc
	buffer_load_dwordx4 v[2:5], v10, s[20:23], 0 offen
.LBB374_3:
	s_or_b64 exec, exec, s[0:1]
	s_waitcnt vmcnt(1)
	v_cvt_f32_u32_sdwa v13, v6 dst_sel:DWORD dst_unused:UNUSED_PAD src0_sel:WORD_1
	v_cvt_f32_u32_sdwa v12, v6 dst_sel:DWORD dst_unused:UNUSED_PAD src0_sel:WORD_0
	v_cvt_f32_u32_sdwa v6, v9 dst_sel:DWORD dst_unused:UNUSED_PAD src0_sel:WORD_1
	v_cvt_f32_u32_sdwa v9, v9 dst_sel:DWORD dst_unused:UNUSED_PAD src0_sel:WORD_0
	v_cvt_f32_u32_sdwa v14, v8 dst_sel:DWORD dst_unused:UNUSED_PAD src0_sel:WORD_1
	v_cvt_f32_u32_sdwa v10, v7 dst_sel:DWORD dst_unused:UNUSED_PAD src0_sel:WORD_0
	v_cvt_f32_u32_sdwa v11, v7 dst_sel:DWORD dst_unused:UNUSED_PAD src0_sel:WORD_1
	v_cvt_f32_u32_sdwa v8, v8 dst_sel:DWORD dst_unused:UNUSED_PAD src0_sel:WORD_0
	v_cndmask_b32_e64 v13, 0, v13, s[2:3]
	v_cndmask_b32_e64 v7, 0, v6, s[2:3]
	;; [unrolled: 1-line block ×5, first 2 shown]
	v_mul_f32_e32 v14, v13, v13
	v_cndmask_b32_e64 v10, 0, v10, s[2:3]
	v_fmac_f32_e32 v14, v12, v12
	v_cndmask_b32_e64 v11, 0, v11, s[2:3]
	v_fmac_f32_e32 v14, v10, v10
	v_cndmask_b32_e64 v8, 0, v8, s[2:3]
	v_fmac_f32_e32 v14, v11, v11
	v_fmac_f32_e32 v14, v8, v8
	v_fmac_f32_e32 v14, v9, v9
	;; [unrolled: 1-line block ×4, first 2 shown]
	v_and_b32_e32 v16, 63, v0
	v_cmp_eq_u32_e64 s[0:1], 63, v16
	v_mov_b32_dpp v15, v14 quad_perm:[1,0,3,2] row_mask:0xf bank_mask:0xf
	v_add_f32_e32 v14, v14, v15
	s_nop 1
	v_mov_b32_dpp v15, v14 quad_perm:[2,3,0,1] row_mask:0xf bank_mask:0xf
	v_add_f32_e32 v14, v14, v15
	s_nop 1
	v_mov_b32_dpp v15, v14 row_half_mirror row_mask:0xf bank_mask:0xf
	v_add_f32_e32 v14, v14, v15
	s_nop 1
	v_mov_b32_dpp v15, v14 row_mirror row_mask:0xf bank_mask:0xf
	v_add_f32_e32 v14, v14, v15
	s_nop 1
	v_mov_b32_dpp v15, v14 row_bcast:15 row_mask:0xf bank_mask:0xf
	v_add_f32_e32 v14, v14, v15
	s_nop 1
	v_mov_b32_dpp v15, v14 row_bcast:31 row_mask:0xf bank_mask:0xf
	s_and_saveexec_b64 s[14:15], s[0:1]
	s_cbranch_execz .LBB374_5
; %bb.4:
	v_add_f32_e32 v14, v14, v15
	v_lshrrev_b32_e32 v15, 4, v0
	v_and_b32_e32 v15, 60, v15
	ds_write_b32 v15, v14 offset:8
.LBB374_5:
	s_or_b64 exec, exec, s[14:15]
	v_and_b32_e32 v14, 1, v0
	v_lshlrev_b32_e32 v14, 2, v14
	s_waitcnt lgkmcnt(0)
	s_barrier
	ds_read_b32 v15, v14 offset:8
	s_load_dwordx2 s[14:15], s[4:5], 0x18
	s_waitcnt lgkmcnt(0)
	v_mov_b32_dpp v16, v15 quad_perm:[1,0,3,2] row_mask:0xf bank_mask:0xf
	s_and_saveexec_b64 s[20:21], s[2:3]
	s_cbranch_execz .LBB374_7
; %bb.6:
	v_cvt_f32_u32_e32 v17, s7
	v_add_f32_e32 v15, v15, v16
	v_mov_b32_e32 v19, s13
	v_mov_b32_e32 v20, s12
	v_div_scale_f32 v16, s[26:27], v17, v17, v15
	v_rcp_f32_e32 v18, v16
	v_cndmask_b32_e32 v19, v19, v20, vcc
	s_mov_b32 s7, 0x800000
	v_fma_f32 v20, -v16, v18, 1.0
	v_fmac_f32_e32 v18, v20, v18
	v_div_scale_f32 v20, vcc, v15, v17, v15
	v_mul_f32_e32 v21, v20, v18
	v_fma_f32 v22, -v16, v21, v20
	v_fmac_f32_e32 v21, v22, v18
	v_fma_f32 v16, -v16, v21, v20
	v_div_fmas_f32 v16, v16, v18, v21
	v_div_fixup_f32 v15, v16, v17, v15
	v_add_f32_e32 v15, v19, v15
	v_mul_f32_e32 v16, 0x4b800000, v15
	v_cmp_gt_f32_e32 vcc, s7, v15
	v_cndmask_b32_e32 v15, v15, v16, vcc
	v_rsq_f32_e32 v15, v15
	s_waitcnt vmcnt(0)
	v_cvt_f32_u32_sdwa v19, v3 dst_sel:DWORD dst_unused:UNUSED_PAD src0_sel:WORD_1
	v_cvt_f32_u32_sdwa v18, v3 dst_sel:DWORD dst_unused:UNUSED_PAD src0_sel:WORD_0
	v_cvt_f32_u32_sdwa v3, v4 dst_sel:DWORD dst_unused:UNUSED_PAD src0_sel:WORD_1
	v_mul_f32_e32 v16, 0x45800000, v15
	v_cndmask_b32_e32 v16, v15, v16, vcc
	v_mov_b32_e32 v17, v16
	;;#ASMSTART
	v_pk_mul_f32 v[12:13], v[12:13], v[16:17]
	;;#ASMEND
	;;#ASMSTART
	v_pk_mul_f32 v[10:11], v[10:11], v[16:17]
	;;#ASMEND
	;; [unrolled: 3-line block ×4, first 2 shown]
	v_cvt_f32_u32_sdwa v17, v2 dst_sel:DWORD dst_unused:UNUSED_PAD src0_sel:WORD_1
	v_cvt_f32_u32_sdwa v16, v2 dst_sel:DWORD dst_unused:UNUSED_PAD src0_sel:WORD_0
	v_cvt_f32_u32_sdwa v2, v4 dst_sel:DWORD dst_unused:UNUSED_PAD src0_sel:WORD_0
	v_cvt_f32_u32_sdwa v21, v5 dst_sel:DWORD dst_unused:UNUSED_PAD src0_sel:WORD_1
	v_cvt_f32_u32_sdwa v20, v5 dst_sel:DWORD dst_unused:UNUSED_PAD src0_sel:WORD_0
	;;#ASMSTART
	v_pk_mul_f32 v[12:13], v[12:13], v[16:17]
	;;#ASMEND
	;;#ASMSTART
	v_pk_mul_f32 v[10:11], v[10:11], v[18:19]
	;;#ASMEND
	;; [unrolled: 3-line block ×4, first 2 shown]
.LBB374_7:
	s_or_b64 exec, exec, s[20:21]
	s_load_dwordx2 s[26:27], s[4:5], 0x7c
	s_mov_b64 s[20:21], -1
	s_and_b64 vcc, exec, s[10:11]
	s_cbranch_vccnz .LBB374_11
; %bb.8:
	s_andn2_b64 vcc, exec, s[20:21]
	s_cbranch_vccz .LBB374_14
.LBB374_9:
	s_cmp_lt_i32 s16, 1
	s_cbranch_scc0 .LBB374_17
.LBB374_10:
	s_endpgm
.LBB374_11:
	s_and_saveexec_b64 s[10:11], s[2:3]
	s_cbranch_execz .LBB374_13
; %bb.12:
	s_waitcnt lgkmcnt(0)
	s_mul_hi_i32 s21, s27, s6
	s_mul_i32 s20, s27, s6
	s_lshl_b64 s[20:21], s[20:21], 1
	s_add_u32 s20, s14, s20
	s_addc_u32 s7, s15, s21
	s_and_b32 s21, s7, 0xffff
	s_mov_b32 s7, 0x7060302
	s_mov_b32 s23, 0x20000
	s_waitcnt vmcnt(0)
	v_perm_b32 v2, v13, v12, s7
	v_perm_b32 v3, v11, v10, s7
	;; [unrolled: 1-line block ×4, first 2 shown]
	v_lshlrev_b32_e32 v15, 4, v0
	buffer_store_dwordx4 v[2:5], v15, s[20:23], 0 offen
	;;#ASMSTART
	s_nop 0
	;;#ASMEND
.LBB374_13:
	s_or_b64 exec, exec, s[10:11]
	s_cbranch_execnz .LBB374_9
.LBB374_14:
	s_and_saveexec_b64 s[10:11], s[2:3]
	s_cbranch_execz .LBB374_16
; %bb.15:
	s_load_dwordx2 s[2:3], s[4:5], 0x10
	s_waitcnt lgkmcnt(0)
	s_mul_hi_i32 s21, s26, s6
	s_mul_i32 s20, s26, s6
	s_lshl_b64 s[20:21], s[20:21], 1
	s_mov_b32 s23, 0x20000
	s_add_u32 s20, s2, s20
	s_addc_u32 s2, s3, s21
	s_and_b32 s21, s2, 0xffff
	s_mov_b32 s2, 0x7060302
	s_waitcnt vmcnt(0)
	v_perm_b32 v2, v13, v12, s2
	v_perm_b32 v3, v11, v10, s2
	;; [unrolled: 1-line block ×4, first 2 shown]
	v_lshlrev_b32_e32 v6, 4, v0
	buffer_store_dwordx4 v[2:5], v6, s[20:23], 0 offen
	;;#ASMSTART
	s_nop 0
	;;#ASMEND
.LBB374_16:
	s_or_b64 exec, exec, s[10:11]
	s_cmp_lt_i32 s16, 1
	s_cbranch_scc1 .LBB374_10
.LBB374_17:
	s_load_dword s2, s[4:5], 0x94
	s_waitcnt lgkmcnt(0)
	s_cmp_lg_u32 s2, 1
	s_cbranch_scc1 .LBB374_10
; %bb.18:
	s_lshl_b32 s2, s16, 1
	s_add_i32 s2, s2, 2
	v_cmp_gt_u32_e32 vcc, s16, v1
	s_and_b32 s10, s2, -4
	v_mov_b32_e32 v6, 0
	v_lshlrev_b32_e32 v1, 4, v0
	v_mov_b32_e32 v7, 0
	v_mov_b32_e32 v8, 0
	;; [unrolled: 1-line block ×3, first 2 shown]
	s_waitcnt vmcnt(0)
	v_mov_b32_e32 v2, 0
	v_mov_b32_e32 v3, 0
	;; [unrolled: 1-line block ×4, first 2 shown]
	s_barrier
	s_and_saveexec_b64 s[2:3], vcc
	s_cbranch_execz .LBB374_20
; %bb.19:
	s_mul_hi_i32 s5, s18, s6
	s_mul_i32 s4, s18, s6
	s_and_b32 s9, s9, 0xffff
	s_lshl_b64 s[4:5], s[4:5], 1
	s_add_u32 s20, s24, s4
	s_mov_b32 s11, 0x20000
	s_addc_u32 s4, s25, s5
	s_and_b32 s21, s4, 0xffff
	s_mov_b32 s22, s10
	s_mov_b32 s23, s11
	buffer_load_dwordx4 v[6:9], v1, s[20:23], 0 offen glc slc
	buffer_load_dwordx4 v[2:5], v1, s[8:11], 0 offen
.LBB374_20:
	s_or_b64 exec, exec, s[2:3]
	s_waitcnt vmcnt(1)
	v_cvt_f32_u32_sdwa v13, v6 dst_sel:DWORD dst_unused:UNUSED_PAD src0_sel:WORD_1
	v_cvt_f32_u32_sdwa v12, v6 dst_sel:DWORD dst_unused:UNUSED_PAD src0_sel:WORD_0
	v_cvt_f32_u32_sdwa v6, v9 dst_sel:DWORD dst_unused:UNUSED_PAD src0_sel:WORD_1
	v_cvt_f32_u32_sdwa v9, v9 dst_sel:DWORD dst_unused:UNUSED_PAD src0_sel:WORD_0
	;; [unrolled: 2-line block ×4, first 2 shown]
	v_cndmask_b32_e32 v13, 0, v13, vcc
	v_cndmask_b32_e32 v7, 0, v6, vcc
	;; [unrolled: 1-line block ×5, first 2 shown]
	v_mul_f32_e32 v15, v13, v13
	v_cndmask_b32_e32 v10, 0, v10, vcc
	v_fmac_f32_e32 v15, v12, v12
	v_cndmask_b32_e32 v11, 0, v11, vcc
	v_fmac_f32_e32 v15, v10, v10
	;; [unrolled: 2-line block ×3, first 2 shown]
	v_fmac_f32_e32 v15, v8, v8
	v_fmac_f32_e32 v15, v9, v9
	;; [unrolled: 1-line block ×4, first 2 shown]
	s_nop 1
	v_mov_b32_dpp v16, v15 quad_perm:[1,0,3,2] row_mask:0xf bank_mask:0xf
	v_add_f32_e32 v15, v15, v16
	s_nop 1
	v_mov_b32_dpp v16, v15 quad_perm:[2,3,0,1] row_mask:0xf bank_mask:0xf
	v_add_f32_e32 v15, v15, v16
	s_nop 1
	v_mov_b32_dpp v16, v15 row_half_mirror row_mask:0xf bank_mask:0xf
	v_add_f32_e32 v15, v15, v16
	s_nop 1
	v_mov_b32_dpp v16, v15 row_mirror row_mask:0xf bank_mask:0xf
	v_add_f32_e32 v15, v15, v16
	s_nop 1
	v_mov_b32_dpp v16, v15 row_bcast:15 row_mask:0xf bank_mask:0xf
	v_add_f32_e32 v15, v15, v16
	s_nop 1
	v_mov_b32_dpp v16, v15 row_bcast:31 row_mask:0xf bank_mask:0xf
	s_and_saveexec_b64 s[2:3], s[0:1]
	s_cbranch_execz .LBB374_22
; %bb.21:
	v_lshrrev_b32_e32 v0, 4, v0
	v_add_f32_e32 v15, v15, v16
	v_and_b32_e32 v0, 60, v0
	ds_write_b32 v0, v15
.LBB374_22:
	s_or_b64 exec, exec, s[2:3]
	s_waitcnt lgkmcnt(0)
	s_barrier
	ds_read_b32 v0, v14
	s_waitcnt lgkmcnt(0)
	s_nop 0
	v_mov_b32_dpp v14, v0 quad_perm:[1,0,3,2] row_mask:0xf bank_mask:0xf
	s_and_saveexec_b64 s[0:1], vcc
	s_cbranch_execz .LBB374_10
; %bb.23:
	v_cvt_f32_u32_e32 v15, s16
	v_add_f32_e32 v0, v0, v14
	s_mov_b32 s11, 0x20000
	v_div_scale_f32 v14, s[0:1], v15, v15, v0
	v_rcp_f32_e32 v16, v14
	v_div_scale_f32 v17, vcc, v0, v15, v0
	s_mov_b32 s0, 0x800000
	v_fma_f32 v18, -v14, v16, 1.0
	v_fmac_f32_e32 v16, v18, v16
	v_mul_f32_e32 v18, v17, v16
	v_fma_f32 v19, -v14, v18, v17
	v_fmac_f32_e32 v18, v19, v16
	v_fma_f32 v14, -v14, v18, v17
	v_div_fmas_f32 v14, v14, v16, v18
	v_div_fixup_f32 v0, v14, v15, v0
	v_add_f32_e32 v0, s13, v0
	v_mul_f32_e32 v14, 0x4b800000, v0
	v_cmp_gt_f32_e32 vcc, s0, v0
	v_cndmask_b32_e32 v0, v0, v14, vcc
	v_rsq_f32_e32 v0, v0
	s_mul_hi_i32 s1, s27, s6
	s_mul_i32 s0, s27, s6
	s_lshl_b64 s[0:1], s[0:1], 1
	v_mul_f32_e32 v14, 0x45800000, v0
	v_cndmask_b32_e32 v14, v0, v14, vcc
	s_add_u32 s8, s14, s0
	v_mov_b32_e32 v15, v14
	s_addc_u32 s0, s15, s1
	;;#ASMSTART
	v_pk_mul_f32 v[12:13], v[12:13], v[14:15]
	;;#ASMEND
	;;#ASMSTART
	v_pk_mul_f32 v[10:11], v[10:11], v[14:15]
	;;#ASMEND
	;; [unrolled: 3-line block ×4, first 2 shown]
	s_waitcnt vmcnt(0)
	v_cvt_f32_u32_sdwa v15, v2 dst_sel:DWORD dst_unused:UNUSED_PAD src0_sel:WORD_1
	v_cvt_f32_u32_sdwa v14, v2 dst_sel:DWORD dst_unused:UNUSED_PAD src0_sel:WORD_0
	v_cvt_f32_u32_sdwa v17, v3 dst_sel:DWORD dst_unused:UNUSED_PAD src0_sel:WORD_1
	v_cvt_f32_u32_sdwa v16, v3 dst_sel:DWORD dst_unused:UNUSED_PAD src0_sel:WORD_0
	;; [unrolled: 2-line block ×4, first 2 shown]
	;;#ASMSTART
	v_pk_mul_f32 v[4:5], v[12:13], v[14:15]
	;;#ASMEND
	s_and_b32 s9, s0, 0xffff
	s_mov_b32 s0, 0x7060302
	;;#ASMSTART
	v_pk_mul_f32 v[10:11], v[10:11], v[16:17]
	;;#ASMEND
	;;#ASMSTART
	v_pk_mul_f32 v[8:9], v[8:9], v[2:3]
	;;#ASMEND
	;; [unrolled: 3-line block ×3, first 2 shown]
	v_perm_b32 v2, v5, v4, s0
	v_perm_b32 v3, v11, v10, s0
	;; [unrolled: 1-line block ×4, first 2 shown]
	buffer_store_dwordx4 v[2:5], v1, s[8:11], 0 offen
	;;#ASMSTART
	s_nop 0
	;;#ASMEND
	s_endpgm
	.section	.rodata,"a",@progbits
	.p2align	6, 0x0
	.amdhsa_kernel _ZN5aiter35fused_qk_rmsnorm_group_quant_kernelItDB8_Li128ELi8ELi8ELb0ELb1ELb0ELb1ELb0ELb0EEEvPT0_PvPT_S6_S6_PKS5_S8_S8_S8_S8_ffiiiiiiiiiiiii
		.amdhsa_group_segment_fixed_size 16
		.amdhsa_private_segment_fixed_size 0
		.amdhsa_kernarg_size 400
		.amdhsa_user_sgpr_count 6
		.amdhsa_user_sgpr_private_segment_buffer 1
		.amdhsa_user_sgpr_dispatch_ptr 0
		.amdhsa_user_sgpr_queue_ptr 0
		.amdhsa_user_sgpr_kernarg_segment_ptr 1
		.amdhsa_user_sgpr_dispatch_id 0
		.amdhsa_user_sgpr_flat_scratch_init 0
		.amdhsa_user_sgpr_kernarg_preload_length 0
		.amdhsa_user_sgpr_kernarg_preload_offset 0
		.amdhsa_user_sgpr_private_segment_size 0
		.amdhsa_uses_dynamic_stack 0
		.amdhsa_system_sgpr_private_segment_wavefront_offset 0
		.amdhsa_system_sgpr_workgroup_id_x 1
		.amdhsa_system_sgpr_workgroup_id_y 1
		.amdhsa_system_sgpr_workgroup_id_z 0
		.amdhsa_system_sgpr_workgroup_info 0
		.amdhsa_system_vgpr_workitem_id 0
		.amdhsa_next_free_vgpr 23
		.amdhsa_next_free_sgpr 32
		.amdhsa_accum_offset 24
		.amdhsa_reserve_vcc 1
		.amdhsa_reserve_flat_scratch 0
		.amdhsa_float_round_mode_32 0
		.amdhsa_float_round_mode_16_64 0
		.amdhsa_float_denorm_mode_32 3
		.amdhsa_float_denorm_mode_16_64 3
		.amdhsa_dx10_clamp 1
		.amdhsa_ieee_mode 1
		.amdhsa_fp16_overflow 0
		.amdhsa_tg_split 0
		.amdhsa_exception_fp_ieee_invalid_op 0
		.amdhsa_exception_fp_denorm_src 0
		.amdhsa_exception_fp_ieee_div_zero 0
		.amdhsa_exception_fp_ieee_overflow 0
		.amdhsa_exception_fp_ieee_underflow 0
		.amdhsa_exception_fp_ieee_inexact 0
		.amdhsa_exception_int_div_zero 0
	.end_amdhsa_kernel
	.section	.text._ZN5aiter35fused_qk_rmsnorm_group_quant_kernelItDB8_Li128ELi8ELi8ELb0ELb1ELb0ELb1ELb0ELb0EEEvPT0_PvPT_S6_S6_PKS5_S8_S8_S8_S8_ffiiiiiiiiiiiii,"axG",@progbits,_ZN5aiter35fused_qk_rmsnorm_group_quant_kernelItDB8_Li128ELi8ELi8ELb0ELb1ELb0ELb1ELb0ELb0EEEvPT0_PvPT_S6_S6_PKS5_S8_S8_S8_S8_ffiiiiiiiiiiiii,comdat
.Lfunc_end374:
	.size	_ZN5aiter35fused_qk_rmsnorm_group_quant_kernelItDB8_Li128ELi8ELi8ELb0ELb1ELb0ELb1ELb0ELb0EEEvPT0_PvPT_S6_S6_PKS5_S8_S8_S8_S8_ffiiiiiiiiiiiii, .Lfunc_end374-_ZN5aiter35fused_qk_rmsnorm_group_quant_kernelItDB8_Li128ELi8ELi8ELb0ELb1ELb0ELb1ELb0ELb0EEEvPT0_PvPT_S6_S6_PKS5_S8_S8_S8_S8_ffiiiiiiiiiiiii
                                        ; -- End function
	.section	.AMDGPU.csdata,"",@progbits
; Kernel info:
; codeLenInByte = 1996
; NumSgprs: 36
; NumVgprs: 23
; NumAgprs: 0
; TotalNumVgprs: 23
; ScratchSize: 0
; MemoryBound: 0
; FloatMode: 240
; IeeeMode: 1
; LDSByteSize: 16 bytes/workgroup (compile time only)
; SGPRBlocks: 4
; VGPRBlocks: 2
; NumSGPRsForWavesPerEU: 36
; NumVGPRsForWavesPerEU: 23
; AccumOffset: 24
; Occupancy: 8
; WaveLimiterHint : 0
; COMPUTE_PGM_RSRC2:SCRATCH_EN: 0
; COMPUTE_PGM_RSRC2:USER_SGPR: 6
; COMPUTE_PGM_RSRC2:TRAP_HANDLER: 0
; COMPUTE_PGM_RSRC2:TGID_X_EN: 1
; COMPUTE_PGM_RSRC2:TGID_Y_EN: 1
; COMPUTE_PGM_RSRC2:TGID_Z_EN: 0
; COMPUTE_PGM_RSRC2:TIDIG_COMP_CNT: 0
; COMPUTE_PGM_RSRC3_GFX90A:ACCUM_OFFSET: 5
; COMPUTE_PGM_RSRC3_GFX90A:TG_SPLIT: 0
	.section	.text._ZN5aiter35fused_qk_rmsnorm_group_quant_kernelIDF16_N4opus5fp4_tELi128ELi8ELi8ELb0ELb1ELb0ELb1ELb0ELb0EEEvPT0_PvPT_S7_S7_PKS6_S9_S9_S9_S9_ffiiiiiiiiiiiii,"axG",@progbits,_ZN5aiter35fused_qk_rmsnorm_group_quant_kernelIDF16_N4opus5fp4_tELi128ELi8ELi8ELb0ELb1ELb0ELb1ELb0ELb0EEEvPT0_PvPT_S7_S7_PKS6_S9_S9_S9_S9_ffiiiiiiiiiiiii,comdat
	.protected	_ZN5aiter35fused_qk_rmsnorm_group_quant_kernelIDF16_N4opus5fp4_tELi128ELi8ELi8ELb0ELb1ELb0ELb1ELb0ELb0EEEvPT0_PvPT_S7_S7_PKS6_S9_S9_S9_S9_ffiiiiiiiiiiiii ; -- Begin function _ZN5aiter35fused_qk_rmsnorm_group_quant_kernelIDF16_N4opus5fp4_tELi128ELi8ELi8ELb0ELb1ELb0ELb1ELb0ELb0EEEvPT0_PvPT_S7_S7_PKS6_S9_S9_S9_S9_ffiiiiiiiiiiiii
	.globl	_ZN5aiter35fused_qk_rmsnorm_group_quant_kernelIDF16_N4opus5fp4_tELi128ELi8ELi8ELb0ELb1ELb0ELb1ELb0ELb0EEEvPT0_PvPT_S7_S7_PKS6_S9_S9_S9_S9_ffiiiiiiiiiiiii
	.p2align	8
	.type	_ZN5aiter35fused_qk_rmsnorm_group_quant_kernelIDF16_N4opus5fp4_tELi128ELi8ELi8ELb0ELb1ELb0ELb1ELb0ELb0EEEvPT0_PvPT_S7_S7_PKS6_S9_S9_S9_S9_ffiiiiiiiiiiiii,@function
_ZN5aiter35fused_qk_rmsnorm_group_quant_kernelIDF16_N4opus5fp4_tELi128ELi8ELi8ELb0ELb1ELb0ELb1ELb0ELb0EEEvPT0_PvPT_S7_S7_PKS6_S9_S9_S9_S9_ffiiiiiiiiiiiii: ; @_ZN5aiter35fused_qk_rmsnorm_group_quant_kernelIDF16_N4opus5fp4_tELi128ELi8ELi8ELb0ELb1ELb0ELb1ELb0ELb0EEEvPT0_PvPT_S7_S7_PKS6_S9_S9_S9_S9_ffiiiiiiiiiiiii
; %bb.0:
	s_load_dwordx4 s[12:15], s[4:5], 0x50
	s_waitcnt lgkmcnt(0)
	s_cmp_ge_i32 s6, s14
	s_cbranch_scc1 .LBB375_12
; %bb.1:
	s_load_dwordx2 s[24:25], s[4:5], 0x30
	s_load_dwordx2 s[8:9], s[4:5], 0x48
	s_load_dwordx4 s[16:19], s[4:5], 0x60
	s_cmp_lg_u32 s7, 0
	s_cselect_b64 s[10:11], -1, 0
	s_cmp_eq_u32 s7, 0
	s_cselect_b64 vcc, -1, 0
	s_and_b64 s[0:1], vcc, exec
	s_waitcnt lgkmcnt(0)
	s_cselect_b32 s7, s15, s16
	s_add_i32 s0, s7, 1
	s_lshr_b32 s1, s0, 31
	s_add_i32 s0, s0, s1
	s_lshl_b32 s0, s0, 1
	v_lshlrev_b32_e32 v1, 3, v0
	s_and_b32 s22, s0, -4
	v_cmp_gt_i32_e64 s[2:3], s7, v1
	v_mov_b32_e32 v10, 0
	v_mov_b32_e32 v2, 0
	;; [unrolled: 1-line block ×9, first 2 shown]
	s_and_saveexec_b64 s[0:1], s[2:3]
	s_cbranch_execz .LBB375_3
; %bb.2:
	s_load_dwordx2 s[14:15], s[4:5], 0x28
	s_load_dwordx2 s[20:21], s[4:5], 0x40
	s_and_b64 s[26:27], vcc, exec
	s_cselect_b32 s17, s17, s18
	v_lshlrev_b32_e32 v11, 4, v0
	s_waitcnt lgkmcnt(0)
	s_cselect_b32 s19, s15, s25
	s_cselect_b32 s23, s14, s24
	s_mul_hi_i32 s15, s17, s6
	s_mul_i32 s14, s17, s6
	s_lshl_b64 s[14:15], s[14:15], 1
	s_add_u32 s28, s23, s14
	s_addc_u32 s17, s19, s15
	s_and_b64 s[14:15], vcc, exec
	s_mov_b32 s23, 0x20000
	s_cselect_b32 s20, s20, s8
	s_cselect_b32 s14, s21, s9
	s_and_b32 s29, s17, 0xffff
	s_mov_b32 s30, s22
	s_mov_b32 s31, s23
	s_and_b32 s21, s14, 0xffff
	buffer_load_dwordx4 v[6:9], v11, s[28:31], 0 offen glc slc
	buffer_load_dwordx4 v[2:5], v11, s[20:23], 0 offen
.LBB375_3:
	s_or_b64 exec, exec, s[0:1]
	v_mov_b32_e32 v11, 0
	v_mov_b32_e32 v12, 0
	;; [unrolled: 1-line block ×7, first 2 shown]
	s_and_saveexec_b64 s[0:1], s[2:3]
	s_cbranch_execz .LBB375_5
; %bb.4:
	s_waitcnt vmcnt(1)
	v_cvt_f32_f16_sdwa v11, v6 dst_sel:DWORD dst_unused:UNUSED_PAD src0_sel:WORD_1
	v_cvt_f32_f16_e32 v10, v6
	v_cvt_f32_f16_sdwa v13, v7 dst_sel:DWORD dst_unused:UNUSED_PAD src0_sel:WORD_1
	v_cvt_f32_f16_e32 v12, v7
	;; [unrolled: 2-line block ×4, first 2 shown]
.LBB375_5:
	s_or_b64 exec, exec, s[0:1]
	s_waitcnt vmcnt(1)
	v_mul_f32_e32 v6, v11, v11
	v_fmac_f32_e32 v6, v10, v10
	v_fmac_f32_e32 v6, v12, v12
	;; [unrolled: 1-line block ×7, first 2 shown]
	v_and_b32_e32 v8, 63, v0
	v_cmp_eq_u32_e64 s[0:1], 63, v8
	v_mov_b32_dpp v7, v6 quad_perm:[1,0,3,2] row_mask:0xf bank_mask:0xf
	v_add_f32_e32 v6, v6, v7
	s_nop 1
	v_mov_b32_dpp v7, v6 quad_perm:[2,3,0,1] row_mask:0xf bank_mask:0xf
	v_add_f32_e32 v6, v6, v7
	s_nop 1
	v_mov_b32_dpp v7, v6 row_half_mirror row_mask:0xf bank_mask:0xf
	v_add_f32_e32 v6, v6, v7
	s_nop 1
	v_mov_b32_dpp v7, v6 row_mirror row_mask:0xf bank_mask:0xf
	v_add_f32_e32 v6, v6, v7
	s_nop 1
	v_mov_b32_dpp v7, v6 row_bcast:15 row_mask:0xf bank_mask:0xf
	v_add_f32_e32 v6, v6, v7
	s_nop 1
	v_mov_b32_dpp v7, v6 row_bcast:31 row_mask:0xf bank_mask:0xf
	s_and_saveexec_b64 s[14:15], s[0:1]
	s_cbranch_execz .LBB375_7
; %bb.6:
	v_add_f32_e32 v6, v6, v7
	v_lshrrev_b32_e32 v7, 4, v0
	v_and_b32_e32 v7, 60, v7
	ds_write_b32 v7, v6 offset:8
.LBB375_7:
	s_or_b64 exec, exec, s[14:15]
	v_and_b32_e32 v6, 1, v0
	v_lshlrev_b32_e32 v18, 2, v6
	s_waitcnt lgkmcnt(0)
	s_barrier
	ds_read_b32 v6, v18 offset:8
	s_load_dwordx2 s[14:15], s[4:5], 0x18
	s_waitcnt lgkmcnt(0)
	v_mov_b32_dpp v7, v6 quad_perm:[1,0,3,2] row_mask:0xf bank_mask:0xf
	s_and_saveexec_b64 s[20:21], s[2:3]
	s_cbranch_execz .LBB375_9
; %bb.8:
	v_cvt_f32_u32_e32 v8, s7
	v_add_f32_e32 v6, v6, v7
	v_mov_b32_e32 v19, s13
	v_mov_b32_e32 v20, s12
	v_div_scale_f32 v7, s[26:27], v8, v8, v6
	v_rcp_f32_e32 v9, v7
	v_cndmask_b32_e32 v19, v19, v20, vcc
	s_mov_b32 s7, 0x800000
	v_fma_f32 v20, -v7, v9, 1.0
	v_fmac_f32_e32 v9, v20, v9
	v_div_scale_f32 v20, vcc, v6, v8, v6
	v_mul_f32_e32 v21, v20, v9
	v_fma_f32 v22, -v7, v21, v20
	v_fmac_f32_e32 v21, v22, v9
	v_fma_f32 v7, -v7, v21, v20
	v_div_fmas_f32 v7, v7, v9, v21
	v_div_fixup_f32 v6, v7, v8, v6
	v_add_f32_e32 v6, v19, v6
	v_mul_f32_e32 v7, 0x4b800000, v6
	v_cmp_gt_f32_e32 vcc, s7, v6
	v_cndmask_b32_e32 v6, v6, v7, vcc
	v_rsq_f32_e32 v6, v6
	s_waitcnt vmcnt(0)
	v_cvt_f32_f16_sdwa v21, v5 dst_sel:DWORD dst_unused:UNUSED_PAD src0_sel:WORD_1
	v_cvt_f32_f16_e32 v20, v5
	v_mul_f32_e32 v7, 0x45800000, v6
	v_cndmask_b32_e32 v6, v6, v7, vcc
	v_mov_b32_e32 v7, v6
	;;#ASMSTART
	v_pk_mul_f32 v[8:9], v[10:11], v[6:7]
	;;#ASMEND
	;;#ASMSTART
	v_pk_mul_f32 v[12:13], v[12:13], v[6:7]
	;;#ASMEND
	;; [unrolled: 3-line block ×4, first 2 shown]
	v_cvt_f32_f16_sdwa v11, v2 dst_sel:DWORD dst_unused:UNUSED_PAD src0_sel:WORD_1
	v_cvt_f32_f16_e32 v10, v2
	v_cvt_f32_f16_sdwa v17, v3 dst_sel:DWORD dst_unused:UNUSED_PAD src0_sel:WORD_1
	v_cvt_f32_f16_e32 v16, v3
	;; [unrolled: 2-line block ×3, first 2 shown]
	;;#ASMSTART
	v_pk_mul_f32 v[10:11], v[8:9], v[10:11]
	;;#ASMEND
	;;#ASMSTART
	v_pk_mul_f32 v[12:13], v[12:13], v[16:17]
	;;#ASMEND
	;; [unrolled: 3-line block ×4, first 2 shown]
.LBB375_9:
	s_or_b64 exec, exec, s[20:21]
	s_load_dwordx2 s[26:27], s[4:5], 0x7c
	s_mov_b64 s[20:21], -1
	s_and_b64 vcc, exec, s[10:11]
	s_cbranch_vccnz .LBB375_13
; %bb.10:
	s_andn2_b64 vcc, exec, s[20:21]
	s_cbranch_vccz .LBB375_16
.LBB375_11:
	s_cmp_lt_i32 s16, 1
	s_cbranch_scc0 .LBB375_19
.LBB375_12:
	s_endpgm
.LBB375_13:
	s_and_saveexec_b64 s[10:11], s[2:3]
	s_cbranch_execz .LBB375_15
; %bb.14:
	s_waitcnt lgkmcnt(0)
	s_mul_hi_i32 s21, s27, s6
	s_mul_i32 s20, s27, s6
	s_waitcnt vmcnt(0)
	v_cvt_f16_f32_e32 v2, v10
	v_cvt_f16_f32_e32 v3, v12
	;; [unrolled: 1-line block ×8, first 2 shown]
	s_lshl_b64 s[20:21], s[20:21], 1
	s_add_u32 s20, s14, s20
	s_addc_u32 s7, s15, s21
	s_and_b32 s21, s7, 0xffff
	s_mov_b32 s23, 0x20000
	v_pack_b32_f16 v5, v5, v6
	v_pack_b32_f16 v4, v4, v7
	;; [unrolled: 1-line block ×4, first 2 shown]
	v_lshlrev_b32_e32 v6, 4, v0
	buffer_store_dwordx4 v[2:5], v6, s[20:23], 0 offen
	;;#ASMSTART
	s_nop 0
	;;#ASMEND
.LBB375_15:
	s_or_b64 exec, exec, s[10:11]
	s_cbranch_execnz .LBB375_11
.LBB375_16:
	s_and_saveexec_b64 s[10:11], s[2:3]
	s_cbranch_execz .LBB375_18
; %bb.17:
	s_load_dwordx2 s[2:3], s[4:5], 0x10
	s_waitcnt lgkmcnt(0)
	s_mul_hi_i32 s21, s26, s6
	s_mul_i32 s20, s26, s6
	s_waitcnt vmcnt(0)
	v_cvt_f16_f32_e32 v2, v10
	v_cvt_f16_f32_e32 v3, v12
	;; [unrolled: 1-line block ×8, first 2 shown]
	s_lshl_b64 s[20:21], s[20:21], 1
	s_add_u32 s20, s2, s20
	s_addc_u32 s2, s3, s21
	s_mov_b32 s23, 0x20000
	s_and_b32 s21, s2, 0xffff
	v_pack_b32_f16 v5, v5, v6
	v_pack_b32_f16 v4, v4, v7
	;; [unrolled: 1-line block ×4, first 2 shown]
	v_lshlrev_b32_e32 v6, 4, v0
	buffer_store_dwordx4 v[2:5], v6, s[20:23], 0 offen
	;;#ASMSTART
	s_nop 0
	;;#ASMEND
.LBB375_18:
	s_or_b64 exec, exec, s[10:11]
	s_cmp_lt_i32 s16, 1
	s_cbranch_scc1 .LBB375_12
.LBB375_19:
	s_load_dword s2, s[4:5], 0x94
	s_waitcnt lgkmcnt(0)
	s_cmp_lg_u32 s2, 1
	s_cbranch_scc1 .LBB375_12
; %bb.20:
	s_lshl_b32 s2, s16, 1
	s_add_i32 s2, s2, 2
	v_cmp_gt_u32_e32 vcc, s16, v1
	s_and_b32 s10, s2, -4
	v_mov_b32_e32 v10, 0
	v_lshlrev_b32_e32 v1, 4, v0
	v_mov_b32_e32 v6, 0
	v_mov_b32_e32 v7, 0
	;; [unrolled: 1-line block ×4, first 2 shown]
	s_waitcnt vmcnt(0)
	v_mov_b32_e32 v2, 0
	v_mov_b32_e32 v3, 0
	;; [unrolled: 1-line block ×4, first 2 shown]
	s_barrier
	s_and_saveexec_b64 s[2:3], vcc
	s_cbranch_execz .LBB375_22
; %bb.21:
	s_mul_hi_i32 s5, s18, s6
	s_mul_i32 s4, s18, s6
	s_and_b32 s9, s9, 0xffff
	s_lshl_b64 s[4:5], s[4:5], 1
	s_add_u32 s20, s24, s4
	s_mov_b32 s11, 0x20000
	s_addc_u32 s4, s25, s5
	s_and_b32 s21, s4, 0xffff
	s_mov_b32 s22, s10
	s_mov_b32 s23, s11
	buffer_load_dwordx4 v[6:9], v1, s[20:23], 0 offen glc slc
	buffer_load_dwordx4 v[2:5], v1, s[8:11], 0 offen
.LBB375_22:
	s_or_b64 exec, exec, s[2:3]
	v_mov_b32_e32 v11, 0
	v_mov_b32_e32 v16, 0
	;; [unrolled: 1-line block ×7, first 2 shown]
	s_and_saveexec_b64 s[2:3], vcc
	s_cbranch_execz .LBB375_24
; %bb.23:
	s_waitcnt vmcnt(1)
	v_cvt_f32_f16_sdwa v11, v6 dst_sel:DWORD dst_unused:UNUSED_PAD src0_sel:WORD_1
	v_cvt_f32_f16_e32 v10, v6
	v_cvt_f32_f16_sdwa v17, v7 dst_sel:DWORD dst_unused:UNUSED_PAD src0_sel:WORD_1
	v_cvt_f32_f16_e32 v16, v7
	;; [unrolled: 2-line block ×4, first 2 shown]
.LBB375_24:
	s_or_b64 exec, exec, s[2:3]
	s_waitcnt vmcnt(1)
	v_mul_f32_e32 v6, v11, v11
	v_fmac_f32_e32 v6, v10, v10
	v_fmac_f32_e32 v6, v16, v16
	v_fmac_f32_e32 v6, v17, v17
	v_fmac_f32_e32 v6, v14, v14
	v_fmac_f32_e32 v6, v15, v15
	v_fmac_f32_e32 v6, v12, v12
	v_fmac_f32_e32 v6, v13, v13
	s_nop 1
	v_mov_b32_dpp v7, v6 quad_perm:[1,0,3,2] row_mask:0xf bank_mask:0xf
	v_add_f32_e32 v6, v6, v7
	s_nop 1
	v_mov_b32_dpp v7, v6 quad_perm:[2,3,0,1] row_mask:0xf bank_mask:0xf
	v_add_f32_e32 v6, v6, v7
	s_nop 1
	v_mov_b32_dpp v7, v6 row_half_mirror row_mask:0xf bank_mask:0xf
	v_add_f32_e32 v6, v6, v7
	s_nop 1
	v_mov_b32_dpp v7, v6 row_mirror row_mask:0xf bank_mask:0xf
	v_add_f32_e32 v6, v6, v7
	s_nop 1
	v_mov_b32_dpp v7, v6 row_bcast:15 row_mask:0xf bank_mask:0xf
	v_add_f32_e32 v6, v6, v7
	s_nop 1
	v_mov_b32_dpp v7, v6 row_bcast:31 row_mask:0xf bank_mask:0xf
	s_and_saveexec_b64 s[2:3], s[0:1]
	s_cbranch_execz .LBB375_26
; %bb.25:
	v_lshrrev_b32_e32 v0, 4, v0
	v_add_f32_e32 v6, v6, v7
	v_and_b32_e32 v0, 60, v0
	ds_write_b32 v0, v6
.LBB375_26:
	s_or_b64 exec, exec, s[2:3]
	s_waitcnt lgkmcnt(0)
	s_barrier
	ds_read_b32 v0, v18
	s_waitcnt lgkmcnt(0)
	s_nop 0
	v_mov_b32_dpp v6, v0 quad_perm:[1,0,3,2] row_mask:0xf bank_mask:0xf
	s_and_saveexec_b64 s[0:1], vcc
	s_cbranch_execz .LBB375_12
; %bb.27:
	v_cvt_f32_u32_e32 v7, s16
	v_add_f32_e32 v0, v0, v6
	s_mov_b32 s11, 0x20000
	v_div_scale_f32 v6, s[0:1], v7, v7, v0
	v_rcp_f32_e32 v8, v6
	v_div_scale_f32 v9, vcc, v0, v7, v0
	s_mov_b32 s0, 0x800000
	v_fma_f32 v18, -v6, v8, 1.0
	v_fmac_f32_e32 v8, v18, v8
	v_mul_f32_e32 v18, v9, v8
	v_fma_f32 v19, -v6, v18, v9
	v_fmac_f32_e32 v18, v19, v8
	v_fma_f32 v6, -v6, v18, v9
	v_div_fmas_f32 v6, v6, v8, v18
	v_div_fixup_f32 v0, v6, v7, v0
	v_add_f32_e32 v0, s13, v0
	v_mul_f32_e32 v6, 0x4b800000, v0
	v_cmp_gt_f32_e32 vcc, s0, v0
	v_cndmask_b32_e32 v0, v0, v6, vcc
	v_rsq_f32_e32 v0, v0
	s_waitcnt vmcnt(0)
	v_cvt_f32_f16_sdwa v19, v5 dst_sel:DWORD dst_unused:UNUSED_PAD src0_sel:WORD_1
	v_cvt_f32_f16_e32 v18, v5
	s_mul_hi_i32 s1, s27, s6
	v_mul_f32_e32 v6, 0x45800000, v0
	v_cndmask_b32_e32 v6, v0, v6, vcc
	v_mov_b32_e32 v7, v6
	;;#ASMSTART
	v_pk_mul_f32 v[8:9], v[10:11], v[6:7]
	;;#ASMEND
	;;#ASMSTART
	v_pk_mul_f32 v[10:11], v[16:17], v[6:7]
	;;#ASMEND
	;; [unrolled: 3-line block ×4, first 2 shown]
	v_cvt_f32_f16_sdwa v13, v2 dst_sel:DWORD dst_unused:UNUSED_PAD src0_sel:WORD_1
	v_cvt_f32_f16_e32 v12, v2
	v_cvt_f32_f16_sdwa v17, v3 dst_sel:DWORD dst_unused:UNUSED_PAD src0_sel:WORD_1
	v_cvt_f32_f16_e32 v16, v3
	;; [unrolled: 2-line block ×3, first 2 shown]
	;;#ASMSTART
	v_pk_mul_f32 v[4:5], v[8:9], v[12:13]
	;;#ASMEND
	;;#ASMSTART
	v_pk_mul_f32 v[8:9], v[10:11], v[16:17]
	;;#ASMEND
	;; [unrolled: 3-line block ×4, first 2 shown]
	s_mul_i32 s0, s27, s6
	v_cvt_f16_f32_e32 v0, v4
	v_cvt_f16_f32_e32 v4, v5
	v_cvt_f16_f32_e32 v5, v8
	v_cvt_f16_f32_e32 v8, v9
	v_cvt_f16_f32_e32 v9, v2
	v_cvt_f16_f32_e32 v10, v3
	v_cvt_f16_f32_e32 v6, v6
	v_cvt_f16_f32_e32 v7, v7
	s_lshl_b64 s[0:1], s[0:1], 1
	s_add_u32 s8, s14, s0
	s_addc_u32 s0, s15, s1
	s_and_b32 s9, s0, 0xffff
	v_pack_b32_f16 v2, v0, v4
	v_pack_b32_f16 v3, v5, v8
	v_pack_b32_f16 v4, v9, v10
	v_pack_b32_f16 v5, v6, v7
	buffer_store_dwordx4 v[2:5], v1, s[8:11], 0 offen
	;;#ASMSTART
	s_nop 0
	;;#ASMEND
	s_endpgm
	.section	.rodata,"a",@progbits
	.p2align	6, 0x0
	.amdhsa_kernel _ZN5aiter35fused_qk_rmsnorm_group_quant_kernelIDF16_N4opus5fp4_tELi128ELi8ELi8ELb0ELb1ELb0ELb1ELb0ELb0EEEvPT0_PvPT_S7_S7_PKS6_S9_S9_S9_S9_ffiiiiiiiiiiiii
		.amdhsa_group_segment_fixed_size 16
		.amdhsa_private_segment_fixed_size 0
		.amdhsa_kernarg_size 400
		.amdhsa_user_sgpr_count 6
		.amdhsa_user_sgpr_private_segment_buffer 1
		.amdhsa_user_sgpr_dispatch_ptr 0
		.amdhsa_user_sgpr_queue_ptr 0
		.amdhsa_user_sgpr_kernarg_segment_ptr 1
		.amdhsa_user_sgpr_dispatch_id 0
		.amdhsa_user_sgpr_flat_scratch_init 0
		.amdhsa_user_sgpr_kernarg_preload_length 0
		.amdhsa_user_sgpr_kernarg_preload_offset 0
		.amdhsa_user_sgpr_private_segment_size 0
		.amdhsa_uses_dynamic_stack 0
		.amdhsa_system_sgpr_private_segment_wavefront_offset 0
		.amdhsa_system_sgpr_workgroup_id_x 1
		.amdhsa_system_sgpr_workgroup_id_y 1
		.amdhsa_system_sgpr_workgroup_id_z 0
		.amdhsa_system_sgpr_workgroup_info 0
		.amdhsa_system_vgpr_workitem_id 0
		.amdhsa_next_free_vgpr 23
		.amdhsa_next_free_sgpr 32
		.amdhsa_accum_offset 24
		.amdhsa_reserve_vcc 1
		.amdhsa_reserve_flat_scratch 0
		.amdhsa_float_round_mode_32 0
		.amdhsa_float_round_mode_16_64 0
		.amdhsa_float_denorm_mode_32 3
		.amdhsa_float_denorm_mode_16_64 3
		.amdhsa_dx10_clamp 1
		.amdhsa_ieee_mode 1
		.amdhsa_fp16_overflow 0
		.amdhsa_tg_split 0
		.amdhsa_exception_fp_ieee_invalid_op 0
		.amdhsa_exception_fp_denorm_src 0
		.amdhsa_exception_fp_ieee_div_zero 0
		.amdhsa_exception_fp_ieee_overflow 0
		.amdhsa_exception_fp_ieee_underflow 0
		.amdhsa_exception_fp_ieee_inexact 0
		.amdhsa_exception_int_div_zero 0
	.end_amdhsa_kernel
	.section	.text._ZN5aiter35fused_qk_rmsnorm_group_quant_kernelIDF16_N4opus5fp4_tELi128ELi8ELi8ELb0ELb1ELb0ELb1ELb0ELb0EEEvPT0_PvPT_S7_S7_PKS6_S9_S9_S9_S9_ffiiiiiiiiiiiii,"axG",@progbits,_ZN5aiter35fused_qk_rmsnorm_group_quant_kernelIDF16_N4opus5fp4_tELi128ELi8ELi8ELb0ELb1ELb0ELb1ELb0ELb0EEEvPT0_PvPT_S7_S7_PKS6_S9_S9_S9_S9_ffiiiiiiiiiiiii,comdat
.Lfunc_end375:
	.size	_ZN5aiter35fused_qk_rmsnorm_group_quant_kernelIDF16_N4opus5fp4_tELi128ELi8ELi8ELb0ELb1ELb0ELb1ELb0ELb0EEEvPT0_PvPT_S7_S7_PKS6_S9_S9_S9_S9_ffiiiiiiiiiiiii, .Lfunc_end375-_ZN5aiter35fused_qk_rmsnorm_group_quant_kernelIDF16_N4opus5fp4_tELi128ELi8ELi8ELb0ELb1ELb0ELb1ELb0ELb0EEEvPT0_PvPT_S7_S7_PKS6_S9_S9_S9_S9_ffiiiiiiiiiiiii
                                        ; -- End function
	.section	.AMDGPU.csdata,"",@progbits
; Kernel info:
; codeLenInByte = 2004
; NumSgprs: 36
; NumVgprs: 23
; NumAgprs: 0
; TotalNumVgprs: 23
; ScratchSize: 0
; MemoryBound: 0
; FloatMode: 240
; IeeeMode: 1
; LDSByteSize: 16 bytes/workgroup (compile time only)
; SGPRBlocks: 4
; VGPRBlocks: 2
; NumSGPRsForWavesPerEU: 36
; NumVGPRsForWavesPerEU: 23
; AccumOffset: 24
; Occupancy: 8
; WaveLimiterHint : 0
; COMPUTE_PGM_RSRC2:SCRATCH_EN: 0
; COMPUTE_PGM_RSRC2:USER_SGPR: 6
; COMPUTE_PGM_RSRC2:TRAP_HANDLER: 0
; COMPUTE_PGM_RSRC2:TGID_X_EN: 1
; COMPUTE_PGM_RSRC2:TGID_Y_EN: 1
; COMPUTE_PGM_RSRC2:TGID_Z_EN: 0
; COMPUTE_PGM_RSRC2:TIDIG_COMP_CNT: 0
; COMPUTE_PGM_RSRC3_GFX90A:ACCUM_OFFSET: 5
; COMPUTE_PGM_RSRC3_GFX90A:TG_SPLIT: 0
	.section	.text._ZN5aiter35fused_qk_rmsnorm_group_quant_kernelItN4opus5fp4_tELi128ELi8ELi8ELb0ELb1ELb0ELb1ELb0ELb0EEEvPT0_PvPT_S7_S7_PKS6_S9_S9_S9_S9_ffiiiiiiiiiiiii,"axG",@progbits,_ZN5aiter35fused_qk_rmsnorm_group_quant_kernelItN4opus5fp4_tELi128ELi8ELi8ELb0ELb1ELb0ELb1ELb0ELb0EEEvPT0_PvPT_S7_S7_PKS6_S9_S9_S9_S9_ffiiiiiiiiiiiii,comdat
	.protected	_ZN5aiter35fused_qk_rmsnorm_group_quant_kernelItN4opus5fp4_tELi128ELi8ELi8ELb0ELb1ELb0ELb1ELb0ELb0EEEvPT0_PvPT_S7_S7_PKS6_S9_S9_S9_S9_ffiiiiiiiiiiiii ; -- Begin function _ZN5aiter35fused_qk_rmsnorm_group_quant_kernelItN4opus5fp4_tELi128ELi8ELi8ELb0ELb1ELb0ELb1ELb0ELb0EEEvPT0_PvPT_S7_S7_PKS6_S9_S9_S9_S9_ffiiiiiiiiiiiii
	.globl	_ZN5aiter35fused_qk_rmsnorm_group_quant_kernelItN4opus5fp4_tELi128ELi8ELi8ELb0ELb1ELb0ELb1ELb0ELb0EEEvPT0_PvPT_S7_S7_PKS6_S9_S9_S9_S9_ffiiiiiiiiiiiii
	.p2align	8
	.type	_ZN5aiter35fused_qk_rmsnorm_group_quant_kernelItN4opus5fp4_tELi128ELi8ELi8ELb0ELb1ELb0ELb1ELb0ELb0EEEvPT0_PvPT_S7_S7_PKS6_S9_S9_S9_S9_ffiiiiiiiiiiiii,@function
_ZN5aiter35fused_qk_rmsnorm_group_quant_kernelItN4opus5fp4_tELi128ELi8ELi8ELb0ELb1ELb0ELb1ELb0ELb0EEEvPT0_PvPT_S7_S7_PKS6_S9_S9_S9_S9_ffiiiiiiiiiiiii: ; @_ZN5aiter35fused_qk_rmsnorm_group_quant_kernelItN4opus5fp4_tELi128ELi8ELi8ELb0ELb1ELb0ELb1ELb0ELb0EEEvPT0_PvPT_S7_S7_PKS6_S9_S9_S9_S9_ffiiiiiiiiiiiii
; %bb.0:
	s_load_dwordx4 s[12:15], s[4:5], 0x50
	s_waitcnt lgkmcnt(0)
	s_cmp_ge_i32 s6, s14
	s_cbranch_scc1 .LBB376_10
; %bb.1:
	s_load_dwordx2 s[24:25], s[4:5], 0x30
	s_load_dwordx2 s[8:9], s[4:5], 0x48
	s_load_dwordx4 s[16:19], s[4:5], 0x60
	s_cmp_lg_u32 s7, 0
	s_cselect_b64 s[10:11], -1, 0
	s_cmp_eq_u32 s7, 0
	s_cselect_b64 vcc, -1, 0
	s_and_b64 s[0:1], vcc, exec
	s_waitcnt lgkmcnt(0)
	s_cselect_b32 s7, s15, s16
	s_add_i32 s0, s7, 1
	s_lshr_b32 s1, s0, 31
	s_add_i32 s0, s0, s1
	s_lshl_b32 s0, s0, 1
	v_lshlrev_b32_e32 v1, 3, v0
	s_and_b32 s22, s0, -4
	v_cmp_gt_i32_e64 s[2:3], s7, v1
	v_mov_b32_e32 v2, 0
	v_mov_b32_e32 v3, 0
	;; [unrolled: 1-line block ×8, first 2 shown]
	s_and_saveexec_b64 s[0:1], s[2:3]
	s_cbranch_execz .LBB376_3
; %bb.2:
	s_load_dwordx2 s[14:15], s[4:5], 0x28
	s_load_dwordx2 s[20:21], s[4:5], 0x40
	s_and_b64 s[26:27], vcc, exec
	s_cselect_b32 s17, s17, s18
	v_lshlrev_b32_e32 v10, 4, v0
	s_waitcnt lgkmcnt(0)
	s_cselect_b32 s19, s15, s25
	s_cselect_b32 s23, s14, s24
	s_mul_hi_i32 s15, s17, s6
	s_mul_i32 s14, s17, s6
	s_lshl_b64 s[14:15], s[14:15], 1
	s_add_u32 s28, s23, s14
	s_addc_u32 s17, s19, s15
	s_and_b64 s[14:15], vcc, exec
	s_mov_b32 s23, 0x20000
	s_cselect_b32 s20, s20, s8
	s_cselect_b32 s14, s21, s9
	s_and_b32 s29, s17, 0xffff
	s_mov_b32 s30, s22
	s_mov_b32 s31, s23
	s_and_b32 s21, s14, 0xffff
	buffer_load_dwordx4 v[6:9], v10, s[28:31], 0 offen glc slc
	buffer_load_dwordx4 v[2:5], v10, s[20:23], 0 offen
.LBB376_3:
	s_or_b64 exec, exec, s[0:1]
	s_waitcnt vmcnt(1)
	v_cvt_f32_u32_sdwa v13, v6 dst_sel:DWORD dst_unused:UNUSED_PAD src0_sel:WORD_1
	v_cvt_f32_u32_sdwa v12, v6 dst_sel:DWORD dst_unused:UNUSED_PAD src0_sel:WORD_0
	v_cvt_f32_u32_sdwa v6, v9 dst_sel:DWORD dst_unused:UNUSED_PAD src0_sel:WORD_1
	v_cvt_f32_u32_sdwa v9, v9 dst_sel:DWORD dst_unused:UNUSED_PAD src0_sel:WORD_0
	;; [unrolled: 2-line block ×4, first 2 shown]
	v_cndmask_b32_e64 v13, 0, v13, s[2:3]
	v_cndmask_b32_e64 v7, 0, v6, s[2:3]
	v_cndmask_b32_e64 v6, 0, v9, s[2:3]
	v_cndmask_b32_e64 v9, 0, v14, s[2:3]
	v_cndmask_b32_e64 v12, 0, v12, s[2:3]
	v_mul_f32_e32 v14, v13, v13
	v_cndmask_b32_e64 v10, 0, v10, s[2:3]
	v_fmac_f32_e32 v14, v12, v12
	v_cndmask_b32_e64 v11, 0, v11, s[2:3]
	v_fmac_f32_e32 v14, v10, v10
	;; [unrolled: 2-line block ×3, first 2 shown]
	v_fmac_f32_e32 v14, v8, v8
	v_fmac_f32_e32 v14, v9, v9
	;; [unrolled: 1-line block ×4, first 2 shown]
	v_and_b32_e32 v16, 63, v0
	v_cmp_eq_u32_e64 s[0:1], 63, v16
	v_mov_b32_dpp v15, v14 quad_perm:[1,0,3,2] row_mask:0xf bank_mask:0xf
	v_add_f32_e32 v14, v14, v15
	s_nop 1
	v_mov_b32_dpp v15, v14 quad_perm:[2,3,0,1] row_mask:0xf bank_mask:0xf
	v_add_f32_e32 v14, v14, v15
	s_nop 1
	v_mov_b32_dpp v15, v14 row_half_mirror row_mask:0xf bank_mask:0xf
	v_add_f32_e32 v14, v14, v15
	s_nop 1
	v_mov_b32_dpp v15, v14 row_mirror row_mask:0xf bank_mask:0xf
	v_add_f32_e32 v14, v14, v15
	s_nop 1
	v_mov_b32_dpp v15, v14 row_bcast:15 row_mask:0xf bank_mask:0xf
	v_add_f32_e32 v14, v14, v15
	s_nop 1
	v_mov_b32_dpp v15, v14 row_bcast:31 row_mask:0xf bank_mask:0xf
	s_and_saveexec_b64 s[14:15], s[0:1]
	s_cbranch_execz .LBB376_5
; %bb.4:
	v_add_f32_e32 v14, v14, v15
	v_lshrrev_b32_e32 v15, 4, v0
	v_and_b32_e32 v15, 60, v15
	ds_write_b32 v15, v14 offset:8
.LBB376_5:
	s_or_b64 exec, exec, s[14:15]
	v_and_b32_e32 v14, 1, v0
	v_lshlrev_b32_e32 v14, 2, v14
	s_waitcnt lgkmcnt(0)
	s_barrier
	ds_read_b32 v15, v14 offset:8
	s_load_dwordx2 s[14:15], s[4:5], 0x18
	s_waitcnt lgkmcnt(0)
	v_mov_b32_dpp v16, v15 quad_perm:[1,0,3,2] row_mask:0xf bank_mask:0xf
	s_and_saveexec_b64 s[20:21], s[2:3]
	s_cbranch_execz .LBB376_7
; %bb.6:
	v_cvt_f32_u32_e32 v17, s7
	v_add_f32_e32 v15, v15, v16
	v_mov_b32_e32 v19, s13
	v_mov_b32_e32 v20, s12
	v_div_scale_f32 v16, s[26:27], v17, v17, v15
	v_rcp_f32_e32 v18, v16
	v_cndmask_b32_e32 v19, v19, v20, vcc
	s_mov_b32 s7, 0x800000
	v_fma_f32 v20, -v16, v18, 1.0
	v_fmac_f32_e32 v18, v20, v18
	v_div_scale_f32 v20, vcc, v15, v17, v15
	v_mul_f32_e32 v21, v20, v18
	v_fma_f32 v22, -v16, v21, v20
	v_fmac_f32_e32 v21, v22, v18
	v_fma_f32 v16, -v16, v21, v20
	v_div_fmas_f32 v16, v16, v18, v21
	v_div_fixup_f32 v15, v16, v17, v15
	v_add_f32_e32 v15, v19, v15
	v_mul_f32_e32 v16, 0x4b800000, v15
	v_cmp_gt_f32_e32 vcc, s7, v15
	v_cndmask_b32_e32 v15, v15, v16, vcc
	v_rsq_f32_e32 v15, v15
	s_waitcnt vmcnt(0)
	v_cvt_f32_u32_sdwa v19, v3 dst_sel:DWORD dst_unused:UNUSED_PAD src0_sel:WORD_1
	v_cvt_f32_u32_sdwa v18, v3 dst_sel:DWORD dst_unused:UNUSED_PAD src0_sel:WORD_0
	v_cvt_f32_u32_sdwa v3, v4 dst_sel:DWORD dst_unused:UNUSED_PAD src0_sel:WORD_1
	v_mul_f32_e32 v16, 0x45800000, v15
	v_cndmask_b32_e32 v16, v15, v16, vcc
	v_mov_b32_e32 v17, v16
	;;#ASMSTART
	v_pk_mul_f32 v[12:13], v[12:13], v[16:17]
	;;#ASMEND
	;;#ASMSTART
	v_pk_mul_f32 v[10:11], v[10:11], v[16:17]
	;;#ASMEND
	;; [unrolled: 3-line block ×4, first 2 shown]
	v_cvt_f32_u32_sdwa v17, v2 dst_sel:DWORD dst_unused:UNUSED_PAD src0_sel:WORD_1
	v_cvt_f32_u32_sdwa v16, v2 dst_sel:DWORD dst_unused:UNUSED_PAD src0_sel:WORD_0
	v_cvt_f32_u32_sdwa v2, v4 dst_sel:DWORD dst_unused:UNUSED_PAD src0_sel:WORD_0
	v_cvt_f32_u32_sdwa v21, v5 dst_sel:DWORD dst_unused:UNUSED_PAD src0_sel:WORD_1
	v_cvt_f32_u32_sdwa v20, v5 dst_sel:DWORD dst_unused:UNUSED_PAD src0_sel:WORD_0
	;;#ASMSTART
	v_pk_mul_f32 v[12:13], v[12:13], v[16:17]
	;;#ASMEND
	;;#ASMSTART
	v_pk_mul_f32 v[10:11], v[10:11], v[18:19]
	;;#ASMEND
	;; [unrolled: 3-line block ×4, first 2 shown]
.LBB376_7:
	s_or_b64 exec, exec, s[20:21]
	s_load_dwordx2 s[26:27], s[4:5], 0x7c
	s_mov_b64 s[20:21], -1
	s_and_b64 vcc, exec, s[10:11]
	s_cbranch_vccnz .LBB376_11
; %bb.8:
	s_andn2_b64 vcc, exec, s[20:21]
	s_cbranch_vccz .LBB376_14
.LBB376_9:
	s_cmp_lt_i32 s16, 1
	s_cbranch_scc0 .LBB376_17
.LBB376_10:
	s_endpgm
.LBB376_11:
	s_and_saveexec_b64 s[10:11], s[2:3]
	s_cbranch_execz .LBB376_13
; %bb.12:
	s_waitcnt lgkmcnt(0)
	s_mul_hi_i32 s21, s27, s6
	s_mul_i32 s20, s27, s6
	s_lshl_b64 s[20:21], s[20:21], 1
	s_add_u32 s20, s14, s20
	s_addc_u32 s7, s15, s21
	s_and_b32 s21, s7, 0xffff
	s_mov_b32 s7, 0x7060302
	s_mov_b32 s23, 0x20000
	s_waitcnt vmcnt(0)
	v_perm_b32 v2, v13, v12, s7
	v_perm_b32 v3, v11, v10, s7
	v_perm_b32 v4, v9, v8, s7
	v_perm_b32 v5, v7, v6, s7
	v_lshlrev_b32_e32 v15, 4, v0
	buffer_store_dwordx4 v[2:5], v15, s[20:23], 0 offen
	;;#ASMSTART
	s_nop 0
	;;#ASMEND
.LBB376_13:
	s_or_b64 exec, exec, s[10:11]
	s_cbranch_execnz .LBB376_9
.LBB376_14:
	s_and_saveexec_b64 s[10:11], s[2:3]
	s_cbranch_execz .LBB376_16
; %bb.15:
	s_load_dwordx2 s[2:3], s[4:5], 0x10
	s_waitcnt lgkmcnt(0)
	s_mul_hi_i32 s21, s26, s6
	s_mul_i32 s20, s26, s6
	s_lshl_b64 s[20:21], s[20:21], 1
	s_mov_b32 s23, 0x20000
	s_add_u32 s20, s2, s20
	s_addc_u32 s2, s3, s21
	s_and_b32 s21, s2, 0xffff
	s_mov_b32 s2, 0x7060302
	s_waitcnt vmcnt(0)
	v_perm_b32 v2, v13, v12, s2
	v_perm_b32 v3, v11, v10, s2
	;; [unrolled: 1-line block ×4, first 2 shown]
	v_lshlrev_b32_e32 v6, 4, v0
	buffer_store_dwordx4 v[2:5], v6, s[20:23], 0 offen
	;;#ASMSTART
	s_nop 0
	;;#ASMEND
.LBB376_16:
	s_or_b64 exec, exec, s[10:11]
	s_cmp_lt_i32 s16, 1
	s_cbranch_scc1 .LBB376_10
.LBB376_17:
	s_load_dword s2, s[4:5], 0x94
	s_waitcnt lgkmcnt(0)
	s_cmp_lg_u32 s2, 1
	s_cbranch_scc1 .LBB376_10
; %bb.18:
	s_lshl_b32 s2, s16, 1
	s_add_i32 s2, s2, 2
	v_cmp_gt_u32_e32 vcc, s16, v1
	s_and_b32 s10, s2, -4
	v_mov_b32_e32 v6, 0
	v_lshlrev_b32_e32 v1, 4, v0
	v_mov_b32_e32 v7, 0
	v_mov_b32_e32 v8, 0
	;; [unrolled: 1-line block ×3, first 2 shown]
	s_waitcnt vmcnt(0)
	v_mov_b32_e32 v2, 0
	v_mov_b32_e32 v3, 0
	v_mov_b32_e32 v4, 0
	v_mov_b32_e32 v5, 0
	s_barrier
	s_and_saveexec_b64 s[2:3], vcc
	s_cbranch_execz .LBB376_20
; %bb.19:
	s_mul_hi_i32 s5, s18, s6
	s_mul_i32 s4, s18, s6
	s_and_b32 s9, s9, 0xffff
	s_lshl_b64 s[4:5], s[4:5], 1
	s_add_u32 s20, s24, s4
	s_mov_b32 s11, 0x20000
	s_addc_u32 s4, s25, s5
	s_and_b32 s21, s4, 0xffff
	s_mov_b32 s22, s10
	s_mov_b32 s23, s11
	buffer_load_dwordx4 v[6:9], v1, s[20:23], 0 offen glc slc
	buffer_load_dwordx4 v[2:5], v1, s[8:11], 0 offen
.LBB376_20:
	s_or_b64 exec, exec, s[2:3]
	s_waitcnt vmcnt(1)
	v_cvt_f32_u32_sdwa v13, v6 dst_sel:DWORD dst_unused:UNUSED_PAD src0_sel:WORD_1
	v_cvt_f32_u32_sdwa v12, v6 dst_sel:DWORD dst_unused:UNUSED_PAD src0_sel:WORD_0
	v_cvt_f32_u32_sdwa v6, v9 dst_sel:DWORD dst_unused:UNUSED_PAD src0_sel:WORD_1
	v_cvt_f32_u32_sdwa v9, v9 dst_sel:DWORD dst_unused:UNUSED_PAD src0_sel:WORD_0
	;; [unrolled: 2-line block ×4, first 2 shown]
	v_cndmask_b32_e32 v13, 0, v13, vcc
	v_cndmask_b32_e32 v7, 0, v6, vcc
	;; [unrolled: 1-line block ×5, first 2 shown]
	v_mul_f32_e32 v15, v13, v13
	v_cndmask_b32_e32 v10, 0, v10, vcc
	v_fmac_f32_e32 v15, v12, v12
	v_cndmask_b32_e32 v11, 0, v11, vcc
	v_fmac_f32_e32 v15, v10, v10
	;; [unrolled: 2-line block ×3, first 2 shown]
	v_fmac_f32_e32 v15, v8, v8
	v_fmac_f32_e32 v15, v9, v9
	;; [unrolled: 1-line block ×4, first 2 shown]
	s_nop 1
	v_mov_b32_dpp v16, v15 quad_perm:[1,0,3,2] row_mask:0xf bank_mask:0xf
	v_add_f32_e32 v15, v15, v16
	s_nop 1
	v_mov_b32_dpp v16, v15 quad_perm:[2,3,0,1] row_mask:0xf bank_mask:0xf
	v_add_f32_e32 v15, v15, v16
	s_nop 1
	v_mov_b32_dpp v16, v15 row_half_mirror row_mask:0xf bank_mask:0xf
	v_add_f32_e32 v15, v15, v16
	s_nop 1
	v_mov_b32_dpp v16, v15 row_mirror row_mask:0xf bank_mask:0xf
	v_add_f32_e32 v15, v15, v16
	s_nop 1
	v_mov_b32_dpp v16, v15 row_bcast:15 row_mask:0xf bank_mask:0xf
	v_add_f32_e32 v15, v15, v16
	s_nop 1
	v_mov_b32_dpp v16, v15 row_bcast:31 row_mask:0xf bank_mask:0xf
	s_and_saveexec_b64 s[2:3], s[0:1]
	s_cbranch_execz .LBB376_22
; %bb.21:
	v_lshrrev_b32_e32 v0, 4, v0
	v_add_f32_e32 v15, v15, v16
	v_and_b32_e32 v0, 60, v0
	ds_write_b32 v0, v15
.LBB376_22:
	s_or_b64 exec, exec, s[2:3]
	s_waitcnt lgkmcnt(0)
	s_barrier
	ds_read_b32 v0, v14
	s_waitcnt lgkmcnt(0)
	s_nop 0
	v_mov_b32_dpp v14, v0 quad_perm:[1,0,3,2] row_mask:0xf bank_mask:0xf
	s_and_saveexec_b64 s[0:1], vcc
	s_cbranch_execz .LBB376_10
; %bb.23:
	v_cvt_f32_u32_e32 v15, s16
	v_add_f32_e32 v0, v0, v14
	s_mov_b32 s11, 0x20000
	v_div_scale_f32 v14, s[0:1], v15, v15, v0
	v_rcp_f32_e32 v16, v14
	v_div_scale_f32 v17, vcc, v0, v15, v0
	s_mov_b32 s0, 0x800000
	v_fma_f32 v18, -v14, v16, 1.0
	v_fmac_f32_e32 v16, v18, v16
	v_mul_f32_e32 v18, v17, v16
	v_fma_f32 v19, -v14, v18, v17
	v_fmac_f32_e32 v18, v19, v16
	v_fma_f32 v14, -v14, v18, v17
	v_div_fmas_f32 v14, v14, v16, v18
	v_div_fixup_f32 v0, v14, v15, v0
	v_add_f32_e32 v0, s13, v0
	v_mul_f32_e32 v14, 0x4b800000, v0
	v_cmp_gt_f32_e32 vcc, s0, v0
	v_cndmask_b32_e32 v0, v0, v14, vcc
	v_rsq_f32_e32 v0, v0
	s_mul_hi_i32 s1, s27, s6
	s_mul_i32 s0, s27, s6
	s_lshl_b64 s[0:1], s[0:1], 1
	v_mul_f32_e32 v14, 0x45800000, v0
	v_cndmask_b32_e32 v14, v0, v14, vcc
	s_add_u32 s8, s14, s0
	v_mov_b32_e32 v15, v14
	s_addc_u32 s0, s15, s1
	;;#ASMSTART
	v_pk_mul_f32 v[12:13], v[12:13], v[14:15]
	;;#ASMEND
	;;#ASMSTART
	v_pk_mul_f32 v[10:11], v[10:11], v[14:15]
	;;#ASMEND
	;; [unrolled: 3-line block ×4, first 2 shown]
	s_waitcnt vmcnt(0)
	v_cvt_f32_u32_sdwa v15, v2 dst_sel:DWORD dst_unused:UNUSED_PAD src0_sel:WORD_1
	v_cvt_f32_u32_sdwa v14, v2 dst_sel:DWORD dst_unused:UNUSED_PAD src0_sel:WORD_0
	v_cvt_f32_u32_sdwa v17, v3 dst_sel:DWORD dst_unused:UNUSED_PAD src0_sel:WORD_1
	v_cvt_f32_u32_sdwa v16, v3 dst_sel:DWORD dst_unused:UNUSED_PAD src0_sel:WORD_0
	;; [unrolled: 2-line block ×4, first 2 shown]
	;;#ASMSTART
	v_pk_mul_f32 v[4:5], v[12:13], v[14:15]
	;;#ASMEND
	s_and_b32 s9, s0, 0xffff
	s_mov_b32 s0, 0x7060302
	;;#ASMSTART
	v_pk_mul_f32 v[10:11], v[10:11], v[16:17]
	;;#ASMEND
	;;#ASMSTART
	v_pk_mul_f32 v[8:9], v[8:9], v[2:3]
	;;#ASMEND
	;; [unrolled: 3-line block ×3, first 2 shown]
	v_perm_b32 v2, v5, v4, s0
	v_perm_b32 v3, v11, v10, s0
	;; [unrolled: 1-line block ×4, first 2 shown]
	buffer_store_dwordx4 v[2:5], v1, s[8:11], 0 offen
	;;#ASMSTART
	s_nop 0
	;;#ASMEND
	s_endpgm
	.section	.rodata,"a",@progbits
	.p2align	6, 0x0
	.amdhsa_kernel _ZN5aiter35fused_qk_rmsnorm_group_quant_kernelItN4opus5fp4_tELi128ELi8ELi8ELb0ELb1ELb0ELb1ELb0ELb0EEEvPT0_PvPT_S7_S7_PKS6_S9_S9_S9_S9_ffiiiiiiiiiiiii
		.amdhsa_group_segment_fixed_size 16
		.amdhsa_private_segment_fixed_size 0
		.amdhsa_kernarg_size 400
		.amdhsa_user_sgpr_count 6
		.amdhsa_user_sgpr_private_segment_buffer 1
		.amdhsa_user_sgpr_dispatch_ptr 0
		.amdhsa_user_sgpr_queue_ptr 0
		.amdhsa_user_sgpr_kernarg_segment_ptr 1
		.amdhsa_user_sgpr_dispatch_id 0
		.amdhsa_user_sgpr_flat_scratch_init 0
		.amdhsa_user_sgpr_kernarg_preload_length 0
		.amdhsa_user_sgpr_kernarg_preload_offset 0
		.amdhsa_user_sgpr_private_segment_size 0
		.amdhsa_uses_dynamic_stack 0
		.amdhsa_system_sgpr_private_segment_wavefront_offset 0
		.amdhsa_system_sgpr_workgroup_id_x 1
		.amdhsa_system_sgpr_workgroup_id_y 1
		.amdhsa_system_sgpr_workgroup_id_z 0
		.amdhsa_system_sgpr_workgroup_info 0
		.amdhsa_system_vgpr_workitem_id 0
		.amdhsa_next_free_vgpr 23
		.amdhsa_next_free_sgpr 32
		.amdhsa_accum_offset 24
		.amdhsa_reserve_vcc 1
		.amdhsa_reserve_flat_scratch 0
		.amdhsa_float_round_mode_32 0
		.amdhsa_float_round_mode_16_64 0
		.amdhsa_float_denorm_mode_32 3
		.amdhsa_float_denorm_mode_16_64 3
		.amdhsa_dx10_clamp 1
		.amdhsa_ieee_mode 1
		.amdhsa_fp16_overflow 0
		.amdhsa_tg_split 0
		.amdhsa_exception_fp_ieee_invalid_op 0
		.amdhsa_exception_fp_denorm_src 0
		.amdhsa_exception_fp_ieee_div_zero 0
		.amdhsa_exception_fp_ieee_overflow 0
		.amdhsa_exception_fp_ieee_underflow 0
		.amdhsa_exception_fp_ieee_inexact 0
		.amdhsa_exception_int_div_zero 0
	.end_amdhsa_kernel
	.section	.text._ZN5aiter35fused_qk_rmsnorm_group_quant_kernelItN4opus5fp4_tELi128ELi8ELi8ELb0ELb1ELb0ELb1ELb0ELb0EEEvPT0_PvPT_S7_S7_PKS6_S9_S9_S9_S9_ffiiiiiiiiiiiii,"axG",@progbits,_ZN5aiter35fused_qk_rmsnorm_group_quant_kernelItN4opus5fp4_tELi128ELi8ELi8ELb0ELb1ELb0ELb1ELb0ELb0EEEvPT0_PvPT_S7_S7_PKS6_S9_S9_S9_S9_ffiiiiiiiiiiiii,comdat
.Lfunc_end376:
	.size	_ZN5aiter35fused_qk_rmsnorm_group_quant_kernelItN4opus5fp4_tELi128ELi8ELi8ELb0ELb1ELb0ELb1ELb0ELb0EEEvPT0_PvPT_S7_S7_PKS6_S9_S9_S9_S9_ffiiiiiiiiiiiii, .Lfunc_end376-_ZN5aiter35fused_qk_rmsnorm_group_quant_kernelItN4opus5fp4_tELi128ELi8ELi8ELb0ELb1ELb0ELb1ELb0ELb0EEEvPT0_PvPT_S7_S7_PKS6_S9_S9_S9_S9_ffiiiiiiiiiiiii
                                        ; -- End function
	.section	.AMDGPU.csdata,"",@progbits
; Kernel info:
; codeLenInByte = 1996
; NumSgprs: 36
; NumVgprs: 23
; NumAgprs: 0
; TotalNumVgprs: 23
; ScratchSize: 0
; MemoryBound: 0
; FloatMode: 240
; IeeeMode: 1
; LDSByteSize: 16 bytes/workgroup (compile time only)
; SGPRBlocks: 4
; VGPRBlocks: 2
; NumSGPRsForWavesPerEU: 36
; NumVGPRsForWavesPerEU: 23
; AccumOffset: 24
; Occupancy: 8
; WaveLimiterHint : 0
; COMPUTE_PGM_RSRC2:SCRATCH_EN: 0
; COMPUTE_PGM_RSRC2:USER_SGPR: 6
; COMPUTE_PGM_RSRC2:TRAP_HANDLER: 0
; COMPUTE_PGM_RSRC2:TGID_X_EN: 1
; COMPUTE_PGM_RSRC2:TGID_Y_EN: 1
; COMPUTE_PGM_RSRC2:TGID_Z_EN: 0
; COMPUTE_PGM_RSRC2:TIDIG_COMP_CNT: 0
; COMPUTE_PGM_RSRC3_GFX90A:ACCUM_OFFSET: 5
; COMPUTE_PGM_RSRC3_GFX90A:TG_SPLIT: 0
	.section	.text._ZN5aiter35fused_qk_rmsnorm_group_quant_kernelIDF16_DB8_Li128ELi8ELi8ELb1ELb1ELb1ELb0ELb0ELb0EEEvPT0_PvPT_S6_S6_PKS5_S8_S8_S8_S8_ffiiiiiiiiiiiii,"axG",@progbits,_ZN5aiter35fused_qk_rmsnorm_group_quant_kernelIDF16_DB8_Li128ELi8ELi8ELb1ELb1ELb1ELb0ELb0ELb0EEEvPT0_PvPT_S6_S6_PKS5_S8_S8_S8_S8_ffiiiiiiiiiiiii,comdat
	.protected	_ZN5aiter35fused_qk_rmsnorm_group_quant_kernelIDF16_DB8_Li128ELi8ELi8ELb1ELb1ELb1ELb0ELb0ELb0EEEvPT0_PvPT_S6_S6_PKS5_S8_S8_S8_S8_ffiiiiiiiiiiiii ; -- Begin function _ZN5aiter35fused_qk_rmsnorm_group_quant_kernelIDF16_DB8_Li128ELi8ELi8ELb1ELb1ELb1ELb0ELb0ELb0EEEvPT0_PvPT_S6_S6_PKS5_S8_S8_S8_S8_ffiiiiiiiiiiiii
	.globl	_ZN5aiter35fused_qk_rmsnorm_group_quant_kernelIDF16_DB8_Li128ELi8ELi8ELb1ELb1ELb1ELb0ELb0ELb0EEEvPT0_PvPT_S6_S6_PKS5_S8_S8_S8_S8_ffiiiiiiiiiiiii
	.p2align	8
	.type	_ZN5aiter35fused_qk_rmsnorm_group_quant_kernelIDF16_DB8_Li128ELi8ELi8ELb1ELb1ELb1ELb0ELb0ELb0EEEvPT0_PvPT_S6_S6_PKS5_S8_S8_S8_S8_ffiiiiiiiiiiiii,@function
_ZN5aiter35fused_qk_rmsnorm_group_quant_kernelIDF16_DB8_Li128ELi8ELi8ELb1ELb1ELb1ELb0ELb0ELb0EEEvPT0_PvPT_S6_S6_PKS5_S8_S8_S8_S8_ffiiiiiiiiiiiii: ; @_ZN5aiter35fused_qk_rmsnorm_group_quant_kernelIDF16_DB8_Li128ELi8ELi8ELb1ELb1ELb1ELb0ELb0ELb0EEEvPT0_PvPT_S6_S6_PKS5_S8_S8_S8_S8_ffiiiiiiiiiiiii
; %bb.0:
	s_load_dwordx8 s[20:27], s[4:5], 0x50
	s_waitcnt lgkmcnt(0)
	s_cmp_ge_i32 s6, s22
	s_cbranch_scc1 .LBB377_17
; %bb.1:
	s_cmp_lg_u32 s7, 0
	s_cselect_b64 s[10:11], -1, 0
	s_cmp_eq_u32 s7, 0
	s_cselect_b64 s[8:9], -1, 0
	s_and_b64 s[0:1], s[8:9], exec
	s_load_dwordx2 s[28:29], s[4:5], 0x48
	s_load_dwordx2 s[34:35], s[4:5], 0x30
	s_load_dwordx8 s[12:19], s[4:5], 0x70
	s_cselect_b32 s7, s23, s24
	s_add_i32 s0, s7, 1
	s_lshr_b32 s1, s0, 31
	s_add_i32 s0, s0, s1
	s_lshl_b32 s0, s0, 1
	v_lshlrev_b32_e32 v1, 3, v0
	s_and_b32 s38, s0, -4
	v_cmp_gt_i32_e64 s[0:1], s7, v1
	v_mov_b32_e32 v20, 0
	v_mov_b32_e32 v21, 0
	;; [unrolled: 1-line block ×8, first 2 shown]
	s_and_saveexec_b64 s[2:3], s[0:1]
	s_cbranch_execz .LBB377_3
; %bb.2:
	s_waitcnt lgkmcnt(0)
	s_load_dwordx2 s[18:19], s[4:5], 0x28
	s_load_dwordx2 s[30:31], s[4:5], 0x40
	s_and_b64 s[36:37], s[8:9], exec
	s_cselect_b32 s22, s25, s26
	s_mov_b32 s39, 0x20000
	s_waitcnt lgkmcnt(0)
	s_cselect_b32 s25, s19, s35
	s_cselect_b32 s33, s18, s34
	s_mul_hi_i32 s19, s22, s6
	s_mul_i32 s18, s22, s6
	s_lshl_b64 s[18:19], s[18:19], 1
	s_add_u32 s40, s33, s18
	s_addc_u32 s22, s25, s19
	s_and_b64 s[18:19], s[8:9], exec
	s_cselect_b32 s36, s30, s28
	s_cselect_b32 s18, s31, s29
	v_lshlrev_b32_e32 v2, 4, v0
	s_and_b32 s41, s22, 0xffff
	s_mov_b32 s42, s38
	s_mov_b32 s43, s39
	s_and_b32 s37, s18, 0xffff
	buffer_load_dwordx4 v[24:27], v2, s[40:43], 0 offen glc slc
	buffer_load_dwordx4 v[20:23], v2, s[36:39], 0 offen
.LBB377_3:
	s_or_b64 exec, exec, s[2:3]
	s_and_b64 vcc, exec, s[10:11]
	s_cbranch_vccz .LBB377_7
; %bb.4:
	v_mov_b32_e32 v29, 0
	v_mov_b32_e32 v28, 0
	;; [unrolled: 1-line block ×8, first 2 shown]
	s_and_saveexec_b64 s[2:3], s[0:1]
	s_cbranch_execz .LBB377_6
; %bb.5:
	s_waitcnt vmcnt(1)
	v_cvt_f32_f16_sdwa v11, v24 dst_sel:DWORD dst_unused:UNUSED_PAD src0_sel:WORD_1
	v_cvt_f32_f16_e32 v10, v24
	v_cvt_f32_f16_sdwa v15, v25 dst_sel:DWORD dst_unused:UNUSED_PAD src0_sel:WORD_1
	v_cvt_f32_f16_e32 v14, v25
	;; [unrolled: 2-line block ×4, first 2 shown]
.LBB377_6:
	s_or_b64 exec, exec, s[2:3]
	s_cbranch_execz .LBB377_8
	s_branch .LBB377_11
.LBB377_7:
                                        ; implicit-def: $vgpr10_vgpr11_vgpr12_vgpr13_vgpr14_vgpr15_vgpr16_vgpr17
                                        ; implicit-def: $vgpr29
                                        ; implicit-def: $vgpr12_vgpr13_vgpr14_vgpr15_vgpr16_vgpr17_vgpr18_vgpr19
                                        ; implicit-def: $vgpr2_vgpr3_vgpr4_vgpr5_vgpr6_vgpr7_vgpr8_vgpr9
.LBB377_8:
	v_mov_b32_e32 v29, 0
	v_mov_b32_e32 v28, 0
	;; [unrolled: 1-line block ×8, first 2 shown]
	s_and_saveexec_b64 s[2:3], s[0:1]
	s_cbranch_execz .LBB377_10
; %bb.9:
	s_waitcnt lgkmcnt(0)
	s_load_dwordx2 s[18:19], s[4:5], 0x38
	s_mul_hi_i32 s31, s27, s6
	s_mul_i32 s30, s27, s6
	s_lshl_b64 s[30:31], s[30:31], 1
	s_mov_b32 s39, 0x20000
	s_waitcnt lgkmcnt(0)
	s_add_u32 s36, s18, s30
	s_addc_u32 s18, s19, s31
	s_and_b32 s37, s18, 0xffff
	v_lshlrev_b32_e32 v30, 4, v0
	buffer_load_dwordx4 v[2:5], v30, s[36:39], 0 offen glc slc
	s_waitcnt vmcnt(2)
	v_cvt_f32_f16_sdwa v7, v24 dst_sel:DWORD dst_unused:UNUSED_PAD src0_sel:WORD_1
	v_cvt_f32_f16_e32 v6, v24
	v_cvt_f32_f16_sdwa v9, v25 dst_sel:DWORD dst_unused:UNUSED_PAD src0_sel:WORD_1
	v_cvt_f32_f16_e32 v8, v25
	;; [unrolled: 2-line block ×4, first 2 shown]
	s_load_dwordx2 s[18:19], s[4:5], 0x20
	s_mul_hi_i32 s31, s17, s6
	s_mul_i32 s30, s17, s6
	s_lshl_b64 s[30:31], s[30:31], 1
	s_waitcnt lgkmcnt(0)
	s_add_u32 s36, s18, s30
	s_addc_u32 s17, s19, s31
	s_and_b32 s37, s17, 0xffff
	s_waitcnt vmcnt(0)
	v_cvt_f32_f16_e32 v10, v2
	v_cvt_f32_f16_sdwa v11, v2 dst_sel:DWORD dst_unused:UNUSED_PAD src0_sel:WORD_1
	v_cvt_f32_f16_e32 v2, v3
	v_cvt_f32_f16_sdwa v3, v3 dst_sel:DWORD dst_unused:UNUSED_PAD src0_sel:WORD_1
	;; [unrolled: 2-line block ×4, first 2 shown]
	v_pk_add_f32 v[10:11], v[6:7], v[10:11]
	v_pk_add_f32 v[14:15], v[8:9], v[2:3]
	;; [unrolled: 1-line block ×4, first 2 shown]
	v_cvt_f16_f32_e32 v2, v11
	v_cvt_f16_f32_e32 v3, v15
	;; [unrolled: 1-line block ×8, first 2 shown]
	v_pack_b32_f16 v5, v8, v5
	v_pack_b32_f16 v4, v9, v4
	;; [unrolled: 1-line block ×4, first 2 shown]
	buffer_store_dwordx4 v[2:5], v30, s[36:39], 0 offen glc slc
	;;#ASMSTART
	s_nop 0
	;;#ASMEND
.LBB377_10:
	s_or_b64 exec, exec, s[2:3]
.LBB377_11:
	v_mul_f32_e32 v2, v11, v11
	v_fmac_f32_e32 v2, v10, v10
	v_fmac_f32_e32 v2, v14, v14
	;; [unrolled: 1-line block ×7, first 2 shown]
	v_and_b32_e32 v4, 63, v0
	v_cmp_eq_u32_e64 s[2:3], 63, v4
	v_mov_b32_dpp v3, v2 quad_perm:[1,0,3,2] row_mask:0xf bank_mask:0xf
	v_add_f32_e32 v2, v2, v3
	s_nop 1
	v_mov_b32_dpp v3, v2 quad_perm:[2,3,0,1] row_mask:0xf bank_mask:0xf
	v_add_f32_e32 v2, v2, v3
	s_nop 1
	v_mov_b32_dpp v3, v2 row_half_mirror row_mask:0xf bank_mask:0xf
	v_add_f32_e32 v2, v2, v3
	s_nop 1
	v_mov_b32_dpp v3, v2 row_mirror row_mask:0xf bank_mask:0xf
	v_add_f32_e32 v2, v2, v3
	s_nop 1
	v_mov_b32_dpp v3, v2 row_bcast:15 row_mask:0xf bank_mask:0xf
	v_add_f32_e32 v2, v2, v3
	s_nop 1
	v_mov_b32_dpp v3, v2 row_bcast:31 row_mask:0xf bank_mask:0xf
	s_waitcnt lgkmcnt(0)
	s_and_saveexec_b64 s[18:19], s[2:3]
	s_cbranch_execz .LBB377_13
; %bb.12:
	v_add_f32_e32 v2, v2, v3
	v_lshrrev_b32_e32 v3, 4, v0
	v_and_b32_e32 v3, 60, v3
	ds_write_b32 v3, v2 offset:8
.LBB377_13:
	s_or_b64 exec, exec, s[18:19]
	v_and_b32_e32 v2, 1, v0
	v_lshlrev_b32_e32 v18, 2, v2
	s_waitcnt lgkmcnt(0)
	s_barrier
	ds_read_b32 v2, v18 offset:8
	s_load_dwordx2 s[18:19], s[4:5], 0x18
	s_waitcnt lgkmcnt(0)
	v_mov_b32_dpp v3, v2 quad_perm:[1,0,3,2] row_mask:0xf bank_mask:0xf
	s_and_saveexec_b64 s[30:31], s[0:1]
	s_cbranch_execnz .LBB377_18
; %bb.14:
	s_or_b64 exec, exec, s[30:31]
	s_mov_b64 s[8:9], -1
	s_and_b64 vcc, exec, s[10:11]
	s_cbranch_vccnz .LBB377_19
.LBB377_15:
	s_andn2_b64 vcc, exec, s[8:9]
	s_cbranch_vccz .LBB377_22
.LBB377_16:
	s_cmp_lt_i32 s24, 1
	s_cbranch_scc0 .LBB377_31
.LBB377_17:
	s_endpgm
.LBB377_18:
	v_cvt_f32_u32_e32 v4, s7
	v_add_f32_e32 v2, v2, v3
	v_mov_b32_e32 v8, s21
	v_mov_b32_e32 v9, s20
	v_div_scale_f32 v3, s[36:37], v4, v4, v2
	v_rcp_f32_e32 v5, v3
	v_cndmask_b32_e64 v8, v8, v9, s[8:9]
	s_mov_b32 s7, 0x800000
	s_waitcnt vmcnt(0)
	v_cvt_f32_f16_sdwa v17, v23 dst_sel:DWORD dst_unused:UNUSED_PAD src0_sel:WORD_1
	v_fma_f32 v9, -v3, v5, 1.0
	v_fmac_f32_e32 v5, v9, v5
	v_div_scale_f32 v9, vcc, v2, v4, v2
	v_mul_f32_e32 v12, v9, v5
	v_fma_f32 v13, -v3, v12, v9
	v_fmac_f32_e32 v12, v13, v5
	v_fma_f32 v3, -v3, v12, v9
	v_div_fmas_f32 v3, v3, v5, v12
	v_div_fixup_f32 v2, v3, v4, v2
	v_add_f32_e32 v2, v8, v2
	v_mul_f32_e32 v3, 0x4b800000, v2
	v_cmp_gt_f32_e32 vcc, s7, v2
	v_cndmask_b32_e32 v2, v2, v3, vcc
	v_rsq_f32_e32 v2, v2
	v_cvt_f32_f16_sdwa v13, v21 dst_sel:DWORD dst_unused:UNUSED_PAD src0_sel:WORD_1
	v_cvt_f32_f16_e32 v12, v21
	v_cvt_f32_f16_e32 v16, v23
	v_mul_f32_e32 v3, 0x45800000, v2
	v_cndmask_b32_e32 v2, v2, v3, vcc
	v_mov_b32_e32 v3, v2
	;;#ASMSTART
	v_pk_mul_f32 v[4:5], v[10:11], v[2:3]
	;;#ASMEND
	v_cvt_f32_f16_sdwa v11, v20 dst_sel:DWORD dst_unused:UNUSED_PAD src0_sel:WORD_1
	v_cvt_f32_f16_e32 v10, v20
	;;#ASMSTART
	v_pk_mul_f32 v[8:9], v[14:15], v[2:3]
	;;#ASMEND
	;;#ASMSTART
	v_pk_mul_f32 v[6:7], v[6:7], v[2:3]
	;;#ASMEND
	;; [unrolled: 3-line block ×3, first 2 shown]
	v_pk_add_f32 v[10:11], v[10:11], 1.0 op_sel_hi:[1,0]
	;;#ASMSTART
	v_pk_mul_f32 v[10:11], v[4:5], v[10:11]
	;;#ASMEND
	v_pk_add_f32 v[4:5], v[12:13], 1.0 op_sel_hi:[1,0]
	v_cvt_f32_f16_sdwa v13, v22 dst_sel:DWORD dst_unused:UNUSED_PAD src0_sel:WORD_1
	v_cvt_f32_f16_e32 v12, v22
	;;#ASMSTART
	v_pk_mul_f32 v[14:15], v[8:9], v[4:5]
	;;#ASMEND
	v_pk_add_f32 v[4:5], v[12:13], 1.0 op_sel_hi:[1,0]
	;;#ASMSTART
	v_pk_mul_f32 v[6:7], v[6:7], v[4:5]
	;;#ASMEND
	v_pk_add_f32 v[4:5], v[16:17], 1.0 op_sel_hi:[1,0]
	;;#ASMSTART
	v_pk_mul_f32 v[28:29], v[2:3], v[4:5]
	;;#ASMEND
	s_or_b64 exec, exec, s[30:31]
	s_mov_b64 s[8:9], -1
	s_and_b64 vcc, exec, s[10:11]
	s_cbranch_vccz .LBB377_15
.LBB377_19:
	s_and_saveexec_b64 s[8:9], s[0:1]
	s_cbranch_execz .LBB377_21
; %bb.20:
	s_mul_hi_i32 s11, s16, s6
	s_mul_i32 s10, s16, s6
	v_cvt_f16_f32_e32 v2, v10
	v_cvt_f16_f32_e32 v3, v14
	;; [unrolled: 1-line block ×8, first 2 shown]
	s_lshl_b64 s[10:11], s[10:11], 1
	s_add_u32 s36, s18, s10
	s_addc_u32 s7, s19, s11
	s_and_b32 s37, s7, 0xffff
	s_mov_b32 s39, 0x20000
	v_pack_b32_f16 v5, v5, v8
	v_pack_b32_f16 v4, v4, v9
	v_pack_b32_f16 v3, v3, v12
	v_pack_b32_f16 v2, v2, v13
	v_lshlrev_b32_e32 v8, 4, v0
	buffer_store_dwordx4 v[2:5], v8, s[36:39], 0 offen
	;;#ASMSTART
	s_nop 0
	;;#ASMEND
.LBB377_21:
	s_or_b64 exec, exec, s[8:9]
	s_cbranch_execnz .LBB377_16
.LBB377_22:
	v_mov_b32_e32 v2, 0
	s_and_saveexec_b64 s[8:9], s[0:1]
	s_cbranch_execz .LBB377_24
; %bb.23:
	s_load_dwordx2 s[10:11], s[4:5], 0x10
	s_mul_hi_i32 s31, s15, s6
	s_mul_i32 s30, s15, s6
	v_cvt_f16_f32_e32 v2, v10
	v_cvt_f16_f32_e32 v3, v14
	;; [unrolled: 1-line block ×8, first 2 shown]
	s_lshl_b64 s[30:31], s[30:31], 1
	s_waitcnt lgkmcnt(0)
	s_add_u32 s36, s10, s30
	s_addc_u32 s7, s11, s31
	s_mov_b32 s39, 0x20000
	s_and_b32 s37, s7, 0xffff
	v_pack_b32_f16 v5, v5, v8
	v_pack_b32_f16 v4, v4, v9
	;; [unrolled: 1-line block ×4, first 2 shown]
	v_lshlrev_b32_e32 v8, 4, v0
	buffer_store_dwordx4 v[2:5], v8, s[36:39], 0 offen
	;;#ASMSTART
	s_nop 0
	;;#ASMEND
	s_nop 0
	v_mov_b32_e32 v2, 0x2edbe6ff
.LBB377_24:
	s_or_b64 exec, exec, s[8:9]
	s_and_saveexec_b64 s[8:9], s[0:1]
	s_cbranch_execz .LBB377_26
; %bb.25:
	v_and_b32_e32 v3, 0x7fffffff, v10
	v_and_b32_e32 v4, 0x7fffffff, v11
	;;#ASMSTART
	v_max3_f32 v2, v2, v3, v4

	;;#ASMEND
	v_and_b32_e32 v3, 0x7fffffff, v14
	v_and_b32_e32 v4, 0x7fffffff, v15
	;;#ASMSTART
	v_max3_f32 v2, v2, v3, v4

	;;#ASMEND
	;; [unrolled: 6-line block ×4, first 2 shown]
.LBB377_26:
	s_or_b64 exec, exec, s[8:9]
	;;#ASMSTART
	v_max_f32 v3, v2, v2 quad_perm:[1,0,3,2] row_mask:0xf bank_mask:0xf bound_ctrl:1
	;;#ASMEND
	;;#ASMSTART
	v_max_f32 v2, v3, v3 quad_perm:[2,3,0,1] row_mask:0xf bank_mask:0xf bound_ctrl:1
	;;#ASMEND
	;;#ASMSTART
	v_max_f32 v3, v2, v2 row_half_mirror row_mask:0xf bank_mask:0xf bound_ctrl:1
	;;#ASMEND
	v_mul_f32_e32 v2, 0x3b124925, v3
	v_and_b32_e32 v3, 7, v0
	v_cmp_eq_u32_e32 vcc, 0, v3
	v_cmp_gt_i32_e64 s[8:9], s23, v1
	s_and_b64 s[10:11], vcc, s[8:9]
	s_and_saveexec_b64 s[8:9], s[10:11]
	s_cbranch_execz .LBB377_28
; %bb.27:
	s_load_dwordx2 s[10:11], s[4:5], 0x8
	v_lshrrev_b32_e32 v3, 3, v0
	s_mul_hi_i32 s31, s13, s6
	s_mul_i32 s30, s13, s6
	v_mad_i64_i32 v[4:5], s[14:15], s14, v3, 0
	s_lshl_b64 s[14:15], s[30:31], 2
	s_waitcnt lgkmcnt(0)
	s_add_u32 s7, s10, s14
	s_addc_u32 s10, s11, s15
	v_lshlrev_b64 v[4:5], 2, v[4:5]
	v_mov_b32_e32 v3, s10
	v_add_co_u32_e32 v4, vcc, s7, v4
	v_addc_co_u32_e32 v5, vcc, v3, v5, vcc
	global_store_dword v[4:5], v2, off
.LBB377_28:
	s_or_b64 exec, exec, s[8:9]
	;;#ASMSTART
	v_rcp_f32 v2, v2
	;;#ASMEND
	s_and_saveexec_b64 s[14:15], s[0:1]
	s_cbranch_execz .LBB377_30
; %bb.29:
	s_load_dwordx2 s[0:1], s[4:5], 0x0
	s_mul_i32 s8, s12, s6
	v_mov_b32_e32 v3, v2
	;;#ASMSTART
	v_pk_mul_f32 v[4:5], v[10:11], v[2:3]
	;;#ASMEND
	s_mul_hi_i32 s7, s12, s6
	s_waitcnt lgkmcnt(0)
	s_add_u32 s8, s0, s8
	v_mov_b32_e32 v8, 0xc3e00000
	v_mov_b32_e32 v9, 0x43e00000
	;;#ASMSTART
	v_med3_f32 v4, v4, v8, v9
v_med3_f32 v5, v5, v8, v9
v_cvt_pk_fp8_f32 v10, v4, v5
	;;#ASMEND
	s_addc_u32 s0, s1, s7
	;;#ASMSTART
	v_pk_mul_f32 v[4:5], v[14:15], v[2:3]
	;;#ASMEND
	s_and_b32 s9, s0, 0xffff
	;;#ASMSTART
	v_med3_f32 v4, v4, v8, v9
v_med3_f32 v5, v5, v8, v9
v_cvt_pk_fp8_f32 v11, v4, v5
	;;#ASMEND
	s_mov_b32 s0, 0x5040100
	v_perm_b32 v5, v11, v10, s0
	s_movk_i32 s0, 0xff
	v_and_b32_e32 v4, 0xffffff00, v11
	v_and_b32_sdwa v10, v5, s0 dst_sel:DWORD dst_unused:UNUSED_PAD src0_sel:WORD_1 src1_sel:DWORD
	s_mov_b32 s12, 0xffff
	v_or_b32_sdwa v4, v10, v4 dst_sel:WORD_1 dst_unused:UNUSED_PAD src0_sel:DWORD src1_sel:DWORD
	s_add_i32 s1, s23, 3
	v_and_or_b32 v4, v5, s12, v4
	;;#ASMSTART
	v_pk_mul_f32 v[6:7], v[6:7], v[2:3]
	;;#ASMEND
	v_mov_b32_e32 v5, v7
	s_ashr_i32 s7, s1, 31
	;;#ASMSTART
	v_med3_f32 v6, v6, v8, v9
v_med3_f32 v5, v5, v8, v9
v_cvt_pk_fp8_f32 v7, v6, v5
	;;#ASMEND
	;;#ASMSTART
	v_pk_mul_f32 v[2:3], v[28:29], v[2:3]
	;;#ASMEND
	s_lshr_b32 s7, s7, 30
	;;#ASMSTART
	v_med3_f32 v2, v2, v8, v9
v_med3_f32 v3, v3, v8, v9
v_cvt_pk_fp8_f32 v5, v2, v3
	;;#ASMEND
	s_add_i32 s1, s1, s7
	v_lshlrev_b32_e32 v2, 16, v5
	s_and_b32 s10, s1, -4
	s_mov_b32 s11, 0x20000
	v_and_or_b32 v5, v7, s12, v2
	buffer_store_dwordx2 v[4:5], v1, s[8:11], 0 offen
	;;#ASMSTART
	s_nop 0
	;;#ASMEND
.LBB377_30:
	s_or_b64 exec, exec, s[14:15]
	s_cmp_lt_i32 s24, 1
	s_cbranch_scc1 .LBB377_17
.LBB377_31:
	s_load_dword s0, s[4:5], 0x94
	s_waitcnt lgkmcnt(0)
	s_cmp_lg_u32 s0, 1
	s_cbranch_scc1 .LBB377_17
; %bb.32:
	s_lshl_b32 s0, s24, 1
	s_add_i32 s0, s0, 2
	v_cmp_gt_u32_e32 vcc, s24, v1
	s_and_b32 s30, s0, -4
	v_mov_b32_e32 v10, 0
	v_lshlrev_b32_e32 v1, 4, v0
	v_mov_b32_e32 v6, 0
	v_mov_b32_e32 v7, 0
	;; [unrolled: 1-line block ×8, first 2 shown]
	s_barrier
	s_and_saveexec_b64 s[0:1], vcc
	s_cbranch_execz .LBB377_34
; %bb.33:
	s_mul_hi_i32 s5, s26, s6
	s_mul_i32 s4, s26, s6
	s_and_b32 s29, s29, 0xffff
	s_lshl_b64 s[4:5], s[4:5], 1
	s_add_u32 s8, s34, s4
	s_mov_b32 s31, 0x20000
	s_addc_u32 s4, s35, s5
	s_and_b32 s9, s4, 0xffff
	s_mov_b32 s10, s30
	s_mov_b32 s11, s31
	buffer_load_dwordx4 v[6:9], v1, s[8:11], 0 offen glc slc
	buffer_load_dwordx4 v[2:5], v1, s[28:31], 0 offen
.LBB377_34:
	s_or_b64 exec, exec, s[0:1]
	v_mov_b32_e32 v11, 0
	v_mov_b32_e32 v16, 0
	;; [unrolled: 1-line block ×7, first 2 shown]
	s_and_saveexec_b64 s[0:1], vcc
	s_cbranch_execz .LBB377_36
; %bb.35:
	s_waitcnt vmcnt(1)
	v_cvt_f32_f16_sdwa v11, v6 dst_sel:DWORD dst_unused:UNUSED_PAD src0_sel:WORD_1
	v_cvt_f32_f16_e32 v10, v6
	v_cvt_f32_f16_sdwa v17, v7 dst_sel:DWORD dst_unused:UNUSED_PAD src0_sel:WORD_1
	v_cvt_f32_f16_e32 v16, v7
	;; [unrolled: 2-line block ×4, first 2 shown]
.LBB377_36:
	s_or_b64 exec, exec, s[0:1]
	s_waitcnt vmcnt(1)
	v_mul_f32_e32 v6, v11, v11
	v_fmac_f32_e32 v6, v10, v10
	v_fmac_f32_e32 v6, v16, v16
	;; [unrolled: 1-line block ×7, first 2 shown]
	s_nop 1
	v_mov_b32_dpp v7, v6 quad_perm:[1,0,3,2] row_mask:0xf bank_mask:0xf
	v_add_f32_e32 v6, v6, v7
	s_nop 1
	v_mov_b32_dpp v7, v6 quad_perm:[2,3,0,1] row_mask:0xf bank_mask:0xf
	v_add_f32_e32 v6, v6, v7
	s_nop 1
	v_mov_b32_dpp v7, v6 row_half_mirror row_mask:0xf bank_mask:0xf
	v_add_f32_e32 v6, v6, v7
	s_nop 1
	v_mov_b32_dpp v7, v6 row_mirror row_mask:0xf bank_mask:0xf
	v_add_f32_e32 v6, v6, v7
	s_nop 1
	v_mov_b32_dpp v7, v6 row_bcast:15 row_mask:0xf bank_mask:0xf
	v_add_f32_e32 v6, v6, v7
	s_nop 1
	v_mov_b32_dpp v7, v6 row_bcast:31 row_mask:0xf bank_mask:0xf
	s_and_saveexec_b64 s[0:1], s[2:3]
	s_cbranch_execz .LBB377_38
; %bb.37:
	v_lshrrev_b32_e32 v0, 4, v0
	v_add_f32_e32 v6, v6, v7
	v_and_b32_e32 v0, 60, v0
	ds_write_b32 v0, v6
.LBB377_38:
	s_or_b64 exec, exec, s[0:1]
	s_waitcnt lgkmcnt(0)
	s_barrier
	ds_read_b32 v0, v18
	s_waitcnt lgkmcnt(0)
	s_nop 0
	v_mov_b32_dpp v6, v0 quad_perm:[1,0,3,2] row_mask:0xf bank_mask:0xf
	s_and_saveexec_b64 s[0:1], vcc
	s_cbranch_execz .LBB377_17
; %bb.39:
	v_cvt_f32_u32_e32 v7, s24
	v_add_f32_e32 v0, v0, v6
	s_mov_b32 s31, 0x20000
	v_div_scale_f32 v6, s[0:1], v7, v7, v0
	v_rcp_f32_e32 v8, v6
	v_div_scale_f32 v9, vcc, v0, v7, v0
	s_mov_b32 s0, 0x800000
	v_fma_f32 v18, -v6, v8, 1.0
	v_fmac_f32_e32 v8, v18, v8
	v_mul_f32_e32 v18, v9, v8
	v_fma_f32 v19, -v6, v18, v9
	v_fmac_f32_e32 v18, v19, v8
	v_fma_f32 v6, -v6, v18, v9
	v_div_fmas_f32 v6, v6, v8, v18
	v_div_fixup_f32 v0, v6, v7, v0
	v_add_f32_e32 v0, s21, v0
	v_mul_f32_e32 v6, 0x4b800000, v0
	v_cmp_gt_f32_e32 vcc, s0, v0
	v_cndmask_b32_e32 v0, v0, v6, vcc
	v_rsq_f32_e32 v0, v0
	s_waitcnt vmcnt(0)
	v_cvt_f32_f16_sdwa v19, v3 dst_sel:DWORD dst_unused:UNUSED_PAD src0_sel:WORD_1
	v_cvt_f32_f16_e32 v18, v3
	s_mul_hi_i32 s1, s16, s6
	v_mul_f32_e32 v6, 0x45800000, v0
	v_cndmask_b32_e32 v6, v0, v6, vcc
	v_mov_b32_e32 v7, v6
	;;#ASMSTART
	v_pk_mul_f32 v[8:9], v[10:11], v[6:7]
	;;#ASMEND
	;;#ASMSTART
	v_pk_mul_f32 v[10:11], v[16:17], v[6:7]
	;;#ASMEND
	v_cvt_f32_f16_sdwa v17, v2 dst_sel:DWORD dst_unused:UNUSED_PAD src0_sel:WORD_1
	v_cvt_f32_f16_e32 v16, v2
	;;#ASMSTART
	v_pk_mul_f32 v[14:15], v[14:15], v[6:7]
	;;#ASMEND
	;;#ASMSTART
	v_pk_mul_f32 v[2:3], v[12:13], v[6:7]
	;;#ASMEND
	v_cvt_f32_f16_sdwa v13, v4 dst_sel:DWORD dst_unused:UNUSED_PAD src0_sel:WORD_1
	v_cvt_f32_f16_e32 v12, v4
	v_pk_add_f32 v[6:7], v[16:17], 1.0 op_sel_hi:[1,0]
	v_cvt_f32_f16_sdwa v17, v5 dst_sel:DWORD dst_unused:UNUSED_PAD src0_sel:WORD_1
	v_cvt_f32_f16_e32 v16, v5
	;;#ASMSTART
	v_pk_mul_f32 v[6:7], v[8:9], v[6:7]
	;;#ASMEND
	v_pk_add_f32 v[8:9], v[18:19], 1.0 op_sel_hi:[1,0]
	;;#ASMSTART
	v_pk_mul_f32 v[4:5], v[10:11], v[8:9]
	;;#ASMEND
	v_pk_add_f32 v[8:9], v[12:13], 1.0 op_sel_hi:[1,0]
	;; [unrolled: 4-line block ×3, first 2 shown]
	;;#ASMSTART
	v_pk_mul_f32 v[2:3], v[2:3], v[10:11]
	;;#ASMEND
	s_mul_i32 s0, s16, s6
	v_cvt_f16_f32_e32 v0, v6
	v_cvt_f16_f32_e32 v6, v7
	;; [unrolled: 1-line block ×8, first 2 shown]
	s_lshl_b64 s[0:1], s[0:1], 1
	s_add_u32 s28, s18, s0
	s_addc_u32 s0, s19, s1
	s_and_b32 s29, s0, 0xffff
	v_pack_b32_f16 v2, v0, v6
	v_pack_b32_f16 v3, v4, v5
	;; [unrolled: 1-line block ×4, first 2 shown]
	buffer_store_dwordx4 v[2:5], v1, s[28:31], 0 offen
	;;#ASMSTART
	s_nop 0
	;;#ASMEND
	s_endpgm
	.section	.rodata,"a",@progbits
	.p2align	6, 0x0
	.amdhsa_kernel _ZN5aiter35fused_qk_rmsnorm_group_quant_kernelIDF16_DB8_Li128ELi8ELi8ELb1ELb1ELb1ELb0ELb0ELb0EEEvPT0_PvPT_S6_S6_PKS5_S8_S8_S8_S8_ffiiiiiiiiiiiii
		.amdhsa_group_segment_fixed_size 16
		.amdhsa_private_segment_fixed_size 0
		.amdhsa_kernarg_size 400
		.amdhsa_user_sgpr_count 6
		.amdhsa_user_sgpr_private_segment_buffer 1
		.amdhsa_user_sgpr_dispatch_ptr 0
		.amdhsa_user_sgpr_queue_ptr 0
		.amdhsa_user_sgpr_kernarg_segment_ptr 1
		.amdhsa_user_sgpr_dispatch_id 0
		.amdhsa_user_sgpr_flat_scratch_init 0
		.amdhsa_user_sgpr_kernarg_preload_length 0
		.amdhsa_user_sgpr_kernarg_preload_offset 0
		.amdhsa_user_sgpr_private_segment_size 0
		.amdhsa_uses_dynamic_stack 0
		.amdhsa_system_sgpr_private_segment_wavefront_offset 0
		.amdhsa_system_sgpr_workgroup_id_x 1
		.amdhsa_system_sgpr_workgroup_id_y 1
		.amdhsa_system_sgpr_workgroup_id_z 0
		.amdhsa_system_sgpr_workgroup_info 0
		.amdhsa_system_vgpr_workitem_id 0
		.amdhsa_next_free_vgpr 31
		.amdhsa_next_free_sgpr 44
		.amdhsa_accum_offset 32
		.amdhsa_reserve_vcc 1
		.amdhsa_reserve_flat_scratch 0
		.amdhsa_float_round_mode_32 0
		.amdhsa_float_round_mode_16_64 0
		.amdhsa_float_denorm_mode_32 3
		.amdhsa_float_denorm_mode_16_64 3
		.amdhsa_dx10_clamp 1
		.amdhsa_ieee_mode 1
		.amdhsa_fp16_overflow 0
		.amdhsa_tg_split 0
		.amdhsa_exception_fp_ieee_invalid_op 0
		.amdhsa_exception_fp_denorm_src 0
		.amdhsa_exception_fp_ieee_div_zero 0
		.amdhsa_exception_fp_ieee_overflow 0
		.amdhsa_exception_fp_ieee_underflow 0
		.amdhsa_exception_fp_ieee_inexact 0
		.amdhsa_exception_int_div_zero 0
	.end_amdhsa_kernel
	.section	.text._ZN5aiter35fused_qk_rmsnorm_group_quant_kernelIDF16_DB8_Li128ELi8ELi8ELb1ELb1ELb1ELb0ELb0ELb0EEEvPT0_PvPT_S6_S6_PKS5_S8_S8_S8_S8_ffiiiiiiiiiiiii,"axG",@progbits,_ZN5aiter35fused_qk_rmsnorm_group_quant_kernelIDF16_DB8_Li128ELi8ELi8ELb1ELb1ELb1ELb0ELb0ELb0EEEvPT0_PvPT_S6_S6_PKS5_S8_S8_S8_S8_ffiiiiiiiiiiiii,comdat
.Lfunc_end377:
	.size	_ZN5aiter35fused_qk_rmsnorm_group_quant_kernelIDF16_DB8_Li128ELi8ELi8ELb1ELb1ELb1ELb0ELb0ELb0EEEvPT0_PvPT_S6_S6_PKS5_S8_S8_S8_S8_ffiiiiiiiiiiiii, .Lfunc_end377-_ZN5aiter35fused_qk_rmsnorm_group_quant_kernelIDF16_DB8_Li128ELi8ELi8ELb1ELb1ELb1ELb0ELb0ELb0EEEvPT0_PvPT_S6_S6_PKS5_S8_S8_S8_S8_ffiiiiiiiiiiiii
                                        ; -- End function
	.section	.AMDGPU.csdata,"",@progbits
; Kernel info:
; codeLenInByte = 3028
; NumSgprs: 48
; NumVgprs: 31
; NumAgprs: 0
; TotalNumVgprs: 31
; ScratchSize: 0
; MemoryBound: 0
; FloatMode: 240
; IeeeMode: 1
; LDSByteSize: 16 bytes/workgroup (compile time only)
; SGPRBlocks: 5
; VGPRBlocks: 3
; NumSGPRsForWavesPerEU: 48
; NumVGPRsForWavesPerEU: 31
; AccumOffset: 32
; Occupancy: 8
; WaveLimiterHint : 0
; COMPUTE_PGM_RSRC2:SCRATCH_EN: 0
; COMPUTE_PGM_RSRC2:USER_SGPR: 6
; COMPUTE_PGM_RSRC2:TRAP_HANDLER: 0
; COMPUTE_PGM_RSRC2:TGID_X_EN: 1
; COMPUTE_PGM_RSRC2:TGID_Y_EN: 1
; COMPUTE_PGM_RSRC2:TGID_Z_EN: 0
; COMPUTE_PGM_RSRC2:TIDIG_COMP_CNT: 0
; COMPUTE_PGM_RSRC3_GFX90A:ACCUM_OFFSET: 7
; COMPUTE_PGM_RSRC3_GFX90A:TG_SPLIT: 0
	.section	.text._ZN5aiter35fused_qk_rmsnorm_group_quant_kernelItDB8_Li128ELi8ELi8ELb1ELb1ELb1ELb0ELb0ELb0EEEvPT0_PvPT_S6_S6_PKS5_S8_S8_S8_S8_ffiiiiiiiiiiiii,"axG",@progbits,_ZN5aiter35fused_qk_rmsnorm_group_quant_kernelItDB8_Li128ELi8ELi8ELb1ELb1ELb1ELb0ELb0ELb0EEEvPT0_PvPT_S6_S6_PKS5_S8_S8_S8_S8_ffiiiiiiiiiiiii,comdat
	.protected	_ZN5aiter35fused_qk_rmsnorm_group_quant_kernelItDB8_Li128ELi8ELi8ELb1ELb1ELb1ELb0ELb0ELb0EEEvPT0_PvPT_S6_S6_PKS5_S8_S8_S8_S8_ffiiiiiiiiiiiii ; -- Begin function _ZN5aiter35fused_qk_rmsnorm_group_quant_kernelItDB8_Li128ELi8ELi8ELb1ELb1ELb1ELb0ELb0ELb0EEEvPT0_PvPT_S6_S6_PKS5_S8_S8_S8_S8_ffiiiiiiiiiiiii
	.globl	_ZN5aiter35fused_qk_rmsnorm_group_quant_kernelItDB8_Li128ELi8ELi8ELb1ELb1ELb1ELb0ELb0ELb0EEEvPT0_PvPT_S6_S6_PKS5_S8_S8_S8_S8_ffiiiiiiiiiiiii
	.p2align	8
	.type	_ZN5aiter35fused_qk_rmsnorm_group_quant_kernelItDB8_Li128ELi8ELi8ELb1ELb1ELb1ELb0ELb0ELb0EEEvPT0_PvPT_S6_S6_PKS5_S8_S8_S8_S8_ffiiiiiiiiiiiii,@function
_ZN5aiter35fused_qk_rmsnorm_group_quant_kernelItDB8_Li128ELi8ELi8ELb1ELb1ELb1ELb0ELb0ELb0EEEvPT0_PvPT_S6_S6_PKS5_S8_S8_S8_S8_ffiiiiiiiiiiiii: ; @_ZN5aiter35fused_qk_rmsnorm_group_quant_kernelItDB8_Li128ELi8ELi8ELb1ELb1ELb1ELb0ELb0ELb0EEEvPT0_PvPT_S6_S6_PKS5_S8_S8_S8_S8_ffiiiiiiiiiiiii
; %bb.0:
	s_load_dwordx8 s[20:27], s[4:5], 0x50
	s_waitcnt lgkmcnt(0)
	s_cmp_ge_i32 s6, s22
	s_cbranch_scc1 .LBB378_17
; %bb.1:
	s_cmp_lg_u32 s7, 0
	s_cselect_b64 s[10:11], -1, 0
	s_cmp_eq_u32 s7, 0
	s_cselect_b64 s[8:9], -1, 0
	s_and_b64 s[0:1], s[8:9], exec
	s_load_dwordx2 s[28:29], s[4:5], 0x48
	s_load_dwordx2 s[34:35], s[4:5], 0x30
	s_load_dwordx8 s[12:19], s[4:5], 0x70
	s_cselect_b32 s7, s23, s24
	s_add_i32 s0, s7, 1
	s_lshr_b32 s1, s0, 31
	s_add_i32 s0, s0, s1
	s_lshl_b32 s0, s0, 1
	v_lshlrev_b32_e32 v1, 3, v0
	s_and_b32 s38, s0, -4
	v_cmp_gt_i32_e64 s[0:1], s7, v1
	v_mov_b32_e32 v10, 0
	v_mov_b32_e32 v11, 0
	;; [unrolled: 1-line block ×8, first 2 shown]
	s_and_saveexec_b64 s[2:3], s[0:1]
	s_cbranch_execz .LBB378_3
; %bb.2:
	s_waitcnt lgkmcnt(0)
	s_load_dwordx2 s[18:19], s[4:5], 0x28
	s_load_dwordx2 s[30:31], s[4:5], 0x40
	s_and_b64 s[36:37], s[8:9], exec
	s_cselect_b32 s22, s25, s26
	s_mov_b32 s39, 0x20000
	s_waitcnt lgkmcnt(0)
	s_cselect_b32 s25, s19, s35
	s_cselect_b32 s33, s18, s34
	s_mul_hi_i32 s19, s22, s6
	s_mul_i32 s18, s22, s6
	s_lshl_b64 s[18:19], s[18:19], 1
	s_add_u32 s40, s33, s18
	s_addc_u32 s22, s25, s19
	s_and_b64 s[18:19], s[8:9], exec
	s_cselect_b32 s36, s30, s28
	s_cselect_b32 s18, s31, s29
	v_lshlrev_b32_e32 v2, 4, v0
	s_and_b32 s41, s22, 0xffff
	s_mov_b32 s42, s38
	s_mov_b32 s43, s39
	s_and_b32 s37, s18, 0xffff
	buffer_load_dwordx4 v[14:17], v2, s[40:43], 0 offen glc slc
	buffer_load_dwordx4 v[10:13], v2, s[36:39], 0 offen
.LBB378_3:
	s_or_b64 exec, exec, s[2:3]
	s_and_b64 vcc, exec, s[10:11]
	s_cbranch_vccz .LBB378_7
; %bb.4:
	s_mov_b32 s40, 0
	s_mov_b32 s41, s40
	;; [unrolled: 1-line block ×8, first 2 shown]
	v_pk_mov_b32 v[2:3], s[40:41], s[40:41] op_sel:[0,1]
	v_pk_mov_b32 v[4:5], s[42:43], s[42:43] op_sel:[0,1]
	;; [unrolled: 1-line block ×4, first 2 shown]
	s_and_saveexec_b64 s[2:3], s[0:1]
	s_cbranch_execz .LBB378_6
; %bb.5:
	s_waitcnt vmcnt(1)
	v_cvt_f32_u32_sdwa v3, v14 dst_sel:DWORD dst_unused:UNUSED_PAD src0_sel:WORD_1
	v_cvt_f32_u32_sdwa v2, v14 dst_sel:DWORD dst_unused:UNUSED_PAD src0_sel:WORD_0
	v_cvt_f32_u32_sdwa v5, v15 dst_sel:DWORD dst_unused:UNUSED_PAD src0_sel:WORD_1
	v_cvt_f32_u32_sdwa v4, v15 dst_sel:DWORD dst_unused:UNUSED_PAD src0_sel:WORD_0
	;; [unrolled: 2-line block ×4, first 2 shown]
.LBB378_6:
	s_or_b64 exec, exec, s[2:3]
	s_cbranch_execz .LBB378_8
	s_branch .LBB378_11
.LBB378_7:
                                        ; implicit-def: $vgpr2_vgpr3_vgpr4_vgpr5_vgpr6_vgpr7_vgpr8_vgpr9
.LBB378_8:
	s_mov_b32 s40, 0
	s_mov_b32 s41, s40
	;; [unrolled: 1-line block ×8, first 2 shown]
	v_pk_mov_b32 v[2:3], s[40:41], s[40:41] op_sel:[0,1]
	v_pk_mov_b32 v[4:5], s[42:43], s[42:43] op_sel:[0,1]
	;; [unrolled: 1-line block ×4, first 2 shown]
	s_and_saveexec_b64 s[2:3], s[0:1]
	s_cbranch_execz .LBB378_10
; %bb.9:
	s_waitcnt lgkmcnt(0)
	s_load_dwordx2 s[18:19], s[4:5], 0x38
	s_mul_hi_i32 s31, s27, s6
	s_mul_i32 s30, s27, s6
	s_lshl_b64 s[30:31], s[30:31], 1
	s_mov_b32 s39, 0x20000
	s_waitcnt lgkmcnt(0)
	s_add_u32 s36, s18, s30
	s_addc_u32 s18, s19, s31
	s_and_b32 s37, s18, 0xffff
	v_lshlrev_b32_e32 v26, 4, v0
	buffer_load_dwordx4 v[2:5], v26, s[36:39], 0 offen glc slc
	s_load_dwordx2 s[18:19], s[4:5], 0x20
	s_waitcnt vmcnt(2)
	v_cvt_f32_u32_sdwa v7, v14 dst_sel:DWORD dst_unused:UNUSED_PAD src0_sel:WORD_1
	v_cvt_f32_u32_sdwa v6, v14 dst_sel:DWORD dst_unused:UNUSED_PAD src0_sel:WORD_0
	v_cvt_f32_u32_sdwa v9, v15 dst_sel:DWORD dst_unused:UNUSED_PAD src0_sel:WORD_1
	v_cvt_f32_u32_sdwa v8, v15 dst_sel:DWORD dst_unused:UNUSED_PAD src0_sel:WORD_0
	;; [unrolled: 2-line block ×4, first 2 shown]
	s_mul_hi_i32 s31, s17, s6
	s_mul_i32 s30, s17, s6
	s_lshl_b64 s[30:31], s[30:31], 1
	s_waitcnt lgkmcnt(0)
	s_add_u32 s36, s18, s30
	s_mov_b32 s17, 0x7060302
	s_addc_u32 s18, s19, s31
	s_and_b32 s37, s18, 0xffff
	s_waitcnt vmcnt(0)
	v_cvt_f32_u32_sdwa v17, v2 dst_sel:DWORD dst_unused:UNUSED_PAD src0_sel:WORD_1
	v_cvt_f32_u32_sdwa v16, v2 dst_sel:DWORD dst_unused:UNUSED_PAD src0_sel:WORD_0
	v_cvt_f32_u32_sdwa v21, v3 dst_sel:DWORD dst_unused:UNUSED_PAD src0_sel:WORD_1
	v_cvt_f32_u32_sdwa v20, v3 dst_sel:DWORD dst_unused:UNUSED_PAD src0_sel:WORD_0
	v_cvt_f32_u32_sdwa v23, v4 dst_sel:DWORD dst_unused:UNUSED_PAD src0_sel:WORD_1
	v_cvt_f32_u32_sdwa v22, v4 dst_sel:DWORD dst_unused:UNUSED_PAD src0_sel:WORD_0
	v_cvt_f32_u32_sdwa v25, v5 dst_sel:DWORD dst_unused:UNUSED_PAD src0_sel:WORD_1
	v_cvt_f32_u32_sdwa v24, v5 dst_sel:DWORD dst_unused:UNUSED_PAD src0_sel:WORD_0
	v_pk_add_f32 v[2:3], v[6:7], v[16:17]
	v_pk_add_f32 v[4:5], v[8:9], v[20:21]
	;; [unrolled: 1-line block ×4, first 2 shown]
	v_perm_b32 v17, v9, v8, s17
	v_perm_b32 v16, v7, v6, s17
	;; [unrolled: 1-line block ×4, first 2 shown]
	buffer_store_dwordx4 v[14:17], v26, s[36:39], 0 offen glc slc
	;;#ASMSTART
	s_nop 0
	;;#ASMEND
.LBB378_10:
	s_or_b64 exec, exec, s[2:3]
.LBB378_11:
	s_waitcnt vmcnt(1)
	v_mul_f32_e32 v14, v3, v3
	v_fmac_f32_e32 v14, v2, v2
	v_fmac_f32_e32 v14, v4, v4
	;; [unrolled: 1-line block ×7, first 2 shown]
	v_and_b32_e32 v16, 63, v0
	v_cmp_eq_u32_e64 s[2:3], 63, v16
	v_mov_b32_dpp v15, v14 quad_perm:[1,0,3,2] row_mask:0xf bank_mask:0xf
	v_add_f32_e32 v14, v14, v15
	s_nop 1
	v_mov_b32_dpp v15, v14 quad_perm:[2,3,0,1] row_mask:0xf bank_mask:0xf
	v_add_f32_e32 v14, v14, v15
	s_nop 1
	v_mov_b32_dpp v15, v14 row_half_mirror row_mask:0xf bank_mask:0xf
	v_add_f32_e32 v14, v14, v15
	s_nop 1
	v_mov_b32_dpp v15, v14 row_mirror row_mask:0xf bank_mask:0xf
	v_add_f32_e32 v14, v14, v15
	s_nop 1
	v_mov_b32_dpp v15, v14 row_bcast:15 row_mask:0xf bank_mask:0xf
	v_add_f32_e32 v14, v14, v15
	s_nop 1
	v_mov_b32_dpp v15, v14 row_bcast:31 row_mask:0xf bank_mask:0xf
	s_waitcnt lgkmcnt(0)
	s_and_saveexec_b64 s[18:19], s[2:3]
	s_cbranch_execz .LBB378_13
; %bb.12:
	v_add_f32_e32 v14, v14, v15
	v_lshrrev_b32_e32 v15, 4, v0
	v_and_b32_e32 v15, 60, v15
	ds_write_b32 v15, v14 offset:8
.LBB378_13:
	s_or_b64 exec, exec, s[18:19]
	v_and_b32_e32 v14, 1, v0
	v_lshlrev_b32_e32 v14, 2, v14
	s_waitcnt lgkmcnt(0)
	s_barrier
	ds_read_b32 v15, v14 offset:8
	s_load_dwordx2 s[18:19], s[4:5], 0x18
	s_waitcnt lgkmcnt(0)
	v_mov_b32_dpp v16, v15 quad_perm:[1,0,3,2] row_mask:0xf bank_mask:0xf
	s_and_saveexec_b64 s[30:31], s[0:1]
	s_cbranch_execnz .LBB378_18
; %bb.14:
	s_or_b64 exec, exec, s[30:31]
	s_mov_b64 s[8:9], -1
	s_and_b64 vcc, exec, s[10:11]
	s_cbranch_vccnz .LBB378_19
.LBB378_15:
	s_andn2_b64 vcc, exec, s[8:9]
	s_cbranch_vccz .LBB378_22
.LBB378_16:
	s_cmp_lt_i32 s24, 1
	s_cbranch_scc0 .LBB378_31
.LBB378_17:
	s_endpgm
.LBB378_18:
	v_cvt_f32_u32_e32 v17, s7
	v_add_f32_e32 v15, v15, v16
	v_mov_b32_e32 v19, s21
	v_mov_b32_e32 v20, s20
	v_div_scale_f32 v16, s[36:37], v17, v17, v15
	v_rcp_f32_e32 v18, v16
	v_cndmask_b32_e64 v19, v19, v20, s[8:9]
	s_mov_b32 s7, 0x800000
	v_fma_f32 v20, -v16, v18, 1.0
	v_fmac_f32_e32 v18, v20, v18
	v_div_scale_f32 v20, vcc, v15, v17, v15
	v_mul_f32_e32 v21, v20, v18
	v_fma_f32 v22, -v16, v21, v20
	v_fmac_f32_e32 v21, v22, v18
	v_fma_f32 v16, -v16, v21, v20
	v_div_fmas_f32 v16, v16, v18, v21
	v_div_fixup_f32 v15, v16, v17, v15
	v_add_f32_e32 v15, v19, v15
	v_mul_f32_e32 v16, 0x4b800000, v15
	v_cmp_gt_f32_e32 vcc, s7, v15
	v_cndmask_b32_e32 v15, v15, v16, vcc
	v_rsq_f32_e32 v15, v15
	s_waitcnt vmcnt(0)
	v_cvt_f32_u32_sdwa v19, v10 dst_sel:DWORD dst_unused:UNUSED_PAD src0_sel:WORD_1
	v_cvt_f32_u32_sdwa v18, v10 dst_sel:DWORD dst_unused:UNUSED_PAD src0_sel:WORD_0
	v_cvt_f32_u32_sdwa v21, v11 dst_sel:DWORD dst_unused:UNUSED_PAD src0_sel:WORD_1
	v_mul_f32_e32 v16, 0x45800000, v15
	v_cndmask_b32_e32 v16, v15, v16, vcc
	v_mov_b32_e32 v17, v16
	v_cvt_f32_u32_sdwa v20, v11 dst_sel:DWORD dst_unused:UNUSED_PAD src0_sel:WORD_0
	;;#ASMSTART
	v_pk_mul_f32 v[2:3], v[2:3], v[16:17]
	;;#ASMEND
	;;#ASMSTART
	v_pk_mul_f32 v[4:5], v[4:5], v[16:17]
	;;#ASMEND
	;; [unrolled: 3-line block ×4, first 2 shown]
	v_cvt_f32_u32_sdwa v17, v12 dst_sel:DWORD dst_unused:UNUSED_PAD src0_sel:WORD_1
	v_cvt_f32_u32_sdwa v16, v12 dst_sel:DWORD dst_unused:UNUSED_PAD src0_sel:WORD_0
	v_pk_add_f32 v[10:11], v[18:19], 1.0 op_sel_hi:[1,0]
	v_cvt_f32_u32_sdwa v19, v13 dst_sel:DWORD dst_unused:UNUSED_PAD src0_sel:WORD_1
	v_cvt_f32_u32_sdwa v18, v13 dst_sel:DWORD dst_unused:UNUSED_PAD src0_sel:WORD_0
	;;#ASMSTART
	v_pk_mul_f32 v[2:3], v[2:3], v[10:11]
	;;#ASMEND
	v_pk_add_f32 v[10:11], v[20:21], 1.0 op_sel_hi:[1,0]
	;;#ASMSTART
	v_pk_mul_f32 v[4:5], v[4:5], v[10:11]
	;;#ASMEND
	v_pk_add_f32 v[10:11], v[16:17], 1.0 op_sel_hi:[1,0]
	;; [unrolled: 4-line block ×3, first 2 shown]
	;;#ASMSTART
	v_pk_mul_f32 v[8:9], v[8:9], v[10:11]
	;;#ASMEND
	s_or_b64 exec, exec, s[30:31]
	s_mov_b64 s[8:9], -1
	s_and_b64 vcc, exec, s[10:11]
	s_cbranch_vccz .LBB378_15
.LBB378_19:
	s_and_saveexec_b64 s[8:9], s[0:1]
	s_cbranch_execz .LBB378_21
; %bb.20:
	s_mul_hi_i32 s11, s16, s6
	s_mul_i32 s10, s16, s6
	s_lshl_b64 s[10:11], s[10:11], 1
	s_add_u32 s36, s18, s10
	s_addc_u32 s7, s19, s11
	s_and_b32 s37, s7, 0xffff
	s_mov_b32 s7, 0x7060302
	s_mov_b32 s39, 0x20000
	s_waitcnt vmcnt(0)
	v_perm_b32 v10, v3, v2, s7
	v_perm_b32 v11, v5, v4, s7
	;; [unrolled: 1-line block ×4, first 2 shown]
	v_lshlrev_b32_e32 v15, 4, v0
	buffer_store_dwordx4 v[10:13], v15, s[36:39], 0 offen
	;;#ASMSTART
	s_nop 0
	;;#ASMEND
.LBB378_21:
	s_or_b64 exec, exec, s[8:9]
	s_cbranch_execnz .LBB378_16
.LBB378_22:
	s_waitcnt vmcnt(0)
	v_mov_b32_e32 v10, 0
	s_and_saveexec_b64 s[8:9], s[0:1]
	s_cbranch_execz .LBB378_24
; %bb.23:
	s_load_dwordx2 s[10:11], s[4:5], 0x10
	s_mul_hi_i32 s31, s15, s6
	s_mul_i32 s30, s15, s6
	s_lshl_b64 s[30:31], s[30:31], 1
	s_mov_b32 s39, 0x20000
	s_waitcnt lgkmcnt(0)
	s_add_u32 s36, s10, s30
	s_addc_u32 s7, s11, s31
	s_and_b32 s37, s7, 0xffff
	s_mov_b32 s7, 0x7060302
	v_perm_b32 v10, v3, v2, s7
	v_perm_b32 v11, v5, v4, s7
	;; [unrolled: 1-line block ×4, first 2 shown]
	v_lshlrev_b32_e32 v15, 4, v0
	buffer_store_dwordx4 v[10:13], v15, s[36:39], 0 offen
	;;#ASMSTART
	s_nop 0
	;;#ASMEND
	s_nop 0
	v_mov_b32_e32 v10, 0x2edbe6ff
.LBB378_24:
	s_or_b64 exec, exec, s[8:9]
	s_and_saveexec_b64 s[8:9], s[0:1]
	s_cbranch_execz .LBB378_26
; %bb.25:
	v_and_b32_e32 v11, 0x7fffffff, v2
	v_and_b32_e32 v12, 0x7fffffff, v3
	;;#ASMSTART
	v_max3_f32 v10, v10, v11, v12

	;;#ASMEND
	v_and_b32_e32 v11, 0x7fffffff, v4
	v_and_b32_e32 v12, 0x7fffffff, v5
	;;#ASMSTART
	v_max3_f32 v10, v10, v11, v12

	;;#ASMEND
	;; [unrolled: 6-line block ×4, first 2 shown]
.LBB378_26:
	s_or_b64 exec, exec, s[8:9]
	;;#ASMSTART
	v_max_f32 v11, v10, v10 quad_perm:[1,0,3,2] row_mask:0xf bank_mask:0xf bound_ctrl:1
	;;#ASMEND
	;;#ASMSTART
	v_max_f32 v10, v11, v11 quad_perm:[2,3,0,1] row_mask:0xf bank_mask:0xf bound_ctrl:1
	;;#ASMEND
	;;#ASMSTART
	v_max_f32 v11, v10, v10 row_half_mirror row_mask:0xf bank_mask:0xf bound_ctrl:1
	;;#ASMEND
	v_mul_f32_e32 v10, 0x3b124925, v11
	v_and_b32_e32 v11, 7, v0
	v_cmp_eq_u32_e32 vcc, 0, v11
	v_cmp_gt_i32_e64 s[8:9], s23, v1
	s_and_b64 s[10:11], vcc, s[8:9]
	s_and_saveexec_b64 s[8:9], s[10:11]
	s_cbranch_execz .LBB378_28
; %bb.27:
	s_load_dwordx2 s[10:11], s[4:5], 0x8
	v_lshrrev_b32_e32 v11, 3, v0
	s_mul_hi_i32 s31, s13, s6
	s_mul_i32 s30, s13, s6
	v_mad_i64_i32 v[12:13], s[14:15], s14, v11, 0
	s_lshl_b64 s[14:15], s[30:31], 2
	s_waitcnt lgkmcnt(0)
	s_add_u32 s7, s10, s14
	s_addc_u32 s10, s11, s15
	v_lshlrev_b64 v[12:13], 2, v[12:13]
	v_mov_b32_e32 v11, s10
	v_add_co_u32_e32 v12, vcc, s7, v12
	v_addc_co_u32_e32 v13, vcc, v11, v13, vcc
	global_store_dword v[12:13], v10, off
.LBB378_28:
	s_or_b64 exec, exec, s[8:9]
	;;#ASMSTART
	v_rcp_f32 v10, v10
	;;#ASMEND
	s_and_saveexec_b64 s[14:15], s[0:1]
	s_cbranch_execz .LBB378_30
; %bb.29:
	s_load_dwordx2 s[0:1], s[4:5], 0x0
	s_mul_i32 s8, s12, s6
	v_mov_b32_e32 v11, v10
	;;#ASMSTART
	v_pk_mul_f32 v[2:3], v[2:3], v[10:11]
	;;#ASMEND
	s_mul_hi_i32 s7, s12, s6
	s_waitcnt lgkmcnt(0)
	s_add_u32 s8, s0, s8
	v_mov_b32_e32 v12, 0xc3e00000
	v_mov_b32_e32 v13, 0x43e00000
	;;#ASMSTART
	v_med3_f32 v2, v2, v12, v13
v_med3_f32 v3, v3, v12, v13
v_cvt_pk_fp8_f32 v15, v2, v3
	;;#ASMEND
	s_addc_u32 s0, s1, s7
	;;#ASMSTART
	v_pk_mul_f32 v[2:3], v[4:5], v[10:11]
	;;#ASMEND
	s_and_b32 s9, s0, 0xffff
	;;#ASMSTART
	v_med3_f32 v2, v2, v12, v13
v_med3_f32 v3, v3, v12, v13
v_cvt_pk_fp8_f32 v4, v2, v3
	;;#ASMEND
	s_mov_b32 s0, 0x5040100
	v_perm_b32 v3, v4, v15, s0
	s_movk_i32 s0, 0xff
	v_and_b32_e32 v2, 0xffffff00, v4
	v_and_b32_sdwa v4, v3, s0 dst_sel:DWORD dst_unused:UNUSED_PAD src0_sel:WORD_1 src1_sel:DWORD
	s_mov_b32 s12, 0xffff
	v_or_b32_sdwa v2, v4, v2 dst_sel:WORD_1 dst_unused:UNUSED_PAD src0_sel:DWORD src1_sel:DWORD
	v_and_or_b32 v2, v3, s12, v2
	;;#ASMSTART
	v_pk_mul_f32 v[4:5], v[6:7], v[10:11]
	;;#ASMEND
	v_mov_b32_e32 v3, v5
	s_add_i32 s1, s23, 3
	;;#ASMSTART
	v_med3_f32 v4, v4, v12, v13
v_med3_f32 v3, v3, v12, v13
v_cvt_pk_fp8_f32 v6, v4, v3
	;;#ASMEND
	s_ashr_i32 s7, s1, 31
	;;#ASMSTART
	v_pk_mul_f32 v[4:5], v[8:9], v[10:11]
	;;#ASMEND
	v_mov_b32_e32 v3, v4
	s_lshr_b32 s7, s7, 30
	;;#ASMSTART
	v_med3_f32 v3, v3, v12, v13
v_med3_f32 v5, v5, v12, v13
v_cvt_pk_fp8_f32 v4, v3, v5
	;;#ASMEND
	s_add_i32 s1, s1, s7
	v_lshlrev_b32_e32 v3, 16, v4
	s_and_b32 s10, s1, -4
	s_mov_b32 s11, 0x20000
	v_and_or_b32 v3, v6, s12, v3
	buffer_store_dwordx2 v[2:3], v1, s[8:11], 0 offen
	;;#ASMSTART
	s_nop 0
	;;#ASMEND
.LBB378_30:
	s_or_b64 exec, exec, s[14:15]
	s_cmp_lt_i32 s24, 1
	s_cbranch_scc1 .LBB378_17
.LBB378_31:
	s_load_dword s0, s[4:5], 0x94
	s_waitcnt lgkmcnt(0)
	s_cmp_lg_u32 s0, 1
	s_cbranch_scc1 .LBB378_17
; %bb.32:
	s_lshl_b32 s0, s24, 1
	s_add_i32 s0, s0, 2
	v_cmp_gt_u32_e32 vcc, s24, v1
	s_and_b32 s30, s0, -4
	v_mov_b32_e32 v6, 0
	v_lshlrev_b32_e32 v1, 4, v0
	v_mov_b32_e32 v7, 0
	v_mov_b32_e32 v8, 0
	;; [unrolled: 1-line block ×7, first 2 shown]
	s_barrier
	s_and_saveexec_b64 s[0:1], vcc
	s_cbranch_execz .LBB378_34
; %bb.33:
	s_mul_hi_i32 s5, s26, s6
	s_mul_i32 s4, s26, s6
	s_and_b32 s29, s29, 0xffff
	s_lshl_b64 s[4:5], s[4:5], 1
	s_add_u32 s8, s34, s4
	s_mov_b32 s31, 0x20000
	s_addc_u32 s4, s35, s5
	s_and_b32 s9, s4, 0xffff
	s_mov_b32 s10, s30
	s_mov_b32 s11, s31
	buffer_load_dwordx4 v[6:9], v1, s[8:11], 0 offen glc slc
	buffer_load_dwordx4 v[2:5], v1, s[28:31], 0 offen
.LBB378_34:
	s_or_b64 exec, exec, s[0:1]
	s_waitcnt vmcnt(0)
	v_cvt_f32_u32_sdwa v13, v6 dst_sel:DWORD dst_unused:UNUSED_PAD src0_sel:WORD_1
	v_cvt_f32_u32_sdwa v12, v6 dst_sel:DWORD dst_unused:UNUSED_PAD src0_sel:WORD_0
	v_cvt_f32_u32_sdwa v6, v9 dst_sel:DWORD dst_unused:UNUSED_PAD src0_sel:WORD_1
	v_cvt_f32_u32_sdwa v9, v9 dst_sel:DWORD dst_unused:UNUSED_PAD src0_sel:WORD_0
	;; [unrolled: 2-line block ×4, first 2 shown]
	v_cndmask_b32_e32 v13, 0, v13, vcc
	v_cndmask_b32_e32 v7, 0, v6, vcc
	v_cndmask_b32_e32 v6, 0, v9, vcc
	v_cndmask_b32_e32 v9, 0, v15, vcc
	v_cndmask_b32_e32 v12, 0, v12, vcc
	v_mul_f32_e32 v15, v13, v13
	v_cndmask_b32_e32 v10, 0, v10, vcc
	v_fmac_f32_e32 v15, v12, v12
	v_cndmask_b32_e32 v11, 0, v11, vcc
	v_fmac_f32_e32 v15, v10, v10
	;; [unrolled: 2-line block ×3, first 2 shown]
	v_fmac_f32_e32 v15, v8, v8
	v_fmac_f32_e32 v15, v9, v9
	;; [unrolled: 1-line block ×4, first 2 shown]
	s_nop 1
	v_mov_b32_dpp v16, v15 quad_perm:[1,0,3,2] row_mask:0xf bank_mask:0xf
	v_add_f32_e32 v15, v15, v16
	s_nop 1
	v_mov_b32_dpp v16, v15 quad_perm:[2,3,0,1] row_mask:0xf bank_mask:0xf
	v_add_f32_e32 v15, v15, v16
	s_nop 1
	v_mov_b32_dpp v16, v15 row_half_mirror row_mask:0xf bank_mask:0xf
	v_add_f32_e32 v15, v15, v16
	s_nop 1
	v_mov_b32_dpp v16, v15 row_mirror row_mask:0xf bank_mask:0xf
	v_add_f32_e32 v15, v15, v16
	s_nop 1
	v_mov_b32_dpp v16, v15 row_bcast:15 row_mask:0xf bank_mask:0xf
	v_add_f32_e32 v15, v15, v16
	s_nop 1
	v_mov_b32_dpp v16, v15 row_bcast:31 row_mask:0xf bank_mask:0xf
	s_and_saveexec_b64 s[0:1], s[2:3]
	s_cbranch_execz .LBB378_36
; %bb.35:
	v_lshrrev_b32_e32 v0, 4, v0
	v_add_f32_e32 v15, v15, v16
	v_and_b32_e32 v0, 60, v0
	ds_write_b32 v0, v15
.LBB378_36:
	s_or_b64 exec, exec, s[0:1]
	s_waitcnt lgkmcnt(0)
	s_barrier
	ds_read_b32 v0, v14
	s_waitcnt lgkmcnt(0)
	s_nop 0
	v_mov_b32_dpp v14, v0 quad_perm:[1,0,3,2] row_mask:0xf bank_mask:0xf
	s_and_saveexec_b64 s[0:1], vcc
	s_cbranch_execz .LBB378_17
; %bb.37:
	v_cvt_f32_u32_e32 v15, s24
	v_add_f32_e32 v0, v0, v14
	s_mov_b32 s31, 0x20000
	v_div_scale_f32 v14, s[0:1], v15, v15, v0
	v_rcp_f32_e32 v16, v14
	v_div_scale_f32 v17, vcc, v0, v15, v0
	s_mov_b32 s0, 0x800000
	v_fma_f32 v18, -v14, v16, 1.0
	v_fmac_f32_e32 v16, v18, v16
	v_mul_f32_e32 v18, v17, v16
	v_fma_f32 v19, -v14, v18, v17
	v_fmac_f32_e32 v18, v19, v16
	v_fma_f32 v14, -v14, v18, v17
	v_div_fmas_f32 v14, v14, v16, v18
	v_div_fixup_f32 v0, v14, v15, v0
	v_add_f32_e32 v0, s21, v0
	v_mul_f32_e32 v14, 0x4b800000, v0
	v_cmp_gt_f32_e32 vcc, s0, v0
	v_cndmask_b32_e32 v0, v0, v14, vcc
	v_rsq_f32_e32 v0, v0
	v_cvt_f32_u32_sdwa v17, v2 dst_sel:DWORD dst_unused:UNUSED_PAD src0_sel:WORD_1
	v_cvt_f32_u32_sdwa v16, v2 dst_sel:DWORD dst_unused:UNUSED_PAD src0_sel:WORD_0
	v_cvt_f32_u32_sdwa v19, v3 dst_sel:DWORD dst_unused:UNUSED_PAD src0_sel:WORD_1
	v_mul_f32_e32 v14, 0x45800000, v0
	v_cndmask_b32_e32 v14, v0, v14, vcc
	v_mov_b32_e32 v15, v14
	;;#ASMSTART
	v_pk_mul_f32 v[12:13], v[12:13], v[14:15]
	;;#ASMEND
	;;#ASMSTART
	v_pk_mul_f32 v[10:11], v[10:11], v[14:15]
	;;#ASMEND
	;; [unrolled: 3-line block ×3, first 2 shown]
	v_cvt_f32_u32_sdwa v18, v3 dst_sel:DWORD dst_unused:UNUSED_PAD src0_sel:WORD_0
	;;#ASMSTART
	v_pk_mul_f32 v[2:3], v[6:7], v[14:15]
	;;#ASMEND
	v_cvt_f32_u32_sdwa v15, v4 dst_sel:DWORD dst_unused:UNUSED_PAD src0_sel:WORD_1
	v_cvt_f32_u32_sdwa v14, v4 dst_sel:DWORD dst_unused:UNUSED_PAD src0_sel:WORD_0
	v_pk_add_f32 v[6:7], v[16:17], 1.0 op_sel_hi:[1,0]
	v_cvt_f32_u32_sdwa v17, v5 dst_sel:DWORD dst_unused:UNUSED_PAD src0_sel:WORD_1
	v_cvt_f32_u32_sdwa v16, v5 dst_sel:DWORD dst_unused:UNUSED_PAD src0_sel:WORD_0
	s_mul_hi_i32 s1, s16, s6
	s_mul_i32 s0, s16, s6
	s_lshl_b64 s[0:1], s[0:1], 1
	s_add_u32 s28, s18, s0
	;;#ASMSTART
	v_pk_mul_f32 v[6:7], v[12:13], v[6:7]
	;;#ASMEND
	v_pk_add_f32 v[12:13], v[18:19], 1.0 op_sel_hi:[1,0]
	;;#ASMSTART
	v_pk_mul_f32 v[4:5], v[10:11], v[12:13]
	;;#ASMEND
	v_pk_add_f32 v[10:11], v[14:15], 1.0 op_sel_hi:[1,0]
	s_addc_u32 s0, s19, s1
	;;#ASMSTART
	v_pk_mul_f32 v[8:9], v[8:9], v[10:11]
	;;#ASMEND
	v_pk_add_f32 v[10:11], v[16:17], 1.0 op_sel_hi:[1,0]
	s_and_b32 s29, s0, 0xffff
	s_mov_b32 s0, 0x7060302
	;;#ASMSTART
	v_pk_mul_f32 v[10:11], v[2:3], v[10:11]
	;;#ASMEND
	v_perm_b32 v2, v7, v6, s0
	v_perm_b32 v3, v5, v4, s0
	;; [unrolled: 1-line block ×4, first 2 shown]
	buffer_store_dwordx4 v[2:5], v1, s[28:31], 0 offen
	;;#ASMSTART
	s_nop 0
	;;#ASMEND
	s_endpgm
	.section	.rodata,"a",@progbits
	.p2align	6, 0x0
	.amdhsa_kernel _ZN5aiter35fused_qk_rmsnorm_group_quant_kernelItDB8_Li128ELi8ELi8ELb1ELb1ELb1ELb0ELb0ELb0EEEvPT0_PvPT_S6_S6_PKS5_S8_S8_S8_S8_ffiiiiiiiiiiiii
		.amdhsa_group_segment_fixed_size 16
		.amdhsa_private_segment_fixed_size 0
		.amdhsa_kernarg_size 400
		.amdhsa_user_sgpr_count 6
		.amdhsa_user_sgpr_private_segment_buffer 1
		.amdhsa_user_sgpr_dispatch_ptr 0
		.amdhsa_user_sgpr_queue_ptr 0
		.amdhsa_user_sgpr_kernarg_segment_ptr 1
		.amdhsa_user_sgpr_dispatch_id 0
		.amdhsa_user_sgpr_flat_scratch_init 0
		.amdhsa_user_sgpr_kernarg_preload_length 0
		.amdhsa_user_sgpr_kernarg_preload_offset 0
		.amdhsa_user_sgpr_private_segment_size 0
		.amdhsa_uses_dynamic_stack 0
		.amdhsa_system_sgpr_private_segment_wavefront_offset 0
		.amdhsa_system_sgpr_workgroup_id_x 1
		.amdhsa_system_sgpr_workgroup_id_y 1
		.amdhsa_system_sgpr_workgroup_id_z 0
		.amdhsa_system_sgpr_workgroup_info 0
		.amdhsa_system_vgpr_workitem_id 0
		.amdhsa_next_free_vgpr 27
		.amdhsa_next_free_sgpr 48
		.amdhsa_accum_offset 28
		.amdhsa_reserve_vcc 1
		.amdhsa_reserve_flat_scratch 0
		.amdhsa_float_round_mode_32 0
		.amdhsa_float_round_mode_16_64 0
		.amdhsa_float_denorm_mode_32 3
		.amdhsa_float_denorm_mode_16_64 3
		.amdhsa_dx10_clamp 1
		.amdhsa_ieee_mode 1
		.amdhsa_fp16_overflow 0
		.amdhsa_tg_split 0
		.amdhsa_exception_fp_ieee_invalid_op 0
		.amdhsa_exception_fp_denorm_src 0
		.amdhsa_exception_fp_ieee_div_zero 0
		.amdhsa_exception_fp_ieee_overflow 0
		.amdhsa_exception_fp_ieee_underflow 0
		.amdhsa_exception_fp_ieee_inexact 0
		.amdhsa_exception_int_div_zero 0
	.end_amdhsa_kernel
	.section	.text._ZN5aiter35fused_qk_rmsnorm_group_quant_kernelItDB8_Li128ELi8ELi8ELb1ELb1ELb1ELb0ELb0ELb0EEEvPT0_PvPT_S6_S6_PKS5_S8_S8_S8_S8_ffiiiiiiiiiiiii,"axG",@progbits,_ZN5aiter35fused_qk_rmsnorm_group_quant_kernelItDB8_Li128ELi8ELi8ELb1ELb1ELb1ELb0ELb0ELb0EEEvPT0_PvPT_S6_S6_PKS5_S8_S8_S8_S8_ffiiiiiiiiiiiii,comdat
.Lfunc_end378:
	.size	_ZN5aiter35fused_qk_rmsnorm_group_quant_kernelItDB8_Li128ELi8ELi8ELb1ELb1ELb1ELb0ELb0ELb0EEEvPT0_PvPT_S6_S6_PKS5_S8_S8_S8_S8_ffiiiiiiiiiiiii, .Lfunc_end378-_ZN5aiter35fused_qk_rmsnorm_group_quant_kernelItDB8_Li128ELi8ELi8ELb1ELb1ELb1ELb0ELb0ELb0EEEvPT0_PvPT_S6_S6_PKS5_S8_S8_S8_S8_ffiiiiiiiiiiiii
                                        ; -- End function
	.section	.AMDGPU.csdata,"",@progbits
; Kernel info:
; codeLenInByte = 3088
; NumSgprs: 52
; NumVgprs: 27
; NumAgprs: 0
; TotalNumVgprs: 27
; ScratchSize: 0
; MemoryBound: 0
; FloatMode: 240
; IeeeMode: 1
; LDSByteSize: 16 bytes/workgroup (compile time only)
; SGPRBlocks: 6
; VGPRBlocks: 3
; NumSGPRsForWavesPerEU: 52
; NumVGPRsForWavesPerEU: 27
; AccumOffset: 28
; Occupancy: 8
; WaveLimiterHint : 0
; COMPUTE_PGM_RSRC2:SCRATCH_EN: 0
; COMPUTE_PGM_RSRC2:USER_SGPR: 6
; COMPUTE_PGM_RSRC2:TRAP_HANDLER: 0
; COMPUTE_PGM_RSRC2:TGID_X_EN: 1
; COMPUTE_PGM_RSRC2:TGID_Y_EN: 1
; COMPUTE_PGM_RSRC2:TGID_Z_EN: 0
; COMPUTE_PGM_RSRC2:TIDIG_COMP_CNT: 0
; COMPUTE_PGM_RSRC3_GFX90A:ACCUM_OFFSET: 6
; COMPUTE_PGM_RSRC3_GFX90A:TG_SPLIT: 0
	.section	.text._ZN5aiter35fused_qk_rmsnorm_group_quant_kernelIDF16_N4opus5fp4_tELi128ELi8ELi8ELb1ELb1ELb1ELb0ELb0ELb0EEEvPT0_PvPT_S7_S7_PKS6_S9_S9_S9_S9_ffiiiiiiiiiiiii,"axG",@progbits,_ZN5aiter35fused_qk_rmsnorm_group_quant_kernelIDF16_N4opus5fp4_tELi128ELi8ELi8ELb1ELb1ELb1ELb0ELb0ELb0EEEvPT0_PvPT_S7_S7_PKS6_S9_S9_S9_S9_ffiiiiiiiiiiiii,comdat
	.protected	_ZN5aiter35fused_qk_rmsnorm_group_quant_kernelIDF16_N4opus5fp4_tELi128ELi8ELi8ELb1ELb1ELb1ELb0ELb0ELb0EEEvPT0_PvPT_S7_S7_PKS6_S9_S9_S9_S9_ffiiiiiiiiiiiii ; -- Begin function _ZN5aiter35fused_qk_rmsnorm_group_quant_kernelIDF16_N4opus5fp4_tELi128ELi8ELi8ELb1ELb1ELb1ELb0ELb0ELb0EEEvPT0_PvPT_S7_S7_PKS6_S9_S9_S9_S9_ffiiiiiiiiiiiii
	.globl	_ZN5aiter35fused_qk_rmsnorm_group_quant_kernelIDF16_N4opus5fp4_tELi128ELi8ELi8ELb1ELb1ELb1ELb0ELb0ELb0EEEvPT0_PvPT_S7_S7_PKS6_S9_S9_S9_S9_ffiiiiiiiiiiiii
	.p2align	8
	.type	_ZN5aiter35fused_qk_rmsnorm_group_quant_kernelIDF16_N4opus5fp4_tELi128ELi8ELi8ELb1ELb1ELb1ELb0ELb0ELb0EEEvPT0_PvPT_S7_S7_PKS6_S9_S9_S9_S9_ffiiiiiiiiiiiii,@function
_ZN5aiter35fused_qk_rmsnorm_group_quant_kernelIDF16_N4opus5fp4_tELi128ELi8ELi8ELb1ELb1ELb1ELb0ELb0ELb0EEEvPT0_PvPT_S7_S7_PKS6_S9_S9_S9_S9_ffiiiiiiiiiiiii: ; @_ZN5aiter35fused_qk_rmsnorm_group_quant_kernelIDF16_N4opus5fp4_tELi128ELi8ELi8ELb1ELb1ELb1ELb0ELb0ELb0EEEvPT0_PvPT_S7_S7_PKS6_S9_S9_S9_S9_ffiiiiiiiiiiiii
; %bb.0:
	s_load_dwordx8 s[20:27], s[4:5], 0x50
	s_waitcnt lgkmcnt(0)
	s_cmp_ge_i32 s6, s22
	s_cbranch_scc1 .LBB379_17
; %bb.1:
	s_cmp_lg_u32 s7, 0
	s_cselect_b64 s[30:31], -1, 0
	s_cmp_eq_u32 s7, 0
	s_cselect_b64 s[8:9], -1, 0
	s_and_b64 s[0:1], s[8:9], exec
	s_load_dwordx2 s[28:29], s[4:5], 0x48
	s_load_dwordx2 s[10:11], s[4:5], 0x30
	s_load_dwordx8 s[12:19], s[4:5], 0x70
	s_cselect_b32 s7, s23, s24
	s_add_i32 s0, s7, 1
	s_lshr_b32 s1, s0, 31
	s_add_i32 s0, s0, s1
	s_lshl_b32 s0, s0, 1
	v_lshlrev_b32_e32 v1, 3, v0
	s_and_b32 s38, s0, -4
	v_cmp_gt_i32_e64 s[0:1], s7, v1
	v_mov_b32_e32 v2, 0
	v_mov_b32_e32 v3, 0
	;; [unrolled: 1-line block ×8, first 2 shown]
	s_and_saveexec_b64 s[2:3], s[0:1]
	s_cbranch_execz .LBB379_3
; %bb.2:
	s_waitcnt lgkmcnt(0)
	s_load_dwordx2 s[18:19], s[4:5], 0x28
	s_load_dwordx2 s[34:35], s[4:5], 0x40
	s_and_b64 s[36:37], s[8:9], exec
	s_cselect_b32 s22, s25, s26
	s_mov_b32 s39, 0x20000
	s_waitcnt lgkmcnt(0)
	s_cselect_b32 s25, s19, s11
	s_cselect_b32 s33, s18, s10
	s_mul_hi_i32 s19, s22, s6
	s_mul_i32 s18, s22, s6
	s_lshl_b64 s[18:19], s[18:19], 1
	s_add_u32 s40, s33, s18
	s_addc_u32 s22, s25, s19
	s_and_b64 s[18:19], s[8:9], exec
	s_cselect_b32 s36, s34, s28
	s_cselect_b32 s18, s35, s29
	v_lshlrev_b32_e32 v10, 4, v0
	s_and_b32 s41, s22, 0xffff
	s_mov_b32 s42, s38
	s_mov_b32 s43, s39
	s_and_b32 s37, s18, 0xffff
	buffer_load_dwordx4 v[6:9], v10, s[40:43], 0 offen glc slc
	buffer_load_dwordx4 v[2:5], v10, s[36:39], 0 offen
.LBB379_3:
	s_or_b64 exec, exec, s[2:3]
	s_and_b64 vcc, exec, s[30:31]
	s_cbranch_vccz .LBB379_7
; %bb.4:
	v_mov_b32_e32 v11, 0
	v_mov_b32_e32 v10, 0
	;; [unrolled: 1-line block ×8, first 2 shown]
	s_and_saveexec_b64 s[2:3], s[0:1]
	s_cbranch_execz .LBB379_6
; %bb.5:
	s_waitcnt vmcnt(1)
	v_cvt_f32_f16_sdwa v15, v6 dst_sel:DWORD dst_unused:UNUSED_PAD src0_sel:WORD_1
	v_cvt_f32_f16_e32 v14, v6
	v_cvt_f32_f16_sdwa v17, v7 dst_sel:DWORD dst_unused:UNUSED_PAD src0_sel:WORD_1
	v_cvt_f32_f16_e32 v16, v7
	;; [unrolled: 2-line block ×4, first 2 shown]
.LBB379_6:
	s_or_b64 exec, exec, s[2:3]
	s_cbranch_execz .LBB379_8
	s_branch .LBB379_11
.LBB379_7:
                                        ; implicit-def: $vgpr11
                                        ; implicit-def: $vgpr13
                                        ; implicit-def: $vgpr17
                                        ; implicit-def: $vgpr15
.LBB379_8:
	v_mov_b32_e32 v11, 0
	v_mov_b32_e32 v10, 0
	;; [unrolled: 1-line block ×8, first 2 shown]
	s_and_saveexec_b64 s[2:3], s[0:1]
	s_cbranch_execz .LBB379_10
; %bb.9:
	s_waitcnt lgkmcnt(0)
	s_load_dwordx2 s[18:19], s[4:5], 0x38
	s_mul_hi_i32 s35, s27, s6
	s_mul_i32 s34, s27, s6
	s_lshl_b64 s[34:35], s[34:35], 1
	s_mov_b32 s39, 0x20000
	s_waitcnt lgkmcnt(0)
	s_add_u32 s36, s18, s34
	s_addc_u32 s18, s19, s35
	s_and_b32 s37, s18, 0xffff
	v_lshlrev_b32_e32 v24, 4, v0
	buffer_load_dwordx4 v[10:13], v24, s[36:39], 0 offen glc slc
	s_waitcnt vmcnt(2)
	v_cvt_f32_f16_sdwa v15, v6 dst_sel:DWORD dst_unused:UNUSED_PAD src0_sel:WORD_1
	v_cvt_f32_f16_e32 v14, v6
	v_cvt_f32_f16_sdwa v17, v7 dst_sel:DWORD dst_unused:UNUSED_PAD src0_sel:WORD_1
	v_cvt_f32_f16_e32 v16, v7
	;; [unrolled: 2-line block ×4, first 2 shown]
	s_load_dwordx2 s[18:19], s[4:5], 0x20
	s_mul_hi_i32 s35, s17, s6
	s_mul_i32 s34, s17, s6
	s_lshl_b64 s[34:35], s[34:35], 1
	s_waitcnt lgkmcnt(0)
	s_add_u32 s36, s18, s34
	s_addc_u32 s17, s19, s35
	s_and_b32 s37, s17, 0xffff
	s_waitcnt vmcnt(0)
	v_cvt_f32_f16_e32 v8, v10
	v_cvt_f32_f16_sdwa v9, v10 dst_sel:DWORD dst_unused:UNUSED_PAD src0_sel:WORD_1
	v_cvt_f32_f16_e32 v10, v11
	v_cvt_f32_f16_sdwa v11, v11 dst_sel:DWORD dst_unused:UNUSED_PAD src0_sel:WORD_1
	;; [unrolled: 2-line block ×4, first 2 shown]
	v_pk_add_f32 v[14:15], v[14:15], v[8:9]
	v_pk_add_f32 v[16:17], v[16:17], v[10:11]
	;; [unrolled: 1-line block ×4, first 2 shown]
	v_cvt_f16_f32_e32 v6, v15
	v_cvt_f16_f32_e32 v7, v17
	;; [unrolled: 1-line block ×8, first 2 shown]
	v_pack_b32_f16 v9, v18, v9
	v_pack_b32_f16 v8, v19, v8
	;; [unrolled: 1-line block ×4, first 2 shown]
	buffer_store_dwordx4 v[6:9], v24, s[36:39], 0 offen glc slc
	;;#ASMSTART
	s_nop 0
	;;#ASMEND
.LBB379_10:
	s_or_b64 exec, exec, s[2:3]
.LBB379_11:
	s_waitcnt vmcnt(1)
	v_mul_f32_e32 v6, v15, v15
	v_fmac_f32_e32 v6, v14, v14
	v_fmac_f32_e32 v6, v16, v16
	;; [unrolled: 1-line block ×7, first 2 shown]
	v_and_b32_e32 v8, 63, v0
	v_cmp_eq_u32_e64 s[2:3], 63, v8
	v_mov_b32_dpp v7, v6 quad_perm:[1,0,3,2] row_mask:0xf bank_mask:0xf
	v_add_f32_e32 v6, v6, v7
	s_nop 1
	v_mov_b32_dpp v7, v6 quad_perm:[2,3,0,1] row_mask:0xf bank_mask:0xf
	v_add_f32_e32 v6, v6, v7
	s_nop 1
	v_mov_b32_dpp v7, v6 row_half_mirror row_mask:0xf bank_mask:0xf
	v_add_f32_e32 v6, v6, v7
	s_nop 1
	v_mov_b32_dpp v7, v6 row_mirror row_mask:0xf bank_mask:0xf
	v_add_f32_e32 v6, v6, v7
	s_nop 1
	v_mov_b32_dpp v7, v6 row_bcast:15 row_mask:0xf bank_mask:0xf
	v_add_f32_e32 v6, v6, v7
	s_nop 1
	v_mov_b32_dpp v7, v6 row_bcast:31 row_mask:0xf bank_mask:0xf
	s_waitcnt lgkmcnt(0)
	s_and_saveexec_b64 s[18:19], s[2:3]
	s_cbranch_execz .LBB379_13
; %bb.12:
	v_add_f32_e32 v6, v6, v7
	v_lshrrev_b32_e32 v7, 4, v0
	v_and_b32_e32 v7, 60, v7
	ds_write_b32 v7, v6 offset:8
.LBB379_13:
	s_or_b64 exec, exec, s[18:19]
	v_and_b32_e32 v6, 1, v0
	v_lshlrev_b32_e32 v18, 2, v6
	s_waitcnt lgkmcnt(0)
	s_barrier
	ds_read_b32 v6, v18 offset:8
	s_load_dwordx2 s[18:19], s[4:5], 0x18
	s_waitcnt lgkmcnt(0)
	v_mov_b32_dpp v7, v6 quad_perm:[1,0,3,2] row_mask:0xf bank_mask:0xf
	s_and_saveexec_b64 s[34:35], s[0:1]
	s_cbranch_execnz .LBB379_18
; %bb.14:
	s_or_b64 exec, exec, s[34:35]
	s_mov_b64 s[8:9], -1
	s_and_b64 vcc, exec, s[30:31]
	s_cbranch_vccnz .LBB379_19
.LBB379_15:
	s_andn2_b64 vcc, exec, s[8:9]
	s_cbranch_vccz .LBB379_22
.LBB379_16:
	s_cmp_lt_i32 s24, 1
	s_cbranch_scc0 .LBB379_31
.LBB379_17:
	s_endpgm
.LBB379_18:
	v_cvt_f32_u32_e32 v8, s7
	v_add_f32_e32 v6, v6, v7
	v_mov_b32_e32 v19, s21
	v_mov_b32_e32 v20, s20
	v_div_scale_f32 v7, s[36:37], v8, v8, v6
	v_rcp_f32_e32 v9, v7
	v_cndmask_b32_e64 v19, v19, v20, s[8:9]
	s_mov_b32 s7, 0x800000
	v_fma_f32 v20, -v7, v9, 1.0
	v_fmac_f32_e32 v9, v20, v9
	v_div_scale_f32 v20, vcc, v6, v8, v6
	v_mul_f32_e32 v21, v20, v9
	v_fma_f32 v22, -v7, v21, v20
	v_fmac_f32_e32 v21, v22, v9
	v_fma_f32 v7, -v7, v21, v20
	v_div_fmas_f32 v7, v7, v9, v21
	v_div_fixup_f32 v6, v7, v8, v6
	v_add_f32_e32 v6, v19, v6
	v_mul_f32_e32 v7, 0x4b800000, v6
	v_cmp_gt_f32_e32 vcc, s7, v6
	v_cndmask_b32_e32 v6, v6, v7, vcc
	v_rsq_f32_e32 v6, v6
	s_waitcnt vmcnt(0)
	v_cvt_f32_f16_sdwa v21, v3 dst_sel:DWORD dst_unused:UNUSED_PAD src0_sel:WORD_1
	v_cvt_f32_f16_e32 v20, v3
	v_mul_f32_e32 v7, 0x45800000, v6
	v_cndmask_b32_e32 v6, v6, v7, vcc
	v_mov_b32_e32 v7, v6
	;;#ASMSTART
	v_pk_mul_f32 v[8:9], v[14:15], v[6:7]
	;;#ASMEND
	v_cvt_f32_f16_sdwa v15, v2 dst_sel:DWORD dst_unused:UNUSED_PAD src0_sel:WORD_1
	v_cvt_f32_f16_e32 v14, v2
	;;#ASMSTART
	v_pk_mul_f32 v[16:17], v[16:17], v[6:7]
	;;#ASMEND
	;;#ASMSTART
	v_pk_mul_f32 v[12:13], v[12:13], v[6:7]
	;;#ASMEND
	;; [unrolled: 3-line block ×3, first 2 shown]
	v_pk_add_f32 v[6:7], v[14:15], 1.0 op_sel_hi:[1,0]
	;;#ASMSTART
	v_pk_mul_f32 v[14:15], v[8:9], v[6:7]
	;;#ASMEND
	v_cvt_f32_f16_sdwa v9, v4 dst_sel:DWORD dst_unused:UNUSED_PAD src0_sel:WORD_1
	v_cvt_f32_f16_e32 v8, v4
	v_cvt_f32_f16_sdwa v11, v5 dst_sel:DWORD dst_unused:UNUSED_PAD src0_sel:WORD_1
	v_cvt_f32_f16_e32 v10, v5
	v_pk_add_f32 v[6:7], v[20:21], 1.0 op_sel_hi:[1,0]
	v_pk_add_f32 v[4:5], v[8:9], 1.0 op_sel_hi:[1,0]
	;;#ASMSTART
	v_pk_mul_f32 v[16:17], v[16:17], v[6:7]
	;;#ASMEND
	;;#ASMSTART
	v_pk_mul_f32 v[12:13], v[12:13], v[4:5]
	;;#ASMEND
	v_pk_add_f32 v[4:5], v[10:11], 1.0 op_sel_hi:[1,0]
	;;#ASMSTART
	v_pk_mul_f32 v[10:11], v[2:3], v[4:5]
	;;#ASMEND
	s_or_b64 exec, exec, s[34:35]
	s_mov_b64 s[8:9], -1
	s_and_b64 vcc, exec, s[30:31]
	s_cbranch_vccz .LBB379_15
.LBB379_19:
	s_and_saveexec_b64 s[8:9], s[0:1]
	s_cbranch_execz .LBB379_21
; %bb.20:
	s_mul_hi_i32 s31, s16, s6
	s_mul_i32 s30, s16, s6
	s_waitcnt vmcnt(0)
	v_cvt_f16_f32_e32 v2, v14
	v_cvt_f16_f32_e32 v3, v16
	;; [unrolled: 1-line block ×8, first 2 shown]
	s_lshl_b64 s[30:31], s[30:31], 1
	s_add_u32 s36, s18, s30
	s_addc_u32 s7, s19, s31
	s_and_b32 s37, s7, 0xffff
	s_mov_b32 s39, 0x20000
	v_pack_b32_f16 v5, v5, v6
	v_pack_b32_f16 v4, v4, v7
	;; [unrolled: 1-line block ×4, first 2 shown]
	v_lshlrev_b32_e32 v6, 4, v0
	buffer_store_dwordx4 v[2:5], v6, s[36:39], 0 offen
	;;#ASMSTART
	s_nop 0
	;;#ASMEND
.LBB379_21:
	s_or_b64 exec, exec, s[8:9]
	s_cbranch_execnz .LBB379_16
.LBB379_22:
	s_waitcnt vmcnt(0)
	v_mov_b32_e32 v2, 0
	s_and_saveexec_b64 s[8:9], s[0:1]
	s_cbranch_execz .LBB379_24
; %bb.23:
	s_load_dwordx2 s[30:31], s[4:5], 0x10
	s_mul_hi_i32 s35, s15, s6
	s_mul_i32 s34, s15, s6
	v_cvt_f16_f32_e32 v2, v14
	v_cvt_f16_f32_e32 v3, v16
	v_cvt_f16_f32_e32 v4, v12
	v_cvt_f16_f32_e32 v5, v10
	v_cvt_f16_f32_e32 v6, v11
	v_cvt_f16_f32_e32 v7, v13
	v_cvt_f16_f32_e32 v8, v17
	v_cvt_f16_f32_e32 v9, v15
	s_lshl_b64 s[34:35], s[34:35], 1
	s_waitcnt lgkmcnt(0)
	s_add_u32 s36, s30, s34
	s_addc_u32 s7, s31, s35
	s_mov_b32 s39, 0x20000
	s_and_b32 s37, s7, 0xffff
	v_pack_b32_f16 v5, v5, v6
	v_pack_b32_f16 v4, v4, v7
	;; [unrolled: 1-line block ×4, first 2 shown]
	v_lshlrev_b32_e32 v6, 4, v0
	buffer_store_dwordx4 v[2:5], v6, s[36:39], 0 offen
	;;#ASMSTART
	s_nop 0
	;;#ASMEND
	s_nop 0
	v_mov_b32_e32 v2, 0x2edbe6ff
.LBB379_24:
	s_or_b64 exec, exec, s[8:9]
	s_and_saveexec_b64 s[8:9], s[0:1]
	s_cbranch_execz .LBB379_26
; %bb.25:
	v_and_b32_e32 v3, 0x7fffffff, v14
	v_and_b32_e32 v4, 0x7fffffff, v15
	;;#ASMSTART
	v_max3_f32 v2, v2, v3, v4

	;;#ASMEND
	v_and_b32_e32 v3, 0x7fffffff, v16
	v_and_b32_e32 v4, 0x7fffffff, v17
	;;#ASMSTART
	v_max3_f32 v2, v2, v3, v4

	;;#ASMEND
	;; [unrolled: 6-line block ×4, first 2 shown]
.LBB379_26:
	s_or_b64 exec, exec, s[8:9]
	;;#ASMSTART
	v_max_f32 v3, v2, v2 quad_perm:[1,0,3,2] row_mask:0xf bank_mask:0xf bound_ctrl:1
	;;#ASMEND
	;;#ASMSTART
	v_max_f32 v4, v3, v3 quad_perm:[2,3,0,1] row_mask:0xf bank_mask:0xf bound_ctrl:1
	;;#ASMEND
	v_and_b32_e32 v3, 7, v0
	v_cmp_eq_u32_e32 vcc, 0, v3
	v_cmp_gt_i32_e64 s[8:9], s23, v1
	s_and_b64 s[30:31], vcc, s[8:9]
	;;#ASMSTART
	v_max_f32 v2, v4, v4 row_half_mirror row_mask:0xf bank_mask:0xf bound_ctrl:1
	;;#ASMEND
	s_and_saveexec_b64 s[8:9], s[30:31]
	s_cbranch_execz .LBB379_28
; %bb.27:
	s_load_dwordx2 s[30:31], s[4:5], 0x8
	v_mul_f32_e32 v2, 0x3e2aaaab, v2
	v_lshrrev_b32_e32 v3, 23, v2
	v_and_b32_e32 v4, 0x7f800000, v2
	v_and_b32_e32 v2, 0x7fffff, v2
	v_cmp_ne_u32_e32 vcc, 0, v2
	s_mul_hi_i32 s15, s13, s6
	s_mul_i32 s13, s13, s6
	s_mov_b32 s7, 0x7f800000
	v_addc_co_u32_e32 v2, vcc, 0, v3, vcc
	s_waitcnt lgkmcnt(0)
	s_add_u32 s30, s30, s13
	v_cmp_ne_u32_e32 vcc, s7, v4
	s_addc_u32 s31, s31, s15
	v_lshrrev_b32_e32 v5, 3, v0
	v_cndmask_b32_e32 v4, -1, v2, vcc
	v_pk_mov_b32 v[2:3], s[30:31], s[30:31] op_sel:[0,1]
	v_mad_i64_i32 v[2:3], s[14:15], s14, v5, v[2:3]
	global_store_byte v[2:3], v4, off
.LBB379_28:
	s_or_b64 exec, exec, s[8:9]
	s_and_saveexec_b64 s[8:9], s[0:1]
	s_cbranch_execz .LBB379_30
; %bb.29:
	s_load_dwordx2 s[0:1], s[4:5], 0x0
	s_mul_hi_i32 s7, s12, s6
	s_mul_i32 s12, s12, s6
	v_lshlrev_b32_e32 v2, 2, v0
	s_mov_b32 s15, 0x20000
	s_waitcnt lgkmcnt(0)
	s_add_u32 s12, s0, s12
	s_addc_u32 s0, s1, s7
	s_lshr_b32 s1, s23, 31
	s_add_i32 s1, s23, s1
	s_ashr_i32 s1, s1, 1
	s_add_i32 s1, s1, 3
	s_ashr_i32 s7, s1, 31
	s_lshr_b32 s7, s7, 30
	s_add_i32 s1, s1, s7
	s_and_b32 s14, s1, -4
	s_and_b32 s13, s0, 0xffff
	v_mov_b32_e32 v3, 0
	buffer_store_dword v3, v2, s[12:15], 0 offen
	;;#ASMSTART
	s_nop 0
	;;#ASMEND
.LBB379_30:
	s_or_b64 exec, exec, s[8:9]
	s_cmp_lt_i32 s24, 1
	s_cbranch_scc1 .LBB379_17
.LBB379_31:
	s_load_dword s0, s[4:5], 0x94
	s_waitcnt lgkmcnt(0)
	s_cmp_lg_u32 s0, 1
	s_cbranch_scc1 .LBB379_17
; %bb.32:
	s_lshl_b32 s0, s24, 1
	s_add_i32 s0, s0, 2
	v_cmp_gt_u32_e32 vcc, s24, v1
	s_and_b32 s30, s0, -4
	v_mov_b32_e32 v10, 0
	v_lshlrev_b32_e32 v1, 4, v0
	v_mov_b32_e32 v6, 0
	v_mov_b32_e32 v7, 0
	;; [unrolled: 1-line block ×4, first 2 shown]
	s_waitcnt vmcnt(0)
	v_mov_b32_e32 v2, 0
	v_mov_b32_e32 v3, 0
	;; [unrolled: 1-line block ×4, first 2 shown]
	s_barrier
	s_and_saveexec_b64 s[0:1], vcc
	s_cbranch_execz .LBB379_34
; %bb.33:
	s_mul_hi_i32 s5, s26, s6
	s_mul_i32 s4, s26, s6
	s_and_b32 s29, s29, 0xffff
	s_lshl_b64 s[4:5], s[4:5], 1
	s_add_u32 s8, s10, s4
	s_mov_b32 s31, 0x20000
	s_addc_u32 s4, s11, s5
	s_and_b32 s9, s4, 0xffff
	s_mov_b32 s10, s30
	s_mov_b32 s11, s31
	buffer_load_dwordx4 v[6:9], v1, s[8:11], 0 offen glc slc
	buffer_load_dwordx4 v[2:5], v1, s[28:31], 0 offen
.LBB379_34:
	s_or_b64 exec, exec, s[0:1]
	v_mov_b32_e32 v11, 0
	v_mov_b32_e32 v16, 0
	v_mov_b32_e32 v17, 0
	v_mov_b32_e32 v14, 0
	v_mov_b32_e32 v15, 0
	v_mov_b32_e32 v12, 0
	v_mov_b32_e32 v13, 0
	s_and_saveexec_b64 s[0:1], vcc
	s_cbranch_execz .LBB379_36
; %bb.35:
	s_waitcnt vmcnt(1)
	v_cvt_f32_f16_sdwa v11, v6 dst_sel:DWORD dst_unused:UNUSED_PAD src0_sel:WORD_1
	v_cvt_f32_f16_e32 v10, v6
	v_cvt_f32_f16_sdwa v17, v7 dst_sel:DWORD dst_unused:UNUSED_PAD src0_sel:WORD_1
	v_cvt_f32_f16_e32 v16, v7
	;; [unrolled: 2-line block ×4, first 2 shown]
.LBB379_36:
	s_or_b64 exec, exec, s[0:1]
	s_waitcnt vmcnt(1)
	v_mul_f32_e32 v6, v11, v11
	v_fmac_f32_e32 v6, v10, v10
	v_fmac_f32_e32 v6, v16, v16
	;; [unrolled: 1-line block ×7, first 2 shown]
	s_nop 1
	v_mov_b32_dpp v7, v6 quad_perm:[1,0,3,2] row_mask:0xf bank_mask:0xf
	v_add_f32_e32 v6, v6, v7
	s_nop 1
	v_mov_b32_dpp v7, v6 quad_perm:[2,3,0,1] row_mask:0xf bank_mask:0xf
	v_add_f32_e32 v6, v6, v7
	s_nop 1
	v_mov_b32_dpp v7, v6 row_half_mirror row_mask:0xf bank_mask:0xf
	v_add_f32_e32 v6, v6, v7
	s_nop 1
	v_mov_b32_dpp v7, v6 row_mirror row_mask:0xf bank_mask:0xf
	v_add_f32_e32 v6, v6, v7
	s_nop 1
	v_mov_b32_dpp v7, v6 row_bcast:15 row_mask:0xf bank_mask:0xf
	v_add_f32_e32 v6, v6, v7
	s_nop 1
	v_mov_b32_dpp v7, v6 row_bcast:31 row_mask:0xf bank_mask:0xf
	s_and_saveexec_b64 s[0:1], s[2:3]
	s_cbranch_execz .LBB379_38
; %bb.37:
	v_lshrrev_b32_e32 v0, 4, v0
	v_add_f32_e32 v6, v6, v7
	v_and_b32_e32 v0, 60, v0
	ds_write_b32 v0, v6
.LBB379_38:
	s_or_b64 exec, exec, s[0:1]
	s_waitcnt lgkmcnt(0)
	s_barrier
	ds_read_b32 v0, v18
	s_waitcnt lgkmcnt(0)
	s_nop 0
	v_mov_b32_dpp v6, v0 quad_perm:[1,0,3,2] row_mask:0xf bank_mask:0xf
	s_and_saveexec_b64 s[0:1], vcc
	s_cbranch_execz .LBB379_17
; %bb.39:
	v_cvt_f32_u32_e32 v7, s24
	v_add_f32_e32 v0, v0, v6
	s_mov_b32 s31, 0x20000
	v_div_scale_f32 v6, s[0:1], v7, v7, v0
	v_rcp_f32_e32 v8, v6
	v_div_scale_f32 v9, vcc, v0, v7, v0
	s_mov_b32 s0, 0x800000
	v_fma_f32 v18, -v6, v8, 1.0
	v_fmac_f32_e32 v8, v18, v8
	v_mul_f32_e32 v18, v9, v8
	v_fma_f32 v19, -v6, v18, v9
	v_fmac_f32_e32 v18, v19, v8
	v_fma_f32 v6, -v6, v18, v9
	v_div_fmas_f32 v6, v6, v8, v18
	v_div_fixup_f32 v0, v6, v7, v0
	v_add_f32_e32 v0, s21, v0
	v_mul_f32_e32 v6, 0x4b800000, v0
	v_cmp_gt_f32_e32 vcc, s0, v0
	v_cndmask_b32_e32 v0, v0, v6, vcc
	v_rsq_f32_e32 v0, v0
	s_waitcnt vmcnt(0)
	v_cvt_f32_f16_sdwa v19, v3 dst_sel:DWORD dst_unused:UNUSED_PAD src0_sel:WORD_1
	v_cvt_f32_f16_e32 v18, v3
	s_mul_hi_i32 s1, s16, s6
	v_mul_f32_e32 v6, 0x45800000, v0
	v_cndmask_b32_e32 v6, v0, v6, vcc
	v_mov_b32_e32 v7, v6
	;;#ASMSTART
	v_pk_mul_f32 v[8:9], v[10:11], v[6:7]
	;;#ASMEND
	;;#ASMSTART
	v_pk_mul_f32 v[10:11], v[16:17], v[6:7]
	;;#ASMEND
	v_cvt_f32_f16_sdwa v17, v2 dst_sel:DWORD dst_unused:UNUSED_PAD src0_sel:WORD_1
	v_cvt_f32_f16_e32 v16, v2
	;;#ASMSTART
	v_pk_mul_f32 v[14:15], v[14:15], v[6:7]
	;;#ASMEND
	;;#ASMSTART
	v_pk_mul_f32 v[2:3], v[12:13], v[6:7]
	;;#ASMEND
	v_cvt_f32_f16_sdwa v13, v4 dst_sel:DWORD dst_unused:UNUSED_PAD src0_sel:WORD_1
	v_cvt_f32_f16_e32 v12, v4
	v_pk_add_f32 v[6:7], v[16:17], 1.0 op_sel_hi:[1,0]
	v_cvt_f32_f16_sdwa v17, v5 dst_sel:DWORD dst_unused:UNUSED_PAD src0_sel:WORD_1
	v_cvt_f32_f16_e32 v16, v5
	;;#ASMSTART
	v_pk_mul_f32 v[6:7], v[8:9], v[6:7]
	;;#ASMEND
	v_pk_add_f32 v[8:9], v[18:19], 1.0 op_sel_hi:[1,0]
	;;#ASMSTART
	v_pk_mul_f32 v[4:5], v[10:11], v[8:9]
	;;#ASMEND
	v_pk_add_f32 v[8:9], v[12:13], 1.0 op_sel_hi:[1,0]
	;; [unrolled: 4-line block ×3, first 2 shown]
	;;#ASMSTART
	v_pk_mul_f32 v[2:3], v[2:3], v[10:11]
	;;#ASMEND
	s_mul_i32 s0, s16, s6
	v_cvt_f16_f32_e32 v0, v6
	v_cvt_f16_f32_e32 v6, v7
	;; [unrolled: 1-line block ×8, first 2 shown]
	s_lshl_b64 s[0:1], s[0:1], 1
	s_add_u32 s28, s18, s0
	s_addc_u32 s0, s19, s1
	s_and_b32 s29, s0, 0xffff
	v_pack_b32_f16 v2, v0, v6
	v_pack_b32_f16 v3, v4, v5
	;; [unrolled: 1-line block ×4, first 2 shown]
	buffer_store_dwordx4 v[2:5], v1, s[28:31], 0 offen
	;;#ASMSTART
	s_nop 0
	;;#ASMEND
	s_endpgm
	.section	.rodata,"a",@progbits
	.p2align	6, 0x0
	.amdhsa_kernel _ZN5aiter35fused_qk_rmsnorm_group_quant_kernelIDF16_N4opus5fp4_tELi128ELi8ELi8ELb1ELb1ELb1ELb0ELb0ELb0EEEvPT0_PvPT_S7_S7_PKS6_S9_S9_S9_S9_ffiiiiiiiiiiiii
		.amdhsa_group_segment_fixed_size 16
		.amdhsa_private_segment_fixed_size 0
		.amdhsa_kernarg_size 400
		.amdhsa_user_sgpr_count 6
		.amdhsa_user_sgpr_private_segment_buffer 1
		.amdhsa_user_sgpr_dispatch_ptr 0
		.amdhsa_user_sgpr_queue_ptr 0
		.amdhsa_user_sgpr_kernarg_segment_ptr 1
		.amdhsa_user_sgpr_dispatch_id 0
		.amdhsa_user_sgpr_flat_scratch_init 0
		.amdhsa_user_sgpr_kernarg_preload_length 0
		.amdhsa_user_sgpr_kernarg_preload_offset 0
		.amdhsa_user_sgpr_private_segment_size 0
		.amdhsa_uses_dynamic_stack 0
		.amdhsa_system_sgpr_private_segment_wavefront_offset 0
		.amdhsa_system_sgpr_workgroup_id_x 1
		.amdhsa_system_sgpr_workgroup_id_y 1
		.amdhsa_system_sgpr_workgroup_id_z 0
		.amdhsa_system_sgpr_workgroup_info 0
		.amdhsa_system_vgpr_workitem_id 0
		.amdhsa_next_free_vgpr 25
		.amdhsa_next_free_sgpr 44
		.amdhsa_accum_offset 28
		.amdhsa_reserve_vcc 1
		.amdhsa_reserve_flat_scratch 0
		.amdhsa_float_round_mode_32 0
		.amdhsa_float_round_mode_16_64 0
		.amdhsa_float_denorm_mode_32 3
		.amdhsa_float_denorm_mode_16_64 3
		.amdhsa_dx10_clamp 1
		.amdhsa_ieee_mode 1
		.amdhsa_fp16_overflow 0
		.amdhsa_tg_split 0
		.amdhsa_exception_fp_ieee_invalid_op 0
		.amdhsa_exception_fp_denorm_src 0
		.amdhsa_exception_fp_ieee_div_zero 0
		.amdhsa_exception_fp_ieee_overflow 0
		.amdhsa_exception_fp_ieee_underflow 0
		.amdhsa_exception_fp_ieee_inexact 0
		.amdhsa_exception_int_div_zero 0
	.end_amdhsa_kernel
	.section	.text._ZN5aiter35fused_qk_rmsnorm_group_quant_kernelIDF16_N4opus5fp4_tELi128ELi8ELi8ELb1ELb1ELb1ELb0ELb0ELb0EEEvPT0_PvPT_S7_S7_PKS6_S9_S9_S9_S9_ffiiiiiiiiiiiii,"axG",@progbits,_ZN5aiter35fused_qk_rmsnorm_group_quant_kernelIDF16_N4opus5fp4_tELi128ELi8ELi8ELb1ELb1ELb1ELb0ELb0ELb0EEEvPT0_PvPT_S7_S7_PKS6_S9_S9_S9_S9_ffiiiiiiiiiiiii,comdat
.Lfunc_end379:
	.size	_ZN5aiter35fused_qk_rmsnorm_group_quant_kernelIDF16_N4opus5fp4_tELi128ELi8ELi8ELb1ELb1ELb1ELb0ELb0ELb0EEEvPT0_PvPT_S7_S7_PKS6_S9_S9_S9_S9_ffiiiiiiiiiiiii, .Lfunc_end379-_ZN5aiter35fused_qk_rmsnorm_group_quant_kernelIDF16_N4opus5fp4_tELi128ELi8ELi8ELb1ELb1ELb1ELb0ELb0ELb0EEEvPT0_PvPT_S7_S7_PKS6_S9_S9_S9_S9_ffiiiiiiiiiiiii
                                        ; -- End function
	.section	.AMDGPU.csdata,"",@progbits
; Kernel info:
; codeLenInByte = 2860
; NumSgprs: 48
; NumVgprs: 25
; NumAgprs: 0
; TotalNumVgprs: 25
; ScratchSize: 0
; MemoryBound: 0
; FloatMode: 240
; IeeeMode: 1
; LDSByteSize: 16 bytes/workgroup (compile time only)
; SGPRBlocks: 5
; VGPRBlocks: 3
; NumSGPRsForWavesPerEU: 48
; NumVGPRsForWavesPerEU: 25
; AccumOffset: 28
; Occupancy: 8
; WaveLimiterHint : 0
; COMPUTE_PGM_RSRC2:SCRATCH_EN: 0
; COMPUTE_PGM_RSRC2:USER_SGPR: 6
; COMPUTE_PGM_RSRC2:TRAP_HANDLER: 0
; COMPUTE_PGM_RSRC2:TGID_X_EN: 1
; COMPUTE_PGM_RSRC2:TGID_Y_EN: 1
; COMPUTE_PGM_RSRC2:TGID_Z_EN: 0
; COMPUTE_PGM_RSRC2:TIDIG_COMP_CNT: 0
; COMPUTE_PGM_RSRC3_GFX90A:ACCUM_OFFSET: 6
; COMPUTE_PGM_RSRC3_GFX90A:TG_SPLIT: 0
	.section	.text._ZN5aiter35fused_qk_rmsnorm_group_quant_kernelItN4opus5fp4_tELi128ELi8ELi8ELb1ELb1ELb1ELb0ELb0ELb0EEEvPT0_PvPT_S7_S7_PKS6_S9_S9_S9_S9_ffiiiiiiiiiiiii,"axG",@progbits,_ZN5aiter35fused_qk_rmsnorm_group_quant_kernelItN4opus5fp4_tELi128ELi8ELi8ELb1ELb1ELb1ELb0ELb0ELb0EEEvPT0_PvPT_S7_S7_PKS6_S9_S9_S9_S9_ffiiiiiiiiiiiii,comdat
	.protected	_ZN5aiter35fused_qk_rmsnorm_group_quant_kernelItN4opus5fp4_tELi128ELi8ELi8ELb1ELb1ELb1ELb0ELb0ELb0EEEvPT0_PvPT_S7_S7_PKS6_S9_S9_S9_S9_ffiiiiiiiiiiiii ; -- Begin function _ZN5aiter35fused_qk_rmsnorm_group_quant_kernelItN4opus5fp4_tELi128ELi8ELi8ELb1ELb1ELb1ELb0ELb0ELb0EEEvPT0_PvPT_S7_S7_PKS6_S9_S9_S9_S9_ffiiiiiiiiiiiii
	.globl	_ZN5aiter35fused_qk_rmsnorm_group_quant_kernelItN4opus5fp4_tELi128ELi8ELi8ELb1ELb1ELb1ELb0ELb0ELb0EEEvPT0_PvPT_S7_S7_PKS6_S9_S9_S9_S9_ffiiiiiiiiiiiii
	.p2align	8
	.type	_ZN5aiter35fused_qk_rmsnorm_group_quant_kernelItN4opus5fp4_tELi128ELi8ELi8ELb1ELb1ELb1ELb0ELb0ELb0EEEvPT0_PvPT_S7_S7_PKS6_S9_S9_S9_S9_ffiiiiiiiiiiiii,@function
_ZN5aiter35fused_qk_rmsnorm_group_quant_kernelItN4opus5fp4_tELi128ELi8ELi8ELb1ELb1ELb1ELb0ELb0ELb0EEEvPT0_PvPT_S7_S7_PKS6_S9_S9_S9_S9_ffiiiiiiiiiiiii: ; @_ZN5aiter35fused_qk_rmsnorm_group_quant_kernelItN4opus5fp4_tELi128ELi8ELi8ELb1ELb1ELb1ELb0ELb0ELb0EEEvPT0_PvPT_S7_S7_PKS6_S9_S9_S9_S9_ffiiiiiiiiiiiii
; %bb.0:
	s_load_dwordx8 s[20:27], s[4:5], 0x50
	s_waitcnt lgkmcnt(0)
	s_cmp_ge_i32 s6, s22
	s_cbranch_scc1 .LBB380_17
; %bb.1:
	s_cmp_lg_u32 s7, 0
	s_cselect_b64 s[30:31], -1, 0
	s_cmp_eq_u32 s7, 0
	s_cselect_b64 s[8:9], -1, 0
	s_and_b64 s[0:1], s[8:9], exec
	s_load_dwordx2 s[28:29], s[4:5], 0x48
	s_load_dwordx2 s[10:11], s[4:5], 0x30
	s_load_dwordx8 s[12:19], s[4:5], 0x70
	s_cselect_b32 s7, s23, s24
	s_add_i32 s0, s7, 1
	s_lshr_b32 s1, s0, 31
	s_add_i32 s0, s0, s1
	s_lshl_b32 s0, s0, 1
	v_lshlrev_b32_e32 v1, 3, v0
	s_and_b32 s38, s0, -4
	v_cmp_gt_i32_e64 s[0:1], s7, v1
	v_mov_b32_e32 v10, 0
	v_mov_b32_e32 v11, 0
	;; [unrolled: 1-line block ×8, first 2 shown]
	s_and_saveexec_b64 s[2:3], s[0:1]
	s_cbranch_execz .LBB380_3
; %bb.2:
	s_waitcnt lgkmcnt(0)
	s_load_dwordx2 s[18:19], s[4:5], 0x28
	s_load_dwordx2 s[34:35], s[4:5], 0x40
	s_and_b64 s[36:37], s[8:9], exec
	s_cselect_b32 s22, s25, s26
	s_mov_b32 s39, 0x20000
	s_waitcnt lgkmcnt(0)
	s_cselect_b32 s25, s19, s11
	s_cselect_b32 s33, s18, s10
	s_mul_hi_i32 s19, s22, s6
	s_mul_i32 s18, s22, s6
	s_lshl_b64 s[18:19], s[18:19], 1
	s_add_u32 s40, s33, s18
	s_addc_u32 s22, s25, s19
	s_and_b64 s[18:19], s[8:9], exec
	s_cselect_b32 s36, s34, s28
	s_cselect_b32 s18, s35, s29
	v_lshlrev_b32_e32 v2, 4, v0
	s_and_b32 s41, s22, 0xffff
	s_mov_b32 s42, s38
	s_mov_b32 s43, s39
	s_and_b32 s37, s18, 0xffff
	buffer_load_dwordx4 v[14:17], v2, s[40:43], 0 offen glc slc
	buffer_load_dwordx4 v[10:13], v2, s[36:39], 0 offen
.LBB380_3:
	s_or_b64 exec, exec, s[2:3]
	s_and_b64 vcc, exec, s[30:31]
	s_cbranch_vccz .LBB380_7
; %bb.4:
	s_mov_b32 s40, 0
	s_mov_b32 s41, s40
	;; [unrolled: 1-line block ×8, first 2 shown]
	v_pk_mov_b32 v[2:3], s[40:41], s[40:41] op_sel:[0,1]
	v_pk_mov_b32 v[4:5], s[42:43], s[42:43] op_sel:[0,1]
	;; [unrolled: 1-line block ×4, first 2 shown]
	s_and_saveexec_b64 s[2:3], s[0:1]
	s_cbranch_execz .LBB380_6
; %bb.5:
	s_waitcnt vmcnt(1)
	v_cvt_f32_u32_sdwa v3, v14 dst_sel:DWORD dst_unused:UNUSED_PAD src0_sel:WORD_1
	v_cvt_f32_u32_sdwa v2, v14 dst_sel:DWORD dst_unused:UNUSED_PAD src0_sel:WORD_0
	v_cvt_f32_u32_sdwa v5, v15 dst_sel:DWORD dst_unused:UNUSED_PAD src0_sel:WORD_1
	v_cvt_f32_u32_sdwa v4, v15 dst_sel:DWORD dst_unused:UNUSED_PAD src0_sel:WORD_0
	;; [unrolled: 2-line block ×4, first 2 shown]
.LBB380_6:
	s_or_b64 exec, exec, s[2:3]
	s_cbranch_execz .LBB380_8
	s_branch .LBB380_11
.LBB380_7:
                                        ; implicit-def: $vgpr2_vgpr3_vgpr4_vgpr5_vgpr6_vgpr7_vgpr8_vgpr9
.LBB380_8:
	s_mov_b32 s40, 0
	s_mov_b32 s41, s40
	;; [unrolled: 1-line block ×8, first 2 shown]
	v_pk_mov_b32 v[2:3], s[40:41], s[40:41] op_sel:[0,1]
	v_pk_mov_b32 v[4:5], s[42:43], s[42:43] op_sel:[0,1]
	v_pk_mov_b32 v[6:7], s[44:45], s[44:45] op_sel:[0,1]
	v_pk_mov_b32 v[8:9], s[46:47], s[46:47] op_sel:[0,1]
	s_and_saveexec_b64 s[2:3], s[0:1]
	s_cbranch_execz .LBB380_10
; %bb.9:
	s_waitcnt lgkmcnt(0)
	s_load_dwordx2 s[18:19], s[4:5], 0x38
	s_mul_hi_i32 s35, s27, s6
	s_mul_i32 s34, s27, s6
	s_lshl_b64 s[34:35], s[34:35], 1
	s_mov_b32 s39, 0x20000
	s_waitcnt lgkmcnt(0)
	s_add_u32 s36, s18, s34
	s_addc_u32 s18, s19, s35
	s_and_b32 s37, s18, 0xffff
	v_lshlrev_b32_e32 v26, 4, v0
	buffer_load_dwordx4 v[2:5], v26, s[36:39], 0 offen glc slc
	s_load_dwordx2 s[18:19], s[4:5], 0x20
	s_waitcnt vmcnt(2)
	v_cvt_f32_u32_sdwa v7, v14 dst_sel:DWORD dst_unused:UNUSED_PAD src0_sel:WORD_1
	v_cvt_f32_u32_sdwa v6, v14 dst_sel:DWORD dst_unused:UNUSED_PAD src0_sel:WORD_0
	v_cvt_f32_u32_sdwa v9, v15 dst_sel:DWORD dst_unused:UNUSED_PAD src0_sel:WORD_1
	v_cvt_f32_u32_sdwa v8, v15 dst_sel:DWORD dst_unused:UNUSED_PAD src0_sel:WORD_0
	;; [unrolled: 2-line block ×4, first 2 shown]
	s_mul_hi_i32 s35, s17, s6
	s_mul_i32 s34, s17, s6
	s_lshl_b64 s[34:35], s[34:35], 1
	s_waitcnt lgkmcnt(0)
	s_add_u32 s36, s18, s34
	s_mov_b32 s17, 0x7060302
	s_addc_u32 s18, s19, s35
	s_and_b32 s37, s18, 0xffff
	s_waitcnt vmcnt(0)
	v_cvt_f32_u32_sdwa v17, v2 dst_sel:DWORD dst_unused:UNUSED_PAD src0_sel:WORD_1
	v_cvt_f32_u32_sdwa v16, v2 dst_sel:DWORD dst_unused:UNUSED_PAD src0_sel:WORD_0
	v_cvt_f32_u32_sdwa v21, v3 dst_sel:DWORD dst_unused:UNUSED_PAD src0_sel:WORD_1
	v_cvt_f32_u32_sdwa v20, v3 dst_sel:DWORD dst_unused:UNUSED_PAD src0_sel:WORD_0
	;; [unrolled: 2-line block ×4, first 2 shown]
	v_pk_add_f32 v[2:3], v[6:7], v[16:17]
	v_pk_add_f32 v[4:5], v[8:9], v[20:21]
	;; [unrolled: 1-line block ×4, first 2 shown]
	v_perm_b32 v17, v9, v8, s17
	v_perm_b32 v16, v7, v6, s17
	;; [unrolled: 1-line block ×4, first 2 shown]
	buffer_store_dwordx4 v[14:17], v26, s[36:39], 0 offen glc slc
	;;#ASMSTART
	s_nop 0
	;;#ASMEND
.LBB380_10:
	s_or_b64 exec, exec, s[2:3]
.LBB380_11:
	s_waitcnt vmcnt(1)
	v_mul_f32_e32 v14, v3, v3
	v_fmac_f32_e32 v14, v2, v2
	v_fmac_f32_e32 v14, v4, v4
	;; [unrolled: 1-line block ×7, first 2 shown]
	v_and_b32_e32 v16, 63, v0
	v_cmp_eq_u32_e64 s[2:3], 63, v16
	v_mov_b32_dpp v15, v14 quad_perm:[1,0,3,2] row_mask:0xf bank_mask:0xf
	v_add_f32_e32 v14, v14, v15
	s_nop 1
	v_mov_b32_dpp v15, v14 quad_perm:[2,3,0,1] row_mask:0xf bank_mask:0xf
	v_add_f32_e32 v14, v14, v15
	s_nop 1
	v_mov_b32_dpp v15, v14 row_half_mirror row_mask:0xf bank_mask:0xf
	v_add_f32_e32 v14, v14, v15
	s_nop 1
	v_mov_b32_dpp v15, v14 row_mirror row_mask:0xf bank_mask:0xf
	v_add_f32_e32 v14, v14, v15
	s_nop 1
	v_mov_b32_dpp v15, v14 row_bcast:15 row_mask:0xf bank_mask:0xf
	v_add_f32_e32 v14, v14, v15
	s_nop 1
	v_mov_b32_dpp v15, v14 row_bcast:31 row_mask:0xf bank_mask:0xf
	s_waitcnt lgkmcnt(0)
	s_and_saveexec_b64 s[18:19], s[2:3]
	s_cbranch_execz .LBB380_13
; %bb.12:
	v_add_f32_e32 v14, v14, v15
	v_lshrrev_b32_e32 v15, 4, v0
	v_and_b32_e32 v15, 60, v15
	ds_write_b32 v15, v14 offset:8
.LBB380_13:
	s_or_b64 exec, exec, s[18:19]
	v_and_b32_e32 v14, 1, v0
	v_lshlrev_b32_e32 v14, 2, v14
	s_waitcnt lgkmcnt(0)
	s_barrier
	ds_read_b32 v15, v14 offset:8
	s_load_dwordx2 s[18:19], s[4:5], 0x18
	s_waitcnt lgkmcnt(0)
	v_mov_b32_dpp v16, v15 quad_perm:[1,0,3,2] row_mask:0xf bank_mask:0xf
	s_and_saveexec_b64 s[34:35], s[0:1]
	s_cbranch_execnz .LBB380_18
; %bb.14:
	s_or_b64 exec, exec, s[34:35]
	s_mov_b64 s[8:9], -1
	s_and_b64 vcc, exec, s[30:31]
	s_cbranch_vccnz .LBB380_19
.LBB380_15:
	s_andn2_b64 vcc, exec, s[8:9]
	s_cbranch_vccz .LBB380_22
.LBB380_16:
	s_cmp_lt_i32 s24, 1
	s_cbranch_scc0 .LBB380_31
.LBB380_17:
	s_endpgm
.LBB380_18:
	v_cvt_f32_u32_e32 v17, s7
	v_add_f32_e32 v15, v15, v16
	v_mov_b32_e32 v19, s21
	v_mov_b32_e32 v20, s20
	v_div_scale_f32 v16, s[36:37], v17, v17, v15
	v_rcp_f32_e32 v18, v16
	v_cndmask_b32_e64 v19, v19, v20, s[8:9]
	s_mov_b32 s7, 0x800000
	v_fma_f32 v20, -v16, v18, 1.0
	v_fmac_f32_e32 v18, v20, v18
	v_div_scale_f32 v20, vcc, v15, v17, v15
	v_mul_f32_e32 v21, v20, v18
	v_fma_f32 v22, -v16, v21, v20
	v_fmac_f32_e32 v21, v22, v18
	v_fma_f32 v16, -v16, v21, v20
	v_div_fmas_f32 v16, v16, v18, v21
	v_div_fixup_f32 v15, v16, v17, v15
	v_add_f32_e32 v15, v19, v15
	v_mul_f32_e32 v16, 0x4b800000, v15
	v_cmp_gt_f32_e32 vcc, s7, v15
	v_cndmask_b32_e32 v15, v15, v16, vcc
	v_rsq_f32_e32 v15, v15
	s_waitcnt vmcnt(0)
	v_cvt_f32_u32_sdwa v19, v10 dst_sel:DWORD dst_unused:UNUSED_PAD src0_sel:WORD_1
	v_cvt_f32_u32_sdwa v18, v10 dst_sel:DWORD dst_unused:UNUSED_PAD src0_sel:WORD_0
	v_cvt_f32_u32_sdwa v21, v11 dst_sel:DWORD dst_unused:UNUSED_PAD src0_sel:WORD_1
	v_mul_f32_e32 v16, 0x45800000, v15
	v_cndmask_b32_e32 v16, v15, v16, vcc
	v_mov_b32_e32 v17, v16
	v_cvt_f32_u32_sdwa v20, v11 dst_sel:DWORD dst_unused:UNUSED_PAD src0_sel:WORD_0
	;;#ASMSTART
	v_pk_mul_f32 v[2:3], v[2:3], v[16:17]
	;;#ASMEND
	;;#ASMSTART
	v_pk_mul_f32 v[4:5], v[4:5], v[16:17]
	;;#ASMEND
	;; [unrolled: 3-line block ×4, first 2 shown]
	v_cvt_f32_u32_sdwa v17, v12 dst_sel:DWORD dst_unused:UNUSED_PAD src0_sel:WORD_1
	v_cvt_f32_u32_sdwa v16, v12 dst_sel:DWORD dst_unused:UNUSED_PAD src0_sel:WORD_0
	v_pk_add_f32 v[10:11], v[18:19], 1.0 op_sel_hi:[1,0]
	v_cvt_f32_u32_sdwa v19, v13 dst_sel:DWORD dst_unused:UNUSED_PAD src0_sel:WORD_1
	v_cvt_f32_u32_sdwa v18, v13 dst_sel:DWORD dst_unused:UNUSED_PAD src0_sel:WORD_0
	;;#ASMSTART
	v_pk_mul_f32 v[2:3], v[2:3], v[10:11]
	;;#ASMEND
	v_pk_add_f32 v[10:11], v[20:21], 1.0 op_sel_hi:[1,0]
	;;#ASMSTART
	v_pk_mul_f32 v[4:5], v[4:5], v[10:11]
	;;#ASMEND
	v_pk_add_f32 v[10:11], v[16:17], 1.0 op_sel_hi:[1,0]
	;; [unrolled: 4-line block ×3, first 2 shown]
	;;#ASMSTART
	v_pk_mul_f32 v[8:9], v[8:9], v[10:11]
	;;#ASMEND
	s_or_b64 exec, exec, s[34:35]
	s_mov_b64 s[8:9], -1
	s_and_b64 vcc, exec, s[30:31]
	s_cbranch_vccz .LBB380_15
.LBB380_19:
	s_and_saveexec_b64 s[8:9], s[0:1]
	s_cbranch_execz .LBB380_21
; %bb.20:
	s_mul_hi_i32 s31, s16, s6
	s_mul_i32 s30, s16, s6
	s_lshl_b64 s[30:31], s[30:31], 1
	s_add_u32 s36, s18, s30
	s_addc_u32 s7, s19, s31
	s_and_b32 s37, s7, 0xffff
	s_mov_b32 s7, 0x7060302
	s_mov_b32 s39, 0x20000
	s_waitcnt vmcnt(0)
	v_perm_b32 v10, v3, v2, s7
	v_perm_b32 v11, v5, v4, s7
	;; [unrolled: 1-line block ×4, first 2 shown]
	v_lshlrev_b32_e32 v15, 4, v0
	buffer_store_dwordx4 v[10:13], v15, s[36:39], 0 offen
	;;#ASMSTART
	s_nop 0
	;;#ASMEND
.LBB380_21:
	s_or_b64 exec, exec, s[8:9]
	s_cbranch_execnz .LBB380_16
.LBB380_22:
	s_waitcnt vmcnt(0)
	v_mov_b32_e32 v10, 0
	s_and_saveexec_b64 s[8:9], s[0:1]
	s_cbranch_execz .LBB380_24
; %bb.23:
	s_load_dwordx2 s[30:31], s[4:5], 0x10
	s_mul_hi_i32 s35, s15, s6
	s_mul_i32 s34, s15, s6
	s_lshl_b64 s[34:35], s[34:35], 1
	s_mov_b32 s39, 0x20000
	s_waitcnt lgkmcnt(0)
	s_add_u32 s36, s30, s34
	s_addc_u32 s7, s31, s35
	s_and_b32 s37, s7, 0xffff
	s_mov_b32 s7, 0x7060302
	v_perm_b32 v10, v3, v2, s7
	v_perm_b32 v11, v5, v4, s7
	;; [unrolled: 1-line block ×4, first 2 shown]
	v_lshlrev_b32_e32 v15, 4, v0
	buffer_store_dwordx4 v[10:13], v15, s[36:39], 0 offen
	;;#ASMSTART
	s_nop 0
	;;#ASMEND
	s_nop 0
	v_mov_b32_e32 v10, 0x2edbe6ff
.LBB380_24:
	s_or_b64 exec, exec, s[8:9]
	s_and_saveexec_b64 s[8:9], s[0:1]
	s_cbranch_execz .LBB380_26
; %bb.25:
	v_and_b32_e32 v2, 0x7fffffff, v2
	v_and_b32_e32 v3, 0x7fffffff, v3
	;;#ASMSTART
	v_max3_f32 v2, v10, v2, v3

	;;#ASMEND
	v_and_b32_e32 v3, 0x7fffffff, v4
	v_and_b32_e32 v4, 0x7fffffff, v5
	;;#ASMSTART
	v_max3_f32 v2, v2, v3, v4

	;;#ASMEND
	;; [unrolled: 6-line block ×4, first 2 shown]
.LBB380_26:
	s_or_b64 exec, exec, s[8:9]
	;;#ASMSTART
	v_max_f32 v2, v10, v10 quad_perm:[1,0,3,2] row_mask:0xf bank_mask:0xf bound_ctrl:1
	;;#ASMEND
	;;#ASMSTART
	v_max_f32 v3, v2, v2 quad_perm:[2,3,0,1] row_mask:0xf bank_mask:0xf bound_ctrl:1
	;;#ASMEND
	;;#ASMSTART
	v_max_f32 v2, v3, v3 row_half_mirror row_mask:0xf bank_mask:0xf bound_ctrl:1
	;;#ASMEND
	v_and_b32_e32 v3, 7, v0
	v_cmp_eq_u32_e32 vcc, 0, v3
	v_cmp_gt_i32_e64 s[8:9], s23, v1
	s_and_b64 s[30:31], vcc, s[8:9]
	s_and_saveexec_b64 s[8:9], s[30:31]
	s_cbranch_execz .LBB380_28
; %bb.27:
	s_load_dwordx2 s[30:31], s[4:5], 0x8
	v_mul_f32_e32 v2, 0x3e2aaaab, v2
	v_lshrrev_b32_e32 v3, 23, v2
	v_and_b32_e32 v4, 0x7f800000, v2
	v_and_b32_e32 v2, 0x7fffff, v2
	v_cmp_ne_u32_e32 vcc, 0, v2
	s_mul_hi_i32 s15, s13, s6
	s_mul_i32 s13, s13, s6
	s_mov_b32 s7, 0x7f800000
	v_addc_co_u32_e32 v2, vcc, 0, v3, vcc
	s_waitcnt lgkmcnt(0)
	s_add_u32 s30, s30, s13
	v_cmp_ne_u32_e32 vcc, s7, v4
	s_addc_u32 s31, s31, s15
	v_lshrrev_b32_e32 v5, 3, v0
	v_cndmask_b32_e32 v4, -1, v2, vcc
	v_pk_mov_b32 v[2:3], s[30:31], s[30:31] op_sel:[0,1]
	v_mad_i64_i32 v[2:3], s[14:15], s14, v5, v[2:3]
	global_store_byte v[2:3], v4, off
.LBB380_28:
	s_or_b64 exec, exec, s[8:9]
	s_and_saveexec_b64 s[8:9], s[0:1]
	s_cbranch_execz .LBB380_30
; %bb.29:
	s_load_dwordx2 s[0:1], s[4:5], 0x0
	s_mul_hi_i32 s7, s12, s6
	s_mul_i32 s12, s12, s6
	v_lshlrev_b32_e32 v2, 2, v0
	s_mov_b32 s15, 0x20000
	s_waitcnt lgkmcnt(0)
	s_add_u32 s12, s0, s12
	s_addc_u32 s0, s1, s7
	s_lshr_b32 s1, s23, 31
	s_add_i32 s1, s23, s1
	s_ashr_i32 s1, s1, 1
	s_add_i32 s1, s1, 3
	s_ashr_i32 s7, s1, 31
	s_lshr_b32 s7, s7, 30
	s_add_i32 s1, s1, s7
	s_and_b32 s14, s1, -4
	s_and_b32 s13, s0, 0xffff
	v_mov_b32_e32 v3, 0
	buffer_store_dword v3, v2, s[12:15], 0 offen
	;;#ASMSTART
	s_nop 0
	;;#ASMEND
.LBB380_30:
	s_or_b64 exec, exec, s[8:9]
	s_cmp_lt_i32 s24, 1
	s_cbranch_scc1 .LBB380_17
.LBB380_31:
	s_load_dword s0, s[4:5], 0x94
	s_waitcnt lgkmcnt(0)
	s_cmp_lg_u32 s0, 1
	s_cbranch_scc1 .LBB380_17
; %bb.32:
	s_lshl_b32 s0, s24, 1
	s_add_i32 s0, s0, 2
	v_cmp_gt_u32_e32 vcc, s24, v1
	s_and_b32 s30, s0, -4
	v_mov_b32_e32 v6, 0
	v_lshlrev_b32_e32 v1, 4, v0
	v_mov_b32_e32 v7, 0
	v_mov_b32_e32 v8, 0
	;; [unrolled: 1-line block ×7, first 2 shown]
	s_barrier
	s_and_saveexec_b64 s[0:1], vcc
	s_cbranch_execz .LBB380_34
; %bb.33:
	s_mul_hi_i32 s5, s26, s6
	s_mul_i32 s4, s26, s6
	s_and_b32 s29, s29, 0xffff
	s_lshl_b64 s[4:5], s[4:5], 1
	s_add_u32 s8, s10, s4
	s_mov_b32 s31, 0x20000
	s_addc_u32 s4, s11, s5
	s_and_b32 s9, s4, 0xffff
	s_mov_b32 s10, s30
	s_mov_b32 s11, s31
	buffer_load_dwordx4 v[6:9], v1, s[8:11], 0 offen glc slc
	buffer_load_dwordx4 v[2:5], v1, s[28:31], 0 offen
.LBB380_34:
	s_or_b64 exec, exec, s[0:1]
	s_waitcnt vmcnt(0)
	v_cvt_f32_u32_sdwa v13, v6 dst_sel:DWORD dst_unused:UNUSED_PAD src0_sel:WORD_1
	v_cvt_f32_u32_sdwa v12, v6 dst_sel:DWORD dst_unused:UNUSED_PAD src0_sel:WORD_0
	v_cvt_f32_u32_sdwa v6, v9 dst_sel:DWORD dst_unused:UNUSED_PAD src0_sel:WORD_1
	v_cvt_f32_u32_sdwa v9, v9 dst_sel:DWORD dst_unused:UNUSED_PAD src0_sel:WORD_0
	;; [unrolled: 2-line block ×4, first 2 shown]
	v_cndmask_b32_e32 v13, 0, v13, vcc
	v_cndmask_b32_e32 v7, 0, v6, vcc
	;; [unrolled: 1-line block ×5, first 2 shown]
	v_mul_f32_e32 v15, v13, v13
	v_cndmask_b32_e32 v10, 0, v10, vcc
	v_fmac_f32_e32 v15, v12, v12
	v_cndmask_b32_e32 v11, 0, v11, vcc
	v_fmac_f32_e32 v15, v10, v10
	;; [unrolled: 2-line block ×3, first 2 shown]
	v_fmac_f32_e32 v15, v8, v8
	v_fmac_f32_e32 v15, v9, v9
	v_fmac_f32_e32 v15, v6, v6
	v_fmac_f32_e32 v15, v7, v7
	s_nop 1
	v_mov_b32_dpp v16, v15 quad_perm:[1,0,3,2] row_mask:0xf bank_mask:0xf
	v_add_f32_e32 v15, v15, v16
	s_nop 1
	v_mov_b32_dpp v16, v15 quad_perm:[2,3,0,1] row_mask:0xf bank_mask:0xf
	v_add_f32_e32 v15, v15, v16
	s_nop 1
	v_mov_b32_dpp v16, v15 row_half_mirror row_mask:0xf bank_mask:0xf
	v_add_f32_e32 v15, v15, v16
	s_nop 1
	v_mov_b32_dpp v16, v15 row_mirror row_mask:0xf bank_mask:0xf
	v_add_f32_e32 v15, v15, v16
	s_nop 1
	v_mov_b32_dpp v16, v15 row_bcast:15 row_mask:0xf bank_mask:0xf
	v_add_f32_e32 v15, v15, v16
	s_nop 1
	v_mov_b32_dpp v16, v15 row_bcast:31 row_mask:0xf bank_mask:0xf
	s_and_saveexec_b64 s[0:1], s[2:3]
	s_cbranch_execz .LBB380_36
; %bb.35:
	v_lshrrev_b32_e32 v0, 4, v0
	v_add_f32_e32 v15, v15, v16
	v_and_b32_e32 v0, 60, v0
	ds_write_b32 v0, v15
.LBB380_36:
	s_or_b64 exec, exec, s[0:1]
	s_waitcnt lgkmcnt(0)
	s_barrier
	ds_read_b32 v0, v14
	s_waitcnt lgkmcnt(0)
	s_nop 0
	v_mov_b32_dpp v14, v0 quad_perm:[1,0,3,2] row_mask:0xf bank_mask:0xf
	s_and_saveexec_b64 s[0:1], vcc
	s_cbranch_execz .LBB380_17
; %bb.37:
	v_cvt_f32_u32_e32 v15, s24
	v_add_f32_e32 v0, v0, v14
	s_mov_b32 s31, 0x20000
	v_div_scale_f32 v14, s[0:1], v15, v15, v0
	v_rcp_f32_e32 v16, v14
	v_div_scale_f32 v17, vcc, v0, v15, v0
	s_mov_b32 s0, 0x800000
	v_fma_f32 v18, -v14, v16, 1.0
	v_fmac_f32_e32 v16, v18, v16
	v_mul_f32_e32 v18, v17, v16
	v_fma_f32 v19, -v14, v18, v17
	v_fmac_f32_e32 v18, v19, v16
	v_fma_f32 v14, -v14, v18, v17
	v_div_fmas_f32 v14, v14, v16, v18
	v_div_fixup_f32 v0, v14, v15, v0
	v_add_f32_e32 v0, s21, v0
	v_mul_f32_e32 v14, 0x4b800000, v0
	v_cmp_gt_f32_e32 vcc, s0, v0
	v_cndmask_b32_e32 v0, v0, v14, vcc
	v_rsq_f32_e32 v0, v0
	v_cvt_f32_u32_sdwa v17, v2 dst_sel:DWORD dst_unused:UNUSED_PAD src0_sel:WORD_1
	v_cvt_f32_u32_sdwa v16, v2 dst_sel:DWORD dst_unused:UNUSED_PAD src0_sel:WORD_0
	v_cvt_f32_u32_sdwa v19, v3 dst_sel:DWORD dst_unused:UNUSED_PAD src0_sel:WORD_1
	v_mul_f32_e32 v14, 0x45800000, v0
	v_cndmask_b32_e32 v14, v0, v14, vcc
	v_mov_b32_e32 v15, v14
	;;#ASMSTART
	v_pk_mul_f32 v[12:13], v[12:13], v[14:15]
	;;#ASMEND
	;;#ASMSTART
	v_pk_mul_f32 v[10:11], v[10:11], v[14:15]
	;;#ASMEND
	;; [unrolled: 3-line block ×3, first 2 shown]
	v_cvt_f32_u32_sdwa v18, v3 dst_sel:DWORD dst_unused:UNUSED_PAD src0_sel:WORD_0
	;;#ASMSTART
	v_pk_mul_f32 v[2:3], v[6:7], v[14:15]
	;;#ASMEND
	v_cvt_f32_u32_sdwa v15, v4 dst_sel:DWORD dst_unused:UNUSED_PAD src0_sel:WORD_1
	v_cvt_f32_u32_sdwa v14, v4 dst_sel:DWORD dst_unused:UNUSED_PAD src0_sel:WORD_0
	v_pk_add_f32 v[6:7], v[16:17], 1.0 op_sel_hi:[1,0]
	v_cvt_f32_u32_sdwa v17, v5 dst_sel:DWORD dst_unused:UNUSED_PAD src0_sel:WORD_1
	v_cvt_f32_u32_sdwa v16, v5 dst_sel:DWORD dst_unused:UNUSED_PAD src0_sel:WORD_0
	s_mul_hi_i32 s1, s16, s6
	s_mul_i32 s0, s16, s6
	s_lshl_b64 s[0:1], s[0:1], 1
	s_add_u32 s28, s18, s0
	;;#ASMSTART
	v_pk_mul_f32 v[6:7], v[12:13], v[6:7]
	;;#ASMEND
	v_pk_add_f32 v[12:13], v[18:19], 1.0 op_sel_hi:[1,0]
	;;#ASMSTART
	v_pk_mul_f32 v[4:5], v[10:11], v[12:13]
	;;#ASMEND
	v_pk_add_f32 v[10:11], v[14:15], 1.0 op_sel_hi:[1,0]
	s_addc_u32 s0, s19, s1
	;;#ASMSTART
	v_pk_mul_f32 v[8:9], v[8:9], v[10:11]
	;;#ASMEND
	v_pk_add_f32 v[10:11], v[16:17], 1.0 op_sel_hi:[1,0]
	s_and_b32 s29, s0, 0xffff
	s_mov_b32 s0, 0x7060302
	;;#ASMSTART
	v_pk_mul_f32 v[10:11], v[2:3], v[10:11]
	;;#ASMEND
	v_perm_b32 v2, v7, v6, s0
	v_perm_b32 v3, v5, v4, s0
	;; [unrolled: 1-line block ×4, first 2 shown]
	buffer_store_dwordx4 v[2:5], v1, s[28:31], 0 offen
	;;#ASMSTART
	s_nop 0
	;;#ASMEND
	s_endpgm
	.section	.rodata,"a",@progbits
	.p2align	6, 0x0
	.amdhsa_kernel _ZN5aiter35fused_qk_rmsnorm_group_quant_kernelItN4opus5fp4_tELi128ELi8ELi8ELb1ELb1ELb1ELb0ELb0ELb0EEEvPT0_PvPT_S7_S7_PKS6_S9_S9_S9_S9_ffiiiiiiiiiiiii
		.amdhsa_group_segment_fixed_size 16
		.amdhsa_private_segment_fixed_size 0
		.amdhsa_kernarg_size 400
		.amdhsa_user_sgpr_count 6
		.amdhsa_user_sgpr_private_segment_buffer 1
		.amdhsa_user_sgpr_dispatch_ptr 0
		.amdhsa_user_sgpr_queue_ptr 0
		.amdhsa_user_sgpr_kernarg_segment_ptr 1
		.amdhsa_user_sgpr_dispatch_id 0
		.amdhsa_user_sgpr_flat_scratch_init 0
		.amdhsa_user_sgpr_kernarg_preload_length 0
		.amdhsa_user_sgpr_kernarg_preload_offset 0
		.amdhsa_user_sgpr_private_segment_size 0
		.amdhsa_uses_dynamic_stack 0
		.amdhsa_system_sgpr_private_segment_wavefront_offset 0
		.amdhsa_system_sgpr_workgroup_id_x 1
		.amdhsa_system_sgpr_workgroup_id_y 1
		.amdhsa_system_sgpr_workgroup_id_z 0
		.amdhsa_system_sgpr_workgroup_info 0
		.amdhsa_system_vgpr_workitem_id 0
		.amdhsa_next_free_vgpr 27
		.amdhsa_next_free_sgpr 48
		.amdhsa_accum_offset 28
		.amdhsa_reserve_vcc 1
		.amdhsa_reserve_flat_scratch 0
		.amdhsa_float_round_mode_32 0
		.amdhsa_float_round_mode_16_64 0
		.amdhsa_float_denorm_mode_32 3
		.amdhsa_float_denorm_mode_16_64 3
		.amdhsa_dx10_clamp 1
		.amdhsa_ieee_mode 1
		.amdhsa_fp16_overflow 0
		.amdhsa_tg_split 0
		.amdhsa_exception_fp_ieee_invalid_op 0
		.amdhsa_exception_fp_denorm_src 0
		.amdhsa_exception_fp_ieee_div_zero 0
		.amdhsa_exception_fp_ieee_overflow 0
		.amdhsa_exception_fp_ieee_underflow 0
		.amdhsa_exception_fp_ieee_inexact 0
		.amdhsa_exception_int_div_zero 0
	.end_amdhsa_kernel
	.section	.text._ZN5aiter35fused_qk_rmsnorm_group_quant_kernelItN4opus5fp4_tELi128ELi8ELi8ELb1ELb1ELb1ELb0ELb0ELb0EEEvPT0_PvPT_S7_S7_PKS6_S9_S9_S9_S9_ffiiiiiiiiiiiii,"axG",@progbits,_ZN5aiter35fused_qk_rmsnorm_group_quant_kernelItN4opus5fp4_tELi128ELi8ELi8ELb1ELb1ELb1ELb0ELb0ELb0EEEvPT0_PvPT_S7_S7_PKS6_S9_S9_S9_S9_ffiiiiiiiiiiiii,comdat
.Lfunc_end380:
	.size	_ZN5aiter35fused_qk_rmsnorm_group_quant_kernelItN4opus5fp4_tELi128ELi8ELi8ELb1ELb1ELb1ELb0ELb0ELb0EEEvPT0_PvPT_S7_S7_PKS6_S9_S9_S9_S9_ffiiiiiiiiiiiii, .Lfunc_end380-_ZN5aiter35fused_qk_rmsnorm_group_quant_kernelItN4opus5fp4_tELi128ELi8ELi8ELb1ELb1ELb1ELb0ELb0ELb0EEEvPT0_PvPT_S7_S7_PKS6_S9_S9_S9_S9_ffiiiiiiiiiiiii
                                        ; -- End function
	.section	.AMDGPU.csdata,"",@progbits
; Kernel info:
; codeLenInByte = 2900
; NumSgprs: 52
; NumVgprs: 27
; NumAgprs: 0
; TotalNumVgprs: 27
; ScratchSize: 0
; MemoryBound: 0
; FloatMode: 240
; IeeeMode: 1
; LDSByteSize: 16 bytes/workgroup (compile time only)
; SGPRBlocks: 6
; VGPRBlocks: 3
; NumSGPRsForWavesPerEU: 52
; NumVGPRsForWavesPerEU: 27
; AccumOffset: 28
; Occupancy: 8
; WaveLimiterHint : 0
; COMPUTE_PGM_RSRC2:SCRATCH_EN: 0
; COMPUTE_PGM_RSRC2:USER_SGPR: 6
; COMPUTE_PGM_RSRC2:TRAP_HANDLER: 0
; COMPUTE_PGM_RSRC2:TGID_X_EN: 1
; COMPUTE_PGM_RSRC2:TGID_Y_EN: 1
; COMPUTE_PGM_RSRC2:TGID_Z_EN: 0
; COMPUTE_PGM_RSRC2:TIDIG_COMP_CNT: 0
; COMPUTE_PGM_RSRC3_GFX90A:ACCUM_OFFSET: 6
; COMPUTE_PGM_RSRC3_GFX90A:TG_SPLIT: 0
	.section	.text._ZN5aiter35fused_qk_rmsnorm_group_quant_kernelIDF16_DB8_Li128ELi8ELi8ELb1ELb1ELb0ELb0ELb0ELb0EEEvPT0_PvPT_S6_S6_PKS5_S8_S8_S8_S8_ffiiiiiiiiiiiii,"axG",@progbits,_ZN5aiter35fused_qk_rmsnorm_group_quant_kernelIDF16_DB8_Li128ELi8ELi8ELb1ELb1ELb0ELb0ELb0ELb0EEEvPT0_PvPT_S6_S6_PKS5_S8_S8_S8_S8_ffiiiiiiiiiiiii,comdat
	.protected	_ZN5aiter35fused_qk_rmsnorm_group_quant_kernelIDF16_DB8_Li128ELi8ELi8ELb1ELb1ELb0ELb0ELb0ELb0EEEvPT0_PvPT_S6_S6_PKS5_S8_S8_S8_S8_ffiiiiiiiiiiiii ; -- Begin function _ZN5aiter35fused_qk_rmsnorm_group_quant_kernelIDF16_DB8_Li128ELi8ELi8ELb1ELb1ELb0ELb0ELb0ELb0EEEvPT0_PvPT_S6_S6_PKS5_S8_S8_S8_S8_ffiiiiiiiiiiiii
	.globl	_ZN5aiter35fused_qk_rmsnorm_group_quant_kernelIDF16_DB8_Li128ELi8ELi8ELb1ELb1ELb0ELb0ELb0ELb0EEEvPT0_PvPT_S6_S6_PKS5_S8_S8_S8_S8_ffiiiiiiiiiiiii
	.p2align	8
	.type	_ZN5aiter35fused_qk_rmsnorm_group_quant_kernelIDF16_DB8_Li128ELi8ELi8ELb1ELb1ELb0ELb0ELb0ELb0EEEvPT0_PvPT_S6_S6_PKS5_S8_S8_S8_S8_ffiiiiiiiiiiiii,@function
_ZN5aiter35fused_qk_rmsnorm_group_quant_kernelIDF16_DB8_Li128ELi8ELi8ELb1ELb1ELb0ELb0ELb0ELb0EEEvPT0_PvPT_S6_S6_PKS5_S8_S8_S8_S8_ffiiiiiiiiiiiii: ; @_ZN5aiter35fused_qk_rmsnorm_group_quant_kernelIDF16_DB8_Li128ELi8ELi8ELb1ELb1ELb0ELb0ELb0ELb0EEEvPT0_PvPT_S6_S6_PKS5_S8_S8_S8_S8_ffiiiiiiiiiiiii
; %bb.0:
	s_load_dwordx8 s[20:27], s[4:5], 0x50
	s_waitcnt lgkmcnt(0)
	s_cmp_ge_i32 s6, s22
	s_cbranch_scc1 .LBB381_17
; %bb.1:
	s_cmp_lg_u32 s7, 0
	s_cselect_b64 s[10:11], -1, 0
	s_cmp_eq_u32 s7, 0
	s_cselect_b64 s[8:9], -1, 0
	s_and_b64 s[0:1], s[8:9], exec
	s_load_dwordx2 s[28:29], s[4:5], 0x48
	s_load_dwordx2 s[34:35], s[4:5], 0x30
	s_load_dwordx8 s[12:19], s[4:5], 0x70
	s_cselect_b32 s7, s23, s24
	s_add_i32 s0, s7, 1
	s_lshr_b32 s1, s0, 31
	s_add_i32 s0, s0, s1
	s_lshl_b32 s0, s0, 1
	v_lshlrev_b32_e32 v1, 3, v0
	s_and_b32 s38, s0, -4
	v_cmp_gt_i32_e64 s[0:1], s7, v1
	v_mov_b32_e32 v24, 0
	v_mov_b32_e32 v25, 0
	;; [unrolled: 1-line block ×8, first 2 shown]
	s_and_saveexec_b64 s[2:3], s[0:1]
	s_cbranch_execz .LBB381_3
; %bb.2:
	s_waitcnt lgkmcnt(0)
	s_load_dwordx2 s[18:19], s[4:5], 0x28
	s_load_dwordx2 s[30:31], s[4:5], 0x40
	s_and_b64 s[36:37], s[8:9], exec
	s_cselect_b32 s22, s25, s26
	s_mov_b32 s39, 0x20000
	s_waitcnt lgkmcnt(0)
	s_cselect_b32 s25, s19, s35
	s_cselect_b32 s33, s18, s34
	s_mul_hi_i32 s19, s22, s6
	s_mul_i32 s18, s22, s6
	s_lshl_b64 s[18:19], s[18:19], 1
	s_add_u32 s40, s33, s18
	s_addc_u32 s22, s25, s19
	s_and_b64 s[18:19], s[8:9], exec
	s_cselect_b32 s36, s30, s28
	s_cselect_b32 s18, s31, s29
	v_lshlrev_b32_e32 v2, 4, v0
	s_and_b32 s41, s22, 0xffff
	s_mov_b32 s42, s38
	s_mov_b32 s43, s39
	s_and_b32 s37, s18, 0xffff
	buffer_load_dwordx4 v[28:31], v2, s[40:43], 0 offen glc slc
	buffer_load_dwordx4 v[24:27], v2, s[36:39], 0 offen
.LBB381_3:
	s_or_b64 exec, exec, s[2:3]
	s_and_b64 vcc, exec, s[10:11]
	s_cbranch_vccz .LBB381_7
; %bb.4:
	v_mov_b32_e32 v33, 0
	v_mov_b32_e32 v32, 0
	;; [unrolled: 1-line block ×8, first 2 shown]
	s_and_saveexec_b64 s[2:3], s[0:1]
	s_cbranch_execz .LBB381_6
; %bb.5:
	s_waitcnt vmcnt(1)
	v_cvt_f32_f16_sdwa v17, v28 dst_sel:DWORD dst_unused:UNUSED_PAD src0_sel:WORD_1
	v_cvt_f32_f16_e32 v16, v28
	v_cvt_f32_f16_sdwa v11, v29 dst_sel:DWORD dst_unused:UNUSED_PAD src0_sel:WORD_1
	v_cvt_f32_f16_e32 v10, v29
	;; [unrolled: 2-line block ×4, first 2 shown]
.LBB381_6:
	s_or_b64 exec, exec, s[2:3]
	s_cbranch_execz .LBB381_8
	s_branch .LBB381_11
.LBB381_7:
                                        ; implicit-def: $vgpr8_vgpr9_vgpr10_vgpr11_vgpr12_vgpr13_vgpr14_vgpr15
                                        ; implicit-def: $vgpr33
                                        ; implicit-def: $vgpr16_vgpr17_vgpr18_vgpr19_vgpr20_vgpr21_vgpr22_vgpr23
                                        ; implicit-def: $vgpr2_vgpr3_vgpr4_vgpr5_vgpr6_vgpr7_vgpr8_vgpr9
.LBB381_8:
	v_mov_b32_e32 v33, 0
	v_mov_b32_e32 v32, 0
	;; [unrolled: 1-line block ×8, first 2 shown]
	s_and_saveexec_b64 s[2:3], s[0:1]
	s_cbranch_execz .LBB381_10
; %bb.9:
	s_waitcnt lgkmcnt(0)
	s_load_dwordx2 s[18:19], s[4:5], 0x38
	s_mul_hi_i32 s31, s27, s6
	s_mul_i32 s30, s27, s6
	s_lshl_b64 s[30:31], s[30:31], 1
	s_mov_b32 s39, 0x20000
	s_waitcnt lgkmcnt(0)
	s_add_u32 s36, s18, s30
	s_addc_u32 s18, s19, s31
	s_and_b32 s37, s18, 0xffff
	v_lshlrev_b32_e32 v20, 4, v0
	buffer_load_dwordx4 v[2:5], v20, s[36:39], 0 offen glc slc
	s_waitcnt vmcnt(2)
	v_cvt_f32_f16_sdwa v7, v28 dst_sel:DWORD dst_unused:UNUSED_PAD src0_sel:WORD_1
	v_cvt_f32_f16_e32 v6, v28
	v_cvt_f32_f16_sdwa v9, v29 dst_sel:DWORD dst_unused:UNUSED_PAD src0_sel:WORD_1
	v_cvt_f32_f16_e32 v8, v29
	;; [unrolled: 2-line block ×4, first 2 shown]
	s_load_dwordx2 s[18:19], s[4:5], 0x20
	s_mul_hi_i32 s31, s17, s6
	s_mul_i32 s30, s17, s6
	s_lshl_b64 s[30:31], s[30:31], 1
	s_waitcnt lgkmcnt(0)
	s_add_u32 s36, s18, s30
	s_addc_u32 s17, s19, s31
	s_and_b32 s37, s17, 0xffff
	s_waitcnt vmcnt(0)
	v_cvt_f32_f16_e32 v10, v2
	v_cvt_f32_f16_sdwa v11, v2 dst_sel:DWORD dst_unused:UNUSED_PAD src0_sel:WORD_1
	v_cvt_f32_f16_e32 v2, v3
	v_cvt_f32_f16_sdwa v3, v3 dst_sel:DWORD dst_unused:UNUSED_PAD src0_sel:WORD_1
	;; [unrolled: 2-line block ×4, first 2 shown]
	v_pk_add_f32 v[16:17], v[6:7], v[10:11]
	v_pk_add_f32 v[10:11], v[8:9], v[2:3]
	;; [unrolled: 1-line block ×4, first 2 shown]
	v_cvt_f16_f32_e32 v2, v17
	v_cvt_f16_f32_e32 v3, v11
	;; [unrolled: 1-line block ×8, first 2 shown]
	v_pack_b32_f16 v5, v8, v5
	v_pack_b32_f16 v4, v9, v4
	;; [unrolled: 1-line block ×4, first 2 shown]
	buffer_store_dwordx4 v[2:5], v20, s[36:39], 0 offen glc slc
	;;#ASMSTART
	s_nop 0
	;;#ASMEND
.LBB381_10:
	s_or_b64 exec, exec, s[2:3]
.LBB381_11:
	v_mul_f32_e32 v2, v17, v17
	v_fmac_f32_e32 v2, v16, v16
	v_fmac_f32_e32 v2, v10, v10
	;; [unrolled: 1-line block ×7, first 2 shown]
	v_and_b32_e32 v4, 63, v0
	v_cmp_eq_u32_e64 s[2:3], 63, v4
	v_mov_b32_dpp v3, v2 quad_perm:[1,0,3,2] row_mask:0xf bank_mask:0xf
	v_add_f32_e32 v2, v2, v3
	s_nop 1
	v_mov_b32_dpp v3, v2 quad_perm:[2,3,0,1] row_mask:0xf bank_mask:0xf
	v_add_f32_e32 v2, v2, v3
	s_nop 1
	v_mov_b32_dpp v3, v2 row_half_mirror row_mask:0xf bank_mask:0xf
	v_add_f32_e32 v2, v2, v3
	s_nop 1
	v_mov_b32_dpp v3, v2 row_mirror row_mask:0xf bank_mask:0xf
	v_add_f32_e32 v2, v2, v3
	s_nop 1
	v_mov_b32_dpp v3, v2 row_bcast:15 row_mask:0xf bank_mask:0xf
	v_add_f32_e32 v2, v2, v3
	s_nop 1
	v_mov_b32_dpp v3, v2 row_bcast:31 row_mask:0xf bank_mask:0xf
	s_waitcnt lgkmcnt(0)
	s_and_saveexec_b64 s[18:19], s[2:3]
	s_cbranch_execz .LBB381_13
; %bb.12:
	v_add_f32_e32 v2, v2, v3
	v_lshrrev_b32_e32 v3, 4, v0
	v_and_b32_e32 v3, 60, v3
	ds_write_b32 v3, v2 offset:8
.LBB381_13:
	s_or_b64 exec, exec, s[18:19]
	v_and_b32_e32 v2, 1, v0
	v_lshlrev_b32_e32 v18, 2, v2
	s_waitcnt lgkmcnt(0)
	s_barrier
	ds_read_b32 v2, v18 offset:8
	s_load_dwordx2 s[18:19], s[4:5], 0x18
	s_waitcnt lgkmcnt(0)
	v_mov_b32_dpp v3, v2 quad_perm:[1,0,3,2] row_mask:0xf bank_mask:0xf
	s_and_saveexec_b64 s[30:31], s[0:1]
	s_cbranch_execnz .LBB381_18
; %bb.14:
	s_or_b64 exec, exec, s[30:31]
	s_mov_b64 s[8:9], -1
	s_and_b64 vcc, exec, s[10:11]
	s_cbranch_vccnz .LBB381_19
.LBB381_15:
	s_andn2_b64 vcc, exec, s[8:9]
	s_cbranch_vccz .LBB381_22
.LBB381_16:
	s_cmp_lt_i32 s24, 1
	s_cbranch_scc0 .LBB381_31
.LBB381_17:
	s_endpgm
.LBB381_18:
	v_cvt_f32_u32_e32 v4, s7
	v_add_f32_e32 v2, v2, v3
	v_mov_b32_e32 v8, s21
	v_mov_b32_e32 v9, s20
	v_div_scale_f32 v3, s[36:37], v4, v4, v2
	v_rcp_f32_e32 v5, v3
	v_cndmask_b32_e64 v8, v8, v9, s[8:9]
	s_mov_b32 s7, 0x800000
	s_waitcnt vmcnt(0)
	v_cvt_f32_f16_sdwa v15, v26 dst_sel:DWORD dst_unused:UNUSED_PAD src0_sel:WORD_1
	v_fma_f32 v9, -v3, v5, 1.0
	v_fmac_f32_e32 v5, v9, v5
	v_div_scale_f32 v9, vcc, v2, v4, v2
	v_mul_f32_e32 v12, v9, v5
	v_fma_f32 v13, -v3, v12, v9
	v_fmac_f32_e32 v12, v13, v5
	v_fma_f32 v3, -v3, v12, v9
	v_div_fmas_f32 v3, v3, v5, v12
	v_div_fixup_f32 v2, v3, v4, v2
	v_add_f32_e32 v2, v8, v2
	v_mul_f32_e32 v3, 0x4b800000, v2
	v_cmp_gt_f32_e32 vcc, s7, v2
	v_cndmask_b32_e32 v2, v2, v3, vcc
	v_rsq_f32_e32 v2, v2
	v_cvt_f32_f16_sdwa v13, v25 dst_sel:DWORD dst_unused:UNUSED_PAD src0_sel:WORD_1
	v_cvt_f32_f16_e32 v12, v25
	v_cvt_f32_f16_e32 v14, v26
	v_mul_f32_e32 v3, 0x45800000, v2
	v_cndmask_b32_e32 v2, v2, v3, vcc
	v_mov_b32_e32 v3, v2
	;;#ASMSTART
	v_pk_mul_f32 v[4:5], v[16:17], v[2:3]
	;;#ASMEND
	;;#ASMSTART
	v_pk_mul_f32 v[8:9], v[10:11], v[2:3]
	;;#ASMEND
	;; [unrolled: 3-line block ×3, first 2 shown]
	v_cvt_f32_f16_sdwa v11, v24 dst_sel:DWORD dst_unused:UNUSED_PAD src0_sel:WORD_1
	v_cvt_f32_f16_e32 v10, v24
	;;#ASMSTART
	v_pk_mul_f32 v[2:3], v[32:33], v[2:3]
	;;#ASMEND
	v_cvt_f32_f16_sdwa v21, v27 dst_sel:DWORD dst_unused:UNUSED_PAD src0_sel:WORD_1
	v_cvt_f32_f16_e32 v20, v27
	;;#ASMSTART
	v_pk_mul_f32 v[16:17], v[4:5], v[10:11]
	;;#ASMEND
	;;#ASMSTART
	v_pk_mul_f32 v[10:11], v[8:9], v[12:13]
	;;#ASMEND
	;; [unrolled: 3-line block ×4, first 2 shown]
	s_or_b64 exec, exec, s[30:31]
	s_mov_b64 s[8:9], -1
	s_and_b64 vcc, exec, s[10:11]
	s_cbranch_vccz .LBB381_15
.LBB381_19:
	s_and_saveexec_b64 s[8:9], s[0:1]
	s_cbranch_execz .LBB381_21
; %bb.20:
	s_mul_hi_i32 s11, s16, s6
	s_mul_i32 s10, s16, s6
	v_cvt_f16_f32_e32 v2, v16
	v_cvt_f16_f32_e32 v3, v10
	;; [unrolled: 1-line block ×8, first 2 shown]
	s_lshl_b64 s[10:11], s[10:11], 1
	s_add_u32 s36, s18, s10
	s_addc_u32 s7, s19, s11
	s_and_b32 s37, s7, 0xffff
	s_mov_b32 s39, 0x20000
	v_pack_b32_f16 v5, v5, v8
	v_pack_b32_f16 v4, v4, v9
	;; [unrolled: 1-line block ×4, first 2 shown]
	v_lshlrev_b32_e32 v8, 4, v0
	buffer_store_dwordx4 v[2:5], v8, s[36:39], 0 offen
	;;#ASMSTART
	s_nop 0
	;;#ASMEND
.LBB381_21:
	s_or_b64 exec, exec, s[8:9]
	s_cbranch_execnz .LBB381_16
.LBB381_22:
	v_mov_b32_e32 v2, 0
	s_and_saveexec_b64 s[8:9], s[0:1]
	s_cbranch_execz .LBB381_24
; %bb.23:
	s_load_dwordx2 s[10:11], s[4:5], 0x10
	s_mul_hi_i32 s31, s15, s6
	s_mul_i32 s30, s15, s6
	v_cvt_f16_f32_e32 v2, v16
	v_cvt_f16_f32_e32 v3, v10
	v_cvt_f16_f32_e32 v4, v6
	v_cvt_f16_f32_e32 v5, v32
	v_cvt_f16_f32_e32 v8, v33
	v_cvt_f16_f32_e32 v9, v7
	v_cvt_f16_f32_e32 v12, v11
	v_cvt_f16_f32_e32 v13, v17
	s_lshl_b64 s[30:31], s[30:31], 1
	s_waitcnt lgkmcnt(0)
	s_add_u32 s36, s10, s30
	s_addc_u32 s7, s11, s31
	s_mov_b32 s39, 0x20000
	s_and_b32 s37, s7, 0xffff
	v_pack_b32_f16 v5, v5, v8
	v_pack_b32_f16 v4, v4, v9
	;; [unrolled: 1-line block ×4, first 2 shown]
	v_lshlrev_b32_e32 v8, 4, v0
	buffer_store_dwordx4 v[2:5], v8, s[36:39], 0 offen
	;;#ASMSTART
	s_nop 0
	;;#ASMEND
	s_nop 0
	v_mov_b32_e32 v2, 0x2edbe6ff
.LBB381_24:
	s_or_b64 exec, exec, s[8:9]
	s_and_saveexec_b64 s[8:9], s[0:1]
	s_cbranch_execz .LBB381_26
; %bb.25:
	v_and_b32_e32 v3, 0x7fffffff, v16
	v_and_b32_e32 v4, 0x7fffffff, v17
	;;#ASMSTART
	v_max3_f32 v2, v2, v3, v4

	;;#ASMEND
	v_and_b32_e32 v3, 0x7fffffff, v10
	v_and_b32_e32 v4, 0x7fffffff, v11
	;;#ASMSTART
	v_max3_f32 v2, v2, v3, v4

	;;#ASMEND
	;; [unrolled: 6-line block ×4, first 2 shown]
.LBB381_26:
	s_or_b64 exec, exec, s[8:9]
	;;#ASMSTART
	v_max_f32 v3, v2, v2 quad_perm:[1,0,3,2] row_mask:0xf bank_mask:0xf bound_ctrl:1
	;;#ASMEND
	;;#ASMSTART
	v_max_f32 v2, v3, v3 quad_perm:[2,3,0,1] row_mask:0xf bank_mask:0xf bound_ctrl:1
	;;#ASMEND
	;;#ASMSTART
	v_max_f32 v3, v2, v2 row_half_mirror row_mask:0xf bank_mask:0xf bound_ctrl:1
	;;#ASMEND
	v_mul_f32_e32 v2, 0x3b124925, v3
	v_and_b32_e32 v3, 7, v0
	v_cmp_eq_u32_e32 vcc, 0, v3
	v_cmp_gt_i32_e64 s[8:9], s23, v1
	s_and_b64 s[10:11], vcc, s[8:9]
	s_and_saveexec_b64 s[8:9], s[10:11]
	s_cbranch_execz .LBB381_28
; %bb.27:
	s_load_dwordx2 s[10:11], s[4:5], 0x8
	v_lshrrev_b32_e32 v3, 3, v0
	s_mul_hi_i32 s31, s13, s6
	s_mul_i32 s30, s13, s6
	v_mad_i64_i32 v[4:5], s[14:15], s14, v3, 0
	s_lshl_b64 s[14:15], s[30:31], 2
	s_waitcnt lgkmcnt(0)
	s_add_u32 s7, s10, s14
	s_addc_u32 s10, s11, s15
	v_lshlrev_b64 v[4:5], 2, v[4:5]
	v_mov_b32_e32 v3, s10
	v_add_co_u32_e32 v4, vcc, s7, v4
	v_addc_co_u32_e32 v5, vcc, v3, v5, vcc
	global_store_dword v[4:5], v2, off
.LBB381_28:
	s_or_b64 exec, exec, s[8:9]
	;;#ASMSTART
	v_rcp_f32 v2, v2
	;;#ASMEND
	s_and_saveexec_b64 s[14:15], s[0:1]
	s_cbranch_execz .LBB381_30
; %bb.29:
	s_load_dwordx2 s[0:1], s[4:5], 0x0
	s_mul_i32 s8, s12, s6
	v_mov_b32_e32 v3, v2
	;;#ASMSTART
	v_pk_mul_f32 v[4:5], v[16:17], v[2:3]
	;;#ASMEND
	s_mul_hi_i32 s7, s12, s6
	s_waitcnt lgkmcnt(0)
	s_add_u32 s8, s0, s8
	v_mov_b32_e32 v8, 0xc3e00000
	v_mov_b32_e32 v9, 0x43e00000
	;;#ASMSTART
	v_med3_f32 v4, v4, v8, v9
v_med3_f32 v5, v5, v8, v9
v_cvt_pk_fp8_f32 v12, v4, v5
	;;#ASMEND
	s_addc_u32 s0, s1, s7
	;;#ASMSTART
	v_pk_mul_f32 v[4:5], v[10:11], v[2:3]
	;;#ASMEND
	s_and_b32 s9, s0, 0xffff
	;;#ASMSTART
	v_med3_f32 v4, v4, v8, v9
v_med3_f32 v5, v5, v8, v9
v_cvt_pk_fp8_f32 v10, v4, v5
	;;#ASMEND
	s_mov_b32 s0, 0x5040100
	v_perm_b32 v5, v10, v12, s0
	s_movk_i32 s0, 0xff
	v_and_b32_e32 v4, 0xffffff00, v10
	v_and_b32_sdwa v10, v5, s0 dst_sel:DWORD dst_unused:UNUSED_PAD src0_sel:WORD_1 src1_sel:DWORD
	s_mov_b32 s12, 0xffff
	v_or_b32_sdwa v4, v10, v4 dst_sel:WORD_1 dst_unused:UNUSED_PAD src0_sel:DWORD src1_sel:DWORD
	s_add_i32 s1, s23, 3
	v_and_or_b32 v4, v5, s12, v4
	;;#ASMSTART
	v_pk_mul_f32 v[6:7], v[6:7], v[2:3]
	;;#ASMEND
	v_mov_b32_e32 v5, v7
	s_ashr_i32 s7, s1, 31
	;;#ASMSTART
	v_med3_f32 v6, v6, v8, v9
v_med3_f32 v5, v5, v8, v9
v_cvt_pk_fp8_f32 v7, v6, v5
	;;#ASMEND
	;;#ASMSTART
	v_pk_mul_f32 v[2:3], v[32:33], v[2:3]
	;;#ASMEND
	s_lshr_b32 s7, s7, 30
	;;#ASMSTART
	v_med3_f32 v2, v2, v8, v9
v_med3_f32 v3, v3, v8, v9
v_cvt_pk_fp8_f32 v5, v2, v3
	;;#ASMEND
	s_add_i32 s1, s1, s7
	v_lshlrev_b32_e32 v2, 16, v5
	s_and_b32 s10, s1, -4
	s_mov_b32 s11, 0x20000
	v_and_or_b32 v5, v7, s12, v2
	buffer_store_dwordx2 v[4:5], v1, s[8:11], 0 offen
	;;#ASMSTART
	s_nop 0
	;;#ASMEND
.LBB381_30:
	s_or_b64 exec, exec, s[14:15]
	s_cmp_lt_i32 s24, 1
	s_cbranch_scc1 .LBB381_17
.LBB381_31:
	s_load_dword s0, s[4:5], 0x94
	s_waitcnt lgkmcnt(0)
	s_cmp_lg_u32 s0, 1
	s_cbranch_scc1 .LBB381_17
; %bb.32:
	s_lshl_b32 s0, s24, 1
	s_add_i32 s0, s0, 2
	v_cmp_gt_u32_e32 vcc, s24, v1
	s_and_b32 s30, s0, -4
	v_mov_b32_e32 v10, 0
	v_lshlrev_b32_e32 v1, 4, v0
	v_mov_b32_e32 v6, 0
	v_mov_b32_e32 v7, 0
	;; [unrolled: 1-line block ×8, first 2 shown]
	s_barrier
	s_and_saveexec_b64 s[0:1], vcc
	s_cbranch_execz .LBB381_34
; %bb.33:
	s_mul_hi_i32 s5, s26, s6
	s_mul_i32 s4, s26, s6
	s_and_b32 s29, s29, 0xffff
	s_lshl_b64 s[4:5], s[4:5], 1
	s_add_u32 s8, s34, s4
	s_mov_b32 s31, 0x20000
	s_addc_u32 s4, s35, s5
	s_and_b32 s9, s4, 0xffff
	s_mov_b32 s10, s30
	s_mov_b32 s11, s31
	buffer_load_dwordx4 v[6:9], v1, s[8:11], 0 offen glc slc
	buffer_load_dwordx4 v[2:5], v1, s[28:31], 0 offen
.LBB381_34:
	s_or_b64 exec, exec, s[0:1]
	v_mov_b32_e32 v11, 0
	v_mov_b32_e32 v16, 0
	;; [unrolled: 1-line block ×7, first 2 shown]
	s_and_saveexec_b64 s[0:1], vcc
	s_cbranch_execz .LBB381_36
; %bb.35:
	s_waitcnt vmcnt(1)
	v_cvt_f32_f16_sdwa v11, v6 dst_sel:DWORD dst_unused:UNUSED_PAD src0_sel:WORD_1
	v_cvt_f32_f16_e32 v10, v6
	v_cvt_f32_f16_sdwa v17, v7 dst_sel:DWORD dst_unused:UNUSED_PAD src0_sel:WORD_1
	v_cvt_f32_f16_e32 v16, v7
	;; [unrolled: 2-line block ×4, first 2 shown]
.LBB381_36:
	s_or_b64 exec, exec, s[0:1]
	s_waitcnt vmcnt(1)
	v_mul_f32_e32 v6, v11, v11
	v_fmac_f32_e32 v6, v10, v10
	v_fmac_f32_e32 v6, v16, v16
	;; [unrolled: 1-line block ×7, first 2 shown]
	s_nop 1
	v_mov_b32_dpp v7, v6 quad_perm:[1,0,3,2] row_mask:0xf bank_mask:0xf
	v_add_f32_e32 v6, v6, v7
	s_nop 1
	v_mov_b32_dpp v7, v6 quad_perm:[2,3,0,1] row_mask:0xf bank_mask:0xf
	v_add_f32_e32 v6, v6, v7
	s_nop 1
	v_mov_b32_dpp v7, v6 row_half_mirror row_mask:0xf bank_mask:0xf
	v_add_f32_e32 v6, v6, v7
	s_nop 1
	v_mov_b32_dpp v7, v6 row_mirror row_mask:0xf bank_mask:0xf
	v_add_f32_e32 v6, v6, v7
	s_nop 1
	v_mov_b32_dpp v7, v6 row_bcast:15 row_mask:0xf bank_mask:0xf
	v_add_f32_e32 v6, v6, v7
	s_nop 1
	v_mov_b32_dpp v7, v6 row_bcast:31 row_mask:0xf bank_mask:0xf
	s_and_saveexec_b64 s[0:1], s[2:3]
	s_cbranch_execz .LBB381_38
; %bb.37:
	v_lshrrev_b32_e32 v0, 4, v0
	v_add_f32_e32 v6, v6, v7
	v_and_b32_e32 v0, 60, v0
	ds_write_b32 v0, v6
.LBB381_38:
	s_or_b64 exec, exec, s[0:1]
	s_waitcnt lgkmcnt(0)
	s_barrier
	ds_read_b32 v0, v18
	s_waitcnt lgkmcnt(0)
	s_nop 0
	v_mov_b32_dpp v6, v0 quad_perm:[1,0,3,2] row_mask:0xf bank_mask:0xf
	s_and_saveexec_b64 s[0:1], vcc
	s_cbranch_execz .LBB381_17
; %bb.39:
	v_cvt_f32_u32_e32 v7, s24
	v_add_f32_e32 v0, v0, v6
	s_mov_b32 s31, 0x20000
	v_div_scale_f32 v6, s[0:1], v7, v7, v0
	v_rcp_f32_e32 v8, v6
	v_div_scale_f32 v9, vcc, v0, v7, v0
	s_mov_b32 s0, 0x800000
	v_fma_f32 v18, -v6, v8, 1.0
	v_fmac_f32_e32 v8, v18, v8
	v_mul_f32_e32 v18, v9, v8
	v_fma_f32 v19, -v6, v18, v9
	v_fmac_f32_e32 v18, v19, v8
	v_fma_f32 v6, -v6, v18, v9
	v_div_fmas_f32 v6, v6, v8, v18
	v_div_fixup_f32 v0, v6, v7, v0
	v_add_f32_e32 v0, s21, v0
	v_mul_f32_e32 v6, 0x4b800000, v0
	v_cmp_gt_f32_e32 vcc, s0, v0
	v_cndmask_b32_e32 v0, v0, v6, vcc
	v_rsq_f32_e32 v0, v0
	s_waitcnt vmcnt(0)
	v_cvt_f32_f16_sdwa v19, v5 dst_sel:DWORD dst_unused:UNUSED_PAD src0_sel:WORD_1
	v_cvt_f32_f16_e32 v18, v5
	s_mul_hi_i32 s1, s16, s6
	v_mul_f32_e32 v6, 0x45800000, v0
	v_cndmask_b32_e32 v6, v0, v6, vcc
	v_mov_b32_e32 v7, v6
	;;#ASMSTART
	v_pk_mul_f32 v[8:9], v[10:11], v[6:7]
	;;#ASMEND
	;;#ASMSTART
	v_pk_mul_f32 v[10:11], v[16:17], v[6:7]
	;;#ASMEND
	;; [unrolled: 3-line block ×4, first 2 shown]
	v_cvt_f32_f16_sdwa v13, v2 dst_sel:DWORD dst_unused:UNUSED_PAD src0_sel:WORD_1
	v_cvt_f32_f16_e32 v12, v2
	v_cvt_f32_f16_sdwa v17, v3 dst_sel:DWORD dst_unused:UNUSED_PAD src0_sel:WORD_1
	v_cvt_f32_f16_e32 v16, v3
	;; [unrolled: 2-line block ×3, first 2 shown]
	;;#ASMSTART
	v_pk_mul_f32 v[4:5], v[8:9], v[12:13]
	;;#ASMEND
	;;#ASMSTART
	v_pk_mul_f32 v[8:9], v[10:11], v[16:17]
	;;#ASMEND
	;; [unrolled: 3-line block ×4, first 2 shown]
	s_mul_i32 s0, s16, s6
	v_cvt_f16_f32_e32 v0, v4
	v_cvt_f16_f32_e32 v4, v5
	;; [unrolled: 1-line block ×8, first 2 shown]
	s_lshl_b64 s[0:1], s[0:1], 1
	s_add_u32 s28, s18, s0
	s_addc_u32 s0, s19, s1
	s_and_b32 s29, s0, 0xffff
	v_pack_b32_f16 v2, v0, v4
	v_pack_b32_f16 v3, v5, v8
	;; [unrolled: 1-line block ×4, first 2 shown]
	buffer_store_dwordx4 v[2:5], v1, s[28:31], 0 offen
	;;#ASMSTART
	s_nop 0
	;;#ASMEND
	s_endpgm
	.section	.rodata,"a",@progbits
	.p2align	6, 0x0
	.amdhsa_kernel _ZN5aiter35fused_qk_rmsnorm_group_quant_kernelIDF16_DB8_Li128ELi8ELi8ELb1ELb1ELb0ELb0ELb0ELb0EEEvPT0_PvPT_S6_S6_PKS5_S8_S8_S8_S8_ffiiiiiiiiiiiii
		.amdhsa_group_segment_fixed_size 16
		.amdhsa_private_segment_fixed_size 0
		.amdhsa_kernarg_size 400
		.amdhsa_user_sgpr_count 6
		.amdhsa_user_sgpr_private_segment_buffer 1
		.amdhsa_user_sgpr_dispatch_ptr 0
		.amdhsa_user_sgpr_queue_ptr 0
		.amdhsa_user_sgpr_kernarg_segment_ptr 1
		.amdhsa_user_sgpr_dispatch_id 0
		.amdhsa_user_sgpr_flat_scratch_init 0
		.amdhsa_user_sgpr_kernarg_preload_length 0
		.amdhsa_user_sgpr_kernarg_preload_offset 0
		.amdhsa_user_sgpr_private_segment_size 0
		.amdhsa_uses_dynamic_stack 0
		.amdhsa_system_sgpr_private_segment_wavefront_offset 0
		.amdhsa_system_sgpr_workgroup_id_x 1
		.amdhsa_system_sgpr_workgroup_id_y 1
		.amdhsa_system_sgpr_workgroup_id_z 0
		.amdhsa_system_sgpr_workgroup_info 0
		.amdhsa_system_vgpr_workitem_id 0
		.amdhsa_next_free_vgpr 34
		.amdhsa_next_free_sgpr 44
		.amdhsa_accum_offset 36
		.amdhsa_reserve_vcc 1
		.amdhsa_reserve_flat_scratch 0
		.amdhsa_float_round_mode_32 0
		.amdhsa_float_round_mode_16_64 0
		.amdhsa_float_denorm_mode_32 3
		.amdhsa_float_denorm_mode_16_64 3
		.amdhsa_dx10_clamp 1
		.amdhsa_ieee_mode 1
		.amdhsa_fp16_overflow 0
		.amdhsa_tg_split 0
		.amdhsa_exception_fp_ieee_invalid_op 0
		.amdhsa_exception_fp_denorm_src 0
		.amdhsa_exception_fp_ieee_div_zero 0
		.amdhsa_exception_fp_ieee_overflow 0
		.amdhsa_exception_fp_ieee_underflow 0
		.amdhsa_exception_fp_ieee_inexact 0
		.amdhsa_exception_int_div_zero 0
	.end_amdhsa_kernel
	.section	.text._ZN5aiter35fused_qk_rmsnorm_group_quant_kernelIDF16_DB8_Li128ELi8ELi8ELb1ELb1ELb0ELb0ELb0ELb0EEEvPT0_PvPT_S6_S6_PKS5_S8_S8_S8_S8_ffiiiiiiiiiiiii,"axG",@progbits,_ZN5aiter35fused_qk_rmsnorm_group_quant_kernelIDF16_DB8_Li128ELi8ELi8ELb1ELb1ELb0ELb0ELb0ELb0EEEvPT0_PvPT_S6_S6_PKS5_S8_S8_S8_S8_ffiiiiiiiiiiiii,comdat
.Lfunc_end381:
	.size	_ZN5aiter35fused_qk_rmsnorm_group_quant_kernelIDF16_DB8_Li128ELi8ELi8ELb1ELb1ELb0ELb0ELb0ELb0EEEvPT0_PvPT_S6_S6_PKS5_S8_S8_S8_S8_ffiiiiiiiiiiiii, .Lfunc_end381-_ZN5aiter35fused_qk_rmsnorm_group_quant_kernelIDF16_DB8_Li128ELi8ELi8ELb1ELb1ELb0ELb0ELb0ELb0EEEvPT0_PvPT_S6_S6_PKS5_S8_S8_S8_S8_ffiiiiiiiiiiiii
                                        ; -- End function
	.section	.AMDGPU.csdata,"",@progbits
; Kernel info:
; codeLenInByte = 2964
; NumSgprs: 48
; NumVgprs: 34
; NumAgprs: 0
; TotalNumVgprs: 34
; ScratchSize: 0
; MemoryBound: 0
; FloatMode: 240
; IeeeMode: 1
; LDSByteSize: 16 bytes/workgroup (compile time only)
; SGPRBlocks: 5
; VGPRBlocks: 4
; NumSGPRsForWavesPerEU: 48
; NumVGPRsForWavesPerEU: 34
; AccumOffset: 36
; Occupancy: 8
; WaveLimiterHint : 0
; COMPUTE_PGM_RSRC2:SCRATCH_EN: 0
; COMPUTE_PGM_RSRC2:USER_SGPR: 6
; COMPUTE_PGM_RSRC2:TRAP_HANDLER: 0
; COMPUTE_PGM_RSRC2:TGID_X_EN: 1
; COMPUTE_PGM_RSRC2:TGID_Y_EN: 1
; COMPUTE_PGM_RSRC2:TGID_Z_EN: 0
; COMPUTE_PGM_RSRC2:TIDIG_COMP_CNT: 0
; COMPUTE_PGM_RSRC3_GFX90A:ACCUM_OFFSET: 8
; COMPUTE_PGM_RSRC3_GFX90A:TG_SPLIT: 0
	.section	.text._ZN5aiter35fused_qk_rmsnorm_group_quant_kernelItDB8_Li128ELi8ELi8ELb1ELb1ELb0ELb0ELb0ELb0EEEvPT0_PvPT_S6_S6_PKS5_S8_S8_S8_S8_ffiiiiiiiiiiiii,"axG",@progbits,_ZN5aiter35fused_qk_rmsnorm_group_quant_kernelItDB8_Li128ELi8ELi8ELb1ELb1ELb0ELb0ELb0ELb0EEEvPT0_PvPT_S6_S6_PKS5_S8_S8_S8_S8_ffiiiiiiiiiiiii,comdat
	.protected	_ZN5aiter35fused_qk_rmsnorm_group_quant_kernelItDB8_Li128ELi8ELi8ELb1ELb1ELb0ELb0ELb0ELb0EEEvPT0_PvPT_S6_S6_PKS5_S8_S8_S8_S8_ffiiiiiiiiiiiii ; -- Begin function _ZN5aiter35fused_qk_rmsnorm_group_quant_kernelItDB8_Li128ELi8ELi8ELb1ELb1ELb0ELb0ELb0ELb0EEEvPT0_PvPT_S6_S6_PKS5_S8_S8_S8_S8_ffiiiiiiiiiiiii
	.globl	_ZN5aiter35fused_qk_rmsnorm_group_quant_kernelItDB8_Li128ELi8ELi8ELb1ELb1ELb0ELb0ELb0ELb0EEEvPT0_PvPT_S6_S6_PKS5_S8_S8_S8_S8_ffiiiiiiiiiiiii
	.p2align	8
	.type	_ZN5aiter35fused_qk_rmsnorm_group_quant_kernelItDB8_Li128ELi8ELi8ELb1ELb1ELb0ELb0ELb0ELb0EEEvPT0_PvPT_S6_S6_PKS5_S8_S8_S8_S8_ffiiiiiiiiiiiii,@function
_ZN5aiter35fused_qk_rmsnorm_group_quant_kernelItDB8_Li128ELi8ELi8ELb1ELb1ELb0ELb0ELb0ELb0EEEvPT0_PvPT_S6_S6_PKS5_S8_S8_S8_S8_ffiiiiiiiiiiiii: ; @_ZN5aiter35fused_qk_rmsnorm_group_quant_kernelItDB8_Li128ELi8ELi8ELb1ELb1ELb0ELb0ELb0ELb0EEEvPT0_PvPT_S6_S6_PKS5_S8_S8_S8_S8_ffiiiiiiiiiiiii
; %bb.0:
	s_load_dwordx8 s[20:27], s[4:5], 0x50
	s_waitcnt lgkmcnt(0)
	s_cmp_ge_i32 s6, s22
	s_cbranch_scc1 .LBB382_17
; %bb.1:
	s_cmp_lg_u32 s7, 0
	s_cselect_b64 s[10:11], -1, 0
	s_cmp_eq_u32 s7, 0
	s_cselect_b64 s[8:9], -1, 0
	s_and_b64 s[0:1], s[8:9], exec
	s_load_dwordx2 s[28:29], s[4:5], 0x48
	s_load_dwordx2 s[34:35], s[4:5], 0x30
	s_load_dwordx8 s[12:19], s[4:5], 0x70
	s_cselect_b32 s7, s23, s24
	s_add_i32 s0, s7, 1
	s_lshr_b32 s1, s0, 31
	s_add_i32 s0, s0, s1
	s_lshl_b32 s0, s0, 1
	v_lshlrev_b32_e32 v1, 3, v0
	s_and_b32 s38, s0, -4
	v_cmp_gt_i32_e64 s[0:1], s7, v1
	v_mov_b32_e32 v10, 0
	v_mov_b32_e32 v11, 0
	;; [unrolled: 1-line block ×8, first 2 shown]
	s_and_saveexec_b64 s[2:3], s[0:1]
	s_cbranch_execz .LBB382_3
; %bb.2:
	s_waitcnt lgkmcnt(0)
	s_load_dwordx2 s[18:19], s[4:5], 0x28
	s_load_dwordx2 s[30:31], s[4:5], 0x40
	s_and_b64 s[36:37], s[8:9], exec
	s_cselect_b32 s22, s25, s26
	s_mov_b32 s39, 0x20000
	s_waitcnt lgkmcnt(0)
	s_cselect_b32 s25, s19, s35
	s_cselect_b32 s33, s18, s34
	s_mul_hi_i32 s19, s22, s6
	s_mul_i32 s18, s22, s6
	s_lshl_b64 s[18:19], s[18:19], 1
	s_add_u32 s40, s33, s18
	s_addc_u32 s22, s25, s19
	s_and_b64 s[18:19], s[8:9], exec
	s_cselect_b32 s36, s30, s28
	s_cselect_b32 s18, s31, s29
	v_lshlrev_b32_e32 v2, 4, v0
	s_and_b32 s41, s22, 0xffff
	s_mov_b32 s42, s38
	s_mov_b32 s43, s39
	s_and_b32 s37, s18, 0xffff
	buffer_load_dwordx4 v[14:17], v2, s[40:43], 0 offen glc slc
	buffer_load_dwordx4 v[10:13], v2, s[36:39], 0 offen
.LBB382_3:
	s_or_b64 exec, exec, s[2:3]
	s_and_b64 vcc, exec, s[10:11]
	s_cbranch_vccz .LBB382_7
; %bb.4:
	s_mov_b32 s40, 0
	s_mov_b32 s41, s40
	;; [unrolled: 1-line block ×8, first 2 shown]
	v_pk_mov_b32 v[2:3], s[40:41], s[40:41] op_sel:[0,1]
	v_pk_mov_b32 v[4:5], s[42:43], s[42:43] op_sel:[0,1]
	;; [unrolled: 1-line block ×4, first 2 shown]
	s_and_saveexec_b64 s[2:3], s[0:1]
	s_cbranch_execz .LBB382_6
; %bb.5:
	s_waitcnt vmcnt(1)
	v_cvt_f32_u32_sdwa v3, v14 dst_sel:DWORD dst_unused:UNUSED_PAD src0_sel:WORD_1
	v_cvt_f32_u32_sdwa v2, v14 dst_sel:DWORD dst_unused:UNUSED_PAD src0_sel:WORD_0
	v_cvt_f32_u32_sdwa v5, v15 dst_sel:DWORD dst_unused:UNUSED_PAD src0_sel:WORD_1
	v_cvt_f32_u32_sdwa v4, v15 dst_sel:DWORD dst_unused:UNUSED_PAD src0_sel:WORD_0
	;; [unrolled: 2-line block ×4, first 2 shown]
.LBB382_6:
	s_or_b64 exec, exec, s[2:3]
	s_cbranch_execz .LBB382_8
	s_branch .LBB382_11
.LBB382_7:
                                        ; implicit-def: $vgpr2_vgpr3_vgpr4_vgpr5_vgpr6_vgpr7_vgpr8_vgpr9
.LBB382_8:
	s_mov_b32 s40, 0
	s_mov_b32 s41, s40
	;; [unrolled: 1-line block ×8, first 2 shown]
	v_pk_mov_b32 v[2:3], s[40:41], s[40:41] op_sel:[0,1]
	v_pk_mov_b32 v[4:5], s[42:43], s[42:43] op_sel:[0,1]
	;; [unrolled: 1-line block ×4, first 2 shown]
	s_and_saveexec_b64 s[2:3], s[0:1]
	s_cbranch_execz .LBB382_10
; %bb.9:
	s_waitcnt lgkmcnt(0)
	s_load_dwordx2 s[18:19], s[4:5], 0x38
	s_mul_hi_i32 s31, s27, s6
	s_mul_i32 s30, s27, s6
	s_lshl_b64 s[30:31], s[30:31], 1
	s_mov_b32 s39, 0x20000
	s_waitcnt lgkmcnt(0)
	s_add_u32 s36, s18, s30
	s_addc_u32 s18, s19, s31
	s_and_b32 s37, s18, 0xffff
	v_lshlrev_b32_e32 v26, 4, v0
	buffer_load_dwordx4 v[2:5], v26, s[36:39], 0 offen glc slc
	s_load_dwordx2 s[18:19], s[4:5], 0x20
	s_waitcnt vmcnt(2)
	v_cvt_f32_u32_sdwa v7, v14 dst_sel:DWORD dst_unused:UNUSED_PAD src0_sel:WORD_1
	v_cvt_f32_u32_sdwa v6, v14 dst_sel:DWORD dst_unused:UNUSED_PAD src0_sel:WORD_0
	v_cvt_f32_u32_sdwa v9, v15 dst_sel:DWORD dst_unused:UNUSED_PAD src0_sel:WORD_1
	v_cvt_f32_u32_sdwa v8, v15 dst_sel:DWORD dst_unused:UNUSED_PAD src0_sel:WORD_0
	;; [unrolled: 2-line block ×4, first 2 shown]
	s_mul_hi_i32 s31, s17, s6
	s_mul_i32 s30, s17, s6
	s_lshl_b64 s[30:31], s[30:31], 1
	s_waitcnt lgkmcnt(0)
	s_add_u32 s36, s18, s30
	s_mov_b32 s17, 0x7060302
	s_addc_u32 s18, s19, s31
	s_and_b32 s37, s18, 0xffff
	s_waitcnt vmcnt(0)
	v_cvt_f32_u32_sdwa v17, v2 dst_sel:DWORD dst_unused:UNUSED_PAD src0_sel:WORD_1
	v_cvt_f32_u32_sdwa v16, v2 dst_sel:DWORD dst_unused:UNUSED_PAD src0_sel:WORD_0
	v_cvt_f32_u32_sdwa v21, v3 dst_sel:DWORD dst_unused:UNUSED_PAD src0_sel:WORD_1
	v_cvt_f32_u32_sdwa v20, v3 dst_sel:DWORD dst_unused:UNUSED_PAD src0_sel:WORD_0
	;; [unrolled: 2-line block ×4, first 2 shown]
	v_pk_add_f32 v[2:3], v[6:7], v[16:17]
	v_pk_add_f32 v[4:5], v[8:9], v[20:21]
	;; [unrolled: 1-line block ×4, first 2 shown]
	v_perm_b32 v17, v9, v8, s17
	v_perm_b32 v16, v7, v6, s17
	v_perm_b32 v15, v5, v4, s17
	v_perm_b32 v14, v3, v2, s17
	buffer_store_dwordx4 v[14:17], v26, s[36:39], 0 offen glc slc
	;;#ASMSTART
	s_nop 0
	;;#ASMEND
.LBB382_10:
	s_or_b64 exec, exec, s[2:3]
.LBB382_11:
	s_waitcnt vmcnt(1)
	v_mul_f32_e32 v14, v3, v3
	v_fmac_f32_e32 v14, v2, v2
	v_fmac_f32_e32 v14, v4, v4
	;; [unrolled: 1-line block ×7, first 2 shown]
	v_and_b32_e32 v16, 63, v0
	v_cmp_eq_u32_e64 s[2:3], 63, v16
	v_mov_b32_dpp v15, v14 quad_perm:[1,0,3,2] row_mask:0xf bank_mask:0xf
	v_add_f32_e32 v14, v14, v15
	s_nop 1
	v_mov_b32_dpp v15, v14 quad_perm:[2,3,0,1] row_mask:0xf bank_mask:0xf
	v_add_f32_e32 v14, v14, v15
	s_nop 1
	v_mov_b32_dpp v15, v14 row_half_mirror row_mask:0xf bank_mask:0xf
	v_add_f32_e32 v14, v14, v15
	s_nop 1
	v_mov_b32_dpp v15, v14 row_mirror row_mask:0xf bank_mask:0xf
	v_add_f32_e32 v14, v14, v15
	s_nop 1
	v_mov_b32_dpp v15, v14 row_bcast:15 row_mask:0xf bank_mask:0xf
	v_add_f32_e32 v14, v14, v15
	s_nop 1
	v_mov_b32_dpp v15, v14 row_bcast:31 row_mask:0xf bank_mask:0xf
	s_waitcnt lgkmcnt(0)
	s_and_saveexec_b64 s[18:19], s[2:3]
	s_cbranch_execz .LBB382_13
; %bb.12:
	v_add_f32_e32 v14, v14, v15
	v_lshrrev_b32_e32 v15, 4, v0
	v_and_b32_e32 v15, 60, v15
	ds_write_b32 v15, v14 offset:8
.LBB382_13:
	s_or_b64 exec, exec, s[18:19]
	v_and_b32_e32 v14, 1, v0
	v_lshlrev_b32_e32 v14, 2, v14
	s_waitcnt lgkmcnt(0)
	s_barrier
	ds_read_b32 v15, v14 offset:8
	s_load_dwordx2 s[18:19], s[4:5], 0x18
	s_waitcnt lgkmcnt(0)
	v_mov_b32_dpp v16, v15 quad_perm:[1,0,3,2] row_mask:0xf bank_mask:0xf
	s_and_saveexec_b64 s[30:31], s[0:1]
	s_cbranch_execnz .LBB382_18
; %bb.14:
	s_or_b64 exec, exec, s[30:31]
	s_mov_b64 s[8:9], -1
	s_and_b64 vcc, exec, s[10:11]
	s_cbranch_vccnz .LBB382_19
.LBB382_15:
	s_andn2_b64 vcc, exec, s[8:9]
	s_cbranch_vccz .LBB382_22
.LBB382_16:
	s_cmp_lt_i32 s24, 1
	s_cbranch_scc0 .LBB382_31
.LBB382_17:
	s_endpgm
.LBB382_18:
	v_cvt_f32_u32_e32 v17, s7
	v_add_f32_e32 v15, v15, v16
	v_mov_b32_e32 v19, s21
	v_mov_b32_e32 v20, s20
	v_div_scale_f32 v16, s[36:37], v17, v17, v15
	v_rcp_f32_e32 v18, v16
	v_cndmask_b32_e64 v19, v19, v20, s[8:9]
	s_mov_b32 s7, 0x800000
	v_fma_f32 v20, -v16, v18, 1.0
	v_fmac_f32_e32 v18, v20, v18
	v_div_scale_f32 v20, vcc, v15, v17, v15
	v_mul_f32_e32 v21, v20, v18
	v_fma_f32 v22, -v16, v21, v20
	v_fmac_f32_e32 v21, v22, v18
	v_fma_f32 v16, -v16, v21, v20
	v_div_fmas_f32 v16, v16, v18, v21
	v_div_fixup_f32 v15, v16, v17, v15
	v_add_f32_e32 v15, v19, v15
	v_mul_f32_e32 v16, 0x4b800000, v15
	v_cmp_gt_f32_e32 vcc, s7, v15
	v_cndmask_b32_e32 v15, v15, v16, vcc
	v_rsq_f32_e32 v15, v15
	s_waitcnt vmcnt(0)
	v_cvt_f32_u32_sdwa v19, v11 dst_sel:DWORD dst_unused:UNUSED_PAD src0_sel:WORD_1
	v_cvt_f32_u32_sdwa v18, v11 dst_sel:DWORD dst_unused:UNUSED_PAD src0_sel:WORD_0
	v_cvt_f32_u32_sdwa v11, v12 dst_sel:DWORD dst_unused:UNUSED_PAD src0_sel:WORD_1
	v_mul_f32_e32 v16, 0x45800000, v15
	v_cndmask_b32_e32 v16, v15, v16, vcc
	v_mov_b32_e32 v17, v16
	;;#ASMSTART
	v_pk_mul_f32 v[2:3], v[2:3], v[16:17]
	;;#ASMEND
	;;#ASMSTART
	v_pk_mul_f32 v[4:5], v[4:5], v[16:17]
	;;#ASMEND
	;; [unrolled: 3-line block ×4, first 2 shown]
	v_cvt_f32_u32_sdwa v17, v10 dst_sel:DWORD dst_unused:UNUSED_PAD src0_sel:WORD_1
	v_cvt_f32_u32_sdwa v16, v10 dst_sel:DWORD dst_unused:UNUSED_PAD src0_sel:WORD_0
	v_cvt_f32_u32_sdwa v10, v12 dst_sel:DWORD dst_unused:UNUSED_PAD src0_sel:WORD_0
	v_cvt_f32_u32_sdwa v21, v13 dst_sel:DWORD dst_unused:UNUSED_PAD src0_sel:WORD_1
	v_cvt_f32_u32_sdwa v20, v13 dst_sel:DWORD dst_unused:UNUSED_PAD src0_sel:WORD_0
	;;#ASMSTART
	v_pk_mul_f32 v[2:3], v[2:3], v[16:17]
	;;#ASMEND
	;;#ASMSTART
	v_pk_mul_f32 v[4:5], v[4:5], v[18:19]
	;;#ASMEND
	;; [unrolled: 3-line block ×4, first 2 shown]
	s_or_b64 exec, exec, s[30:31]
	s_mov_b64 s[8:9], -1
	s_and_b64 vcc, exec, s[10:11]
	s_cbranch_vccz .LBB382_15
.LBB382_19:
	s_and_saveexec_b64 s[8:9], s[0:1]
	s_cbranch_execz .LBB382_21
; %bb.20:
	s_mul_hi_i32 s11, s16, s6
	s_mul_i32 s10, s16, s6
	s_lshl_b64 s[10:11], s[10:11], 1
	s_add_u32 s36, s18, s10
	s_addc_u32 s7, s19, s11
	s_and_b32 s37, s7, 0xffff
	s_mov_b32 s7, 0x7060302
	s_mov_b32 s39, 0x20000
	s_waitcnt vmcnt(0)
	v_perm_b32 v10, v3, v2, s7
	v_perm_b32 v11, v5, v4, s7
	;; [unrolled: 1-line block ×4, first 2 shown]
	v_lshlrev_b32_e32 v15, 4, v0
	buffer_store_dwordx4 v[10:13], v15, s[36:39], 0 offen
	;;#ASMSTART
	s_nop 0
	;;#ASMEND
.LBB382_21:
	s_or_b64 exec, exec, s[8:9]
	s_cbranch_execnz .LBB382_16
.LBB382_22:
	s_waitcnt vmcnt(0)
	v_mov_b32_e32 v10, 0
	s_and_saveexec_b64 s[8:9], s[0:1]
	s_cbranch_execz .LBB382_24
; %bb.23:
	s_load_dwordx2 s[10:11], s[4:5], 0x10
	s_mul_hi_i32 s31, s15, s6
	s_mul_i32 s30, s15, s6
	s_lshl_b64 s[30:31], s[30:31], 1
	s_mov_b32 s39, 0x20000
	s_waitcnt lgkmcnt(0)
	s_add_u32 s36, s10, s30
	s_addc_u32 s7, s11, s31
	s_and_b32 s37, s7, 0xffff
	s_mov_b32 s7, 0x7060302
	v_perm_b32 v10, v3, v2, s7
	v_perm_b32 v11, v5, v4, s7
	;; [unrolled: 1-line block ×4, first 2 shown]
	v_lshlrev_b32_e32 v15, 4, v0
	buffer_store_dwordx4 v[10:13], v15, s[36:39], 0 offen
	;;#ASMSTART
	s_nop 0
	;;#ASMEND
	s_nop 0
	v_mov_b32_e32 v10, 0x2edbe6ff
.LBB382_24:
	s_or_b64 exec, exec, s[8:9]
	s_and_saveexec_b64 s[8:9], s[0:1]
	s_cbranch_execz .LBB382_26
; %bb.25:
	v_and_b32_e32 v11, 0x7fffffff, v2
	v_and_b32_e32 v12, 0x7fffffff, v3
	;;#ASMSTART
	v_max3_f32 v10, v10, v11, v12

	;;#ASMEND
	v_and_b32_e32 v11, 0x7fffffff, v4
	v_and_b32_e32 v12, 0x7fffffff, v5
	;;#ASMSTART
	v_max3_f32 v10, v10, v11, v12

	;;#ASMEND
	;; [unrolled: 6-line block ×4, first 2 shown]
.LBB382_26:
	s_or_b64 exec, exec, s[8:9]
	;;#ASMSTART
	v_max_f32 v11, v10, v10 quad_perm:[1,0,3,2] row_mask:0xf bank_mask:0xf bound_ctrl:1
	;;#ASMEND
	;;#ASMSTART
	v_max_f32 v10, v11, v11 quad_perm:[2,3,0,1] row_mask:0xf bank_mask:0xf bound_ctrl:1
	;;#ASMEND
	;;#ASMSTART
	v_max_f32 v11, v10, v10 row_half_mirror row_mask:0xf bank_mask:0xf bound_ctrl:1
	;;#ASMEND
	v_mul_f32_e32 v10, 0x3b124925, v11
	v_and_b32_e32 v11, 7, v0
	v_cmp_eq_u32_e32 vcc, 0, v11
	v_cmp_gt_i32_e64 s[8:9], s23, v1
	s_and_b64 s[10:11], vcc, s[8:9]
	s_and_saveexec_b64 s[8:9], s[10:11]
	s_cbranch_execz .LBB382_28
; %bb.27:
	s_load_dwordx2 s[10:11], s[4:5], 0x8
	v_lshrrev_b32_e32 v11, 3, v0
	s_mul_hi_i32 s31, s13, s6
	s_mul_i32 s30, s13, s6
	v_mad_i64_i32 v[12:13], s[14:15], s14, v11, 0
	s_lshl_b64 s[14:15], s[30:31], 2
	s_waitcnt lgkmcnt(0)
	s_add_u32 s7, s10, s14
	s_addc_u32 s10, s11, s15
	v_lshlrev_b64 v[12:13], 2, v[12:13]
	v_mov_b32_e32 v11, s10
	v_add_co_u32_e32 v12, vcc, s7, v12
	v_addc_co_u32_e32 v13, vcc, v11, v13, vcc
	global_store_dword v[12:13], v10, off
.LBB382_28:
	s_or_b64 exec, exec, s[8:9]
	;;#ASMSTART
	v_rcp_f32 v10, v10
	;;#ASMEND
	s_and_saveexec_b64 s[14:15], s[0:1]
	s_cbranch_execz .LBB382_30
; %bb.29:
	s_load_dwordx2 s[0:1], s[4:5], 0x0
	s_mul_i32 s8, s12, s6
	v_mov_b32_e32 v11, v10
	;;#ASMSTART
	v_pk_mul_f32 v[2:3], v[2:3], v[10:11]
	;;#ASMEND
	s_mul_hi_i32 s7, s12, s6
	s_waitcnt lgkmcnt(0)
	s_add_u32 s8, s0, s8
	v_mov_b32_e32 v12, 0xc3e00000
	v_mov_b32_e32 v13, 0x43e00000
	;;#ASMSTART
	v_med3_f32 v2, v2, v12, v13
v_med3_f32 v3, v3, v12, v13
v_cvt_pk_fp8_f32 v15, v2, v3
	;;#ASMEND
	s_addc_u32 s0, s1, s7
	;;#ASMSTART
	v_pk_mul_f32 v[2:3], v[4:5], v[10:11]
	;;#ASMEND
	s_and_b32 s9, s0, 0xffff
	;;#ASMSTART
	v_med3_f32 v2, v2, v12, v13
v_med3_f32 v3, v3, v12, v13
v_cvt_pk_fp8_f32 v4, v2, v3
	;;#ASMEND
	s_mov_b32 s0, 0x5040100
	v_perm_b32 v3, v4, v15, s0
	s_movk_i32 s0, 0xff
	v_and_b32_e32 v2, 0xffffff00, v4
	v_and_b32_sdwa v4, v3, s0 dst_sel:DWORD dst_unused:UNUSED_PAD src0_sel:WORD_1 src1_sel:DWORD
	s_mov_b32 s12, 0xffff
	v_or_b32_sdwa v2, v4, v2 dst_sel:WORD_1 dst_unused:UNUSED_PAD src0_sel:DWORD src1_sel:DWORD
	v_and_or_b32 v2, v3, s12, v2
	;;#ASMSTART
	v_pk_mul_f32 v[4:5], v[6:7], v[10:11]
	;;#ASMEND
	v_mov_b32_e32 v3, v5
	s_add_i32 s1, s23, 3
	;;#ASMSTART
	v_med3_f32 v4, v4, v12, v13
v_med3_f32 v3, v3, v12, v13
v_cvt_pk_fp8_f32 v6, v4, v3
	;;#ASMEND
	s_ashr_i32 s7, s1, 31
	;;#ASMSTART
	v_pk_mul_f32 v[4:5], v[8:9], v[10:11]
	;;#ASMEND
	v_mov_b32_e32 v3, v4
	s_lshr_b32 s7, s7, 30
	;;#ASMSTART
	v_med3_f32 v3, v3, v12, v13
v_med3_f32 v5, v5, v12, v13
v_cvt_pk_fp8_f32 v4, v3, v5
	;;#ASMEND
	s_add_i32 s1, s1, s7
	v_lshlrev_b32_e32 v3, 16, v4
	s_and_b32 s10, s1, -4
	s_mov_b32 s11, 0x20000
	v_and_or_b32 v3, v6, s12, v3
	buffer_store_dwordx2 v[2:3], v1, s[8:11], 0 offen
	;;#ASMSTART
	s_nop 0
	;;#ASMEND
.LBB382_30:
	s_or_b64 exec, exec, s[14:15]
	s_cmp_lt_i32 s24, 1
	s_cbranch_scc1 .LBB382_17
.LBB382_31:
	s_load_dword s0, s[4:5], 0x94
	s_waitcnt lgkmcnt(0)
	s_cmp_lg_u32 s0, 1
	s_cbranch_scc1 .LBB382_17
; %bb.32:
	s_lshl_b32 s0, s24, 1
	s_add_i32 s0, s0, 2
	v_cmp_gt_u32_e32 vcc, s24, v1
	s_and_b32 s30, s0, -4
	v_mov_b32_e32 v6, 0
	v_lshlrev_b32_e32 v1, 4, v0
	v_mov_b32_e32 v7, 0
	v_mov_b32_e32 v8, 0
	;; [unrolled: 1-line block ×7, first 2 shown]
	s_barrier
	s_and_saveexec_b64 s[0:1], vcc
	s_cbranch_execz .LBB382_34
; %bb.33:
	s_mul_hi_i32 s5, s26, s6
	s_mul_i32 s4, s26, s6
	s_and_b32 s29, s29, 0xffff
	s_lshl_b64 s[4:5], s[4:5], 1
	s_add_u32 s8, s34, s4
	s_mov_b32 s31, 0x20000
	s_addc_u32 s4, s35, s5
	s_and_b32 s9, s4, 0xffff
	s_mov_b32 s10, s30
	s_mov_b32 s11, s31
	buffer_load_dwordx4 v[6:9], v1, s[8:11], 0 offen glc slc
	buffer_load_dwordx4 v[2:5], v1, s[28:31], 0 offen
.LBB382_34:
	s_or_b64 exec, exec, s[0:1]
	s_waitcnt vmcnt(0)
	v_cvt_f32_u32_sdwa v13, v6 dst_sel:DWORD dst_unused:UNUSED_PAD src0_sel:WORD_1
	v_cvt_f32_u32_sdwa v12, v6 dst_sel:DWORD dst_unused:UNUSED_PAD src0_sel:WORD_0
	v_cvt_f32_u32_sdwa v6, v9 dst_sel:DWORD dst_unused:UNUSED_PAD src0_sel:WORD_1
	v_cvt_f32_u32_sdwa v9, v9 dst_sel:DWORD dst_unused:UNUSED_PAD src0_sel:WORD_0
	;; [unrolled: 2-line block ×4, first 2 shown]
	v_cndmask_b32_e32 v13, 0, v13, vcc
	v_cndmask_b32_e32 v7, 0, v6, vcc
	;; [unrolled: 1-line block ×5, first 2 shown]
	v_mul_f32_e32 v15, v13, v13
	v_cndmask_b32_e32 v10, 0, v10, vcc
	v_fmac_f32_e32 v15, v12, v12
	v_cndmask_b32_e32 v11, 0, v11, vcc
	v_fmac_f32_e32 v15, v10, v10
	;; [unrolled: 2-line block ×3, first 2 shown]
	v_fmac_f32_e32 v15, v8, v8
	v_fmac_f32_e32 v15, v9, v9
	;; [unrolled: 1-line block ×4, first 2 shown]
	s_nop 1
	v_mov_b32_dpp v16, v15 quad_perm:[1,0,3,2] row_mask:0xf bank_mask:0xf
	v_add_f32_e32 v15, v15, v16
	s_nop 1
	v_mov_b32_dpp v16, v15 quad_perm:[2,3,0,1] row_mask:0xf bank_mask:0xf
	v_add_f32_e32 v15, v15, v16
	s_nop 1
	v_mov_b32_dpp v16, v15 row_half_mirror row_mask:0xf bank_mask:0xf
	v_add_f32_e32 v15, v15, v16
	s_nop 1
	v_mov_b32_dpp v16, v15 row_mirror row_mask:0xf bank_mask:0xf
	v_add_f32_e32 v15, v15, v16
	s_nop 1
	v_mov_b32_dpp v16, v15 row_bcast:15 row_mask:0xf bank_mask:0xf
	v_add_f32_e32 v15, v15, v16
	s_nop 1
	v_mov_b32_dpp v16, v15 row_bcast:31 row_mask:0xf bank_mask:0xf
	s_and_saveexec_b64 s[0:1], s[2:3]
	s_cbranch_execz .LBB382_36
; %bb.35:
	v_lshrrev_b32_e32 v0, 4, v0
	v_add_f32_e32 v15, v15, v16
	v_and_b32_e32 v0, 60, v0
	ds_write_b32 v0, v15
.LBB382_36:
	s_or_b64 exec, exec, s[0:1]
	s_waitcnt lgkmcnt(0)
	s_barrier
	ds_read_b32 v0, v14
	s_waitcnt lgkmcnt(0)
	s_nop 0
	v_mov_b32_dpp v14, v0 quad_perm:[1,0,3,2] row_mask:0xf bank_mask:0xf
	s_and_saveexec_b64 s[0:1], vcc
	s_cbranch_execz .LBB382_17
; %bb.37:
	v_cvt_f32_u32_e32 v15, s24
	v_add_f32_e32 v0, v0, v14
	s_mov_b32 s31, 0x20000
	v_div_scale_f32 v14, s[0:1], v15, v15, v0
	v_rcp_f32_e32 v16, v14
	v_div_scale_f32 v17, vcc, v0, v15, v0
	s_mov_b32 s0, 0x800000
	v_fma_f32 v18, -v14, v16, 1.0
	v_fmac_f32_e32 v16, v18, v16
	v_mul_f32_e32 v18, v17, v16
	v_fma_f32 v19, -v14, v18, v17
	v_fmac_f32_e32 v18, v19, v16
	v_fma_f32 v14, -v14, v18, v17
	v_div_fmas_f32 v14, v14, v16, v18
	v_div_fixup_f32 v0, v14, v15, v0
	v_add_f32_e32 v0, s21, v0
	v_mul_f32_e32 v14, 0x4b800000, v0
	v_cmp_gt_f32_e32 vcc, s0, v0
	v_cndmask_b32_e32 v0, v0, v14, vcc
	v_rsq_f32_e32 v0, v0
	s_mul_hi_i32 s1, s16, s6
	s_mul_i32 s0, s16, s6
	s_lshl_b64 s[0:1], s[0:1], 1
	v_mul_f32_e32 v14, 0x45800000, v0
	v_cndmask_b32_e32 v14, v0, v14, vcc
	s_add_u32 s28, s18, s0
	v_mov_b32_e32 v15, v14
	s_addc_u32 s0, s19, s1
	;;#ASMSTART
	v_pk_mul_f32 v[12:13], v[12:13], v[14:15]
	;;#ASMEND
	;;#ASMSTART
	v_pk_mul_f32 v[10:11], v[10:11], v[14:15]
	;;#ASMEND
	;; [unrolled: 3-line block ×4, first 2 shown]
	v_cvt_f32_u32_sdwa v15, v2 dst_sel:DWORD dst_unused:UNUSED_PAD src0_sel:WORD_1
	v_cvt_f32_u32_sdwa v14, v2 dst_sel:DWORD dst_unused:UNUSED_PAD src0_sel:WORD_0
	v_cvt_f32_u32_sdwa v17, v3 dst_sel:DWORD dst_unused:UNUSED_PAD src0_sel:WORD_1
	v_cvt_f32_u32_sdwa v16, v3 dst_sel:DWORD dst_unused:UNUSED_PAD src0_sel:WORD_0
	;; [unrolled: 2-line block ×4, first 2 shown]
	;;#ASMSTART
	v_pk_mul_f32 v[4:5], v[12:13], v[14:15]
	;;#ASMEND
	s_and_b32 s29, s0, 0xffff
	s_mov_b32 s0, 0x7060302
	;;#ASMSTART
	v_pk_mul_f32 v[10:11], v[10:11], v[16:17]
	;;#ASMEND
	;;#ASMSTART
	v_pk_mul_f32 v[8:9], v[8:9], v[2:3]
	;;#ASMEND
	;; [unrolled: 3-line block ×3, first 2 shown]
	v_perm_b32 v2, v5, v4, s0
	v_perm_b32 v3, v11, v10, s0
	;; [unrolled: 1-line block ×4, first 2 shown]
	buffer_store_dwordx4 v[2:5], v1, s[28:31], 0 offen
	;;#ASMSTART
	s_nop 0
	;;#ASMEND
	s_endpgm
	.section	.rodata,"a",@progbits
	.p2align	6, 0x0
	.amdhsa_kernel _ZN5aiter35fused_qk_rmsnorm_group_quant_kernelItDB8_Li128ELi8ELi8ELb1ELb1ELb0ELb0ELb0ELb0EEEvPT0_PvPT_S6_S6_PKS5_S8_S8_S8_S8_ffiiiiiiiiiiiii
		.amdhsa_group_segment_fixed_size 16
		.amdhsa_private_segment_fixed_size 0
		.amdhsa_kernarg_size 400
		.amdhsa_user_sgpr_count 6
		.amdhsa_user_sgpr_private_segment_buffer 1
		.amdhsa_user_sgpr_dispatch_ptr 0
		.amdhsa_user_sgpr_queue_ptr 0
		.amdhsa_user_sgpr_kernarg_segment_ptr 1
		.amdhsa_user_sgpr_dispatch_id 0
		.amdhsa_user_sgpr_flat_scratch_init 0
		.amdhsa_user_sgpr_kernarg_preload_length 0
		.amdhsa_user_sgpr_kernarg_preload_offset 0
		.amdhsa_user_sgpr_private_segment_size 0
		.amdhsa_uses_dynamic_stack 0
		.amdhsa_system_sgpr_private_segment_wavefront_offset 0
		.amdhsa_system_sgpr_workgroup_id_x 1
		.amdhsa_system_sgpr_workgroup_id_y 1
		.amdhsa_system_sgpr_workgroup_id_z 0
		.amdhsa_system_sgpr_workgroup_info 0
		.amdhsa_system_vgpr_workitem_id 0
		.amdhsa_next_free_vgpr 27
		.amdhsa_next_free_sgpr 48
		.amdhsa_accum_offset 28
		.amdhsa_reserve_vcc 1
		.amdhsa_reserve_flat_scratch 0
		.amdhsa_float_round_mode_32 0
		.amdhsa_float_round_mode_16_64 0
		.amdhsa_float_denorm_mode_32 3
		.amdhsa_float_denorm_mode_16_64 3
		.amdhsa_dx10_clamp 1
		.amdhsa_ieee_mode 1
		.amdhsa_fp16_overflow 0
		.amdhsa_tg_split 0
		.amdhsa_exception_fp_ieee_invalid_op 0
		.amdhsa_exception_fp_denorm_src 0
		.amdhsa_exception_fp_ieee_div_zero 0
		.amdhsa_exception_fp_ieee_overflow 0
		.amdhsa_exception_fp_ieee_underflow 0
		.amdhsa_exception_fp_ieee_inexact 0
		.amdhsa_exception_int_div_zero 0
	.end_amdhsa_kernel
	.section	.text._ZN5aiter35fused_qk_rmsnorm_group_quant_kernelItDB8_Li128ELi8ELi8ELb1ELb1ELb0ELb0ELb0ELb0EEEvPT0_PvPT_S6_S6_PKS5_S8_S8_S8_S8_ffiiiiiiiiiiiii,"axG",@progbits,_ZN5aiter35fused_qk_rmsnorm_group_quant_kernelItDB8_Li128ELi8ELi8ELb1ELb1ELb0ELb0ELb0ELb0EEEvPT0_PvPT_S6_S6_PKS5_S8_S8_S8_S8_ffiiiiiiiiiiiii,comdat
.Lfunc_end382:
	.size	_ZN5aiter35fused_qk_rmsnorm_group_quant_kernelItDB8_Li128ELi8ELi8ELb1ELb1ELb0ELb0ELb0ELb0EEEvPT0_PvPT_S6_S6_PKS5_S8_S8_S8_S8_ffiiiiiiiiiiiii, .Lfunc_end382-_ZN5aiter35fused_qk_rmsnorm_group_quant_kernelItDB8_Li128ELi8ELi8ELb1ELb1ELb0ELb0ELb0ELb0EEEvPT0_PvPT_S6_S6_PKS5_S8_S8_S8_S8_ffiiiiiiiiiiiii
                                        ; -- End function
	.section	.AMDGPU.csdata,"",@progbits
; Kernel info:
; codeLenInByte = 3024
; NumSgprs: 52
; NumVgprs: 27
; NumAgprs: 0
; TotalNumVgprs: 27
; ScratchSize: 0
; MemoryBound: 0
; FloatMode: 240
; IeeeMode: 1
; LDSByteSize: 16 bytes/workgroup (compile time only)
; SGPRBlocks: 6
; VGPRBlocks: 3
; NumSGPRsForWavesPerEU: 52
; NumVGPRsForWavesPerEU: 27
; AccumOffset: 28
; Occupancy: 8
; WaveLimiterHint : 0
; COMPUTE_PGM_RSRC2:SCRATCH_EN: 0
; COMPUTE_PGM_RSRC2:USER_SGPR: 6
; COMPUTE_PGM_RSRC2:TRAP_HANDLER: 0
; COMPUTE_PGM_RSRC2:TGID_X_EN: 1
; COMPUTE_PGM_RSRC2:TGID_Y_EN: 1
; COMPUTE_PGM_RSRC2:TGID_Z_EN: 0
; COMPUTE_PGM_RSRC2:TIDIG_COMP_CNT: 0
; COMPUTE_PGM_RSRC3_GFX90A:ACCUM_OFFSET: 6
; COMPUTE_PGM_RSRC3_GFX90A:TG_SPLIT: 0
	.section	.text._ZN5aiter35fused_qk_rmsnorm_group_quant_kernelIDF16_N4opus5fp4_tELi128ELi8ELi8ELb1ELb1ELb0ELb0ELb0ELb0EEEvPT0_PvPT_S7_S7_PKS6_S9_S9_S9_S9_ffiiiiiiiiiiiii,"axG",@progbits,_ZN5aiter35fused_qk_rmsnorm_group_quant_kernelIDF16_N4opus5fp4_tELi128ELi8ELi8ELb1ELb1ELb0ELb0ELb0ELb0EEEvPT0_PvPT_S7_S7_PKS6_S9_S9_S9_S9_ffiiiiiiiiiiiii,comdat
	.protected	_ZN5aiter35fused_qk_rmsnorm_group_quant_kernelIDF16_N4opus5fp4_tELi128ELi8ELi8ELb1ELb1ELb0ELb0ELb0ELb0EEEvPT0_PvPT_S7_S7_PKS6_S9_S9_S9_S9_ffiiiiiiiiiiiii ; -- Begin function _ZN5aiter35fused_qk_rmsnorm_group_quant_kernelIDF16_N4opus5fp4_tELi128ELi8ELi8ELb1ELb1ELb0ELb0ELb0ELb0EEEvPT0_PvPT_S7_S7_PKS6_S9_S9_S9_S9_ffiiiiiiiiiiiii
	.globl	_ZN5aiter35fused_qk_rmsnorm_group_quant_kernelIDF16_N4opus5fp4_tELi128ELi8ELi8ELb1ELb1ELb0ELb0ELb0ELb0EEEvPT0_PvPT_S7_S7_PKS6_S9_S9_S9_S9_ffiiiiiiiiiiiii
	.p2align	8
	.type	_ZN5aiter35fused_qk_rmsnorm_group_quant_kernelIDF16_N4opus5fp4_tELi128ELi8ELi8ELb1ELb1ELb0ELb0ELb0ELb0EEEvPT0_PvPT_S7_S7_PKS6_S9_S9_S9_S9_ffiiiiiiiiiiiii,@function
_ZN5aiter35fused_qk_rmsnorm_group_quant_kernelIDF16_N4opus5fp4_tELi128ELi8ELi8ELb1ELb1ELb0ELb0ELb0ELb0EEEvPT0_PvPT_S7_S7_PKS6_S9_S9_S9_S9_ffiiiiiiiiiiiii: ; @_ZN5aiter35fused_qk_rmsnorm_group_quant_kernelIDF16_N4opus5fp4_tELi128ELi8ELi8ELb1ELb1ELb0ELb0ELb0ELb0EEEvPT0_PvPT_S7_S7_PKS6_S9_S9_S9_S9_ffiiiiiiiiiiiii
; %bb.0:
	s_load_dwordx8 s[20:27], s[4:5], 0x50
	s_waitcnt lgkmcnt(0)
	s_cmp_ge_i32 s6, s22
	s_cbranch_scc1 .LBB383_17
; %bb.1:
	s_cmp_lg_u32 s7, 0
	s_cselect_b64 s[30:31], -1, 0
	s_cmp_eq_u32 s7, 0
	s_cselect_b64 s[8:9], -1, 0
	s_and_b64 s[0:1], s[8:9], exec
	s_load_dwordx2 s[28:29], s[4:5], 0x48
	s_load_dwordx2 s[10:11], s[4:5], 0x30
	s_load_dwordx8 s[12:19], s[4:5], 0x70
	s_cselect_b32 s7, s23, s24
	s_add_i32 s0, s7, 1
	s_lshr_b32 s1, s0, 31
	s_add_i32 s0, s0, s1
	s_lshl_b32 s0, s0, 1
	v_lshlrev_b32_e32 v1, 3, v0
	s_and_b32 s38, s0, -4
	v_cmp_gt_i32_e64 s[0:1], s7, v1
	v_mov_b32_e32 v2, 0
	v_mov_b32_e32 v3, 0
	;; [unrolled: 1-line block ×8, first 2 shown]
	s_and_saveexec_b64 s[2:3], s[0:1]
	s_cbranch_execz .LBB383_3
; %bb.2:
	s_waitcnt lgkmcnt(0)
	s_load_dwordx2 s[18:19], s[4:5], 0x28
	s_load_dwordx2 s[34:35], s[4:5], 0x40
	s_and_b64 s[36:37], s[8:9], exec
	s_cselect_b32 s22, s25, s26
	s_mov_b32 s39, 0x20000
	s_waitcnt lgkmcnt(0)
	s_cselect_b32 s25, s19, s11
	s_cselect_b32 s33, s18, s10
	s_mul_hi_i32 s19, s22, s6
	s_mul_i32 s18, s22, s6
	s_lshl_b64 s[18:19], s[18:19], 1
	s_add_u32 s40, s33, s18
	s_addc_u32 s22, s25, s19
	s_and_b64 s[18:19], s[8:9], exec
	s_cselect_b32 s36, s34, s28
	s_cselect_b32 s18, s35, s29
	v_lshlrev_b32_e32 v10, 4, v0
	s_and_b32 s41, s22, 0xffff
	s_mov_b32 s42, s38
	s_mov_b32 s43, s39
	s_and_b32 s37, s18, 0xffff
	buffer_load_dwordx4 v[6:9], v10, s[40:43], 0 offen glc slc
	buffer_load_dwordx4 v[2:5], v10, s[36:39], 0 offen
.LBB383_3:
	s_or_b64 exec, exec, s[2:3]
	s_and_b64 vcc, exec, s[30:31]
	s_cbranch_vccz .LBB383_7
; %bb.4:
	v_mov_b32_e32 v11, 0
	v_mov_b32_e32 v10, 0
	;; [unrolled: 1-line block ×8, first 2 shown]
	s_and_saveexec_b64 s[2:3], s[0:1]
	s_cbranch_execz .LBB383_6
; %bb.5:
	s_waitcnt vmcnt(1)
	v_cvt_f32_f16_sdwa v17, v6 dst_sel:DWORD dst_unused:UNUSED_PAD src0_sel:WORD_1
	v_cvt_f32_f16_e32 v16, v6
	v_cvt_f32_f16_sdwa v15, v7 dst_sel:DWORD dst_unused:UNUSED_PAD src0_sel:WORD_1
	v_cvt_f32_f16_e32 v14, v7
	;; [unrolled: 2-line block ×4, first 2 shown]
.LBB383_6:
	s_or_b64 exec, exec, s[2:3]
	s_cbranch_execz .LBB383_8
	s_branch .LBB383_11
.LBB383_7:
                                        ; implicit-def: $vgpr11
                                        ; implicit-def: $vgpr13
                                        ; implicit-def: $vgpr15
                                        ; implicit-def: $vgpr17
.LBB383_8:
	v_mov_b32_e32 v11, 0
	v_mov_b32_e32 v10, 0
	v_mov_b32_e32 v13, 0
	v_mov_b32_e32 v12, 0
	v_mov_b32_e32 v15, 0
	v_mov_b32_e32 v14, 0
	v_mov_b32_e32 v17, 0
	v_mov_b32_e32 v16, 0
	s_and_saveexec_b64 s[2:3], s[0:1]
	s_cbranch_execz .LBB383_10
; %bb.9:
	s_waitcnt lgkmcnt(0)
	s_load_dwordx2 s[18:19], s[4:5], 0x38
	s_mul_hi_i32 s35, s27, s6
	s_mul_i32 s34, s27, s6
	s_lshl_b64 s[34:35], s[34:35], 1
	s_mov_b32 s39, 0x20000
	s_waitcnt lgkmcnt(0)
	s_add_u32 s36, s18, s34
	s_addc_u32 s18, s19, s35
	s_and_b32 s37, s18, 0xffff
	v_lshlrev_b32_e32 v26, 4, v0
	buffer_load_dwordx4 v[10:13], v26, s[36:39], 0 offen glc slc
	s_waitcnt vmcnt(2)
	v_cvt_f32_f16_sdwa v15, v6 dst_sel:DWORD dst_unused:UNUSED_PAD src0_sel:WORD_1
	v_cvt_f32_f16_e32 v14, v6
	v_cvt_f32_f16_sdwa v19, v7 dst_sel:DWORD dst_unused:UNUSED_PAD src0_sel:WORD_1
	v_cvt_f32_f16_e32 v18, v7
	;; [unrolled: 2-line block ×4, first 2 shown]
	s_load_dwordx2 s[18:19], s[4:5], 0x20
	s_mul_hi_i32 s35, s17, s6
	s_mul_i32 s34, s17, s6
	s_lshl_b64 s[34:35], s[34:35], 1
	s_waitcnt lgkmcnt(0)
	s_add_u32 s36, s18, s34
	s_addc_u32 s17, s19, s35
	s_and_b32 s37, s17, 0xffff
	s_waitcnt vmcnt(0)
	v_cvt_f32_f16_e32 v8, v10
	v_cvt_f32_f16_sdwa v9, v10 dst_sel:DWORD dst_unused:UNUSED_PAD src0_sel:WORD_1
	v_cvt_f32_f16_e32 v10, v11
	v_cvt_f32_f16_sdwa v11, v11 dst_sel:DWORD dst_unused:UNUSED_PAD src0_sel:WORD_1
	;; [unrolled: 2-line block ×4, first 2 shown]
	v_pk_add_f32 v[16:17], v[14:15], v[8:9]
	v_pk_add_f32 v[14:15], v[18:19], v[10:11]
	;; [unrolled: 1-line block ×4, first 2 shown]
	v_cvt_f16_f32_e32 v6, v17
	v_cvt_f16_f32_e32 v7, v15
	;; [unrolled: 1-line block ×8, first 2 shown]
	v_pack_b32_f16 v9, v18, v9
	v_pack_b32_f16 v8, v19, v8
	;; [unrolled: 1-line block ×4, first 2 shown]
	buffer_store_dwordx4 v[6:9], v26, s[36:39], 0 offen glc slc
	;;#ASMSTART
	s_nop 0
	;;#ASMEND
.LBB383_10:
	s_or_b64 exec, exec, s[2:3]
.LBB383_11:
	s_waitcnt vmcnt(1)
	v_mul_f32_e32 v6, v17, v17
	v_fmac_f32_e32 v6, v16, v16
	v_fmac_f32_e32 v6, v14, v14
	;; [unrolled: 1-line block ×7, first 2 shown]
	v_and_b32_e32 v8, 63, v0
	v_cmp_eq_u32_e64 s[2:3], 63, v8
	v_mov_b32_dpp v7, v6 quad_perm:[1,0,3,2] row_mask:0xf bank_mask:0xf
	v_add_f32_e32 v6, v6, v7
	s_nop 1
	v_mov_b32_dpp v7, v6 quad_perm:[2,3,0,1] row_mask:0xf bank_mask:0xf
	v_add_f32_e32 v6, v6, v7
	s_nop 1
	v_mov_b32_dpp v7, v6 row_half_mirror row_mask:0xf bank_mask:0xf
	v_add_f32_e32 v6, v6, v7
	s_nop 1
	v_mov_b32_dpp v7, v6 row_mirror row_mask:0xf bank_mask:0xf
	v_add_f32_e32 v6, v6, v7
	s_nop 1
	v_mov_b32_dpp v7, v6 row_bcast:15 row_mask:0xf bank_mask:0xf
	v_add_f32_e32 v6, v6, v7
	s_nop 1
	v_mov_b32_dpp v7, v6 row_bcast:31 row_mask:0xf bank_mask:0xf
	s_waitcnt lgkmcnt(0)
	s_and_saveexec_b64 s[18:19], s[2:3]
	s_cbranch_execz .LBB383_13
; %bb.12:
	v_add_f32_e32 v6, v6, v7
	v_lshrrev_b32_e32 v7, 4, v0
	v_and_b32_e32 v7, 60, v7
	ds_write_b32 v7, v6 offset:8
.LBB383_13:
	s_or_b64 exec, exec, s[18:19]
	v_and_b32_e32 v6, 1, v0
	v_lshlrev_b32_e32 v18, 2, v6
	s_waitcnt lgkmcnt(0)
	s_barrier
	ds_read_b32 v6, v18 offset:8
	s_load_dwordx2 s[18:19], s[4:5], 0x18
	s_waitcnt lgkmcnt(0)
	v_mov_b32_dpp v7, v6 quad_perm:[1,0,3,2] row_mask:0xf bank_mask:0xf
	s_and_saveexec_b64 s[34:35], s[0:1]
	s_cbranch_execnz .LBB383_18
; %bb.14:
	s_or_b64 exec, exec, s[34:35]
	s_mov_b64 s[8:9], -1
	s_and_b64 vcc, exec, s[30:31]
	s_cbranch_vccnz .LBB383_19
.LBB383_15:
	s_andn2_b64 vcc, exec, s[8:9]
	s_cbranch_vccz .LBB383_22
.LBB383_16:
	s_cmp_lt_i32 s24, 1
	s_cbranch_scc0 .LBB383_31
.LBB383_17:
	s_endpgm
.LBB383_18:
	v_cvt_f32_u32_e32 v8, s7
	v_add_f32_e32 v6, v6, v7
	v_mov_b32_e32 v19, s21
	v_mov_b32_e32 v20, s20
	v_div_scale_f32 v7, s[36:37], v8, v8, v6
	v_rcp_f32_e32 v9, v7
	v_cndmask_b32_e64 v19, v19, v20, s[8:9]
	s_mov_b32 s7, 0x800000
	s_waitcnt vmcnt(0)
	v_cvt_f32_f16_sdwa v23, v5 dst_sel:DWORD dst_unused:UNUSED_PAD src0_sel:WORD_1
	v_fma_f32 v20, -v7, v9, 1.0
	v_fmac_f32_e32 v9, v20, v9
	v_div_scale_f32 v20, vcc, v6, v8, v6
	v_mul_f32_e32 v21, v20, v9
	v_fma_f32 v22, -v7, v21, v20
	v_fmac_f32_e32 v21, v22, v9
	v_fma_f32 v7, -v7, v21, v20
	v_div_fmas_f32 v7, v7, v9, v21
	v_div_fixup_f32 v6, v7, v8, v6
	v_add_f32_e32 v6, v19, v6
	v_mul_f32_e32 v7, 0x4b800000, v6
	v_cmp_gt_f32_e32 vcc, s7, v6
	v_cndmask_b32_e32 v6, v6, v7, vcc
	v_rsq_f32_e32 v6, v6
	v_cvt_f32_f16_sdwa v21, v3 dst_sel:DWORD dst_unused:UNUSED_PAD src0_sel:WORD_1
	v_cvt_f32_f16_e32 v20, v3
	v_cvt_f32_f16_sdwa v3, v4 dst_sel:DWORD dst_unused:UNUSED_PAD src0_sel:WORD_1
	v_mul_f32_e32 v7, 0x45800000, v6
	v_cndmask_b32_e32 v6, v6, v7, vcc
	v_mov_b32_e32 v7, v6
	;;#ASMSTART
	v_pk_mul_f32 v[8:9], v[16:17], v[6:7]
	;;#ASMEND
	;;#ASMSTART
	v_pk_mul_f32 v[14:15], v[14:15], v[6:7]
	;;#ASMEND
	;; [unrolled: 3-line block ×4, first 2 shown]
	v_cvt_f32_f16_sdwa v11, v2 dst_sel:DWORD dst_unused:UNUSED_PAD src0_sel:WORD_1
	v_cvt_f32_f16_e32 v10, v2
	v_cvt_f32_f16_e32 v2, v4
	;; [unrolled: 1-line block ×3, first 2 shown]
	;;#ASMSTART
	v_pk_mul_f32 v[16:17], v[8:9], v[10:11]
	;;#ASMEND
	;;#ASMSTART
	v_pk_mul_f32 v[14:15], v[14:15], v[20:21]
	;;#ASMEND
	;; [unrolled: 3-line block ×4, first 2 shown]
	s_or_b64 exec, exec, s[34:35]
	s_mov_b64 s[8:9], -1
	s_and_b64 vcc, exec, s[30:31]
	s_cbranch_vccz .LBB383_15
.LBB383_19:
	s_and_saveexec_b64 s[8:9], s[0:1]
	s_cbranch_execz .LBB383_21
; %bb.20:
	s_mul_hi_i32 s31, s16, s6
	s_mul_i32 s30, s16, s6
	s_waitcnt vmcnt(0)
	v_cvt_f16_f32_e32 v2, v16
	v_cvt_f16_f32_e32 v3, v14
	;; [unrolled: 1-line block ×8, first 2 shown]
	s_lshl_b64 s[30:31], s[30:31], 1
	s_add_u32 s36, s18, s30
	s_addc_u32 s7, s19, s31
	s_and_b32 s37, s7, 0xffff
	s_mov_b32 s39, 0x20000
	v_pack_b32_f16 v5, v5, v6
	v_pack_b32_f16 v4, v4, v7
	v_pack_b32_f16 v3, v3, v8
	v_pack_b32_f16 v2, v2, v9
	v_lshlrev_b32_e32 v6, 4, v0
	buffer_store_dwordx4 v[2:5], v6, s[36:39], 0 offen
	;;#ASMSTART
	s_nop 0
	;;#ASMEND
.LBB383_21:
	s_or_b64 exec, exec, s[8:9]
	s_cbranch_execnz .LBB383_16
.LBB383_22:
	s_waitcnt vmcnt(0)
	v_mov_b32_e32 v2, 0
	s_and_saveexec_b64 s[8:9], s[0:1]
	s_cbranch_execz .LBB383_24
; %bb.23:
	s_load_dwordx2 s[30:31], s[4:5], 0x10
	s_mul_hi_i32 s35, s15, s6
	s_mul_i32 s34, s15, s6
	v_cvt_f16_f32_e32 v2, v16
	v_cvt_f16_f32_e32 v3, v14
	;; [unrolled: 1-line block ×8, first 2 shown]
	s_lshl_b64 s[34:35], s[34:35], 1
	s_waitcnt lgkmcnt(0)
	s_add_u32 s36, s30, s34
	s_addc_u32 s7, s31, s35
	s_mov_b32 s39, 0x20000
	s_and_b32 s37, s7, 0xffff
	v_pack_b32_f16 v5, v5, v6
	v_pack_b32_f16 v4, v4, v7
	;; [unrolled: 1-line block ×4, first 2 shown]
	v_lshlrev_b32_e32 v6, 4, v0
	buffer_store_dwordx4 v[2:5], v6, s[36:39], 0 offen
	;;#ASMSTART
	s_nop 0
	;;#ASMEND
	s_nop 0
	v_mov_b32_e32 v2, 0x2edbe6ff
.LBB383_24:
	s_or_b64 exec, exec, s[8:9]
	s_and_saveexec_b64 s[8:9], s[0:1]
	s_cbranch_execz .LBB383_26
; %bb.25:
	v_and_b32_e32 v3, 0x7fffffff, v16
	v_and_b32_e32 v4, 0x7fffffff, v17
	;;#ASMSTART
	v_max3_f32 v2, v2, v3, v4

	;;#ASMEND
	v_and_b32_e32 v3, 0x7fffffff, v14
	v_and_b32_e32 v4, 0x7fffffff, v15
	;;#ASMSTART
	v_max3_f32 v2, v2, v3, v4

	;;#ASMEND
	;; [unrolled: 6-line block ×4, first 2 shown]
.LBB383_26:
	s_or_b64 exec, exec, s[8:9]
	;;#ASMSTART
	v_max_f32 v3, v2, v2 quad_perm:[1,0,3,2] row_mask:0xf bank_mask:0xf bound_ctrl:1
	;;#ASMEND
	;;#ASMSTART
	v_max_f32 v4, v3, v3 quad_perm:[2,3,0,1] row_mask:0xf bank_mask:0xf bound_ctrl:1
	;;#ASMEND
	v_and_b32_e32 v3, 7, v0
	v_cmp_eq_u32_e32 vcc, 0, v3
	v_cmp_gt_i32_e64 s[8:9], s23, v1
	s_and_b64 s[30:31], vcc, s[8:9]
	;;#ASMSTART
	v_max_f32 v2, v4, v4 row_half_mirror row_mask:0xf bank_mask:0xf bound_ctrl:1
	;;#ASMEND
	s_and_saveexec_b64 s[8:9], s[30:31]
	s_cbranch_execz .LBB383_28
; %bb.27:
	s_load_dwordx2 s[30:31], s[4:5], 0x8
	v_mul_f32_e32 v2, 0x3e2aaaab, v2
	v_lshrrev_b32_e32 v3, 23, v2
	v_and_b32_e32 v4, 0x7f800000, v2
	v_and_b32_e32 v2, 0x7fffff, v2
	v_cmp_ne_u32_e32 vcc, 0, v2
	s_mul_hi_i32 s15, s13, s6
	s_mul_i32 s13, s13, s6
	s_mov_b32 s7, 0x7f800000
	v_addc_co_u32_e32 v2, vcc, 0, v3, vcc
	s_waitcnt lgkmcnt(0)
	s_add_u32 s30, s30, s13
	v_cmp_ne_u32_e32 vcc, s7, v4
	s_addc_u32 s31, s31, s15
	v_lshrrev_b32_e32 v5, 3, v0
	v_cndmask_b32_e32 v4, -1, v2, vcc
	v_pk_mov_b32 v[2:3], s[30:31], s[30:31] op_sel:[0,1]
	v_mad_i64_i32 v[2:3], s[14:15], s14, v5, v[2:3]
	global_store_byte v[2:3], v4, off
.LBB383_28:
	s_or_b64 exec, exec, s[8:9]
	s_and_saveexec_b64 s[8:9], s[0:1]
	s_cbranch_execz .LBB383_30
; %bb.29:
	s_load_dwordx2 s[0:1], s[4:5], 0x0
	s_mul_hi_i32 s7, s12, s6
	s_mul_i32 s12, s12, s6
	v_lshlrev_b32_e32 v2, 2, v0
	s_mov_b32 s15, 0x20000
	s_waitcnt lgkmcnt(0)
	s_add_u32 s12, s0, s12
	s_addc_u32 s0, s1, s7
	s_lshr_b32 s1, s23, 31
	s_add_i32 s1, s23, s1
	s_ashr_i32 s1, s1, 1
	s_add_i32 s1, s1, 3
	s_ashr_i32 s7, s1, 31
	s_lshr_b32 s7, s7, 30
	s_add_i32 s1, s1, s7
	s_and_b32 s14, s1, -4
	s_and_b32 s13, s0, 0xffff
	v_mov_b32_e32 v3, 0
	buffer_store_dword v3, v2, s[12:15], 0 offen
	;;#ASMSTART
	s_nop 0
	;;#ASMEND
.LBB383_30:
	s_or_b64 exec, exec, s[8:9]
	s_cmp_lt_i32 s24, 1
	s_cbranch_scc1 .LBB383_17
.LBB383_31:
	s_load_dword s0, s[4:5], 0x94
	s_waitcnt lgkmcnt(0)
	s_cmp_lg_u32 s0, 1
	s_cbranch_scc1 .LBB383_17
; %bb.32:
	s_lshl_b32 s0, s24, 1
	s_add_i32 s0, s0, 2
	v_cmp_gt_u32_e32 vcc, s24, v1
	s_and_b32 s30, s0, -4
	v_mov_b32_e32 v10, 0
	v_lshlrev_b32_e32 v1, 4, v0
	v_mov_b32_e32 v6, 0
	v_mov_b32_e32 v7, 0
	v_mov_b32_e32 v8, 0
	v_mov_b32_e32 v9, 0
	s_waitcnt vmcnt(0)
	v_mov_b32_e32 v2, 0
	v_mov_b32_e32 v3, 0
	;; [unrolled: 1-line block ×4, first 2 shown]
	s_barrier
	s_and_saveexec_b64 s[0:1], vcc
	s_cbranch_execz .LBB383_34
; %bb.33:
	s_mul_hi_i32 s5, s26, s6
	s_mul_i32 s4, s26, s6
	s_and_b32 s29, s29, 0xffff
	s_lshl_b64 s[4:5], s[4:5], 1
	s_add_u32 s8, s10, s4
	s_mov_b32 s31, 0x20000
	s_addc_u32 s4, s11, s5
	s_and_b32 s9, s4, 0xffff
	s_mov_b32 s10, s30
	s_mov_b32 s11, s31
	buffer_load_dwordx4 v[6:9], v1, s[8:11], 0 offen glc slc
	buffer_load_dwordx4 v[2:5], v1, s[28:31], 0 offen
.LBB383_34:
	s_or_b64 exec, exec, s[0:1]
	v_mov_b32_e32 v11, 0
	v_mov_b32_e32 v16, 0
	;; [unrolled: 1-line block ×7, first 2 shown]
	s_and_saveexec_b64 s[0:1], vcc
	s_cbranch_execz .LBB383_36
; %bb.35:
	s_waitcnt vmcnt(1)
	v_cvt_f32_f16_sdwa v11, v6 dst_sel:DWORD dst_unused:UNUSED_PAD src0_sel:WORD_1
	v_cvt_f32_f16_e32 v10, v6
	v_cvt_f32_f16_sdwa v17, v7 dst_sel:DWORD dst_unused:UNUSED_PAD src0_sel:WORD_1
	v_cvt_f32_f16_e32 v16, v7
	v_cvt_f32_f16_sdwa v15, v8 dst_sel:DWORD dst_unused:UNUSED_PAD src0_sel:WORD_1
	v_cvt_f32_f16_e32 v14, v8
	v_cvt_f32_f16_sdwa v13, v9 dst_sel:DWORD dst_unused:UNUSED_PAD src0_sel:WORD_1
	v_cvt_f32_f16_e32 v12, v9
.LBB383_36:
	s_or_b64 exec, exec, s[0:1]
	s_waitcnt vmcnt(1)
	v_mul_f32_e32 v6, v11, v11
	v_fmac_f32_e32 v6, v10, v10
	v_fmac_f32_e32 v6, v16, v16
	;; [unrolled: 1-line block ×7, first 2 shown]
	s_nop 1
	v_mov_b32_dpp v7, v6 quad_perm:[1,0,3,2] row_mask:0xf bank_mask:0xf
	v_add_f32_e32 v6, v6, v7
	s_nop 1
	v_mov_b32_dpp v7, v6 quad_perm:[2,3,0,1] row_mask:0xf bank_mask:0xf
	v_add_f32_e32 v6, v6, v7
	s_nop 1
	v_mov_b32_dpp v7, v6 row_half_mirror row_mask:0xf bank_mask:0xf
	v_add_f32_e32 v6, v6, v7
	s_nop 1
	v_mov_b32_dpp v7, v6 row_mirror row_mask:0xf bank_mask:0xf
	v_add_f32_e32 v6, v6, v7
	s_nop 1
	v_mov_b32_dpp v7, v6 row_bcast:15 row_mask:0xf bank_mask:0xf
	v_add_f32_e32 v6, v6, v7
	s_nop 1
	v_mov_b32_dpp v7, v6 row_bcast:31 row_mask:0xf bank_mask:0xf
	s_and_saveexec_b64 s[0:1], s[2:3]
	s_cbranch_execz .LBB383_38
; %bb.37:
	v_lshrrev_b32_e32 v0, 4, v0
	v_add_f32_e32 v6, v6, v7
	v_and_b32_e32 v0, 60, v0
	ds_write_b32 v0, v6
.LBB383_38:
	s_or_b64 exec, exec, s[0:1]
	s_waitcnt lgkmcnt(0)
	s_barrier
	ds_read_b32 v0, v18
	s_waitcnt lgkmcnt(0)
	s_nop 0
	v_mov_b32_dpp v6, v0 quad_perm:[1,0,3,2] row_mask:0xf bank_mask:0xf
	s_and_saveexec_b64 s[0:1], vcc
	s_cbranch_execz .LBB383_17
; %bb.39:
	v_cvt_f32_u32_e32 v7, s24
	v_add_f32_e32 v0, v0, v6
	s_mov_b32 s31, 0x20000
	v_div_scale_f32 v6, s[0:1], v7, v7, v0
	v_rcp_f32_e32 v8, v6
	v_div_scale_f32 v9, vcc, v0, v7, v0
	s_mov_b32 s0, 0x800000
	v_fma_f32 v18, -v6, v8, 1.0
	v_fmac_f32_e32 v8, v18, v8
	v_mul_f32_e32 v18, v9, v8
	v_fma_f32 v19, -v6, v18, v9
	v_fmac_f32_e32 v18, v19, v8
	v_fma_f32 v6, -v6, v18, v9
	v_div_fmas_f32 v6, v6, v8, v18
	v_div_fixup_f32 v0, v6, v7, v0
	v_add_f32_e32 v0, s21, v0
	v_mul_f32_e32 v6, 0x4b800000, v0
	v_cmp_gt_f32_e32 vcc, s0, v0
	v_cndmask_b32_e32 v0, v0, v6, vcc
	v_rsq_f32_e32 v0, v0
	s_waitcnt vmcnt(0)
	v_cvt_f32_f16_sdwa v19, v5 dst_sel:DWORD dst_unused:UNUSED_PAD src0_sel:WORD_1
	v_cvt_f32_f16_e32 v18, v5
	s_mul_hi_i32 s1, s16, s6
	v_mul_f32_e32 v6, 0x45800000, v0
	v_cndmask_b32_e32 v6, v0, v6, vcc
	v_mov_b32_e32 v7, v6
	;;#ASMSTART
	v_pk_mul_f32 v[8:9], v[10:11], v[6:7]
	;;#ASMEND
	;;#ASMSTART
	v_pk_mul_f32 v[10:11], v[16:17], v[6:7]
	;;#ASMEND
	;; [unrolled: 3-line block ×4, first 2 shown]
	v_cvt_f32_f16_sdwa v13, v2 dst_sel:DWORD dst_unused:UNUSED_PAD src0_sel:WORD_1
	v_cvt_f32_f16_e32 v12, v2
	v_cvt_f32_f16_sdwa v17, v3 dst_sel:DWORD dst_unused:UNUSED_PAD src0_sel:WORD_1
	v_cvt_f32_f16_e32 v16, v3
	;; [unrolled: 2-line block ×3, first 2 shown]
	;;#ASMSTART
	v_pk_mul_f32 v[4:5], v[8:9], v[12:13]
	;;#ASMEND
	;;#ASMSTART
	v_pk_mul_f32 v[8:9], v[10:11], v[16:17]
	;;#ASMEND
	;; [unrolled: 3-line block ×4, first 2 shown]
	s_mul_i32 s0, s16, s6
	v_cvt_f16_f32_e32 v0, v4
	v_cvt_f16_f32_e32 v4, v5
	;; [unrolled: 1-line block ×8, first 2 shown]
	s_lshl_b64 s[0:1], s[0:1], 1
	s_add_u32 s28, s18, s0
	s_addc_u32 s0, s19, s1
	s_and_b32 s29, s0, 0xffff
	v_pack_b32_f16 v2, v0, v4
	v_pack_b32_f16 v3, v5, v8
	;; [unrolled: 1-line block ×4, first 2 shown]
	buffer_store_dwordx4 v[2:5], v1, s[28:31], 0 offen
	;;#ASMSTART
	s_nop 0
	;;#ASMEND
	s_endpgm
	.section	.rodata,"a",@progbits
	.p2align	6, 0x0
	.amdhsa_kernel _ZN5aiter35fused_qk_rmsnorm_group_quant_kernelIDF16_N4opus5fp4_tELi128ELi8ELi8ELb1ELb1ELb0ELb0ELb0ELb0EEEvPT0_PvPT_S7_S7_PKS6_S9_S9_S9_S9_ffiiiiiiiiiiiii
		.amdhsa_group_segment_fixed_size 16
		.amdhsa_private_segment_fixed_size 0
		.amdhsa_kernarg_size 400
		.amdhsa_user_sgpr_count 6
		.amdhsa_user_sgpr_private_segment_buffer 1
		.amdhsa_user_sgpr_dispatch_ptr 0
		.amdhsa_user_sgpr_queue_ptr 0
		.amdhsa_user_sgpr_kernarg_segment_ptr 1
		.amdhsa_user_sgpr_dispatch_id 0
		.amdhsa_user_sgpr_flat_scratch_init 0
		.amdhsa_user_sgpr_kernarg_preload_length 0
		.amdhsa_user_sgpr_kernarg_preload_offset 0
		.amdhsa_user_sgpr_private_segment_size 0
		.amdhsa_uses_dynamic_stack 0
		.amdhsa_system_sgpr_private_segment_wavefront_offset 0
		.amdhsa_system_sgpr_workgroup_id_x 1
		.amdhsa_system_sgpr_workgroup_id_y 1
		.amdhsa_system_sgpr_workgroup_id_z 0
		.amdhsa_system_sgpr_workgroup_info 0
		.amdhsa_system_vgpr_workitem_id 0
		.amdhsa_next_free_vgpr 27
		.amdhsa_next_free_sgpr 44
		.amdhsa_accum_offset 28
		.amdhsa_reserve_vcc 1
		.amdhsa_reserve_flat_scratch 0
		.amdhsa_float_round_mode_32 0
		.amdhsa_float_round_mode_16_64 0
		.amdhsa_float_denorm_mode_32 3
		.amdhsa_float_denorm_mode_16_64 3
		.amdhsa_dx10_clamp 1
		.amdhsa_ieee_mode 1
		.amdhsa_fp16_overflow 0
		.amdhsa_tg_split 0
		.amdhsa_exception_fp_ieee_invalid_op 0
		.amdhsa_exception_fp_denorm_src 0
		.amdhsa_exception_fp_ieee_div_zero 0
		.amdhsa_exception_fp_ieee_overflow 0
		.amdhsa_exception_fp_ieee_underflow 0
		.amdhsa_exception_fp_ieee_inexact 0
		.amdhsa_exception_int_div_zero 0
	.end_amdhsa_kernel
	.section	.text._ZN5aiter35fused_qk_rmsnorm_group_quant_kernelIDF16_N4opus5fp4_tELi128ELi8ELi8ELb1ELb1ELb0ELb0ELb0ELb0EEEvPT0_PvPT_S7_S7_PKS6_S9_S9_S9_S9_ffiiiiiiiiiiiii,"axG",@progbits,_ZN5aiter35fused_qk_rmsnorm_group_quant_kernelIDF16_N4opus5fp4_tELi128ELi8ELi8ELb1ELb1ELb0ELb0ELb0ELb0EEEvPT0_PvPT_S7_S7_PKS6_S9_S9_S9_S9_ffiiiiiiiiiiiii,comdat
.Lfunc_end383:
	.size	_ZN5aiter35fused_qk_rmsnorm_group_quant_kernelIDF16_N4opus5fp4_tELi128ELi8ELi8ELb1ELb1ELb0ELb0ELb0ELb0EEEvPT0_PvPT_S7_S7_PKS6_S9_S9_S9_S9_ffiiiiiiiiiiiii, .Lfunc_end383-_ZN5aiter35fused_qk_rmsnorm_group_quant_kernelIDF16_N4opus5fp4_tELi128ELi8ELi8ELb1ELb1ELb0ELb0ELb0ELb0EEEvPT0_PvPT_S7_S7_PKS6_S9_S9_S9_S9_ffiiiiiiiiiiiii
                                        ; -- End function
	.section	.AMDGPU.csdata,"",@progbits
; Kernel info:
; codeLenInByte = 2796
; NumSgprs: 48
; NumVgprs: 27
; NumAgprs: 0
; TotalNumVgprs: 27
; ScratchSize: 0
; MemoryBound: 0
; FloatMode: 240
; IeeeMode: 1
; LDSByteSize: 16 bytes/workgroup (compile time only)
; SGPRBlocks: 5
; VGPRBlocks: 3
; NumSGPRsForWavesPerEU: 48
; NumVGPRsForWavesPerEU: 27
; AccumOffset: 28
; Occupancy: 8
; WaveLimiterHint : 0
; COMPUTE_PGM_RSRC2:SCRATCH_EN: 0
; COMPUTE_PGM_RSRC2:USER_SGPR: 6
; COMPUTE_PGM_RSRC2:TRAP_HANDLER: 0
; COMPUTE_PGM_RSRC2:TGID_X_EN: 1
; COMPUTE_PGM_RSRC2:TGID_Y_EN: 1
; COMPUTE_PGM_RSRC2:TGID_Z_EN: 0
; COMPUTE_PGM_RSRC2:TIDIG_COMP_CNT: 0
; COMPUTE_PGM_RSRC3_GFX90A:ACCUM_OFFSET: 6
; COMPUTE_PGM_RSRC3_GFX90A:TG_SPLIT: 0
	.section	.text._ZN5aiter35fused_qk_rmsnorm_group_quant_kernelItN4opus5fp4_tELi128ELi8ELi8ELb1ELb1ELb0ELb0ELb0ELb0EEEvPT0_PvPT_S7_S7_PKS6_S9_S9_S9_S9_ffiiiiiiiiiiiii,"axG",@progbits,_ZN5aiter35fused_qk_rmsnorm_group_quant_kernelItN4opus5fp4_tELi128ELi8ELi8ELb1ELb1ELb0ELb0ELb0ELb0EEEvPT0_PvPT_S7_S7_PKS6_S9_S9_S9_S9_ffiiiiiiiiiiiii,comdat
	.protected	_ZN5aiter35fused_qk_rmsnorm_group_quant_kernelItN4opus5fp4_tELi128ELi8ELi8ELb1ELb1ELb0ELb0ELb0ELb0EEEvPT0_PvPT_S7_S7_PKS6_S9_S9_S9_S9_ffiiiiiiiiiiiii ; -- Begin function _ZN5aiter35fused_qk_rmsnorm_group_quant_kernelItN4opus5fp4_tELi128ELi8ELi8ELb1ELb1ELb0ELb0ELb0ELb0EEEvPT0_PvPT_S7_S7_PKS6_S9_S9_S9_S9_ffiiiiiiiiiiiii
	.globl	_ZN5aiter35fused_qk_rmsnorm_group_quant_kernelItN4opus5fp4_tELi128ELi8ELi8ELb1ELb1ELb0ELb0ELb0ELb0EEEvPT0_PvPT_S7_S7_PKS6_S9_S9_S9_S9_ffiiiiiiiiiiiii
	.p2align	8
	.type	_ZN5aiter35fused_qk_rmsnorm_group_quant_kernelItN4opus5fp4_tELi128ELi8ELi8ELb1ELb1ELb0ELb0ELb0ELb0EEEvPT0_PvPT_S7_S7_PKS6_S9_S9_S9_S9_ffiiiiiiiiiiiii,@function
_ZN5aiter35fused_qk_rmsnorm_group_quant_kernelItN4opus5fp4_tELi128ELi8ELi8ELb1ELb1ELb0ELb0ELb0ELb0EEEvPT0_PvPT_S7_S7_PKS6_S9_S9_S9_S9_ffiiiiiiiiiiiii: ; @_ZN5aiter35fused_qk_rmsnorm_group_quant_kernelItN4opus5fp4_tELi128ELi8ELi8ELb1ELb1ELb0ELb0ELb0ELb0EEEvPT0_PvPT_S7_S7_PKS6_S9_S9_S9_S9_ffiiiiiiiiiiiii
; %bb.0:
	s_load_dwordx8 s[20:27], s[4:5], 0x50
	s_waitcnt lgkmcnt(0)
	s_cmp_ge_i32 s6, s22
	s_cbranch_scc1 .LBB384_17
; %bb.1:
	s_cmp_lg_u32 s7, 0
	s_cselect_b64 s[30:31], -1, 0
	s_cmp_eq_u32 s7, 0
	s_cselect_b64 s[8:9], -1, 0
	s_and_b64 s[0:1], s[8:9], exec
	s_load_dwordx2 s[28:29], s[4:5], 0x48
	s_load_dwordx2 s[10:11], s[4:5], 0x30
	s_load_dwordx8 s[12:19], s[4:5], 0x70
	s_cselect_b32 s7, s23, s24
	s_add_i32 s0, s7, 1
	s_lshr_b32 s1, s0, 31
	s_add_i32 s0, s0, s1
	s_lshl_b32 s0, s0, 1
	v_lshlrev_b32_e32 v1, 3, v0
	s_and_b32 s38, s0, -4
	v_cmp_gt_i32_e64 s[0:1], s7, v1
	v_mov_b32_e32 v10, 0
	v_mov_b32_e32 v11, 0
	v_mov_b32_e32 v12, 0
	v_mov_b32_e32 v13, 0
	v_mov_b32_e32 v14, 0
	v_mov_b32_e32 v15, 0
	v_mov_b32_e32 v16, 0
	v_mov_b32_e32 v17, 0
	s_and_saveexec_b64 s[2:3], s[0:1]
	s_cbranch_execz .LBB384_3
; %bb.2:
	s_waitcnt lgkmcnt(0)
	s_load_dwordx2 s[18:19], s[4:5], 0x28
	s_load_dwordx2 s[34:35], s[4:5], 0x40
	s_and_b64 s[36:37], s[8:9], exec
	s_cselect_b32 s22, s25, s26
	s_mov_b32 s39, 0x20000
	s_waitcnt lgkmcnt(0)
	s_cselect_b32 s25, s19, s11
	s_cselect_b32 s33, s18, s10
	s_mul_hi_i32 s19, s22, s6
	s_mul_i32 s18, s22, s6
	s_lshl_b64 s[18:19], s[18:19], 1
	s_add_u32 s40, s33, s18
	s_addc_u32 s22, s25, s19
	s_and_b64 s[18:19], s[8:9], exec
	s_cselect_b32 s36, s34, s28
	s_cselect_b32 s18, s35, s29
	v_lshlrev_b32_e32 v2, 4, v0
	s_and_b32 s41, s22, 0xffff
	s_mov_b32 s42, s38
	s_mov_b32 s43, s39
	s_and_b32 s37, s18, 0xffff
	buffer_load_dwordx4 v[14:17], v2, s[40:43], 0 offen glc slc
	buffer_load_dwordx4 v[10:13], v2, s[36:39], 0 offen
.LBB384_3:
	s_or_b64 exec, exec, s[2:3]
	s_and_b64 vcc, exec, s[30:31]
	s_cbranch_vccz .LBB384_7
; %bb.4:
	s_mov_b32 s40, 0
	s_mov_b32 s41, s40
	;; [unrolled: 1-line block ×8, first 2 shown]
	v_pk_mov_b32 v[2:3], s[40:41], s[40:41] op_sel:[0,1]
	v_pk_mov_b32 v[4:5], s[42:43], s[42:43] op_sel:[0,1]
	;; [unrolled: 1-line block ×4, first 2 shown]
	s_and_saveexec_b64 s[2:3], s[0:1]
	s_cbranch_execz .LBB384_6
; %bb.5:
	s_waitcnt vmcnt(1)
	v_cvt_f32_u32_sdwa v3, v14 dst_sel:DWORD dst_unused:UNUSED_PAD src0_sel:WORD_1
	v_cvt_f32_u32_sdwa v2, v14 dst_sel:DWORD dst_unused:UNUSED_PAD src0_sel:WORD_0
	v_cvt_f32_u32_sdwa v5, v15 dst_sel:DWORD dst_unused:UNUSED_PAD src0_sel:WORD_1
	v_cvt_f32_u32_sdwa v4, v15 dst_sel:DWORD dst_unused:UNUSED_PAD src0_sel:WORD_0
	;; [unrolled: 2-line block ×4, first 2 shown]
.LBB384_6:
	s_or_b64 exec, exec, s[2:3]
	s_cbranch_execz .LBB384_8
	s_branch .LBB384_11
.LBB384_7:
                                        ; implicit-def: $vgpr2_vgpr3_vgpr4_vgpr5_vgpr6_vgpr7_vgpr8_vgpr9
.LBB384_8:
	s_mov_b32 s40, 0
	s_mov_b32 s41, s40
	;; [unrolled: 1-line block ×8, first 2 shown]
	v_pk_mov_b32 v[2:3], s[40:41], s[40:41] op_sel:[0,1]
	v_pk_mov_b32 v[4:5], s[42:43], s[42:43] op_sel:[0,1]
	;; [unrolled: 1-line block ×4, first 2 shown]
	s_and_saveexec_b64 s[2:3], s[0:1]
	s_cbranch_execz .LBB384_10
; %bb.9:
	s_waitcnt lgkmcnt(0)
	s_load_dwordx2 s[18:19], s[4:5], 0x38
	s_mul_hi_i32 s35, s27, s6
	s_mul_i32 s34, s27, s6
	s_lshl_b64 s[34:35], s[34:35], 1
	s_mov_b32 s39, 0x20000
	s_waitcnt lgkmcnt(0)
	s_add_u32 s36, s18, s34
	s_addc_u32 s18, s19, s35
	s_and_b32 s37, s18, 0xffff
	v_lshlrev_b32_e32 v26, 4, v0
	buffer_load_dwordx4 v[2:5], v26, s[36:39], 0 offen glc slc
	s_load_dwordx2 s[18:19], s[4:5], 0x20
	s_waitcnt vmcnt(2)
	v_cvt_f32_u32_sdwa v7, v14 dst_sel:DWORD dst_unused:UNUSED_PAD src0_sel:WORD_1
	v_cvt_f32_u32_sdwa v6, v14 dst_sel:DWORD dst_unused:UNUSED_PAD src0_sel:WORD_0
	v_cvt_f32_u32_sdwa v9, v15 dst_sel:DWORD dst_unused:UNUSED_PAD src0_sel:WORD_1
	v_cvt_f32_u32_sdwa v8, v15 dst_sel:DWORD dst_unused:UNUSED_PAD src0_sel:WORD_0
	;; [unrolled: 2-line block ×4, first 2 shown]
	s_mul_hi_i32 s35, s17, s6
	s_mul_i32 s34, s17, s6
	s_lshl_b64 s[34:35], s[34:35], 1
	s_waitcnt lgkmcnt(0)
	s_add_u32 s36, s18, s34
	s_mov_b32 s17, 0x7060302
	s_addc_u32 s18, s19, s35
	s_and_b32 s37, s18, 0xffff
	s_waitcnt vmcnt(0)
	v_cvt_f32_u32_sdwa v17, v2 dst_sel:DWORD dst_unused:UNUSED_PAD src0_sel:WORD_1
	v_cvt_f32_u32_sdwa v16, v2 dst_sel:DWORD dst_unused:UNUSED_PAD src0_sel:WORD_0
	v_cvt_f32_u32_sdwa v21, v3 dst_sel:DWORD dst_unused:UNUSED_PAD src0_sel:WORD_1
	v_cvt_f32_u32_sdwa v20, v3 dst_sel:DWORD dst_unused:UNUSED_PAD src0_sel:WORD_0
	;; [unrolled: 2-line block ×4, first 2 shown]
	v_pk_add_f32 v[2:3], v[6:7], v[16:17]
	v_pk_add_f32 v[4:5], v[8:9], v[20:21]
	;; [unrolled: 1-line block ×4, first 2 shown]
	v_perm_b32 v17, v9, v8, s17
	v_perm_b32 v16, v7, v6, s17
	v_perm_b32 v15, v5, v4, s17
	v_perm_b32 v14, v3, v2, s17
	buffer_store_dwordx4 v[14:17], v26, s[36:39], 0 offen glc slc
	;;#ASMSTART
	s_nop 0
	;;#ASMEND
.LBB384_10:
	s_or_b64 exec, exec, s[2:3]
.LBB384_11:
	s_waitcnt vmcnt(1)
	v_mul_f32_e32 v14, v3, v3
	v_fmac_f32_e32 v14, v2, v2
	v_fmac_f32_e32 v14, v4, v4
	;; [unrolled: 1-line block ×7, first 2 shown]
	v_and_b32_e32 v16, 63, v0
	v_cmp_eq_u32_e64 s[2:3], 63, v16
	v_mov_b32_dpp v15, v14 quad_perm:[1,0,3,2] row_mask:0xf bank_mask:0xf
	v_add_f32_e32 v14, v14, v15
	s_nop 1
	v_mov_b32_dpp v15, v14 quad_perm:[2,3,0,1] row_mask:0xf bank_mask:0xf
	v_add_f32_e32 v14, v14, v15
	s_nop 1
	v_mov_b32_dpp v15, v14 row_half_mirror row_mask:0xf bank_mask:0xf
	v_add_f32_e32 v14, v14, v15
	s_nop 1
	v_mov_b32_dpp v15, v14 row_mirror row_mask:0xf bank_mask:0xf
	v_add_f32_e32 v14, v14, v15
	s_nop 1
	v_mov_b32_dpp v15, v14 row_bcast:15 row_mask:0xf bank_mask:0xf
	v_add_f32_e32 v14, v14, v15
	s_nop 1
	v_mov_b32_dpp v15, v14 row_bcast:31 row_mask:0xf bank_mask:0xf
	s_waitcnt lgkmcnt(0)
	s_and_saveexec_b64 s[18:19], s[2:3]
	s_cbranch_execz .LBB384_13
; %bb.12:
	v_add_f32_e32 v14, v14, v15
	v_lshrrev_b32_e32 v15, 4, v0
	v_and_b32_e32 v15, 60, v15
	ds_write_b32 v15, v14 offset:8
.LBB384_13:
	s_or_b64 exec, exec, s[18:19]
	v_and_b32_e32 v14, 1, v0
	v_lshlrev_b32_e32 v14, 2, v14
	s_waitcnt lgkmcnt(0)
	s_barrier
	ds_read_b32 v15, v14 offset:8
	s_load_dwordx2 s[18:19], s[4:5], 0x18
	s_waitcnt lgkmcnt(0)
	v_mov_b32_dpp v16, v15 quad_perm:[1,0,3,2] row_mask:0xf bank_mask:0xf
	s_and_saveexec_b64 s[34:35], s[0:1]
	s_cbranch_execnz .LBB384_18
; %bb.14:
	s_or_b64 exec, exec, s[34:35]
	s_mov_b64 s[8:9], -1
	s_and_b64 vcc, exec, s[30:31]
	s_cbranch_vccnz .LBB384_19
.LBB384_15:
	s_andn2_b64 vcc, exec, s[8:9]
	s_cbranch_vccz .LBB384_22
.LBB384_16:
	s_cmp_lt_i32 s24, 1
	s_cbranch_scc0 .LBB384_31
.LBB384_17:
	s_endpgm
.LBB384_18:
	v_cvt_f32_u32_e32 v17, s7
	v_add_f32_e32 v15, v15, v16
	v_mov_b32_e32 v19, s21
	v_mov_b32_e32 v20, s20
	v_div_scale_f32 v16, s[36:37], v17, v17, v15
	v_rcp_f32_e32 v18, v16
	v_cndmask_b32_e64 v19, v19, v20, s[8:9]
	s_mov_b32 s7, 0x800000
	v_fma_f32 v20, -v16, v18, 1.0
	v_fmac_f32_e32 v18, v20, v18
	v_div_scale_f32 v20, vcc, v15, v17, v15
	v_mul_f32_e32 v21, v20, v18
	v_fma_f32 v22, -v16, v21, v20
	v_fmac_f32_e32 v21, v22, v18
	v_fma_f32 v16, -v16, v21, v20
	v_div_fmas_f32 v16, v16, v18, v21
	v_div_fixup_f32 v15, v16, v17, v15
	v_add_f32_e32 v15, v19, v15
	v_mul_f32_e32 v16, 0x4b800000, v15
	v_cmp_gt_f32_e32 vcc, s7, v15
	v_cndmask_b32_e32 v15, v15, v16, vcc
	v_rsq_f32_e32 v15, v15
	s_waitcnt vmcnt(0)
	v_cvt_f32_u32_sdwa v19, v11 dst_sel:DWORD dst_unused:UNUSED_PAD src0_sel:WORD_1
	v_cvt_f32_u32_sdwa v18, v11 dst_sel:DWORD dst_unused:UNUSED_PAD src0_sel:WORD_0
	v_cvt_f32_u32_sdwa v11, v12 dst_sel:DWORD dst_unused:UNUSED_PAD src0_sel:WORD_1
	v_mul_f32_e32 v16, 0x45800000, v15
	v_cndmask_b32_e32 v16, v15, v16, vcc
	v_mov_b32_e32 v17, v16
	;;#ASMSTART
	v_pk_mul_f32 v[2:3], v[2:3], v[16:17]
	;;#ASMEND
	;;#ASMSTART
	v_pk_mul_f32 v[4:5], v[4:5], v[16:17]
	;;#ASMEND
	;; [unrolled: 3-line block ×4, first 2 shown]
	v_cvt_f32_u32_sdwa v17, v10 dst_sel:DWORD dst_unused:UNUSED_PAD src0_sel:WORD_1
	v_cvt_f32_u32_sdwa v16, v10 dst_sel:DWORD dst_unused:UNUSED_PAD src0_sel:WORD_0
	v_cvt_f32_u32_sdwa v10, v12 dst_sel:DWORD dst_unused:UNUSED_PAD src0_sel:WORD_0
	v_cvt_f32_u32_sdwa v21, v13 dst_sel:DWORD dst_unused:UNUSED_PAD src0_sel:WORD_1
	v_cvt_f32_u32_sdwa v20, v13 dst_sel:DWORD dst_unused:UNUSED_PAD src0_sel:WORD_0
	;;#ASMSTART
	v_pk_mul_f32 v[2:3], v[2:3], v[16:17]
	;;#ASMEND
	;;#ASMSTART
	v_pk_mul_f32 v[4:5], v[4:5], v[18:19]
	;;#ASMEND
	;; [unrolled: 3-line block ×4, first 2 shown]
	s_or_b64 exec, exec, s[34:35]
	s_mov_b64 s[8:9], -1
	s_and_b64 vcc, exec, s[30:31]
	s_cbranch_vccz .LBB384_15
.LBB384_19:
	s_and_saveexec_b64 s[8:9], s[0:1]
	s_cbranch_execz .LBB384_21
; %bb.20:
	s_mul_hi_i32 s31, s16, s6
	s_mul_i32 s30, s16, s6
	s_lshl_b64 s[30:31], s[30:31], 1
	s_add_u32 s36, s18, s30
	s_addc_u32 s7, s19, s31
	s_and_b32 s37, s7, 0xffff
	s_mov_b32 s7, 0x7060302
	s_mov_b32 s39, 0x20000
	s_waitcnt vmcnt(0)
	v_perm_b32 v10, v3, v2, s7
	v_perm_b32 v11, v5, v4, s7
	;; [unrolled: 1-line block ×4, first 2 shown]
	v_lshlrev_b32_e32 v15, 4, v0
	buffer_store_dwordx4 v[10:13], v15, s[36:39], 0 offen
	;;#ASMSTART
	s_nop 0
	;;#ASMEND
.LBB384_21:
	s_or_b64 exec, exec, s[8:9]
	s_cbranch_execnz .LBB384_16
.LBB384_22:
	s_waitcnt vmcnt(0)
	v_mov_b32_e32 v10, 0
	s_and_saveexec_b64 s[8:9], s[0:1]
	s_cbranch_execz .LBB384_24
; %bb.23:
	s_load_dwordx2 s[30:31], s[4:5], 0x10
	s_mul_hi_i32 s35, s15, s6
	s_mul_i32 s34, s15, s6
	s_lshl_b64 s[34:35], s[34:35], 1
	s_mov_b32 s39, 0x20000
	s_waitcnt lgkmcnt(0)
	s_add_u32 s36, s30, s34
	s_addc_u32 s7, s31, s35
	s_and_b32 s37, s7, 0xffff
	s_mov_b32 s7, 0x7060302
	v_perm_b32 v10, v3, v2, s7
	v_perm_b32 v11, v5, v4, s7
	;; [unrolled: 1-line block ×4, first 2 shown]
	v_lshlrev_b32_e32 v15, 4, v0
	buffer_store_dwordx4 v[10:13], v15, s[36:39], 0 offen
	;;#ASMSTART
	s_nop 0
	;;#ASMEND
	s_nop 0
	v_mov_b32_e32 v10, 0x2edbe6ff
.LBB384_24:
	s_or_b64 exec, exec, s[8:9]
	s_and_saveexec_b64 s[8:9], s[0:1]
	s_cbranch_execz .LBB384_26
; %bb.25:
	v_and_b32_e32 v2, 0x7fffffff, v2
	v_and_b32_e32 v3, 0x7fffffff, v3
	;;#ASMSTART
	v_max3_f32 v2, v10, v2, v3

	;;#ASMEND
	v_and_b32_e32 v3, 0x7fffffff, v4
	v_and_b32_e32 v4, 0x7fffffff, v5
	;;#ASMSTART
	v_max3_f32 v2, v2, v3, v4

	;;#ASMEND
	;; [unrolled: 6-line block ×4, first 2 shown]
.LBB384_26:
	s_or_b64 exec, exec, s[8:9]
	;;#ASMSTART
	v_max_f32 v2, v10, v10 quad_perm:[1,0,3,2] row_mask:0xf bank_mask:0xf bound_ctrl:1
	;;#ASMEND
	;;#ASMSTART
	v_max_f32 v3, v2, v2 quad_perm:[2,3,0,1] row_mask:0xf bank_mask:0xf bound_ctrl:1
	;;#ASMEND
	;;#ASMSTART
	v_max_f32 v2, v3, v3 row_half_mirror row_mask:0xf bank_mask:0xf bound_ctrl:1
	;;#ASMEND
	v_and_b32_e32 v3, 7, v0
	v_cmp_eq_u32_e32 vcc, 0, v3
	v_cmp_gt_i32_e64 s[8:9], s23, v1
	s_and_b64 s[30:31], vcc, s[8:9]
	s_and_saveexec_b64 s[8:9], s[30:31]
	s_cbranch_execz .LBB384_28
; %bb.27:
	s_load_dwordx2 s[30:31], s[4:5], 0x8
	v_mul_f32_e32 v2, 0x3e2aaaab, v2
	v_lshrrev_b32_e32 v3, 23, v2
	v_and_b32_e32 v4, 0x7f800000, v2
	v_and_b32_e32 v2, 0x7fffff, v2
	v_cmp_ne_u32_e32 vcc, 0, v2
	s_mul_hi_i32 s15, s13, s6
	s_mul_i32 s13, s13, s6
	s_mov_b32 s7, 0x7f800000
	v_addc_co_u32_e32 v2, vcc, 0, v3, vcc
	s_waitcnt lgkmcnt(0)
	s_add_u32 s30, s30, s13
	v_cmp_ne_u32_e32 vcc, s7, v4
	s_addc_u32 s31, s31, s15
	v_lshrrev_b32_e32 v5, 3, v0
	v_cndmask_b32_e32 v4, -1, v2, vcc
	v_pk_mov_b32 v[2:3], s[30:31], s[30:31] op_sel:[0,1]
	v_mad_i64_i32 v[2:3], s[14:15], s14, v5, v[2:3]
	global_store_byte v[2:3], v4, off
.LBB384_28:
	s_or_b64 exec, exec, s[8:9]
	s_and_saveexec_b64 s[8:9], s[0:1]
	s_cbranch_execz .LBB384_30
; %bb.29:
	s_load_dwordx2 s[0:1], s[4:5], 0x0
	s_mul_hi_i32 s7, s12, s6
	s_mul_i32 s12, s12, s6
	v_lshlrev_b32_e32 v2, 2, v0
	s_mov_b32 s15, 0x20000
	s_waitcnt lgkmcnt(0)
	s_add_u32 s12, s0, s12
	s_addc_u32 s0, s1, s7
	s_lshr_b32 s1, s23, 31
	s_add_i32 s1, s23, s1
	s_ashr_i32 s1, s1, 1
	s_add_i32 s1, s1, 3
	s_ashr_i32 s7, s1, 31
	s_lshr_b32 s7, s7, 30
	s_add_i32 s1, s1, s7
	s_and_b32 s14, s1, -4
	s_and_b32 s13, s0, 0xffff
	v_mov_b32_e32 v3, 0
	buffer_store_dword v3, v2, s[12:15], 0 offen
	;;#ASMSTART
	s_nop 0
	;;#ASMEND
.LBB384_30:
	s_or_b64 exec, exec, s[8:9]
	s_cmp_lt_i32 s24, 1
	s_cbranch_scc1 .LBB384_17
.LBB384_31:
	s_load_dword s0, s[4:5], 0x94
	s_waitcnt lgkmcnt(0)
	s_cmp_lg_u32 s0, 1
	s_cbranch_scc1 .LBB384_17
; %bb.32:
	s_lshl_b32 s0, s24, 1
	s_add_i32 s0, s0, 2
	v_cmp_gt_u32_e32 vcc, s24, v1
	s_and_b32 s30, s0, -4
	v_mov_b32_e32 v6, 0
	v_lshlrev_b32_e32 v1, 4, v0
	v_mov_b32_e32 v7, 0
	v_mov_b32_e32 v8, 0
	;; [unrolled: 1-line block ×7, first 2 shown]
	s_barrier
	s_and_saveexec_b64 s[0:1], vcc
	s_cbranch_execz .LBB384_34
; %bb.33:
	s_mul_hi_i32 s5, s26, s6
	s_mul_i32 s4, s26, s6
	s_and_b32 s29, s29, 0xffff
	s_lshl_b64 s[4:5], s[4:5], 1
	s_add_u32 s8, s10, s4
	s_mov_b32 s31, 0x20000
	s_addc_u32 s4, s11, s5
	s_and_b32 s9, s4, 0xffff
	s_mov_b32 s10, s30
	s_mov_b32 s11, s31
	buffer_load_dwordx4 v[6:9], v1, s[8:11], 0 offen glc slc
	buffer_load_dwordx4 v[2:5], v1, s[28:31], 0 offen
.LBB384_34:
	s_or_b64 exec, exec, s[0:1]
	s_waitcnt vmcnt(0)
	v_cvt_f32_u32_sdwa v13, v6 dst_sel:DWORD dst_unused:UNUSED_PAD src0_sel:WORD_1
	v_cvt_f32_u32_sdwa v12, v6 dst_sel:DWORD dst_unused:UNUSED_PAD src0_sel:WORD_0
	v_cvt_f32_u32_sdwa v6, v9 dst_sel:DWORD dst_unused:UNUSED_PAD src0_sel:WORD_1
	v_cvt_f32_u32_sdwa v9, v9 dst_sel:DWORD dst_unused:UNUSED_PAD src0_sel:WORD_0
	;; [unrolled: 2-line block ×4, first 2 shown]
	v_cndmask_b32_e32 v13, 0, v13, vcc
	v_cndmask_b32_e32 v7, 0, v6, vcc
	;; [unrolled: 1-line block ×5, first 2 shown]
	v_mul_f32_e32 v15, v13, v13
	v_cndmask_b32_e32 v10, 0, v10, vcc
	v_fmac_f32_e32 v15, v12, v12
	v_cndmask_b32_e32 v11, 0, v11, vcc
	v_fmac_f32_e32 v15, v10, v10
	;; [unrolled: 2-line block ×3, first 2 shown]
	v_fmac_f32_e32 v15, v8, v8
	v_fmac_f32_e32 v15, v9, v9
	;; [unrolled: 1-line block ×4, first 2 shown]
	s_nop 1
	v_mov_b32_dpp v16, v15 quad_perm:[1,0,3,2] row_mask:0xf bank_mask:0xf
	v_add_f32_e32 v15, v15, v16
	s_nop 1
	v_mov_b32_dpp v16, v15 quad_perm:[2,3,0,1] row_mask:0xf bank_mask:0xf
	v_add_f32_e32 v15, v15, v16
	s_nop 1
	v_mov_b32_dpp v16, v15 row_half_mirror row_mask:0xf bank_mask:0xf
	v_add_f32_e32 v15, v15, v16
	s_nop 1
	v_mov_b32_dpp v16, v15 row_mirror row_mask:0xf bank_mask:0xf
	v_add_f32_e32 v15, v15, v16
	s_nop 1
	v_mov_b32_dpp v16, v15 row_bcast:15 row_mask:0xf bank_mask:0xf
	v_add_f32_e32 v15, v15, v16
	s_nop 1
	v_mov_b32_dpp v16, v15 row_bcast:31 row_mask:0xf bank_mask:0xf
	s_and_saveexec_b64 s[0:1], s[2:3]
	s_cbranch_execz .LBB384_36
; %bb.35:
	v_lshrrev_b32_e32 v0, 4, v0
	v_add_f32_e32 v15, v15, v16
	v_and_b32_e32 v0, 60, v0
	ds_write_b32 v0, v15
.LBB384_36:
	s_or_b64 exec, exec, s[0:1]
	s_waitcnt lgkmcnt(0)
	s_barrier
	ds_read_b32 v0, v14
	s_waitcnt lgkmcnt(0)
	s_nop 0
	v_mov_b32_dpp v14, v0 quad_perm:[1,0,3,2] row_mask:0xf bank_mask:0xf
	s_and_saveexec_b64 s[0:1], vcc
	s_cbranch_execz .LBB384_17
; %bb.37:
	v_cvt_f32_u32_e32 v15, s24
	v_add_f32_e32 v0, v0, v14
	s_mov_b32 s31, 0x20000
	v_div_scale_f32 v14, s[0:1], v15, v15, v0
	v_rcp_f32_e32 v16, v14
	v_div_scale_f32 v17, vcc, v0, v15, v0
	s_mov_b32 s0, 0x800000
	v_fma_f32 v18, -v14, v16, 1.0
	v_fmac_f32_e32 v16, v18, v16
	v_mul_f32_e32 v18, v17, v16
	v_fma_f32 v19, -v14, v18, v17
	v_fmac_f32_e32 v18, v19, v16
	v_fma_f32 v14, -v14, v18, v17
	v_div_fmas_f32 v14, v14, v16, v18
	v_div_fixup_f32 v0, v14, v15, v0
	v_add_f32_e32 v0, s21, v0
	v_mul_f32_e32 v14, 0x4b800000, v0
	v_cmp_gt_f32_e32 vcc, s0, v0
	v_cndmask_b32_e32 v0, v0, v14, vcc
	v_rsq_f32_e32 v0, v0
	s_mul_hi_i32 s1, s16, s6
	s_mul_i32 s0, s16, s6
	s_lshl_b64 s[0:1], s[0:1], 1
	v_mul_f32_e32 v14, 0x45800000, v0
	v_cndmask_b32_e32 v14, v0, v14, vcc
	s_add_u32 s28, s18, s0
	v_mov_b32_e32 v15, v14
	s_addc_u32 s0, s19, s1
	;;#ASMSTART
	v_pk_mul_f32 v[12:13], v[12:13], v[14:15]
	;;#ASMEND
	;;#ASMSTART
	v_pk_mul_f32 v[10:11], v[10:11], v[14:15]
	;;#ASMEND
	;; [unrolled: 3-line block ×4, first 2 shown]
	v_cvt_f32_u32_sdwa v15, v2 dst_sel:DWORD dst_unused:UNUSED_PAD src0_sel:WORD_1
	v_cvt_f32_u32_sdwa v14, v2 dst_sel:DWORD dst_unused:UNUSED_PAD src0_sel:WORD_0
	v_cvt_f32_u32_sdwa v17, v3 dst_sel:DWORD dst_unused:UNUSED_PAD src0_sel:WORD_1
	v_cvt_f32_u32_sdwa v16, v3 dst_sel:DWORD dst_unused:UNUSED_PAD src0_sel:WORD_0
	;; [unrolled: 2-line block ×4, first 2 shown]
	;;#ASMSTART
	v_pk_mul_f32 v[4:5], v[12:13], v[14:15]
	;;#ASMEND
	s_and_b32 s29, s0, 0xffff
	s_mov_b32 s0, 0x7060302
	;;#ASMSTART
	v_pk_mul_f32 v[10:11], v[10:11], v[16:17]
	;;#ASMEND
	;;#ASMSTART
	v_pk_mul_f32 v[8:9], v[8:9], v[2:3]
	;;#ASMEND
	;; [unrolled: 3-line block ×3, first 2 shown]
	v_perm_b32 v2, v5, v4, s0
	v_perm_b32 v3, v11, v10, s0
	;; [unrolled: 1-line block ×4, first 2 shown]
	buffer_store_dwordx4 v[2:5], v1, s[28:31], 0 offen
	;;#ASMSTART
	s_nop 0
	;;#ASMEND
	s_endpgm
	.section	.rodata,"a",@progbits
	.p2align	6, 0x0
	.amdhsa_kernel _ZN5aiter35fused_qk_rmsnorm_group_quant_kernelItN4opus5fp4_tELi128ELi8ELi8ELb1ELb1ELb0ELb0ELb0ELb0EEEvPT0_PvPT_S7_S7_PKS6_S9_S9_S9_S9_ffiiiiiiiiiiiii
		.amdhsa_group_segment_fixed_size 16
		.amdhsa_private_segment_fixed_size 0
		.amdhsa_kernarg_size 400
		.amdhsa_user_sgpr_count 6
		.amdhsa_user_sgpr_private_segment_buffer 1
		.amdhsa_user_sgpr_dispatch_ptr 0
		.amdhsa_user_sgpr_queue_ptr 0
		.amdhsa_user_sgpr_kernarg_segment_ptr 1
		.amdhsa_user_sgpr_dispatch_id 0
		.amdhsa_user_sgpr_flat_scratch_init 0
		.amdhsa_user_sgpr_kernarg_preload_length 0
		.amdhsa_user_sgpr_kernarg_preload_offset 0
		.amdhsa_user_sgpr_private_segment_size 0
		.amdhsa_uses_dynamic_stack 0
		.amdhsa_system_sgpr_private_segment_wavefront_offset 0
		.amdhsa_system_sgpr_workgroup_id_x 1
		.amdhsa_system_sgpr_workgroup_id_y 1
		.amdhsa_system_sgpr_workgroup_id_z 0
		.amdhsa_system_sgpr_workgroup_info 0
		.amdhsa_system_vgpr_workitem_id 0
		.amdhsa_next_free_vgpr 27
		.amdhsa_next_free_sgpr 48
		.amdhsa_accum_offset 28
		.amdhsa_reserve_vcc 1
		.amdhsa_reserve_flat_scratch 0
		.amdhsa_float_round_mode_32 0
		.amdhsa_float_round_mode_16_64 0
		.amdhsa_float_denorm_mode_32 3
		.amdhsa_float_denorm_mode_16_64 3
		.amdhsa_dx10_clamp 1
		.amdhsa_ieee_mode 1
		.amdhsa_fp16_overflow 0
		.amdhsa_tg_split 0
		.amdhsa_exception_fp_ieee_invalid_op 0
		.amdhsa_exception_fp_denorm_src 0
		.amdhsa_exception_fp_ieee_div_zero 0
		.amdhsa_exception_fp_ieee_overflow 0
		.amdhsa_exception_fp_ieee_underflow 0
		.amdhsa_exception_fp_ieee_inexact 0
		.amdhsa_exception_int_div_zero 0
	.end_amdhsa_kernel
	.section	.text._ZN5aiter35fused_qk_rmsnorm_group_quant_kernelItN4opus5fp4_tELi128ELi8ELi8ELb1ELb1ELb0ELb0ELb0ELb0EEEvPT0_PvPT_S7_S7_PKS6_S9_S9_S9_S9_ffiiiiiiiiiiiii,"axG",@progbits,_ZN5aiter35fused_qk_rmsnorm_group_quant_kernelItN4opus5fp4_tELi128ELi8ELi8ELb1ELb1ELb0ELb0ELb0ELb0EEEvPT0_PvPT_S7_S7_PKS6_S9_S9_S9_S9_ffiiiiiiiiiiiii,comdat
.Lfunc_end384:
	.size	_ZN5aiter35fused_qk_rmsnorm_group_quant_kernelItN4opus5fp4_tELi128ELi8ELi8ELb1ELb1ELb0ELb0ELb0ELb0EEEvPT0_PvPT_S7_S7_PKS6_S9_S9_S9_S9_ffiiiiiiiiiiiii, .Lfunc_end384-_ZN5aiter35fused_qk_rmsnorm_group_quant_kernelItN4opus5fp4_tELi128ELi8ELi8ELb1ELb1ELb0ELb0ELb0ELb0EEEvPT0_PvPT_S7_S7_PKS6_S9_S9_S9_S9_ffiiiiiiiiiiiii
                                        ; -- End function
	.section	.AMDGPU.csdata,"",@progbits
; Kernel info:
; codeLenInByte = 2836
; NumSgprs: 52
; NumVgprs: 27
; NumAgprs: 0
; TotalNumVgprs: 27
; ScratchSize: 0
; MemoryBound: 0
; FloatMode: 240
; IeeeMode: 1
; LDSByteSize: 16 bytes/workgroup (compile time only)
; SGPRBlocks: 6
; VGPRBlocks: 3
; NumSGPRsForWavesPerEU: 52
; NumVGPRsForWavesPerEU: 27
; AccumOffset: 28
; Occupancy: 8
; WaveLimiterHint : 0
; COMPUTE_PGM_RSRC2:SCRATCH_EN: 0
; COMPUTE_PGM_RSRC2:USER_SGPR: 6
; COMPUTE_PGM_RSRC2:TRAP_HANDLER: 0
; COMPUTE_PGM_RSRC2:TGID_X_EN: 1
; COMPUTE_PGM_RSRC2:TGID_Y_EN: 1
; COMPUTE_PGM_RSRC2:TGID_Z_EN: 0
; COMPUTE_PGM_RSRC2:TIDIG_COMP_CNT: 0
; COMPUTE_PGM_RSRC3_GFX90A:ACCUM_OFFSET: 6
; COMPUTE_PGM_RSRC3_GFX90A:TG_SPLIT: 0
	.section	.text._ZN5aiter35fused_qk_rmsnorm_group_quant_kernelIDF16_DB8_Li128ELi8ELi8ELb1ELb0ELb1ELb0ELb0ELb0EEEvPT0_PvPT_S6_S6_PKS5_S8_S8_S8_S8_ffiiiiiiiiiiiii,"axG",@progbits,_ZN5aiter35fused_qk_rmsnorm_group_quant_kernelIDF16_DB8_Li128ELi8ELi8ELb1ELb0ELb1ELb0ELb0ELb0EEEvPT0_PvPT_S6_S6_PKS5_S8_S8_S8_S8_ffiiiiiiiiiiiii,comdat
	.protected	_ZN5aiter35fused_qk_rmsnorm_group_quant_kernelIDF16_DB8_Li128ELi8ELi8ELb1ELb0ELb1ELb0ELb0ELb0EEEvPT0_PvPT_S6_S6_PKS5_S8_S8_S8_S8_ffiiiiiiiiiiiii ; -- Begin function _ZN5aiter35fused_qk_rmsnorm_group_quant_kernelIDF16_DB8_Li128ELi8ELi8ELb1ELb0ELb1ELb0ELb0ELb0EEEvPT0_PvPT_S6_S6_PKS5_S8_S8_S8_S8_ffiiiiiiiiiiiii
	.globl	_ZN5aiter35fused_qk_rmsnorm_group_quant_kernelIDF16_DB8_Li128ELi8ELi8ELb1ELb0ELb1ELb0ELb0ELb0EEEvPT0_PvPT_S6_S6_PKS5_S8_S8_S8_S8_ffiiiiiiiiiiiii
	.p2align	8
	.type	_ZN5aiter35fused_qk_rmsnorm_group_quant_kernelIDF16_DB8_Li128ELi8ELi8ELb1ELb0ELb1ELb0ELb0ELb0EEEvPT0_PvPT_S6_S6_PKS5_S8_S8_S8_S8_ffiiiiiiiiiiiii,@function
_ZN5aiter35fused_qk_rmsnorm_group_quant_kernelIDF16_DB8_Li128ELi8ELi8ELb1ELb0ELb1ELb0ELb0ELb0EEEvPT0_PvPT_S6_S6_PKS5_S8_S8_S8_S8_ffiiiiiiiiiiiii: ; @_ZN5aiter35fused_qk_rmsnorm_group_quant_kernelIDF16_DB8_Li128ELi8ELi8ELb1ELb0ELb1ELb0ELb0ELb0EEEvPT0_PvPT_S6_S6_PKS5_S8_S8_S8_S8_ffiiiiiiiiiiiii
; %bb.0:
	s_load_dwordx8 s[12:19], s[4:5], 0x50
	s_waitcnt lgkmcnt(0)
	s_cmp_ge_i32 s6, s14
	s_cbranch_scc1 .LBB385_17
; %bb.1:
	s_cmp_lg_u32 s7, 0
	s_cselect_b64 s[10:11], -1, 0
	s_cmp_eq_u32 s7, 0
	s_cselect_b64 s[8:9], -1, 0
	s_and_b64 s[0:1], s[8:9], exec
	s_load_dwordx2 s[20:21], s[4:5], 0x48
	s_load_dwordx2 s[36:37], s[4:5], 0x30
	s_load_dwordx4 s[24:27], s[4:5], 0x70
	s_cselect_b32 s7, s15, s16
	s_add_i32 s0, s7, 1
	s_lshr_b32 s1, s0, 31
	s_add_i32 s0, s0, s1
	s_lshl_b32 s0, s0, 1
	v_lshlrev_b32_e32 v1, 3, v0
	s_and_b32 s30, s0, -4
	v_cmp_gt_i32_e64 s[0:1], s7, v1
	v_mov_b32_e32 v20, 0
	v_mov_b32_e32 v21, 0
	;; [unrolled: 1-line block ×8, first 2 shown]
	s_and_saveexec_b64 s[2:3], s[0:1]
	s_cbranch_execz .LBB385_3
; %bb.2:
	s_load_dwordx2 s[22:23], s[4:5], 0x28
	s_load_dwordx2 s[28:29], s[4:5], 0x40
	s_and_b64 s[34:35], s[8:9], exec
	s_cselect_b32 s14, s17, s18
	s_mov_b32 s31, 0x20000
	s_waitcnt lgkmcnt(0)
	s_cselect_b32 s17, s23, s37
	s_cselect_b32 s27, s22, s36
	s_mul_hi_i32 s23, s14, s6
	s_mul_i32 s22, s14, s6
	s_lshl_b64 s[22:23], s[22:23], 1
	s_add_u32 s40, s27, s22
	s_addc_u32 s14, s17, s23
	s_and_b64 s[22:23], s[8:9], exec
	s_cselect_b32 s28, s28, s20
	s_cselect_b32 s17, s29, s21
	v_lshlrev_b32_e32 v2, 4, v0
	s_and_b32 s41, s14, 0xffff
	s_mov_b32 s42, s30
	s_mov_b32 s43, s31
	s_and_b32 s29, s17, 0xffff
	buffer_load_dwordx4 v[24:27], v2, s[40:43], 0 offen glc slc
	buffer_load_dwordx4 v[20:23], v2, s[28:31], 0 offen
.LBB385_3:
	s_or_b64 exec, exec, s[2:3]
	s_load_dwordx2 s[34:35], s[4:5], 0x80
	s_and_b64 vcc, exec, s[10:11]
	s_cbranch_vccz .LBB385_7
; %bb.4:
	v_mov_b32_e32 v29, 0
	v_mov_b32_e32 v28, 0
	;; [unrolled: 1-line block ×8, first 2 shown]
	s_and_saveexec_b64 s[2:3], s[0:1]
	s_cbranch_execz .LBB385_6
; %bb.5:
	s_waitcnt vmcnt(1)
	v_cvt_f32_f16_sdwa v11, v24 dst_sel:DWORD dst_unused:UNUSED_PAD src0_sel:WORD_1
	v_cvt_f32_f16_e32 v10, v24
	v_cvt_f32_f16_sdwa v15, v25 dst_sel:DWORD dst_unused:UNUSED_PAD src0_sel:WORD_1
	v_cvt_f32_f16_e32 v14, v25
	;; [unrolled: 2-line block ×4, first 2 shown]
.LBB385_6:
	s_or_b64 exec, exec, s[2:3]
	s_cbranch_execz .LBB385_8
	s_branch .LBB385_11
.LBB385_7:
                                        ; implicit-def: $vgpr10_vgpr11_vgpr12_vgpr13_vgpr14_vgpr15_vgpr16_vgpr17
                                        ; implicit-def: $vgpr29
                                        ; implicit-def: $vgpr12_vgpr13_vgpr14_vgpr15_vgpr16_vgpr17_vgpr18_vgpr19
                                        ; implicit-def: $vgpr2_vgpr3_vgpr4_vgpr5_vgpr6_vgpr7_vgpr8_vgpr9
.LBB385_8:
	v_mov_b32_e32 v29, 0
	v_mov_b32_e32 v28, 0
	;; [unrolled: 1-line block ×8, first 2 shown]
	s_and_saveexec_b64 s[2:3], s[0:1]
	s_cbranch_execz .LBB385_10
; %bb.9:
	s_load_dwordx2 s[22:23], s[4:5], 0x38
	s_mul_hi_i32 s29, s19, s6
	s_mul_i32 s28, s19, s6
	s_lshl_b64 s[28:29], s[28:29], 1
	s_mov_b32 s31, 0x20000
	s_waitcnt lgkmcnt(0)
	s_add_u32 s28, s22, s28
	s_addc_u32 s14, s23, s29
	s_and_b32 s29, s14, 0xffff
	v_lshlrev_b32_e32 v30, 4, v0
	buffer_load_dwordx4 v[2:5], v30, s[28:31], 0 offen glc slc
	s_waitcnt vmcnt(2)
	v_cvt_f32_f16_sdwa v7, v24 dst_sel:DWORD dst_unused:UNUSED_PAD src0_sel:WORD_1
	v_cvt_f32_f16_e32 v6, v24
	v_cvt_f32_f16_sdwa v9, v25 dst_sel:DWORD dst_unused:UNUSED_PAD src0_sel:WORD_1
	v_cvt_f32_f16_e32 v8, v25
	;; [unrolled: 2-line block ×4, first 2 shown]
	s_load_dwordx2 s[22:23], s[4:5], 0x20
	s_mul_hi_i32 s29, s35, s6
	s_mul_i32 s28, s35, s6
	s_lshl_b64 s[28:29], s[28:29], 1
	s_waitcnt lgkmcnt(0)
	s_add_u32 s28, s22, s28
	s_addc_u32 s14, s23, s29
	s_and_b32 s29, s14, 0xffff
	s_waitcnt vmcnt(0)
	v_cvt_f32_f16_e32 v10, v2
	v_cvt_f32_f16_sdwa v11, v2 dst_sel:DWORD dst_unused:UNUSED_PAD src0_sel:WORD_1
	v_cvt_f32_f16_e32 v2, v3
	v_cvt_f32_f16_sdwa v3, v3 dst_sel:DWORD dst_unused:UNUSED_PAD src0_sel:WORD_1
	;; [unrolled: 2-line block ×4, first 2 shown]
	v_pk_add_f32 v[10:11], v[6:7], v[10:11]
	v_pk_add_f32 v[14:15], v[8:9], v[2:3]
	;; [unrolled: 1-line block ×4, first 2 shown]
	v_cvt_f16_f32_e32 v2, v11
	v_cvt_f16_f32_e32 v3, v15
	;; [unrolled: 1-line block ×8, first 2 shown]
	v_pack_b32_f16 v5, v8, v5
	v_pack_b32_f16 v4, v9, v4
	v_pack_b32_f16 v3, v12, v3
	v_pack_b32_f16 v2, v13, v2
	buffer_store_dwordx4 v[2:5], v30, s[28:31], 0 offen glc slc
	;;#ASMSTART
	s_nop 0
	;;#ASMEND
.LBB385_10:
	s_or_b64 exec, exec, s[2:3]
.LBB385_11:
	v_mul_f32_e32 v2, v11, v11
	v_fmac_f32_e32 v2, v10, v10
	v_fmac_f32_e32 v2, v14, v14
	;; [unrolled: 1-line block ×7, first 2 shown]
	v_and_b32_e32 v4, 63, v0
	v_cmp_eq_u32_e64 s[2:3], 63, v4
	v_mov_b32_dpp v3, v2 quad_perm:[1,0,3,2] row_mask:0xf bank_mask:0xf
	v_add_f32_e32 v2, v2, v3
	s_nop 1
	v_mov_b32_dpp v3, v2 quad_perm:[2,3,0,1] row_mask:0xf bank_mask:0xf
	v_add_f32_e32 v2, v2, v3
	s_nop 1
	v_mov_b32_dpp v3, v2 row_half_mirror row_mask:0xf bank_mask:0xf
	v_add_f32_e32 v2, v2, v3
	s_nop 1
	v_mov_b32_dpp v3, v2 row_mirror row_mask:0xf bank_mask:0xf
	v_add_f32_e32 v2, v2, v3
	s_nop 1
	v_mov_b32_dpp v3, v2 row_bcast:15 row_mask:0xf bank_mask:0xf
	v_add_f32_e32 v2, v2, v3
	s_nop 1
	v_mov_b32_dpp v3, v2 row_bcast:31 row_mask:0xf bank_mask:0xf
	s_and_saveexec_b64 s[22:23], s[2:3]
	s_cbranch_execz .LBB385_13
; %bb.12:
	v_add_f32_e32 v2, v2, v3
	v_lshrrev_b32_e32 v3, 4, v0
	v_and_b32_e32 v3, 60, v3
	ds_write_b32 v3, v2 offset:8
.LBB385_13:
	s_or_b64 exec, exec, s[22:23]
	v_and_b32_e32 v2, 1, v0
	v_lshlrev_b32_e32 v18, 2, v2
	s_waitcnt lgkmcnt(0)
	s_barrier
	ds_read_b32 v2, v18 offset:8
	s_load_dwordx2 s[38:39], s[4:5], 0x18
	s_waitcnt lgkmcnt(0)
	v_mov_b32_dpp v3, v2 quad_perm:[1,0,3,2] row_mask:0xf bank_mask:0xf
	s_and_saveexec_b64 s[22:23], s[0:1]
	s_cbranch_execnz .LBB385_18
; %bb.14:
	s_or_b64 exec, exec, s[22:23]
	s_mov_b64 s[8:9], -1
	s_and_b64 vcc, exec, s[10:11]
	s_cbranch_vccnz .LBB385_19
.LBB385_15:
	s_andn2_b64 vcc, exec, s[8:9]
	s_cbranch_vccz .LBB385_22
.LBB385_16:
	s_cmp_lt_i32 s16, 1
	s_cbranch_scc0 .LBB385_29
.LBB385_17:
	s_endpgm
.LBB385_18:
	v_cvt_f32_u32_e32 v4, s7
	v_add_f32_e32 v2, v2, v3
	v_mov_b32_e32 v8, s13
	v_mov_b32_e32 v9, s12
	v_div_scale_f32 v3, s[28:29], v4, v4, v2
	v_rcp_f32_e32 v5, v3
	v_cndmask_b32_e64 v8, v8, v9, s[8:9]
	s_mov_b32 s7, 0x800000
	s_waitcnt vmcnt(0)
	v_cvt_f32_f16_sdwa v17, v23 dst_sel:DWORD dst_unused:UNUSED_PAD src0_sel:WORD_1
	v_fma_f32 v9, -v3, v5, 1.0
	v_fmac_f32_e32 v5, v9, v5
	v_div_scale_f32 v9, vcc, v2, v4, v2
	v_mul_f32_e32 v12, v9, v5
	v_fma_f32 v13, -v3, v12, v9
	v_fmac_f32_e32 v12, v13, v5
	v_fma_f32 v3, -v3, v12, v9
	v_div_fmas_f32 v3, v3, v5, v12
	v_div_fixup_f32 v2, v3, v4, v2
	v_add_f32_e32 v2, v8, v2
	v_mul_f32_e32 v3, 0x4b800000, v2
	v_cmp_gt_f32_e32 vcc, s7, v2
	v_cndmask_b32_e32 v2, v2, v3, vcc
	v_rsq_f32_e32 v2, v2
	v_cvt_f32_f16_sdwa v13, v21 dst_sel:DWORD dst_unused:UNUSED_PAD src0_sel:WORD_1
	v_cvt_f32_f16_e32 v12, v21
	v_cvt_f32_f16_e32 v16, v23
	v_mul_f32_e32 v3, 0x45800000, v2
	v_cndmask_b32_e32 v2, v2, v3, vcc
	v_mov_b32_e32 v3, v2
	;;#ASMSTART
	v_pk_mul_f32 v[4:5], v[10:11], v[2:3]
	;;#ASMEND
	v_cvt_f32_f16_sdwa v11, v20 dst_sel:DWORD dst_unused:UNUSED_PAD src0_sel:WORD_1
	v_cvt_f32_f16_e32 v10, v20
	;;#ASMSTART
	v_pk_mul_f32 v[8:9], v[14:15], v[2:3]
	;;#ASMEND
	;;#ASMSTART
	v_pk_mul_f32 v[6:7], v[6:7], v[2:3]
	;;#ASMEND
	;; [unrolled: 3-line block ×3, first 2 shown]
	v_pk_add_f32 v[10:11], v[10:11], 1.0 op_sel_hi:[1,0]
	;;#ASMSTART
	v_pk_mul_f32 v[10:11], v[4:5], v[10:11]
	;;#ASMEND
	v_pk_add_f32 v[4:5], v[12:13], 1.0 op_sel_hi:[1,0]
	v_cvt_f32_f16_sdwa v13, v22 dst_sel:DWORD dst_unused:UNUSED_PAD src0_sel:WORD_1
	v_cvt_f32_f16_e32 v12, v22
	;;#ASMSTART
	v_pk_mul_f32 v[14:15], v[8:9], v[4:5]
	;;#ASMEND
	v_pk_add_f32 v[4:5], v[12:13], 1.0 op_sel_hi:[1,0]
	;;#ASMSTART
	v_pk_mul_f32 v[6:7], v[6:7], v[4:5]
	;;#ASMEND
	v_pk_add_f32 v[4:5], v[16:17], 1.0 op_sel_hi:[1,0]
	;;#ASMSTART
	v_pk_mul_f32 v[28:29], v[2:3], v[4:5]
	;;#ASMEND
	s_or_b64 exec, exec, s[22:23]
	s_mov_b64 s[8:9], -1
	s_and_b64 vcc, exec, s[10:11]
	s_cbranch_vccz .LBB385_15
.LBB385_19:
	s_and_saveexec_b64 s[8:9], s[0:1]
	s_cbranch_execz .LBB385_21
; %bb.20:
	s_mul_hi_i32 s11, s34, s6
	s_mul_i32 s10, s34, s6
	v_cvt_f16_f32_e32 v2, v10
	v_cvt_f16_f32_e32 v3, v14
	;; [unrolled: 1-line block ×8, first 2 shown]
	s_lshl_b64 s[10:11], s[10:11], 1
	s_add_u32 s28, s38, s10
	s_addc_u32 s7, s39, s11
	s_and_b32 s29, s7, 0xffff
	s_mov_b32 s31, 0x20000
	v_pack_b32_f16 v5, v5, v8
	v_pack_b32_f16 v4, v4, v9
	v_pack_b32_f16 v3, v3, v12
	v_pack_b32_f16 v2, v2, v13
	v_lshlrev_b32_e32 v8, 4, v0
	buffer_store_dwordx4 v[2:5], v8, s[28:31], 0 offen
	;;#ASMSTART
	s_nop 0
	;;#ASMEND
.LBB385_21:
	s_or_b64 exec, exec, s[8:9]
	s_cbranch_execnz .LBB385_16
.LBB385_22:
	v_mov_b32_e32 v2, 0
	s_and_saveexec_b64 s[8:9], s[0:1]
	s_cbranch_execz .LBB385_24
; %bb.23:
	v_and_b32_e32 v2, 0x7fffffff, v10
	v_and_b32_e32 v3, 0x7fffffff, v11
	v_mov_b32_e32 v4, 0x2edbe6ff
	;;#ASMSTART
	v_max3_f32 v2, v4, v2, v3

	;;#ASMEND
	v_and_b32_e32 v3, 0x7fffffff, v14
	v_and_b32_e32 v4, 0x7fffffff, v15
	;;#ASMSTART
	v_max3_f32 v2, v2, v3, v4

	;;#ASMEND
	v_and_b32_e32 v3, 0x7fffffff, v6
	v_and_b32_e32 v4, 0x7fffffff, v7
	;; [unrolled: 6-line block ×3, first 2 shown]
	;;#ASMSTART
	v_max3_f32 v2, v2, v3, v4

	;;#ASMEND
.LBB385_24:
	s_or_b64 exec, exec, s[8:9]
	;;#ASMSTART
	v_max_f32 v3, v2, v2 quad_perm:[1,0,3,2] row_mask:0xf bank_mask:0xf bound_ctrl:1
	;;#ASMEND
	;;#ASMSTART
	v_max_f32 v2, v3, v3 quad_perm:[2,3,0,1] row_mask:0xf bank_mask:0xf bound_ctrl:1
	;;#ASMEND
	;;#ASMSTART
	v_max_f32 v3, v2, v2 row_half_mirror row_mask:0xf bank_mask:0xf bound_ctrl:1
	;;#ASMEND
	v_mul_f32_e32 v2, 0x3b124925, v3
	v_and_b32_e32 v3, 7, v0
	v_cmp_eq_u32_e32 vcc, 0, v3
	v_cmp_gt_i32_e64 s[8:9], s15, v1
	s_and_b64 s[10:11], vcc, s[8:9]
	s_and_saveexec_b64 s[8:9], s[10:11]
	s_cbranch_execz .LBB385_26
; %bb.25:
	s_load_dwordx2 s[10:11], s[4:5], 0x8
	s_mul_hi_i32 s23, s25, s6
	s_mul_i32 s22, s25, s6
	v_lshrrev_b32_e32 v3, 3, v0
	s_lshl_b64 s[22:23], s[22:23], 2
	v_mad_i64_i32 v[4:5], s[26:27], s26, v3, 0
	s_waitcnt lgkmcnt(0)
	s_add_u32 s7, s10, s22
	s_addc_u32 s10, s11, s23
	v_lshlrev_b64 v[4:5], 2, v[4:5]
	v_mov_b32_e32 v3, s10
	v_add_co_u32_e32 v4, vcc, s7, v4
	v_addc_co_u32_e32 v5, vcc, v3, v5, vcc
	global_store_dword v[4:5], v2, off
.LBB385_26:
	s_or_b64 exec, exec, s[8:9]
	;;#ASMSTART
	v_rcp_f32 v2, v2
	;;#ASMEND
	s_and_saveexec_b64 s[22:23], s[0:1]
	s_cbranch_execz .LBB385_28
; %bb.27:
	s_load_dwordx2 s[0:1], s[4:5], 0x0
	s_mul_i32 s8, s24, s6
	v_mov_b32_e32 v3, v2
	;;#ASMSTART
	v_pk_mul_f32 v[4:5], v[10:11], v[2:3]
	;;#ASMEND
	s_mul_hi_i32 s7, s24, s6
	s_waitcnt lgkmcnt(0)
	s_add_u32 s8, s0, s8
	v_mov_b32_e32 v8, 0xc3e00000
	v_mov_b32_e32 v9, 0x43e00000
	;;#ASMSTART
	v_med3_f32 v4, v4, v8, v9
v_med3_f32 v5, v5, v8, v9
v_cvt_pk_fp8_f32 v10, v4, v5
	;;#ASMEND
	s_addc_u32 s0, s1, s7
	;;#ASMSTART
	v_pk_mul_f32 v[4:5], v[14:15], v[2:3]
	;;#ASMEND
	s_and_b32 s9, s0, 0xffff
	;;#ASMSTART
	v_med3_f32 v4, v4, v8, v9
v_med3_f32 v5, v5, v8, v9
v_cvt_pk_fp8_f32 v11, v4, v5
	;;#ASMEND
	s_mov_b32 s0, 0x5040100
	v_perm_b32 v5, v11, v10, s0
	s_movk_i32 s0, 0xff
	v_and_b32_e32 v4, 0xffffff00, v11
	v_and_b32_sdwa v10, v5, s0 dst_sel:DWORD dst_unused:UNUSED_PAD src0_sel:WORD_1 src1_sel:DWORD
	s_mov_b32 s12, 0xffff
	v_or_b32_sdwa v4, v10, v4 dst_sel:WORD_1 dst_unused:UNUSED_PAD src0_sel:DWORD src1_sel:DWORD
	s_add_i32 s1, s15, 3
	v_and_or_b32 v4, v5, s12, v4
	;;#ASMSTART
	v_pk_mul_f32 v[6:7], v[6:7], v[2:3]
	;;#ASMEND
	v_mov_b32_e32 v5, v6
	s_ashr_i32 s7, s1, 31
	;;#ASMSTART
	v_med3_f32 v5, v5, v8, v9
v_med3_f32 v7, v7, v8, v9
v_cvt_pk_fp8_f32 v6, v5, v7
	;;#ASMEND
	;;#ASMSTART
	v_pk_mul_f32 v[2:3], v[28:29], v[2:3]
	;;#ASMEND
	s_lshr_b32 s7, s7, 30
	;;#ASMSTART
	v_med3_f32 v2, v2, v8, v9
v_med3_f32 v3, v3, v8, v9
v_cvt_pk_fp8_f32 v5, v2, v3
	;;#ASMEND
	s_add_i32 s1, s1, s7
	v_lshlrev_b32_e32 v2, 16, v5
	s_and_b32 s10, s1, -4
	s_mov_b32 s11, 0x20000
	v_and_or_b32 v5, v6, s12, v2
	buffer_store_dwordx2 v[4:5], v1, s[8:11], 0 offen
	;;#ASMSTART
	s_nop 0
	;;#ASMEND
.LBB385_28:
	s_or_b64 exec, exec, s[22:23]
	s_cmp_lt_i32 s16, 1
	s_cbranch_scc1 .LBB385_17
.LBB385_29:
	s_load_dword s0, s[4:5], 0x94
	s_waitcnt lgkmcnt(0)
	s_cmp_lg_u32 s0, 1
	s_cbranch_scc1 .LBB385_17
; %bb.30:
	s_lshl_b32 s0, s16, 1
	s_add_i32 s0, s0, 2
	v_cmp_gt_u32_e32 vcc, s16, v1
	s_and_b32 s22, s0, -4
	v_mov_b32_e32 v10, 0
	v_lshlrev_b32_e32 v1, 4, v0
	v_mov_b32_e32 v6, 0
	v_mov_b32_e32 v7, 0
	v_mov_b32_e32 v8, 0
	v_mov_b32_e32 v9, 0
	v_mov_b32_e32 v2, 0
	v_mov_b32_e32 v3, 0
	v_mov_b32_e32 v4, 0
	v_mov_b32_e32 v5, 0
	s_barrier
	s_and_saveexec_b64 s[0:1], vcc
	s_cbranch_execz .LBB385_32
; %bb.31:
	s_mul_hi_i32 s5, s18, s6
	s_mul_i32 s4, s18, s6
	s_and_b32 s21, s21, 0xffff
	s_lshl_b64 s[4:5], s[4:5], 1
	s_add_u32 s8, s36, s4
	s_mov_b32 s23, 0x20000
	s_addc_u32 s4, s37, s5
	s_and_b32 s9, s4, 0xffff
	s_mov_b32 s10, s22
	s_mov_b32 s11, s23
	buffer_load_dwordx4 v[6:9], v1, s[8:11], 0 offen glc slc
	buffer_load_dwordx4 v[2:5], v1, s[20:23], 0 offen
.LBB385_32:
	s_or_b64 exec, exec, s[0:1]
	v_mov_b32_e32 v11, 0
	v_mov_b32_e32 v16, 0
	;; [unrolled: 1-line block ×7, first 2 shown]
	s_and_saveexec_b64 s[0:1], vcc
	s_cbranch_execz .LBB385_34
; %bb.33:
	s_waitcnt vmcnt(1)
	v_cvt_f32_f16_sdwa v11, v6 dst_sel:DWORD dst_unused:UNUSED_PAD src0_sel:WORD_1
	v_cvt_f32_f16_e32 v10, v6
	v_cvt_f32_f16_sdwa v17, v7 dst_sel:DWORD dst_unused:UNUSED_PAD src0_sel:WORD_1
	v_cvt_f32_f16_e32 v16, v7
	;; [unrolled: 2-line block ×4, first 2 shown]
.LBB385_34:
	s_or_b64 exec, exec, s[0:1]
	s_waitcnt vmcnt(1)
	v_mul_f32_e32 v6, v11, v11
	v_fmac_f32_e32 v6, v10, v10
	v_fmac_f32_e32 v6, v16, v16
	v_fmac_f32_e32 v6, v17, v17
	v_fmac_f32_e32 v6, v14, v14
	v_fmac_f32_e32 v6, v15, v15
	v_fmac_f32_e32 v6, v12, v12
	v_fmac_f32_e32 v6, v13, v13
	s_nop 1
	v_mov_b32_dpp v7, v6 quad_perm:[1,0,3,2] row_mask:0xf bank_mask:0xf
	v_add_f32_e32 v6, v6, v7
	s_nop 1
	v_mov_b32_dpp v7, v6 quad_perm:[2,3,0,1] row_mask:0xf bank_mask:0xf
	v_add_f32_e32 v6, v6, v7
	s_nop 1
	v_mov_b32_dpp v7, v6 row_half_mirror row_mask:0xf bank_mask:0xf
	v_add_f32_e32 v6, v6, v7
	s_nop 1
	v_mov_b32_dpp v7, v6 row_mirror row_mask:0xf bank_mask:0xf
	v_add_f32_e32 v6, v6, v7
	s_nop 1
	v_mov_b32_dpp v7, v6 row_bcast:15 row_mask:0xf bank_mask:0xf
	v_add_f32_e32 v6, v6, v7
	s_nop 1
	v_mov_b32_dpp v7, v6 row_bcast:31 row_mask:0xf bank_mask:0xf
	s_and_saveexec_b64 s[0:1], s[2:3]
	s_cbranch_execz .LBB385_36
; %bb.35:
	v_lshrrev_b32_e32 v0, 4, v0
	v_add_f32_e32 v6, v6, v7
	v_and_b32_e32 v0, 60, v0
	ds_write_b32 v0, v6
.LBB385_36:
	s_or_b64 exec, exec, s[0:1]
	s_waitcnt lgkmcnt(0)
	s_barrier
	ds_read_b32 v0, v18
	s_waitcnt lgkmcnt(0)
	s_nop 0
	v_mov_b32_dpp v6, v0 quad_perm:[1,0,3,2] row_mask:0xf bank_mask:0xf
	s_and_saveexec_b64 s[0:1], vcc
	s_cbranch_execz .LBB385_17
; %bb.37:
	v_cvt_f32_u32_e32 v7, s16
	v_add_f32_e32 v0, v0, v6
	s_mov_b32 s23, 0x20000
	v_div_scale_f32 v6, s[0:1], v7, v7, v0
	v_rcp_f32_e32 v8, v6
	v_div_scale_f32 v9, vcc, v0, v7, v0
	s_mov_b32 s0, 0x800000
	v_fma_f32 v18, -v6, v8, 1.0
	v_fmac_f32_e32 v8, v18, v8
	v_mul_f32_e32 v18, v9, v8
	v_fma_f32 v19, -v6, v18, v9
	v_fmac_f32_e32 v18, v19, v8
	v_fma_f32 v6, -v6, v18, v9
	v_div_fmas_f32 v6, v6, v8, v18
	v_div_fixup_f32 v0, v6, v7, v0
	v_add_f32_e32 v0, s13, v0
	v_mul_f32_e32 v6, 0x4b800000, v0
	v_cmp_gt_f32_e32 vcc, s0, v0
	v_cndmask_b32_e32 v0, v0, v6, vcc
	v_rsq_f32_e32 v0, v0
	s_waitcnt vmcnt(0)
	v_cvt_f32_f16_sdwa v19, v3 dst_sel:DWORD dst_unused:UNUSED_PAD src0_sel:WORD_1
	v_cvt_f32_f16_e32 v18, v3
	s_mul_hi_i32 s1, s34, s6
	v_mul_f32_e32 v6, 0x45800000, v0
	v_cndmask_b32_e32 v6, v0, v6, vcc
	v_mov_b32_e32 v7, v6
	;;#ASMSTART
	v_pk_mul_f32 v[8:9], v[10:11], v[6:7]
	;;#ASMEND
	;;#ASMSTART
	v_pk_mul_f32 v[10:11], v[16:17], v[6:7]
	;;#ASMEND
	v_cvt_f32_f16_sdwa v17, v2 dst_sel:DWORD dst_unused:UNUSED_PAD src0_sel:WORD_1
	v_cvt_f32_f16_e32 v16, v2
	;;#ASMSTART
	v_pk_mul_f32 v[14:15], v[14:15], v[6:7]
	;;#ASMEND
	;;#ASMSTART
	v_pk_mul_f32 v[2:3], v[12:13], v[6:7]
	;;#ASMEND
	v_cvt_f32_f16_sdwa v13, v4 dst_sel:DWORD dst_unused:UNUSED_PAD src0_sel:WORD_1
	v_cvt_f32_f16_e32 v12, v4
	v_pk_add_f32 v[6:7], v[16:17], 1.0 op_sel_hi:[1,0]
	v_cvt_f32_f16_sdwa v17, v5 dst_sel:DWORD dst_unused:UNUSED_PAD src0_sel:WORD_1
	v_cvt_f32_f16_e32 v16, v5
	;;#ASMSTART
	v_pk_mul_f32 v[6:7], v[8:9], v[6:7]
	;;#ASMEND
	v_pk_add_f32 v[8:9], v[18:19], 1.0 op_sel_hi:[1,0]
	;;#ASMSTART
	v_pk_mul_f32 v[4:5], v[10:11], v[8:9]
	;;#ASMEND
	v_pk_add_f32 v[8:9], v[12:13], 1.0 op_sel_hi:[1,0]
	;; [unrolled: 4-line block ×3, first 2 shown]
	;;#ASMSTART
	v_pk_mul_f32 v[2:3], v[2:3], v[10:11]
	;;#ASMEND
	s_mul_i32 s0, s34, s6
	v_cvt_f16_f32_e32 v0, v6
	v_cvt_f16_f32_e32 v6, v7
	;; [unrolled: 1-line block ×8, first 2 shown]
	s_lshl_b64 s[0:1], s[0:1], 1
	s_add_u32 s20, s38, s0
	s_addc_u32 s0, s39, s1
	s_and_b32 s21, s0, 0xffff
	v_pack_b32_f16 v2, v0, v6
	v_pack_b32_f16 v3, v4, v5
	;; [unrolled: 1-line block ×4, first 2 shown]
	buffer_store_dwordx4 v[2:5], v1, s[20:23], 0 offen
	;;#ASMSTART
	s_nop 0
	;;#ASMEND
	s_endpgm
	.section	.rodata,"a",@progbits
	.p2align	6, 0x0
	.amdhsa_kernel _ZN5aiter35fused_qk_rmsnorm_group_quant_kernelIDF16_DB8_Li128ELi8ELi8ELb1ELb0ELb1ELb0ELb0ELb0EEEvPT0_PvPT_S6_S6_PKS5_S8_S8_S8_S8_ffiiiiiiiiiiiii
		.amdhsa_group_segment_fixed_size 16
		.amdhsa_private_segment_fixed_size 0
		.amdhsa_kernarg_size 400
		.amdhsa_user_sgpr_count 6
		.amdhsa_user_sgpr_private_segment_buffer 1
		.amdhsa_user_sgpr_dispatch_ptr 0
		.amdhsa_user_sgpr_queue_ptr 0
		.amdhsa_user_sgpr_kernarg_segment_ptr 1
		.amdhsa_user_sgpr_dispatch_id 0
		.amdhsa_user_sgpr_flat_scratch_init 0
		.amdhsa_user_sgpr_kernarg_preload_length 0
		.amdhsa_user_sgpr_kernarg_preload_offset 0
		.amdhsa_user_sgpr_private_segment_size 0
		.amdhsa_uses_dynamic_stack 0
		.amdhsa_system_sgpr_private_segment_wavefront_offset 0
		.amdhsa_system_sgpr_workgroup_id_x 1
		.amdhsa_system_sgpr_workgroup_id_y 1
		.amdhsa_system_sgpr_workgroup_id_z 0
		.amdhsa_system_sgpr_workgroup_info 0
		.amdhsa_system_vgpr_workitem_id 0
		.amdhsa_next_free_vgpr 31
		.amdhsa_next_free_sgpr 44
		.amdhsa_accum_offset 32
		.amdhsa_reserve_vcc 1
		.amdhsa_reserve_flat_scratch 0
		.amdhsa_float_round_mode_32 0
		.amdhsa_float_round_mode_16_64 0
		.amdhsa_float_denorm_mode_32 3
		.amdhsa_float_denorm_mode_16_64 3
		.amdhsa_dx10_clamp 1
		.amdhsa_ieee_mode 1
		.amdhsa_fp16_overflow 0
		.amdhsa_tg_split 0
		.amdhsa_exception_fp_ieee_invalid_op 0
		.amdhsa_exception_fp_denorm_src 0
		.amdhsa_exception_fp_ieee_div_zero 0
		.amdhsa_exception_fp_ieee_overflow 0
		.amdhsa_exception_fp_ieee_underflow 0
		.amdhsa_exception_fp_ieee_inexact 0
		.amdhsa_exception_int_div_zero 0
	.end_amdhsa_kernel
	.section	.text._ZN5aiter35fused_qk_rmsnorm_group_quant_kernelIDF16_DB8_Li128ELi8ELi8ELb1ELb0ELb1ELb0ELb0ELb0EEEvPT0_PvPT_S6_S6_PKS5_S8_S8_S8_S8_ffiiiiiiiiiiiii,"axG",@progbits,_ZN5aiter35fused_qk_rmsnorm_group_quant_kernelIDF16_DB8_Li128ELi8ELi8ELb1ELb0ELb1ELb0ELb0ELb0EEEvPT0_PvPT_S6_S6_PKS5_S8_S8_S8_S8_ffiiiiiiiiiiiii,comdat
.Lfunc_end385:
	.size	_ZN5aiter35fused_qk_rmsnorm_group_quant_kernelIDF16_DB8_Li128ELi8ELi8ELb1ELb0ELb1ELb0ELb0ELb0EEEvPT0_PvPT_S6_S6_PKS5_S8_S8_S8_S8_ffiiiiiiiiiiiii, .Lfunc_end385-_ZN5aiter35fused_qk_rmsnorm_group_quant_kernelIDF16_DB8_Li128ELi8ELi8ELb1ELb0ELb1ELb0ELb0ELb0EEEvPT0_PvPT_S6_S6_PKS5_S8_S8_S8_S8_ffiiiiiiiiiiiii
                                        ; -- End function
	.section	.AMDGPU.csdata,"",@progbits
; Kernel info:
; codeLenInByte = 2876
; NumSgprs: 48
; NumVgprs: 31
; NumAgprs: 0
; TotalNumVgprs: 31
; ScratchSize: 0
; MemoryBound: 0
; FloatMode: 240
; IeeeMode: 1
; LDSByteSize: 16 bytes/workgroup (compile time only)
; SGPRBlocks: 5
; VGPRBlocks: 3
; NumSGPRsForWavesPerEU: 48
; NumVGPRsForWavesPerEU: 31
; AccumOffset: 32
; Occupancy: 8
; WaveLimiterHint : 0
; COMPUTE_PGM_RSRC2:SCRATCH_EN: 0
; COMPUTE_PGM_RSRC2:USER_SGPR: 6
; COMPUTE_PGM_RSRC2:TRAP_HANDLER: 0
; COMPUTE_PGM_RSRC2:TGID_X_EN: 1
; COMPUTE_PGM_RSRC2:TGID_Y_EN: 1
; COMPUTE_PGM_RSRC2:TGID_Z_EN: 0
; COMPUTE_PGM_RSRC2:TIDIG_COMP_CNT: 0
; COMPUTE_PGM_RSRC3_GFX90A:ACCUM_OFFSET: 7
; COMPUTE_PGM_RSRC3_GFX90A:TG_SPLIT: 0
	.section	.text._ZN5aiter35fused_qk_rmsnorm_group_quant_kernelItDB8_Li128ELi8ELi8ELb1ELb0ELb1ELb0ELb0ELb0EEEvPT0_PvPT_S6_S6_PKS5_S8_S8_S8_S8_ffiiiiiiiiiiiii,"axG",@progbits,_ZN5aiter35fused_qk_rmsnorm_group_quant_kernelItDB8_Li128ELi8ELi8ELb1ELb0ELb1ELb0ELb0ELb0EEEvPT0_PvPT_S6_S6_PKS5_S8_S8_S8_S8_ffiiiiiiiiiiiii,comdat
	.protected	_ZN5aiter35fused_qk_rmsnorm_group_quant_kernelItDB8_Li128ELi8ELi8ELb1ELb0ELb1ELb0ELb0ELb0EEEvPT0_PvPT_S6_S6_PKS5_S8_S8_S8_S8_ffiiiiiiiiiiiii ; -- Begin function _ZN5aiter35fused_qk_rmsnorm_group_quant_kernelItDB8_Li128ELi8ELi8ELb1ELb0ELb1ELb0ELb0ELb0EEEvPT0_PvPT_S6_S6_PKS5_S8_S8_S8_S8_ffiiiiiiiiiiiii
	.globl	_ZN5aiter35fused_qk_rmsnorm_group_quant_kernelItDB8_Li128ELi8ELi8ELb1ELb0ELb1ELb0ELb0ELb0EEEvPT0_PvPT_S6_S6_PKS5_S8_S8_S8_S8_ffiiiiiiiiiiiii
	.p2align	8
	.type	_ZN5aiter35fused_qk_rmsnorm_group_quant_kernelItDB8_Li128ELi8ELi8ELb1ELb0ELb1ELb0ELb0ELb0EEEvPT0_PvPT_S6_S6_PKS5_S8_S8_S8_S8_ffiiiiiiiiiiiii,@function
_ZN5aiter35fused_qk_rmsnorm_group_quant_kernelItDB8_Li128ELi8ELi8ELb1ELb0ELb1ELb0ELb0ELb0EEEvPT0_PvPT_S6_S6_PKS5_S8_S8_S8_S8_ffiiiiiiiiiiiii: ; @_ZN5aiter35fused_qk_rmsnorm_group_quant_kernelItDB8_Li128ELi8ELi8ELb1ELb0ELb1ELb0ELb0ELb0EEEvPT0_PvPT_S6_S6_PKS5_S8_S8_S8_S8_ffiiiiiiiiiiiii
; %bb.0:
	s_load_dwordx8 s[12:19], s[4:5], 0x50
	s_waitcnt lgkmcnt(0)
	s_cmp_ge_i32 s6, s14
	s_cbranch_scc1 .LBB386_17
; %bb.1:
	s_cmp_lg_u32 s7, 0
	s_cselect_b64 s[10:11], -1, 0
	s_cmp_eq_u32 s7, 0
	s_cselect_b64 s[8:9], -1, 0
	s_and_b64 s[0:1], s[8:9], exec
	s_load_dwordx2 s[20:21], s[4:5], 0x48
	s_load_dwordx2 s[36:37], s[4:5], 0x30
	s_load_dwordx4 s[24:27], s[4:5], 0x70
	s_cselect_b32 s7, s15, s16
	s_add_i32 s0, s7, 1
	s_lshr_b32 s1, s0, 31
	s_add_i32 s0, s0, s1
	s_lshl_b32 s0, s0, 1
	v_lshlrev_b32_e32 v1, 3, v0
	s_and_b32 s30, s0, -4
	v_cmp_gt_i32_e64 s[0:1], s7, v1
	v_mov_b32_e32 v10, 0
	v_mov_b32_e32 v11, 0
	;; [unrolled: 1-line block ×8, first 2 shown]
	s_and_saveexec_b64 s[2:3], s[0:1]
	s_cbranch_execz .LBB386_3
; %bb.2:
	s_load_dwordx2 s[22:23], s[4:5], 0x28
	s_load_dwordx2 s[28:29], s[4:5], 0x40
	s_and_b64 s[34:35], s[8:9], exec
	s_cselect_b32 s14, s17, s18
	s_mov_b32 s31, 0x20000
	s_waitcnt lgkmcnt(0)
	s_cselect_b32 s17, s23, s37
	s_cselect_b32 s27, s22, s36
	s_mul_hi_i32 s23, s14, s6
	s_mul_i32 s22, s14, s6
	s_lshl_b64 s[22:23], s[22:23], 1
	s_add_u32 s40, s27, s22
	s_addc_u32 s14, s17, s23
	s_and_b64 s[22:23], s[8:9], exec
	s_cselect_b32 s28, s28, s20
	s_cselect_b32 s17, s29, s21
	v_lshlrev_b32_e32 v2, 4, v0
	s_and_b32 s41, s14, 0xffff
	s_mov_b32 s42, s30
	s_mov_b32 s43, s31
	s_and_b32 s29, s17, 0xffff
	buffer_load_dwordx4 v[14:17], v2, s[40:43], 0 offen glc slc
	buffer_load_dwordx4 v[10:13], v2, s[28:31], 0 offen
.LBB386_3:
	s_or_b64 exec, exec, s[2:3]
	s_load_dwordx2 s[34:35], s[4:5], 0x80
	s_and_b64 vcc, exec, s[10:11]
	s_cbranch_vccz .LBB386_7
; %bb.4:
	s_mov_b32 s40, 0
	s_mov_b32 s41, s40
	;; [unrolled: 1-line block ×8, first 2 shown]
	v_pk_mov_b32 v[2:3], s[40:41], s[40:41] op_sel:[0,1]
	v_pk_mov_b32 v[4:5], s[42:43], s[42:43] op_sel:[0,1]
	;; [unrolled: 1-line block ×4, first 2 shown]
	s_and_saveexec_b64 s[2:3], s[0:1]
	s_cbranch_execz .LBB386_6
; %bb.5:
	s_waitcnt vmcnt(1)
	v_cvt_f32_u32_sdwa v3, v14 dst_sel:DWORD dst_unused:UNUSED_PAD src0_sel:WORD_1
	v_cvt_f32_u32_sdwa v2, v14 dst_sel:DWORD dst_unused:UNUSED_PAD src0_sel:WORD_0
	v_cvt_f32_u32_sdwa v5, v15 dst_sel:DWORD dst_unused:UNUSED_PAD src0_sel:WORD_1
	v_cvt_f32_u32_sdwa v4, v15 dst_sel:DWORD dst_unused:UNUSED_PAD src0_sel:WORD_0
	;; [unrolled: 2-line block ×4, first 2 shown]
.LBB386_6:
	s_or_b64 exec, exec, s[2:3]
	s_cbranch_execz .LBB386_8
	s_branch .LBB386_11
.LBB386_7:
                                        ; implicit-def: $vgpr2_vgpr3_vgpr4_vgpr5_vgpr6_vgpr7_vgpr8_vgpr9
.LBB386_8:
	s_mov_b32 s40, 0
	s_mov_b32 s41, s40
	;; [unrolled: 1-line block ×8, first 2 shown]
	v_pk_mov_b32 v[2:3], s[40:41], s[40:41] op_sel:[0,1]
	v_pk_mov_b32 v[4:5], s[42:43], s[42:43] op_sel:[0,1]
	;; [unrolled: 1-line block ×4, first 2 shown]
	s_and_saveexec_b64 s[2:3], s[0:1]
	s_cbranch_execz .LBB386_10
; %bb.9:
	s_load_dwordx2 s[22:23], s[4:5], 0x38
	s_mul_hi_i32 s29, s19, s6
	s_mul_i32 s28, s19, s6
	s_lshl_b64 s[28:29], s[28:29], 1
	s_mov_b32 s31, 0x20000
	s_waitcnt lgkmcnt(0)
	s_add_u32 s28, s22, s28
	s_addc_u32 s14, s23, s29
	s_and_b32 s29, s14, 0xffff
	v_lshlrev_b32_e32 v26, 4, v0
	buffer_load_dwordx4 v[2:5], v26, s[28:31], 0 offen glc slc
	s_load_dwordx2 s[22:23], s[4:5], 0x20
	s_waitcnt vmcnt(2)
	v_cvt_f32_u32_sdwa v7, v14 dst_sel:DWORD dst_unused:UNUSED_PAD src0_sel:WORD_1
	v_cvt_f32_u32_sdwa v6, v14 dst_sel:DWORD dst_unused:UNUSED_PAD src0_sel:WORD_0
	v_cvt_f32_u32_sdwa v9, v15 dst_sel:DWORD dst_unused:UNUSED_PAD src0_sel:WORD_1
	v_cvt_f32_u32_sdwa v8, v15 dst_sel:DWORD dst_unused:UNUSED_PAD src0_sel:WORD_0
	;; [unrolled: 2-line block ×4, first 2 shown]
	s_mul_hi_i32 s29, s35, s6
	s_mul_i32 s28, s35, s6
	s_lshl_b64 s[28:29], s[28:29], 1
	s_waitcnt lgkmcnt(0)
	s_add_u32 s28, s22, s28
	s_mov_b32 s14, 0x7060302
	s_addc_u32 s17, s23, s29
	s_and_b32 s29, s17, 0xffff
	s_waitcnt vmcnt(0)
	v_cvt_f32_u32_sdwa v17, v2 dst_sel:DWORD dst_unused:UNUSED_PAD src0_sel:WORD_1
	v_cvt_f32_u32_sdwa v16, v2 dst_sel:DWORD dst_unused:UNUSED_PAD src0_sel:WORD_0
	v_cvt_f32_u32_sdwa v21, v3 dst_sel:DWORD dst_unused:UNUSED_PAD src0_sel:WORD_1
	v_cvt_f32_u32_sdwa v20, v3 dst_sel:DWORD dst_unused:UNUSED_PAD src0_sel:WORD_0
	;; [unrolled: 2-line block ×4, first 2 shown]
	v_pk_add_f32 v[2:3], v[6:7], v[16:17]
	v_pk_add_f32 v[4:5], v[8:9], v[20:21]
	;; [unrolled: 1-line block ×4, first 2 shown]
	v_perm_b32 v17, v9, v8, s14
	v_perm_b32 v16, v7, v6, s14
	;; [unrolled: 1-line block ×4, first 2 shown]
	buffer_store_dwordx4 v[14:17], v26, s[28:31], 0 offen glc slc
	;;#ASMSTART
	s_nop 0
	;;#ASMEND
.LBB386_10:
	s_or_b64 exec, exec, s[2:3]
.LBB386_11:
	s_waitcnt vmcnt(1)
	v_mul_f32_e32 v14, v3, v3
	v_fmac_f32_e32 v14, v2, v2
	v_fmac_f32_e32 v14, v4, v4
	;; [unrolled: 1-line block ×7, first 2 shown]
	v_and_b32_e32 v16, 63, v0
	v_cmp_eq_u32_e64 s[2:3], 63, v16
	v_mov_b32_dpp v15, v14 quad_perm:[1,0,3,2] row_mask:0xf bank_mask:0xf
	v_add_f32_e32 v14, v14, v15
	s_nop 1
	v_mov_b32_dpp v15, v14 quad_perm:[2,3,0,1] row_mask:0xf bank_mask:0xf
	v_add_f32_e32 v14, v14, v15
	s_nop 1
	v_mov_b32_dpp v15, v14 row_half_mirror row_mask:0xf bank_mask:0xf
	v_add_f32_e32 v14, v14, v15
	s_nop 1
	v_mov_b32_dpp v15, v14 row_mirror row_mask:0xf bank_mask:0xf
	v_add_f32_e32 v14, v14, v15
	s_nop 1
	v_mov_b32_dpp v15, v14 row_bcast:15 row_mask:0xf bank_mask:0xf
	v_add_f32_e32 v14, v14, v15
	s_nop 1
	v_mov_b32_dpp v15, v14 row_bcast:31 row_mask:0xf bank_mask:0xf
	s_and_saveexec_b64 s[22:23], s[2:3]
	s_cbranch_execz .LBB386_13
; %bb.12:
	v_add_f32_e32 v14, v14, v15
	v_lshrrev_b32_e32 v15, 4, v0
	v_and_b32_e32 v15, 60, v15
	ds_write_b32 v15, v14 offset:8
.LBB386_13:
	s_or_b64 exec, exec, s[22:23]
	v_and_b32_e32 v14, 1, v0
	v_lshlrev_b32_e32 v14, 2, v14
	s_waitcnt lgkmcnt(0)
	s_barrier
	ds_read_b32 v15, v14 offset:8
	s_load_dwordx2 s[38:39], s[4:5], 0x18
	s_waitcnt lgkmcnt(0)
	v_mov_b32_dpp v16, v15 quad_perm:[1,0,3,2] row_mask:0xf bank_mask:0xf
	s_and_saveexec_b64 s[22:23], s[0:1]
	s_cbranch_execnz .LBB386_18
; %bb.14:
	s_or_b64 exec, exec, s[22:23]
	s_mov_b64 s[8:9], -1
	s_and_b64 vcc, exec, s[10:11]
	s_cbranch_vccnz .LBB386_19
.LBB386_15:
	s_andn2_b64 vcc, exec, s[8:9]
	s_cbranch_vccz .LBB386_22
.LBB386_16:
	s_cmp_lt_i32 s16, 1
	s_cbranch_scc0 .LBB386_29
.LBB386_17:
	s_endpgm
.LBB386_18:
	v_cvt_f32_u32_e32 v17, s7
	v_add_f32_e32 v15, v15, v16
	v_mov_b32_e32 v19, s13
	v_mov_b32_e32 v20, s12
	v_div_scale_f32 v16, s[28:29], v17, v17, v15
	v_rcp_f32_e32 v18, v16
	v_cndmask_b32_e64 v19, v19, v20, s[8:9]
	s_mov_b32 s7, 0x800000
	v_fma_f32 v20, -v16, v18, 1.0
	v_fmac_f32_e32 v18, v20, v18
	v_div_scale_f32 v20, vcc, v15, v17, v15
	v_mul_f32_e32 v21, v20, v18
	v_fma_f32 v22, -v16, v21, v20
	v_fmac_f32_e32 v21, v22, v18
	v_fma_f32 v16, -v16, v21, v20
	v_div_fmas_f32 v16, v16, v18, v21
	v_div_fixup_f32 v15, v16, v17, v15
	v_add_f32_e32 v15, v19, v15
	v_mul_f32_e32 v16, 0x4b800000, v15
	v_cmp_gt_f32_e32 vcc, s7, v15
	v_cndmask_b32_e32 v15, v15, v16, vcc
	v_rsq_f32_e32 v15, v15
	s_waitcnt vmcnt(0)
	v_cvt_f32_u32_sdwa v19, v10 dst_sel:DWORD dst_unused:UNUSED_PAD src0_sel:WORD_1
	v_cvt_f32_u32_sdwa v18, v10 dst_sel:DWORD dst_unused:UNUSED_PAD src0_sel:WORD_0
	v_cvt_f32_u32_sdwa v21, v11 dst_sel:DWORD dst_unused:UNUSED_PAD src0_sel:WORD_1
	v_mul_f32_e32 v16, 0x45800000, v15
	v_cndmask_b32_e32 v16, v15, v16, vcc
	v_mov_b32_e32 v17, v16
	v_cvt_f32_u32_sdwa v20, v11 dst_sel:DWORD dst_unused:UNUSED_PAD src0_sel:WORD_0
	;;#ASMSTART
	v_pk_mul_f32 v[2:3], v[2:3], v[16:17]
	;;#ASMEND
	;;#ASMSTART
	v_pk_mul_f32 v[4:5], v[4:5], v[16:17]
	;;#ASMEND
	;; [unrolled: 3-line block ×4, first 2 shown]
	v_cvt_f32_u32_sdwa v17, v12 dst_sel:DWORD dst_unused:UNUSED_PAD src0_sel:WORD_1
	v_cvt_f32_u32_sdwa v16, v12 dst_sel:DWORD dst_unused:UNUSED_PAD src0_sel:WORD_0
	v_pk_add_f32 v[10:11], v[18:19], 1.0 op_sel_hi:[1,0]
	v_cvt_f32_u32_sdwa v19, v13 dst_sel:DWORD dst_unused:UNUSED_PAD src0_sel:WORD_1
	v_cvt_f32_u32_sdwa v18, v13 dst_sel:DWORD dst_unused:UNUSED_PAD src0_sel:WORD_0
	;;#ASMSTART
	v_pk_mul_f32 v[2:3], v[2:3], v[10:11]
	;;#ASMEND
	v_pk_add_f32 v[10:11], v[20:21], 1.0 op_sel_hi:[1,0]
	;;#ASMSTART
	v_pk_mul_f32 v[4:5], v[4:5], v[10:11]
	;;#ASMEND
	v_pk_add_f32 v[10:11], v[16:17], 1.0 op_sel_hi:[1,0]
	;;#ASMSTART
	v_pk_mul_f32 v[6:7], v[6:7], v[10:11]
	;;#ASMEND
	v_pk_add_f32 v[10:11], v[18:19], 1.0 op_sel_hi:[1,0]
	;;#ASMSTART
	v_pk_mul_f32 v[8:9], v[8:9], v[10:11]
	;;#ASMEND
	s_or_b64 exec, exec, s[22:23]
	s_mov_b64 s[8:9], -1
	s_and_b64 vcc, exec, s[10:11]
	s_cbranch_vccz .LBB386_15
.LBB386_19:
	s_and_saveexec_b64 s[8:9], s[0:1]
	s_cbranch_execz .LBB386_21
; %bb.20:
	s_mul_hi_i32 s11, s34, s6
	s_mul_i32 s10, s34, s6
	s_lshl_b64 s[10:11], s[10:11], 1
	s_add_u32 s28, s38, s10
	s_addc_u32 s7, s39, s11
	s_and_b32 s29, s7, 0xffff
	s_mov_b32 s7, 0x7060302
	s_mov_b32 s31, 0x20000
	s_waitcnt vmcnt(0)
	v_perm_b32 v10, v3, v2, s7
	v_perm_b32 v11, v5, v4, s7
	v_perm_b32 v12, v7, v6, s7
	v_perm_b32 v13, v9, v8, s7
	v_lshlrev_b32_e32 v15, 4, v0
	buffer_store_dwordx4 v[10:13], v15, s[28:31], 0 offen
	;;#ASMSTART
	s_nop 0
	;;#ASMEND
.LBB386_21:
	s_or_b64 exec, exec, s[8:9]
	s_cbranch_execnz .LBB386_16
.LBB386_22:
	s_waitcnt vmcnt(0)
	v_mov_b32_e32 v10, 0
	s_and_saveexec_b64 s[8:9], s[0:1]
	s_cbranch_execz .LBB386_24
; %bb.23:
	v_and_b32_e32 v10, 0x7fffffff, v2
	v_and_b32_e32 v11, 0x7fffffff, v3
	v_mov_b32_e32 v12, 0x2edbe6ff
	;;#ASMSTART
	v_max3_f32 v10, v12, v10, v11

	;;#ASMEND
	v_and_b32_e32 v11, 0x7fffffff, v4
	v_and_b32_e32 v12, 0x7fffffff, v5
	;;#ASMSTART
	v_max3_f32 v10, v10, v11, v12

	;;#ASMEND
	v_and_b32_e32 v11, 0x7fffffff, v6
	v_and_b32_e32 v12, 0x7fffffff, v7
	;; [unrolled: 6-line block ×3, first 2 shown]
	;;#ASMSTART
	v_max3_f32 v10, v10, v11, v12

	;;#ASMEND
.LBB386_24:
	s_or_b64 exec, exec, s[8:9]
	;;#ASMSTART
	v_max_f32 v11, v10, v10 quad_perm:[1,0,3,2] row_mask:0xf bank_mask:0xf bound_ctrl:1
	;;#ASMEND
	;;#ASMSTART
	v_max_f32 v10, v11, v11 quad_perm:[2,3,0,1] row_mask:0xf bank_mask:0xf bound_ctrl:1
	;;#ASMEND
	;;#ASMSTART
	v_max_f32 v11, v10, v10 row_half_mirror row_mask:0xf bank_mask:0xf bound_ctrl:1
	;;#ASMEND
	v_mul_f32_e32 v10, 0x3b124925, v11
	v_and_b32_e32 v11, 7, v0
	v_cmp_eq_u32_e32 vcc, 0, v11
	v_cmp_gt_i32_e64 s[8:9], s15, v1
	s_and_b64 s[10:11], vcc, s[8:9]
	s_and_saveexec_b64 s[8:9], s[10:11]
	s_cbranch_execz .LBB386_26
; %bb.25:
	s_load_dwordx2 s[10:11], s[4:5], 0x8
	s_mul_hi_i32 s23, s25, s6
	s_mul_i32 s22, s25, s6
	v_lshrrev_b32_e32 v11, 3, v0
	s_lshl_b64 s[22:23], s[22:23], 2
	v_mad_i64_i32 v[12:13], s[26:27], s26, v11, 0
	s_waitcnt lgkmcnt(0)
	s_add_u32 s7, s10, s22
	s_addc_u32 s10, s11, s23
	v_lshlrev_b64 v[12:13], 2, v[12:13]
	v_mov_b32_e32 v11, s10
	v_add_co_u32_e32 v12, vcc, s7, v12
	v_addc_co_u32_e32 v13, vcc, v11, v13, vcc
	global_store_dword v[12:13], v10, off
.LBB386_26:
	s_or_b64 exec, exec, s[8:9]
	;;#ASMSTART
	v_rcp_f32 v10, v10
	;;#ASMEND
	s_and_saveexec_b64 s[22:23], s[0:1]
	s_cbranch_execz .LBB386_28
; %bb.27:
	s_load_dwordx2 s[0:1], s[4:5], 0x0
	s_mul_i32 s8, s24, s6
	v_mov_b32_e32 v11, v10
	;;#ASMSTART
	v_pk_mul_f32 v[2:3], v[2:3], v[10:11]
	;;#ASMEND
	s_mul_hi_i32 s7, s24, s6
	s_waitcnt lgkmcnt(0)
	s_add_u32 s8, s0, s8
	v_mov_b32_e32 v12, 0xc3e00000
	v_mov_b32_e32 v13, 0x43e00000
	;;#ASMSTART
	v_med3_f32 v2, v2, v12, v13
v_med3_f32 v3, v3, v12, v13
v_cvt_pk_fp8_f32 v15, v2, v3
	;;#ASMEND
	s_addc_u32 s0, s1, s7
	;;#ASMSTART
	v_pk_mul_f32 v[2:3], v[4:5], v[10:11]
	;;#ASMEND
	s_and_b32 s9, s0, 0xffff
	;;#ASMSTART
	v_med3_f32 v2, v2, v12, v13
v_med3_f32 v3, v3, v12, v13
v_cvt_pk_fp8_f32 v4, v2, v3
	;;#ASMEND
	s_mov_b32 s0, 0x5040100
	v_perm_b32 v3, v4, v15, s0
	s_movk_i32 s0, 0xff
	v_and_b32_e32 v2, 0xffffff00, v4
	v_and_b32_sdwa v4, v3, s0 dst_sel:DWORD dst_unused:UNUSED_PAD src0_sel:WORD_1 src1_sel:DWORD
	s_mov_b32 s12, 0xffff
	v_or_b32_sdwa v2, v4, v2 dst_sel:WORD_1 dst_unused:UNUSED_PAD src0_sel:DWORD src1_sel:DWORD
	v_and_or_b32 v2, v3, s12, v2
	;;#ASMSTART
	v_pk_mul_f32 v[4:5], v[6:7], v[10:11]
	;;#ASMEND
	v_mov_b32_e32 v3, v4
	s_add_i32 s1, s15, 3
	;;#ASMSTART
	v_med3_f32 v3, v3, v12, v13
v_med3_f32 v5, v5, v12, v13
v_cvt_pk_fp8_f32 v6, v3, v5
	;;#ASMEND
	s_ashr_i32 s7, s1, 31
	;;#ASMSTART
	v_pk_mul_f32 v[4:5], v[8:9], v[10:11]
	;;#ASMEND
	v_mov_b32_e32 v3, v5
	s_lshr_b32 s7, s7, 30
	;;#ASMSTART
	v_med3_f32 v4, v4, v12, v13
v_med3_f32 v3, v3, v12, v13
v_cvt_pk_fp8_f32 v5, v4, v3
	;;#ASMEND
	s_add_i32 s1, s1, s7
	v_lshlrev_b32_e32 v3, 16, v5
	s_and_b32 s10, s1, -4
	s_mov_b32 s11, 0x20000
	v_and_or_b32 v3, v6, s12, v3
	buffer_store_dwordx2 v[2:3], v1, s[8:11], 0 offen
	;;#ASMSTART
	s_nop 0
	;;#ASMEND
.LBB386_28:
	s_or_b64 exec, exec, s[22:23]
	s_cmp_lt_i32 s16, 1
	s_cbranch_scc1 .LBB386_17
.LBB386_29:
	s_load_dword s0, s[4:5], 0x94
	s_waitcnt lgkmcnt(0)
	s_cmp_lg_u32 s0, 1
	s_cbranch_scc1 .LBB386_17
; %bb.30:
	s_lshl_b32 s0, s16, 1
	s_add_i32 s0, s0, 2
	v_cmp_gt_u32_e32 vcc, s16, v1
	s_and_b32 s22, s0, -4
	v_mov_b32_e32 v6, 0
	v_lshlrev_b32_e32 v1, 4, v0
	v_mov_b32_e32 v7, 0
	v_mov_b32_e32 v8, 0
	v_mov_b32_e32 v9, 0
	v_mov_b32_e32 v2, 0
	v_mov_b32_e32 v3, 0
	v_mov_b32_e32 v4, 0
	v_mov_b32_e32 v5, 0
	s_barrier
	s_and_saveexec_b64 s[0:1], vcc
	s_cbranch_execz .LBB386_32
; %bb.31:
	s_mul_hi_i32 s5, s18, s6
	s_mul_i32 s4, s18, s6
	s_and_b32 s21, s21, 0xffff
	s_lshl_b64 s[4:5], s[4:5], 1
	s_add_u32 s8, s36, s4
	s_mov_b32 s23, 0x20000
	s_addc_u32 s4, s37, s5
	s_and_b32 s9, s4, 0xffff
	s_mov_b32 s10, s22
	s_mov_b32 s11, s23
	buffer_load_dwordx4 v[6:9], v1, s[8:11], 0 offen glc slc
	buffer_load_dwordx4 v[2:5], v1, s[20:23], 0 offen
.LBB386_32:
	s_or_b64 exec, exec, s[0:1]
	s_waitcnt vmcnt(0)
	v_cvt_f32_u32_sdwa v13, v6 dst_sel:DWORD dst_unused:UNUSED_PAD src0_sel:WORD_1
	v_cvt_f32_u32_sdwa v12, v6 dst_sel:DWORD dst_unused:UNUSED_PAD src0_sel:WORD_0
	v_cvt_f32_u32_sdwa v6, v9 dst_sel:DWORD dst_unused:UNUSED_PAD src0_sel:WORD_1
	v_cvt_f32_u32_sdwa v9, v9 dst_sel:DWORD dst_unused:UNUSED_PAD src0_sel:WORD_0
	;; [unrolled: 2-line block ×4, first 2 shown]
	v_cndmask_b32_e32 v13, 0, v13, vcc
	v_cndmask_b32_e32 v7, 0, v6, vcc
	;; [unrolled: 1-line block ×5, first 2 shown]
	v_mul_f32_e32 v15, v13, v13
	v_cndmask_b32_e32 v10, 0, v10, vcc
	v_fmac_f32_e32 v15, v12, v12
	v_cndmask_b32_e32 v11, 0, v11, vcc
	v_fmac_f32_e32 v15, v10, v10
	;; [unrolled: 2-line block ×3, first 2 shown]
	v_fmac_f32_e32 v15, v8, v8
	v_fmac_f32_e32 v15, v9, v9
	;; [unrolled: 1-line block ×4, first 2 shown]
	s_nop 1
	v_mov_b32_dpp v16, v15 quad_perm:[1,0,3,2] row_mask:0xf bank_mask:0xf
	v_add_f32_e32 v15, v15, v16
	s_nop 1
	v_mov_b32_dpp v16, v15 quad_perm:[2,3,0,1] row_mask:0xf bank_mask:0xf
	v_add_f32_e32 v15, v15, v16
	s_nop 1
	v_mov_b32_dpp v16, v15 row_half_mirror row_mask:0xf bank_mask:0xf
	v_add_f32_e32 v15, v15, v16
	s_nop 1
	v_mov_b32_dpp v16, v15 row_mirror row_mask:0xf bank_mask:0xf
	v_add_f32_e32 v15, v15, v16
	s_nop 1
	v_mov_b32_dpp v16, v15 row_bcast:15 row_mask:0xf bank_mask:0xf
	v_add_f32_e32 v15, v15, v16
	s_nop 1
	v_mov_b32_dpp v16, v15 row_bcast:31 row_mask:0xf bank_mask:0xf
	s_and_saveexec_b64 s[0:1], s[2:3]
	s_cbranch_execz .LBB386_34
; %bb.33:
	v_lshrrev_b32_e32 v0, 4, v0
	v_add_f32_e32 v15, v15, v16
	v_and_b32_e32 v0, 60, v0
	ds_write_b32 v0, v15
.LBB386_34:
	s_or_b64 exec, exec, s[0:1]
	s_waitcnt lgkmcnt(0)
	s_barrier
	ds_read_b32 v0, v14
	s_waitcnt lgkmcnt(0)
	s_nop 0
	v_mov_b32_dpp v14, v0 quad_perm:[1,0,3,2] row_mask:0xf bank_mask:0xf
	s_and_saveexec_b64 s[0:1], vcc
	s_cbranch_execz .LBB386_17
; %bb.35:
	v_cvt_f32_u32_e32 v15, s16
	v_add_f32_e32 v0, v0, v14
	s_mov_b32 s23, 0x20000
	v_div_scale_f32 v14, s[0:1], v15, v15, v0
	v_rcp_f32_e32 v16, v14
	v_div_scale_f32 v17, vcc, v0, v15, v0
	s_mov_b32 s0, 0x800000
	v_fma_f32 v18, -v14, v16, 1.0
	v_fmac_f32_e32 v16, v18, v16
	v_mul_f32_e32 v18, v17, v16
	v_fma_f32 v19, -v14, v18, v17
	v_fmac_f32_e32 v18, v19, v16
	v_fma_f32 v14, -v14, v18, v17
	v_div_fmas_f32 v14, v14, v16, v18
	v_div_fixup_f32 v0, v14, v15, v0
	v_add_f32_e32 v0, s13, v0
	v_mul_f32_e32 v14, 0x4b800000, v0
	v_cmp_gt_f32_e32 vcc, s0, v0
	v_cndmask_b32_e32 v0, v0, v14, vcc
	v_rsq_f32_e32 v0, v0
	v_cvt_f32_u32_sdwa v17, v2 dst_sel:DWORD dst_unused:UNUSED_PAD src0_sel:WORD_1
	v_cvt_f32_u32_sdwa v16, v2 dst_sel:DWORD dst_unused:UNUSED_PAD src0_sel:WORD_0
	v_cvt_f32_u32_sdwa v19, v3 dst_sel:DWORD dst_unused:UNUSED_PAD src0_sel:WORD_1
	v_mul_f32_e32 v14, 0x45800000, v0
	v_cndmask_b32_e32 v14, v0, v14, vcc
	v_mov_b32_e32 v15, v14
	;;#ASMSTART
	v_pk_mul_f32 v[12:13], v[12:13], v[14:15]
	;;#ASMEND
	;;#ASMSTART
	v_pk_mul_f32 v[10:11], v[10:11], v[14:15]
	;;#ASMEND
	;; [unrolled: 3-line block ×3, first 2 shown]
	v_cvt_f32_u32_sdwa v18, v3 dst_sel:DWORD dst_unused:UNUSED_PAD src0_sel:WORD_0
	;;#ASMSTART
	v_pk_mul_f32 v[2:3], v[6:7], v[14:15]
	;;#ASMEND
	v_cvt_f32_u32_sdwa v15, v4 dst_sel:DWORD dst_unused:UNUSED_PAD src0_sel:WORD_1
	v_cvt_f32_u32_sdwa v14, v4 dst_sel:DWORD dst_unused:UNUSED_PAD src0_sel:WORD_0
	v_pk_add_f32 v[6:7], v[16:17], 1.0 op_sel_hi:[1,0]
	v_cvt_f32_u32_sdwa v17, v5 dst_sel:DWORD dst_unused:UNUSED_PAD src0_sel:WORD_1
	v_cvt_f32_u32_sdwa v16, v5 dst_sel:DWORD dst_unused:UNUSED_PAD src0_sel:WORD_0
	s_mul_hi_i32 s1, s34, s6
	s_mul_i32 s0, s34, s6
	s_lshl_b64 s[0:1], s[0:1], 1
	s_add_u32 s20, s38, s0
	;;#ASMSTART
	v_pk_mul_f32 v[6:7], v[12:13], v[6:7]
	;;#ASMEND
	v_pk_add_f32 v[12:13], v[18:19], 1.0 op_sel_hi:[1,0]
	;;#ASMSTART
	v_pk_mul_f32 v[4:5], v[10:11], v[12:13]
	;;#ASMEND
	v_pk_add_f32 v[10:11], v[14:15], 1.0 op_sel_hi:[1,0]
	s_addc_u32 s0, s39, s1
	;;#ASMSTART
	v_pk_mul_f32 v[8:9], v[8:9], v[10:11]
	;;#ASMEND
	v_pk_add_f32 v[10:11], v[16:17], 1.0 op_sel_hi:[1,0]
	s_and_b32 s21, s0, 0xffff
	s_mov_b32 s0, 0x7060302
	;;#ASMSTART
	v_pk_mul_f32 v[10:11], v[2:3], v[10:11]
	;;#ASMEND
	v_perm_b32 v2, v7, v6, s0
	v_perm_b32 v3, v5, v4, s0
	;; [unrolled: 1-line block ×4, first 2 shown]
	buffer_store_dwordx4 v[2:5], v1, s[20:23], 0 offen
	;;#ASMSTART
	s_nop 0
	;;#ASMEND
	s_endpgm
	.section	.rodata,"a",@progbits
	.p2align	6, 0x0
	.amdhsa_kernel _ZN5aiter35fused_qk_rmsnorm_group_quant_kernelItDB8_Li128ELi8ELi8ELb1ELb0ELb1ELb0ELb0ELb0EEEvPT0_PvPT_S6_S6_PKS5_S8_S8_S8_S8_ffiiiiiiiiiiiii
		.amdhsa_group_segment_fixed_size 16
		.amdhsa_private_segment_fixed_size 0
		.amdhsa_kernarg_size 400
		.amdhsa_user_sgpr_count 6
		.amdhsa_user_sgpr_private_segment_buffer 1
		.amdhsa_user_sgpr_dispatch_ptr 0
		.amdhsa_user_sgpr_queue_ptr 0
		.amdhsa_user_sgpr_kernarg_segment_ptr 1
		.amdhsa_user_sgpr_dispatch_id 0
		.amdhsa_user_sgpr_flat_scratch_init 0
		.amdhsa_user_sgpr_kernarg_preload_length 0
		.amdhsa_user_sgpr_kernarg_preload_offset 0
		.amdhsa_user_sgpr_private_segment_size 0
		.amdhsa_uses_dynamic_stack 0
		.amdhsa_system_sgpr_private_segment_wavefront_offset 0
		.amdhsa_system_sgpr_workgroup_id_x 1
		.amdhsa_system_sgpr_workgroup_id_y 1
		.amdhsa_system_sgpr_workgroup_id_z 0
		.amdhsa_system_sgpr_workgroup_info 0
		.amdhsa_system_vgpr_workitem_id 0
		.amdhsa_next_free_vgpr 27
		.amdhsa_next_free_sgpr 48
		.amdhsa_accum_offset 28
		.amdhsa_reserve_vcc 1
		.amdhsa_reserve_flat_scratch 0
		.amdhsa_float_round_mode_32 0
		.amdhsa_float_round_mode_16_64 0
		.amdhsa_float_denorm_mode_32 3
		.amdhsa_float_denorm_mode_16_64 3
		.amdhsa_dx10_clamp 1
		.amdhsa_ieee_mode 1
		.amdhsa_fp16_overflow 0
		.amdhsa_tg_split 0
		.amdhsa_exception_fp_ieee_invalid_op 0
		.amdhsa_exception_fp_denorm_src 0
		.amdhsa_exception_fp_ieee_div_zero 0
		.amdhsa_exception_fp_ieee_overflow 0
		.amdhsa_exception_fp_ieee_underflow 0
		.amdhsa_exception_fp_ieee_inexact 0
		.amdhsa_exception_int_div_zero 0
	.end_amdhsa_kernel
	.section	.text._ZN5aiter35fused_qk_rmsnorm_group_quant_kernelItDB8_Li128ELi8ELi8ELb1ELb0ELb1ELb0ELb0ELb0EEEvPT0_PvPT_S6_S6_PKS5_S8_S8_S8_S8_ffiiiiiiiiiiiii,"axG",@progbits,_ZN5aiter35fused_qk_rmsnorm_group_quant_kernelItDB8_Li128ELi8ELi8ELb1ELb0ELb1ELb0ELb0ELb0EEEvPT0_PvPT_S6_S6_PKS5_S8_S8_S8_S8_ffiiiiiiiiiiiii,comdat
.Lfunc_end386:
	.size	_ZN5aiter35fused_qk_rmsnorm_group_quant_kernelItDB8_Li128ELi8ELi8ELb1ELb0ELb1ELb0ELb0ELb0EEEvPT0_PvPT_S6_S6_PKS5_S8_S8_S8_S8_ffiiiiiiiiiiiii, .Lfunc_end386-_ZN5aiter35fused_qk_rmsnorm_group_quant_kernelItDB8_Li128ELi8ELi8ELb1ELb0ELb1ELb0ELb0ELb0EEEvPT0_PvPT_S6_S6_PKS5_S8_S8_S8_S8_ffiiiiiiiiiiiii
                                        ; -- End function
	.section	.AMDGPU.csdata,"",@progbits
; Kernel info:
; codeLenInByte = 2960
; NumSgprs: 52
; NumVgprs: 27
; NumAgprs: 0
; TotalNumVgprs: 27
; ScratchSize: 0
; MemoryBound: 0
; FloatMode: 240
; IeeeMode: 1
; LDSByteSize: 16 bytes/workgroup (compile time only)
; SGPRBlocks: 6
; VGPRBlocks: 3
; NumSGPRsForWavesPerEU: 52
; NumVGPRsForWavesPerEU: 27
; AccumOffset: 28
; Occupancy: 8
; WaveLimiterHint : 0
; COMPUTE_PGM_RSRC2:SCRATCH_EN: 0
; COMPUTE_PGM_RSRC2:USER_SGPR: 6
; COMPUTE_PGM_RSRC2:TRAP_HANDLER: 0
; COMPUTE_PGM_RSRC2:TGID_X_EN: 1
; COMPUTE_PGM_RSRC2:TGID_Y_EN: 1
; COMPUTE_PGM_RSRC2:TGID_Z_EN: 0
; COMPUTE_PGM_RSRC2:TIDIG_COMP_CNT: 0
; COMPUTE_PGM_RSRC3_GFX90A:ACCUM_OFFSET: 6
; COMPUTE_PGM_RSRC3_GFX90A:TG_SPLIT: 0
	.section	.text._ZN5aiter35fused_qk_rmsnorm_group_quant_kernelIDF16_N4opus5fp4_tELi128ELi8ELi8ELb1ELb0ELb1ELb0ELb0ELb0EEEvPT0_PvPT_S7_S7_PKS6_S9_S9_S9_S9_ffiiiiiiiiiiiii,"axG",@progbits,_ZN5aiter35fused_qk_rmsnorm_group_quant_kernelIDF16_N4opus5fp4_tELi128ELi8ELi8ELb1ELb0ELb1ELb0ELb0ELb0EEEvPT0_PvPT_S7_S7_PKS6_S9_S9_S9_S9_ffiiiiiiiiiiiii,comdat
	.protected	_ZN5aiter35fused_qk_rmsnorm_group_quant_kernelIDF16_N4opus5fp4_tELi128ELi8ELi8ELb1ELb0ELb1ELb0ELb0ELb0EEEvPT0_PvPT_S7_S7_PKS6_S9_S9_S9_S9_ffiiiiiiiiiiiii ; -- Begin function _ZN5aiter35fused_qk_rmsnorm_group_quant_kernelIDF16_N4opus5fp4_tELi128ELi8ELi8ELb1ELb0ELb1ELb0ELb0ELb0EEEvPT0_PvPT_S7_S7_PKS6_S9_S9_S9_S9_ffiiiiiiiiiiiii
	.globl	_ZN5aiter35fused_qk_rmsnorm_group_quant_kernelIDF16_N4opus5fp4_tELi128ELi8ELi8ELb1ELb0ELb1ELb0ELb0ELb0EEEvPT0_PvPT_S7_S7_PKS6_S9_S9_S9_S9_ffiiiiiiiiiiiii
	.p2align	8
	.type	_ZN5aiter35fused_qk_rmsnorm_group_quant_kernelIDF16_N4opus5fp4_tELi128ELi8ELi8ELb1ELb0ELb1ELb0ELb0ELb0EEEvPT0_PvPT_S7_S7_PKS6_S9_S9_S9_S9_ffiiiiiiiiiiiii,@function
_ZN5aiter35fused_qk_rmsnorm_group_quant_kernelIDF16_N4opus5fp4_tELi128ELi8ELi8ELb1ELb0ELb1ELb0ELb0ELb0EEEvPT0_PvPT_S7_S7_PKS6_S9_S9_S9_S9_ffiiiiiiiiiiiii: ; @_ZN5aiter35fused_qk_rmsnorm_group_quant_kernelIDF16_N4opus5fp4_tELi128ELi8ELi8ELb1ELb0ELb1ELb0ELb0ELb0EEEvPT0_PvPT_S7_S7_PKS6_S9_S9_S9_S9_ffiiiiiiiiiiiii
; %bb.0:
	s_load_dwordx8 s[12:19], s[4:5], 0x50
	s_waitcnt lgkmcnt(0)
	s_cmp_ge_i32 s6, s14
	s_cbranch_scc1 .LBB387_17
; %bb.1:
	s_cmp_lg_u32 s7, 0
	s_cselect_b64 s[22:23], -1, 0
	s_cmp_eq_u32 s7, 0
	s_cselect_b64 s[8:9], -1, 0
	s_and_b64 s[0:1], s[8:9], exec
	s_load_dwordx2 s[20:21], s[4:5], 0x48
	s_load_dwordx2 s[34:35], s[4:5], 0x30
	s_load_dwordx4 s[24:27], s[4:5], 0x70
	s_cselect_b32 s7, s15, s16
	s_add_i32 s0, s7, 1
	s_lshr_b32 s1, s0, 31
	s_add_i32 s0, s0, s1
	s_lshl_b32 s0, s0, 1
	v_lshlrev_b32_e32 v1, 3, v0
	s_and_b32 s30, s0, -4
	v_cmp_gt_i32_e64 s[0:1], s7, v1
	v_mov_b32_e32 v2, 0
	v_mov_b32_e32 v3, 0
	;; [unrolled: 1-line block ×8, first 2 shown]
	s_and_saveexec_b64 s[2:3], s[0:1]
	s_cbranch_execz .LBB387_3
; %bb.2:
	s_load_dwordx2 s[10:11], s[4:5], 0x28
	s_load_dwordx2 s[28:29], s[4:5], 0x40
	s_and_b64 s[36:37], s[8:9], exec
	s_cselect_b32 s14, s17, s18
	s_mov_b32 s31, 0x20000
	s_waitcnt lgkmcnt(0)
	s_cselect_b32 s17, s11, s35
	s_cselect_b32 s27, s10, s34
	s_mul_hi_i32 s11, s14, s6
	s_mul_i32 s10, s14, s6
	s_lshl_b64 s[10:11], s[10:11], 1
	s_add_u32 s36, s27, s10
	s_addc_u32 s14, s17, s11
	s_and_b64 s[10:11], s[8:9], exec
	s_cselect_b32 s28, s28, s20
	s_cselect_b32 s10, s29, s21
	v_lshlrev_b32_e32 v10, 4, v0
	s_and_b32 s37, s14, 0xffff
	s_mov_b32 s38, s30
	s_mov_b32 s39, s31
	s_and_b32 s29, s10, 0xffff
	buffer_load_dwordx4 v[6:9], v10, s[36:39], 0 offen glc slc
	buffer_load_dwordx4 v[2:5], v10, s[28:31], 0 offen
.LBB387_3:
	s_or_b64 exec, exec, s[2:3]
	s_load_dwordx2 s[10:11], s[4:5], 0x80
	s_and_b64 vcc, exec, s[22:23]
	s_cbranch_vccz .LBB387_7
; %bb.4:
	v_mov_b32_e32 v11, 0
	v_mov_b32_e32 v10, 0
	;; [unrolled: 1-line block ×8, first 2 shown]
	s_and_saveexec_b64 s[2:3], s[0:1]
	s_cbranch_execz .LBB387_6
; %bb.5:
	s_waitcnt vmcnt(1)
	v_cvt_f32_f16_sdwa v15, v6 dst_sel:DWORD dst_unused:UNUSED_PAD src0_sel:WORD_1
	v_cvt_f32_f16_e32 v14, v6
	v_cvt_f32_f16_sdwa v17, v7 dst_sel:DWORD dst_unused:UNUSED_PAD src0_sel:WORD_1
	v_cvt_f32_f16_e32 v16, v7
	;; [unrolled: 2-line block ×4, first 2 shown]
.LBB387_6:
	s_or_b64 exec, exec, s[2:3]
	s_cbranch_execz .LBB387_8
	s_branch .LBB387_11
.LBB387_7:
                                        ; implicit-def: $vgpr11
                                        ; implicit-def: $vgpr13
                                        ; implicit-def: $vgpr17
                                        ; implicit-def: $vgpr15
.LBB387_8:
	v_mov_b32_e32 v11, 0
	v_mov_b32_e32 v10, 0
	;; [unrolled: 1-line block ×8, first 2 shown]
	s_and_saveexec_b64 s[2:3], s[0:1]
	s_cbranch_execz .LBB387_10
; %bb.9:
	s_load_dwordx2 s[28:29], s[4:5], 0x38
	s_mul_hi_i32 s37, s19, s6
	s_mul_i32 s36, s19, s6
	s_lshl_b64 s[36:37], s[36:37], 1
	s_mov_b32 s31, 0x20000
	s_waitcnt lgkmcnt(0)
	s_add_u32 s28, s28, s36
	s_addc_u32 s14, s29, s37
	s_and_b32 s29, s14, 0xffff
	v_lshlrev_b32_e32 v24, 4, v0
	buffer_load_dwordx4 v[10:13], v24, s[28:31], 0 offen glc slc
	s_waitcnt vmcnt(2)
	v_cvt_f32_f16_sdwa v15, v6 dst_sel:DWORD dst_unused:UNUSED_PAD src0_sel:WORD_1
	v_cvt_f32_f16_e32 v14, v6
	v_cvt_f32_f16_sdwa v17, v7 dst_sel:DWORD dst_unused:UNUSED_PAD src0_sel:WORD_1
	v_cvt_f32_f16_e32 v16, v7
	;; [unrolled: 2-line block ×4, first 2 shown]
	s_load_dwordx2 s[28:29], s[4:5], 0x20
	s_mul_hi_i32 s37, s11, s6
	s_mul_i32 s36, s11, s6
	s_lshl_b64 s[36:37], s[36:37], 1
	s_waitcnt lgkmcnt(0)
	s_add_u32 s28, s28, s36
	s_addc_u32 s11, s29, s37
	s_and_b32 s29, s11, 0xffff
	s_waitcnt vmcnt(0)
	v_cvt_f32_f16_e32 v8, v10
	v_cvt_f32_f16_sdwa v9, v10 dst_sel:DWORD dst_unused:UNUSED_PAD src0_sel:WORD_1
	v_cvt_f32_f16_e32 v10, v11
	v_cvt_f32_f16_sdwa v11, v11 dst_sel:DWORD dst_unused:UNUSED_PAD src0_sel:WORD_1
	;; [unrolled: 2-line block ×4, first 2 shown]
	v_pk_add_f32 v[14:15], v[14:15], v[8:9]
	v_pk_add_f32 v[16:17], v[16:17], v[10:11]
	;; [unrolled: 1-line block ×4, first 2 shown]
	v_cvt_f16_f32_e32 v6, v15
	v_cvt_f16_f32_e32 v7, v17
	;; [unrolled: 1-line block ×8, first 2 shown]
	v_pack_b32_f16 v9, v18, v9
	v_pack_b32_f16 v8, v19, v8
	;; [unrolled: 1-line block ×4, first 2 shown]
	buffer_store_dwordx4 v[6:9], v24, s[28:31], 0 offen glc slc
	;;#ASMSTART
	s_nop 0
	;;#ASMEND
.LBB387_10:
	s_or_b64 exec, exec, s[2:3]
.LBB387_11:
	s_waitcnt vmcnt(1)
	v_mul_f32_e32 v6, v15, v15
	v_fmac_f32_e32 v6, v14, v14
	v_fmac_f32_e32 v6, v16, v16
	;; [unrolled: 1-line block ×7, first 2 shown]
	v_and_b32_e32 v8, 63, v0
	v_cmp_eq_u32_e64 s[2:3], 63, v8
	v_mov_b32_dpp v7, v6 quad_perm:[1,0,3,2] row_mask:0xf bank_mask:0xf
	v_add_f32_e32 v6, v6, v7
	s_nop 1
	v_mov_b32_dpp v7, v6 quad_perm:[2,3,0,1] row_mask:0xf bank_mask:0xf
	v_add_f32_e32 v6, v6, v7
	s_nop 1
	v_mov_b32_dpp v7, v6 row_half_mirror row_mask:0xf bank_mask:0xf
	v_add_f32_e32 v6, v6, v7
	s_nop 1
	v_mov_b32_dpp v7, v6 row_mirror row_mask:0xf bank_mask:0xf
	v_add_f32_e32 v6, v6, v7
	s_nop 1
	v_mov_b32_dpp v7, v6 row_bcast:15 row_mask:0xf bank_mask:0xf
	v_add_f32_e32 v6, v6, v7
	s_nop 1
	v_mov_b32_dpp v7, v6 row_bcast:31 row_mask:0xf bank_mask:0xf
	s_and_saveexec_b64 s[28:29], s[2:3]
	s_cbranch_execz .LBB387_13
; %bb.12:
	v_add_f32_e32 v6, v6, v7
	v_lshrrev_b32_e32 v7, 4, v0
	v_and_b32_e32 v7, 60, v7
	ds_write_b32 v7, v6 offset:8
.LBB387_13:
	s_or_b64 exec, exec, s[28:29]
	v_and_b32_e32 v6, 1, v0
	v_lshlrev_b32_e32 v18, 2, v6
	s_waitcnt lgkmcnt(0)
	s_barrier
	ds_read_b32 v6, v18 offset:8
	s_load_dwordx2 s[36:37], s[4:5], 0x18
	s_waitcnt lgkmcnt(0)
	v_mov_b32_dpp v7, v6 quad_perm:[1,0,3,2] row_mask:0xf bank_mask:0xf
	s_and_saveexec_b64 s[28:29], s[0:1]
	s_cbranch_execnz .LBB387_18
; %bb.14:
	s_or_b64 exec, exec, s[28:29]
	s_mov_b64 s[8:9], -1
	s_and_b64 vcc, exec, s[22:23]
	s_cbranch_vccnz .LBB387_19
.LBB387_15:
	s_andn2_b64 vcc, exec, s[8:9]
	s_cbranch_vccz .LBB387_22
.LBB387_16:
	s_cmp_lt_i32 s16, 1
	s_cbranch_scc0 .LBB387_29
.LBB387_17:
	s_endpgm
.LBB387_18:
	v_cvt_f32_u32_e32 v8, s7
	v_add_f32_e32 v6, v6, v7
	v_mov_b32_e32 v19, s13
	v_mov_b32_e32 v20, s12
	v_div_scale_f32 v7, s[38:39], v8, v8, v6
	v_rcp_f32_e32 v9, v7
	v_cndmask_b32_e64 v19, v19, v20, s[8:9]
	s_mov_b32 s7, 0x800000
	v_fma_f32 v20, -v7, v9, 1.0
	v_fmac_f32_e32 v9, v20, v9
	v_div_scale_f32 v20, vcc, v6, v8, v6
	v_mul_f32_e32 v21, v20, v9
	v_fma_f32 v22, -v7, v21, v20
	v_fmac_f32_e32 v21, v22, v9
	v_fma_f32 v7, -v7, v21, v20
	v_div_fmas_f32 v7, v7, v9, v21
	v_div_fixup_f32 v6, v7, v8, v6
	v_add_f32_e32 v6, v19, v6
	v_mul_f32_e32 v7, 0x4b800000, v6
	v_cmp_gt_f32_e32 vcc, s7, v6
	v_cndmask_b32_e32 v6, v6, v7, vcc
	v_rsq_f32_e32 v6, v6
	s_waitcnt vmcnt(0)
	v_cvt_f32_f16_sdwa v21, v3 dst_sel:DWORD dst_unused:UNUSED_PAD src0_sel:WORD_1
	v_cvt_f32_f16_e32 v20, v3
	v_mul_f32_e32 v7, 0x45800000, v6
	v_cndmask_b32_e32 v6, v6, v7, vcc
	v_mov_b32_e32 v7, v6
	;;#ASMSTART
	v_pk_mul_f32 v[8:9], v[14:15], v[6:7]
	;;#ASMEND
	v_cvt_f32_f16_sdwa v15, v2 dst_sel:DWORD dst_unused:UNUSED_PAD src0_sel:WORD_1
	v_cvt_f32_f16_e32 v14, v2
	;;#ASMSTART
	v_pk_mul_f32 v[16:17], v[16:17], v[6:7]
	;;#ASMEND
	;;#ASMSTART
	v_pk_mul_f32 v[12:13], v[12:13], v[6:7]
	;;#ASMEND
	;; [unrolled: 3-line block ×3, first 2 shown]
	v_pk_add_f32 v[6:7], v[14:15], 1.0 op_sel_hi:[1,0]
	;;#ASMSTART
	v_pk_mul_f32 v[14:15], v[8:9], v[6:7]
	;;#ASMEND
	v_cvt_f32_f16_sdwa v9, v4 dst_sel:DWORD dst_unused:UNUSED_PAD src0_sel:WORD_1
	v_cvt_f32_f16_e32 v8, v4
	v_cvt_f32_f16_sdwa v11, v5 dst_sel:DWORD dst_unused:UNUSED_PAD src0_sel:WORD_1
	v_cvt_f32_f16_e32 v10, v5
	v_pk_add_f32 v[6:7], v[20:21], 1.0 op_sel_hi:[1,0]
	v_pk_add_f32 v[4:5], v[8:9], 1.0 op_sel_hi:[1,0]
	;;#ASMSTART
	v_pk_mul_f32 v[16:17], v[16:17], v[6:7]
	;;#ASMEND
	;;#ASMSTART
	v_pk_mul_f32 v[12:13], v[12:13], v[4:5]
	;;#ASMEND
	v_pk_add_f32 v[4:5], v[10:11], 1.0 op_sel_hi:[1,0]
	;;#ASMSTART
	v_pk_mul_f32 v[10:11], v[2:3], v[4:5]
	;;#ASMEND
	s_or_b64 exec, exec, s[28:29]
	s_mov_b64 s[8:9], -1
	s_and_b64 vcc, exec, s[22:23]
	s_cbranch_vccz .LBB387_15
.LBB387_19:
	s_and_saveexec_b64 s[8:9], s[0:1]
	s_cbranch_execz .LBB387_21
; %bb.20:
	s_mul_hi_i32 s23, s10, s6
	s_mul_i32 s22, s10, s6
	s_waitcnt vmcnt(0)
	v_cvt_f16_f32_e32 v2, v14
	v_cvt_f16_f32_e32 v3, v16
	;; [unrolled: 1-line block ×8, first 2 shown]
	s_lshl_b64 s[22:23], s[22:23], 1
	s_add_u32 s28, s36, s22
	s_addc_u32 s7, s37, s23
	s_and_b32 s29, s7, 0xffff
	s_mov_b32 s31, 0x20000
	v_pack_b32_f16 v5, v5, v6
	v_pack_b32_f16 v4, v4, v7
	;; [unrolled: 1-line block ×4, first 2 shown]
	v_lshlrev_b32_e32 v6, 4, v0
	buffer_store_dwordx4 v[2:5], v6, s[28:31], 0 offen
	;;#ASMSTART
	s_nop 0
	;;#ASMEND
.LBB387_21:
	s_or_b64 exec, exec, s[8:9]
	s_cbranch_execnz .LBB387_16
.LBB387_22:
	s_waitcnt vmcnt(0)
	v_mov_b32_e32 v2, 0
	s_and_saveexec_b64 s[8:9], s[0:1]
	s_cbranch_execz .LBB387_24
; %bb.23:
	v_and_b32_e32 v2, 0x7fffffff, v14
	v_and_b32_e32 v3, 0x7fffffff, v15
	v_mov_b32_e32 v4, 0x2edbe6ff
	;;#ASMSTART
	v_max3_f32 v2, v4, v2, v3

	;;#ASMEND
	v_and_b32_e32 v3, 0x7fffffff, v16
	v_and_b32_e32 v4, 0x7fffffff, v17
	;;#ASMSTART
	v_max3_f32 v2, v2, v3, v4

	;;#ASMEND
	v_and_b32_e32 v3, 0x7fffffff, v12
	v_and_b32_e32 v4, 0x7fffffff, v13
	;; [unrolled: 6-line block ×3, first 2 shown]
	;;#ASMSTART
	v_max3_f32 v2, v2, v3, v4

	;;#ASMEND
.LBB387_24:
	s_or_b64 exec, exec, s[8:9]
	;;#ASMSTART
	v_max_f32 v3, v2, v2 quad_perm:[1,0,3,2] row_mask:0xf bank_mask:0xf bound_ctrl:1
	;;#ASMEND
	;;#ASMSTART
	v_max_f32 v4, v3, v3 quad_perm:[2,3,0,1] row_mask:0xf bank_mask:0xf bound_ctrl:1
	;;#ASMEND
	v_and_b32_e32 v3, 7, v0
	v_cmp_eq_u32_e32 vcc, 0, v3
	v_cmp_gt_i32_e64 s[8:9], s15, v1
	s_and_b64 s[22:23], vcc, s[8:9]
	;;#ASMSTART
	v_max_f32 v2, v4, v4 row_half_mirror row_mask:0xf bank_mask:0xf bound_ctrl:1
	;;#ASMEND
	s_and_saveexec_b64 s[8:9], s[22:23]
	s_cbranch_execz .LBB387_26
; %bb.25:
	s_load_dwordx2 s[22:23], s[4:5], 0x8
	v_mul_f32_e32 v2, 0x3e2aaaab, v2
	v_lshrrev_b32_e32 v3, 23, v2
	v_and_b32_e32 v4, 0x7f800000, v2
	v_and_b32_e32 v2, 0x7fffff, v2
	v_cmp_ne_u32_e32 vcc, 0, v2
	s_mul_i32 s12, s25, s6
	s_mov_b32 s7, 0x7f800000
	v_addc_co_u32_e32 v2, vcc, 0, v3, vcc
	s_mul_hi_i32 s11, s25, s6
	s_waitcnt lgkmcnt(0)
	s_add_u32 s22, s22, s12
	v_cmp_ne_u32_e32 vcc, s7, v4
	s_addc_u32 s23, s23, s11
	v_lshrrev_b32_e32 v5, 3, v0
	v_cndmask_b32_e32 v4, -1, v2, vcc
	v_pk_mov_b32 v[2:3], s[22:23], s[22:23] op_sel:[0,1]
	v_mad_i64_i32 v[2:3], s[22:23], s26, v5, v[2:3]
	global_store_byte v[2:3], v4, off
.LBB387_26:
	s_or_b64 exec, exec, s[8:9]
	s_and_saveexec_b64 s[8:9], s[0:1]
	s_cbranch_execz .LBB387_28
; %bb.27:
	s_load_dwordx2 s[0:1], s[4:5], 0x0
	s_mul_i32 s11, s24, s6
	s_mul_hi_i32 s7, s24, s6
	v_lshlrev_b32_e32 v2, 2, v0
	s_mov_b32 s27, 0x20000
	s_waitcnt lgkmcnt(0)
	s_add_u32 s24, s0, s11
	s_addc_u32 s0, s1, s7
	s_lshr_b32 s1, s15, 31
	s_add_i32 s1, s15, s1
	s_ashr_i32 s1, s1, 1
	s_add_i32 s1, s1, 3
	s_ashr_i32 s7, s1, 31
	s_lshr_b32 s7, s7, 30
	s_add_i32 s1, s1, s7
	s_and_b32 s26, s1, -4
	s_and_b32 s25, s0, 0xffff
	v_mov_b32_e32 v3, 0
	buffer_store_dword v3, v2, s[24:27], 0 offen
	;;#ASMSTART
	s_nop 0
	;;#ASMEND
.LBB387_28:
	s_or_b64 exec, exec, s[8:9]
	s_cmp_lt_i32 s16, 1
	s_cbranch_scc1 .LBB387_17
.LBB387_29:
	s_load_dword s0, s[4:5], 0x94
	s_waitcnt lgkmcnt(0)
	s_cmp_lg_u32 s0, 1
	s_cbranch_scc1 .LBB387_17
; %bb.30:
	s_lshl_b32 s0, s16, 1
	s_add_i32 s0, s0, 2
	v_cmp_gt_u32_e32 vcc, s16, v1
	s_and_b32 s22, s0, -4
	v_mov_b32_e32 v10, 0
	v_lshlrev_b32_e32 v1, 4, v0
	v_mov_b32_e32 v6, 0
	v_mov_b32_e32 v7, 0
	v_mov_b32_e32 v8, 0
	v_mov_b32_e32 v9, 0
	s_waitcnt vmcnt(0)
	v_mov_b32_e32 v2, 0
	v_mov_b32_e32 v3, 0
	;; [unrolled: 1-line block ×4, first 2 shown]
	s_barrier
	s_and_saveexec_b64 s[0:1], vcc
	s_cbranch_execz .LBB387_32
; %bb.31:
	s_mul_hi_i32 s5, s18, s6
	s_mul_i32 s4, s18, s6
	s_and_b32 s21, s21, 0xffff
	s_lshl_b64 s[4:5], s[4:5], 1
	s_add_u32 s24, s34, s4
	s_mov_b32 s23, 0x20000
	s_addc_u32 s4, s35, s5
	s_and_b32 s25, s4, 0xffff
	s_mov_b32 s26, s22
	s_mov_b32 s27, s23
	buffer_load_dwordx4 v[6:9], v1, s[24:27], 0 offen glc slc
	buffer_load_dwordx4 v[2:5], v1, s[20:23], 0 offen
.LBB387_32:
	s_or_b64 exec, exec, s[0:1]
	v_mov_b32_e32 v11, 0
	v_mov_b32_e32 v16, 0
	;; [unrolled: 1-line block ×7, first 2 shown]
	s_and_saveexec_b64 s[0:1], vcc
	s_cbranch_execz .LBB387_34
; %bb.33:
	s_waitcnt vmcnt(1)
	v_cvt_f32_f16_sdwa v11, v6 dst_sel:DWORD dst_unused:UNUSED_PAD src0_sel:WORD_1
	v_cvt_f32_f16_e32 v10, v6
	v_cvt_f32_f16_sdwa v17, v7 dst_sel:DWORD dst_unused:UNUSED_PAD src0_sel:WORD_1
	v_cvt_f32_f16_e32 v16, v7
	;; [unrolled: 2-line block ×4, first 2 shown]
.LBB387_34:
	s_or_b64 exec, exec, s[0:1]
	s_waitcnt vmcnt(1)
	v_mul_f32_e32 v6, v11, v11
	v_fmac_f32_e32 v6, v10, v10
	v_fmac_f32_e32 v6, v16, v16
	;; [unrolled: 1-line block ×7, first 2 shown]
	s_nop 1
	v_mov_b32_dpp v7, v6 quad_perm:[1,0,3,2] row_mask:0xf bank_mask:0xf
	v_add_f32_e32 v6, v6, v7
	s_nop 1
	v_mov_b32_dpp v7, v6 quad_perm:[2,3,0,1] row_mask:0xf bank_mask:0xf
	v_add_f32_e32 v6, v6, v7
	s_nop 1
	v_mov_b32_dpp v7, v6 row_half_mirror row_mask:0xf bank_mask:0xf
	v_add_f32_e32 v6, v6, v7
	s_nop 1
	v_mov_b32_dpp v7, v6 row_mirror row_mask:0xf bank_mask:0xf
	v_add_f32_e32 v6, v6, v7
	s_nop 1
	v_mov_b32_dpp v7, v6 row_bcast:15 row_mask:0xf bank_mask:0xf
	v_add_f32_e32 v6, v6, v7
	s_nop 1
	v_mov_b32_dpp v7, v6 row_bcast:31 row_mask:0xf bank_mask:0xf
	s_and_saveexec_b64 s[0:1], s[2:3]
	s_cbranch_execz .LBB387_36
; %bb.35:
	v_lshrrev_b32_e32 v0, 4, v0
	v_add_f32_e32 v6, v6, v7
	v_and_b32_e32 v0, 60, v0
	ds_write_b32 v0, v6
.LBB387_36:
	s_or_b64 exec, exec, s[0:1]
	s_waitcnt lgkmcnt(0)
	s_barrier
	ds_read_b32 v0, v18
	s_waitcnt lgkmcnt(0)
	s_nop 0
	v_mov_b32_dpp v6, v0 quad_perm:[1,0,3,2] row_mask:0xf bank_mask:0xf
	s_and_saveexec_b64 s[0:1], vcc
	s_cbranch_execz .LBB387_17
; %bb.37:
	v_cvt_f32_u32_e32 v7, s16
	v_add_f32_e32 v0, v0, v6
	s_mov_b32 s23, 0x20000
	v_div_scale_f32 v6, s[0:1], v7, v7, v0
	v_rcp_f32_e32 v8, v6
	v_div_scale_f32 v9, vcc, v0, v7, v0
	s_mov_b32 s0, 0x800000
	v_fma_f32 v18, -v6, v8, 1.0
	v_fmac_f32_e32 v8, v18, v8
	v_mul_f32_e32 v18, v9, v8
	v_fma_f32 v19, -v6, v18, v9
	v_fmac_f32_e32 v18, v19, v8
	v_fma_f32 v6, -v6, v18, v9
	v_div_fmas_f32 v6, v6, v8, v18
	v_div_fixup_f32 v0, v6, v7, v0
	v_add_f32_e32 v0, s13, v0
	v_mul_f32_e32 v6, 0x4b800000, v0
	v_cmp_gt_f32_e32 vcc, s0, v0
	v_cndmask_b32_e32 v0, v0, v6, vcc
	v_rsq_f32_e32 v0, v0
	s_waitcnt vmcnt(0)
	v_cvt_f32_f16_sdwa v19, v3 dst_sel:DWORD dst_unused:UNUSED_PAD src0_sel:WORD_1
	v_cvt_f32_f16_e32 v18, v3
	s_mul_hi_i32 s1, s10, s6
	v_mul_f32_e32 v6, 0x45800000, v0
	v_cndmask_b32_e32 v6, v0, v6, vcc
	v_mov_b32_e32 v7, v6
	;;#ASMSTART
	v_pk_mul_f32 v[8:9], v[10:11], v[6:7]
	;;#ASMEND
	;;#ASMSTART
	v_pk_mul_f32 v[10:11], v[16:17], v[6:7]
	;;#ASMEND
	v_cvt_f32_f16_sdwa v17, v2 dst_sel:DWORD dst_unused:UNUSED_PAD src0_sel:WORD_1
	v_cvt_f32_f16_e32 v16, v2
	;;#ASMSTART
	v_pk_mul_f32 v[14:15], v[14:15], v[6:7]
	;;#ASMEND
	;;#ASMSTART
	v_pk_mul_f32 v[2:3], v[12:13], v[6:7]
	;;#ASMEND
	v_cvt_f32_f16_sdwa v13, v4 dst_sel:DWORD dst_unused:UNUSED_PAD src0_sel:WORD_1
	v_cvt_f32_f16_e32 v12, v4
	v_pk_add_f32 v[6:7], v[16:17], 1.0 op_sel_hi:[1,0]
	v_cvt_f32_f16_sdwa v17, v5 dst_sel:DWORD dst_unused:UNUSED_PAD src0_sel:WORD_1
	v_cvt_f32_f16_e32 v16, v5
	;;#ASMSTART
	v_pk_mul_f32 v[6:7], v[8:9], v[6:7]
	;;#ASMEND
	v_pk_add_f32 v[8:9], v[18:19], 1.0 op_sel_hi:[1,0]
	;;#ASMSTART
	v_pk_mul_f32 v[4:5], v[10:11], v[8:9]
	;;#ASMEND
	v_pk_add_f32 v[8:9], v[12:13], 1.0 op_sel_hi:[1,0]
	;; [unrolled: 4-line block ×3, first 2 shown]
	;;#ASMSTART
	v_pk_mul_f32 v[2:3], v[2:3], v[10:11]
	;;#ASMEND
	s_mul_i32 s0, s10, s6
	v_cvt_f16_f32_e32 v0, v6
	v_cvt_f16_f32_e32 v6, v7
	;; [unrolled: 1-line block ×8, first 2 shown]
	s_lshl_b64 s[0:1], s[0:1], 1
	s_add_u32 s20, s36, s0
	s_addc_u32 s0, s37, s1
	s_and_b32 s21, s0, 0xffff
	v_pack_b32_f16 v2, v0, v6
	v_pack_b32_f16 v3, v4, v5
	;; [unrolled: 1-line block ×4, first 2 shown]
	buffer_store_dwordx4 v[2:5], v1, s[20:23], 0 offen
	;;#ASMSTART
	s_nop 0
	;;#ASMEND
	s_endpgm
	.section	.rodata,"a",@progbits
	.p2align	6, 0x0
	.amdhsa_kernel _ZN5aiter35fused_qk_rmsnorm_group_quant_kernelIDF16_N4opus5fp4_tELi128ELi8ELi8ELb1ELb0ELb1ELb0ELb0ELb0EEEvPT0_PvPT_S7_S7_PKS6_S9_S9_S9_S9_ffiiiiiiiiiiiii
		.amdhsa_group_segment_fixed_size 16
		.amdhsa_private_segment_fixed_size 0
		.amdhsa_kernarg_size 400
		.amdhsa_user_sgpr_count 6
		.amdhsa_user_sgpr_private_segment_buffer 1
		.amdhsa_user_sgpr_dispatch_ptr 0
		.amdhsa_user_sgpr_queue_ptr 0
		.amdhsa_user_sgpr_kernarg_segment_ptr 1
		.amdhsa_user_sgpr_dispatch_id 0
		.amdhsa_user_sgpr_flat_scratch_init 0
		.amdhsa_user_sgpr_kernarg_preload_length 0
		.amdhsa_user_sgpr_kernarg_preload_offset 0
		.amdhsa_user_sgpr_private_segment_size 0
		.amdhsa_uses_dynamic_stack 0
		.amdhsa_system_sgpr_private_segment_wavefront_offset 0
		.amdhsa_system_sgpr_workgroup_id_x 1
		.amdhsa_system_sgpr_workgroup_id_y 1
		.amdhsa_system_sgpr_workgroup_id_z 0
		.amdhsa_system_sgpr_workgroup_info 0
		.amdhsa_system_vgpr_workitem_id 0
		.amdhsa_next_free_vgpr 25
		.amdhsa_next_free_sgpr 40
		.amdhsa_accum_offset 28
		.amdhsa_reserve_vcc 1
		.amdhsa_reserve_flat_scratch 0
		.amdhsa_float_round_mode_32 0
		.amdhsa_float_round_mode_16_64 0
		.amdhsa_float_denorm_mode_32 3
		.amdhsa_float_denorm_mode_16_64 3
		.amdhsa_dx10_clamp 1
		.amdhsa_ieee_mode 1
		.amdhsa_fp16_overflow 0
		.amdhsa_tg_split 0
		.amdhsa_exception_fp_ieee_invalid_op 0
		.amdhsa_exception_fp_denorm_src 0
		.amdhsa_exception_fp_ieee_div_zero 0
		.amdhsa_exception_fp_ieee_overflow 0
		.amdhsa_exception_fp_ieee_underflow 0
		.amdhsa_exception_fp_ieee_inexact 0
		.amdhsa_exception_int_div_zero 0
	.end_amdhsa_kernel
	.section	.text._ZN5aiter35fused_qk_rmsnorm_group_quant_kernelIDF16_N4opus5fp4_tELi128ELi8ELi8ELb1ELb0ELb1ELb0ELb0ELb0EEEvPT0_PvPT_S7_S7_PKS6_S9_S9_S9_S9_ffiiiiiiiiiiiii,"axG",@progbits,_ZN5aiter35fused_qk_rmsnorm_group_quant_kernelIDF16_N4opus5fp4_tELi128ELi8ELi8ELb1ELb0ELb1ELb0ELb0ELb0EEEvPT0_PvPT_S7_S7_PKS6_S9_S9_S9_S9_ffiiiiiiiiiiiii,comdat
.Lfunc_end387:
	.size	_ZN5aiter35fused_qk_rmsnorm_group_quant_kernelIDF16_N4opus5fp4_tELi128ELi8ELi8ELb1ELb0ELb1ELb0ELb0ELb0EEEvPT0_PvPT_S7_S7_PKS6_S9_S9_S9_S9_ffiiiiiiiiiiiii, .Lfunc_end387-_ZN5aiter35fused_qk_rmsnorm_group_quant_kernelIDF16_N4opus5fp4_tELi128ELi8ELi8ELb1ELb0ELb1ELb0ELb0ELb0EEEvPT0_PvPT_S7_S7_PKS6_S9_S9_S9_S9_ffiiiiiiiiiiiii
                                        ; -- End function
	.section	.AMDGPU.csdata,"",@progbits
; Kernel info:
; codeLenInByte = 2708
; NumSgprs: 44
; NumVgprs: 25
; NumAgprs: 0
; TotalNumVgprs: 25
; ScratchSize: 0
; MemoryBound: 0
; FloatMode: 240
; IeeeMode: 1
; LDSByteSize: 16 bytes/workgroup (compile time only)
; SGPRBlocks: 5
; VGPRBlocks: 3
; NumSGPRsForWavesPerEU: 44
; NumVGPRsForWavesPerEU: 25
; AccumOffset: 28
; Occupancy: 8
; WaveLimiterHint : 0
; COMPUTE_PGM_RSRC2:SCRATCH_EN: 0
; COMPUTE_PGM_RSRC2:USER_SGPR: 6
; COMPUTE_PGM_RSRC2:TRAP_HANDLER: 0
; COMPUTE_PGM_RSRC2:TGID_X_EN: 1
; COMPUTE_PGM_RSRC2:TGID_Y_EN: 1
; COMPUTE_PGM_RSRC2:TGID_Z_EN: 0
; COMPUTE_PGM_RSRC2:TIDIG_COMP_CNT: 0
; COMPUTE_PGM_RSRC3_GFX90A:ACCUM_OFFSET: 6
; COMPUTE_PGM_RSRC3_GFX90A:TG_SPLIT: 0
	.section	.text._ZN5aiter35fused_qk_rmsnorm_group_quant_kernelItN4opus5fp4_tELi128ELi8ELi8ELb1ELb0ELb1ELb0ELb0ELb0EEEvPT0_PvPT_S7_S7_PKS6_S9_S9_S9_S9_ffiiiiiiiiiiiii,"axG",@progbits,_ZN5aiter35fused_qk_rmsnorm_group_quant_kernelItN4opus5fp4_tELi128ELi8ELi8ELb1ELb0ELb1ELb0ELb0ELb0EEEvPT0_PvPT_S7_S7_PKS6_S9_S9_S9_S9_ffiiiiiiiiiiiii,comdat
	.protected	_ZN5aiter35fused_qk_rmsnorm_group_quant_kernelItN4opus5fp4_tELi128ELi8ELi8ELb1ELb0ELb1ELb0ELb0ELb0EEEvPT0_PvPT_S7_S7_PKS6_S9_S9_S9_S9_ffiiiiiiiiiiiii ; -- Begin function _ZN5aiter35fused_qk_rmsnorm_group_quant_kernelItN4opus5fp4_tELi128ELi8ELi8ELb1ELb0ELb1ELb0ELb0ELb0EEEvPT0_PvPT_S7_S7_PKS6_S9_S9_S9_S9_ffiiiiiiiiiiiii
	.globl	_ZN5aiter35fused_qk_rmsnorm_group_quant_kernelItN4opus5fp4_tELi128ELi8ELi8ELb1ELb0ELb1ELb0ELb0ELb0EEEvPT0_PvPT_S7_S7_PKS6_S9_S9_S9_S9_ffiiiiiiiiiiiii
	.p2align	8
	.type	_ZN5aiter35fused_qk_rmsnorm_group_quant_kernelItN4opus5fp4_tELi128ELi8ELi8ELb1ELb0ELb1ELb0ELb0ELb0EEEvPT0_PvPT_S7_S7_PKS6_S9_S9_S9_S9_ffiiiiiiiiiiiii,@function
_ZN5aiter35fused_qk_rmsnorm_group_quant_kernelItN4opus5fp4_tELi128ELi8ELi8ELb1ELb0ELb1ELb0ELb0ELb0EEEvPT0_PvPT_S7_S7_PKS6_S9_S9_S9_S9_ffiiiiiiiiiiiii: ; @_ZN5aiter35fused_qk_rmsnorm_group_quant_kernelItN4opus5fp4_tELi128ELi8ELi8ELb1ELb0ELb1ELb0ELb0ELb0EEEvPT0_PvPT_S7_S7_PKS6_S9_S9_S9_S9_ffiiiiiiiiiiiii
; %bb.0:
	s_load_dwordx8 s[12:19], s[4:5], 0x50
	s_waitcnt lgkmcnt(0)
	s_cmp_ge_i32 s6, s14
	s_cbranch_scc1 .LBB388_17
; %bb.1:
	s_cmp_lg_u32 s7, 0
	s_cselect_b64 s[22:23], -1, 0
	s_cmp_eq_u32 s7, 0
	s_cselect_b64 s[8:9], -1, 0
	s_and_b64 s[0:1], s[8:9], exec
	s_load_dwordx2 s[20:21], s[4:5], 0x48
	s_load_dwordx2 s[34:35], s[4:5], 0x30
	s_load_dwordx4 s[24:27], s[4:5], 0x70
	s_cselect_b32 s7, s15, s16
	s_add_i32 s0, s7, 1
	s_lshr_b32 s1, s0, 31
	s_add_i32 s0, s0, s1
	s_lshl_b32 s0, s0, 1
	v_lshlrev_b32_e32 v1, 3, v0
	s_and_b32 s30, s0, -4
	v_cmp_gt_i32_e64 s[0:1], s7, v1
	v_mov_b32_e32 v10, 0
	v_mov_b32_e32 v11, 0
	;; [unrolled: 1-line block ×8, first 2 shown]
	s_and_saveexec_b64 s[2:3], s[0:1]
	s_cbranch_execz .LBB388_3
; %bb.2:
	s_load_dwordx2 s[10:11], s[4:5], 0x28
	s_load_dwordx2 s[28:29], s[4:5], 0x40
	s_and_b64 s[36:37], s[8:9], exec
	s_cselect_b32 s14, s17, s18
	s_mov_b32 s31, 0x20000
	s_waitcnt lgkmcnt(0)
	s_cselect_b32 s17, s11, s35
	s_cselect_b32 s27, s10, s34
	s_mul_hi_i32 s11, s14, s6
	s_mul_i32 s10, s14, s6
	s_lshl_b64 s[10:11], s[10:11], 1
	s_add_u32 s36, s27, s10
	s_addc_u32 s14, s17, s11
	s_and_b64 s[10:11], s[8:9], exec
	s_cselect_b32 s28, s28, s20
	s_cselect_b32 s10, s29, s21
	v_lshlrev_b32_e32 v2, 4, v0
	s_and_b32 s37, s14, 0xffff
	s_mov_b32 s38, s30
	s_mov_b32 s39, s31
	s_and_b32 s29, s10, 0xffff
	buffer_load_dwordx4 v[14:17], v2, s[36:39], 0 offen glc slc
	buffer_load_dwordx4 v[10:13], v2, s[28:31], 0 offen
.LBB388_3:
	s_or_b64 exec, exec, s[2:3]
	s_load_dwordx2 s[10:11], s[4:5], 0x80
	s_and_b64 vcc, exec, s[22:23]
	s_cbranch_vccz .LBB388_7
; %bb.4:
	s_mov_b32 s36, 0
	s_mov_b32 s37, s36
	;; [unrolled: 1-line block ×8, first 2 shown]
	v_pk_mov_b32 v[2:3], s[36:37], s[36:37] op_sel:[0,1]
	v_pk_mov_b32 v[4:5], s[38:39], s[38:39] op_sel:[0,1]
	;; [unrolled: 1-line block ×4, first 2 shown]
	s_and_saveexec_b64 s[2:3], s[0:1]
	s_cbranch_execz .LBB388_6
; %bb.5:
	s_waitcnt vmcnt(1)
	v_cvt_f32_u32_sdwa v3, v14 dst_sel:DWORD dst_unused:UNUSED_PAD src0_sel:WORD_1
	v_cvt_f32_u32_sdwa v2, v14 dst_sel:DWORD dst_unused:UNUSED_PAD src0_sel:WORD_0
	v_cvt_f32_u32_sdwa v5, v15 dst_sel:DWORD dst_unused:UNUSED_PAD src0_sel:WORD_1
	v_cvt_f32_u32_sdwa v4, v15 dst_sel:DWORD dst_unused:UNUSED_PAD src0_sel:WORD_0
	;; [unrolled: 2-line block ×4, first 2 shown]
.LBB388_6:
	s_or_b64 exec, exec, s[2:3]
	s_cbranch_execz .LBB388_8
	s_branch .LBB388_11
.LBB388_7:
                                        ; implicit-def: $vgpr2_vgpr3_vgpr4_vgpr5_vgpr6_vgpr7_vgpr8_vgpr9
.LBB388_8:
	s_mov_b32 s36, 0
	s_mov_b32 s37, s36
	;; [unrolled: 1-line block ×8, first 2 shown]
	v_pk_mov_b32 v[2:3], s[36:37], s[36:37] op_sel:[0,1]
	v_pk_mov_b32 v[4:5], s[38:39], s[38:39] op_sel:[0,1]
	;; [unrolled: 1-line block ×4, first 2 shown]
	s_and_saveexec_b64 s[2:3], s[0:1]
	s_cbranch_execz .LBB388_10
; %bb.9:
	s_load_dwordx2 s[28:29], s[4:5], 0x38
	s_mul_hi_i32 s37, s19, s6
	s_mul_i32 s36, s19, s6
	s_lshl_b64 s[36:37], s[36:37], 1
	s_mov_b32 s31, 0x20000
	s_waitcnt lgkmcnt(0)
	s_add_u32 s28, s28, s36
	s_addc_u32 s14, s29, s37
	s_and_b32 s29, s14, 0xffff
	v_lshlrev_b32_e32 v26, 4, v0
	buffer_load_dwordx4 v[2:5], v26, s[28:31], 0 offen glc slc
	s_load_dwordx2 s[28:29], s[4:5], 0x20
	s_waitcnt vmcnt(2)
	v_cvt_f32_u32_sdwa v7, v14 dst_sel:DWORD dst_unused:UNUSED_PAD src0_sel:WORD_1
	v_cvt_f32_u32_sdwa v6, v14 dst_sel:DWORD dst_unused:UNUSED_PAD src0_sel:WORD_0
	v_cvt_f32_u32_sdwa v9, v15 dst_sel:DWORD dst_unused:UNUSED_PAD src0_sel:WORD_1
	v_cvt_f32_u32_sdwa v8, v15 dst_sel:DWORD dst_unused:UNUSED_PAD src0_sel:WORD_0
	;; [unrolled: 2-line block ×4, first 2 shown]
	s_mul_hi_i32 s37, s11, s6
	s_mul_i32 s36, s11, s6
	s_lshl_b64 s[36:37], s[36:37], 1
	s_waitcnt lgkmcnt(0)
	s_add_u32 s28, s28, s36
	s_mov_b32 s11, 0x7060302
	s_addc_u32 s14, s29, s37
	s_and_b32 s29, s14, 0xffff
	s_waitcnt vmcnt(0)
	v_cvt_f32_u32_sdwa v17, v2 dst_sel:DWORD dst_unused:UNUSED_PAD src0_sel:WORD_1
	v_cvt_f32_u32_sdwa v16, v2 dst_sel:DWORD dst_unused:UNUSED_PAD src0_sel:WORD_0
	v_cvt_f32_u32_sdwa v21, v3 dst_sel:DWORD dst_unused:UNUSED_PAD src0_sel:WORD_1
	v_cvt_f32_u32_sdwa v20, v3 dst_sel:DWORD dst_unused:UNUSED_PAD src0_sel:WORD_0
	;; [unrolled: 2-line block ×4, first 2 shown]
	v_pk_add_f32 v[2:3], v[6:7], v[16:17]
	v_pk_add_f32 v[4:5], v[8:9], v[20:21]
	;; [unrolled: 1-line block ×4, first 2 shown]
	v_perm_b32 v17, v9, v8, s11
	v_perm_b32 v16, v7, v6, s11
	;; [unrolled: 1-line block ×4, first 2 shown]
	buffer_store_dwordx4 v[14:17], v26, s[28:31], 0 offen glc slc
	;;#ASMSTART
	s_nop 0
	;;#ASMEND
.LBB388_10:
	s_or_b64 exec, exec, s[2:3]
.LBB388_11:
	s_waitcnt vmcnt(1)
	v_mul_f32_e32 v14, v3, v3
	v_fmac_f32_e32 v14, v2, v2
	v_fmac_f32_e32 v14, v4, v4
	;; [unrolled: 1-line block ×7, first 2 shown]
	v_and_b32_e32 v16, 63, v0
	v_cmp_eq_u32_e64 s[2:3], 63, v16
	v_mov_b32_dpp v15, v14 quad_perm:[1,0,3,2] row_mask:0xf bank_mask:0xf
	v_add_f32_e32 v14, v14, v15
	s_nop 1
	v_mov_b32_dpp v15, v14 quad_perm:[2,3,0,1] row_mask:0xf bank_mask:0xf
	v_add_f32_e32 v14, v14, v15
	s_nop 1
	v_mov_b32_dpp v15, v14 row_half_mirror row_mask:0xf bank_mask:0xf
	v_add_f32_e32 v14, v14, v15
	s_nop 1
	v_mov_b32_dpp v15, v14 row_mirror row_mask:0xf bank_mask:0xf
	v_add_f32_e32 v14, v14, v15
	s_nop 1
	v_mov_b32_dpp v15, v14 row_bcast:15 row_mask:0xf bank_mask:0xf
	v_add_f32_e32 v14, v14, v15
	s_nop 1
	v_mov_b32_dpp v15, v14 row_bcast:31 row_mask:0xf bank_mask:0xf
	s_and_saveexec_b64 s[28:29], s[2:3]
	s_cbranch_execz .LBB388_13
; %bb.12:
	v_add_f32_e32 v14, v14, v15
	v_lshrrev_b32_e32 v15, 4, v0
	v_and_b32_e32 v15, 60, v15
	ds_write_b32 v15, v14 offset:8
.LBB388_13:
	s_or_b64 exec, exec, s[28:29]
	v_and_b32_e32 v14, 1, v0
	v_lshlrev_b32_e32 v14, 2, v14
	s_waitcnt lgkmcnt(0)
	s_barrier
	ds_read_b32 v15, v14 offset:8
	s_load_dwordx2 s[36:37], s[4:5], 0x18
	s_waitcnt lgkmcnt(0)
	v_mov_b32_dpp v16, v15 quad_perm:[1,0,3,2] row_mask:0xf bank_mask:0xf
	s_and_saveexec_b64 s[28:29], s[0:1]
	s_cbranch_execnz .LBB388_18
; %bb.14:
	s_or_b64 exec, exec, s[28:29]
	s_mov_b64 s[8:9], -1
	s_and_b64 vcc, exec, s[22:23]
	s_cbranch_vccnz .LBB388_19
.LBB388_15:
	s_andn2_b64 vcc, exec, s[8:9]
	s_cbranch_vccz .LBB388_22
.LBB388_16:
	s_cmp_lt_i32 s16, 1
	s_cbranch_scc0 .LBB388_29
.LBB388_17:
	s_endpgm
.LBB388_18:
	v_cvt_f32_u32_e32 v17, s7
	v_add_f32_e32 v15, v15, v16
	v_mov_b32_e32 v19, s13
	v_mov_b32_e32 v20, s12
	v_div_scale_f32 v16, s[38:39], v17, v17, v15
	v_rcp_f32_e32 v18, v16
	v_cndmask_b32_e64 v19, v19, v20, s[8:9]
	s_mov_b32 s7, 0x800000
	v_fma_f32 v20, -v16, v18, 1.0
	v_fmac_f32_e32 v18, v20, v18
	v_div_scale_f32 v20, vcc, v15, v17, v15
	v_mul_f32_e32 v21, v20, v18
	v_fma_f32 v22, -v16, v21, v20
	v_fmac_f32_e32 v21, v22, v18
	v_fma_f32 v16, -v16, v21, v20
	v_div_fmas_f32 v16, v16, v18, v21
	v_div_fixup_f32 v15, v16, v17, v15
	v_add_f32_e32 v15, v19, v15
	v_mul_f32_e32 v16, 0x4b800000, v15
	v_cmp_gt_f32_e32 vcc, s7, v15
	v_cndmask_b32_e32 v15, v15, v16, vcc
	v_rsq_f32_e32 v15, v15
	s_waitcnt vmcnt(0)
	v_cvt_f32_u32_sdwa v19, v10 dst_sel:DWORD dst_unused:UNUSED_PAD src0_sel:WORD_1
	v_cvt_f32_u32_sdwa v18, v10 dst_sel:DWORD dst_unused:UNUSED_PAD src0_sel:WORD_0
	v_cvt_f32_u32_sdwa v21, v11 dst_sel:DWORD dst_unused:UNUSED_PAD src0_sel:WORD_1
	v_mul_f32_e32 v16, 0x45800000, v15
	v_cndmask_b32_e32 v16, v15, v16, vcc
	v_mov_b32_e32 v17, v16
	v_cvt_f32_u32_sdwa v20, v11 dst_sel:DWORD dst_unused:UNUSED_PAD src0_sel:WORD_0
	;;#ASMSTART
	v_pk_mul_f32 v[2:3], v[2:3], v[16:17]
	;;#ASMEND
	;;#ASMSTART
	v_pk_mul_f32 v[4:5], v[4:5], v[16:17]
	;;#ASMEND
	;;#ASMSTART
	v_pk_mul_f32 v[6:7], v[6:7], v[16:17]
	;;#ASMEND
	;;#ASMSTART
	v_pk_mul_f32 v[8:9], v[8:9], v[16:17]
	;;#ASMEND
	v_cvt_f32_u32_sdwa v17, v12 dst_sel:DWORD dst_unused:UNUSED_PAD src0_sel:WORD_1
	v_cvt_f32_u32_sdwa v16, v12 dst_sel:DWORD dst_unused:UNUSED_PAD src0_sel:WORD_0
	v_pk_add_f32 v[10:11], v[18:19], 1.0 op_sel_hi:[1,0]
	v_cvt_f32_u32_sdwa v19, v13 dst_sel:DWORD dst_unused:UNUSED_PAD src0_sel:WORD_1
	v_cvt_f32_u32_sdwa v18, v13 dst_sel:DWORD dst_unused:UNUSED_PAD src0_sel:WORD_0
	;;#ASMSTART
	v_pk_mul_f32 v[2:3], v[2:3], v[10:11]
	;;#ASMEND
	v_pk_add_f32 v[10:11], v[20:21], 1.0 op_sel_hi:[1,0]
	;;#ASMSTART
	v_pk_mul_f32 v[4:5], v[4:5], v[10:11]
	;;#ASMEND
	v_pk_add_f32 v[10:11], v[16:17], 1.0 op_sel_hi:[1,0]
	;; [unrolled: 4-line block ×3, first 2 shown]
	;;#ASMSTART
	v_pk_mul_f32 v[8:9], v[8:9], v[10:11]
	;;#ASMEND
	s_or_b64 exec, exec, s[28:29]
	s_mov_b64 s[8:9], -1
	s_and_b64 vcc, exec, s[22:23]
	s_cbranch_vccz .LBB388_15
.LBB388_19:
	s_and_saveexec_b64 s[8:9], s[0:1]
	s_cbranch_execz .LBB388_21
; %bb.20:
	s_mul_hi_i32 s23, s10, s6
	s_mul_i32 s22, s10, s6
	s_lshl_b64 s[22:23], s[22:23], 1
	s_add_u32 s28, s36, s22
	s_addc_u32 s7, s37, s23
	s_and_b32 s29, s7, 0xffff
	s_mov_b32 s7, 0x7060302
	s_mov_b32 s31, 0x20000
	s_waitcnt vmcnt(0)
	v_perm_b32 v10, v3, v2, s7
	v_perm_b32 v11, v5, v4, s7
	v_perm_b32 v12, v7, v6, s7
	v_perm_b32 v13, v9, v8, s7
	v_lshlrev_b32_e32 v15, 4, v0
	buffer_store_dwordx4 v[10:13], v15, s[28:31], 0 offen
	;;#ASMSTART
	s_nop 0
	;;#ASMEND
.LBB388_21:
	s_or_b64 exec, exec, s[8:9]
	s_cbranch_execnz .LBB388_16
.LBB388_22:
	s_waitcnt vmcnt(0)
	v_mov_b32_e32 v10, 0
	s_and_saveexec_b64 s[8:9], s[0:1]
	s_cbranch_execz .LBB388_24
; %bb.23:
	v_and_b32_e32 v2, 0x7fffffff, v2
	v_and_b32_e32 v3, 0x7fffffff, v3
	v_mov_b32_e32 v10, 0x2edbe6ff
	;;#ASMSTART
	v_max3_f32 v2, v10, v2, v3

	;;#ASMEND
	v_and_b32_e32 v3, 0x7fffffff, v4
	v_and_b32_e32 v4, 0x7fffffff, v5
	;;#ASMSTART
	v_max3_f32 v2, v2, v3, v4

	;;#ASMEND
	v_and_b32_e32 v3, 0x7fffffff, v6
	v_and_b32_e32 v4, 0x7fffffff, v7
	;; [unrolled: 6-line block ×3, first 2 shown]
	;;#ASMSTART
	v_max3_f32 v10, v2, v3, v4

	;;#ASMEND
.LBB388_24:
	s_or_b64 exec, exec, s[8:9]
	;;#ASMSTART
	v_max_f32 v2, v10, v10 quad_perm:[1,0,3,2] row_mask:0xf bank_mask:0xf bound_ctrl:1
	;;#ASMEND
	;;#ASMSTART
	v_max_f32 v3, v2, v2 quad_perm:[2,3,0,1] row_mask:0xf bank_mask:0xf bound_ctrl:1
	;;#ASMEND
	;;#ASMSTART
	v_max_f32 v2, v3, v3 row_half_mirror row_mask:0xf bank_mask:0xf bound_ctrl:1
	;;#ASMEND
	v_and_b32_e32 v3, 7, v0
	v_cmp_eq_u32_e32 vcc, 0, v3
	v_cmp_gt_i32_e64 s[8:9], s15, v1
	s_and_b64 s[22:23], vcc, s[8:9]
	s_and_saveexec_b64 s[8:9], s[22:23]
	s_cbranch_execz .LBB388_26
; %bb.25:
	s_load_dwordx2 s[22:23], s[4:5], 0x8
	v_mul_f32_e32 v2, 0x3e2aaaab, v2
	v_lshrrev_b32_e32 v3, 23, v2
	v_and_b32_e32 v4, 0x7f800000, v2
	v_and_b32_e32 v2, 0x7fffff, v2
	v_cmp_ne_u32_e32 vcc, 0, v2
	s_mul_i32 s12, s25, s6
	s_mov_b32 s7, 0x7f800000
	v_addc_co_u32_e32 v2, vcc, 0, v3, vcc
	s_mul_hi_i32 s11, s25, s6
	s_waitcnt lgkmcnt(0)
	s_add_u32 s22, s22, s12
	v_cmp_ne_u32_e32 vcc, s7, v4
	s_addc_u32 s23, s23, s11
	v_lshrrev_b32_e32 v5, 3, v0
	v_cndmask_b32_e32 v4, -1, v2, vcc
	v_pk_mov_b32 v[2:3], s[22:23], s[22:23] op_sel:[0,1]
	v_mad_i64_i32 v[2:3], s[22:23], s26, v5, v[2:3]
	global_store_byte v[2:3], v4, off
.LBB388_26:
	s_or_b64 exec, exec, s[8:9]
	s_and_saveexec_b64 s[8:9], s[0:1]
	s_cbranch_execz .LBB388_28
; %bb.27:
	s_load_dwordx2 s[0:1], s[4:5], 0x0
	s_mul_i32 s11, s24, s6
	s_mul_hi_i32 s7, s24, s6
	v_lshlrev_b32_e32 v2, 2, v0
	s_mov_b32 s27, 0x20000
	s_waitcnt lgkmcnt(0)
	s_add_u32 s24, s0, s11
	s_addc_u32 s0, s1, s7
	s_lshr_b32 s1, s15, 31
	s_add_i32 s1, s15, s1
	s_ashr_i32 s1, s1, 1
	s_add_i32 s1, s1, 3
	s_ashr_i32 s7, s1, 31
	s_lshr_b32 s7, s7, 30
	s_add_i32 s1, s1, s7
	s_and_b32 s26, s1, -4
	s_and_b32 s25, s0, 0xffff
	v_mov_b32_e32 v3, 0
	buffer_store_dword v3, v2, s[24:27], 0 offen
	;;#ASMSTART
	s_nop 0
	;;#ASMEND
.LBB388_28:
	s_or_b64 exec, exec, s[8:9]
	s_cmp_lt_i32 s16, 1
	s_cbranch_scc1 .LBB388_17
.LBB388_29:
	s_load_dword s0, s[4:5], 0x94
	s_waitcnt lgkmcnt(0)
	s_cmp_lg_u32 s0, 1
	s_cbranch_scc1 .LBB388_17
; %bb.30:
	s_lshl_b32 s0, s16, 1
	s_add_i32 s0, s0, 2
	v_cmp_gt_u32_e32 vcc, s16, v1
	s_and_b32 s22, s0, -4
	v_mov_b32_e32 v6, 0
	v_lshlrev_b32_e32 v1, 4, v0
	v_mov_b32_e32 v7, 0
	v_mov_b32_e32 v8, 0
	;; [unrolled: 1-line block ×7, first 2 shown]
	s_barrier
	s_and_saveexec_b64 s[0:1], vcc
	s_cbranch_execz .LBB388_32
; %bb.31:
	s_mul_hi_i32 s5, s18, s6
	s_mul_i32 s4, s18, s6
	s_and_b32 s21, s21, 0xffff
	s_lshl_b64 s[4:5], s[4:5], 1
	s_add_u32 s24, s34, s4
	s_mov_b32 s23, 0x20000
	s_addc_u32 s4, s35, s5
	s_and_b32 s25, s4, 0xffff
	s_mov_b32 s26, s22
	s_mov_b32 s27, s23
	buffer_load_dwordx4 v[6:9], v1, s[24:27], 0 offen glc slc
	buffer_load_dwordx4 v[2:5], v1, s[20:23], 0 offen
.LBB388_32:
	s_or_b64 exec, exec, s[0:1]
	s_waitcnt vmcnt(0)
	v_cvt_f32_u32_sdwa v13, v6 dst_sel:DWORD dst_unused:UNUSED_PAD src0_sel:WORD_1
	v_cvt_f32_u32_sdwa v12, v6 dst_sel:DWORD dst_unused:UNUSED_PAD src0_sel:WORD_0
	v_cvt_f32_u32_sdwa v6, v9 dst_sel:DWORD dst_unused:UNUSED_PAD src0_sel:WORD_1
	v_cvt_f32_u32_sdwa v9, v9 dst_sel:DWORD dst_unused:UNUSED_PAD src0_sel:WORD_0
	;; [unrolled: 2-line block ×4, first 2 shown]
	v_cndmask_b32_e32 v13, 0, v13, vcc
	v_cndmask_b32_e32 v7, 0, v6, vcc
	;; [unrolled: 1-line block ×5, first 2 shown]
	v_mul_f32_e32 v15, v13, v13
	v_cndmask_b32_e32 v10, 0, v10, vcc
	v_fmac_f32_e32 v15, v12, v12
	v_cndmask_b32_e32 v11, 0, v11, vcc
	v_fmac_f32_e32 v15, v10, v10
	;; [unrolled: 2-line block ×3, first 2 shown]
	v_fmac_f32_e32 v15, v8, v8
	v_fmac_f32_e32 v15, v9, v9
	;; [unrolled: 1-line block ×4, first 2 shown]
	s_nop 1
	v_mov_b32_dpp v16, v15 quad_perm:[1,0,3,2] row_mask:0xf bank_mask:0xf
	v_add_f32_e32 v15, v15, v16
	s_nop 1
	v_mov_b32_dpp v16, v15 quad_perm:[2,3,0,1] row_mask:0xf bank_mask:0xf
	v_add_f32_e32 v15, v15, v16
	s_nop 1
	v_mov_b32_dpp v16, v15 row_half_mirror row_mask:0xf bank_mask:0xf
	v_add_f32_e32 v15, v15, v16
	s_nop 1
	v_mov_b32_dpp v16, v15 row_mirror row_mask:0xf bank_mask:0xf
	v_add_f32_e32 v15, v15, v16
	s_nop 1
	v_mov_b32_dpp v16, v15 row_bcast:15 row_mask:0xf bank_mask:0xf
	v_add_f32_e32 v15, v15, v16
	s_nop 1
	v_mov_b32_dpp v16, v15 row_bcast:31 row_mask:0xf bank_mask:0xf
	s_and_saveexec_b64 s[0:1], s[2:3]
	s_cbranch_execz .LBB388_34
; %bb.33:
	v_lshrrev_b32_e32 v0, 4, v0
	v_add_f32_e32 v15, v15, v16
	v_and_b32_e32 v0, 60, v0
	ds_write_b32 v0, v15
.LBB388_34:
	s_or_b64 exec, exec, s[0:1]
	s_waitcnt lgkmcnt(0)
	s_barrier
	ds_read_b32 v0, v14
	s_waitcnt lgkmcnt(0)
	s_nop 0
	v_mov_b32_dpp v14, v0 quad_perm:[1,0,3,2] row_mask:0xf bank_mask:0xf
	s_and_saveexec_b64 s[0:1], vcc
	s_cbranch_execz .LBB388_17
; %bb.35:
	v_cvt_f32_u32_e32 v15, s16
	v_add_f32_e32 v0, v0, v14
	s_mov_b32 s23, 0x20000
	v_div_scale_f32 v14, s[0:1], v15, v15, v0
	v_rcp_f32_e32 v16, v14
	v_div_scale_f32 v17, vcc, v0, v15, v0
	s_mov_b32 s0, 0x800000
	v_fma_f32 v18, -v14, v16, 1.0
	v_fmac_f32_e32 v16, v18, v16
	v_mul_f32_e32 v18, v17, v16
	v_fma_f32 v19, -v14, v18, v17
	v_fmac_f32_e32 v18, v19, v16
	v_fma_f32 v14, -v14, v18, v17
	v_div_fmas_f32 v14, v14, v16, v18
	v_div_fixup_f32 v0, v14, v15, v0
	v_add_f32_e32 v0, s13, v0
	v_mul_f32_e32 v14, 0x4b800000, v0
	v_cmp_gt_f32_e32 vcc, s0, v0
	v_cndmask_b32_e32 v0, v0, v14, vcc
	v_rsq_f32_e32 v0, v0
	v_cvt_f32_u32_sdwa v17, v2 dst_sel:DWORD dst_unused:UNUSED_PAD src0_sel:WORD_1
	v_cvt_f32_u32_sdwa v16, v2 dst_sel:DWORD dst_unused:UNUSED_PAD src0_sel:WORD_0
	v_cvt_f32_u32_sdwa v19, v3 dst_sel:DWORD dst_unused:UNUSED_PAD src0_sel:WORD_1
	v_mul_f32_e32 v14, 0x45800000, v0
	v_cndmask_b32_e32 v14, v0, v14, vcc
	v_mov_b32_e32 v15, v14
	;;#ASMSTART
	v_pk_mul_f32 v[12:13], v[12:13], v[14:15]
	;;#ASMEND
	;;#ASMSTART
	v_pk_mul_f32 v[10:11], v[10:11], v[14:15]
	;;#ASMEND
	;; [unrolled: 3-line block ×3, first 2 shown]
	v_cvt_f32_u32_sdwa v18, v3 dst_sel:DWORD dst_unused:UNUSED_PAD src0_sel:WORD_0
	;;#ASMSTART
	v_pk_mul_f32 v[2:3], v[6:7], v[14:15]
	;;#ASMEND
	v_cvt_f32_u32_sdwa v15, v4 dst_sel:DWORD dst_unused:UNUSED_PAD src0_sel:WORD_1
	v_cvt_f32_u32_sdwa v14, v4 dst_sel:DWORD dst_unused:UNUSED_PAD src0_sel:WORD_0
	v_pk_add_f32 v[6:7], v[16:17], 1.0 op_sel_hi:[1,0]
	v_cvt_f32_u32_sdwa v17, v5 dst_sel:DWORD dst_unused:UNUSED_PAD src0_sel:WORD_1
	v_cvt_f32_u32_sdwa v16, v5 dst_sel:DWORD dst_unused:UNUSED_PAD src0_sel:WORD_0
	s_mul_hi_i32 s1, s10, s6
	s_mul_i32 s0, s10, s6
	s_lshl_b64 s[0:1], s[0:1], 1
	s_add_u32 s20, s36, s0
	;;#ASMSTART
	v_pk_mul_f32 v[6:7], v[12:13], v[6:7]
	;;#ASMEND
	v_pk_add_f32 v[12:13], v[18:19], 1.0 op_sel_hi:[1,0]
	;;#ASMSTART
	v_pk_mul_f32 v[4:5], v[10:11], v[12:13]
	;;#ASMEND
	v_pk_add_f32 v[10:11], v[14:15], 1.0 op_sel_hi:[1,0]
	s_addc_u32 s0, s37, s1
	;;#ASMSTART
	v_pk_mul_f32 v[8:9], v[8:9], v[10:11]
	;;#ASMEND
	v_pk_add_f32 v[10:11], v[16:17], 1.0 op_sel_hi:[1,0]
	s_and_b32 s21, s0, 0xffff
	s_mov_b32 s0, 0x7060302
	;;#ASMSTART
	v_pk_mul_f32 v[10:11], v[2:3], v[10:11]
	;;#ASMEND
	v_perm_b32 v2, v7, v6, s0
	v_perm_b32 v3, v5, v4, s0
	;; [unrolled: 1-line block ×4, first 2 shown]
	buffer_store_dwordx4 v[2:5], v1, s[20:23], 0 offen
	;;#ASMSTART
	s_nop 0
	;;#ASMEND
	s_endpgm
	.section	.rodata,"a",@progbits
	.p2align	6, 0x0
	.amdhsa_kernel _ZN5aiter35fused_qk_rmsnorm_group_quant_kernelItN4opus5fp4_tELi128ELi8ELi8ELb1ELb0ELb1ELb0ELb0ELb0EEEvPT0_PvPT_S7_S7_PKS6_S9_S9_S9_S9_ffiiiiiiiiiiiii
		.amdhsa_group_segment_fixed_size 16
		.amdhsa_private_segment_fixed_size 0
		.amdhsa_kernarg_size 400
		.amdhsa_user_sgpr_count 6
		.amdhsa_user_sgpr_private_segment_buffer 1
		.amdhsa_user_sgpr_dispatch_ptr 0
		.amdhsa_user_sgpr_queue_ptr 0
		.amdhsa_user_sgpr_kernarg_segment_ptr 1
		.amdhsa_user_sgpr_dispatch_id 0
		.amdhsa_user_sgpr_flat_scratch_init 0
		.amdhsa_user_sgpr_kernarg_preload_length 0
		.amdhsa_user_sgpr_kernarg_preload_offset 0
		.amdhsa_user_sgpr_private_segment_size 0
		.amdhsa_uses_dynamic_stack 0
		.amdhsa_system_sgpr_private_segment_wavefront_offset 0
		.amdhsa_system_sgpr_workgroup_id_x 1
		.amdhsa_system_sgpr_workgroup_id_y 1
		.amdhsa_system_sgpr_workgroup_id_z 0
		.amdhsa_system_sgpr_workgroup_info 0
		.amdhsa_system_vgpr_workitem_id 0
		.amdhsa_next_free_vgpr 27
		.amdhsa_next_free_sgpr 44
		.amdhsa_accum_offset 28
		.amdhsa_reserve_vcc 1
		.amdhsa_reserve_flat_scratch 0
		.amdhsa_float_round_mode_32 0
		.amdhsa_float_round_mode_16_64 0
		.amdhsa_float_denorm_mode_32 3
		.amdhsa_float_denorm_mode_16_64 3
		.amdhsa_dx10_clamp 1
		.amdhsa_ieee_mode 1
		.amdhsa_fp16_overflow 0
		.amdhsa_tg_split 0
		.amdhsa_exception_fp_ieee_invalid_op 0
		.amdhsa_exception_fp_denorm_src 0
		.amdhsa_exception_fp_ieee_div_zero 0
		.amdhsa_exception_fp_ieee_overflow 0
		.amdhsa_exception_fp_ieee_underflow 0
		.amdhsa_exception_fp_ieee_inexact 0
		.amdhsa_exception_int_div_zero 0
	.end_amdhsa_kernel
	.section	.text._ZN5aiter35fused_qk_rmsnorm_group_quant_kernelItN4opus5fp4_tELi128ELi8ELi8ELb1ELb0ELb1ELb0ELb0ELb0EEEvPT0_PvPT_S7_S7_PKS6_S9_S9_S9_S9_ffiiiiiiiiiiiii,"axG",@progbits,_ZN5aiter35fused_qk_rmsnorm_group_quant_kernelItN4opus5fp4_tELi128ELi8ELi8ELb1ELb0ELb1ELb0ELb0ELb0EEEvPT0_PvPT_S7_S7_PKS6_S9_S9_S9_S9_ffiiiiiiiiiiiii,comdat
.Lfunc_end388:
	.size	_ZN5aiter35fused_qk_rmsnorm_group_quant_kernelItN4opus5fp4_tELi128ELi8ELi8ELb1ELb0ELb1ELb0ELb0ELb0EEEvPT0_PvPT_S7_S7_PKS6_S9_S9_S9_S9_ffiiiiiiiiiiiii, .Lfunc_end388-_ZN5aiter35fused_qk_rmsnorm_group_quant_kernelItN4opus5fp4_tELi128ELi8ELi8ELb1ELb0ELb1ELb0ELb0ELb0EEEvPT0_PvPT_S7_S7_PKS6_S9_S9_S9_S9_ffiiiiiiiiiiiii
                                        ; -- End function
	.section	.AMDGPU.csdata,"",@progbits
; Kernel info:
; codeLenInByte = 2772
; NumSgprs: 48
; NumVgprs: 27
; NumAgprs: 0
; TotalNumVgprs: 27
; ScratchSize: 0
; MemoryBound: 0
; FloatMode: 240
; IeeeMode: 1
; LDSByteSize: 16 bytes/workgroup (compile time only)
; SGPRBlocks: 5
; VGPRBlocks: 3
; NumSGPRsForWavesPerEU: 48
; NumVGPRsForWavesPerEU: 27
; AccumOffset: 28
; Occupancy: 8
; WaveLimiterHint : 0
; COMPUTE_PGM_RSRC2:SCRATCH_EN: 0
; COMPUTE_PGM_RSRC2:USER_SGPR: 6
; COMPUTE_PGM_RSRC2:TRAP_HANDLER: 0
; COMPUTE_PGM_RSRC2:TGID_X_EN: 1
; COMPUTE_PGM_RSRC2:TGID_Y_EN: 1
; COMPUTE_PGM_RSRC2:TGID_Z_EN: 0
; COMPUTE_PGM_RSRC2:TIDIG_COMP_CNT: 0
; COMPUTE_PGM_RSRC3_GFX90A:ACCUM_OFFSET: 6
; COMPUTE_PGM_RSRC3_GFX90A:TG_SPLIT: 0
	.section	.text._ZN5aiter35fused_qk_rmsnorm_group_quant_kernelIDF16_DB8_Li128ELi8ELi8ELb1ELb0ELb0ELb0ELb0ELb0EEEvPT0_PvPT_S6_S6_PKS5_S8_S8_S8_S8_ffiiiiiiiiiiiii,"axG",@progbits,_ZN5aiter35fused_qk_rmsnorm_group_quant_kernelIDF16_DB8_Li128ELi8ELi8ELb1ELb0ELb0ELb0ELb0ELb0EEEvPT0_PvPT_S6_S6_PKS5_S8_S8_S8_S8_ffiiiiiiiiiiiii,comdat
	.protected	_ZN5aiter35fused_qk_rmsnorm_group_quant_kernelIDF16_DB8_Li128ELi8ELi8ELb1ELb0ELb0ELb0ELb0ELb0EEEvPT0_PvPT_S6_S6_PKS5_S8_S8_S8_S8_ffiiiiiiiiiiiii ; -- Begin function _ZN5aiter35fused_qk_rmsnorm_group_quant_kernelIDF16_DB8_Li128ELi8ELi8ELb1ELb0ELb0ELb0ELb0ELb0EEEvPT0_PvPT_S6_S6_PKS5_S8_S8_S8_S8_ffiiiiiiiiiiiii
	.globl	_ZN5aiter35fused_qk_rmsnorm_group_quant_kernelIDF16_DB8_Li128ELi8ELi8ELb1ELb0ELb0ELb0ELb0ELb0EEEvPT0_PvPT_S6_S6_PKS5_S8_S8_S8_S8_ffiiiiiiiiiiiii
	.p2align	8
	.type	_ZN5aiter35fused_qk_rmsnorm_group_quant_kernelIDF16_DB8_Li128ELi8ELi8ELb1ELb0ELb0ELb0ELb0ELb0EEEvPT0_PvPT_S6_S6_PKS5_S8_S8_S8_S8_ffiiiiiiiiiiiii,@function
_ZN5aiter35fused_qk_rmsnorm_group_quant_kernelIDF16_DB8_Li128ELi8ELi8ELb1ELb0ELb0ELb0ELb0ELb0EEEvPT0_PvPT_S6_S6_PKS5_S8_S8_S8_S8_ffiiiiiiiiiiiii: ; @_ZN5aiter35fused_qk_rmsnorm_group_quant_kernelIDF16_DB8_Li128ELi8ELi8ELb1ELb0ELb0ELb0ELb0ELb0EEEvPT0_PvPT_S6_S6_PKS5_S8_S8_S8_S8_ffiiiiiiiiiiiii
; %bb.0:
	s_load_dwordx8 s[12:19], s[4:5], 0x50
	s_waitcnt lgkmcnt(0)
	s_cmp_ge_i32 s6, s14
	s_cbranch_scc1 .LBB389_17
; %bb.1:
	s_cmp_lg_u32 s7, 0
	s_cselect_b64 s[10:11], -1, 0
	s_cmp_eq_u32 s7, 0
	s_cselect_b64 s[8:9], -1, 0
	s_and_b64 s[0:1], s[8:9], exec
	s_load_dwordx2 s[20:21], s[4:5], 0x48
	s_load_dwordx2 s[36:37], s[4:5], 0x30
	s_load_dwordx4 s[24:27], s[4:5], 0x70
	s_cselect_b32 s7, s15, s16
	s_add_i32 s0, s7, 1
	s_lshr_b32 s1, s0, 31
	s_add_i32 s0, s0, s1
	s_lshl_b32 s0, s0, 1
	v_lshlrev_b32_e32 v1, 3, v0
	s_and_b32 s30, s0, -4
	v_cmp_gt_i32_e64 s[0:1], s7, v1
	v_mov_b32_e32 v24, 0
	v_mov_b32_e32 v25, 0
	v_mov_b32_e32 v26, 0
	v_mov_b32_e32 v27, 0
	v_mov_b32_e32 v28, 0
	v_mov_b32_e32 v29, 0
	v_mov_b32_e32 v30, 0
	v_mov_b32_e32 v31, 0
	s_and_saveexec_b64 s[2:3], s[0:1]
	s_cbranch_execz .LBB389_3
; %bb.2:
	s_load_dwordx2 s[22:23], s[4:5], 0x28
	s_load_dwordx2 s[28:29], s[4:5], 0x40
	s_and_b64 s[34:35], s[8:9], exec
	s_cselect_b32 s14, s17, s18
	s_mov_b32 s31, 0x20000
	s_waitcnt lgkmcnt(0)
	s_cselect_b32 s17, s23, s37
	s_cselect_b32 s27, s22, s36
	s_mul_hi_i32 s23, s14, s6
	s_mul_i32 s22, s14, s6
	s_lshl_b64 s[22:23], s[22:23], 1
	s_add_u32 s40, s27, s22
	s_addc_u32 s14, s17, s23
	s_and_b64 s[22:23], s[8:9], exec
	s_cselect_b32 s28, s28, s20
	s_cselect_b32 s17, s29, s21
	v_lshlrev_b32_e32 v2, 4, v0
	s_and_b32 s41, s14, 0xffff
	s_mov_b32 s42, s30
	s_mov_b32 s43, s31
	s_and_b32 s29, s17, 0xffff
	buffer_load_dwordx4 v[28:31], v2, s[40:43], 0 offen glc slc
	buffer_load_dwordx4 v[24:27], v2, s[28:31], 0 offen
.LBB389_3:
	s_or_b64 exec, exec, s[2:3]
	s_load_dwordx2 s[34:35], s[4:5], 0x80
	s_and_b64 vcc, exec, s[10:11]
	s_cbranch_vccz .LBB389_7
; %bb.4:
	v_mov_b32_e32 v33, 0
	v_mov_b32_e32 v32, 0
	;; [unrolled: 1-line block ×8, first 2 shown]
	s_and_saveexec_b64 s[2:3], s[0:1]
	s_cbranch_execz .LBB389_6
; %bb.5:
	s_waitcnt vmcnt(1)
	v_cvt_f32_f16_sdwa v17, v28 dst_sel:DWORD dst_unused:UNUSED_PAD src0_sel:WORD_1
	v_cvt_f32_f16_e32 v16, v28
	v_cvt_f32_f16_sdwa v11, v29 dst_sel:DWORD dst_unused:UNUSED_PAD src0_sel:WORD_1
	v_cvt_f32_f16_e32 v10, v29
	v_cvt_f32_f16_sdwa v7, v30 dst_sel:DWORD dst_unused:UNUSED_PAD src0_sel:WORD_1
	v_cvt_f32_f16_e32 v6, v30
	v_cvt_f32_f16_sdwa v33, v31 dst_sel:DWORD dst_unused:UNUSED_PAD src0_sel:WORD_1
	v_cvt_f32_f16_e32 v32, v31
.LBB389_6:
	s_or_b64 exec, exec, s[2:3]
	s_cbranch_execz .LBB389_8
	s_branch .LBB389_11
.LBB389_7:
                                        ; implicit-def: $vgpr8_vgpr9_vgpr10_vgpr11_vgpr12_vgpr13_vgpr14_vgpr15
                                        ; implicit-def: $vgpr33
                                        ; implicit-def: $vgpr16_vgpr17_vgpr18_vgpr19_vgpr20_vgpr21_vgpr22_vgpr23
                                        ; implicit-def: $vgpr2_vgpr3_vgpr4_vgpr5_vgpr6_vgpr7_vgpr8_vgpr9
.LBB389_8:
	v_mov_b32_e32 v33, 0
	v_mov_b32_e32 v32, 0
	;; [unrolled: 1-line block ×8, first 2 shown]
	s_and_saveexec_b64 s[2:3], s[0:1]
	s_cbranch_execz .LBB389_10
; %bb.9:
	s_load_dwordx2 s[22:23], s[4:5], 0x38
	s_mul_hi_i32 s29, s19, s6
	s_mul_i32 s28, s19, s6
	s_lshl_b64 s[28:29], s[28:29], 1
	s_mov_b32 s31, 0x20000
	s_waitcnt lgkmcnt(0)
	s_add_u32 s28, s22, s28
	s_addc_u32 s14, s23, s29
	s_and_b32 s29, s14, 0xffff
	v_lshlrev_b32_e32 v20, 4, v0
	buffer_load_dwordx4 v[2:5], v20, s[28:31], 0 offen glc slc
	s_waitcnt vmcnt(2)
	v_cvt_f32_f16_sdwa v7, v28 dst_sel:DWORD dst_unused:UNUSED_PAD src0_sel:WORD_1
	v_cvt_f32_f16_e32 v6, v28
	v_cvt_f32_f16_sdwa v9, v29 dst_sel:DWORD dst_unused:UNUSED_PAD src0_sel:WORD_1
	v_cvt_f32_f16_e32 v8, v29
	;; [unrolled: 2-line block ×4, first 2 shown]
	s_load_dwordx2 s[22:23], s[4:5], 0x20
	s_mul_hi_i32 s29, s35, s6
	s_mul_i32 s28, s35, s6
	s_lshl_b64 s[28:29], s[28:29], 1
	s_waitcnt lgkmcnt(0)
	s_add_u32 s28, s22, s28
	s_addc_u32 s14, s23, s29
	s_and_b32 s29, s14, 0xffff
	s_waitcnt vmcnt(0)
	v_cvt_f32_f16_e32 v10, v2
	v_cvt_f32_f16_sdwa v11, v2 dst_sel:DWORD dst_unused:UNUSED_PAD src0_sel:WORD_1
	v_cvt_f32_f16_e32 v2, v3
	v_cvt_f32_f16_sdwa v3, v3 dst_sel:DWORD dst_unused:UNUSED_PAD src0_sel:WORD_1
	;; [unrolled: 2-line block ×4, first 2 shown]
	v_pk_add_f32 v[16:17], v[6:7], v[10:11]
	v_pk_add_f32 v[10:11], v[8:9], v[2:3]
	;; [unrolled: 1-line block ×4, first 2 shown]
	v_cvt_f16_f32_e32 v2, v17
	v_cvt_f16_f32_e32 v3, v11
	;; [unrolled: 1-line block ×8, first 2 shown]
	v_pack_b32_f16 v5, v8, v5
	v_pack_b32_f16 v4, v9, v4
	;; [unrolled: 1-line block ×4, first 2 shown]
	buffer_store_dwordx4 v[2:5], v20, s[28:31], 0 offen glc slc
	;;#ASMSTART
	s_nop 0
	;;#ASMEND
.LBB389_10:
	s_or_b64 exec, exec, s[2:3]
.LBB389_11:
	v_mul_f32_e32 v2, v17, v17
	v_fmac_f32_e32 v2, v16, v16
	v_fmac_f32_e32 v2, v10, v10
	;; [unrolled: 1-line block ×7, first 2 shown]
	v_and_b32_e32 v4, 63, v0
	v_cmp_eq_u32_e64 s[2:3], 63, v4
	v_mov_b32_dpp v3, v2 quad_perm:[1,0,3,2] row_mask:0xf bank_mask:0xf
	v_add_f32_e32 v2, v2, v3
	s_nop 1
	v_mov_b32_dpp v3, v2 quad_perm:[2,3,0,1] row_mask:0xf bank_mask:0xf
	v_add_f32_e32 v2, v2, v3
	s_nop 1
	v_mov_b32_dpp v3, v2 row_half_mirror row_mask:0xf bank_mask:0xf
	v_add_f32_e32 v2, v2, v3
	s_nop 1
	v_mov_b32_dpp v3, v2 row_mirror row_mask:0xf bank_mask:0xf
	v_add_f32_e32 v2, v2, v3
	s_nop 1
	v_mov_b32_dpp v3, v2 row_bcast:15 row_mask:0xf bank_mask:0xf
	v_add_f32_e32 v2, v2, v3
	s_nop 1
	v_mov_b32_dpp v3, v2 row_bcast:31 row_mask:0xf bank_mask:0xf
	s_and_saveexec_b64 s[22:23], s[2:3]
	s_cbranch_execz .LBB389_13
; %bb.12:
	v_add_f32_e32 v2, v2, v3
	v_lshrrev_b32_e32 v3, 4, v0
	v_and_b32_e32 v3, 60, v3
	ds_write_b32 v3, v2 offset:8
.LBB389_13:
	s_or_b64 exec, exec, s[22:23]
	v_and_b32_e32 v2, 1, v0
	v_lshlrev_b32_e32 v18, 2, v2
	s_waitcnt lgkmcnt(0)
	s_barrier
	ds_read_b32 v2, v18 offset:8
	s_load_dwordx2 s[38:39], s[4:5], 0x18
	s_waitcnt lgkmcnt(0)
	v_mov_b32_dpp v3, v2 quad_perm:[1,0,3,2] row_mask:0xf bank_mask:0xf
	s_and_saveexec_b64 s[22:23], s[0:1]
	s_cbranch_execnz .LBB389_18
; %bb.14:
	s_or_b64 exec, exec, s[22:23]
	s_mov_b64 s[8:9], -1
	s_and_b64 vcc, exec, s[10:11]
	s_cbranch_vccnz .LBB389_19
.LBB389_15:
	s_andn2_b64 vcc, exec, s[8:9]
	s_cbranch_vccz .LBB389_22
.LBB389_16:
	s_cmp_lt_i32 s16, 1
	s_cbranch_scc0 .LBB389_29
.LBB389_17:
	s_endpgm
.LBB389_18:
	v_cvt_f32_u32_e32 v4, s7
	v_add_f32_e32 v2, v2, v3
	v_mov_b32_e32 v8, s13
	v_mov_b32_e32 v9, s12
	v_div_scale_f32 v3, s[28:29], v4, v4, v2
	v_rcp_f32_e32 v5, v3
	v_cndmask_b32_e64 v8, v8, v9, s[8:9]
	s_mov_b32 s7, 0x800000
	s_waitcnt vmcnt(0)
	v_cvt_f32_f16_sdwa v15, v26 dst_sel:DWORD dst_unused:UNUSED_PAD src0_sel:WORD_1
	v_fma_f32 v9, -v3, v5, 1.0
	v_fmac_f32_e32 v5, v9, v5
	v_div_scale_f32 v9, vcc, v2, v4, v2
	v_mul_f32_e32 v12, v9, v5
	v_fma_f32 v13, -v3, v12, v9
	v_fmac_f32_e32 v12, v13, v5
	v_fma_f32 v3, -v3, v12, v9
	v_div_fmas_f32 v3, v3, v5, v12
	v_div_fixup_f32 v2, v3, v4, v2
	v_add_f32_e32 v2, v8, v2
	v_mul_f32_e32 v3, 0x4b800000, v2
	v_cmp_gt_f32_e32 vcc, s7, v2
	v_cndmask_b32_e32 v2, v2, v3, vcc
	v_rsq_f32_e32 v2, v2
	v_cvt_f32_f16_sdwa v13, v25 dst_sel:DWORD dst_unused:UNUSED_PAD src0_sel:WORD_1
	v_cvt_f32_f16_e32 v12, v25
	v_cvt_f32_f16_e32 v14, v26
	v_mul_f32_e32 v3, 0x45800000, v2
	v_cndmask_b32_e32 v2, v2, v3, vcc
	v_mov_b32_e32 v3, v2
	;;#ASMSTART
	v_pk_mul_f32 v[4:5], v[16:17], v[2:3]
	;;#ASMEND
	;;#ASMSTART
	v_pk_mul_f32 v[8:9], v[10:11], v[2:3]
	;;#ASMEND
	;; [unrolled: 3-line block ×3, first 2 shown]
	v_cvt_f32_f16_sdwa v11, v24 dst_sel:DWORD dst_unused:UNUSED_PAD src0_sel:WORD_1
	v_cvt_f32_f16_e32 v10, v24
	;;#ASMSTART
	v_pk_mul_f32 v[2:3], v[32:33], v[2:3]
	;;#ASMEND
	v_cvt_f32_f16_sdwa v21, v27 dst_sel:DWORD dst_unused:UNUSED_PAD src0_sel:WORD_1
	v_cvt_f32_f16_e32 v20, v27
	;;#ASMSTART
	v_pk_mul_f32 v[16:17], v[4:5], v[10:11]
	;;#ASMEND
	;;#ASMSTART
	v_pk_mul_f32 v[10:11], v[8:9], v[12:13]
	;;#ASMEND
	;;#ASMSTART
	v_pk_mul_f32 v[6:7], v[6:7], v[14:15]
	;;#ASMEND
	;;#ASMSTART
	v_pk_mul_f32 v[32:33], v[2:3], v[20:21]
	;;#ASMEND
	s_or_b64 exec, exec, s[22:23]
	s_mov_b64 s[8:9], -1
	s_and_b64 vcc, exec, s[10:11]
	s_cbranch_vccz .LBB389_15
.LBB389_19:
	s_and_saveexec_b64 s[8:9], s[0:1]
	s_cbranch_execz .LBB389_21
; %bb.20:
	s_mul_hi_i32 s11, s34, s6
	s_mul_i32 s10, s34, s6
	v_cvt_f16_f32_e32 v2, v16
	v_cvt_f16_f32_e32 v3, v10
	v_cvt_f16_f32_e32 v4, v6
	v_cvt_f16_f32_e32 v5, v32
	v_cvt_f16_f32_e32 v8, v33
	v_cvt_f16_f32_e32 v9, v7
	v_cvt_f16_f32_e32 v12, v11
	v_cvt_f16_f32_e32 v13, v17
	s_lshl_b64 s[10:11], s[10:11], 1
	s_add_u32 s28, s38, s10
	s_addc_u32 s7, s39, s11
	s_and_b32 s29, s7, 0xffff
	s_mov_b32 s31, 0x20000
	v_pack_b32_f16 v5, v5, v8
	v_pack_b32_f16 v4, v4, v9
	;; [unrolled: 1-line block ×4, first 2 shown]
	v_lshlrev_b32_e32 v8, 4, v0
	buffer_store_dwordx4 v[2:5], v8, s[28:31], 0 offen
	;;#ASMSTART
	s_nop 0
	;;#ASMEND
.LBB389_21:
	s_or_b64 exec, exec, s[8:9]
	s_cbranch_execnz .LBB389_16
.LBB389_22:
	v_mov_b32_e32 v2, 0
	s_and_saveexec_b64 s[8:9], s[0:1]
	s_cbranch_execz .LBB389_24
; %bb.23:
	v_and_b32_e32 v2, 0x7fffffff, v16
	v_and_b32_e32 v3, 0x7fffffff, v17
	v_mov_b32_e32 v4, 0x2edbe6ff
	;;#ASMSTART
	v_max3_f32 v2, v4, v2, v3

	;;#ASMEND
	v_and_b32_e32 v3, 0x7fffffff, v10
	v_and_b32_e32 v4, 0x7fffffff, v11
	;;#ASMSTART
	v_max3_f32 v2, v2, v3, v4

	;;#ASMEND
	v_and_b32_e32 v3, 0x7fffffff, v6
	v_and_b32_e32 v4, 0x7fffffff, v7
	;; [unrolled: 6-line block ×3, first 2 shown]
	;;#ASMSTART
	v_max3_f32 v2, v2, v3, v4

	;;#ASMEND
.LBB389_24:
	s_or_b64 exec, exec, s[8:9]
	;;#ASMSTART
	v_max_f32 v3, v2, v2 quad_perm:[1,0,3,2] row_mask:0xf bank_mask:0xf bound_ctrl:1
	;;#ASMEND
	;;#ASMSTART
	v_max_f32 v2, v3, v3 quad_perm:[2,3,0,1] row_mask:0xf bank_mask:0xf bound_ctrl:1
	;;#ASMEND
	;;#ASMSTART
	v_max_f32 v3, v2, v2 row_half_mirror row_mask:0xf bank_mask:0xf bound_ctrl:1
	;;#ASMEND
	v_mul_f32_e32 v2, 0x3b124925, v3
	v_and_b32_e32 v3, 7, v0
	v_cmp_eq_u32_e32 vcc, 0, v3
	v_cmp_gt_i32_e64 s[8:9], s15, v1
	s_and_b64 s[10:11], vcc, s[8:9]
	s_and_saveexec_b64 s[8:9], s[10:11]
	s_cbranch_execz .LBB389_26
; %bb.25:
	s_load_dwordx2 s[10:11], s[4:5], 0x8
	s_mul_hi_i32 s23, s25, s6
	s_mul_i32 s22, s25, s6
	v_lshrrev_b32_e32 v3, 3, v0
	s_lshl_b64 s[22:23], s[22:23], 2
	v_mad_i64_i32 v[4:5], s[26:27], s26, v3, 0
	s_waitcnt lgkmcnt(0)
	s_add_u32 s7, s10, s22
	s_addc_u32 s10, s11, s23
	v_lshlrev_b64 v[4:5], 2, v[4:5]
	v_mov_b32_e32 v3, s10
	v_add_co_u32_e32 v4, vcc, s7, v4
	v_addc_co_u32_e32 v5, vcc, v3, v5, vcc
	global_store_dword v[4:5], v2, off
.LBB389_26:
	s_or_b64 exec, exec, s[8:9]
	;;#ASMSTART
	v_rcp_f32 v2, v2
	;;#ASMEND
	s_and_saveexec_b64 s[22:23], s[0:1]
	s_cbranch_execz .LBB389_28
; %bb.27:
	s_load_dwordx2 s[0:1], s[4:5], 0x0
	s_mul_i32 s8, s24, s6
	v_mov_b32_e32 v3, v2
	;;#ASMSTART
	v_pk_mul_f32 v[4:5], v[16:17], v[2:3]
	;;#ASMEND
	s_mul_hi_i32 s7, s24, s6
	s_waitcnt lgkmcnt(0)
	s_add_u32 s8, s0, s8
	v_mov_b32_e32 v8, 0xc3e00000
	v_mov_b32_e32 v9, 0x43e00000
	;;#ASMSTART
	v_med3_f32 v4, v4, v8, v9
v_med3_f32 v5, v5, v8, v9
v_cvt_pk_fp8_f32 v12, v4, v5
	;;#ASMEND
	s_addc_u32 s0, s1, s7
	;;#ASMSTART
	v_pk_mul_f32 v[4:5], v[10:11], v[2:3]
	;;#ASMEND
	s_and_b32 s9, s0, 0xffff
	;;#ASMSTART
	v_med3_f32 v4, v4, v8, v9
v_med3_f32 v5, v5, v8, v9
v_cvt_pk_fp8_f32 v10, v4, v5
	;;#ASMEND
	s_mov_b32 s0, 0x5040100
	v_perm_b32 v5, v10, v12, s0
	s_movk_i32 s0, 0xff
	v_and_b32_e32 v4, 0xffffff00, v10
	v_and_b32_sdwa v10, v5, s0 dst_sel:DWORD dst_unused:UNUSED_PAD src0_sel:WORD_1 src1_sel:DWORD
	s_mov_b32 s12, 0xffff
	v_or_b32_sdwa v4, v10, v4 dst_sel:WORD_1 dst_unused:UNUSED_PAD src0_sel:DWORD src1_sel:DWORD
	s_add_i32 s1, s15, 3
	v_and_or_b32 v4, v5, s12, v4
	;;#ASMSTART
	v_pk_mul_f32 v[6:7], v[6:7], v[2:3]
	;;#ASMEND
	v_mov_b32_e32 v5, v6
	s_ashr_i32 s7, s1, 31
	;;#ASMSTART
	v_med3_f32 v5, v5, v8, v9
v_med3_f32 v7, v7, v8, v9
v_cvt_pk_fp8_f32 v6, v5, v7
	;;#ASMEND
	;;#ASMSTART
	v_pk_mul_f32 v[2:3], v[32:33], v[2:3]
	;;#ASMEND
	s_lshr_b32 s7, s7, 30
	;;#ASMSTART
	v_med3_f32 v2, v2, v8, v9
v_med3_f32 v3, v3, v8, v9
v_cvt_pk_fp8_f32 v5, v2, v3
	;;#ASMEND
	s_add_i32 s1, s1, s7
	v_lshlrev_b32_e32 v2, 16, v5
	s_and_b32 s10, s1, -4
	s_mov_b32 s11, 0x20000
	v_and_or_b32 v5, v6, s12, v2
	buffer_store_dwordx2 v[4:5], v1, s[8:11], 0 offen
	;;#ASMSTART
	s_nop 0
	;;#ASMEND
.LBB389_28:
	s_or_b64 exec, exec, s[22:23]
	s_cmp_lt_i32 s16, 1
	s_cbranch_scc1 .LBB389_17
.LBB389_29:
	s_load_dword s0, s[4:5], 0x94
	s_waitcnt lgkmcnt(0)
	s_cmp_lg_u32 s0, 1
	s_cbranch_scc1 .LBB389_17
; %bb.30:
	s_lshl_b32 s0, s16, 1
	s_add_i32 s0, s0, 2
	v_cmp_gt_u32_e32 vcc, s16, v1
	s_and_b32 s22, s0, -4
	v_mov_b32_e32 v10, 0
	v_lshlrev_b32_e32 v1, 4, v0
	v_mov_b32_e32 v6, 0
	v_mov_b32_e32 v7, 0
	;; [unrolled: 1-line block ×8, first 2 shown]
	s_barrier
	s_and_saveexec_b64 s[0:1], vcc
	s_cbranch_execz .LBB389_32
; %bb.31:
	s_mul_hi_i32 s5, s18, s6
	s_mul_i32 s4, s18, s6
	s_and_b32 s21, s21, 0xffff
	s_lshl_b64 s[4:5], s[4:5], 1
	s_add_u32 s8, s36, s4
	s_mov_b32 s23, 0x20000
	s_addc_u32 s4, s37, s5
	s_and_b32 s9, s4, 0xffff
	s_mov_b32 s10, s22
	s_mov_b32 s11, s23
	buffer_load_dwordx4 v[6:9], v1, s[8:11], 0 offen glc slc
	buffer_load_dwordx4 v[2:5], v1, s[20:23], 0 offen
.LBB389_32:
	s_or_b64 exec, exec, s[0:1]
	v_mov_b32_e32 v11, 0
	v_mov_b32_e32 v16, 0
	;; [unrolled: 1-line block ×7, first 2 shown]
	s_and_saveexec_b64 s[0:1], vcc
	s_cbranch_execz .LBB389_34
; %bb.33:
	s_waitcnt vmcnt(1)
	v_cvt_f32_f16_sdwa v11, v6 dst_sel:DWORD dst_unused:UNUSED_PAD src0_sel:WORD_1
	v_cvt_f32_f16_e32 v10, v6
	v_cvt_f32_f16_sdwa v17, v7 dst_sel:DWORD dst_unused:UNUSED_PAD src0_sel:WORD_1
	v_cvt_f32_f16_e32 v16, v7
	;; [unrolled: 2-line block ×4, first 2 shown]
.LBB389_34:
	s_or_b64 exec, exec, s[0:1]
	s_waitcnt vmcnt(1)
	v_mul_f32_e32 v6, v11, v11
	v_fmac_f32_e32 v6, v10, v10
	v_fmac_f32_e32 v6, v16, v16
	v_fmac_f32_e32 v6, v17, v17
	v_fmac_f32_e32 v6, v14, v14
	v_fmac_f32_e32 v6, v15, v15
	v_fmac_f32_e32 v6, v12, v12
	v_fmac_f32_e32 v6, v13, v13
	s_nop 1
	v_mov_b32_dpp v7, v6 quad_perm:[1,0,3,2] row_mask:0xf bank_mask:0xf
	v_add_f32_e32 v6, v6, v7
	s_nop 1
	v_mov_b32_dpp v7, v6 quad_perm:[2,3,0,1] row_mask:0xf bank_mask:0xf
	v_add_f32_e32 v6, v6, v7
	s_nop 1
	v_mov_b32_dpp v7, v6 row_half_mirror row_mask:0xf bank_mask:0xf
	v_add_f32_e32 v6, v6, v7
	s_nop 1
	v_mov_b32_dpp v7, v6 row_mirror row_mask:0xf bank_mask:0xf
	v_add_f32_e32 v6, v6, v7
	s_nop 1
	v_mov_b32_dpp v7, v6 row_bcast:15 row_mask:0xf bank_mask:0xf
	v_add_f32_e32 v6, v6, v7
	s_nop 1
	v_mov_b32_dpp v7, v6 row_bcast:31 row_mask:0xf bank_mask:0xf
	s_and_saveexec_b64 s[0:1], s[2:3]
	s_cbranch_execz .LBB389_36
; %bb.35:
	v_lshrrev_b32_e32 v0, 4, v0
	v_add_f32_e32 v6, v6, v7
	v_and_b32_e32 v0, 60, v0
	ds_write_b32 v0, v6
.LBB389_36:
	s_or_b64 exec, exec, s[0:1]
	s_waitcnt lgkmcnt(0)
	s_barrier
	ds_read_b32 v0, v18
	s_waitcnt lgkmcnt(0)
	s_nop 0
	v_mov_b32_dpp v6, v0 quad_perm:[1,0,3,2] row_mask:0xf bank_mask:0xf
	s_and_saveexec_b64 s[0:1], vcc
	s_cbranch_execz .LBB389_17
; %bb.37:
	v_cvt_f32_u32_e32 v7, s16
	v_add_f32_e32 v0, v0, v6
	s_mov_b32 s23, 0x20000
	v_div_scale_f32 v6, s[0:1], v7, v7, v0
	v_rcp_f32_e32 v8, v6
	v_div_scale_f32 v9, vcc, v0, v7, v0
	s_mov_b32 s0, 0x800000
	v_fma_f32 v18, -v6, v8, 1.0
	v_fmac_f32_e32 v8, v18, v8
	v_mul_f32_e32 v18, v9, v8
	v_fma_f32 v19, -v6, v18, v9
	v_fmac_f32_e32 v18, v19, v8
	v_fma_f32 v6, -v6, v18, v9
	v_div_fmas_f32 v6, v6, v8, v18
	v_div_fixup_f32 v0, v6, v7, v0
	v_add_f32_e32 v0, s13, v0
	v_mul_f32_e32 v6, 0x4b800000, v0
	v_cmp_gt_f32_e32 vcc, s0, v0
	v_cndmask_b32_e32 v0, v0, v6, vcc
	v_rsq_f32_e32 v0, v0
	s_waitcnt vmcnt(0)
	v_cvt_f32_f16_sdwa v19, v5 dst_sel:DWORD dst_unused:UNUSED_PAD src0_sel:WORD_1
	v_cvt_f32_f16_e32 v18, v5
	s_mul_hi_i32 s1, s34, s6
	v_mul_f32_e32 v6, 0x45800000, v0
	v_cndmask_b32_e32 v6, v0, v6, vcc
	v_mov_b32_e32 v7, v6
	;;#ASMSTART
	v_pk_mul_f32 v[8:9], v[10:11], v[6:7]
	;;#ASMEND
	;;#ASMSTART
	v_pk_mul_f32 v[10:11], v[16:17], v[6:7]
	;;#ASMEND
	;; [unrolled: 3-line block ×4, first 2 shown]
	v_cvt_f32_f16_sdwa v13, v2 dst_sel:DWORD dst_unused:UNUSED_PAD src0_sel:WORD_1
	v_cvt_f32_f16_e32 v12, v2
	v_cvt_f32_f16_sdwa v17, v3 dst_sel:DWORD dst_unused:UNUSED_PAD src0_sel:WORD_1
	v_cvt_f32_f16_e32 v16, v3
	;; [unrolled: 2-line block ×3, first 2 shown]
	;;#ASMSTART
	v_pk_mul_f32 v[4:5], v[8:9], v[12:13]
	;;#ASMEND
	;;#ASMSTART
	v_pk_mul_f32 v[8:9], v[10:11], v[16:17]
	;;#ASMEND
	;; [unrolled: 3-line block ×4, first 2 shown]
	s_mul_i32 s0, s34, s6
	v_cvt_f16_f32_e32 v0, v4
	v_cvt_f16_f32_e32 v4, v5
	;; [unrolled: 1-line block ×8, first 2 shown]
	s_lshl_b64 s[0:1], s[0:1], 1
	s_add_u32 s20, s38, s0
	s_addc_u32 s0, s39, s1
	s_and_b32 s21, s0, 0xffff
	v_pack_b32_f16 v2, v0, v4
	v_pack_b32_f16 v3, v5, v8
	;; [unrolled: 1-line block ×4, first 2 shown]
	buffer_store_dwordx4 v[2:5], v1, s[20:23], 0 offen
	;;#ASMSTART
	s_nop 0
	;;#ASMEND
	s_endpgm
	.section	.rodata,"a",@progbits
	.p2align	6, 0x0
	.amdhsa_kernel _ZN5aiter35fused_qk_rmsnorm_group_quant_kernelIDF16_DB8_Li128ELi8ELi8ELb1ELb0ELb0ELb0ELb0ELb0EEEvPT0_PvPT_S6_S6_PKS5_S8_S8_S8_S8_ffiiiiiiiiiiiii
		.amdhsa_group_segment_fixed_size 16
		.amdhsa_private_segment_fixed_size 0
		.amdhsa_kernarg_size 400
		.amdhsa_user_sgpr_count 6
		.amdhsa_user_sgpr_private_segment_buffer 1
		.amdhsa_user_sgpr_dispatch_ptr 0
		.amdhsa_user_sgpr_queue_ptr 0
		.amdhsa_user_sgpr_kernarg_segment_ptr 1
		.amdhsa_user_sgpr_dispatch_id 0
		.amdhsa_user_sgpr_flat_scratch_init 0
		.amdhsa_user_sgpr_kernarg_preload_length 0
		.amdhsa_user_sgpr_kernarg_preload_offset 0
		.amdhsa_user_sgpr_private_segment_size 0
		.amdhsa_uses_dynamic_stack 0
		.amdhsa_system_sgpr_private_segment_wavefront_offset 0
		.amdhsa_system_sgpr_workgroup_id_x 1
		.amdhsa_system_sgpr_workgroup_id_y 1
		.amdhsa_system_sgpr_workgroup_id_z 0
		.amdhsa_system_sgpr_workgroup_info 0
		.amdhsa_system_vgpr_workitem_id 0
		.amdhsa_next_free_vgpr 34
		.amdhsa_next_free_sgpr 44
		.amdhsa_accum_offset 36
		.amdhsa_reserve_vcc 1
		.amdhsa_reserve_flat_scratch 0
		.amdhsa_float_round_mode_32 0
		.amdhsa_float_round_mode_16_64 0
		.amdhsa_float_denorm_mode_32 3
		.amdhsa_float_denorm_mode_16_64 3
		.amdhsa_dx10_clamp 1
		.amdhsa_ieee_mode 1
		.amdhsa_fp16_overflow 0
		.amdhsa_tg_split 0
		.amdhsa_exception_fp_ieee_invalid_op 0
		.amdhsa_exception_fp_denorm_src 0
		.amdhsa_exception_fp_ieee_div_zero 0
		.amdhsa_exception_fp_ieee_overflow 0
		.amdhsa_exception_fp_ieee_underflow 0
		.amdhsa_exception_fp_ieee_inexact 0
		.amdhsa_exception_int_div_zero 0
	.end_amdhsa_kernel
	.section	.text._ZN5aiter35fused_qk_rmsnorm_group_quant_kernelIDF16_DB8_Li128ELi8ELi8ELb1ELb0ELb0ELb0ELb0ELb0EEEvPT0_PvPT_S6_S6_PKS5_S8_S8_S8_S8_ffiiiiiiiiiiiii,"axG",@progbits,_ZN5aiter35fused_qk_rmsnorm_group_quant_kernelIDF16_DB8_Li128ELi8ELi8ELb1ELb0ELb0ELb0ELb0ELb0EEEvPT0_PvPT_S6_S6_PKS5_S8_S8_S8_S8_ffiiiiiiiiiiiii,comdat
.Lfunc_end389:
	.size	_ZN5aiter35fused_qk_rmsnorm_group_quant_kernelIDF16_DB8_Li128ELi8ELi8ELb1ELb0ELb0ELb0ELb0ELb0EEEvPT0_PvPT_S6_S6_PKS5_S8_S8_S8_S8_ffiiiiiiiiiiiii, .Lfunc_end389-_ZN5aiter35fused_qk_rmsnorm_group_quant_kernelIDF16_DB8_Li128ELi8ELi8ELb1ELb0ELb0ELb0ELb0ELb0EEEvPT0_PvPT_S6_S6_PKS5_S8_S8_S8_S8_ffiiiiiiiiiiiii
                                        ; -- End function
	.section	.AMDGPU.csdata,"",@progbits
; Kernel info:
; codeLenInByte = 2812
; NumSgprs: 48
; NumVgprs: 34
; NumAgprs: 0
; TotalNumVgprs: 34
; ScratchSize: 0
; MemoryBound: 0
; FloatMode: 240
; IeeeMode: 1
; LDSByteSize: 16 bytes/workgroup (compile time only)
; SGPRBlocks: 5
; VGPRBlocks: 4
; NumSGPRsForWavesPerEU: 48
; NumVGPRsForWavesPerEU: 34
; AccumOffset: 36
; Occupancy: 8
; WaveLimiterHint : 0
; COMPUTE_PGM_RSRC2:SCRATCH_EN: 0
; COMPUTE_PGM_RSRC2:USER_SGPR: 6
; COMPUTE_PGM_RSRC2:TRAP_HANDLER: 0
; COMPUTE_PGM_RSRC2:TGID_X_EN: 1
; COMPUTE_PGM_RSRC2:TGID_Y_EN: 1
; COMPUTE_PGM_RSRC2:TGID_Z_EN: 0
; COMPUTE_PGM_RSRC2:TIDIG_COMP_CNT: 0
; COMPUTE_PGM_RSRC3_GFX90A:ACCUM_OFFSET: 8
; COMPUTE_PGM_RSRC3_GFX90A:TG_SPLIT: 0
	.section	.text._ZN5aiter35fused_qk_rmsnorm_group_quant_kernelItDB8_Li128ELi8ELi8ELb1ELb0ELb0ELb0ELb0ELb0EEEvPT0_PvPT_S6_S6_PKS5_S8_S8_S8_S8_ffiiiiiiiiiiiii,"axG",@progbits,_ZN5aiter35fused_qk_rmsnorm_group_quant_kernelItDB8_Li128ELi8ELi8ELb1ELb0ELb0ELb0ELb0ELb0EEEvPT0_PvPT_S6_S6_PKS5_S8_S8_S8_S8_ffiiiiiiiiiiiii,comdat
	.protected	_ZN5aiter35fused_qk_rmsnorm_group_quant_kernelItDB8_Li128ELi8ELi8ELb1ELb0ELb0ELb0ELb0ELb0EEEvPT0_PvPT_S6_S6_PKS5_S8_S8_S8_S8_ffiiiiiiiiiiiii ; -- Begin function _ZN5aiter35fused_qk_rmsnorm_group_quant_kernelItDB8_Li128ELi8ELi8ELb1ELb0ELb0ELb0ELb0ELb0EEEvPT0_PvPT_S6_S6_PKS5_S8_S8_S8_S8_ffiiiiiiiiiiiii
	.globl	_ZN5aiter35fused_qk_rmsnorm_group_quant_kernelItDB8_Li128ELi8ELi8ELb1ELb0ELb0ELb0ELb0ELb0EEEvPT0_PvPT_S6_S6_PKS5_S8_S8_S8_S8_ffiiiiiiiiiiiii
	.p2align	8
	.type	_ZN5aiter35fused_qk_rmsnorm_group_quant_kernelItDB8_Li128ELi8ELi8ELb1ELb0ELb0ELb0ELb0ELb0EEEvPT0_PvPT_S6_S6_PKS5_S8_S8_S8_S8_ffiiiiiiiiiiiii,@function
_ZN5aiter35fused_qk_rmsnorm_group_quant_kernelItDB8_Li128ELi8ELi8ELb1ELb0ELb0ELb0ELb0ELb0EEEvPT0_PvPT_S6_S6_PKS5_S8_S8_S8_S8_ffiiiiiiiiiiiii: ; @_ZN5aiter35fused_qk_rmsnorm_group_quant_kernelItDB8_Li128ELi8ELi8ELb1ELb0ELb0ELb0ELb0ELb0EEEvPT0_PvPT_S6_S6_PKS5_S8_S8_S8_S8_ffiiiiiiiiiiiii
; %bb.0:
	s_load_dwordx8 s[12:19], s[4:5], 0x50
	s_waitcnt lgkmcnt(0)
	s_cmp_ge_i32 s6, s14
	s_cbranch_scc1 .LBB390_17
; %bb.1:
	s_cmp_lg_u32 s7, 0
	s_cselect_b64 s[10:11], -1, 0
	s_cmp_eq_u32 s7, 0
	s_cselect_b64 s[8:9], -1, 0
	s_and_b64 s[0:1], s[8:9], exec
	s_load_dwordx2 s[20:21], s[4:5], 0x48
	s_load_dwordx2 s[36:37], s[4:5], 0x30
	s_load_dwordx4 s[24:27], s[4:5], 0x70
	s_cselect_b32 s7, s15, s16
	s_add_i32 s0, s7, 1
	s_lshr_b32 s1, s0, 31
	s_add_i32 s0, s0, s1
	s_lshl_b32 s0, s0, 1
	v_lshlrev_b32_e32 v1, 3, v0
	s_and_b32 s30, s0, -4
	v_cmp_gt_i32_e64 s[0:1], s7, v1
	v_mov_b32_e32 v10, 0
	v_mov_b32_e32 v11, 0
	;; [unrolled: 1-line block ×8, first 2 shown]
	s_and_saveexec_b64 s[2:3], s[0:1]
	s_cbranch_execz .LBB390_3
; %bb.2:
	s_load_dwordx2 s[22:23], s[4:5], 0x28
	s_load_dwordx2 s[28:29], s[4:5], 0x40
	s_and_b64 s[34:35], s[8:9], exec
	s_cselect_b32 s14, s17, s18
	s_mov_b32 s31, 0x20000
	s_waitcnt lgkmcnt(0)
	s_cselect_b32 s17, s23, s37
	s_cselect_b32 s27, s22, s36
	s_mul_hi_i32 s23, s14, s6
	s_mul_i32 s22, s14, s6
	s_lshl_b64 s[22:23], s[22:23], 1
	s_add_u32 s40, s27, s22
	s_addc_u32 s14, s17, s23
	s_and_b64 s[22:23], s[8:9], exec
	s_cselect_b32 s28, s28, s20
	s_cselect_b32 s17, s29, s21
	v_lshlrev_b32_e32 v2, 4, v0
	s_and_b32 s41, s14, 0xffff
	s_mov_b32 s42, s30
	s_mov_b32 s43, s31
	s_and_b32 s29, s17, 0xffff
	buffer_load_dwordx4 v[14:17], v2, s[40:43], 0 offen glc slc
	buffer_load_dwordx4 v[10:13], v2, s[28:31], 0 offen
.LBB390_3:
	s_or_b64 exec, exec, s[2:3]
	s_load_dwordx2 s[34:35], s[4:5], 0x80
	s_and_b64 vcc, exec, s[10:11]
	s_cbranch_vccz .LBB390_7
; %bb.4:
	s_mov_b32 s40, 0
	s_mov_b32 s41, s40
	;; [unrolled: 1-line block ×8, first 2 shown]
	v_pk_mov_b32 v[2:3], s[40:41], s[40:41] op_sel:[0,1]
	v_pk_mov_b32 v[4:5], s[42:43], s[42:43] op_sel:[0,1]
	;; [unrolled: 1-line block ×4, first 2 shown]
	s_and_saveexec_b64 s[2:3], s[0:1]
	s_cbranch_execz .LBB390_6
; %bb.5:
	s_waitcnt vmcnt(1)
	v_cvt_f32_u32_sdwa v3, v14 dst_sel:DWORD dst_unused:UNUSED_PAD src0_sel:WORD_1
	v_cvt_f32_u32_sdwa v2, v14 dst_sel:DWORD dst_unused:UNUSED_PAD src0_sel:WORD_0
	v_cvt_f32_u32_sdwa v5, v15 dst_sel:DWORD dst_unused:UNUSED_PAD src0_sel:WORD_1
	v_cvt_f32_u32_sdwa v4, v15 dst_sel:DWORD dst_unused:UNUSED_PAD src0_sel:WORD_0
	;; [unrolled: 2-line block ×4, first 2 shown]
.LBB390_6:
	s_or_b64 exec, exec, s[2:3]
	s_cbranch_execz .LBB390_8
	s_branch .LBB390_11
.LBB390_7:
                                        ; implicit-def: $vgpr2_vgpr3_vgpr4_vgpr5_vgpr6_vgpr7_vgpr8_vgpr9
.LBB390_8:
	s_mov_b32 s40, 0
	s_mov_b32 s41, s40
	;; [unrolled: 1-line block ×8, first 2 shown]
	v_pk_mov_b32 v[2:3], s[40:41], s[40:41] op_sel:[0,1]
	v_pk_mov_b32 v[4:5], s[42:43], s[42:43] op_sel:[0,1]
	;; [unrolled: 1-line block ×4, first 2 shown]
	s_and_saveexec_b64 s[2:3], s[0:1]
	s_cbranch_execz .LBB390_10
; %bb.9:
	s_load_dwordx2 s[22:23], s[4:5], 0x38
	s_mul_hi_i32 s29, s19, s6
	s_mul_i32 s28, s19, s6
	s_lshl_b64 s[28:29], s[28:29], 1
	s_mov_b32 s31, 0x20000
	s_waitcnt lgkmcnt(0)
	s_add_u32 s28, s22, s28
	s_addc_u32 s14, s23, s29
	s_and_b32 s29, s14, 0xffff
	v_lshlrev_b32_e32 v26, 4, v0
	buffer_load_dwordx4 v[2:5], v26, s[28:31], 0 offen glc slc
	s_load_dwordx2 s[22:23], s[4:5], 0x20
	s_waitcnt vmcnt(2)
	v_cvt_f32_u32_sdwa v7, v14 dst_sel:DWORD dst_unused:UNUSED_PAD src0_sel:WORD_1
	v_cvt_f32_u32_sdwa v6, v14 dst_sel:DWORD dst_unused:UNUSED_PAD src0_sel:WORD_0
	v_cvt_f32_u32_sdwa v9, v15 dst_sel:DWORD dst_unused:UNUSED_PAD src0_sel:WORD_1
	v_cvt_f32_u32_sdwa v8, v15 dst_sel:DWORD dst_unused:UNUSED_PAD src0_sel:WORD_0
	;; [unrolled: 2-line block ×4, first 2 shown]
	s_mul_hi_i32 s29, s35, s6
	s_mul_i32 s28, s35, s6
	s_lshl_b64 s[28:29], s[28:29], 1
	s_waitcnt lgkmcnt(0)
	s_add_u32 s28, s22, s28
	s_mov_b32 s14, 0x7060302
	s_addc_u32 s17, s23, s29
	s_and_b32 s29, s17, 0xffff
	s_waitcnt vmcnt(0)
	v_cvt_f32_u32_sdwa v17, v2 dst_sel:DWORD dst_unused:UNUSED_PAD src0_sel:WORD_1
	v_cvt_f32_u32_sdwa v16, v2 dst_sel:DWORD dst_unused:UNUSED_PAD src0_sel:WORD_0
	v_cvt_f32_u32_sdwa v21, v3 dst_sel:DWORD dst_unused:UNUSED_PAD src0_sel:WORD_1
	v_cvt_f32_u32_sdwa v20, v3 dst_sel:DWORD dst_unused:UNUSED_PAD src0_sel:WORD_0
	;; [unrolled: 2-line block ×4, first 2 shown]
	v_pk_add_f32 v[2:3], v[6:7], v[16:17]
	v_pk_add_f32 v[4:5], v[8:9], v[20:21]
	;; [unrolled: 1-line block ×4, first 2 shown]
	v_perm_b32 v17, v9, v8, s14
	v_perm_b32 v16, v7, v6, s14
	;; [unrolled: 1-line block ×4, first 2 shown]
	buffer_store_dwordx4 v[14:17], v26, s[28:31], 0 offen glc slc
	;;#ASMSTART
	s_nop 0
	;;#ASMEND
.LBB390_10:
	s_or_b64 exec, exec, s[2:3]
.LBB390_11:
	s_waitcnt vmcnt(1)
	v_mul_f32_e32 v14, v3, v3
	v_fmac_f32_e32 v14, v2, v2
	v_fmac_f32_e32 v14, v4, v4
	;; [unrolled: 1-line block ×7, first 2 shown]
	v_and_b32_e32 v16, 63, v0
	v_cmp_eq_u32_e64 s[2:3], 63, v16
	v_mov_b32_dpp v15, v14 quad_perm:[1,0,3,2] row_mask:0xf bank_mask:0xf
	v_add_f32_e32 v14, v14, v15
	s_nop 1
	v_mov_b32_dpp v15, v14 quad_perm:[2,3,0,1] row_mask:0xf bank_mask:0xf
	v_add_f32_e32 v14, v14, v15
	s_nop 1
	v_mov_b32_dpp v15, v14 row_half_mirror row_mask:0xf bank_mask:0xf
	v_add_f32_e32 v14, v14, v15
	s_nop 1
	v_mov_b32_dpp v15, v14 row_mirror row_mask:0xf bank_mask:0xf
	v_add_f32_e32 v14, v14, v15
	s_nop 1
	v_mov_b32_dpp v15, v14 row_bcast:15 row_mask:0xf bank_mask:0xf
	v_add_f32_e32 v14, v14, v15
	s_nop 1
	v_mov_b32_dpp v15, v14 row_bcast:31 row_mask:0xf bank_mask:0xf
	s_and_saveexec_b64 s[22:23], s[2:3]
	s_cbranch_execz .LBB390_13
; %bb.12:
	v_add_f32_e32 v14, v14, v15
	v_lshrrev_b32_e32 v15, 4, v0
	v_and_b32_e32 v15, 60, v15
	ds_write_b32 v15, v14 offset:8
.LBB390_13:
	s_or_b64 exec, exec, s[22:23]
	v_and_b32_e32 v14, 1, v0
	v_lshlrev_b32_e32 v14, 2, v14
	s_waitcnt lgkmcnt(0)
	s_barrier
	ds_read_b32 v15, v14 offset:8
	s_load_dwordx2 s[38:39], s[4:5], 0x18
	s_waitcnt lgkmcnt(0)
	v_mov_b32_dpp v16, v15 quad_perm:[1,0,3,2] row_mask:0xf bank_mask:0xf
	s_and_saveexec_b64 s[22:23], s[0:1]
	s_cbranch_execnz .LBB390_18
; %bb.14:
	s_or_b64 exec, exec, s[22:23]
	s_mov_b64 s[8:9], -1
	s_and_b64 vcc, exec, s[10:11]
	s_cbranch_vccnz .LBB390_19
.LBB390_15:
	s_andn2_b64 vcc, exec, s[8:9]
	s_cbranch_vccz .LBB390_22
.LBB390_16:
	s_cmp_lt_i32 s16, 1
	s_cbranch_scc0 .LBB390_29
.LBB390_17:
	s_endpgm
.LBB390_18:
	v_cvt_f32_u32_e32 v17, s7
	v_add_f32_e32 v15, v15, v16
	v_mov_b32_e32 v19, s13
	v_mov_b32_e32 v20, s12
	v_div_scale_f32 v16, s[28:29], v17, v17, v15
	v_rcp_f32_e32 v18, v16
	v_cndmask_b32_e64 v19, v19, v20, s[8:9]
	s_mov_b32 s7, 0x800000
	v_fma_f32 v20, -v16, v18, 1.0
	v_fmac_f32_e32 v18, v20, v18
	v_div_scale_f32 v20, vcc, v15, v17, v15
	v_mul_f32_e32 v21, v20, v18
	v_fma_f32 v22, -v16, v21, v20
	v_fmac_f32_e32 v21, v22, v18
	v_fma_f32 v16, -v16, v21, v20
	v_div_fmas_f32 v16, v16, v18, v21
	v_div_fixup_f32 v15, v16, v17, v15
	v_add_f32_e32 v15, v19, v15
	v_mul_f32_e32 v16, 0x4b800000, v15
	v_cmp_gt_f32_e32 vcc, s7, v15
	v_cndmask_b32_e32 v15, v15, v16, vcc
	v_rsq_f32_e32 v15, v15
	s_waitcnt vmcnt(0)
	v_cvt_f32_u32_sdwa v19, v11 dst_sel:DWORD dst_unused:UNUSED_PAD src0_sel:WORD_1
	v_cvt_f32_u32_sdwa v18, v11 dst_sel:DWORD dst_unused:UNUSED_PAD src0_sel:WORD_0
	v_cvt_f32_u32_sdwa v11, v12 dst_sel:DWORD dst_unused:UNUSED_PAD src0_sel:WORD_1
	v_mul_f32_e32 v16, 0x45800000, v15
	v_cndmask_b32_e32 v16, v15, v16, vcc
	v_mov_b32_e32 v17, v16
	;;#ASMSTART
	v_pk_mul_f32 v[2:3], v[2:3], v[16:17]
	;;#ASMEND
	;;#ASMSTART
	v_pk_mul_f32 v[4:5], v[4:5], v[16:17]
	;;#ASMEND
	;; [unrolled: 3-line block ×4, first 2 shown]
	v_cvt_f32_u32_sdwa v17, v10 dst_sel:DWORD dst_unused:UNUSED_PAD src0_sel:WORD_1
	v_cvt_f32_u32_sdwa v16, v10 dst_sel:DWORD dst_unused:UNUSED_PAD src0_sel:WORD_0
	v_cvt_f32_u32_sdwa v10, v12 dst_sel:DWORD dst_unused:UNUSED_PAD src0_sel:WORD_0
	v_cvt_f32_u32_sdwa v21, v13 dst_sel:DWORD dst_unused:UNUSED_PAD src0_sel:WORD_1
	v_cvt_f32_u32_sdwa v20, v13 dst_sel:DWORD dst_unused:UNUSED_PAD src0_sel:WORD_0
	;;#ASMSTART
	v_pk_mul_f32 v[2:3], v[2:3], v[16:17]
	;;#ASMEND
	;;#ASMSTART
	v_pk_mul_f32 v[4:5], v[4:5], v[18:19]
	;;#ASMEND
	;; [unrolled: 3-line block ×4, first 2 shown]
	s_or_b64 exec, exec, s[22:23]
	s_mov_b64 s[8:9], -1
	s_and_b64 vcc, exec, s[10:11]
	s_cbranch_vccz .LBB390_15
.LBB390_19:
	s_and_saveexec_b64 s[8:9], s[0:1]
	s_cbranch_execz .LBB390_21
; %bb.20:
	s_mul_hi_i32 s11, s34, s6
	s_mul_i32 s10, s34, s6
	s_lshl_b64 s[10:11], s[10:11], 1
	s_add_u32 s28, s38, s10
	s_addc_u32 s7, s39, s11
	s_and_b32 s29, s7, 0xffff
	s_mov_b32 s7, 0x7060302
	s_mov_b32 s31, 0x20000
	s_waitcnt vmcnt(0)
	v_perm_b32 v10, v3, v2, s7
	v_perm_b32 v11, v5, v4, s7
	v_perm_b32 v12, v7, v6, s7
	v_perm_b32 v13, v9, v8, s7
	v_lshlrev_b32_e32 v15, 4, v0
	buffer_store_dwordx4 v[10:13], v15, s[28:31], 0 offen
	;;#ASMSTART
	s_nop 0
	;;#ASMEND
.LBB390_21:
	s_or_b64 exec, exec, s[8:9]
	s_cbranch_execnz .LBB390_16
.LBB390_22:
	s_waitcnt vmcnt(0)
	v_mov_b32_e32 v10, 0
	s_and_saveexec_b64 s[8:9], s[0:1]
	s_cbranch_execz .LBB390_24
; %bb.23:
	v_and_b32_e32 v10, 0x7fffffff, v2
	v_and_b32_e32 v11, 0x7fffffff, v3
	v_mov_b32_e32 v12, 0x2edbe6ff
	;;#ASMSTART
	v_max3_f32 v10, v12, v10, v11

	;;#ASMEND
	v_and_b32_e32 v11, 0x7fffffff, v4
	v_and_b32_e32 v12, 0x7fffffff, v5
	;;#ASMSTART
	v_max3_f32 v10, v10, v11, v12

	;;#ASMEND
	v_and_b32_e32 v11, 0x7fffffff, v6
	v_and_b32_e32 v12, 0x7fffffff, v7
	;; [unrolled: 6-line block ×3, first 2 shown]
	;;#ASMSTART
	v_max3_f32 v10, v10, v11, v12

	;;#ASMEND
.LBB390_24:
	s_or_b64 exec, exec, s[8:9]
	;;#ASMSTART
	v_max_f32 v11, v10, v10 quad_perm:[1,0,3,2] row_mask:0xf bank_mask:0xf bound_ctrl:1
	;;#ASMEND
	;;#ASMSTART
	v_max_f32 v10, v11, v11 quad_perm:[2,3,0,1] row_mask:0xf bank_mask:0xf bound_ctrl:1
	;;#ASMEND
	;;#ASMSTART
	v_max_f32 v11, v10, v10 row_half_mirror row_mask:0xf bank_mask:0xf bound_ctrl:1
	;;#ASMEND
	v_mul_f32_e32 v10, 0x3b124925, v11
	v_and_b32_e32 v11, 7, v0
	v_cmp_eq_u32_e32 vcc, 0, v11
	v_cmp_gt_i32_e64 s[8:9], s15, v1
	s_and_b64 s[10:11], vcc, s[8:9]
	s_and_saveexec_b64 s[8:9], s[10:11]
	s_cbranch_execz .LBB390_26
; %bb.25:
	s_load_dwordx2 s[10:11], s[4:5], 0x8
	s_mul_hi_i32 s23, s25, s6
	s_mul_i32 s22, s25, s6
	v_lshrrev_b32_e32 v11, 3, v0
	s_lshl_b64 s[22:23], s[22:23], 2
	v_mad_i64_i32 v[12:13], s[26:27], s26, v11, 0
	s_waitcnt lgkmcnt(0)
	s_add_u32 s7, s10, s22
	s_addc_u32 s10, s11, s23
	v_lshlrev_b64 v[12:13], 2, v[12:13]
	v_mov_b32_e32 v11, s10
	v_add_co_u32_e32 v12, vcc, s7, v12
	v_addc_co_u32_e32 v13, vcc, v11, v13, vcc
	global_store_dword v[12:13], v10, off
.LBB390_26:
	s_or_b64 exec, exec, s[8:9]
	;;#ASMSTART
	v_rcp_f32 v10, v10
	;;#ASMEND
	s_and_saveexec_b64 s[22:23], s[0:1]
	s_cbranch_execz .LBB390_28
; %bb.27:
	s_load_dwordx2 s[0:1], s[4:5], 0x0
	s_mul_i32 s8, s24, s6
	v_mov_b32_e32 v11, v10
	;;#ASMSTART
	v_pk_mul_f32 v[2:3], v[2:3], v[10:11]
	;;#ASMEND
	s_mul_hi_i32 s7, s24, s6
	s_waitcnt lgkmcnt(0)
	s_add_u32 s8, s0, s8
	v_mov_b32_e32 v12, 0xc3e00000
	v_mov_b32_e32 v13, 0x43e00000
	;;#ASMSTART
	v_med3_f32 v2, v2, v12, v13
v_med3_f32 v3, v3, v12, v13
v_cvt_pk_fp8_f32 v15, v2, v3
	;;#ASMEND
	s_addc_u32 s0, s1, s7
	;;#ASMSTART
	v_pk_mul_f32 v[2:3], v[4:5], v[10:11]
	;;#ASMEND
	s_and_b32 s9, s0, 0xffff
	;;#ASMSTART
	v_med3_f32 v2, v2, v12, v13
v_med3_f32 v3, v3, v12, v13
v_cvt_pk_fp8_f32 v4, v2, v3
	;;#ASMEND
	s_mov_b32 s0, 0x5040100
	v_perm_b32 v3, v4, v15, s0
	s_movk_i32 s0, 0xff
	v_and_b32_e32 v2, 0xffffff00, v4
	v_and_b32_sdwa v4, v3, s0 dst_sel:DWORD dst_unused:UNUSED_PAD src0_sel:WORD_1 src1_sel:DWORD
	s_mov_b32 s12, 0xffff
	v_or_b32_sdwa v2, v4, v2 dst_sel:WORD_1 dst_unused:UNUSED_PAD src0_sel:DWORD src1_sel:DWORD
	v_and_or_b32 v2, v3, s12, v2
	;;#ASMSTART
	v_pk_mul_f32 v[4:5], v[6:7], v[10:11]
	;;#ASMEND
	v_mov_b32_e32 v3, v4
	s_add_i32 s1, s15, 3
	;;#ASMSTART
	v_med3_f32 v3, v3, v12, v13
v_med3_f32 v5, v5, v12, v13
v_cvt_pk_fp8_f32 v6, v3, v5
	;;#ASMEND
	s_ashr_i32 s7, s1, 31
	;;#ASMSTART
	v_pk_mul_f32 v[4:5], v[8:9], v[10:11]
	;;#ASMEND
	v_mov_b32_e32 v3, v5
	s_lshr_b32 s7, s7, 30
	;;#ASMSTART
	v_med3_f32 v4, v4, v12, v13
v_med3_f32 v3, v3, v12, v13
v_cvt_pk_fp8_f32 v5, v4, v3
	;;#ASMEND
	s_add_i32 s1, s1, s7
	v_lshlrev_b32_e32 v3, 16, v5
	s_and_b32 s10, s1, -4
	s_mov_b32 s11, 0x20000
	v_and_or_b32 v3, v6, s12, v3
	buffer_store_dwordx2 v[2:3], v1, s[8:11], 0 offen
	;;#ASMSTART
	s_nop 0
	;;#ASMEND
.LBB390_28:
	s_or_b64 exec, exec, s[22:23]
	s_cmp_lt_i32 s16, 1
	s_cbranch_scc1 .LBB390_17
.LBB390_29:
	s_load_dword s0, s[4:5], 0x94
	s_waitcnt lgkmcnt(0)
	s_cmp_lg_u32 s0, 1
	s_cbranch_scc1 .LBB390_17
; %bb.30:
	s_lshl_b32 s0, s16, 1
	s_add_i32 s0, s0, 2
	v_cmp_gt_u32_e32 vcc, s16, v1
	s_and_b32 s22, s0, -4
	v_mov_b32_e32 v6, 0
	v_lshlrev_b32_e32 v1, 4, v0
	v_mov_b32_e32 v7, 0
	v_mov_b32_e32 v8, 0
	;; [unrolled: 1-line block ×7, first 2 shown]
	s_barrier
	s_and_saveexec_b64 s[0:1], vcc
	s_cbranch_execz .LBB390_32
; %bb.31:
	s_mul_hi_i32 s5, s18, s6
	s_mul_i32 s4, s18, s6
	s_and_b32 s21, s21, 0xffff
	s_lshl_b64 s[4:5], s[4:5], 1
	s_add_u32 s8, s36, s4
	s_mov_b32 s23, 0x20000
	s_addc_u32 s4, s37, s5
	s_and_b32 s9, s4, 0xffff
	s_mov_b32 s10, s22
	s_mov_b32 s11, s23
	buffer_load_dwordx4 v[6:9], v1, s[8:11], 0 offen glc slc
	buffer_load_dwordx4 v[2:5], v1, s[20:23], 0 offen
.LBB390_32:
	s_or_b64 exec, exec, s[0:1]
	s_waitcnt vmcnt(0)
	v_cvt_f32_u32_sdwa v13, v6 dst_sel:DWORD dst_unused:UNUSED_PAD src0_sel:WORD_1
	v_cvt_f32_u32_sdwa v12, v6 dst_sel:DWORD dst_unused:UNUSED_PAD src0_sel:WORD_0
	v_cvt_f32_u32_sdwa v6, v9 dst_sel:DWORD dst_unused:UNUSED_PAD src0_sel:WORD_1
	v_cvt_f32_u32_sdwa v9, v9 dst_sel:DWORD dst_unused:UNUSED_PAD src0_sel:WORD_0
	;; [unrolled: 2-line block ×4, first 2 shown]
	v_cndmask_b32_e32 v13, 0, v13, vcc
	v_cndmask_b32_e32 v7, 0, v6, vcc
	;; [unrolled: 1-line block ×5, first 2 shown]
	v_mul_f32_e32 v15, v13, v13
	v_cndmask_b32_e32 v10, 0, v10, vcc
	v_fmac_f32_e32 v15, v12, v12
	v_cndmask_b32_e32 v11, 0, v11, vcc
	v_fmac_f32_e32 v15, v10, v10
	;; [unrolled: 2-line block ×3, first 2 shown]
	v_fmac_f32_e32 v15, v8, v8
	v_fmac_f32_e32 v15, v9, v9
	;; [unrolled: 1-line block ×4, first 2 shown]
	s_nop 1
	v_mov_b32_dpp v16, v15 quad_perm:[1,0,3,2] row_mask:0xf bank_mask:0xf
	v_add_f32_e32 v15, v15, v16
	s_nop 1
	v_mov_b32_dpp v16, v15 quad_perm:[2,3,0,1] row_mask:0xf bank_mask:0xf
	v_add_f32_e32 v15, v15, v16
	s_nop 1
	v_mov_b32_dpp v16, v15 row_half_mirror row_mask:0xf bank_mask:0xf
	v_add_f32_e32 v15, v15, v16
	s_nop 1
	v_mov_b32_dpp v16, v15 row_mirror row_mask:0xf bank_mask:0xf
	v_add_f32_e32 v15, v15, v16
	s_nop 1
	v_mov_b32_dpp v16, v15 row_bcast:15 row_mask:0xf bank_mask:0xf
	v_add_f32_e32 v15, v15, v16
	s_nop 1
	v_mov_b32_dpp v16, v15 row_bcast:31 row_mask:0xf bank_mask:0xf
	s_and_saveexec_b64 s[0:1], s[2:3]
	s_cbranch_execz .LBB390_34
; %bb.33:
	v_lshrrev_b32_e32 v0, 4, v0
	v_add_f32_e32 v15, v15, v16
	v_and_b32_e32 v0, 60, v0
	ds_write_b32 v0, v15
.LBB390_34:
	s_or_b64 exec, exec, s[0:1]
	s_waitcnt lgkmcnt(0)
	s_barrier
	ds_read_b32 v0, v14
	s_waitcnt lgkmcnt(0)
	s_nop 0
	v_mov_b32_dpp v14, v0 quad_perm:[1,0,3,2] row_mask:0xf bank_mask:0xf
	s_and_saveexec_b64 s[0:1], vcc
	s_cbranch_execz .LBB390_17
; %bb.35:
	v_cvt_f32_u32_e32 v15, s16
	v_add_f32_e32 v0, v0, v14
	s_mov_b32 s23, 0x20000
	v_div_scale_f32 v14, s[0:1], v15, v15, v0
	v_rcp_f32_e32 v16, v14
	v_div_scale_f32 v17, vcc, v0, v15, v0
	s_mov_b32 s0, 0x800000
	v_fma_f32 v18, -v14, v16, 1.0
	v_fmac_f32_e32 v16, v18, v16
	v_mul_f32_e32 v18, v17, v16
	v_fma_f32 v19, -v14, v18, v17
	v_fmac_f32_e32 v18, v19, v16
	v_fma_f32 v14, -v14, v18, v17
	v_div_fmas_f32 v14, v14, v16, v18
	v_div_fixup_f32 v0, v14, v15, v0
	v_add_f32_e32 v0, s13, v0
	v_mul_f32_e32 v14, 0x4b800000, v0
	v_cmp_gt_f32_e32 vcc, s0, v0
	v_cndmask_b32_e32 v0, v0, v14, vcc
	v_rsq_f32_e32 v0, v0
	s_mul_hi_i32 s1, s34, s6
	s_mul_i32 s0, s34, s6
	s_lshl_b64 s[0:1], s[0:1], 1
	v_mul_f32_e32 v14, 0x45800000, v0
	v_cndmask_b32_e32 v14, v0, v14, vcc
	s_add_u32 s20, s38, s0
	v_mov_b32_e32 v15, v14
	s_addc_u32 s0, s39, s1
	;;#ASMSTART
	v_pk_mul_f32 v[12:13], v[12:13], v[14:15]
	;;#ASMEND
	;;#ASMSTART
	v_pk_mul_f32 v[10:11], v[10:11], v[14:15]
	;;#ASMEND
	;; [unrolled: 3-line block ×4, first 2 shown]
	v_cvt_f32_u32_sdwa v15, v2 dst_sel:DWORD dst_unused:UNUSED_PAD src0_sel:WORD_1
	v_cvt_f32_u32_sdwa v14, v2 dst_sel:DWORD dst_unused:UNUSED_PAD src0_sel:WORD_0
	v_cvt_f32_u32_sdwa v17, v3 dst_sel:DWORD dst_unused:UNUSED_PAD src0_sel:WORD_1
	v_cvt_f32_u32_sdwa v16, v3 dst_sel:DWORD dst_unused:UNUSED_PAD src0_sel:WORD_0
	v_cvt_f32_u32_sdwa v3, v4 dst_sel:DWORD dst_unused:UNUSED_PAD src0_sel:WORD_1
	v_cvt_f32_u32_sdwa v2, v4 dst_sel:DWORD dst_unused:UNUSED_PAD src0_sel:WORD_0
	v_cvt_f32_u32_sdwa v19, v5 dst_sel:DWORD dst_unused:UNUSED_PAD src0_sel:WORD_1
	v_cvt_f32_u32_sdwa v18, v5 dst_sel:DWORD dst_unused:UNUSED_PAD src0_sel:WORD_0
	;;#ASMSTART
	v_pk_mul_f32 v[4:5], v[12:13], v[14:15]
	;;#ASMEND
	s_and_b32 s21, s0, 0xffff
	s_mov_b32 s0, 0x7060302
	;;#ASMSTART
	v_pk_mul_f32 v[10:11], v[10:11], v[16:17]
	;;#ASMEND
	;;#ASMSTART
	v_pk_mul_f32 v[8:9], v[8:9], v[2:3]
	;;#ASMEND
	;; [unrolled: 3-line block ×3, first 2 shown]
	v_perm_b32 v2, v5, v4, s0
	v_perm_b32 v3, v11, v10, s0
	;; [unrolled: 1-line block ×4, first 2 shown]
	buffer_store_dwordx4 v[2:5], v1, s[20:23], 0 offen
	;;#ASMSTART
	s_nop 0
	;;#ASMEND
	s_endpgm
	.section	.rodata,"a",@progbits
	.p2align	6, 0x0
	.amdhsa_kernel _ZN5aiter35fused_qk_rmsnorm_group_quant_kernelItDB8_Li128ELi8ELi8ELb1ELb0ELb0ELb0ELb0ELb0EEEvPT0_PvPT_S6_S6_PKS5_S8_S8_S8_S8_ffiiiiiiiiiiiii
		.amdhsa_group_segment_fixed_size 16
		.amdhsa_private_segment_fixed_size 0
		.amdhsa_kernarg_size 400
		.amdhsa_user_sgpr_count 6
		.amdhsa_user_sgpr_private_segment_buffer 1
		.amdhsa_user_sgpr_dispatch_ptr 0
		.amdhsa_user_sgpr_queue_ptr 0
		.amdhsa_user_sgpr_kernarg_segment_ptr 1
		.amdhsa_user_sgpr_dispatch_id 0
		.amdhsa_user_sgpr_flat_scratch_init 0
		.amdhsa_user_sgpr_kernarg_preload_length 0
		.amdhsa_user_sgpr_kernarg_preload_offset 0
		.amdhsa_user_sgpr_private_segment_size 0
		.amdhsa_uses_dynamic_stack 0
		.amdhsa_system_sgpr_private_segment_wavefront_offset 0
		.amdhsa_system_sgpr_workgroup_id_x 1
		.amdhsa_system_sgpr_workgroup_id_y 1
		.amdhsa_system_sgpr_workgroup_id_z 0
		.amdhsa_system_sgpr_workgroup_info 0
		.amdhsa_system_vgpr_workitem_id 0
		.amdhsa_next_free_vgpr 27
		.amdhsa_next_free_sgpr 48
		.amdhsa_accum_offset 28
		.amdhsa_reserve_vcc 1
		.amdhsa_reserve_flat_scratch 0
		.amdhsa_float_round_mode_32 0
		.amdhsa_float_round_mode_16_64 0
		.amdhsa_float_denorm_mode_32 3
		.amdhsa_float_denorm_mode_16_64 3
		.amdhsa_dx10_clamp 1
		.amdhsa_ieee_mode 1
		.amdhsa_fp16_overflow 0
		.amdhsa_tg_split 0
		.amdhsa_exception_fp_ieee_invalid_op 0
		.amdhsa_exception_fp_denorm_src 0
		.amdhsa_exception_fp_ieee_div_zero 0
		.amdhsa_exception_fp_ieee_overflow 0
		.amdhsa_exception_fp_ieee_underflow 0
		.amdhsa_exception_fp_ieee_inexact 0
		.amdhsa_exception_int_div_zero 0
	.end_amdhsa_kernel
	.section	.text._ZN5aiter35fused_qk_rmsnorm_group_quant_kernelItDB8_Li128ELi8ELi8ELb1ELb0ELb0ELb0ELb0ELb0EEEvPT0_PvPT_S6_S6_PKS5_S8_S8_S8_S8_ffiiiiiiiiiiiii,"axG",@progbits,_ZN5aiter35fused_qk_rmsnorm_group_quant_kernelItDB8_Li128ELi8ELi8ELb1ELb0ELb0ELb0ELb0ELb0EEEvPT0_PvPT_S6_S6_PKS5_S8_S8_S8_S8_ffiiiiiiiiiiiii,comdat
.Lfunc_end390:
	.size	_ZN5aiter35fused_qk_rmsnorm_group_quant_kernelItDB8_Li128ELi8ELi8ELb1ELb0ELb0ELb0ELb0ELb0EEEvPT0_PvPT_S6_S6_PKS5_S8_S8_S8_S8_ffiiiiiiiiiiiii, .Lfunc_end390-_ZN5aiter35fused_qk_rmsnorm_group_quant_kernelItDB8_Li128ELi8ELi8ELb1ELb0ELb0ELb0ELb0ELb0EEEvPT0_PvPT_S6_S6_PKS5_S8_S8_S8_S8_ffiiiiiiiiiiiii
                                        ; -- End function
	.section	.AMDGPU.csdata,"",@progbits
; Kernel info:
; codeLenInByte = 2896
; NumSgprs: 52
; NumVgprs: 27
; NumAgprs: 0
; TotalNumVgprs: 27
; ScratchSize: 0
; MemoryBound: 0
; FloatMode: 240
; IeeeMode: 1
; LDSByteSize: 16 bytes/workgroup (compile time only)
; SGPRBlocks: 6
; VGPRBlocks: 3
; NumSGPRsForWavesPerEU: 52
; NumVGPRsForWavesPerEU: 27
; AccumOffset: 28
; Occupancy: 8
; WaveLimiterHint : 0
; COMPUTE_PGM_RSRC2:SCRATCH_EN: 0
; COMPUTE_PGM_RSRC2:USER_SGPR: 6
; COMPUTE_PGM_RSRC2:TRAP_HANDLER: 0
; COMPUTE_PGM_RSRC2:TGID_X_EN: 1
; COMPUTE_PGM_RSRC2:TGID_Y_EN: 1
; COMPUTE_PGM_RSRC2:TGID_Z_EN: 0
; COMPUTE_PGM_RSRC2:TIDIG_COMP_CNT: 0
; COMPUTE_PGM_RSRC3_GFX90A:ACCUM_OFFSET: 6
; COMPUTE_PGM_RSRC3_GFX90A:TG_SPLIT: 0
	.section	.text._ZN5aiter35fused_qk_rmsnorm_group_quant_kernelIDF16_N4opus5fp4_tELi128ELi8ELi8ELb1ELb0ELb0ELb0ELb0ELb0EEEvPT0_PvPT_S7_S7_PKS6_S9_S9_S9_S9_ffiiiiiiiiiiiii,"axG",@progbits,_ZN5aiter35fused_qk_rmsnorm_group_quant_kernelIDF16_N4opus5fp4_tELi128ELi8ELi8ELb1ELb0ELb0ELb0ELb0ELb0EEEvPT0_PvPT_S7_S7_PKS6_S9_S9_S9_S9_ffiiiiiiiiiiiii,comdat
	.protected	_ZN5aiter35fused_qk_rmsnorm_group_quant_kernelIDF16_N4opus5fp4_tELi128ELi8ELi8ELb1ELb0ELb0ELb0ELb0ELb0EEEvPT0_PvPT_S7_S7_PKS6_S9_S9_S9_S9_ffiiiiiiiiiiiii ; -- Begin function _ZN5aiter35fused_qk_rmsnorm_group_quant_kernelIDF16_N4opus5fp4_tELi128ELi8ELi8ELb1ELb0ELb0ELb0ELb0ELb0EEEvPT0_PvPT_S7_S7_PKS6_S9_S9_S9_S9_ffiiiiiiiiiiiii
	.globl	_ZN5aiter35fused_qk_rmsnorm_group_quant_kernelIDF16_N4opus5fp4_tELi128ELi8ELi8ELb1ELb0ELb0ELb0ELb0ELb0EEEvPT0_PvPT_S7_S7_PKS6_S9_S9_S9_S9_ffiiiiiiiiiiiii
	.p2align	8
	.type	_ZN5aiter35fused_qk_rmsnorm_group_quant_kernelIDF16_N4opus5fp4_tELi128ELi8ELi8ELb1ELb0ELb0ELb0ELb0ELb0EEEvPT0_PvPT_S7_S7_PKS6_S9_S9_S9_S9_ffiiiiiiiiiiiii,@function
_ZN5aiter35fused_qk_rmsnorm_group_quant_kernelIDF16_N4opus5fp4_tELi128ELi8ELi8ELb1ELb0ELb0ELb0ELb0ELb0EEEvPT0_PvPT_S7_S7_PKS6_S9_S9_S9_S9_ffiiiiiiiiiiiii: ; @_ZN5aiter35fused_qk_rmsnorm_group_quant_kernelIDF16_N4opus5fp4_tELi128ELi8ELi8ELb1ELb0ELb0ELb0ELb0ELb0EEEvPT0_PvPT_S7_S7_PKS6_S9_S9_S9_S9_ffiiiiiiiiiiiii
; %bb.0:
	s_load_dwordx8 s[12:19], s[4:5], 0x50
	s_waitcnt lgkmcnt(0)
	s_cmp_ge_i32 s6, s14
	s_cbranch_scc1 .LBB391_17
; %bb.1:
	s_cmp_lg_u32 s7, 0
	s_cselect_b64 s[22:23], -1, 0
	s_cmp_eq_u32 s7, 0
	s_cselect_b64 s[8:9], -1, 0
	s_and_b64 s[0:1], s[8:9], exec
	s_load_dwordx2 s[20:21], s[4:5], 0x48
	s_load_dwordx2 s[34:35], s[4:5], 0x30
	s_load_dwordx4 s[24:27], s[4:5], 0x70
	s_cselect_b32 s7, s15, s16
	s_add_i32 s0, s7, 1
	s_lshr_b32 s1, s0, 31
	s_add_i32 s0, s0, s1
	s_lshl_b32 s0, s0, 1
	v_lshlrev_b32_e32 v1, 3, v0
	s_and_b32 s30, s0, -4
	v_cmp_gt_i32_e64 s[0:1], s7, v1
	v_mov_b32_e32 v2, 0
	v_mov_b32_e32 v3, 0
	;; [unrolled: 1-line block ×8, first 2 shown]
	s_and_saveexec_b64 s[2:3], s[0:1]
	s_cbranch_execz .LBB391_3
; %bb.2:
	s_load_dwordx2 s[10:11], s[4:5], 0x28
	s_load_dwordx2 s[28:29], s[4:5], 0x40
	s_and_b64 s[36:37], s[8:9], exec
	s_cselect_b32 s14, s17, s18
	s_mov_b32 s31, 0x20000
	s_waitcnt lgkmcnt(0)
	s_cselect_b32 s17, s11, s35
	s_cselect_b32 s27, s10, s34
	s_mul_hi_i32 s11, s14, s6
	s_mul_i32 s10, s14, s6
	s_lshl_b64 s[10:11], s[10:11], 1
	s_add_u32 s36, s27, s10
	s_addc_u32 s14, s17, s11
	s_and_b64 s[10:11], s[8:9], exec
	s_cselect_b32 s28, s28, s20
	s_cselect_b32 s10, s29, s21
	v_lshlrev_b32_e32 v10, 4, v0
	s_and_b32 s37, s14, 0xffff
	s_mov_b32 s38, s30
	s_mov_b32 s39, s31
	s_and_b32 s29, s10, 0xffff
	buffer_load_dwordx4 v[6:9], v10, s[36:39], 0 offen glc slc
	buffer_load_dwordx4 v[2:5], v10, s[28:31], 0 offen
.LBB391_3:
	s_or_b64 exec, exec, s[2:3]
	s_load_dwordx2 s[10:11], s[4:5], 0x80
	s_and_b64 vcc, exec, s[22:23]
	s_cbranch_vccz .LBB391_7
; %bb.4:
	v_mov_b32_e32 v11, 0
	v_mov_b32_e32 v10, 0
	;; [unrolled: 1-line block ×8, first 2 shown]
	s_and_saveexec_b64 s[2:3], s[0:1]
	s_cbranch_execz .LBB391_6
; %bb.5:
	s_waitcnt vmcnt(1)
	v_cvt_f32_f16_sdwa v17, v6 dst_sel:DWORD dst_unused:UNUSED_PAD src0_sel:WORD_1
	v_cvt_f32_f16_e32 v16, v6
	v_cvt_f32_f16_sdwa v15, v7 dst_sel:DWORD dst_unused:UNUSED_PAD src0_sel:WORD_1
	v_cvt_f32_f16_e32 v14, v7
	;; [unrolled: 2-line block ×4, first 2 shown]
.LBB391_6:
	s_or_b64 exec, exec, s[2:3]
	s_cbranch_execz .LBB391_8
	s_branch .LBB391_11
.LBB391_7:
                                        ; implicit-def: $vgpr11
                                        ; implicit-def: $vgpr13
                                        ; implicit-def: $vgpr15
                                        ; implicit-def: $vgpr17
.LBB391_8:
	v_mov_b32_e32 v11, 0
	v_mov_b32_e32 v10, 0
	;; [unrolled: 1-line block ×8, first 2 shown]
	s_and_saveexec_b64 s[2:3], s[0:1]
	s_cbranch_execz .LBB391_10
; %bb.9:
	s_load_dwordx2 s[28:29], s[4:5], 0x38
	s_mul_hi_i32 s37, s19, s6
	s_mul_i32 s36, s19, s6
	s_lshl_b64 s[36:37], s[36:37], 1
	s_mov_b32 s31, 0x20000
	s_waitcnt lgkmcnt(0)
	s_add_u32 s28, s28, s36
	s_addc_u32 s14, s29, s37
	s_and_b32 s29, s14, 0xffff
	v_lshlrev_b32_e32 v26, 4, v0
	buffer_load_dwordx4 v[10:13], v26, s[28:31], 0 offen glc slc
	s_waitcnt vmcnt(2)
	v_cvt_f32_f16_sdwa v15, v6 dst_sel:DWORD dst_unused:UNUSED_PAD src0_sel:WORD_1
	v_cvt_f32_f16_e32 v14, v6
	v_cvt_f32_f16_sdwa v19, v7 dst_sel:DWORD dst_unused:UNUSED_PAD src0_sel:WORD_1
	v_cvt_f32_f16_e32 v18, v7
	;; [unrolled: 2-line block ×4, first 2 shown]
	s_load_dwordx2 s[28:29], s[4:5], 0x20
	s_mul_hi_i32 s37, s11, s6
	s_mul_i32 s36, s11, s6
	s_lshl_b64 s[36:37], s[36:37], 1
	s_waitcnt lgkmcnt(0)
	s_add_u32 s28, s28, s36
	s_addc_u32 s11, s29, s37
	s_and_b32 s29, s11, 0xffff
	s_waitcnt vmcnt(0)
	v_cvt_f32_f16_e32 v8, v10
	v_cvt_f32_f16_sdwa v9, v10 dst_sel:DWORD dst_unused:UNUSED_PAD src0_sel:WORD_1
	v_cvt_f32_f16_e32 v10, v11
	v_cvt_f32_f16_sdwa v11, v11 dst_sel:DWORD dst_unused:UNUSED_PAD src0_sel:WORD_1
	;; [unrolled: 2-line block ×4, first 2 shown]
	v_pk_add_f32 v[16:17], v[14:15], v[8:9]
	v_pk_add_f32 v[14:15], v[18:19], v[10:11]
	;; [unrolled: 1-line block ×4, first 2 shown]
	v_cvt_f16_f32_e32 v6, v17
	v_cvt_f16_f32_e32 v7, v15
	;; [unrolled: 1-line block ×8, first 2 shown]
	v_pack_b32_f16 v9, v18, v9
	v_pack_b32_f16 v8, v19, v8
	;; [unrolled: 1-line block ×4, first 2 shown]
	buffer_store_dwordx4 v[6:9], v26, s[28:31], 0 offen glc slc
	;;#ASMSTART
	s_nop 0
	;;#ASMEND
.LBB391_10:
	s_or_b64 exec, exec, s[2:3]
.LBB391_11:
	s_waitcnt vmcnt(1)
	v_mul_f32_e32 v6, v17, v17
	v_fmac_f32_e32 v6, v16, v16
	v_fmac_f32_e32 v6, v14, v14
	;; [unrolled: 1-line block ×7, first 2 shown]
	v_and_b32_e32 v8, 63, v0
	v_cmp_eq_u32_e64 s[2:3], 63, v8
	v_mov_b32_dpp v7, v6 quad_perm:[1,0,3,2] row_mask:0xf bank_mask:0xf
	v_add_f32_e32 v6, v6, v7
	s_nop 1
	v_mov_b32_dpp v7, v6 quad_perm:[2,3,0,1] row_mask:0xf bank_mask:0xf
	v_add_f32_e32 v6, v6, v7
	s_nop 1
	v_mov_b32_dpp v7, v6 row_half_mirror row_mask:0xf bank_mask:0xf
	v_add_f32_e32 v6, v6, v7
	s_nop 1
	v_mov_b32_dpp v7, v6 row_mirror row_mask:0xf bank_mask:0xf
	v_add_f32_e32 v6, v6, v7
	s_nop 1
	v_mov_b32_dpp v7, v6 row_bcast:15 row_mask:0xf bank_mask:0xf
	v_add_f32_e32 v6, v6, v7
	s_nop 1
	v_mov_b32_dpp v7, v6 row_bcast:31 row_mask:0xf bank_mask:0xf
	s_and_saveexec_b64 s[28:29], s[2:3]
	s_cbranch_execz .LBB391_13
; %bb.12:
	v_add_f32_e32 v6, v6, v7
	v_lshrrev_b32_e32 v7, 4, v0
	v_and_b32_e32 v7, 60, v7
	ds_write_b32 v7, v6 offset:8
.LBB391_13:
	s_or_b64 exec, exec, s[28:29]
	v_and_b32_e32 v6, 1, v0
	v_lshlrev_b32_e32 v18, 2, v6
	s_waitcnt lgkmcnt(0)
	s_barrier
	ds_read_b32 v6, v18 offset:8
	s_load_dwordx2 s[36:37], s[4:5], 0x18
	s_waitcnt lgkmcnt(0)
	v_mov_b32_dpp v7, v6 quad_perm:[1,0,3,2] row_mask:0xf bank_mask:0xf
	s_and_saveexec_b64 s[28:29], s[0:1]
	s_cbranch_execnz .LBB391_18
; %bb.14:
	s_or_b64 exec, exec, s[28:29]
	s_mov_b64 s[8:9], -1
	s_and_b64 vcc, exec, s[22:23]
	s_cbranch_vccnz .LBB391_19
.LBB391_15:
	s_andn2_b64 vcc, exec, s[8:9]
	s_cbranch_vccz .LBB391_22
.LBB391_16:
	s_cmp_lt_i32 s16, 1
	s_cbranch_scc0 .LBB391_29
.LBB391_17:
	s_endpgm
.LBB391_18:
	v_cvt_f32_u32_e32 v8, s7
	v_add_f32_e32 v6, v6, v7
	v_mov_b32_e32 v19, s13
	v_mov_b32_e32 v20, s12
	v_div_scale_f32 v7, s[38:39], v8, v8, v6
	v_rcp_f32_e32 v9, v7
	v_cndmask_b32_e64 v19, v19, v20, s[8:9]
	s_mov_b32 s7, 0x800000
	s_waitcnt vmcnt(0)
	v_cvt_f32_f16_sdwa v23, v5 dst_sel:DWORD dst_unused:UNUSED_PAD src0_sel:WORD_1
	v_fma_f32 v20, -v7, v9, 1.0
	v_fmac_f32_e32 v9, v20, v9
	v_div_scale_f32 v20, vcc, v6, v8, v6
	v_mul_f32_e32 v21, v20, v9
	v_fma_f32 v22, -v7, v21, v20
	v_fmac_f32_e32 v21, v22, v9
	v_fma_f32 v7, -v7, v21, v20
	v_div_fmas_f32 v7, v7, v9, v21
	v_div_fixup_f32 v6, v7, v8, v6
	v_add_f32_e32 v6, v19, v6
	v_mul_f32_e32 v7, 0x4b800000, v6
	v_cmp_gt_f32_e32 vcc, s7, v6
	v_cndmask_b32_e32 v6, v6, v7, vcc
	v_rsq_f32_e32 v6, v6
	v_cvt_f32_f16_sdwa v21, v3 dst_sel:DWORD dst_unused:UNUSED_PAD src0_sel:WORD_1
	v_cvt_f32_f16_e32 v20, v3
	v_cvt_f32_f16_sdwa v3, v4 dst_sel:DWORD dst_unused:UNUSED_PAD src0_sel:WORD_1
	v_mul_f32_e32 v7, 0x45800000, v6
	v_cndmask_b32_e32 v6, v6, v7, vcc
	v_mov_b32_e32 v7, v6
	;;#ASMSTART
	v_pk_mul_f32 v[8:9], v[16:17], v[6:7]
	;;#ASMEND
	;;#ASMSTART
	v_pk_mul_f32 v[14:15], v[14:15], v[6:7]
	;;#ASMEND
	;; [unrolled: 3-line block ×4, first 2 shown]
	v_cvt_f32_f16_sdwa v11, v2 dst_sel:DWORD dst_unused:UNUSED_PAD src0_sel:WORD_1
	v_cvt_f32_f16_e32 v10, v2
	v_cvt_f32_f16_e32 v2, v4
	;; [unrolled: 1-line block ×3, first 2 shown]
	;;#ASMSTART
	v_pk_mul_f32 v[16:17], v[8:9], v[10:11]
	;;#ASMEND
	;;#ASMSTART
	v_pk_mul_f32 v[14:15], v[14:15], v[20:21]
	;;#ASMEND
	;; [unrolled: 3-line block ×4, first 2 shown]
	s_or_b64 exec, exec, s[28:29]
	s_mov_b64 s[8:9], -1
	s_and_b64 vcc, exec, s[22:23]
	s_cbranch_vccz .LBB391_15
.LBB391_19:
	s_and_saveexec_b64 s[8:9], s[0:1]
	s_cbranch_execz .LBB391_21
; %bb.20:
	s_mul_hi_i32 s23, s10, s6
	s_mul_i32 s22, s10, s6
	s_waitcnt vmcnt(0)
	v_cvt_f16_f32_e32 v2, v16
	v_cvt_f16_f32_e32 v3, v14
	;; [unrolled: 1-line block ×8, first 2 shown]
	s_lshl_b64 s[22:23], s[22:23], 1
	s_add_u32 s28, s36, s22
	s_addc_u32 s7, s37, s23
	s_and_b32 s29, s7, 0xffff
	s_mov_b32 s31, 0x20000
	v_pack_b32_f16 v5, v5, v6
	v_pack_b32_f16 v4, v4, v7
	v_pack_b32_f16 v3, v3, v8
	v_pack_b32_f16 v2, v2, v9
	v_lshlrev_b32_e32 v6, 4, v0
	buffer_store_dwordx4 v[2:5], v6, s[28:31], 0 offen
	;;#ASMSTART
	s_nop 0
	;;#ASMEND
.LBB391_21:
	s_or_b64 exec, exec, s[8:9]
	s_cbranch_execnz .LBB391_16
.LBB391_22:
	s_waitcnt vmcnt(0)
	v_mov_b32_e32 v2, 0
	s_and_saveexec_b64 s[8:9], s[0:1]
	s_cbranch_execz .LBB391_24
; %bb.23:
	v_and_b32_e32 v2, 0x7fffffff, v16
	v_and_b32_e32 v3, 0x7fffffff, v17
	v_mov_b32_e32 v4, 0x2edbe6ff
	;;#ASMSTART
	v_max3_f32 v2, v4, v2, v3

	;;#ASMEND
	v_and_b32_e32 v3, 0x7fffffff, v14
	v_and_b32_e32 v4, 0x7fffffff, v15
	;;#ASMSTART
	v_max3_f32 v2, v2, v3, v4

	;;#ASMEND
	v_and_b32_e32 v3, 0x7fffffff, v12
	v_and_b32_e32 v4, 0x7fffffff, v13
	;; [unrolled: 6-line block ×3, first 2 shown]
	;;#ASMSTART
	v_max3_f32 v2, v2, v3, v4

	;;#ASMEND
.LBB391_24:
	s_or_b64 exec, exec, s[8:9]
	;;#ASMSTART
	v_max_f32 v3, v2, v2 quad_perm:[1,0,3,2] row_mask:0xf bank_mask:0xf bound_ctrl:1
	;;#ASMEND
	;;#ASMSTART
	v_max_f32 v4, v3, v3 quad_perm:[2,3,0,1] row_mask:0xf bank_mask:0xf bound_ctrl:1
	;;#ASMEND
	v_and_b32_e32 v3, 7, v0
	v_cmp_eq_u32_e32 vcc, 0, v3
	v_cmp_gt_i32_e64 s[8:9], s15, v1
	s_and_b64 s[22:23], vcc, s[8:9]
	;;#ASMSTART
	v_max_f32 v2, v4, v4 row_half_mirror row_mask:0xf bank_mask:0xf bound_ctrl:1
	;;#ASMEND
	s_and_saveexec_b64 s[8:9], s[22:23]
	s_cbranch_execz .LBB391_26
; %bb.25:
	s_load_dwordx2 s[22:23], s[4:5], 0x8
	v_mul_f32_e32 v2, 0x3e2aaaab, v2
	v_lshrrev_b32_e32 v3, 23, v2
	v_and_b32_e32 v4, 0x7f800000, v2
	v_and_b32_e32 v2, 0x7fffff, v2
	v_cmp_ne_u32_e32 vcc, 0, v2
	s_mul_i32 s12, s25, s6
	s_mov_b32 s7, 0x7f800000
	v_addc_co_u32_e32 v2, vcc, 0, v3, vcc
	s_mul_hi_i32 s11, s25, s6
	s_waitcnt lgkmcnt(0)
	s_add_u32 s22, s22, s12
	v_cmp_ne_u32_e32 vcc, s7, v4
	s_addc_u32 s23, s23, s11
	v_lshrrev_b32_e32 v5, 3, v0
	v_cndmask_b32_e32 v4, -1, v2, vcc
	v_pk_mov_b32 v[2:3], s[22:23], s[22:23] op_sel:[0,1]
	v_mad_i64_i32 v[2:3], s[22:23], s26, v5, v[2:3]
	global_store_byte v[2:3], v4, off
.LBB391_26:
	s_or_b64 exec, exec, s[8:9]
	s_and_saveexec_b64 s[8:9], s[0:1]
	s_cbranch_execz .LBB391_28
; %bb.27:
	s_load_dwordx2 s[0:1], s[4:5], 0x0
	s_mul_i32 s11, s24, s6
	s_mul_hi_i32 s7, s24, s6
	v_lshlrev_b32_e32 v2, 2, v0
	s_mov_b32 s27, 0x20000
	s_waitcnt lgkmcnt(0)
	s_add_u32 s24, s0, s11
	s_addc_u32 s0, s1, s7
	s_lshr_b32 s1, s15, 31
	s_add_i32 s1, s15, s1
	s_ashr_i32 s1, s1, 1
	s_add_i32 s1, s1, 3
	s_ashr_i32 s7, s1, 31
	s_lshr_b32 s7, s7, 30
	s_add_i32 s1, s1, s7
	s_and_b32 s26, s1, -4
	s_and_b32 s25, s0, 0xffff
	v_mov_b32_e32 v3, 0
	buffer_store_dword v3, v2, s[24:27], 0 offen
	;;#ASMSTART
	s_nop 0
	;;#ASMEND
.LBB391_28:
	s_or_b64 exec, exec, s[8:9]
	s_cmp_lt_i32 s16, 1
	s_cbranch_scc1 .LBB391_17
.LBB391_29:
	s_load_dword s0, s[4:5], 0x94
	s_waitcnt lgkmcnt(0)
	s_cmp_lg_u32 s0, 1
	s_cbranch_scc1 .LBB391_17
; %bb.30:
	s_lshl_b32 s0, s16, 1
	s_add_i32 s0, s0, 2
	v_cmp_gt_u32_e32 vcc, s16, v1
	s_and_b32 s22, s0, -4
	v_mov_b32_e32 v10, 0
	v_lshlrev_b32_e32 v1, 4, v0
	v_mov_b32_e32 v6, 0
	v_mov_b32_e32 v7, 0
	v_mov_b32_e32 v8, 0
	v_mov_b32_e32 v9, 0
	s_waitcnt vmcnt(0)
	v_mov_b32_e32 v2, 0
	v_mov_b32_e32 v3, 0
	;; [unrolled: 1-line block ×4, first 2 shown]
	s_barrier
	s_and_saveexec_b64 s[0:1], vcc
	s_cbranch_execz .LBB391_32
; %bb.31:
	s_mul_hi_i32 s5, s18, s6
	s_mul_i32 s4, s18, s6
	s_and_b32 s21, s21, 0xffff
	s_lshl_b64 s[4:5], s[4:5], 1
	s_add_u32 s24, s34, s4
	s_mov_b32 s23, 0x20000
	s_addc_u32 s4, s35, s5
	s_and_b32 s25, s4, 0xffff
	s_mov_b32 s26, s22
	s_mov_b32 s27, s23
	buffer_load_dwordx4 v[6:9], v1, s[24:27], 0 offen glc slc
	buffer_load_dwordx4 v[2:5], v1, s[20:23], 0 offen
.LBB391_32:
	s_or_b64 exec, exec, s[0:1]
	v_mov_b32_e32 v11, 0
	v_mov_b32_e32 v16, 0
	;; [unrolled: 1-line block ×7, first 2 shown]
	s_and_saveexec_b64 s[0:1], vcc
	s_cbranch_execz .LBB391_34
; %bb.33:
	s_waitcnt vmcnt(1)
	v_cvt_f32_f16_sdwa v11, v6 dst_sel:DWORD dst_unused:UNUSED_PAD src0_sel:WORD_1
	v_cvt_f32_f16_e32 v10, v6
	v_cvt_f32_f16_sdwa v17, v7 dst_sel:DWORD dst_unused:UNUSED_PAD src0_sel:WORD_1
	v_cvt_f32_f16_e32 v16, v7
	;; [unrolled: 2-line block ×4, first 2 shown]
.LBB391_34:
	s_or_b64 exec, exec, s[0:1]
	s_waitcnt vmcnt(1)
	v_mul_f32_e32 v6, v11, v11
	v_fmac_f32_e32 v6, v10, v10
	v_fmac_f32_e32 v6, v16, v16
	;; [unrolled: 1-line block ×7, first 2 shown]
	s_nop 1
	v_mov_b32_dpp v7, v6 quad_perm:[1,0,3,2] row_mask:0xf bank_mask:0xf
	v_add_f32_e32 v6, v6, v7
	s_nop 1
	v_mov_b32_dpp v7, v6 quad_perm:[2,3,0,1] row_mask:0xf bank_mask:0xf
	v_add_f32_e32 v6, v6, v7
	s_nop 1
	v_mov_b32_dpp v7, v6 row_half_mirror row_mask:0xf bank_mask:0xf
	v_add_f32_e32 v6, v6, v7
	s_nop 1
	v_mov_b32_dpp v7, v6 row_mirror row_mask:0xf bank_mask:0xf
	v_add_f32_e32 v6, v6, v7
	s_nop 1
	v_mov_b32_dpp v7, v6 row_bcast:15 row_mask:0xf bank_mask:0xf
	v_add_f32_e32 v6, v6, v7
	s_nop 1
	v_mov_b32_dpp v7, v6 row_bcast:31 row_mask:0xf bank_mask:0xf
	s_and_saveexec_b64 s[0:1], s[2:3]
	s_cbranch_execz .LBB391_36
; %bb.35:
	v_lshrrev_b32_e32 v0, 4, v0
	v_add_f32_e32 v6, v6, v7
	v_and_b32_e32 v0, 60, v0
	ds_write_b32 v0, v6
.LBB391_36:
	s_or_b64 exec, exec, s[0:1]
	s_waitcnt lgkmcnt(0)
	s_barrier
	ds_read_b32 v0, v18
	s_waitcnt lgkmcnt(0)
	s_nop 0
	v_mov_b32_dpp v6, v0 quad_perm:[1,0,3,2] row_mask:0xf bank_mask:0xf
	s_and_saveexec_b64 s[0:1], vcc
	s_cbranch_execz .LBB391_17
; %bb.37:
	v_cvt_f32_u32_e32 v7, s16
	v_add_f32_e32 v0, v0, v6
	s_mov_b32 s23, 0x20000
	v_div_scale_f32 v6, s[0:1], v7, v7, v0
	v_rcp_f32_e32 v8, v6
	v_div_scale_f32 v9, vcc, v0, v7, v0
	s_mov_b32 s0, 0x800000
	v_fma_f32 v18, -v6, v8, 1.0
	v_fmac_f32_e32 v8, v18, v8
	v_mul_f32_e32 v18, v9, v8
	v_fma_f32 v19, -v6, v18, v9
	v_fmac_f32_e32 v18, v19, v8
	v_fma_f32 v6, -v6, v18, v9
	v_div_fmas_f32 v6, v6, v8, v18
	v_div_fixup_f32 v0, v6, v7, v0
	v_add_f32_e32 v0, s13, v0
	v_mul_f32_e32 v6, 0x4b800000, v0
	v_cmp_gt_f32_e32 vcc, s0, v0
	v_cndmask_b32_e32 v0, v0, v6, vcc
	v_rsq_f32_e32 v0, v0
	s_waitcnt vmcnt(0)
	v_cvt_f32_f16_sdwa v19, v5 dst_sel:DWORD dst_unused:UNUSED_PAD src0_sel:WORD_1
	v_cvt_f32_f16_e32 v18, v5
	s_mul_hi_i32 s1, s10, s6
	v_mul_f32_e32 v6, 0x45800000, v0
	v_cndmask_b32_e32 v6, v0, v6, vcc
	v_mov_b32_e32 v7, v6
	;;#ASMSTART
	v_pk_mul_f32 v[8:9], v[10:11], v[6:7]
	;;#ASMEND
	;;#ASMSTART
	v_pk_mul_f32 v[10:11], v[16:17], v[6:7]
	;;#ASMEND
	;; [unrolled: 3-line block ×4, first 2 shown]
	v_cvt_f32_f16_sdwa v13, v2 dst_sel:DWORD dst_unused:UNUSED_PAD src0_sel:WORD_1
	v_cvt_f32_f16_e32 v12, v2
	v_cvt_f32_f16_sdwa v17, v3 dst_sel:DWORD dst_unused:UNUSED_PAD src0_sel:WORD_1
	v_cvt_f32_f16_e32 v16, v3
	;; [unrolled: 2-line block ×3, first 2 shown]
	;;#ASMSTART
	v_pk_mul_f32 v[4:5], v[8:9], v[12:13]
	;;#ASMEND
	;;#ASMSTART
	v_pk_mul_f32 v[8:9], v[10:11], v[16:17]
	;;#ASMEND
	;; [unrolled: 3-line block ×4, first 2 shown]
	s_mul_i32 s0, s10, s6
	v_cvt_f16_f32_e32 v0, v4
	v_cvt_f16_f32_e32 v4, v5
	;; [unrolled: 1-line block ×8, first 2 shown]
	s_lshl_b64 s[0:1], s[0:1], 1
	s_add_u32 s20, s36, s0
	s_addc_u32 s0, s37, s1
	s_and_b32 s21, s0, 0xffff
	v_pack_b32_f16 v2, v0, v4
	v_pack_b32_f16 v3, v5, v8
	;; [unrolled: 1-line block ×4, first 2 shown]
	buffer_store_dwordx4 v[2:5], v1, s[20:23], 0 offen
	;;#ASMSTART
	s_nop 0
	;;#ASMEND
	s_endpgm
	.section	.rodata,"a",@progbits
	.p2align	6, 0x0
	.amdhsa_kernel _ZN5aiter35fused_qk_rmsnorm_group_quant_kernelIDF16_N4opus5fp4_tELi128ELi8ELi8ELb1ELb0ELb0ELb0ELb0ELb0EEEvPT0_PvPT_S7_S7_PKS6_S9_S9_S9_S9_ffiiiiiiiiiiiii
		.amdhsa_group_segment_fixed_size 16
		.amdhsa_private_segment_fixed_size 0
		.amdhsa_kernarg_size 400
		.amdhsa_user_sgpr_count 6
		.amdhsa_user_sgpr_private_segment_buffer 1
		.amdhsa_user_sgpr_dispatch_ptr 0
		.amdhsa_user_sgpr_queue_ptr 0
		.amdhsa_user_sgpr_kernarg_segment_ptr 1
		.amdhsa_user_sgpr_dispatch_id 0
		.amdhsa_user_sgpr_flat_scratch_init 0
		.amdhsa_user_sgpr_kernarg_preload_length 0
		.amdhsa_user_sgpr_kernarg_preload_offset 0
		.amdhsa_user_sgpr_private_segment_size 0
		.amdhsa_uses_dynamic_stack 0
		.amdhsa_system_sgpr_private_segment_wavefront_offset 0
		.amdhsa_system_sgpr_workgroup_id_x 1
		.amdhsa_system_sgpr_workgroup_id_y 1
		.amdhsa_system_sgpr_workgroup_id_z 0
		.amdhsa_system_sgpr_workgroup_info 0
		.amdhsa_system_vgpr_workitem_id 0
		.amdhsa_next_free_vgpr 27
		.amdhsa_next_free_sgpr 40
		.amdhsa_accum_offset 28
		.amdhsa_reserve_vcc 1
		.amdhsa_reserve_flat_scratch 0
		.amdhsa_float_round_mode_32 0
		.amdhsa_float_round_mode_16_64 0
		.amdhsa_float_denorm_mode_32 3
		.amdhsa_float_denorm_mode_16_64 3
		.amdhsa_dx10_clamp 1
		.amdhsa_ieee_mode 1
		.amdhsa_fp16_overflow 0
		.amdhsa_tg_split 0
		.amdhsa_exception_fp_ieee_invalid_op 0
		.amdhsa_exception_fp_denorm_src 0
		.amdhsa_exception_fp_ieee_div_zero 0
		.amdhsa_exception_fp_ieee_overflow 0
		.amdhsa_exception_fp_ieee_underflow 0
		.amdhsa_exception_fp_ieee_inexact 0
		.amdhsa_exception_int_div_zero 0
	.end_amdhsa_kernel
	.section	.text._ZN5aiter35fused_qk_rmsnorm_group_quant_kernelIDF16_N4opus5fp4_tELi128ELi8ELi8ELb1ELb0ELb0ELb0ELb0ELb0EEEvPT0_PvPT_S7_S7_PKS6_S9_S9_S9_S9_ffiiiiiiiiiiiii,"axG",@progbits,_ZN5aiter35fused_qk_rmsnorm_group_quant_kernelIDF16_N4opus5fp4_tELi128ELi8ELi8ELb1ELb0ELb0ELb0ELb0ELb0EEEvPT0_PvPT_S7_S7_PKS6_S9_S9_S9_S9_ffiiiiiiiiiiiii,comdat
.Lfunc_end391:
	.size	_ZN5aiter35fused_qk_rmsnorm_group_quant_kernelIDF16_N4opus5fp4_tELi128ELi8ELi8ELb1ELb0ELb0ELb0ELb0ELb0EEEvPT0_PvPT_S7_S7_PKS6_S9_S9_S9_S9_ffiiiiiiiiiiiii, .Lfunc_end391-_ZN5aiter35fused_qk_rmsnorm_group_quant_kernelIDF16_N4opus5fp4_tELi128ELi8ELi8ELb1ELb0ELb0ELb0ELb0ELb0EEEvPT0_PvPT_S7_S7_PKS6_S9_S9_S9_S9_ffiiiiiiiiiiiii
                                        ; -- End function
	.section	.AMDGPU.csdata,"",@progbits
; Kernel info:
; codeLenInByte = 2644
; NumSgprs: 44
; NumVgprs: 27
; NumAgprs: 0
; TotalNumVgprs: 27
; ScratchSize: 0
; MemoryBound: 0
; FloatMode: 240
; IeeeMode: 1
; LDSByteSize: 16 bytes/workgroup (compile time only)
; SGPRBlocks: 5
; VGPRBlocks: 3
; NumSGPRsForWavesPerEU: 44
; NumVGPRsForWavesPerEU: 27
; AccumOffset: 28
; Occupancy: 8
; WaveLimiterHint : 0
; COMPUTE_PGM_RSRC2:SCRATCH_EN: 0
; COMPUTE_PGM_RSRC2:USER_SGPR: 6
; COMPUTE_PGM_RSRC2:TRAP_HANDLER: 0
; COMPUTE_PGM_RSRC2:TGID_X_EN: 1
; COMPUTE_PGM_RSRC2:TGID_Y_EN: 1
; COMPUTE_PGM_RSRC2:TGID_Z_EN: 0
; COMPUTE_PGM_RSRC2:TIDIG_COMP_CNT: 0
; COMPUTE_PGM_RSRC3_GFX90A:ACCUM_OFFSET: 6
; COMPUTE_PGM_RSRC3_GFX90A:TG_SPLIT: 0
	.section	.text._ZN5aiter35fused_qk_rmsnorm_group_quant_kernelItN4opus5fp4_tELi128ELi8ELi8ELb1ELb0ELb0ELb0ELb0ELb0EEEvPT0_PvPT_S7_S7_PKS6_S9_S9_S9_S9_ffiiiiiiiiiiiii,"axG",@progbits,_ZN5aiter35fused_qk_rmsnorm_group_quant_kernelItN4opus5fp4_tELi128ELi8ELi8ELb1ELb0ELb0ELb0ELb0ELb0EEEvPT0_PvPT_S7_S7_PKS6_S9_S9_S9_S9_ffiiiiiiiiiiiii,comdat
	.protected	_ZN5aiter35fused_qk_rmsnorm_group_quant_kernelItN4opus5fp4_tELi128ELi8ELi8ELb1ELb0ELb0ELb0ELb0ELb0EEEvPT0_PvPT_S7_S7_PKS6_S9_S9_S9_S9_ffiiiiiiiiiiiii ; -- Begin function _ZN5aiter35fused_qk_rmsnorm_group_quant_kernelItN4opus5fp4_tELi128ELi8ELi8ELb1ELb0ELb0ELb0ELb0ELb0EEEvPT0_PvPT_S7_S7_PKS6_S9_S9_S9_S9_ffiiiiiiiiiiiii
	.globl	_ZN5aiter35fused_qk_rmsnorm_group_quant_kernelItN4opus5fp4_tELi128ELi8ELi8ELb1ELb0ELb0ELb0ELb0ELb0EEEvPT0_PvPT_S7_S7_PKS6_S9_S9_S9_S9_ffiiiiiiiiiiiii
	.p2align	8
	.type	_ZN5aiter35fused_qk_rmsnorm_group_quant_kernelItN4opus5fp4_tELi128ELi8ELi8ELb1ELb0ELb0ELb0ELb0ELb0EEEvPT0_PvPT_S7_S7_PKS6_S9_S9_S9_S9_ffiiiiiiiiiiiii,@function
_ZN5aiter35fused_qk_rmsnorm_group_quant_kernelItN4opus5fp4_tELi128ELi8ELi8ELb1ELb0ELb0ELb0ELb0ELb0EEEvPT0_PvPT_S7_S7_PKS6_S9_S9_S9_S9_ffiiiiiiiiiiiii: ; @_ZN5aiter35fused_qk_rmsnorm_group_quant_kernelItN4opus5fp4_tELi128ELi8ELi8ELb1ELb0ELb0ELb0ELb0ELb0EEEvPT0_PvPT_S7_S7_PKS6_S9_S9_S9_S9_ffiiiiiiiiiiiii
; %bb.0:
	s_load_dwordx8 s[12:19], s[4:5], 0x50
	s_waitcnt lgkmcnt(0)
	s_cmp_ge_i32 s6, s14
	s_cbranch_scc1 .LBB392_17
; %bb.1:
	s_cmp_lg_u32 s7, 0
	s_cselect_b64 s[22:23], -1, 0
	s_cmp_eq_u32 s7, 0
	s_cselect_b64 s[8:9], -1, 0
	s_and_b64 s[0:1], s[8:9], exec
	s_load_dwordx2 s[20:21], s[4:5], 0x48
	s_load_dwordx2 s[34:35], s[4:5], 0x30
	s_load_dwordx4 s[24:27], s[4:5], 0x70
	s_cselect_b32 s7, s15, s16
	s_add_i32 s0, s7, 1
	s_lshr_b32 s1, s0, 31
	s_add_i32 s0, s0, s1
	s_lshl_b32 s0, s0, 1
	v_lshlrev_b32_e32 v1, 3, v0
	s_and_b32 s30, s0, -4
	v_cmp_gt_i32_e64 s[0:1], s7, v1
	v_mov_b32_e32 v10, 0
	v_mov_b32_e32 v11, 0
	;; [unrolled: 1-line block ×8, first 2 shown]
	s_and_saveexec_b64 s[2:3], s[0:1]
	s_cbranch_execz .LBB392_3
; %bb.2:
	s_load_dwordx2 s[10:11], s[4:5], 0x28
	s_load_dwordx2 s[28:29], s[4:5], 0x40
	s_and_b64 s[36:37], s[8:9], exec
	s_cselect_b32 s14, s17, s18
	s_mov_b32 s31, 0x20000
	s_waitcnt lgkmcnt(0)
	s_cselect_b32 s17, s11, s35
	s_cselect_b32 s27, s10, s34
	s_mul_hi_i32 s11, s14, s6
	s_mul_i32 s10, s14, s6
	s_lshl_b64 s[10:11], s[10:11], 1
	s_add_u32 s36, s27, s10
	s_addc_u32 s14, s17, s11
	s_and_b64 s[10:11], s[8:9], exec
	s_cselect_b32 s28, s28, s20
	s_cselect_b32 s10, s29, s21
	v_lshlrev_b32_e32 v2, 4, v0
	s_and_b32 s37, s14, 0xffff
	s_mov_b32 s38, s30
	s_mov_b32 s39, s31
	s_and_b32 s29, s10, 0xffff
	buffer_load_dwordx4 v[14:17], v2, s[36:39], 0 offen glc slc
	buffer_load_dwordx4 v[10:13], v2, s[28:31], 0 offen
.LBB392_3:
	s_or_b64 exec, exec, s[2:3]
	s_load_dwordx2 s[10:11], s[4:5], 0x80
	s_and_b64 vcc, exec, s[22:23]
	s_cbranch_vccz .LBB392_7
; %bb.4:
	s_mov_b32 s36, 0
	s_mov_b32 s37, s36
	;; [unrolled: 1-line block ×8, first 2 shown]
	v_pk_mov_b32 v[2:3], s[36:37], s[36:37] op_sel:[0,1]
	v_pk_mov_b32 v[4:5], s[38:39], s[38:39] op_sel:[0,1]
	;; [unrolled: 1-line block ×4, first 2 shown]
	s_and_saveexec_b64 s[2:3], s[0:1]
	s_cbranch_execz .LBB392_6
; %bb.5:
	s_waitcnt vmcnt(1)
	v_cvt_f32_u32_sdwa v3, v14 dst_sel:DWORD dst_unused:UNUSED_PAD src0_sel:WORD_1
	v_cvt_f32_u32_sdwa v2, v14 dst_sel:DWORD dst_unused:UNUSED_PAD src0_sel:WORD_0
	v_cvt_f32_u32_sdwa v5, v15 dst_sel:DWORD dst_unused:UNUSED_PAD src0_sel:WORD_1
	v_cvt_f32_u32_sdwa v4, v15 dst_sel:DWORD dst_unused:UNUSED_PAD src0_sel:WORD_0
	;; [unrolled: 2-line block ×4, first 2 shown]
.LBB392_6:
	s_or_b64 exec, exec, s[2:3]
	s_cbranch_execz .LBB392_8
	s_branch .LBB392_11
.LBB392_7:
                                        ; implicit-def: $vgpr2_vgpr3_vgpr4_vgpr5_vgpr6_vgpr7_vgpr8_vgpr9
.LBB392_8:
	s_mov_b32 s36, 0
	s_mov_b32 s37, s36
	;; [unrolled: 1-line block ×8, first 2 shown]
	v_pk_mov_b32 v[2:3], s[36:37], s[36:37] op_sel:[0,1]
	v_pk_mov_b32 v[4:5], s[38:39], s[38:39] op_sel:[0,1]
	;; [unrolled: 1-line block ×4, first 2 shown]
	s_and_saveexec_b64 s[2:3], s[0:1]
	s_cbranch_execz .LBB392_10
; %bb.9:
	s_load_dwordx2 s[28:29], s[4:5], 0x38
	s_mul_hi_i32 s37, s19, s6
	s_mul_i32 s36, s19, s6
	s_lshl_b64 s[36:37], s[36:37], 1
	s_mov_b32 s31, 0x20000
	s_waitcnt lgkmcnt(0)
	s_add_u32 s28, s28, s36
	s_addc_u32 s14, s29, s37
	s_and_b32 s29, s14, 0xffff
	v_lshlrev_b32_e32 v26, 4, v0
	buffer_load_dwordx4 v[2:5], v26, s[28:31], 0 offen glc slc
	s_load_dwordx2 s[28:29], s[4:5], 0x20
	s_waitcnt vmcnt(2)
	v_cvt_f32_u32_sdwa v7, v14 dst_sel:DWORD dst_unused:UNUSED_PAD src0_sel:WORD_1
	v_cvt_f32_u32_sdwa v6, v14 dst_sel:DWORD dst_unused:UNUSED_PAD src0_sel:WORD_0
	v_cvt_f32_u32_sdwa v9, v15 dst_sel:DWORD dst_unused:UNUSED_PAD src0_sel:WORD_1
	v_cvt_f32_u32_sdwa v8, v15 dst_sel:DWORD dst_unused:UNUSED_PAD src0_sel:WORD_0
	;; [unrolled: 2-line block ×4, first 2 shown]
	s_mul_hi_i32 s37, s11, s6
	s_mul_i32 s36, s11, s6
	s_lshl_b64 s[36:37], s[36:37], 1
	s_waitcnt lgkmcnt(0)
	s_add_u32 s28, s28, s36
	s_mov_b32 s11, 0x7060302
	s_addc_u32 s14, s29, s37
	s_and_b32 s29, s14, 0xffff
	s_waitcnt vmcnt(0)
	v_cvt_f32_u32_sdwa v17, v2 dst_sel:DWORD dst_unused:UNUSED_PAD src0_sel:WORD_1
	v_cvt_f32_u32_sdwa v16, v2 dst_sel:DWORD dst_unused:UNUSED_PAD src0_sel:WORD_0
	v_cvt_f32_u32_sdwa v21, v3 dst_sel:DWORD dst_unused:UNUSED_PAD src0_sel:WORD_1
	v_cvt_f32_u32_sdwa v20, v3 dst_sel:DWORD dst_unused:UNUSED_PAD src0_sel:WORD_0
	v_cvt_f32_u32_sdwa v23, v4 dst_sel:DWORD dst_unused:UNUSED_PAD src0_sel:WORD_1
	v_cvt_f32_u32_sdwa v22, v4 dst_sel:DWORD dst_unused:UNUSED_PAD src0_sel:WORD_0
	v_cvt_f32_u32_sdwa v25, v5 dst_sel:DWORD dst_unused:UNUSED_PAD src0_sel:WORD_1
	v_cvt_f32_u32_sdwa v24, v5 dst_sel:DWORD dst_unused:UNUSED_PAD src0_sel:WORD_0
	v_pk_add_f32 v[2:3], v[6:7], v[16:17]
	v_pk_add_f32 v[4:5], v[8:9], v[20:21]
	;; [unrolled: 1-line block ×4, first 2 shown]
	v_perm_b32 v17, v9, v8, s11
	v_perm_b32 v16, v7, v6, s11
	;; [unrolled: 1-line block ×4, first 2 shown]
	buffer_store_dwordx4 v[14:17], v26, s[28:31], 0 offen glc slc
	;;#ASMSTART
	s_nop 0
	;;#ASMEND
.LBB392_10:
	s_or_b64 exec, exec, s[2:3]
.LBB392_11:
	s_waitcnt vmcnt(1)
	v_mul_f32_e32 v14, v3, v3
	v_fmac_f32_e32 v14, v2, v2
	v_fmac_f32_e32 v14, v4, v4
	;; [unrolled: 1-line block ×7, first 2 shown]
	v_and_b32_e32 v16, 63, v0
	v_cmp_eq_u32_e64 s[2:3], 63, v16
	v_mov_b32_dpp v15, v14 quad_perm:[1,0,3,2] row_mask:0xf bank_mask:0xf
	v_add_f32_e32 v14, v14, v15
	s_nop 1
	v_mov_b32_dpp v15, v14 quad_perm:[2,3,0,1] row_mask:0xf bank_mask:0xf
	v_add_f32_e32 v14, v14, v15
	s_nop 1
	v_mov_b32_dpp v15, v14 row_half_mirror row_mask:0xf bank_mask:0xf
	v_add_f32_e32 v14, v14, v15
	s_nop 1
	v_mov_b32_dpp v15, v14 row_mirror row_mask:0xf bank_mask:0xf
	v_add_f32_e32 v14, v14, v15
	s_nop 1
	v_mov_b32_dpp v15, v14 row_bcast:15 row_mask:0xf bank_mask:0xf
	v_add_f32_e32 v14, v14, v15
	s_nop 1
	v_mov_b32_dpp v15, v14 row_bcast:31 row_mask:0xf bank_mask:0xf
	s_and_saveexec_b64 s[28:29], s[2:3]
	s_cbranch_execz .LBB392_13
; %bb.12:
	v_add_f32_e32 v14, v14, v15
	v_lshrrev_b32_e32 v15, 4, v0
	v_and_b32_e32 v15, 60, v15
	ds_write_b32 v15, v14 offset:8
.LBB392_13:
	s_or_b64 exec, exec, s[28:29]
	v_and_b32_e32 v14, 1, v0
	v_lshlrev_b32_e32 v14, 2, v14
	s_waitcnt lgkmcnt(0)
	s_barrier
	ds_read_b32 v15, v14 offset:8
	s_load_dwordx2 s[36:37], s[4:5], 0x18
	s_waitcnt lgkmcnt(0)
	v_mov_b32_dpp v16, v15 quad_perm:[1,0,3,2] row_mask:0xf bank_mask:0xf
	s_and_saveexec_b64 s[28:29], s[0:1]
	s_cbranch_execnz .LBB392_18
; %bb.14:
	s_or_b64 exec, exec, s[28:29]
	s_mov_b64 s[8:9], -1
	s_and_b64 vcc, exec, s[22:23]
	s_cbranch_vccnz .LBB392_19
.LBB392_15:
	s_andn2_b64 vcc, exec, s[8:9]
	s_cbranch_vccz .LBB392_22
.LBB392_16:
	s_cmp_lt_i32 s16, 1
	s_cbranch_scc0 .LBB392_29
.LBB392_17:
	s_endpgm
.LBB392_18:
	v_cvt_f32_u32_e32 v17, s7
	v_add_f32_e32 v15, v15, v16
	v_mov_b32_e32 v19, s13
	v_mov_b32_e32 v20, s12
	v_div_scale_f32 v16, s[38:39], v17, v17, v15
	v_rcp_f32_e32 v18, v16
	v_cndmask_b32_e64 v19, v19, v20, s[8:9]
	s_mov_b32 s7, 0x800000
	v_fma_f32 v20, -v16, v18, 1.0
	v_fmac_f32_e32 v18, v20, v18
	v_div_scale_f32 v20, vcc, v15, v17, v15
	v_mul_f32_e32 v21, v20, v18
	v_fma_f32 v22, -v16, v21, v20
	v_fmac_f32_e32 v21, v22, v18
	v_fma_f32 v16, -v16, v21, v20
	v_div_fmas_f32 v16, v16, v18, v21
	v_div_fixup_f32 v15, v16, v17, v15
	v_add_f32_e32 v15, v19, v15
	v_mul_f32_e32 v16, 0x4b800000, v15
	v_cmp_gt_f32_e32 vcc, s7, v15
	v_cndmask_b32_e32 v15, v15, v16, vcc
	v_rsq_f32_e32 v15, v15
	s_waitcnt vmcnt(0)
	v_cvt_f32_u32_sdwa v19, v11 dst_sel:DWORD dst_unused:UNUSED_PAD src0_sel:WORD_1
	v_cvt_f32_u32_sdwa v18, v11 dst_sel:DWORD dst_unused:UNUSED_PAD src0_sel:WORD_0
	v_cvt_f32_u32_sdwa v11, v12 dst_sel:DWORD dst_unused:UNUSED_PAD src0_sel:WORD_1
	v_mul_f32_e32 v16, 0x45800000, v15
	v_cndmask_b32_e32 v16, v15, v16, vcc
	v_mov_b32_e32 v17, v16
	;;#ASMSTART
	v_pk_mul_f32 v[2:3], v[2:3], v[16:17]
	;;#ASMEND
	;;#ASMSTART
	v_pk_mul_f32 v[4:5], v[4:5], v[16:17]
	;;#ASMEND
	;; [unrolled: 3-line block ×4, first 2 shown]
	v_cvt_f32_u32_sdwa v17, v10 dst_sel:DWORD dst_unused:UNUSED_PAD src0_sel:WORD_1
	v_cvt_f32_u32_sdwa v16, v10 dst_sel:DWORD dst_unused:UNUSED_PAD src0_sel:WORD_0
	v_cvt_f32_u32_sdwa v10, v12 dst_sel:DWORD dst_unused:UNUSED_PAD src0_sel:WORD_0
	v_cvt_f32_u32_sdwa v21, v13 dst_sel:DWORD dst_unused:UNUSED_PAD src0_sel:WORD_1
	v_cvt_f32_u32_sdwa v20, v13 dst_sel:DWORD dst_unused:UNUSED_PAD src0_sel:WORD_0
	;;#ASMSTART
	v_pk_mul_f32 v[2:3], v[2:3], v[16:17]
	;;#ASMEND
	;;#ASMSTART
	v_pk_mul_f32 v[4:5], v[4:5], v[18:19]
	;;#ASMEND
	;; [unrolled: 3-line block ×4, first 2 shown]
	s_or_b64 exec, exec, s[28:29]
	s_mov_b64 s[8:9], -1
	s_and_b64 vcc, exec, s[22:23]
	s_cbranch_vccz .LBB392_15
.LBB392_19:
	s_and_saveexec_b64 s[8:9], s[0:1]
	s_cbranch_execz .LBB392_21
; %bb.20:
	s_mul_hi_i32 s23, s10, s6
	s_mul_i32 s22, s10, s6
	s_lshl_b64 s[22:23], s[22:23], 1
	s_add_u32 s28, s36, s22
	s_addc_u32 s7, s37, s23
	s_and_b32 s29, s7, 0xffff
	s_mov_b32 s7, 0x7060302
	s_mov_b32 s31, 0x20000
	s_waitcnt vmcnt(0)
	v_perm_b32 v10, v3, v2, s7
	v_perm_b32 v11, v5, v4, s7
	;; [unrolled: 1-line block ×4, first 2 shown]
	v_lshlrev_b32_e32 v15, 4, v0
	buffer_store_dwordx4 v[10:13], v15, s[28:31], 0 offen
	;;#ASMSTART
	s_nop 0
	;;#ASMEND
.LBB392_21:
	s_or_b64 exec, exec, s[8:9]
	s_cbranch_execnz .LBB392_16
.LBB392_22:
	s_waitcnt vmcnt(0)
	v_mov_b32_e32 v10, 0
	s_and_saveexec_b64 s[8:9], s[0:1]
	s_cbranch_execz .LBB392_24
; %bb.23:
	v_and_b32_e32 v2, 0x7fffffff, v2
	v_and_b32_e32 v3, 0x7fffffff, v3
	v_mov_b32_e32 v10, 0x2edbe6ff
	;;#ASMSTART
	v_max3_f32 v2, v10, v2, v3

	;;#ASMEND
	v_and_b32_e32 v3, 0x7fffffff, v4
	v_and_b32_e32 v4, 0x7fffffff, v5
	;;#ASMSTART
	v_max3_f32 v2, v2, v3, v4

	;;#ASMEND
	v_and_b32_e32 v3, 0x7fffffff, v6
	v_and_b32_e32 v4, 0x7fffffff, v7
	;; [unrolled: 6-line block ×3, first 2 shown]
	;;#ASMSTART
	v_max3_f32 v10, v2, v3, v4

	;;#ASMEND
.LBB392_24:
	s_or_b64 exec, exec, s[8:9]
	;;#ASMSTART
	v_max_f32 v2, v10, v10 quad_perm:[1,0,3,2] row_mask:0xf bank_mask:0xf bound_ctrl:1
	;;#ASMEND
	;;#ASMSTART
	v_max_f32 v3, v2, v2 quad_perm:[2,3,0,1] row_mask:0xf bank_mask:0xf bound_ctrl:1
	;;#ASMEND
	;;#ASMSTART
	v_max_f32 v2, v3, v3 row_half_mirror row_mask:0xf bank_mask:0xf bound_ctrl:1
	;;#ASMEND
	v_and_b32_e32 v3, 7, v0
	v_cmp_eq_u32_e32 vcc, 0, v3
	v_cmp_gt_i32_e64 s[8:9], s15, v1
	s_and_b64 s[22:23], vcc, s[8:9]
	s_and_saveexec_b64 s[8:9], s[22:23]
	s_cbranch_execz .LBB392_26
; %bb.25:
	s_load_dwordx2 s[22:23], s[4:5], 0x8
	v_mul_f32_e32 v2, 0x3e2aaaab, v2
	v_lshrrev_b32_e32 v3, 23, v2
	v_and_b32_e32 v4, 0x7f800000, v2
	v_and_b32_e32 v2, 0x7fffff, v2
	v_cmp_ne_u32_e32 vcc, 0, v2
	s_mul_i32 s12, s25, s6
	s_mov_b32 s7, 0x7f800000
	v_addc_co_u32_e32 v2, vcc, 0, v3, vcc
	s_mul_hi_i32 s11, s25, s6
	s_waitcnt lgkmcnt(0)
	s_add_u32 s22, s22, s12
	v_cmp_ne_u32_e32 vcc, s7, v4
	s_addc_u32 s23, s23, s11
	v_lshrrev_b32_e32 v5, 3, v0
	v_cndmask_b32_e32 v4, -1, v2, vcc
	v_pk_mov_b32 v[2:3], s[22:23], s[22:23] op_sel:[0,1]
	v_mad_i64_i32 v[2:3], s[22:23], s26, v5, v[2:3]
	global_store_byte v[2:3], v4, off
.LBB392_26:
	s_or_b64 exec, exec, s[8:9]
	s_and_saveexec_b64 s[8:9], s[0:1]
	s_cbranch_execz .LBB392_28
; %bb.27:
	s_load_dwordx2 s[0:1], s[4:5], 0x0
	s_mul_i32 s11, s24, s6
	s_mul_hi_i32 s7, s24, s6
	v_lshlrev_b32_e32 v2, 2, v0
	s_mov_b32 s27, 0x20000
	s_waitcnt lgkmcnt(0)
	s_add_u32 s24, s0, s11
	s_addc_u32 s0, s1, s7
	s_lshr_b32 s1, s15, 31
	s_add_i32 s1, s15, s1
	s_ashr_i32 s1, s1, 1
	s_add_i32 s1, s1, 3
	s_ashr_i32 s7, s1, 31
	s_lshr_b32 s7, s7, 30
	s_add_i32 s1, s1, s7
	s_and_b32 s26, s1, -4
	s_and_b32 s25, s0, 0xffff
	v_mov_b32_e32 v3, 0
	buffer_store_dword v3, v2, s[24:27], 0 offen
	;;#ASMSTART
	s_nop 0
	;;#ASMEND
.LBB392_28:
	s_or_b64 exec, exec, s[8:9]
	s_cmp_lt_i32 s16, 1
	s_cbranch_scc1 .LBB392_17
.LBB392_29:
	s_load_dword s0, s[4:5], 0x94
	s_waitcnt lgkmcnt(0)
	s_cmp_lg_u32 s0, 1
	s_cbranch_scc1 .LBB392_17
; %bb.30:
	s_lshl_b32 s0, s16, 1
	s_add_i32 s0, s0, 2
	v_cmp_gt_u32_e32 vcc, s16, v1
	s_and_b32 s22, s0, -4
	v_mov_b32_e32 v6, 0
	v_lshlrev_b32_e32 v1, 4, v0
	v_mov_b32_e32 v7, 0
	v_mov_b32_e32 v8, 0
	;; [unrolled: 1-line block ×7, first 2 shown]
	s_barrier
	s_and_saveexec_b64 s[0:1], vcc
	s_cbranch_execz .LBB392_32
; %bb.31:
	s_mul_hi_i32 s5, s18, s6
	s_mul_i32 s4, s18, s6
	s_and_b32 s21, s21, 0xffff
	s_lshl_b64 s[4:5], s[4:5], 1
	s_add_u32 s24, s34, s4
	s_mov_b32 s23, 0x20000
	s_addc_u32 s4, s35, s5
	s_and_b32 s25, s4, 0xffff
	s_mov_b32 s26, s22
	s_mov_b32 s27, s23
	buffer_load_dwordx4 v[6:9], v1, s[24:27], 0 offen glc slc
	buffer_load_dwordx4 v[2:5], v1, s[20:23], 0 offen
.LBB392_32:
	s_or_b64 exec, exec, s[0:1]
	s_waitcnt vmcnt(0)
	v_cvt_f32_u32_sdwa v13, v6 dst_sel:DWORD dst_unused:UNUSED_PAD src0_sel:WORD_1
	v_cvt_f32_u32_sdwa v12, v6 dst_sel:DWORD dst_unused:UNUSED_PAD src0_sel:WORD_0
	v_cvt_f32_u32_sdwa v6, v9 dst_sel:DWORD dst_unused:UNUSED_PAD src0_sel:WORD_1
	v_cvt_f32_u32_sdwa v9, v9 dst_sel:DWORD dst_unused:UNUSED_PAD src0_sel:WORD_0
	;; [unrolled: 2-line block ×4, first 2 shown]
	v_cndmask_b32_e32 v13, 0, v13, vcc
	v_cndmask_b32_e32 v7, 0, v6, vcc
	;; [unrolled: 1-line block ×5, first 2 shown]
	v_mul_f32_e32 v15, v13, v13
	v_cndmask_b32_e32 v10, 0, v10, vcc
	v_fmac_f32_e32 v15, v12, v12
	v_cndmask_b32_e32 v11, 0, v11, vcc
	v_fmac_f32_e32 v15, v10, v10
	;; [unrolled: 2-line block ×3, first 2 shown]
	v_fmac_f32_e32 v15, v8, v8
	v_fmac_f32_e32 v15, v9, v9
	v_fmac_f32_e32 v15, v6, v6
	v_fmac_f32_e32 v15, v7, v7
	s_nop 1
	v_mov_b32_dpp v16, v15 quad_perm:[1,0,3,2] row_mask:0xf bank_mask:0xf
	v_add_f32_e32 v15, v15, v16
	s_nop 1
	v_mov_b32_dpp v16, v15 quad_perm:[2,3,0,1] row_mask:0xf bank_mask:0xf
	v_add_f32_e32 v15, v15, v16
	s_nop 1
	v_mov_b32_dpp v16, v15 row_half_mirror row_mask:0xf bank_mask:0xf
	v_add_f32_e32 v15, v15, v16
	s_nop 1
	v_mov_b32_dpp v16, v15 row_mirror row_mask:0xf bank_mask:0xf
	v_add_f32_e32 v15, v15, v16
	s_nop 1
	v_mov_b32_dpp v16, v15 row_bcast:15 row_mask:0xf bank_mask:0xf
	v_add_f32_e32 v15, v15, v16
	s_nop 1
	v_mov_b32_dpp v16, v15 row_bcast:31 row_mask:0xf bank_mask:0xf
	s_and_saveexec_b64 s[0:1], s[2:3]
	s_cbranch_execz .LBB392_34
; %bb.33:
	v_lshrrev_b32_e32 v0, 4, v0
	v_add_f32_e32 v15, v15, v16
	v_and_b32_e32 v0, 60, v0
	ds_write_b32 v0, v15
.LBB392_34:
	s_or_b64 exec, exec, s[0:1]
	s_waitcnt lgkmcnt(0)
	s_barrier
	ds_read_b32 v0, v14
	s_waitcnt lgkmcnt(0)
	s_nop 0
	v_mov_b32_dpp v14, v0 quad_perm:[1,0,3,2] row_mask:0xf bank_mask:0xf
	s_and_saveexec_b64 s[0:1], vcc
	s_cbranch_execz .LBB392_17
; %bb.35:
	v_cvt_f32_u32_e32 v15, s16
	v_add_f32_e32 v0, v0, v14
	s_mov_b32 s23, 0x20000
	v_div_scale_f32 v14, s[0:1], v15, v15, v0
	v_rcp_f32_e32 v16, v14
	v_div_scale_f32 v17, vcc, v0, v15, v0
	s_mov_b32 s0, 0x800000
	v_fma_f32 v18, -v14, v16, 1.0
	v_fmac_f32_e32 v16, v18, v16
	v_mul_f32_e32 v18, v17, v16
	v_fma_f32 v19, -v14, v18, v17
	v_fmac_f32_e32 v18, v19, v16
	v_fma_f32 v14, -v14, v18, v17
	v_div_fmas_f32 v14, v14, v16, v18
	v_div_fixup_f32 v0, v14, v15, v0
	v_add_f32_e32 v0, s13, v0
	v_mul_f32_e32 v14, 0x4b800000, v0
	v_cmp_gt_f32_e32 vcc, s0, v0
	v_cndmask_b32_e32 v0, v0, v14, vcc
	v_rsq_f32_e32 v0, v0
	s_mul_hi_i32 s1, s10, s6
	s_mul_i32 s0, s10, s6
	s_lshl_b64 s[0:1], s[0:1], 1
	v_mul_f32_e32 v14, 0x45800000, v0
	v_cndmask_b32_e32 v14, v0, v14, vcc
	s_add_u32 s20, s36, s0
	v_mov_b32_e32 v15, v14
	s_addc_u32 s0, s37, s1
	;;#ASMSTART
	v_pk_mul_f32 v[12:13], v[12:13], v[14:15]
	;;#ASMEND
	;;#ASMSTART
	v_pk_mul_f32 v[10:11], v[10:11], v[14:15]
	;;#ASMEND
	;;#ASMSTART
	v_pk_mul_f32 v[8:9], v[8:9], v[14:15]
	;;#ASMEND
	;;#ASMSTART
	v_pk_mul_f32 v[6:7], v[6:7], v[14:15]
	;;#ASMEND
	v_cvt_f32_u32_sdwa v15, v2 dst_sel:DWORD dst_unused:UNUSED_PAD src0_sel:WORD_1
	v_cvt_f32_u32_sdwa v14, v2 dst_sel:DWORD dst_unused:UNUSED_PAD src0_sel:WORD_0
	v_cvt_f32_u32_sdwa v17, v3 dst_sel:DWORD dst_unused:UNUSED_PAD src0_sel:WORD_1
	v_cvt_f32_u32_sdwa v16, v3 dst_sel:DWORD dst_unused:UNUSED_PAD src0_sel:WORD_0
	;; [unrolled: 2-line block ×4, first 2 shown]
	;;#ASMSTART
	v_pk_mul_f32 v[4:5], v[12:13], v[14:15]
	;;#ASMEND
	s_and_b32 s21, s0, 0xffff
	s_mov_b32 s0, 0x7060302
	;;#ASMSTART
	v_pk_mul_f32 v[10:11], v[10:11], v[16:17]
	;;#ASMEND
	;;#ASMSTART
	v_pk_mul_f32 v[8:9], v[8:9], v[2:3]
	;;#ASMEND
	;; [unrolled: 3-line block ×3, first 2 shown]
	v_perm_b32 v2, v5, v4, s0
	v_perm_b32 v3, v11, v10, s0
	;; [unrolled: 1-line block ×4, first 2 shown]
	buffer_store_dwordx4 v[2:5], v1, s[20:23], 0 offen
	;;#ASMSTART
	s_nop 0
	;;#ASMEND
	s_endpgm
	.section	.rodata,"a",@progbits
	.p2align	6, 0x0
	.amdhsa_kernel _ZN5aiter35fused_qk_rmsnorm_group_quant_kernelItN4opus5fp4_tELi128ELi8ELi8ELb1ELb0ELb0ELb0ELb0ELb0EEEvPT0_PvPT_S7_S7_PKS6_S9_S9_S9_S9_ffiiiiiiiiiiiii
		.amdhsa_group_segment_fixed_size 16
		.amdhsa_private_segment_fixed_size 0
		.amdhsa_kernarg_size 400
		.amdhsa_user_sgpr_count 6
		.amdhsa_user_sgpr_private_segment_buffer 1
		.amdhsa_user_sgpr_dispatch_ptr 0
		.amdhsa_user_sgpr_queue_ptr 0
		.amdhsa_user_sgpr_kernarg_segment_ptr 1
		.amdhsa_user_sgpr_dispatch_id 0
		.amdhsa_user_sgpr_flat_scratch_init 0
		.amdhsa_user_sgpr_kernarg_preload_length 0
		.amdhsa_user_sgpr_kernarg_preload_offset 0
		.amdhsa_user_sgpr_private_segment_size 0
		.amdhsa_uses_dynamic_stack 0
		.amdhsa_system_sgpr_private_segment_wavefront_offset 0
		.amdhsa_system_sgpr_workgroup_id_x 1
		.amdhsa_system_sgpr_workgroup_id_y 1
		.amdhsa_system_sgpr_workgroup_id_z 0
		.amdhsa_system_sgpr_workgroup_info 0
		.amdhsa_system_vgpr_workitem_id 0
		.amdhsa_next_free_vgpr 27
		.amdhsa_next_free_sgpr 44
		.amdhsa_accum_offset 28
		.amdhsa_reserve_vcc 1
		.amdhsa_reserve_flat_scratch 0
		.amdhsa_float_round_mode_32 0
		.amdhsa_float_round_mode_16_64 0
		.amdhsa_float_denorm_mode_32 3
		.amdhsa_float_denorm_mode_16_64 3
		.amdhsa_dx10_clamp 1
		.amdhsa_ieee_mode 1
		.amdhsa_fp16_overflow 0
		.amdhsa_tg_split 0
		.amdhsa_exception_fp_ieee_invalid_op 0
		.amdhsa_exception_fp_denorm_src 0
		.amdhsa_exception_fp_ieee_div_zero 0
		.amdhsa_exception_fp_ieee_overflow 0
		.amdhsa_exception_fp_ieee_underflow 0
		.amdhsa_exception_fp_ieee_inexact 0
		.amdhsa_exception_int_div_zero 0
	.end_amdhsa_kernel
	.section	.text._ZN5aiter35fused_qk_rmsnorm_group_quant_kernelItN4opus5fp4_tELi128ELi8ELi8ELb1ELb0ELb0ELb0ELb0ELb0EEEvPT0_PvPT_S7_S7_PKS6_S9_S9_S9_S9_ffiiiiiiiiiiiii,"axG",@progbits,_ZN5aiter35fused_qk_rmsnorm_group_quant_kernelItN4opus5fp4_tELi128ELi8ELi8ELb1ELb0ELb0ELb0ELb0ELb0EEEvPT0_PvPT_S7_S7_PKS6_S9_S9_S9_S9_ffiiiiiiiiiiiii,comdat
.Lfunc_end392:
	.size	_ZN5aiter35fused_qk_rmsnorm_group_quant_kernelItN4opus5fp4_tELi128ELi8ELi8ELb1ELb0ELb0ELb0ELb0ELb0EEEvPT0_PvPT_S7_S7_PKS6_S9_S9_S9_S9_ffiiiiiiiiiiiii, .Lfunc_end392-_ZN5aiter35fused_qk_rmsnorm_group_quant_kernelItN4opus5fp4_tELi128ELi8ELi8ELb1ELb0ELb0ELb0ELb0ELb0EEEvPT0_PvPT_S7_S7_PKS6_S9_S9_S9_S9_ffiiiiiiiiiiiii
                                        ; -- End function
	.section	.AMDGPU.csdata,"",@progbits
; Kernel info:
; codeLenInByte = 2708
; NumSgprs: 48
; NumVgprs: 27
; NumAgprs: 0
; TotalNumVgprs: 27
; ScratchSize: 0
; MemoryBound: 0
; FloatMode: 240
; IeeeMode: 1
; LDSByteSize: 16 bytes/workgroup (compile time only)
; SGPRBlocks: 5
; VGPRBlocks: 3
; NumSGPRsForWavesPerEU: 48
; NumVGPRsForWavesPerEU: 27
; AccumOffset: 28
; Occupancy: 8
; WaveLimiterHint : 0
; COMPUTE_PGM_RSRC2:SCRATCH_EN: 0
; COMPUTE_PGM_RSRC2:USER_SGPR: 6
; COMPUTE_PGM_RSRC2:TRAP_HANDLER: 0
; COMPUTE_PGM_RSRC2:TGID_X_EN: 1
; COMPUTE_PGM_RSRC2:TGID_Y_EN: 1
; COMPUTE_PGM_RSRC2:TGID_Z_EN: 0
; COMPUTE_PGM_RSRC2:TIDIG_COMP_CNT: 0
; COMPUTE_PGM_RSRC3_GFX90A:ACCUM_OFFSET: 6
; COMPUTE_PGM_RSRC3_GFX90A:TG_SPLIT: 0
	.section	.text._ZN5aiter35fused_qk_rmsnorm_group_quant_kernelIDF16_DB8_Li128ELi8ELi8ELb0ELb1ELb1ELb0ELb0ELb0EEEvPT0_PvPT_S6_S6_PKS5_S8_S8_S8_S8_ffiiiiiiiiiiiii,"axG",@progbits,_ZN5aiter35fused_qk_rmsnorm_group_quant_kernelIDF16_DB8_Li128ELi8ELi8ELb0ELb1ELb1ELb0ELb0ELb0EEEvPT0_PvPT_S6_S6_PKS5_S8_S8_S8_S8_ffiiiiiiiiiiiii,comdat
	.protected	_ZN5aiter35fused_qk_rmsnorm_group_quant_kernelIDF16_DB8_Li128ELi8ELi8ELb0ELb1ELb1ELb0ELb0ELb0EEEvPT0_PvPT_S6_S6_PKS5_S8_S8_S8_S8_ffiiiiiiiiiiiii ; -- Begin function _ZN5aiter35fused_qk_rmsnorm_group_quant_kernelIDF16_DB8_Li128ELi8ELi8ELb0ELb1ELb1ELb0ELb0ELb0EEEvPT0_PvPT_S6_S6_PKS5_S8_S8_S8_S8_ffiiiiiiiiiiiii
	.globl	_ZN5aiter35fused_qk_rmsnorm_group_quant_kernelIDF16_DB8_Li128ELi8ELi8ELb0ELb1ELb1ELb0ELb0ELb0EEEvPT0_PvPT_S6_S6_PKS5_S8_S8_S8_S8_ffiiiiiiiiiiiii
	.p2align	8
	.type	_ZN5aiter35fused_qk_rmsnorm_group_quant_kernelIDF16_DB8_Li128ELi8ELi8ELb0ELb1ELb1ELb0ELb0ELb0EEEvPT0_PvPT_S6_S6_PKS5_S8_S8_S8_S8_ffiiiiiiiiiiiii,@function
_ZN5aiter35fused_qk_rmsnorm_group_quant_kernelIDF16_DB8_Li128ELi8ELi8ELb0ELb1ELb1ELb0ELb0ELb0EEEvPT0_PvPT_S6_S6_PKS5_S8_S8_S8_S8_ffiiiiiiiiiiiii: ; @_ZN5aiter35fused_qk_rmsnorm_group_quant_kernelIDF16_DB8_Li128ELi8ELi8ELb0ELb1ELb1ELb0ELb0ELb0EEEvPT0_PvPT_S6_S6_PKS5_S8_S8_S8_S8_ffiiiiiiiiiiiii
; %bb.0:
	s_load_dwordx4 s[16:19], s[4:5], 0x50
	s_waitcnt lgkmcnt(0)
	s_cmp_ge_i32 s6, s18
	s_cbranch_scc1 .LBB393_12
; %bb.1:
	s_load_dwordx2 s[12:13], s[4:5], 0x48
	s_load_dwordx2 s[30:31], s[4:5], 0x30
	s_load_dwordx4 s[20:23], s[4:5], 0x60
	s_cmp_lg_u32 s7, 0
	s_cselect_b64 s[14:15], -1, 0
	s_cmp_eq_u32 s7, 0
	s_cselect_b64 vcc, -1, 0
	s_and_b64 s[0:1], vcc, exec
	s_waitcnt lgkmcnt(0)
	s_cselect_b32 s7, s19, s20
	s_add_i32 s0, s7, 1
	s_lshr_b32 s1, s0, 31
	s_add_i32 s0, s0, s1
	s_lshl_b32 s0, s0, 1
	v_lshlrev_b32_e32 v1, 3, v0
	s_and_b32 s10, s0, -4
	v_cmp_gt_i32_e64 s[2:3], s7, v1
	v_mov_b32_e32 v10, 0
	v_mov_b32_e32 v2, 0
	;; [unrolled: 1-line block ×9, first 2 shown]
	s_and_saveexec_b64 s[0:1], s[2:3]
	s_cbranch_execz .LBB393_3
; %bb.2:
	s_load_dwordx2 s[8:9], s[4:5], 0x28
	s_load_dwordx2 s[26:27], s[4:5], 0x40
	s_and_b64 s[24:25], vcc, exec
	s_cselect_b32 s11, s21, s22
	v_lshlrev_b32_e32 v11, 4, v0
	s_waitcnt lgkmcnt(0)
	s_cselect_b32 s18, s9, s31
	s_cselect_b32 s21, s8, s30
	s_mul_hi_i32 s9, s11, s6
	s_mul_i32 s8, s11, s6
	s_lshl_b64 s[8:9], s[8:9], 1
	s_add_u32 s24, s21, s8
	s_addc_u32 s18, s18, s9
	s_and_b64 s[8:9], vcc, exec
	s_mov_b32 s11, 0x20000
	s_cselect_b32 s8, s26, s12
	s_cselect_b32 s9, s27, s13
	s_and_b32 s25, s18, 0xffff
	s_mov_b32 s26, s10
	s_mov_b32 s27, s11
	s_and_b32 s9, s9, 0xffff
	buffer_load_dwordx4 v[6:9], v11, s[24:27], 0 offen glc slc
	buffer_load_dwordx4 v[2:5], v11, s[8:11], 0 offen
.LBB393_3:
	s_or_b64 exec, exec, s[0:1]
	v_mov_b32_e32 v11, 0
	v_mov_b32_e32 v16, 0
	;; [unrolled: 1-line block ×7, first 2 shown]
	s_and_saveexec_b64 s[0:1], s[2:3]
	s_cbranch_execz .LBB393_5
; %bb.4:
	s_waitcnt vmcnt(1)
	v_cvt_f32_f16_sdwa v11, v6 dst_sel:DWORD dst_unused:UNUSED_PAD src0_sel:WORD_1
	v_cvt_f32_f16_e32 v10, v6
	v_cvt_f32_f16_sdwa v17, v7 dst_sel:DWORD dst_unused:UNUSED_PAD src0_sel:WORD_1
	v_cvt_f32_f16_e32 v16, v7
	;; [unrolled: 2-line block ×4, first 2 shown]
.LBB393_5:
	s_or_b64 exec, exec, s[0:1]
	s_waitcnt vmcnt(1)
	v_mul_f32_e32 v6, v11, v11
	v_fmac_f32_e32 v6, v10, v10
	v_fmac_f32_e32 v6, v16, v16
	;; [unrolled: 1-line block ×7, first 2 shown]
	v_and_b32_e32 v8, 63, v0
	v_cmp_eq_u32_e64 s[0:1], 63, v8
	v_mov_b32_dpp v7, v6 quad_perm:[1,0,3,2] row_mask:0xf bank_mask:0xf
	v_add_f32_e32 v6, v6, v7
	s_nop 1
	v_mov_b32_dpp v7, v6 quad_perm:[2,3,0,1] row_mask:0xf bank_mask:0xf
	v_add_f32_e32 v6, v6, v7
	s_nop 1
	v_mov_b32_dpp v7, v6 row_half_mirror row_mask:0xf bank_mask:0xf
	v_add_f32_e32 v6, v6, v7
	s_nop 1
	v_mov_b32_dpp v7, v6 row_mirror row_mask:0xf bank_mask:0xf
	v_add_f32_e32 v6, v6, v7
	s_nop 1
	v_mov_b32_dpp v7, v6 row_bcast:15 row_mask:0xf bank_mask:0xf
	v_add_f32_e32 v6, v6, v7
	s_nop 1
	v_mov_b32_dpp v7, v6 row_bcast:31 row_mask:0xf bank_mask:0xf
	s_and_saveexec_b64 s[8:9], s[0:1]
	s_cbranch_execz .LBB393_7
; %bb.6:
	v_add_f32_e32 v6, v6, v7
	v_lshrrev_b32_e32 v7, 4, v0
	v_and_b32_e32 v7, 60, v7
	ds_write_b32 v7, v6 offset:8
.LBB393_7:
	s_or_b64 exec, exec, s[8:9]
	v_and_b32_e32 v6, 1, v0
	v_lshlrev_b32_e32 v18, 2, v6
	s_waitcnt lgkmcnt(0)
	s_barrier
	ds_read_b32 v6, v18 offset:8
	s_load_dwordx2 s[28:29], s[4:5], 0x18
	s_waitcnt lgkmcnt(0)
	v_mov_b32_dpp v7, v6 quad_perm:[1,0,3,2] row_mask:0xf bank_mask:0xf
	s_and_saveexec_b64 s[8:9], s[2:3]
	s_cbranch_execz .LBB393_9
; %bb.8:
	v_cvt_f32_u32_e32 v8, s7
	v_add_f32_e32 v6, v6, v7
	v_mov_b32_e32 v19, s17
	v_mov_b32_e32 v20, s16
	v_div_scale_f32 v7, s[24:25], v8, v8, v6
	v_rcp_f32_e32 v9, v7
	v_cndmask_b32_e32 v19, v19, v20, vcc
	s_mov_b32 s7, 0x800000
	v_fma_f32 v20, -v7, v9, 1.0
	v_fmac_f32_e32 v9, v20, v9
	v_div_scale_f32 v20, vcc, v6, v8, v6
	v_mul_f32_e32 v21, v20, v9
	v_fma_f32 v22, -v7, v21, v20
	v_fmac_f32_e32 v21, v22, v9
	v_fma_f32 v7, -v7, v21, v20
	v_div_fmas_f32 v7, v7, v9, v21
	v_div_fixup_f32 v6, v7, v8, v6
	v_add_f32_e32 v6, v19, v6
	v_mul_f32_e32 v7, 0x4b800000, v6
	v_cmp_gt_f32_e32 vcc, s7, v6
	v_cndmask_b32_e32 v6, v6, v7, vcc
	v_rsq_f32_e32 v6, v6
	s_waitcnt vmcnt(0)
	v_cvt_f32_f16_sdwa v21, v3 dst_sel:DWORD dst_unused:UNUSED_PAD src0_sel:WORD_1
	v_cvt_f32_f16_e32 v20, v3
	v_mul_f32_e32 v7, 0x45800000, v6
	v_cndmask_b32_e32 v6, v6, v7, vcc
	v_mov_b32_e32 v7, v6
	;;#ASMSTART
	v_pk_mul_f32 v[8:9], v[10:11], v[6:7]
	;;#ASMEND
	v_cvt_f32_f16_sdwa v11, v2 dst_sel:DWORD dst_unused:UNUSED_PAD src0_sel:WORD_1
	v_cvt_f32_f16_e32 v10, v2
	;;#ASMSTART
	v_pk_mul_f32 v[16:17], v[16:17], v[6:7]
	;;#ASMEND
	;;#ASMSTART
	v_pk_mul_f32 v[14:15], v[14:15], v[6:7]
	;;#ASMEND
	;; [unrolled: 3-line block ×3, first 2 shown]
	v_pk_add_f32 v[6:7], v[10:11], 1.0 op_sel_hi:[1,0]
	;;#ASMSTART
	v_pk_mul_f32 v[10:11], v[8:9], v[6:7]
	;;#ASMEND
	v_cvt_f32_f16_sdwa v9, v4 dst_sel:DWORD dst_unused:UNUSED_PAD src0_sel:WORD_1
	v_cvt_f32_f16_e32 v8, v4
	v_cvt_f32_f16_sdwa v13, v5 dst_sel:DWORD dst_unused:UNUSED_PAD src0_sel:WORD_1
	v_cvt_f32_f16_e32 v12, v5
	v_pk_add_f32 v[6:7], v[20:21], 1.0 op_sel_hi:[1,0]
	v_pk_add_f32 v[4:5], v[8:9], 1.0 op_sel_hi:[1,0]
	;;#ASMSTART
	v_pk_mul_f32 v[16:17], v[16:17], v[6:7]
	;;#ASMEND
	;;#ASMSTART
	v_pk_mul_f32 v[14:15], v[14:15], v[4:5]
	;;#ASMEND
	v_pk_add_f32 v[4:5], v[12:13], 1.0 op_sel_hi:[1,0]
	;;#ASMSTART
	v_pk_mul_f32 v[12:13], v[2:3], v[4:5]
	;;#ASMEND
.LBB393_9:
	s_or_b64 exec, exec, s[8:9]
	s_load_dword s7, s[4:5], 0x80
	s_mov_b64 s[8:9], -1
	s_and_b64 vcc, exec, s[14:15]
	s_cbranch_vccnz .LBB393_13
; %bb.10:
	s_andn2_b64 vcc, exec, s[8:9]
	s_cbranch_vccz .LBB393_16
.LBB393_11:
	s_cmp_lt_i32 s20, 1
	s_cbranch_scc0 .LBB393_25
.LBB393_12:
	s_endpgm
.LBB393_13:
	s_and_saveexec_b64 s[14:15], s[2:3]
	s_cbranch_execz .LBB393_15
; %bb.14:
	s_waitcnt lgkmcnt(0)
	s_mul_hi_i32 s9, s7, s6
	s_mul_i32 s8, s7, s6
	s_waitcnt vmcnt(0)
	v_cvt_f16_f32_e32 v2, v10
	v_cvt_f16_f32_e32 v3, v16
	;; [unrolled: 1-line block ×8, first 2 shown]
	s_lshl_b64 s[8:9], s[8:9], 1
	s_add_u32 s8, s28, s8
	s_addc_u32 s9, s29, s9
	s_and_b32 s9, s9, 0xffff
	s_mov_b32 s11, 0x20000
	v_pack_b32_f16 v5, v5, v6
	v_pack_b32_f16 v4, v4, v7
	;; [unrolled: 1-line block ×4, first 2 shown]
	v_lshlrev_b32_e32 v6, 4, v0
	buffer_store_dwordx4 v[2:5], v6, s[8:11], 0 offen
	;;#ASMSTART
	s_nop 0
	;;#ASMEND
.LBB393_15:
	s_or_b64 exec, exec, s[14:15]
	s_cbranch_execnz .LBB393_11
.LBB393_16:
	s_load_dwordx4 s[24:27], s[4:5], 0x70
	s_waitcnt vmcnt(0)
	v_mov_b32_e32 v2, 0
	s_and_saveexec_b64 s[14:15], s[2:3]
	s_cbranch_execz .LBB393_18
; %bb.17:
	s_load_dwordx2 s[8:9], s[4:5], 0x10
	s_waitcnt lgkmcnt(0)
	s_mul_hi_i32 s35, s27, s6
	s_mul_i32 s34, s27, s6
	v_cvt_f16_f32_e32 v2, v10
	v_cvt_f16_f32_e32 v3, v16
	;; [unrolled: 1-line block ×8, first 2 shown]
	s_lshl_b64 s[34:35], s[34:35], 1
	s_add_u32 s8, s8, s34
	s_addc_u32 s9, s9, s35
	s_mov_b32 s11, 0x20000
	s_and_b32 s9, s9, 0xffff
	v_pack_b32_f16 v5, v5, v6
	v_pack_b32_f16 v4, v4, v7
	;; [unrolled: 1-line block ×4, first 2 shown]
	v_lshlrev_b32_e32 v6, 4, v0
	buffer_store_dwordx4 v[2:5], v6, s[8:11], 0 offen
	;;#ASMSTART
	s_nop 0
	;;#ASMEND
	s_nop 0
	v_mov_b32_e32 v2, 0x2edbe6ff
.LBB393_18:
	s_or_b64 exec, exec, s[14:15]
	s_and_saveexec_b64 s[8:9], s[2:3]
	s_cbranch_execz .LBB393_20
; %bb.19:
	v_and_b32_e32 v3, 0x7fffffff, v10
	v_and_b32_e32 v4, 0x7fffffff, v11
	;;#ASMSTART
	v_max3_f32 v2, v2, v3, v4

	;;#ASMEND
	v_and_b32_e32 v3, 0x7fffffff, v16
	v_and_b32_e32 v4, 0x7fffffff, v17
	;;#ASMSTART
	v_max3_f32 v2, v2, v3, v4

	;;#ASMEND
	;; [unrolled: 6-line block ×4, first 2 shown]
.LBB393_20:
	s_or_b64 exec, exec, s[8:9]
	;;#ASMSTART
	v_max_f32 v3, v2, v2 quad_perm:[1,0,3,2] row_mask:0xf bank_mask:0xf bound_ctrl:1
	;;#ASMEND
	;;#ASMSTART
	v_max_f32 v2, v3, v3 quad_perm:[2,3,0,1] row_mask:0xf bank_mask:0xf bound_ctrl:1
	;;#ASMEND
	;;#ASMSTART
	v_max_f32 v3, v2, v2 row_half_mirror row_mask:0xf bank_mask:0xf bound_ctrl:1
	;;#ASMEND
	v_mul_f32_e32 v2, 0x3b124925, v3
	v_and_b32_e32 v3, 7, v0
	v_cmp_eq_u32_e32 vcc, 0, v3
	v_cmp_gt_i32_e64 s[8:9], s19, v1
	s_and_b64 s[10:11], vcc, s[8:9]
	s_and_saveexec_b64 s[8:9], s[10:11]
	s_cbranch_execz .LBB393_22
; %bb.21:
	s_load_dwordx2 s[10:11], s[4:5], 0x8
	s_waitcnt lgkmcnt(0)
	s_mul_hi_i32 s15, s25, s6
	s_mul_i32 s14, s25, s6
	v_lshrrev_b32_e32 v3, 3, v0
	s_lshl_b64 s[14:15], s[14:15], 2
	v_mad_i64_i32 v[4:5], s[26:27], s26, v3, 0
	s_add_u32 s10, s10, s14
	s_addc_u32 s11, s11, s15
	v_lshlrev_b64 v[4:5], 2, v[4:5]
	v_mov_b32_e32 v3, s11
	v_add_co_u32_e32 v4, vcc, s10, v4
	v_addc_co_u32_e32 v5, vcc, v3, v5, vcc
	global_store_dword v[4:5], v2, off
.LBB393_22:
	s_or_b64 exec, exec, s[8:9]
	;;#ASMSTART
	v_rcp_f32 v2, v2
	;;#ASMEND
	s_and_saveexec_b64 s[14:15], s[2:3]
	s_cbranch_execz .LBB393_24
; %bb.23:
	s_load_dwordx2 s[2:3], s[4:5], 0x0
	s_waitcnt lgkmcnt(0)
	s_mul_i32 s8, s24, s6
	s_mul_hi_i32 s9, s24, s6
	v_mov_b32_e32 v3, v2
	;;#ASMSTART
	v_pk_mul_f32 v[4:5], v[10:11], v[2:3]
	;;#ASMEND
	s_add_u32 s8, s2, s8
	s_addc_u32 s2, s3, s9
	s_add_i32 s3, s19, 3
	s_ashr_i32 s9, s3, 31
	v_mov_b32_e32 v8, 0xc3e00000
	v_mov_b32_e32 v9, 0x43e00000
	;;#ASMSTART
	v_med3_f32 v4, v4, v8, v9
v_med3_f32 v5, v5, v8, v9
v_cvt_pk_fp8_f32 v6, v4, v5
	;;#ASMEND
	s_lshr_b32 s9, s9, 30
	;;#ASMSTART
	v_pk_mul_f32 v[4:5], v[16:17], v[2:3]
	;;#ASMEND
	s_add_i32 s3, s3, s9
	s_and_b32 s9, s2, 0xffff
	;;#ASMSTART
	v_med3_f32 v4, v4, v8, v9
v_med3_f32 v5, v5, v8, v9
v_cvt_pk_fp8_f32 v7, v4, v5
	;;#ASMEND
	s_mov_b32 s2, 0x5040100
	v_perm_b32 v5, v7, v6, s2
	s_movk_i32 s2, 0xff
	v_and_b32_e32 v4, 0xffffff00, v7
	v_and_b32_sdwa v6, v5, s2 dst_sel:DWORD dst_unused:UNUSED_PAD src0_sel:WORD_1 src1_sel:DWORD
	s_mov_b32 s16, 0xffff
	v_or_b32_sdwa v4, v6, v4 dst_sel:WORD_1 dst_unused:UNUSED_PAD src0_sel:DWORD src1_sel:DWORD
	v_and_or_b32 v4, v5, s16, v4
	;;#ASMSTART
	v_pk_mul_f32 v[6:7], v[14:15], v[2:3]
	;;#ASMEND
	v_mov_b32_e32 v5, v7
	;;#ASMSTART
	v_med3_f32 v6, v6, v8, v9
v_med3_f32 v5, v5, v8, v9
v_cvt_pk_fp8_f32 v7, v6, v5
	;;#ASMEND
	;;#ASMSTART
	v_pk_mul_f32 v[2:3], v[12:13], v[2:3]
	;;#ASMEND
	;;#ASMSTART
	v_med3_f32 v2, v2, v8, v9
v_med3_f32 v3, v3, v8, v9
v_cvt_pk_fp8_f32 v5, v2, v3
	;;#ASMEND
	v_lshlrev_b32_e32 v2, 16, v5
	s_and_b32 s10, s3, -4
	s_mov_b32 s11, 0x20000
	v_and_or_b32 v5, v7, s16, v2
	buffer_store_dwordx2 v[4:5], v1, s[8:11], 0 offen
	;;#ASMSTART
	s_nop 0
	;;#ASMEND
.LBB393_24:
	s_or_b64 exec, exec, s[14:15]
	s_cmp_lt_i32 s20, 1
	s_cbranch_scc1 .LBB393_12
.LBB393_25:
	s_load_dword s2, s[4:5], 0x94
	s_waitcnt lgkmcnt(0)
	s_cmp_lg_u32 s2, 1
	s_cbranch_scc1 .LBB393_12
; %bb.26:
	s_lshl_b32 s2, s20, 1
	s_add_i32 s2, s2, 2
	v_cmp_gt_u32_e32 vcc, s20, v1
	s_and_b32 s14, s2, -4
	v_mov_b32_e32 v10, 0
	v_lshlrev_b32_e32 v1, 4, v0
	v_mov_b32_e32 v6, 0
	v_mov_b32_e32 v7, 0
	;; [unrolled: 1-line block ×4, first 2 shown]
	s_waitcnt vmcnt(0)
	v_mov_b32_e32 v2, 0
	v_mov_b32_e32 v3, 0
	v_mov_b32_e32 v4, 0
	v_mov_b32_e32 v5, 0
	s_barrier
	s_and_saveexec_b64 s[2:3], vcc
	s_cbranch_execz .LBB393_28
; %bb.27:
	s_mul_hi_i32 s5, s22, s6
	s_mul_i32 s4, s22, s6
	s_and_b32 s13, s13, 0xffff
	s_lshl_b64 s[4:5], s[4:5], 1
	s_add_u32 s8, s30, s4
	s_mov_b32 s15, 0x20000
	s_addc_u32 s4, s31, s5
	s_and_b32 s9, s4, 0xffff
	s_mov_b32 s10, s14
	s_mov_b32 s11, s15
	buffer_load_dwordx4 v[6:9], v1, s[8:11], 0 offen glc slc
	buffer_load_dwordx4 v[2:5], v1, s[12:15], 0 offen
.LBB393_28:
	s_or_b64 exec, exec, s[2:3]
	v_mov_b32_e32 v11, 0
	v_mov_b32_e32 v16, 0
	;; [unrolled: 1-line block ×7, first 2 shown]
	s_and_saveexec_b64 s[2:3], vcc
	s_cbranch_execz .LBB393_30
; %bb.29:
	s_waitcnt vmcnt(1)
	v_cvt_f32_f16_sdwa v11, v6 dst_sel:DWORD dst_unused:UNUSED_PAD src0_sel:WORD_1
	v_cvt_f32_f16_e32 v10, v6
	v_cvt_f32_f16_sdwa v17, v7 dst_sel:DWORD dst_unused:UNUSED_PAD src0_sel:WORD_1
	v_cvt_f32_f16_e32 v16, v7
	;; [unrolled: 2-line block ×4, first 2 shown]
.LBB393_30:
	s_or_b64 exec, exec, s[2:3]
	s_waitcnt vmcnt(1)
	v_mul_f32_e32 v6, v11, v11
	v_fmac_f32_e32 v6, v10, v10
	v_fmac_f32_e32 v6, v16, v16
	;; [unrolled: 1-line block ×7, first 2 shown]
	s_nop 1
	v_mov_b32_dpp v7, v6 quad_perm:[1,0,3,2] row_mask:0xf bank_mask:0xf
	v_add_f32_e32 v6, v6, v7
	s_nop 1
	v_mov_b32_dpp v7, v6 quad_perm:[2,3,0,1] row_mask:0xf bank_mask:0xf
	v_add_f32_e32 v6, v6, v7
	s_nop 1
	v_mov_b32_dpp v7, v6 row_half_mirror row_mask:0xf bank_mask:0xf
	v_add_f32_e32 v6, v6, v7
	s_nop 1
	v_mov_b32_dpp v7, v6 row_mirror row_mask:0xf bank_mask:0xf
	v_add_f32_e32 v6, v6, v7
	s_nop 1
	v_mov_b32_dpp v7, v6 row_bcast:15 row_mask:0xf bank_mask:0xf
	v_add_f32_e32 v6, v6, v7
	s_nop 1
	v_mov_b32_dpp v7, v6 row_bcast:31 row_mask:0xf bank_mask:0xf
	s_and_saveexec_b64 s[2:3], s[0:1]
	s_cbranch_execz .LBB393_32
; %bb.31:
	v_lshrrev_b32_e32 v0, 4, v0
	v_add_f32_e32 v6, v6, v7
	v_and_b32_e32 v0, 60, v0
	ds_write_b32 v0, v6
.LBB393_32:
	s_or_b64 exec, exec, s[2:3]
	s_waitcnt lgkmcnt(0)
	s_barrier
	ds_read_b32 v0, v18
	s_waitcnt lgkmcnt(0)
	s_nop 0
	v_mov_b32_dpp v6, v0 quad_perm:[1,0,3,2] row_mask:0xf bank_mask:0xf
	s_and_saveexec_b64 s[0:1], vcc
	s_cbranch_execz .LBB393_12
; %bb.33:
	v_cvt_f32_u32_e32 v7, s20
	v_add_f32_e32 v0, v0, v6
	s_mov_b32 s15, 0x20000
	v_div_scale_f32 v6, s[0:1], v7, v7, v0
	v_rcp_f32_e32 v8, v6
	v_div_scale_f32 v9, vcc, v0, v7, v0
	s_mov_b32 s0, 0x800000
	v_fma_f32 v18, -v6, v8, 1.0
	v_fmac_f32_e32 v8, v18, v8
	v_mul_f32_e32 v18, v9, v8
	v_fma_f32 v19, -v6, v18, v9
	v_fmac_f32_e32 v18, v19, v8
	v_fma_f32 v6, -v6, v18, v9
	v_div_fmas_f32 v6, v6, v8, v18
	v_div_fixup_f32 v0, v6, v7, v0
	v_add_f32_e32 v0, s17, v0
	v_mul_f32_e32 v6, 0x4b800000, v0
	v_cmp_gt_f32_e32 vcc, s0, v0
	v_cndmask_b32_e32 v0, v0, v6, vcc
	v_rsq_f32_e32 v0, v0
	s_waitcnt vmcnt(0)
	v_cvt_f32_f16_sdwa v19, v3 dst_sel:DWORD dst_unused:UNUSED_PAD src0_sel:WORD_1
	v_cvt_f32_f16_e32 v18, v3
	s_mul_hi_i32 s1, s7, s6
	v_mul_f32_e32 v6, 0x45800000, v0
	v_cndmask_b32_e32 v6, v0, v6, vcc
	v_mov_b32_e32 v7, v6
	;;#ASMSTART
	v_pk_mul_f32 v[8:9], v[10:11], v[6:7]
	;;#ASMEND
	;;#ASMSTART
	v_pk_mul_f32 v[10:11], v[16:17], v[6:7]
	;;#ASMEND
	v_cvt_f32_f16_sdwa v17, v2 dst_sel:DWORD dst_unused:UNUSED_PAD src0_sel:WORD_1
	v_cvt_f32_f16_e32 v16, v2
	;;#ASMSTART
	v_pk_mul_f32 v[14:15], v[14:15], v[6:7]
	;;#ASMEND
	;;#ASMSTART
	v_pk_mul_f32 v[2:3], v[12:13], v[6:7]
	;;#ASMEND
	v_cvt_f32_f16_sdwa v13, v4 dst_sel:DWORD dst_unused:UNUSED_PAD src0_sel:WORD_1
	v_cvt_f32_f16_e32 v12, v4
	v_pk_add_f32 v[6:7], v[16:17], 1.0 op_sel_hi:[1,0]
	v_cvt_f32_f16_sdwa v17, v5 dst_sel:DWORD dst_unused:UNUSED_PAD src0_sel:WORD_1
	v_cvt_f32_f16_e32 v16, v5
	;;#ASMSTART
	v_pk_mul_f32 v[6:7], v[8:9], v[6:7]
	;;#ASMEND
	v_pk_add_f32 v[8:9], v[18:19], 1.0 op_sel_hi:[1,0]
	;;#ASMSTART
	v_pk_mul_f32 v[4:5], v[10:11], v[8:9]
	;;#ASMEND
	v_pk_add_f32 v[8:9], v[12:13], 1.0 op_sel_hi:[1,0]
	;; [unrolled: 4-line block ×3, first 2 shown]
	;;#ASMSTART
	v_pk_mul_f32 v[2:3], v[2:3], v[10:11]
	;;#ASMEND
	s_mul_i32 s0, s7, s6
	v_cvt_f16_f32_e32 v0, v6
	v_cvt_f16_f32_e32 v6, v7
	;; [unrolled: 1-line block ×8, first 2 shown]
	s_lshl_b64 s[0:1], s[0:1], 1
	s_add_u32 s12, s28, s0
	s_addc_u32 s0, s29, s1
	s_and_b32 s13, s0, 0xffff
	v_pack_b32_f16 v2, v0, v6
	v_pack_b32_f16 v3, v4, v5
	;; [unrolled: 1-line block ×4, first 2 shown]
	buffer_store_dwordx4 v[2:5], v1, s[12:15], 0 offen
	;;#ASMSTART
	s_nop 0
	;;#ASMEND
	s_endpgm
	.section	.rodata,"a",@progbits
	.p2align	6, 0x0
	.amdhsa_kernel _ZN5aiter35fused_qk_rmsnorm_group_quant_kernelIDF16_DB8_Li128ELi8ELi8ELb0ELb1ELb1ELb0ELb0ELb0EEEvPT0_PvPT_S6_S6_PKS5_S8_S8_S8_S8_ffiiiiiiiiiiiii
		.amdhsa_group_segment_fixed_size 16
		.amdhsa_private_segment_fixed_size 0
		.amdhsa_kernarg_size 400
		.amdhsa_user_sgpr_count 6
		.amdhsa_user_sgpr_private_segment_buffer 1
		.amdhsa_user_sgpr_dispatch_ptr 0
		.amdhsa_user_sgpr_queue_ptr 0
		.amdhsa_user_sgpr_kernarg_segment_ptr 1
		.amdhsa_user_sgpr_dispatch_id 0
		.amdhsa_user_sgpr_flat_scratch_init 0
		.amdhsa_user_sgpr_kernarg_preload_length 0
		.amdhsa_user_sgpr_kernarg_preload_offset 0
		.amdhsa_user_sgpr_private_segment_size 0
		.amdhsa_uses_dynamic_stack 0
		.amdhsa_system_sgpr_private_segment_wavefront_offset 0
		.amdhsa_system_sgpr_workgroup_id_x 1
		.amdhsa_system_sgpr_workgroup_id_y 1
		.amdhsa_system_sgpr_workgroup_id_z 0
		.amdhsa_system_sgpr_workgroup_info 0
		.amdhsa_system_vgpr_workitem_id 0
		.amdhsa_next_free_vgpr 23
		.amdhsa_next_free_sgpr 36
		.amdhsa_accum_offset 24
		.amdhsa_reserve_vcc 1
		.amdhsa_reserve_flat_scratch 0
		.amdhsa_float_round_mode_32 0
		.amdhsa_float_round_mode_16_64 0
		.amdhsa_float_denorm_mode_32 3
		.amdhsa_float_denorm_mode_16_64 3
		.amdhsa_dx10_clamp 1
		.amdhsa_ieee_mode 1
		.amdhsa_fp16_overflow 0
		.amdhsa_tg_split 0
		.amdhsa_exception_fp_ieee_invalid_op 0
		.amdhsa_exception_fp_denorm_src 0
		.amdhsa_exception_fp_ieee_div_zero 0
		.amdhsa_exception_fp_ieee_overflow 0
		.amdhsa_exception_fp_ieee_underflow 0
		.amdhsa_exception_fp_ieee_inexact 0
		.amdhsa_exception_int_div_zero 0
	.end_amdhsa_kernel
	.section	.text._ZN5aiter35fused_qk_rmsnorm_group_quant_kernelIDF16_DB8_Li128ELi8ELi8ELb0ELb1ELb1ELb0ELb0ELb0EEEvPT0_PvPT_S6_S6_PKS5_S8_S8_S8_S8_ffiiiiiiiiiiiii,"axG",@progbits,_ZN5aiter35fused_qk_rmsnorm_group_quant_kernelIDF16_DB8_Li128ELi8ELi8ELb0ELb1ELb1ELb0ELb0ELb0EEEvPT0_PvPT_S6_S6_PKS5_S8_S8_S8_S8_ffiiiiiiiiiiiii,comdat
.Lfunc_end393:
	.size	_ZN5aiter35fused_qk_rmsnorm_group_quant_kernelIDF16_DB8_Li128ELi8ELi8ELb0ELb1ELb1ELb0ELb0ELb0EEEvPT0_PvPT_S6_S6_PKS5_S8_S8_S8_S8_ffiiiiiiiiiiiii, .Lfunc_end393-_ZN5aiter35fused_qk_rmsnorm_group_quant_kernelIDF16_DB8_Li128ELi8ELi8ELb0ELb1ELb1ELb0ELb0ELb0EEEvPT0_PvPT_S6_S6_PKS5_S8_S8_S8_S8_ffiiiiiiiiiiiii
                                        ; -- End function
	.section	.AMDGPU.csdata,"",@progbits
; Kernel info:
; codeLenInByte = 2660
; NumSgprs: 40
; NumVgprs: 23
; NumAgprs: 0
; TotalNumVgprs: 23
; ScratchSize: 0
; MemoryBound: 0
; FloatMode: 240
; IeeeMode: 1
; LDSByteSize: 16 bytes/workgroup (compile time only)
; SGPRBlocks: 4
; VGPRBlocks: 2
; NumSGPRsForWavesPerEU: 40
; NumVGPRsForWavesPerEU: 23
; AccumOffset: 24
; Occupancy: 8
; WaveLimiterHint : 0
; COMPUTE_PGM_RSRC2:SCRATCH_EN: 0
; COMPUTE_PGM_RSRC2:USER_SGPR: 6
; COMPUTE_PGM_RSRC2:TRAP_HANDLER: 0
; COMPUTE_PGM_RSRC2:TGID_X_EN: 1
; COMPUTE_PGM_RSRC2:TGID_Y_EN: 1
; COMPUTE_PGM_RSRC2:TGID_Z_EN: 0
; COMPUTE_PGM_RSRC2:TIDIG_COMP_CNT: 0
; COMPUTE_PGM_RSRC3_GFX90A:ACCUM_OFFSET: 5
; COMPUTE_PGM_RSRC3_GFX90A:TG_SPLIT: 0
	.section	.text._ZN5aiter35fused_qk_rmsnorm_group_quant_kernelItDB8_Li128ELi8ELi8ELb0ELb1ELb1ELb0ELb0ELb0EEEvPT0_PvPT_S6_S6_PKS5_S8_S8_S8_S8_ffiiiiiiiiiiiii,"axG",@progbits,_ZN5aiter35fused_qk_rmsnorm_group_quant_kernelItDB8_Li128ELi8ELi8ELb0ELb1ELb1ELb0ELb0ELb0EEEvPT0_PvPT_S6_S6_PKS5_S8_S8_S8_S8_ffiiiiiiiiiiiii,comdat
	.protected	_ZN5aiter35fused_qk_rmsnorm_group_quant_kernelItDB8_Li128ELi8ELi8ELb0ELb1ELb1ELb0ELb0ELb0EEEvPT0_PvPT_S6_S6_PKS5_S8_S8_S8_S8_ffiiiiiiiiiiiii ; -- Begin function _ZN5aiter35fused_qk_rmsnorm_group_quant_kernelItDB8_Li128ELi8ELi8ELb0ELb1ELb1ELb0ELb0ELb0EEEvPT0_PvPT_S6_S6_PKS5_S8_S8_S8_S8_ffiiiiiiiiiiiii
	.globl	_ZN5aiter35fused_qk_rmsnorm_group_quant_kernelItDB8_Li128ELi8ELi8ELb0ELb1ELb1ELb0ELb0ELb0EEEvPT0_PvPT_S6_S6_PKS5_S8_S8_S8_S8_ffiiiiiiiiiiiii
	.p2align	8
	.type	_ZN5aiter35fused_qk_rmsnorm_group_quant_kernelItDB8_Li128ELi8ELi8ELb0ELb1ELb1ELb0ELb0ELb0EEEvPT0_PvPT_S6_S6_PKS5_S8_S8_S8_S8_ffiiiiiiiiiiiii,@function
_ZN5aiter35fused_qk_rmsnorm_group_quant_kernelItDB8_Li128ELi8ELi8ELb0ELb1ELb1ELb0ELb0ELb0EEEvPT0_PvPT_S6_S6_PKS5_S8_S8_S8_S8_ffiiiiiiiiiiiii: ; @_ZN5aiter35fused_qk_rmsnorm_group_quant_kernelItDB8_Li128ELi8ELi8ELb0ELb1ELb1ELb0ELb0ELb0EEEvPT0_PvPT_S6_S6_PKS5_S8_S8_S8_S8_ffiiiiiiiiiiiii
; %bb.0:
	s_load_dwordx4 s[16:19], s[4:5], 0x50
	s_waitcnt lgkmcnt(0)
	s_cmp_ge_i32 s6, s18
	s_cbranch_scc1 .LBB394_10
; %bb.1:
	s_load_dwordx2 s[12:13], s[4:5], 0x48
	s_load_dwordx2 s[30:31], s[4:5], 0x30
	s_load_dwordx4 s[20:23], s[4:5], 0x60
	s_cmp_lg_u32 s7, 0
	s_cselect_b64 s[14:15], -1, 0
	s_cmp_eq_u32 s7, 0
	s_cselect_b64 vcc, -1, 0
	s_and_b64 s[0:1], vcc, exec
	s_waitcnt lgkmcnt(0)
	s_cselect_b32 s7, s19, s20
	s_add_i32 s0, s7, 1
	s_lshr_b32 s1, s0, 31
	s_add_i32 s0, s0, s1
	s_lshl_b32 s0, s0, 1
	v_lshlrev_b32_e32 v1, 3, v0
	s_and_b32 s10, s0, -4
	v_cmp_gt_i32_e64 s[2:3], s7, v1
	v_mov_b32_e32 v2, 0
	v_mov_b32_e32 v3, 0
	;; [unrolled: 1-line block ×8, first 2 shown]
	s_and_saveexec_b64 s[0:1], s[2:3]
	s_cbranch_execz .LBB394_3
; %bb.2:
	s_load_dwordx2 s[8:9], s[4:5], 0x28
	s_load_dwordx2 s[26:27], s[4:5], 0x40
	s_and_b64 s[24:25], vcc, exec
	s_cselect_b32 s11, s21, s22
	v_lshlrev_b32_e32 v10, 4, v0
	s_waitcnt lgkmcnt(0)
	s_cselect_b32 s18, s9, s31
	s_cselect_b32 s21, s8, s30
	s_mul_hi_i32 s9, s11, s6
	s_mul_i32 s8, s11, s6
	s_lshl_b64 s[8:9], s[8:9], 1
	s_add_u32 s24, s21, s8
	s_addc_u32 s18, s18, s9
	s_and_b64 s[8:9], vcc, exec
	s_mov_b32 s11, 0x20000
	s_cselect_b32 s8, s26, s12
	s_cselect_b32 s9, s27, s13
	s_and_b32 s25, s18, 0xffff
	s_mov_b32 s26, s10
	s_mov_b32 s27, s11
	s_and_b32 s9, s9, 0xffff
	buffer_load_dwordx4 v[6:9], v10, s[24:27], 0 offen glc slc
	buffer_load_dwordx4 v[2:5], v10, s[8:11], 0 offen
.LBB394_3:
	s_or_b64 exec, exec, s[0:1]
	s_waitcnt vmcnt(1)
	v_cvt_f32_u32_sdwa v13, v6 dst_sel:DWORD dst_unused:UNUSED_PAD src0_sel:WORD_1
	v_cvt_f32_u32_sdwa v12, v6 dst_sel:DWORD dst_unused:UNUSED_PAD src0_sel:WORD_0
	v_cvt_f32_u32_sdwa v6, v9 dst_sel:DWORD dst_unused:UNUSED_PAD src0_sel:WORD_1
	v_cvt_f32_u32_sdwa v9, v9 dst_sel:DWORD dst_unused:UNUSED_PAD src0_sel:WORD_0
	;; [unrolled: 2-line block ×4, first 2 shown]
	v_cndmask_b32_e64 v13, 0, v13, s[2:3]
	v_cndmask_b32_e64 v7, 0, v6, s[2:3]
	;; [unrolled: 1-line block ×5, first 2 shown]
	v_mul_f32_e32 v14, v13, v13
	v_cndmask_b32_e64 v10, 0, v10, s[2:3]
	v_fmac_f32_e32 v14, v12, v12
	v_cndmask_b32_e64 v11, 0, v11, s[2:3]
	v_fmac_f32_e32 v14, v10, v10
	;; [unrolled: 2-line block ×3, first 2 shown]
	v_fmac_f32_e32 v14, v8, v8
	v_fmac_f32_e32 v14, v9, v9
	;; [unrolled: 1-line block ×4, first 2 shown]
	v_and_b32_e32 v16, 63, v0
	v_cmp_eq_u32_e64 s[0:1], 63, v16
	v_mov_b32_dpp v15, v14 quad_perm:[1,0,3,2] row_mask:0xf bank_mask:0xf
	v_add_f32_e32 v14, v14, v15
	s_nop 1
	v_mov_b32_dpp v15, v14 quad_perm:[2,3,0,1] row_mask:0xf bank_mask:0xf
	v_add_f32_e32 v14, v14, v15
	s_nop 1
	v_mov_b32_dpp v15, v14 row_half_mirror row_mask:0xf bank_mask:0xf
	v_add_f32_e32 v14, v14, v15
	s_nop 1
	v_mov_b32_dpp v15, v14 row_mirror row_mask:0xf bank_mask:0xf
	v_add_f32_e32 v14, v14, v15
	s_nop 1
	v_mov_b32_dpp v15, v14 row_bcast:15 row_mask:0xf bank_mask:0xf
	v_add_f32_e32 v14, v14, v15
	s_nop 1
	v_mov_b32_dpp v15, v14 row_bcast:31 row_mask:0xf bank_mask:0xf
	s_and_saveexec_b64 s[8:9], s[0:1]
	s_cbranch_execz .LBB394_5
; %bb.4:
	v_add_f32_e32 v14, v14, v15
	v_lshrrev_b32_e32 v15, 4, v0
	v_and_b32_e32 v15, 60, v15
	ds_write_b32 v15, v14 offset:8
.LBB394_5:
	s_or_b64 exec, exec, s[8:9]
	v_and_b32_e32 v14, 1, v0
	v_lshlrev_b32_e32 v14, 2, v14
	s_waitcnt lgkmcnt(0)
	s_barrier
	ds_read_b32 v15, v14 offset:8
	s_load_dwordx2 s[28:29], s[4:5], 0x18
	s_waitcnt lgkmcnt(0)
	v_mov_b32_dpp v16, v15 quad_perm:[1,0,3,2] row_mask:0xf bank_mask:0xf
	s_and_saveexec_b64 s[8:9], s[2:3]
	s_cbranch_execz .LBB394_7
; %bb.6:
	v_cvt_f32_u32_e32 v17, s7
	v_add_f32_e32 v15, v15, v16
	v_mov_b32_e32 v19, s17
	v_mov_b32_e32 v20, s16
	v_div_scale_f32 v16, s[24:25], v17, v17, v15
	v_rcp_f32_e32 v18, v16
	v_cndmask_b32_e32 v19, v19, v20, vcc
	s_mov_b32 s7, 0x800000
	v_fma_f32 v20, -v16, v18, 1.0
	v_fmac_f32_e32 v18, v20, v18
	v_div_scale_f32 v20, vcc, v15, v17, v15
	v_mul_f32_e32 v21, v20, v18
	v_fma_f32 v22, -v16, v21, v20
	v_fmac_f32_e32 v21, v22, v18
	v_fma_f32 v16, -v16, v21, v20
	v_div_fmas_f32 v16, v16, v18, v21
	v_div_fixup_f32 v15, v16, v17, v15
	v_add_f32_e32 v15, v19, v15
	v_mul_f32_e32 v16, 0x4b800000, v15
	v_cmp_gt_f32_e32 vcc, s7, v15
	v_cndmask_b32_e32 v15, v15, v16, vcc
	v_rsq_f32_e32 v15, v15
	s_waitcnt vmcnt(0)
	v_cvt_f32_u32_sdwa v19, v2 dst_sel:DWORD dst_unused:UNUSED_PAD src0_sel:WORD_1
	v_cvt_f32_u32_sdwa v18, v2 dst_sel:DWORD dst_unused:UNUSED_PAD src0_sel:WORD_0
	v_cvt_f32_u32_sdwa v21, v3 dst_sel:DWORD dst_unused:UNUSED_PAD src0_sel:WORD_1
	v_mul_f32_e32 v16, 0x45800000, v15
	v_cndmask_b32_e32 v16, v15, v16, vcc
	v_mov_b32_e32 v17, v16
	;;#ASMSTART
	v_pk_mul_f32 v[12:13], v[12:13], v[16:17]
	;;#ASMEND
	;;#ASMSTART
	v_pk_mul_f32 v[10:11], v[10:11], v[16:17]
	;;#ASMEND
	;; [unrolled: 3-line block ×3, first 2 shown]
	v_cvt_f32_u32_sdwa v20, v3 dst_sel:DWORD dst_unused:UNUSED_PAD src0_sel:WORD_0
	;;#ASMSTART
	v_pk_mul_f32 v[2:3], v[6:7], v[16:17]
	;;#ASMEND
	v_cvt_f32_u32_sdwa v17, v4 dst_sel:DWORD dst_unused:UNUSED_PAD src0_sel:WORD_1
	v_cvt_f32_u32_sdwa v16, v4 dst_sel:DWORD dst_unused:UNUSED_PAD src0_sel:WORD_0
	v_pk_add_f32 v[6:7], v[18:19], 1.0 op_sel_hi:[1,0]
	v_cvt_f32_u32_sdwa v19, v5 dst_sel:DWORD dst_unused:UNUSED_PAD src0_sel:WORD_1
	v_cvt_f32_u32_sdwa v18, v5 dst_sel:DWORD dst_unused:UNUSED_PAD src0_sel:WORD_0
	;;#ASMSTART
	v_pk_mul_f32 v[12:13], v[12:13], v[6:7]
	;;#ASMEND
	v_pk_add_f32 v[6:7], v[20:21], 1.0 op_sel_hi:[1,0]
	v_pk_add_f32 v[4:5], v[16:17], 1.0 op_sel_hi:[1,0]
	;;#ASMSTART
	v_pk_mul_f32 v[10:11], v[10:11], v[6:7]
	;;#ASMEND
	;;#ASMSTART
	v_pk_mul_f32 v[8:9], v[8:9], v[4:5]
	;;#ASMEND
	v_pk_add_f32 v[4:5], v[18:19], 1.0 op_sel_hi:[1,0]
	;;#ASMSTART
	v_pk_mul_f32 v[6:7], v[2:3], v[4:5]
	;;#ASMEND
.LBB394_7:
	s_or_b64 exec, exec, s[8:9]
	s_load_dword s7, s[4:5], 0x80
	s_mov_b64 s[8:9], -1
	s_and_b64 vcc, exec, s[14:15]
	s_cbranch_vccnz .LBB394_11
; %bb.8:
	s_andn2_b64 vcc, exec, s[8:9]
	s_cbranch_vccz .LBB394_14
.LBB394_9:
	s_cmp_lt_i32 s20, 1
	s_cbranch_scc0 .LBB394_23
.LBB394_10:
	s_endpgm
.LBB394_11:
	s_and_saveexec_b64 s[14:15], s[2:3]
	s_cbranch_execz .LBB394_13
; %bb.12:
	s_waitcnt lgkmcnt(0)
	s_mul_hi_i32 s9, s7, s6
	s_mul_i32 s8, s7, s6
	s_lshl_b64 s[8:9], s[8:9], 1
	s_add_u32 s8, s28, s8
	s_addc_u32 s9, s29, s9
	s_mov_b32 s16, 0x7060302
	s_and_b32 s9, s9, 0xffff
	s_mov_b32 s11, 0x20000
	s_waitcnt vmcnt(0)
	v_perm_b32 v2, v13, v12, s16
	v_perm_b32 v3, v11, v10, s16
	;; [unrolled: 1-line block ×4, first 2 shown]
	v_lshlrev_b32_e32 v15, 4, v0
	buffer_store_dwordx4 v[2:5], v15, s[8:11], 0 offen
	;;#ASMSTART
	s_nop 0
	;;#ASMEND
.LBB394_13:
	s_or_b64 exec, exec, s[14:15]
	s_cbranch_execnz .LBB394_9
.LBB394_14:
	s_load_dwordx4 s[24:27], s[4:5], 0x70
	s_waitcnt vmcnt(0)
	v_mov_b32_e32 v2, 0
	s_and_saveexec_b64 s[14:15], s[2:3]
	s_cbranch_execz .LBB394_16
; %bb.15:
	s_load_dwordx2 s[8:9], s[4:5], 0x10
	s_waitcnt lgkmcnt(0)
	s_mul_hi_i32 s35, s27, s6
	s_mul_i32 s34, s27, s6
	s_lshl_b64 s[34:35], s[34:35], 1
	s_mov_b32 s16, 0x7060302
	s_add_u32 s8, s8, s34
	s_addc_u32 s9, s9, s35
	s_mov_b32 s11, 0x20000
	s_and_b32 s9, s9, 0xffff
	v_perm_b32 v2, v13, v12, s16
	v_perm_b32 v3, v11, v10, s16
	;; [unrolled: 1-line block ×4, first 2 shown]
	v_lshlrev_b32_e32 v15, 4, v0
	buffer_store_dwordx4 v[2:5], v15, s[8:11], 0 offen
	;;#ASMSTART
	s_nop 0
	;;#ASMEND
	s_nop 0
	v_mov_b32_e32 v2, 0x2edbe6ff
.LBB394_16:
	s_or_b64 exec, exec, s[14:15]
	s_and_saveexec_b64 s[8:9], s[2:3]
	s_cbranch_execz .LBB394_18
; %bb.17:
	v_and_b32_e32 v3, 0x7fffffff, v12
	v_and_b32_e32 v4, 0x7fffffff, v13
	;;#ASMSTART
	v_max3_f32 v2, v2, v3, v4

	;;#ASMEND
	v_and_b32_e32 v3, 0x7fffffff, v10
	v_and_b32_e32 v4, 0x7fffffff, v11
	;;#ASMSTART
	v_max3_f32 v2, v2, v3, v4

	;;#ASMEND
	v_and_b32_e32 v3, 0x7fffffff, v8
	v_and_b32_e32 v4, 0x7fffffff, v9
	;;#ASMSTART
	v_max3_f32 v2, v2, v3, v4

	;;#ASMEND
	v_and_b32_e32 v3, 0x7fffffff, v6
	v_and_b32_e32 v4, 0x7fffffff, v7
	;;#ASMSTART
	v_max3_f32 v2, v2, v3, v4

	;;#ASMEND
.LBB394_18:
	s_or_b64 exec, exec, s[8:9]
	;;#ASMSTART
	v_max_f32 v3, v2, v2 quad_perm:[1,0,3,2] row_mask:0xf bank_mask:0xf bound_ctrl:1
	;;#ASMEND
	;;#ASMSTART
	v_max_f32 v2, v3, v3 quad_perm:[2,3,0,1] row_mask:0xf bank_mask:0xf bound_ctrl:1
	;;#ASMEND
	;;#ASMSTART
	v_max_f32 v3, v2, v2 row_half_mirror row_mask:0xf bank_mask:0xf bound_ctrl:1
	;;#ASMEND
	v_mul_f32_e32 v2, 0x3b124925, v3
	v_and_b32_e32 v3, 7, v0
	v_cmp_eq_u32_e32 vcc, 0, v3
	v_cmp_gt_i32_e64 s[8:9], s19, v1
	s_and_b64 s[10:11], vcc, s[8:9]
	s_and_saveexec_b64 s[8:9], s[10:11]
	s_cbranch_execz .LBB394_20
; %bb.19:
	s_load_dwordx2 s[10:11], s[4:5], 0x8
	s_waitcnt lgkmcnt(0)
	s_mul_hi_i32 s15, s25, s6
	s_mul_i32 s14, s25, s6
	v_lshrrev_b32_e32 v3, 3, v0
	s_lshl_b64 s[14:15], s[14:15], 2
	v_mad_i64_i32 v[4:5], s[26:27], s26, v3, 0
	s_add_u32 s10, s10, s14
	s_addc_u32 s11, s11, s15
	v_lshlrev_b64 v[4:5], 2, v[4:5]
	v_mov_b32_e32 v3, s11
	v_add_co_u32_e32 v4, vcc, s10, v4
	v_addc_co_u32_e32 v5, vcc, v3, v5, vcc
	global_store_dword v[4:5], v2, off
.LBB394_20:
	s_or_b64 exec, exec, s[8:9]
	;;#ASMSTART
	v_rcp_f32 v2, v2
	;;#ASMEND
	s_and_saveexec_b64 s[14:15], s[2:3]
	s_cbranch_execz .LBB394_22
; %bb.21:
	s_load_dwordx2 s[2:3], s[4:5], 0x0
	s_waitcnt lgkmcnt(0)
	s_mul_i32 s8, s24, s6
	s_mul_hi_i32 s9, s24, s6
	v_mov_b32_e32 v3, v2
	;;#ASMSTART
	v_pk_mul_f32 v[4:5], v[12:13], v[2:3]
	;;#ASMEND
	s_add_u32 s8, s2, s8
	s_addc_u32 s2, s3, s9
	s_add_i32 s3, s19, 3
	s_ashr_i32 s9, s3, 31
	v_mov_b32_e32 v12, 0xc3e00000
	v_mov_b32_e32 v13, 0x43e00000
	;;#ASMSTART
	v_med3_f32 v4, v4, v12, v13
v_med3_f32 v5, v5, v12, v13
v_cvt_pk_fp8_f32 v15, v4, v5
	;;#ASMEND
	s_lshr_b32 s9, s9, 30
	;;#ASMSTART
	v_pk_mul_f32 v[4:5], v[10:11], v[2:3]
	;;#ASMEND
	s_add_i32 s3, s3, s9
	s_and_b32 s9, s2, 0xffff
	;;#ASMSTART
	v_med3_f32 v4, v4, v12, v13
v_med3_f32 v5, v5, v12, v13
v_cvt_pk_fp8_f32 v10, v4, v5
	;;#ASMEND
	s_mov_b32 s2, 0x5040100
	v_perm_b32 v5, v10, v15, s2
	s_movk_i32 s2, 0xff
	v_and_b32_e32 v4, 0xffffff00, v10
	v_and_b32_sdwa v10, v5, s2 dst_sel:DWORD dst_unused:UNUSED_PAD src0_sel:WORD_1 src1_sel:DWORD
	s_mov_b32 s16, 0xffff
	v_or_b32_sdwa v4, v10, v4 dst_sel:WORD_1 dst_unused:UNUSED_PAD src0_sel:DWORD src1_sel:DWORD
	v_and_or_b32 v4, v5, s16, v4
	;;#ASMSTART
	v_pk_mul_f32 v[8:9], v[8:9], v[2:3]
	;;#ASMEND
	v_mov_b32_e32 v5, v8
	;;#ASMSTART
	v_med3_f32 v5, v5, v12, v13
v_med3_f32 v9, v9, v12, v13
v_cvt_pk_fp8_f32 v8, v5, v9
	;;#ASMEND
	;;#ASMSTART
	v_pk_mul_f32 v[2:3], v[6:7], v[2:3]
	;;#ASMEND
	;;#ASMSTART
	v_med3_f32 v2, v2, v12, v13
v_med3_f32 v3, v3, v12, v13
v_cvt_pk_fp8_f32 v5, v2, v3
	;;#ASMEND
	v_lshlrev_b32_e32 v2, 16, v5
	s_and_b32 s10, s3, -4
	s_mov_b32 s11, 0x20000
	v_and_or_b32 v5, v8, s16, v2
	buffer_store_dwordx2 v[4:5], v1, s[8:11], 0 offen
	;;#ASMSTART
	s_nop 0
	;;#ASMEND
.LBB394_22:
	s_or_b64 exec, exec, s[14:15]
	s_cmp_lt_i32 s20, 1
	s_cbranch_scc1 .LBB394_10
.LBB394_23:
	s_load_dword s2, s[4:5], 0x94
	s_waitcnt lgkmcnt(0)
	s_cmp_lg_u32 s2, 1
	s_cbranch_scc1 .LBB394_10
; %bb.24:
	s_lshl_b32 s2, s20, 1
	s_add_i32 s2, s2, 2
	v_cmp_gt_u32_e32 vcc, s20, v1
	s_and_b32 s14, s2, -4
	v_mov_b32_e32 v6, 0
	v_lshlrev_b32_e32 v1, 4, v0
	v_mov_b32_e32 v7, 0
	v_mov_b32_e32 v8, 0
	;; [unrolled: 1-line block ×3, first 2 shown]
	s_waitcnt vmcnt(0)
	v_mov_b32_e32 v2, 0
	v_mov_b32_e32 v3, 0
	v_mov_b32_e32 v4, 0
	v_mov_b32_e32 v5, 0
	s_barrier
	s_and_saveexec_b64 s[2:3], vcc
	s_cbranch_execz .LBB394_26
; %bb.25:
	s_mul_hi_i32 s5, s22, s6
	s_mul_i32 s4, s22, s6
	s_and_b32 s13, s13, 0xffff
	s_lshl_b64 s[4:5], s[4:5], 1
	s_add_u32 s8, s30, s4
	s_mov_b32 s15, 0x20000
	s_addc_u32 s4, s31, s5
	s_and_b32 s9, s4, 0xffff
	s_mov_b32 s10, s14
	s_mov_b32 s11, s15
	buffer_load_dwordx4 v[6:9], v1, s[8:11], 0 offen glc slc
	buffer_load_dwordx4 v[2:5], v1, s[12:15], 0 offen
.LBB394_26:
	s_or_b64 exec, exec, s[2:3]
	s_waitcnt vmcnt(1)
	v_cvt_f32_u32_sdwa v13, v6 dst_sel:DWORD dst_unused:UNUSED_PAD src0_sel:WORD_1
	v_cvt_f32_u32_sdwa v12, v6 dst_sel:DWORD dst_unused:UNUSED_PAD src0_sel:WORD_0
	v_cvt_f32_u32_sdwa v6, v9 dst_sel:DWORD dst_unused:UNUSED_PAD src0_sel:WORD_1
	v_cvt_f32_u32_sdwa v9, v9 dst_sel:DWORD dst_unused:UNUSED_PAD src0_sel:WORD_0
	;; [unrolled: 2-line block ×4, first 2 shown]
	v_cndmask_b32_e32 v13, 0, v13, vcc
	v_cndmask_b32_e32 v7, 0, v6, vcc
	;; [unrolled: 1-line block ×5, first 2 shown]
	v_mul_f32_e32 v15, v13, v13
	v_cndmask_b32_e32 v10, 0, v10, vcc
	v_fmac_f32_e32 v15, v12, v12
	v_cndmask_b32_e32 v11, 0, v11, vcc
	v_fmac_f32_e32 v15, v10, v10
	;; [unrolled: 2-line block ×3, first 2 shown]
	v_fmac_f32_e32 v15, v8, v8
	v_fmac_f32_e32 v15, v9, v9
	;; [unrolled: 1-line block ×4, first 2 shown]
	s_nop 1
	v_mov_b32_dpp v16, v15 quad_perm:[1,0,3,2] row_mask:0xf bank_mask:0xf
	v_add_f32_e32 v15, v15, v16
	s_nop 1
	v_mov_b32_dpp v16, v15 quad_perm:[2,3,0,1] row_mask:0xf bank_mask:0xf
	v_add_f32_e32 v15, v15, v16
	s_nop 1
	v_mov_b32_dpp v16, v15 row_half_mirror row_mask:0xf bank_mask:0xf
	v_add_f32_e32 v15, v15, v16
	s_nop 1
	v_mov_b32_dpp v16, v15 row_mirror row_mask:0xf bank_mask:0xf
	v_add_f32_e32 v15, v15, v16
	s_nop 1
	v_mov_b32_dpp v16, v15 row_bcast:15 row_mask:0xf bank_mask:0xf
	v_add_f32_e32 v15, v15, v16
	s_nop 1
	v_mov_b32_dpp v16, v15 row_bcast:31 row_mask:0xf bank_mask:0xf
	s_and_saveexec_b64 s[2:3], s[0:1]
	s_cbranch_execz .LBB394_28
; %bb.27:
	v_lshrrev_b32_e32 v0, 4, v0
	v_add_f32_e32 v15, v15, v16
	v_and_b32_e32 v0, 60, v0
	ds_write_b32 v0, v15
.LBB394_28:
	s_or_b64 exec, exec, s[2:3]
	s_waitcnt lgkmcnt(0)
	s_barrier
	ds_read_b32 v0, v14
	s_waitcnt lgkmcnt(0)
	s_nop 0
	v_mov_b32_dpp v14, v0 quad_perm:[1,0,3,2] row_mask:0xf bank_mask:0xf
	s_and_saveexec_b64 s[0:1], vcc
	s_cbranch_execz .LBB394_10
; %bb.29:
	v_cvt_f32_u32_e32 v15, s20
	v_add_f32_e32 v0, v0, v14
	s_mov_b32 s15, 0x20000
	v_div_scale_f32 v14, s[0:1], v15, v15, v0
	v_rcp_f32_e32 v16, v14
	v_div_scale_f32 v17, vcc, v0, v15, v0
	s_mov_b32 s0, 0x800000
	v_fma_f32 v18, -v14, v16, 1.0
	v_fmac_f32_e32 v16, v18, v16
	v_mul_f32_e32 v18, v17, v16
	v_fma_f32 v19, -v14, v18, v17
	v_fmac_f32_e32 v18, v19, v16
	v_fma_f32 v14, -v14, v18, v17
	v_div_fmas_f32 v14, v14, v16, v18
	v_div_fixup_f32 v0, v14, v15, v0
	v_add_f32_e32 v0, s17, v0
	v_mul_f32_e32 v14, 0x4b800000, v0
	v_cmp_gt_f32_e32 vcc, s0, v0
	v_cndmask_b32_e32 v0, v0, v14, vcc
	v_rsq_f32_e32 v0, v0
	s_waitcnt vmcnt(0)
	v_cvt_f32_u32_sdwa v17, v2 dst_sel:DWORD dst_unused:UNUSED_PAD src0_sel:WORD_1
	v_cvt_f32_u32_sdwa v16, v2 dst_sel:DWORD dst_unused:UNUSED_PAD src0_sel:WORD_0
	v_cvt_f32_u32_sdwa v19, v3 dst_sel:DWORD dst_unused:UNUSED_PAD src0_sel:WORD_1
	v_mul_f32_e32 v14, 0x45800000, v0
	v_cndmask_b32_e32 v14, v0, v14, vcc
	v_mov_b32_e32 v15, v14
	;;#ASMSTART
	v_pk_mul_f32 v[12:13], v[12:13], v[14:15]
	;;#ASMEND
	;;#ASMSTART
	v_pk_mul_f32 v[10:11], v[10:11], v[14:15]
	;;#ASMEND
	;; [unrolled: 3-line block ×3, first 2 shown]
	v_cvt_f32_u32_sdwa v18, v3 dst_sel:DWORD dst_unused:UNUSED_PAD src0_sel:WORD_0
	;;#ASMSTART
	v_pk_mul_f32 v[2:3], v[6:7], v[14:15]
	;;#ASMEND
	v_cvt_f32_u32_sdwa v15, v4 dst_sel:DWORD dst_unused:UNUSED_PAD src0_sel:WORD_1
	v_cvt_f32_u32_sdwa v14, v4 dst_sel:DWORD dst_unused:UNUSED_PAD src0_sel:WORD_0
	v_pk_add_f32 v[6:7], v[16:17], 1.0 op_sel_hi:[1,0]
	v_cvt_f32_u32_sdwa v17, v5 dst_sel:DWORD dst_unused:UNUSED_PAD src0_sel:WORD_1
	v_cvt_f32_u32_sdwa v16, v5 dst_sel:DWORD dst_unused:UNUSED_PAD src0_sel:WORD_0
	s_mul_hi_i32 s1, s7, s6
	s_mul_i32 s0, s7, s6
	s_lshl_b64 s[0:1], s[0:1], 1
	s_add_u32 s12, s28, s0
	;;#ASMSTART
	v_pk_mul_f32 v[6:7], v[12:13], v[6:7]
	;;#ASMEND
	v_pk_add_f32 v[12:13], v[18:19], 1.0 op_sel_hi:[1,0]
	;;#ASMSTART
	v_pk_mul_f32 v[4:5], v[10:11], v[12:13]
	;;#ASMEND
	v_pk_add_f32 v[10:11], v[14:15], 1.0 op_sel_hi:[1,0]
	s_addc_u32 s0, s29, s1
	;;#ASMSTART
	v_pk_mul_f32 v[8:9], v[8:9], v[10:11]
	;;#ASMEND
	v_pk_add_f32 v[10:11], v[16:17], 1.0 op_sel_hi:[1,0]
	s_and_b32 s13, s0, 0xffff
	s_mov_b32 s0, 0x7060302
	;;#ASMSTART
	v_pk_mul_f32 v[10:11], v[2:3], v[10:11]
	;;#ASMEND
	v_perm_b32 v2, v7, v6, s0
	v_perm_b32 v3, v5, v4, s0
	;; [unrolled: 1-line block ×4, first 2 shown]
	buffer_store_dwordx4 v[2:5], v1, s[12:15], 0 offen
	;;#ASMSTART
	s_nop 0
	;;#ASMEND
	s_endpgm
	.section	.rodata,"a",@progbits
	.p2align	6, 0x0
	.amdhsa_kernel _ZN5aiter35fused_qk_rmsnorm_group_quant_kernelItDB8_Li128ELi8ELi8ELb0ELb1ELb1ELb0ELb0ELb0EEEvPT0_PvPT_S6_S6_PKS5_S8_S8_S8_S8_ffiiiiiiiiiiiii
		.amdhsa_group_segment_fixed_size 16
		.amdhsa_private_segment_fixed_size 0
		.amdhsa_kernarg_size 400
		.amdhsa_user_sgpr_count 6
		.amdhsa_user_sgpr_private_segment_buffer 1
		.amdhsa_user_sgpr_dispatch_ptr 0
		.amdhsa_user_sgpr_queue_ptr 0
		.amdhsa_user_sgpr_kernarg_segment_ptr 1
		.amdhsa_user_sgpr_dispatch_id 0
		.amdhsa_user_sgpr_flat_scratch_init 0
		.amdhsa_user_sgpr_kernarg_preload_length 0
		.amdhsa_user_sgpr_kernarg_preload_offset 0
		.amdhsa_user_sgpr_private_segment_size 0
		.amdhsa_uses_dynamic_stack 0
		.amdhsa_system_sgpr_private_segment_wavefront_offset 0
		.amdhsa_system_sgpr_workgroup_id_x 1
		.amdhsa_system_sgpr_workgroup_id_y 1
		.amdhsa_system_sgpr_workgroup_id_z 0
		.amdhsa_system_sgpr_workgroup_info 0
		.amdhsa_system_vgpr_workitem_id 0
		.amdhsa_next_free_vgpr 23
		.amdhsa_next_free_sgpr 36
		.amdhsa_accum_offset 24
		.amdhsa_reserve_vcc 1
		.amdhsa_reserve_flat_scratch 0
		.amdhsa_float_round_mode_32 0
		.amdhsa_float_round_mode_16_64 0
		.amdhsa_float_denorm_mode_32 3
		.amdhsa_float_denorm_mode_16_64 3
		.amdhsa_dx10_clamp 1
		.amdhsa_ieee_mode 1
		.amdhsa_fp16_overflow 0
		.amdhsa_tg_split 0
		.amdhsa_exception_fp_ieee_invalid_op 0
		.amdhsa_exception_fp_denorm_src 0
		.amdhsa_exception_fp_ieee_div_zero 0
		.amdhsa_exception_fp_ieee_overflow 0
		.amdhsa_exception_fp_ieee_underflow 0
		.amdhsa_exception_fp_ieee_inexact 0
		.amdhsa_exception_int_div_zero 0
	.end_amdhsa_kernel
	.section	.text._ZN5aiter35fused_qk_rmsnorm_group_quant_kernelItDB8_Li128ELi8ELi8ELb0ELb1ELb1ELb0ELb0ELb0EEEvPT0_PvPT_S6_S6_PKS5_S8_S8_S8_S8_ffiiiiiiiiiiiii,"axG",@progbits,_ZN5aiter35fused_qk_rmsnorm_group_quant_kernelItDB8_Li128ELi8ELi8ELb0ELb1ELb1ELb0ELb0ELb0EEEvPT0_PvPT_S6_S6_PKS5_S8_S8_S8_S8_ffiiiiiiiiiiiii,comdat
.Lfunc_end394:
	.size	_ZN5aiter35fused_qk_rmsnorm_group_quant_kernelItDB8_Li128ELi8ELi8ELb0ELb1ELb1ELb0ELb0ELb0EEEvPT0_PvPT_S6_S6_PKS5_S8_S8_S8_S8_ffiiiiiiiiiiiii, .Lfunc_end394-_ZN5aiter35fused_qk_rmsnorm_group_quant_kernelItDB8_Li128ELi8ELi8ELb0ELb1ELb1ELb0ELb0ELb0EEEvPT0_PvPT_S6_S6_PKS5_S8_S8_S8_S8_ffiiiiiiiiiiiii
                                        ; -- End function
	.section	.AMDGPU.csdata,"",@progbits
; Kernel info:
; codeLenInByte = 2652
; NumSgprs: 40
; NumVgprs: 23
; NumAgprs: 0
; TotalNumVgprs: 23
; ScratchSize: 0
; MemoryBound: 0
; FloatMode: 240
; IeeeMode: 1
; LDSByteSize: 16 bytes/workgroup (compile time only)
; SGPRBlocks: 4
; VGPRBlocks: 2
; NumSGPRsForWavesPerEU: 40
; NumVGPRsForWavesPerEU: 23
; AccumOffset: 24
; Occupancy: 8
; WaveLimiterHint : 0
; COMPUTE_PGM_RSRC2:SCRATCH_EN: 0
; COMPUTE_PGM_RSRC2:USER_SGPR: 6
; COMPUTE_PGM_RSRC2:TRAP_HANDLER: 0
; COMPUTE_PGM_RSRC2:TGID_X_EN: 1
; COMPUTE_PGM_RSRC2:TGID_Y_EN: 1
; COMPUTE_PGM_RSRC2:TGID_Z_EN: 0
; COMPUTE_PGM_RSRC2:TIDIG_COMP_CNT: 0
; COMPUTE_PGM_RSRC3_GFX90A:ACCUM_OFFSET: 5
; COMPUTE_PGM_RSRC3_GFX90A:TG_SPLIT: 0
	.section	.text._ZN5aiter35fused_qk_rmsnorm_group_quant_kernelIDF16_N4opus5fp4_tELi128ELi8ELi8ELb0ELb1ELb1ELb0ELb0ELb0EEEvPT0_PvPT_S7_S7_PKS6_S9_S9_S9_S9_ffiiiiiiiiiiiii,"axG",@progbits,_ZN5aiter35fused_qk_rmsnorm_group_quant_kernelIDF16_N4opus5fp4_tELi128ELi8ELi8ELb0ELb1ELb1ELb0ELb0ELb0EEEvPT0_PvPT_S7_S7_PKS6_S9_S9_S9_S9_ffiiiiiiiiiiiii,comdat
	.protected	_ZN5aiter35fused_qk_rmsnorm_group_quant_kernelIDF16_N4opus5fp4_tELi128ELi8ELi8ELb0ELb1ELb1ELb0ELb0ELb0EEEvPT0_PvPT_S7_S7_PKS6_S9_S9_S9_S9_ffiiiiiiiiiiiii ; -- Begin function _ZN5aiter35fused_qk_rmsnorm_group_quant_kernelIDF16_N4opus5fp4_tELi128ELi8ELi8ELb0ELb1ELb1ELb0ELb0ELb0EEEvPT0_PvPT_S7_S7_PKS6_S9_S9_S9_S9_ffiiiiiiiiiiiii
	.globl	_ZN5aiter35fused_qk_rmsnorm_group_quant_kernelIDF16_N4opus5fp4_tELi128ELi8ELi8ELb0ELb1ELb1ELb0ELb0ELb0EEEvPT0_PvPT_S7_S7_PKS6_S9_S9_S9_S9_ffiiiiiiiiiiiii
	.p2align	8
	.type	_ZN5aiter35fused_qk_rmsnorm_group_quant_kernelIDF16_N4opus5fp4_tELi128ELi8ELi8ELb0ELb1ELb1ELb0ELb0ELb0EEEvPT0_PvPT_S7_S7_PKS6_S9_S9_S9_S9_ffiiiiiiiiiiiii,@function
_ZN5aiter35fused_qk_rmsnorm_group_quant_kernelIDF16_N4opus5fp4_tELi128ELi8ELi8ELb0ELb1ELb1ELb0ELb0ELb0EEEvPT0_PvPT_S7_S7_PKS6_S9_S9_S9_S9_ffiiiiiiiiiiiii: ; @_ZN5aiter35fused_qk_rmsnorm_group_quant_kernelIDF16_N4opus5fp4_tELi128ELi8ELi8ELb0ELb1ELb1ELb0ELb0ELb0EEEvPT0_PvPT_S7_S7_PKS6_S9_S9_S9_S9_ffiiiiiiiiiiiii
; %bb.0:
	s_load_dwordx4 s[16:19], s[4:5], 0x50
	s_waitcnt lgkmcnt(0)
	s_cmp_ge_i32 s6, s18
	s_cbranch_scc1 .LBB395_12
; %bb.1:
	s_load_dwordx2 s[12:13], s[4:5], 0x48
	s_load_dwordx2 s[30:31], s[4:5], 0x30
	s_load_dwordx4 s[20:23], s[4:5], 0x60
	s_cmp_lg_u32 s7, 0
	s_cselect_b64 s[14:15], -1, 0
	s_cmp_eq_u32 s7, 0
	s_cselect_b64 vcc, -1, 0
	s_and_b64 s[0:1], vcc, exec
	s_waitcnt lgkmcnt(0)
	s_cselect_b32 s7, s19, s20
	s_add_i32 s0, s7, 1
	s_lshr_b32 s1, s0, 31
	s_add_i32 s0, s0, s1
	s_lshl_b32 s0, s0, 1
	v_lshlrev_b32_e32 v1, 3, v0
	s_and_b32 s10, s0, -4
	v_cmp_gt_i32_e64 s[2:3], s7, v1
	v_mov_b32_e32 v10, 0
	v_mov_b32_e32 v2, 0
	;; [unrolled: 1-line block ×9, first 2 shown]
	s_and_saveexec_b64 s[0:1], s[2:3]
	s_cbranch_execz .LBB395_3
; %bb.2:
	s_load_dwordx2 s[8:9], s[4:5], 0x28
	s_load_dwordx2 s[26:27], s[4:5], 0x40
	s_and_b64 s[24:25], vcc, exec
	s_cselect_b32 s11, s21, s22
	v_lshlrev_b32_e32 v11, 4, v0
	s_waitcnt lgkmcnt(0)
	s_cselect_b32 s18, s9, s31
	s_cselect_b32 s21, s8, s30
	s_mul_hi_i32 s9, s11, s6
	s_mul_i32 s8, s11, s6
	s_lshl_b64 s[8:9], s[8:9], 1
	s_add_u32 s24, s21, s8
	s_addc_u32 s18, s18, s9
	s_and_b64 s[8:9], vcc, exec
	s_mov_b32 s11, 0x20000
	s_cselect_b32 s8, s26, s12
	s_cselect_b32 s9, s27, s13
	s_and_b32 s25, s18, 0xffff
	s_mov_b32 s26, s10
	s_mov_b32 s27, s11
	s_and_b32 s9, s9, 0xffff
	buffer_load_dwordx4 v[6:9], v11, s[24:27], 0 offen glc slc
	buffer_load_dwordx4 v[2:5], v11, s[8:11], 0 offen
.LBB395_3:
	s_or_b64 exec, exec, s[0:1]
	v_mov_b32_e32 v11, 0
	v_mov_b32_e32 v16, 0
	;; [unrolled: 1-line block ×7, first 2 shown]
	s_and_saveexec_b64 s[0:1], s[2:3]
	s_cbranch_execz .LBB395_5
; %bb.4:
	s_waitcnt vmcnt(1)
	v_cvt_f32_f16_sdwa v11, v6 dst_sel:DWORD dst_unused:UNUSED_PAD src0_sel:WORD_1
	v_cvt_f32_f16_e32 v10, v6
	v_cvt_f32_f16_sdwa v17, v7 dst_sel:DWORD dst_unused:UNUSED_PAD src0_sel:WORD_1
	v_cvt_f32_f16_e32 v16, v7
	;; [unrolled: 2-line block ×4, first 2 shown]
.LBB395_5:
	s_or_b64 exec, exec, s[0:1]
	s_waitcnt vmcnt(1)
	v_mul_f32_e32 v6, v11, v11
	v_fmac_f32_e32 v6, v10, v10
	v_fmac_f32_e32 v6, v16, v16
	;; [unrolled: 1-line block ×7, first 2 shown]
	v_and_b32_e32 v8, 63, v0
	v_cmp_eq_u32_e64 s[0:1], 63, v8
	v_mov_b32_dpp v7, v6 quad_perm:[1,0,3,2] row_mask:0xf bank_mask:0xf
	v_add_f32_e32 v6, v6, v7
	s_nop 1
	v_mov_b32_dpp v7, v6 quad_perm:[2,3,0,1] row_mask:0xf bank_mask:0xf
	v_add_f32_e32 v6, v6, v7
	s_nop 1
	v_mov_b32_dpp v7, v6 row_half_mirror row_mask:0xf bank_mask:0xf
	v_add_f32_e32 v6, v6, v7
	s_nop 1
	v_mov_b32_dpp v7, v6 row_mirror row_mask:0xf bank_mask:0xf
	v_add_f32_e32 v6, v6, v7
	s_nop 1
	v_mov_b32_dpp v7, v6 row_bcast:15 row_mask:0xf bank_mask:0xf
	v_add_f32_e32 v6, v6, v7
	s_nop 1
	v_mov_b32_dpp v7, v6 row_bcast:31 row_mask:0xf bank_mask:0xf
	s_and_saveexec_b64 s[8:9], s[0:1]
	s_cbranch_execz .LBB395_7
; %bb.6:
	v_add_f32_e32 v6, v6, v7
	v_lshrrev_b32_e32 v7, 4, v0
	v_and_b32_e32 v7, 60, v7
	ds_write_b32 v7, v6 offset:8
.LBB395_7:
	s_or_b64 exec, exec, s[8:9]
	v_and_b32_e32 v6, 1, v0
	v_lshlrev_b32_e32 v18, 2, v6
	s_waitcnt lgkmcnt(0)
	s_barrier
	ds_read_b32 v6, v18 offset:8
	s_load_dwordx2 s[28:29], s[4:5], 0x18
	s_waitcnt lgkmcnt(0)
	v_mov_b32_dpp v7, v6 quad_perm:[1,0,3,2] row_mask:0xf bank_mask:0xf
	s_and_saveexec_b64 s[8:9], s[2:3]
	s_cbranch_execz .LBB395_9
; %bb.8:
	v_cvt_f32_u32_e32 v8, s7
	v_add_f32_e32 v6, v6, v7
	v_mov_b32_e32 v19, s17
	v_mov_b32_e32 v20, s16
	v_div_scale_f32 v7, s[24:25], v8, v8, v6
	v_rcp_f32_e32 v9, v7
	v_cndmask_b32_e32 v19, v19, v20, vcc
	s_mov_b32 s7, 0x800000
	v_fma_f32 v20, -v7, v9, 1.0
	v_fmac_f32_e32 v9, v20, v9
	v_div_scale_f32 v20, vcc, v6, v8, v6
	v_mul_f32_e32 v21, v20, v9
	v_fma_f32 v22, -v7, v21, v20
	v_fmac_f32_e32 v21, v22, v9
	v_fma_f32 v7, -v7, v21, v20
	v_div_fmas_f32 v7, v7, v9, v21
	v_div_fixup_f32 v6, v7, v8, v6
	v_add_f32_e32 v6, v19, v6
	v_mul_f32_e32 v7, 0x4b800000, v6
	v_cmp_gt_f32_e32 vcc, s7, v6
	v_cndmask_b32_e32 v6, v6, v7, vcc
	v_rsq_f32_e32 v6, v6
	s_waitcnt vmcnt(0)
	v_cvt_f32_f16_sdwa v21, v3 dst_sel:DWORD dst_unused:UNUSED_PAD src0_sel:WORD_1
	v_cvt_f32_f16_e32 v20, v3
	v_mul_f32_e32 v7, 0x45800000, v6
	v_cndmask_b32_e32 v6, v6, v7, vcc
	v_mov_b32_e32 v7, v6
	;;#ASMSTART
	v_pk_mul_f32 v[8:9], v[10:11], v[6:7]
	;;#ASMEND
	v_cvt_f32_f16_sdwa v11, v2 dst_sel:DWORD dst_unused:UNUSED_PAD src0_sel:WORD_1
	v_cvt_f32_f16_e32 v10, v2
	;;#ASMSTART
	v_pk_mul_f32 v[16:17], v[16:17], v[6:7]
	;;#ASMEND
	;;#ASMSTART
	v_pk_mul_f32 v[14:15], v[14:15], v[6:7]
	;;#ASMEND
	;; [unrolled: 3-line block ×3, first 2 shown]
	v_pk_add_f32 v[6:7], v[10:11], 1.0 op_sel_hi:[1,0]
	;;#ASMSTART
	v_pk_mul_f32 v[10:11], v[8:9], v[6:7]
	;;#ASMEND
	v_cvt_f32_f16_sdwa v9, v4 dst_sel:DWORD dst_unused:UNUSED_PAD src0_sel:WORD_1
	v_cvt_f32_f16_e32 v8, v4
	v_cvt_f32_f16_sdwa v13, v5 dst_sel:DWORD dst_unused:UNUSED_PAD src0_sel:WORD_1
	v_cvt_f32_f16_e32 v12, v5
	v_pk_add_f32 v[6:7], v[20:21], 1.0 op_sel_hi:[1,0]
	v_pk_add_f32 v[4:5], v[8:9], 1.0 op_sel_hi:[1,0]
	;;#ASMSTART
	v_pk_mul_f32 v[16:17], v[16:17], v[6:7]
	;;#ASMEND
	;;#ASMSTART
	v_pk_mul_f32 v[14:15], v[14:15], v[4:5]
	;;#ASMEND
	v_pk_add_f32 v[4:5], v[12:13], 1.0 op_sel_hi:[1,0]
	;;#ASMSTART
	v_pk_mul_f32 v[12:13], v[2:3], v[4:5]
	;;#ASMEND
.LBB395_9:
	s_or_b64 exec, exec, s[8:9]
	s_load_dword s7, s[4:5], 0x80
	s_mov_b64 s[8:9], -1
	s_and_b64 vcc, exec, s[14:15]
	s_cbranch_vccnz .LBB395_13
; %bb.10:
	s_andn2_b64 vcc, exec, s[8:9]
	s_cbranch_vccz .LBB395_16
.LBB395_11:
	s_cmp_lt_i32 s20, 1
	s_cbranch_scc0 .LBB395_25
.LBB395_12:
	s_endpgm
.LBB395_13:
	s_and_saveexec_b64 s[14:15], s[2:3]
	s_cbranch_execz .LBB395_15
; %bb.14:
	s_waitcnt lgkmcnt(0)
	s_mul_hi_i32 s9, s7, s6
	s_mul_i32 s8, s7, s6
	s_waitcnt vmcnt(0)
	v_cvt_f16_f32_e32 v2, v10
	v_cvt_f16_f32_e32 v3, v16
	;; [unrolled: 1-line block ×8, first 2 shown]
	s_lshl_b64 s[8:9], s[8:9], 1
	s_add_u32 s8, s28, s8
	s_addc_u32 s9, s29, s9
	s_and_b32 s9, s9, 0xffff
	s_mov_b32 s11, 0x20000
	v_pack_b32_f16 v5, v5, v6
	v_pack_b32_f16 v4, v4, v7
	;; [unrolled: 1-line block ×4, first 2 shown]
	v_lshlrev_b32_e32 v6, 4, v0
	buffer_store_dwordx4 v[2:5], v6, s[8:11], 0 offen
	;;#ASMSTART
	s_nop 0
	;;#ASMEND
.LBB395_15:
	s_or_b64 exec, exec, s[14:15]
	s_cbranch_execnz .LBB395_11
.LBB395_16:
	s_load_dwordx4 s[24:27], s[4:5], 0x70
	s_waitcnt vmcnt(0)
	v_mov_b32_e32 v2, 0
	s_and_saveexec_b64 s[14:15], s[2:3]
	s_cbranch_execz .LBB395_18
; %bb.17:
	s_load_dwordx2 s[8:9], s[4:5], 0x10
	s_waitcnt lgkmcnt(0)
	s_mul_hi_i32 s35, s27, s6
	s_mul_i32 s34, s27, s6
	v_cvt_f16_f32_e32 v2, v10
	v_cvt_f16_f32_e32 v3, v16
	;; [unrolled: 1-line block ×8, first 2 shown]
	s_lshl_b64 s[34:35], s[34:35], 1
	s_add_u32 s8, s8, s34
	s_addc_u32 s9, s9, s35
	s_mov_b32 s11, 0x20000
	s_and_b32 s9, s9, 0xffff
	v_pack_b32_f16 v5, v5, v6
	v_pack_b32_f16 v4, v4, v7
	;; [unrolled: 1-line block ×4, first 2 shown]
	v_lshlrev_b32_e32 v6, 4, v0
	buffer_store_dwordx4 v[2:5], v6, s[8:11], 0 offen
	;;#ASMSTART
	s_nop 0
	;;#ASMEND
	s_nop 0
	v_mov_b32_e32 v2, 0x2edbe6ff
.LBB395_18:
	s_or_b64 exec, exec, s[14:15]
	s_and_saveexec_b64 s[8:9], s[2:3]
	s_cbranch_execz .LBB395_20
; %bb.19:
	v_and_b32_e32 v3, 0x7fffffff, v10
	v_and_b32_e32 v4, 0x7fffffff, v11
	;;#ASMSTART
	v_max3_f32 v2, v2, v3, v4

	;;#ASMEND
	v_and_b32_e32 v3, 0x7fffffff, v16
	v_and_b32_e32 v4, 0x7fffffff, v17
	;;#ASMSTART
	v_max3_f32 v2, v2, v3, v4

	;;#ASMEND
	;; [unrolled: 6-line block ×4, first 2 shown]
.LBB395_20:
	s_or_b64 exec, exec, s[8:9]
	;;#ASMSTART
	v_max_f32 v3, v2, v2 quad_perm:[1,0,3,2] row_mask:0xf bank_mask:0xf bound_ctrl:1
	;;#ASMEND
	;;#ASMSTART
	v_max_f32 v4, v3, v3 quad_perm:[2,3,0,1] row_mask:0xf bank_mask:0xf bound_ctrl:1
	;;#ASMEND
	v_and_b32_e32 v3, 7, v0
	v_cmp_eq_u32_e32 vcc, 0, v3
	v_cmp_gt_i32_e64 s[8:9], s19, v1
	s_and_b64 s[10:11], vcc, s[8:9]
	;;#ASMSTART
	v_max_f32 v2, v4, v4 row_half_mirror row_mask:0xf bank_mask:0xf bound_ctrl:1
	;;#ASMEND
	s_and_saveexec_b64 s[8:9], s[10:11]
	s_cbranch_execz .LBB395_22
; %bb.21:
	s_load_dwordx2 s[10:11], s[4:5], 0x8
	v_mul_f32_e32 v2, 0x3e2aaaab, v2
	v_lshrrev_b32_e32 v3, 23, v2
	v_and_b32_e32 v4, 0x7f800000, v2
	v_and_b32_e32 v2, 0x7fffff, v2
	v_cmp_ne_u32_e32 vcc, 0, v2
	s_waitcnt lgkmcnt(0)
	s_mul_i32 s16, s25, s6
	s_mov_b32 s14, 0x7f800000
	v_addc_co_u32_e32 v2, vcc, 0, v3, vcc
	s_mul_hi_i32 s15, s25, s6
	s_add_u32 s10, s10, s16
	v_cmp_ne_u32_e32 vcc, s14, v4
	s_addc_u32 s11, s11, s15
	v_lshrrev_b32_e32 v5, 3, v0
	v_cndmask_b32_e32 v4, -1, v2, vcc
	v_pk_mov_b32 v[2:3], s[10:11], s[10:11] op_sel:[0,1]
	v_mad_i64_i32 v[2:3], s[10:11], s26, v5, v[2:3]
	global_store_byte v[2:3], v4, off
.LBB395_22:
	s_or_b64 exec, exec, s[8:9]
	s_and_saveexec_b64 s[8:9], s[2:3]
	s_cbranch_execz .LBB395_24
; %bb.23:
	s_load_dwordx2 s[2:3], s[4:5], 0x0
	s_waitcnt lgkmcnt(0)
	s_mul_i32 s11, s24, s6
	s_mul_hi_i32 s10, s24, s6
	v_lshlrev_b32_e32 v2, 2, v0
	s_mov_b32 s27, 0x20000
	s_add_u32 s24, s2, s11
	s_addc_u32 s2, s3, s10
	s_lshr_b32 s3, s19, 31
	s_add_i32 s3, s19, s3
	s_ashr_i32 s3, s3, 1
	s_add_i32 s3, s3, 3
	s_ashr_i32 s10, s3, 31
	s_lshr_b32 s10, s10, 30
	s_add_i32 s3, s3, s10
	s_and_b32 s26, s3, -4
	s_and_b32 s25, s2, 0xffff
	v_mov_b32_e32 v3, 0
	buffer_store_dword v3, v2, s[24:27], 0 offen
	;;#ASMSTART
	s_nop 0
	;;#ASMEND
.LBB395_24:
	s_or_b64 exec, exec, s[8:9]
	s_cmp_lt_i32 s20, 1
	s_cbranch_scc1 .LBB395_12
.LBB395_25:
	s_load_dword s2, s[4:5], 0x94
	s_waitcnt lgkmcnt(0)
	s_cmp_lg_u32 s2, 1
	s_cbranch_scc1 .LBB395_12
; %bb.26:
	s_lshl_b32 s2, s20, 1
	s_add_i32 s2, s2, 2
	v_cmp_gt_u32_e32 vcc, s20, v1
	s_and_b32 s14, s2, -4
	v_mov_b32_e32 v10, 0
	v_lshlrev_b32_e32 v1, 4, v0
	v_mov_b32_e32 v6, 0
	v_mov_b32_e32 v7, 0
	;; [unrolled: 1-line block ×4, first 2 shown]
	s_waitcnt vmcnt(0)
	v_mov_b32_e32 v2, 0
	v_mov_b32_e32 v3, 0
	;; [unrolled: 1-line block ×4, first 2 shown]
	s_barrier
	s_and_saveexec_b64 s[2:3], vcc
	s_cbranch_execz .LBB395_28
; %bb.27:
	s_mul_hi_i32 s5, s22, s6
	s_mul_i32 s4, s22, s6
	s_and_b32 s13, s13, 0xffff
	s_lshl_b64 s[4:5], s[4:5], 1
	s_add_u32 s8, s30, s4
	s_mov_b32 s15, 0x20000
	s_addc_u32 s4, s31, s5
	s_and_b32 s9, s4, 0xffff
	s_mov_b32 s10, s14
	s_mov_b32 s11, s15
	buffer_load_dwordx4 v[6:9], v1, s[8:11], 0 offen glc slc
	buffer_load_dwordx4 v[2:5], v1, s[12:15], 0 offen
.LBB395_28:
	s_or_b64 exec, exec, s[2:3]
	v_mov_b32_e32 v11, 0
	v_mov_b32_e32 v16, 0
	v_mov_b32_e32 v17, 0
	v_mov_b32_e32 v14, 0
	v_mov_b32_e32 v15, 0
	v_mov_b32_e32 v12, 0
	v_mov_b32_e32 v13, 0
	s_and_saveexec_b64 s[2:3], vcc
	s_cbranch_execz .LBB395_30
; %bb.29:
	s_waitcnt vmcnt(1)
	v_cvt_f32_f16_sdwa v11, v6 dst_sel:DWORD dst_unused:UNUSED_PAD src0_sel:WORD_1
	v_cvt_f32_f16_e32 v10, v6
	v_cvt_f32_f16_sdwa v17, v7 dst_sel:DWORD dst_unused:UNUSED_PAD src0_sel:WORD_1
	v_cvt_f32_f16_e32 v16, v7
	;; [unrolled: 2-line block ×4, first 2 shown]
.LBB395_30:
	s_or_b64 exec, exec, s[2:3]
	s_waitcnt vmcnt(1)
	v_mul_f32_e32 v6, v11, v11
	v_fmac_f32_e32 v6, v10, v10
	v_fmac_f32_e32 v6, v16, v16
	v_fmac_f32_e32 v6, v17, v17
	v_fmac_f32_e32 v6, v14, v14
	v_fmac_f32_e32 v6, v15, v15
	v_fmac_f32_e32 v6, v12, v12
	v_fmac_f32_e32 v6, v13, v13
	s_nop 1
	v_mov_b32_dpp v7, v6 quad_perm:[1,0,3,2] row_mask:0xf bank_mask:0xf
	v_add_f32_e32 v6, v6, v7
	s_nop 1
	v_mov_b32_dpp v7, v6 quad_perm:[2,3,0,1] row_mask:0xf bank_mask:0xf
	v_add_f32_e32 v6, v6, v7
	s_nop 1
	v_mov_b32_dpp v7, v6 row_half_mirror row_mask:0xf bank_mask:0xf
	v_add_f32_e32 v6, v6, v7
	s_nop 1
	v_mov_b32_dpp v7, v6 row_mirror row_mask:0xf bank_mask:0xf
	v_add_f32_e32 v6, v6, v7
	s_nop 1
	v_mov_b32_dpp v7, v6 row_bcast:15 row_mask:0xf bank_mask:0xf
	v_add_f32_e32 v6, v6, v7
	s_nop 1
	v_mov_b32_dpp v7, v6 row_bcast:31 row_mask:0xf bank_mask:0xf
	s_and_saveexec_b64 s[2:3], s[0:1]
	s_cbranch_execz .LBB395_32
; %bb.31:
	v_lshrrev_b32_e32 v0, 4, v0
	v_add_f32_e32 v6, v6, v7
	v_and_b32_e32 v0, 60, v0
	ds_write_b32 v0, v6
.LBB395_32:
	s_or_b64 exec, exec, s[2:3]
	s_waitcnt lgkmcnt(0)
	s_barrier
	ds_read_b32 v0, v18
	s_waitcnt lgkmcnt(0)
	s_nop 0
	v_mov_b32_dpp v6, v0 quad_perm:[1,0,3,2] row_mask:0xf bank_mask:0xf
	s_and_saveexec_b64 s[0:1], vcc
	s_cbranch_execz .LBB395_12
; %bb.33:
	v_cvt_f32_u32_e32 v7, s20
	v_add_f32_e32 v0, v0, v6
	s_mov_b32 s15, 0x20000
	v_div_scale_f32 v6, s[0:1], v7, v7, v0
	v_rcp_f32_e32 v8, v6
	v_div_scale_f32 v9, vcc, v0, v7, v0
	s_mov_b32 s0, 0x800000
	v_fma_f32 v18, -v6, v8, 1.0
	v_fmac_f32_e32 v8, v18, v8
	v_mul_f32_e32 v18, v9, v8
	v_fma_f32 v19, -v6, v18, v9
	v_fmac_f32_e32 v18, v19, v8
	v_fma_f32 v6, -v6, v18, v9
	v_div_fmas_f32 v6, v6, v8, v18
	v_div_fixup_f32 v0, v6, v7, v0
	v_add_f32_e32 v0, s17, v0
	v_mul_f32_e32 v6, 0x4b800000, v0
	v_cmp_gt_f32_e32 vcc, s0, v0
	v_cndmask_b32_e32 v0, v0, v6, vcc
	v_rsq_f32_e32 v0, v0
	s_waitcnt vmcnt(0)
	v_cvt_f32_f16_sdwa v19, v3 dst_sel:DWORD dst_unused:UNUSED_PAD src0_sel:WORD_1
	v_cvt_f32_f16_e32 v18, v3
	s_mul_hi_i32 s1, s7, s6
	v_mul_f32_e32 v6, 0x45800000, v0
	v_cndmask_b32_e32 v6, v0, v6, vcc
	v_mov_b32_e32 v7, v6
	;;#ASMSTART
	v_pk_mul_f32 v[8:9], v[10:11], v[6:7]
	;;#ASMEND
	;;#ASMSTART
	v_pk_mul_f32 v[10:11], v[16:17], v[6:7]
	;;#ASMEND
	v_cvt_f32_f16_sdwa v17, v2 dst_sel:DWORD dst_unused:UNUSED_PAD src0_sel:WORD_1
	v_cvt_f32_f16_e32 v16, v2
	;;#ASMSTART
	v_pk_mul_f32 v[14:15], v[14:15], v[6:7]
	;;#ASMEND
	;;#ASMSTART
	v_pk_mul_f32 v[2:3], v[12:13], v[6:7]
	;;#ASMEND
	v_cvt_f32_f16_sdwa v13, v4 dst_sel:DWORD dst_unused:UNUSED_PAD src0_sel:WORD_1
	v_cvt_f32_f16_e32 v12, v4
	v_pk_add_f32 v[6:7], v[16:17], 1.0 op_sel_hi:[1,0]
	v_cvt_f32_f16_sdwa v17, v5 dst_sel:DWORD dst_unused:UNUSED_PAD src0_sel:WORD_1
	v_cvt_f32_f16_e32 v16, v5
	;;#ASMSTART
	v_pk_mul_f32 v[6:7], v[8:9], v[6:7]
	;;#ASMEND
	v_pk_add_f32 v[8:9], v[18:19], 1.0 op_sel_hi:[1,0]
	;;#ASMSTART
	v_pk_mul_f32 v[4:5], v[10:11], v[8:9]
	;;#ASMEND
	v_pk_add_f32 v[8:9], v[12:13], 1.0 op_sel_hi:[1,0]
	;;#ASMSTART
	v_pk_mul_f32 v[8:9], v[14:15], v[8:9]
	;;#ASMEND
	v_pk_add_f32 v[10:11], v[16:17], 1.0 op_sel_hi:[1,0]
	;;#ASMSTART
	v_pk_mul_f32 v[2:3], v[2:3], v[10:11]
	;;#ASMEND
	s_mul_i32 s0, s7, s6
	v_cvt_f16_f32_e32 v0, v6
	v_cvt_f16_f32_e32 v6, v7
	;; [unrolled: 1-line block ×8, first 2 shown]
	s_lshl_b64 s[0:1], s[0:1], 1
	s_add_u32 s12, s28, s0
	s_addc_u32 s0, s29, s1
	s_and_b32 s13, s0, 0xffff
	v_pack_b32_f16 v2, v0, v6
	v_pack_b32_f16 v3, v4, v5
	;; [unrolled: 1-line block ×4, first 2 shown]
	buffer_store_dwordx4 v[2:5], v1, s[12:15], 0 offen
	;;#ASMSTART
	s_nop 0
	;;#ASMEND
	s_endpgm
	.section	.rodata,"a",@progbits
	.p2align	6, 0x0
	.amdhsa_kernel _ZN5aiter35fused_qk_rmsnorm_group_quant_kernelIDF16_N4opus5fp4_tELi128ELi8ELi8ELb0ELb1ELb1ELb0ELb0ELb0EEEvPT0_PvPT_S7_S7_PKS6_S9_S9_S9_S9_ffiiiiiiiiiiiii
		.amdhsa_group_segment_fixed_size 16
		.amdhsa_private_segment_fixed_size 0
		.amdhsa_kernarg_size 400
		.amdhsa_user_sgpr_count 6
		.amdhsa_user_sgpr_private_segment_buffer 1
		.amdhsa_user_sgpr_dispatch_ptr 0
		.amdhsa_user_sgpr_queue_ptr 0
		.amdhsa_user_sgpr_kernarg_segment_ptr 1
		.amdhsa_user_sgpr_dispatch_id 0
		.amdhsa_user_sgpr_flat_scratch_init 0
		.amdhsa_user_sgpr_kernarg_preload_length 0
		.amdhsa_user_sgpr_kernarg_preload_offset 0
		.amdhsa_user_sgpr_private_segment_size 0
		.amdhsa_uses_dynamic_stack 0
		.amdhsa_system_sgpr_private_segment_wavefront_offset 0
		.amdhsa_system_sgpr_workgroup_id_x 1
		.amdhsa_system_sgpr_workgroup_id_y 1
		.amdhsa_system_sgpr_workgroup_id_z 0
		.amdhsa_system_sgpr_workgroup_info 0
		.amdhsa_system_vgpr_workitem_id 0
		.amdhsa_next_free_vgpr 23
		.amdhsa_next_free_sgpr 36
		.amdhsa_accum_offset 24
		.amdhsa_reserve_vcc 1
		.amdhsa_reserve_flat_scratch 0
		.amdhsa_float_round_mode_32 0
		.amdhsa_float_round_mode_16_64 0
		.amdhsa_float_denorm_mode_32 3
		.amdhsa_float_denorm_mode_16_64 3
		.amdhsa_dx10_clamp 1
		.amdhsa_ieee_mode 1
		.amdhsa_fp16_overflow 0
		.amdhsa_tg_split 0
		.amdhsa_exception_fp_ieee_invalid_op 0
		.amdhsa_exception_fp_denorm_src 0
		.amdhsa_exception_fp_ieee_div_zero 0
		.amdhsa_exception_fp_ieee_overflow 0
		.amdhsa_exception_fp_ieee_underflow 0
		.amdhsa_exception_fp_ieee_inexact 0
		.amdhsa_exception_int_div_zero 0
	.end_amdhsa_kernel
	.section	.text._ZN5aiter35fused_qk_rmsnorm_group_quant_kernelIDF16_N4opus5fp4_tELi128ELi8ELi8ELb0ELb1ELb1ELb0ELb0ELb0EEEvPT0_PvPT_S7_S7_PKS6_S9_S9_S9_S9_ffiiiiiiiiiiiii,"axG",@progbits,_ZN5aiter35fused_qk_rmsnorm_group_quant_kernelIDF16_N4opus5fp4_tELi128ELi8ELi8ELb0ELb1ELb1ELb0ELb0ELb0EEEvPT0_PvPT_S7_S7_PKS6_S9_S9_S9_S9_ffiiiiiiiiiiiii,comdat
.Lfunc_end395:
	.size	_ZN5aiter35fused_qk_rmsnorm_group_quant_kernelIDF16_N4opus5fp4_tELi128ELi8ELi8ELb0ELb1ELb1ELb0ELb0ELb0EEEvPT0_PvPT_S7_S7_PKS6_S9_S9_S9_S9_ffiiiiiiiiiiiii, .Lfunc_end395-_ZN5aiter35fused_qk_rmsnorm_group_quant_kernelIDF16_N4opus5fp4_tELi128ELi8ELi8ELb0ELb1ELb1ELb0ELb0ELb0EEEvPT0_PvPT_S7_S7_PKS6_S9_S9_S9_S9_ffiiiiiiiiiiiii
                                        ; -- End function
	.section	.AMDGPU.csdata,"",@progbits
; Kernel info:
; codeLenInByte = 2476
; NumSgprs: 40
; NumVgprs: 23
; NumAgprs: 0
; TotalNumVgprs: 23
; ScratchSize: 0
; MemoryBound: 0
; FloatMode: 240
; IeeeMode: 1
; LDSByteSize: 16 bytes/workgroup (compile time only)
; SGPRBlocks: 4
; VGPRBlocks: 2
; NumSGPRsForWavesPerEU: 40
; NumVGPRsForWavesPerEU: 23
; AccumOffset: 24
; Occupancy: 8
; WaveLimiterHint : 0
; COMPUTE_PGM_RSRC2:SCRATCH_EN: 0
; COMPUTE_PGM_RSRC2:USER_SGPR: 6
; COMPUTE_PGM_RSRC2:TRAP_HANDLER: 0
; COMPUTE_PGM_RSRC2:TGID_X_EN: 1
; COMPUTE_PGM_RSRC2:TGID_Y_EN: 1
; COMPUTE_PGM_RSRC2:TGID_Z_EN: 0
; COMPUTE_PGM_RSRC2:TIDIG_COMP_CNT: 0
; COMPUTE_PGM_RSRC3_GFX90A:ACCUM_OFFSET: 5
; COMPUTE_PGM_RSRC3_GFX90A:TG_SPLIT: 0
	.section	.text._ZN5aiter35fused_qk_rmsnorm_group_quant_kernelItN4opus5fp4_tELi128ELi8ELi8ELb0ELb1ELb1ELb0ELb0ELb0EEEvPT0_PvPT_S7_S7_PKS6_S9_S9_S9_S9_ffiiiiiiiiiiiii,"axG",@progbits,_ZN5aiter35fused_qk_rmsnorm_group_quant_kernelItN4opus5fp4_tELi128ELi8ELi8ELb0ELb1ELb1ELb0ELb0ELb0EEEvPT0_PvPT_S7_S7_PKS6_S9_S9_S9_S9_ffiiiiiiiiiiiii,comdat
	.protected	_ZN5aiter35fused_qk_rmsnorm_group_quant_kernelItN4opus5fp4_tELi128ELi8ELi8ELb0ELb1ELb1ELb0ELb0ELb0EEEvPT0_PvPT_S7_S7_PKS6_S9_S9_S9_S9_ffiiiiiiiiiiiii ; -- Begin function _ZN5aiter35fused_qk_rmsnorm_group_quant_kernelItN4opus5fp4_tELi128ELi8ELi8ELb0ELb1ELb1ELb0ELb0ELb0EEEvPT0_PvPT_S7_S7_PKS6_S9_S9_S9_S9_ffiiiiiiiiiiiii
	.globl	_ZN5aiter35fused_qk_rmsnorm_group_quant_kernelItN4opus5fp4_tELi128ELi8ELi8ELb0ELb1ELb1ELb0ELb0ELb0EEEvPT0_PvPT_S7_S7_PKS6_S9_S9_S9_S9_ffiiiiiiiiiiiii
	.p2align	8
	.type	_ZN5aiter35fused_qk_rmsnorm_group_quant_kernelItN4opus5fp4_tELi128ELi8ELi8ELb0ELb1ELb1ELb0ELb0ELb0EEEvPT0_PvPT_S7_S7_PKS6_S9_S9_S9_S9_ffiiiiiiiiiiiii,@function
_ZN5aiter35fused_qk_rmsnorm_group_quant_kernelItN4opus5fp4_tELi128ELi8ELi8ELb0ELb1ELb1ELb0ELb0ELb0EEEvPT0_PvPT_S7_S7_PKS6_S9_S9_S9_S9_ffiiiiiiiiiiiii: ; @_ZN5aiter35fused_qk_rmsnorm_group_quant_kernelItN4opus5fp4_tELi128ELi8ELi8ELb0ELb1ELb1ELb0ELb0ELb0EEEvPT0_PvPT_S7_S7_PKS6_S9_S9_S9_S9_ffiiiiiiiiiiiii
; %bb.0:
	s_load_dwordx4 s[16:19], s[4:5], 0x50
	s_waitcnt lgkmcnt(0)
	s_cmp_ge_i32 s6, s18
	s_cbranch_scc1 .LBB396_10
; %bb.1:
	s_load_dwordx2 s[12:13], s[4:5], 0x48
	s_load_dwordx2 s[30:31], s[4:5], 0x30
	s_load_dwordx4 s[20:23], s[4:5], 0x60
	s_cmp_lg_u32 s7, 0
	s_cselect_b64 s[14:15], -1, 0
	s_cmp_eq_u32 s7, 0
	s_cselect_b64 vcc, -1, 0
	s_and_b64 s[0:1], vcc, exec
	s_waitcnt lgkmcnt(0)
	s_cselect_b32 s7, s19, s20
	s_add_i32 s0, s7, 1
	s_lshr_b32 s1, s0, 31
	s_add_i32 s0, s0, s1
	s_lshl_b32 s0, s0, 1
	v_lshlrev_b32_e32 v1, 3, v0
	s_and_b32 s10, s0, -4
	v_cmp_gt_i32_e64 s[2:3], s7, v1
	v_mov_b32_e32 v2, 0
	v_mov_b32_e32 v3, 0
	;; [unrolled: 1-line block ×8, first 2 shown]
	s_and_saveexec_b64 s[0:1], s[2:3]
	s_cbranch_execz .LBB396_3
; %bb.2:
	s_load_dwordx2 s[8:9], s[4:5], 0x28
	s_load_dwordx2 s[26:27], s[4:5], 0x40
	s_and_b64 s[24:25], vcc, exec
	s_cselect_b32 s11, s21, s22
	v_lshlrev_b32_e32 v10, 4, v0
	s_waitcnt lgkmcnt(0)
	s_cselect_b32 s18, s9, s31
	s_cselect_b32 s21, s8, s30
	s_mul_hi_i32 s9, s11, s6
	s_mul_i32 s8, s11, s6
	s_lshl_b64 s[8:9], s[8:9], 1
	s_add_u32 s24, s21, s8
	s_addc_u32 s18, s18, s9
	s_and_b64 s[8:9], vcc, exec
	s_mov_b32 s11, 0x20000
	s_cselect_b32 s8, s26, s12
	s_cselect_b32 s9, s27, s13
	s_and_b32 s25, s18, 0xffff
	s_mov_b32 s26, s10
	s_mov_b32 s27, s11
	s_and_b32 s9, s9, 0xffff
	buffer_load_dwordx4 v[6:9], v10, s[24:27], 0 offen glc slc
	buffer_load_dwordx4 v[2:5], v10, s[8:11], 0 offen
.LBB396_3:
	s_or_b64 exec, exec, s[0:1]
	s_waitcnt vmcnt(1)
	v_cvt_f32_u32_sdwa v11, v6 dst_sel:DWORD dst_unused:UNUSED_PAD src0_sel:WORD_1
	v_cvt_f32_u32_sdwa v10, v6 dst_sel:DWORD dst_unused:UNUSED_PAD src0_sel:WORD_0
	v_cvt_f32_u32_sdwa v6, v9 dst_sel:DWORD dst_unused:UNUSED_PAD src0_sel:WORD_1
	v_cvt_f32_u32_sdwa v9, v9 dst_sel:DWORD dst_unused:UNUSED_PAD src0_sel:WORD_0
	v_cvt_f32_u32_sdwa v14, v8 dst_sel:DWORD dst_unused:UNUSED_PAD src0_sel:WORD_1
	v_cvt_f32_u32_sdwa v12, v7 dst_sel:DWORD dst_unused:UNUSED_PAD src0_sel:WORD_0
	v_cvt_f32_u32_sdwa v13, v7 dst_sel:DWORD dst_unused:UNUSED_PAD src0_sel:WORD_1
	v_cvt_f32_u32_sdwa v8, v8 dst_sel:DWORD dst_unused:UNUSED_PAD src0_sel:WORD_0
	v_cndmask_b32_e64 v11, 0, v11, s[2:3]
	v_cndmask_b32_e64 v7, 0, v6, s[2:3]
	;; [unrolled: 1-line block ×5, first 2 shown]
	v_mul_f32_e32 v14, v11, v11
	v_cndmask_b32_e64 v12, 0, v12, s[2:3]
	v_fmac_f32_e32 v14, v10, v10
	v_cndmask_b32_e64 v13, 0, v13, s[2:3]
	v_fmac_f32_e32 v14, v12, v12
	;; [unrolled: 2-line block ×3, first 2 shown]
	v_fmac_f32_e32 v14, v8, v8
	v_fmac_f32_e32 v14, v9, v9
	;; [unrolled: 1-line block ×4, first 2 shown]
	v_and_b32_e32 v16, 63, v0
	v_cmp_eq_u32_e64 s[0:1], 63, v16
	v_mov_b32_dpp v15, v14 quad_perm:[1,0,3,2] row_mask:0xf bank_mask:0xf
	v_add_f32_e32 v14, v14, v15
	s_nop 1
	v_mov_b32_dpp v15, v14 quad_perm:[2,3,0,1] row_mask:0xf bank_mask:0xf
	v_add_f32_e32 v14, v14, v15
	s_nop 1
	v_mov_b32_dpp v15, v14 row_half_mirror row_mask:0xf bank_mask:0xf
	v_add_f32_e32 v14, v14, v15
	s_nop 1
	v_mov_b32_dpp v15, v14 row_mirror row_mask:0xf bank_mask:0xf
	v_add_f32_e32 v14, v14, v15
	s_nop 1
	v_mov_b32_dpp v15, v14 row_bcast:15 row_mask:0xf bank_mask:0xf
	v_add_f32_e32 v14, v14, v15
	s_nop 1
	v_mov_b32_dpp v15, v14 row_bcast:31 row_mask:0xf bank_mask:0xf
	s_and_saveexec_b64 s[8:9], s[0:1]
	s_cbranch_execz .LBB396_5
; %bb.4:
	v_add_f32_e32 v14, v14, v15
	v_lshrrev_b32_e32 v15, 4, v0
	v_and_b32_e32 v15, 60, v15
	ds_write_b32 v15, v14 offset:8
.LBB396_5:
	s_or_b64 exec, exec, s[8:9]
	v_and_b32_e32 v14, 1, v0
	v_lshlrev_b32_e32 v14, 2, v14
	s_waitcnt lgkmcnt(0)
	s_barrier
	ds_read_b32 v15, v14 offset:8
	s_load_dwordx2 s[28:29], s[4:5], 0x18
	s_waitcnt lgkmcnt(0)
	v_mov_b32_dpp v16, v15 quad_perm:[1,0,3,2] row_mask:0xf bank_mask:0xf
	s_and_saveexec_b64 s[8:9], s[2:3]
	s_cbranch_execz .LBB396_7
; %bb.6:
	v_cvt_f32_u32_e32 v17, s7
	v_add_f32_e32 v15, v15, v16
	v_mov_b32_e32 v19, s17
	v_mov_b32_e32 v20, s16
	v_div_scale_f32 v16, s[24:25], v17, v17, v15
	v_rcp_f32_e32 v18, v16
	v_cndmask_b32_e32 v19, v19, v20, vcc
	s_mov_b32 s7, 0x800000
	v_fma_f32 v20, -v16, v18, 1.0
	v_fmac_f32_e32 v18, v20, v18
	v_div_scale_f32 v20, vcc, v15, v17, v15
	v_mul_f32_e32 v21, v20, v18
	v_fma_f32 v22, -v16, v21, v20
	v_fmac_f32_e32 v21, v22, v18
	v_fma_f32 v16, -v16, v21, v20
	v_div_fmas_f32 v16, v16, v18, v21
	v_div_fixup_f32 v15, v16, v17, v15
	v_add_f32_e32 v15, v19, v15
	v_mul_f32_e32 v16, 0x4b800000, v15
	v_cmp_gt_f32_e32 vcc, s7, v15
	v_cndmask_b32_e32 v15, v15, v16, vcc
	v_rsq_f32_e32 v15, v15
	s_waitcnt vmcnt(0)
	v_cvt_f32_u32_sdwa v19, v2 dst_sel:DWORD dst_unused:UNUSED_PAD src0_sel:WORD_1
	v_cvt_f32_u32_sdwa v18, v2 dst_sel:DWORD dst_unused:UNUSED_PAD src0_sel:WORD_0
	v_cvt_f32_u32_sdwa v21, v3 dst_sel:DWORD dst_unused:UNUSED_PAD src0_sel:WORD_1
	v_mul_f32_e32 v16, 0x45800000, v15
	v_cndmask_b32_e32 v16, v15, v16, vcc
	v_mov_b32_e32 v17, v16
	;;#ASMSTART
	v_pk_mul_f32 v[10:11], v[10:11], v[16:17]
	;;#ASMEND
	;;#ASMSTART
	v_pk_mul_f32 v[12:13], v[12:13], v[16:17]
	;;#ASMEND
	;; [unrolled: 3-line block ×3, first 2 shown]
	v_cvt_f32_u32_sdwa v20, v3 dst_sel:DWORD dst_unused:UNUSED_PAD src0_sel:WORD_0
	;;#ASMSTART
	v_pk_mul_f32 v[2:3], v[6:7], v[16:17]
	;;#ASMEND
	v_cvt_f32_u32_sdwa v17, v4 dst_sel:DWORD dst_unused:UNUSED_PAD src0_sel:WORD_1
	v_cvt_f32_u32_sdwa v16, v4 dst_sel:DWORD dst_unused:UNUSED_PAD src0_sel:WORD_0
	v_pk_add_f32 v[6:7], v[18:19], 1.0 op_sel_hi:[1,0]
	v_cvt_f32_u32_sdwa v19, v5 dst_sel:DWORD dst_unused:UNUSED_PAD src0_sel:WORD_1
	v_cvt_f32_u32_sdwa v18, v5 dst_sel:DWORD dst_unused:UNUSED_PAD src0_sel:WORD_0
	;;#ASMSTART
	v_pk_mul_f32 v[10:11], v[10:11], v[6:7]
	;;#ASMEND
	v_pk_add_f32 v[6:7], v[20:21], 1.0 op_sel_hi:[1,0]
	v_pk_add_f32 v[4:5], v[16:17], 1.0 op_sel_hi:[1,0]
	;;#ASMSTART
	v_pk_mul_f32 v[12:13], v[12:13], v[6:7]
	;;#ASMEND
	;;#ASMSTART
	v_pk_mul_f32 v[8:9], v[8:9], v[4:5]
	;;#ASMEND
	v_pk_add_f32 v[4:5], v[18:19], 1.0 op_sel_hi:[1,0]
	;;#ASMSTART
	v_pk_mul_f32 v[6:7], v[2:3], v[4:5]
	;;#ASMEND
.LBB396_7:
	s_or_b64 exec, exec, s[8:9]
	s_load_dword s7, s[4:5], 0x80
	s_mov_b64 s[8:9], -1
	s_and_b64 vcc, exec, s[14:15]
	s_cbranch_vccnz .LBB396_11
; %bb.8:
	s_andn2_b64 vcc, exec, s[8:9]
	s_cbranch_vccz .LBB396_14
.LBB396_9:
	s_cmp_lt_i32 s20, 1
	s_cbranch_scc0 .LBB396_23
.LBB396_10:
	s_endpgm
.LBB396_11:
	s_and_saveexec_b64 s[14:15], s[2:3]
	s_cbranch_execz .LBB396_13
; %bb.12:
	s_waitcnt lgkmcnt(0)
	s_mul_hi_i32 s9, s7, s6
	s_mul_i32 s8, s7, s6
	s_lshl_b64 s[8:9], s[8:9], 1
	s_add_u32 s8, s28, s8
	s_addc_u32 s9, s29, s9
	s_mov_b32 s16, 0x7060302
	s_and_b32 s9, s9, 0xffff
	s_mov_b32 s11, 0x20000
	s_waitcnt vmcnt(0)
	v_perm_b32 v2, v11, v10, s16
	v_perm_b32 v3, v13, v12, s16
	;; [unrolled: 1-line block ×4, first 2 shown]
	v_lshlrev_b32_e32 v15, 4, v0
	buffer_store_dwordx4 v[2:5], v15, s[8:11], 0 offen
	;;#ASMSTART
	s_nop 0
	;;#ASMEND
.LBB396_13:
	s_or_b64 exec, exec, s[14:15]
	s_cbranch_execnz .LBB396_9
.LBB396_14:
	s_load_dwordx4 s[24:27], s[4:5], 0x70
	s_waitcnt vmcnt(0)
	v_mov_b32_e32 v2, 0
	s_and_saveexec_b64 s[14:15], s[2:3]
	s_cbranch_execz .LBB396_16
; %bb.15:
	s_load_dwordx2 s[8:9], s[4:5], 0x10
	s_waitcnt lgkmcnt(0)
	s_mul_hi_i32 s35, s27, s6
	s_mul_i32 s34, s27, s6
	s_lshl_b64 s[34:35], s[34:35], 1
	s_mov_b32 s16, 0x7060302
	s_add_u32 s8, s8, s34
	s_addc_u32 s9, s9, s35
	s_mov_b32 s11, 0x20000
	s_and_b32 s9, s9, 0xffff
	v_perm_b32 v2, v11, v10, s16
	v_perm_b32 v3, v13, v12, s16
	;; [unrolled: 1-line block ×4, first 2 shown]
	v_lshlrev_b32_e32 v15, 4, v0
	buffer_store_dwordx4 v[2:5], v15, s[8:11], 0 offen
	;;#ASMSTART
	s_nop 0
	;;#ASMEND
	s_nop 0
	v_mov_b32_e32 v2, 0x2edbe6ff
.LBB396_16:
	s_or_b64 exec, exec, s[14:15]
	s_and_saveexec_b64 s[8:9], s[2:3]
	s_cbranch_execz .LBB396_18
; %bb.17:
	v_and_b32_e32 v3, 0x7fffffff, v10
	v_and_b32_e32 v4, 0x7fffffff, v11
	;;#ASMSTART
	v_max3_f32 v2, v2, v3, v4

	;;#ASMEND
	v_and_b32_e32 v3, 0x7fffffff, v12
	v_and_b32_e32 v4, 0x7fffffff, v13
	;;#ASMSTART
	v_max3_f32 v2, v2, v3, v4

	;;#ASMEND
	;; [unrolled: 6-line block ×4, first 2 shown]
.LBB396_18:
	s_or_b64 exec, exec, s[8:9]
	;;#ASMSTART
	v_max_f32 v3, v2, v2 quad_perm:[1,0,3,2] row_mask:0xf bank_mask:0xf bound_ctrl:1
	;;#ASMEND
	;;#ASMSTART
	v_max_f32 v4, v3, v3 quad_perm:[2,3,0,1] row_mask:0xf bank_mask:0xf bound_ctrl:1
	;;#ASMEND
	v_and_b32_e32 v3, 7, v0
	v_cmp_eq_u32_e32 vcc, 0, v3
	v_cmp_gt_i32_e64 s[8:9], s19, v1
	s_and_b64 s[10:11], vcc, s[8:9]
	;;#ASMSTART
	v_max_f32 v2, v4, v4 row_half_mirror row_mask:0xf bank_mask:0xf bound_ctrl:1
	;;#ASMEND
	s_and_saveexec_b64 s[8:9], s[10:11]
	s_cbranch_execz .LBB396_20
; %bb.19:
	s_load_dwordx2 s[10:11], s[4:5], 0x8
	v_mul_f32_e32 v2, 0x3e2aaaab, v2
	v_lshrrev_b32_e32 v3, 23, v2
	v_and_b32_e32 v4, 0x7f800000, v2
	v_and_b32_e32 v2, 0x7fffff, v2
	v_cmp_ne_u32_e32 vcc, 0, v2
	s_waitcnt lgkmcnt(0)
	s_mul_i32 s16, s25, s6
	s_mov_b32 s14, 0x7f800000
	v_addc_co_u32_e32 v2, vcc, 0, v3, vcc
	s_mul_hi_i32 s15, s25, s6
	s_add_u32 s10, s10, s16
	v_cmp_ne_u32_e32 vcc, s14, v4
	s_addc_u32 s11, s11, s15
	v_lshrrev_b32_e32 v5, 3, v0
	v_cndmask_b32_e32 v4, -1, v2, vcc
	v_pk_mov_b32 v[2:3], s[10:11], s[10:11] op_sel:[0,1]
	v_mad_i64_i32 v[2:3], s[10:11], s26, v5, v[2:3]
	global_store_byte v[2:3], v4, off
.LBB396_20:
	s_or_b64 exec, exec, s[8:9]
	s_and_saveexec_b64 s[8:9], s[2:3]
	s_cbranch_execz .LBB396_22
; %bb.21:
	s_load_dwordx2 s[2:3], s[4:5], 0x0
	s_waitcnt lgkmcnt(0)
	s_mul_i32 s11, s24, s6
	s_mul_hi_i32 s10, s24, s6
	v_lshlrev_b32_e32 v2, 2, v0
	s_mov_b32 s27, 0x20000
	s_add_u32 s24, s2, s11
	s_addc_u32 s2, s3, s10
	s_lshr_b32 s3, s19, 31
	s_add_i32 s3, s19, s3
	s_ashr_i32 s3, s3, 1
	s_add_i32 s3, s3, 3
	s_ashr_i32 s10, s3, 31
	s_lshr_b32 s10, s10, 30
	s_add_i32 s3, s3, s10
	s_and_b32 s26, s3, -4
	s_and_b32 s25, s2, 0xffff
	v_mov_b32_e32 v3, 0
	buffer_store_dword v3, v2, s[24:27], 0 offen
	;;#ASMSTART
	s_nop 0
	;;#ASMEND
.LBB396_22:
	s_or_b64 exec, exec, s[8:9]
	s_cmp_lt_i32 s20, 1
	s_cbranch_scc1 .LBB396_10
.LBB396_23:
	s_load_dword s2, s[4:5], 0x94
	s_waitcnt lgkmcnt(0)
	s_cmp_lg_u32 s2, 1
	s_cbranch_scc1 .LBB396_10
; %bb.24:
	s_lshl_b32 s2, s20, 1
	s_add_i32 s2, s2, 2
	v_cmp_gt_u32_e32 vcc, s20, v1
	s_and_b32 s14, s2, -4
	v_mov_b32_e32 v6, 0
	v_lshlrev_b32_e32 v1, 4, v0
	v_mov_b32_e32 v7, 0
	v_mov_b32_e32 v8, 0
	;; [unrolled: 1-line block ×3, first 2 shown]
	s_waitcnt vmcnt(0)
	v_mov_b32_e32 v2, 0
	v_mov_b32_e32 v3, 0
	;; [unrolled: 1-line block ×4, first 2 shown]
	s_barrier
	s_and_saveexec_b64 s[2:3], vcc
	s_cbranch_execz .LBB396_26
; %bb.25:
	s_mul_hi_i32 s5, s22, s6
	s_mul_i32 s4, s22, s6
	s_and_b32 s13, s13, 0xffff
	s_lshl_b64 s[4:5], s[4:5], 1
	s_add_u32 s8, s30, s4
	s_mov_b32 s15, 0x20000
	s_addc_u32 s4, s31, s5
	s_and_b32 s9, s4, 0xffff
	s_mov_b32 s10, s14
	s_mov_b32 s11, s15
	buffer_load_dwordx4 v[6:9], v1, s[8:11], 0 offen glc slc
	buffer_load_dwordx4 v[2:5], v1, s[12:15], 0 offen
.LBB396_26:
	s_or_b64 exec, exec, s[2:3]
	s_waitcnt vmcnt(1)
	v_cvt_f32_u32_sdwa v13, v6 dst_sel:DWORD dst_unused:UNUSED_PAD src0_sel:WORD_1
	v_cvt_f32_u32_sdwa v12, v6 dst_sel:DWORD dst_unused:UNUSED_PAD src0_sel:WORD_0
	v_cvt_f32_u32_sdwa v6, v9 dst_sel:DWORD dst_unused:UNUSED_PAD src0_sel:WORD_1
	v_cvt_f32_u32_sdwa v9, v9 dst_sel:DWORD dst_unused:UNUSED_PAD src0_sel:WORD_0
	;; [unrolled: 2-line block ×4, first 2 shown]
	v_cndmask_b32_e32 v13, 0, v13, vcc
	v_cndmask_b32_e32 v7, 0, v6, vcc
	v_cndmask_b32_e32 v6, 0, v9, vcc
	v_cndmask_b32_e32 v9, 0, v15, vcc
	v_cndmask_b32_e32 v12, 0, v12, vcc
	v_mul_f32_e32 v15, v13, v13
	v_cndmask_b32_e32 v10, 0, v10, vcc
	v_fmac_f32_e32 v15, v12, v12
	v_cndmask_b32_e32 v11, 0, v11, vcc
	v_fmac_f32_e32 v15, v10, v10
	v_cndmask_b32_e32 v8, 0, v8, vcc
	v_fmac_f32_e32 v15, v11, v11
	v_fmac_f32_e32 v15, v8, v8
	v_fmac_f32_e32 v15, v9, v9
	;; [unrolled: 1-line block ×4, first 2 shown]
	s_nop 1
	v_mov_b32_dpp v16, v15 quad_perm:[1,0,3,2] row_mask:0xf bank_mask:0xf
	v_add_f32_e32 v15, v15, v16
	s_nop 1
	v_mov_b32_dpp v16, v15 quad_perm:[2,3,0,1] row_mask:0xf bank_mask:0xf
	v_add_f32_e32 v15, v15, v16
	s_nop 1
	v_mov_b32_dpp v16, v15 row_half_mirror row_mask:0xf bank_mask:0xf
	v_add_f32_e32 v15, v15, v16
	s_nop 1
	v_mov_b32_dpp v16, v15 row_mirror row_mask:0xf bank_mask:0xf
	v_add_f32_e32 v15, v15, v16
	s_nop 1
	v_mov_b32_dpp v16, v15 row_bcast:15 row_mask:0xf bank_mask:0xf
	v_add_f32_e32 v15, v15, v16
	s_nop 1
	v_mov_b32_dpp v16, v15 row_bcast:31 row_mask:0xf bank_mask:0xf
	s_and_saveexec_b64 s[2:3], s[0:1]
	s_cbranch_execz .LBB396_28
; %bb.27:
	v_lshrrev_b32_e32 v0, 4, v0
	v_add_f32_e32 v15, v15, v16
	v_and_b32_e32 v0, 60, v0
	ds_write_b32 v0, v15
.LBB396_28:
	s_or_b64 exec, exec, s[2:3]
	s_waitcnt lgkmcnt(0)
	s_barrier
	ds_read_b32 v0, v14
	s_waitcnt lgkmcnt(0)
	s_nop 0
	v_mov_b32_dpp v14, v0 quad_perm:[1,0,3,2] row_mask:0xf bank_mask:0xf
	s_and_saveexec_b64 s[0:1], vcc
	s_cbranch_execz .LBB396_10
; %bb.29:
	v_cvt_f32_u32_e32 v15, s20
	v_add_f32_e32 v0, v0, v14
	s_mov_b32 s15, 0x20000
	v_div_scale_f32 v14, s[0:1], v15, v15, v0
	v_rcp_f32_e32 v16, v14
	v_div_scale_f32 v17, vcc, v0, v15, v0
	s_mov_b32 s0, 0x800000
	v_fma_f32 v18, -v14, v16, 1.0
	v_fmac_f32_e32 v16, v18, v16
	v_mul_f32_e32 v18, v17, v16
	v_fma_f32 v19, -v14, v18, v17
	v_fmac_f32_e32 v18, v19, v16
	v_fma_f32 v14, -v14, v18, v17
	v_div_fmas_f32 v14, v14, v16, v18
	v_div_fixup_f32 v0, v14, v15, v0
	v_add_f32_e32 v0, s17, v0
	v_mul_f32_e32 v14, 0x4b800000, v0
	v_cmp_gt_f32_e32 vcc, s0, v0
	v_cndmask_b32_e32 v0, v0, v14, vcc
	v_rsq_f32_e32 v0, v0
	s_waitcnt vmcnt(0)
	v_cvt_f32_u32_sdwa v17, v2 dst_sel:DWORD dst_unused:UNUSED_PAD src0_sel:WORD_1
	v_cvt_f32_u32_sdwa v16, v2 dst_sel:DWORD dst_unused:UNUSED_PAD src0_sel:WORD_0
	v_cvt_f32_u32_sdwa v19, v3 dst_sel:DWORD dst_unused:UNUSED_PAD src0_sel:WORD_1
	v_mul_f32_e32 v14, 0x45800000, v0
	v_cndmask_b32_e32 v14, v0, v14, vcc
	v_mov_b32_e32 v15, v14
	;;#ASMSTART
	v_pk_mul_f32 v[12:13], v[12:13], v[14:15]
	;;#ASMEND
	;;#ASMSTART
	v_pk_mul_f32 v[10:11], v[10:11], v[14:15]
	;;#ASMEND
	;; [unrolled: 3-line block ×3, first 2 shown]
	v_cvt_f32_u32_sdwa v18, v3 dst_sel:DWORD dst_unused:UNUSED_PAD src0_sel:WORD_0
	;;#ASMSTART
	v_pk_mul_f32 v[2:3], v[6:7], v[14:15]
	;;#ASMEND
	v_cvt_f32_u32_sdwa v15, v4 dst_sel:DWORD dst_unused:UNUSED_PAD src0_sel:WORD_1
	v_cvt_f32_u32_sdwa v14, v4 dst_sel:DWORD dst_unused:UNUSED_PAD src0_sel:WORD_0
	v_pk_add_f32 v[6:7], v[16:17], 1.0 op_sel_hi:[1,0]
	v_cvt_f32_u32_sdwa v17, v5 dst_sel:DWORD dst_unused:UNUSED_PAD src0_sel:WORD_1
	v_cvt_f32_u32_sdwa v16, v5 dst_sel:DWORD dst_unused:UNUSED_PAD src0_sel:WORD_0
	s_mul_hi_i32 s1, s7, s6
	s_mul_i32 s0, s7, s6
	s_lshl_b64 s[0:1], s[0:1], 1
	s_add_u32 s12, s28, s0
	;;#ASMSTART
	v_pk_mul_f32 v[6:7], v[12:13], v[6:7]
	;;#ASMEND
	v_pk_add_f32 v[12:13], v[18:19], 1.0 op_sel_hi:[1,0]
	;;#ASMSTART
	v_pk_mul_f32 v[4:5], v[10:11], v[12:13]
	;;#ASMEND
	v_pk_add_f32 v[10:11], v[14:15], 1.0 op_sel_hi:[1,0]
	s_addc_u32 s0, s29, s1
	;;#ASMSTART
	v_pk_mul_f32 v[8:9], v[8:9], v[10:11]
	;;#ASMEND
	v_pk_add_f32 v[10:11], v[16:17], 1.0 op_sel_hi:[1,0]
	s_and_b32 s13, s0, 0xffff
	s_mov_b32 s0, 0x7060302
	;;#ASMSTART
	v_pk_mul_f32 v[10:11], v[2:3], v[10:11]
	;;#ASMEND
	v_perm_b32 v2, v7, v6, s0
	v_perm_b32 v3, v5, v4, s0
	;; [unrolled: 1-line block ×4, first 2 shown]
	buffer_store_dwordx4 v[2:5], v1, s[12:15], 0 offen
	;;#ASMSTART
	s_nop 0
	;;#ASMEND
	s_endpgm
	.section	.rodata,"a",@progbits
	.p2align	6, 0x0
	.amdhsa_kernel _ZN5aiter35fused_qk_rmsnorm_group_quant_kernelItN4opus5fp4_tELi128ELi8ELi8ELb0ELb1ELb1ELb0ELb0ELb0EEEvPT0_PvPT_S7_S7_PKS6_S9_S9_S9_S9_ffiiiiiiiiiiiii
		.amdhsa_group_segment_fixed_size 16
		.amdhsa_private_segment_fixed_size 0
		.amdhsa_kernarg_size 400
		.amdhsa_user_sgpr_count 6
		.amdhsa_user_sgpr_private_segment_buffer 1
		.amdhsa_user_sgpr_dispatch_ptr 0
		.amdhsa_user_sgpr_queue_ptr 0
		.amdhsa_user_sgpr_kernarg_segment_ptr 1
		.amdhsa_user_sgpr_dispatch_id 0
		.amdhsa_user_sgpr_flat_scratch_init 0
		.amdhsa_user_sgpr_kernarg_preload_length 0
		.amdhsa_user_sgpr_kernarg_preload_offset 0
		.amdhsa_user_sgpr_private_segment_size 0
		.amdhsa_uses_dynamic_stack 0
		.amdhsa_system_sgpr_private_segment_wavefront_offset 0
		.amdhsa_system_sgpr_workgroup_id_x 1
		.amdhsa_system_sgpr_workgroup_id_y 1
		.amdhsa_system_sgpr_workgroup_id_z 0
		.amdhsa_system_sgpr_workgroup_info 0
		.amdhsa_system_vgpr_workitem_id 0
		.amdhsa_next_free_vgpr 23
		.amdhsa_next_free_sgpr 36
		.amdhsa_accum_offset 24
		.amdhsa_reserve_vcc 1
		.amdhsa_reserve_flat_scratch 0
		.amdhsa_float_round_mode_32 0
		.amdhsa_float_round_mode_16_64 0
		.amdhsa_float_denorm_mode_32 3
		.amdhsa_float_denorm_mode_16_64 3
		.amdhsa_dx10_clamp 1
		.amdhsa_ieee_mode 1
		.amdhsa_fp16_overflow 0
		.amdhsa_tg_split 0
		.amdhsa_exception_fp_ieee_invalid_op 0
		.amdhsa_exception_fp_denorm_src 0
		.amdhsa_exception_fp_ieee_div_zero 0
		.amdhsa_exception_fp_ieee_overflow 0
		.amdhsa_exception_fp_ieee_underflow 0
		.amdhsa_exception_fp_ieee_inexact 0
		.amdhsa_exception_int_div_zero 0
	.end_amdhsa_kernel
	.section	.text._ZN5aiter35fused_qk_rmsnorm_group_quant_kernelItN4opus5fp4_tELi128ELi8ELi8ELb0ELb1ELb1ELb0ELb0ELb0EEEvPT0_PvPT_S7_S7_PKS6_S9_S9_S9_S9_ffiiiiiiiiiiiii,"axG",@progbits,_ZN5aiter35fused_qk_rmsnorm_group_quant_kernelItN4opus5fp4_tELi128ELi8ELi8ELb0ELb1ELb1ELb0ELb0ELb0EEEvPT0_PvPT_S7_S7_PKS6_S9_S9_S9_S9_ffiiiiiiiiiiiii,comdat
.Lfunc_end396:
	.size	_ZN5aiter35fused_qk_rmsnorm_group_quant_kernelItN4opus5fp4_tELi128ELi8ELi8ELb0ELb1ELb1ELb0ELb0ELb0EEEvPT0_PvPT_S7_S7_PKS6_S9_S9_S9_S9_ffiiiiiiiiiiiii, .Lfunc_end396-_ZN5aiter35fused_qk_rmsnorm_group_quant_kernelItN4opus5fp4_tELi128ELi8ELi8ELb0ELb1ELb1ELb0ELb0ELb0EEEvPT0_PvPT_S7_S7_PKS6_S9_S9_S9_S9_ffiiiiiiiiiiiii
                                        ; -- End function
	.section	.AMDGPU.csdata,"",@progbits
; Kernel info:
; codeLenInByte = 2468
; NumSgprs: 40
; NumVgprs: 23
; NumAgprs: 0
; TotalNumVgprs: 23
; ScratchSize: 0
; MemoryBound: 0
; FloatMode: 240
; IeeeMode: 1
; LDSByteSize: 16 bytes/workgroup (compile time only)
; SGPRBlocks: 4
; VGPRBlocks: 2
; NumSGPRsForWavesPerEU: 40
; NumVGPRsForWavesPerEU: 23
; AccumOffset: 24
; Occupancy: 8
; WaveLimiterHint : 0
; COMPUTE_PGM_RSRC2:SCRATCH_EN: 0
; COMPUTE_PGM_RSRC2:USER_SGPR: 6
; COMPUTE_PGM_RSRC2:TRAP_HANDLER: 0
; COMPUTE_PGM_RSRC2:TGID_X_EN: 1
; COMPUTE_PGM_RSRC2:TGID_Y_EN: 1
; COMPUTE_PGM_RSRC2:TGID_Z_EN: 0
; COMPUTE_PGM_RSRC2:TIDIG_COMP_CNT: 0
; COMPUTE_PGM_RSRC3_GFX90A:ACCUM_OFFSET: 5
; COMPUTE_PGM_RSRC3_GFX90A:TG_SPLIT: 0
	.section	.text._ZN5aiter35fused_qk_rmsnorm_group_quant_kernelIDF16_DB8_Li128ELi8ELi8ELb0ELb1ELb0ELb0ELb0ELb0EEEvPT0_PvPT_S6_S6_PKS5_S8_S8_S8_S8_ffiiiiiiiiiiiii,"axG",@progbits,_ZN5aiter35fused_qk_rmsnorm_group_quant_kernelIDF16_DB8_Li128ELi8ELi8ELb0ELb1ELb0ELb0ELb0ELb0EEEvPT0_PvPT_S6_S6_PKS5_S8_S8_S8_S8_ffiiiiiiiiiiiii,comdat
	.protected	_ZN5aiter35fused_qk_rmsnorm_group_quant_kernelIDF16_DB8_Li128ELi8ELi8ELb0ELb1ELb0ELb0ELb0ELb0EEEvPT0_PvPT_S6_S6_PKS5_S8_S8_S8_S8_ffiiiiiiiiiiiii ; -- Begin function _ZN5aiter35fused_qk_rmsnorm_group_quant_kernelIDF16_DB8_Li128ELi8ELi8ELb0ELb1ELb0ELb0ELb0ELb0EEEvPT0_PvPT_S6_S6_PKS5_S8_S8_S8_S8_ffiiiiiiiiiiiii
	.globl	_ZN5aiter35fused_qk_rmsnorm_group_quant_kernelIDF16_DB8_Li128ELi8ELi8ELb0ELb1ELb0ELb0ELb0ELb0EEEvPT0_PvPT_S6_S6_PKS5_S8_S8_S8_S8_ffiiiiiiiiiiiii
	.p2align	8
	.type	_ZN5aiter35fused_qk_rmsnorm_group_quant_kernelIDF16_DB8_Li128ELi8ELi8ELb0ELb1ELb0ELb0ELb0ELb0EEEvPT0_PvPT_S6_S6_PKS5_S8_S8_S8_S8_ffiiiiiiiiiiiii,@function
_ZN5aiter35fused_qk_rmsnorm_group_quant_kernelIDF16_DB8_Li128ELi8ELi8ELb0ELb1ELb0ELb0ELb0ELb0EEEvPT0_PvPT_S6_S6_PKS5_S8_S8_S8_S8_ffiiiiiiiiiiiii: ; @_ZN5aiter35fused_qk_rmsnorm_group_quant_kernelIDF16_DB8_Li128ELi8ELi8ELb0ELb1ELb0ELb0ELb0ELb0EEEvPT0_PvPT_S6_S6_PKS5_S8_S8_S8_S8_ffiiiiiiiiiiiii
; %bb.0:
	s_load_dwordx4 s[16:19], s[4:5], 0x50
	s_waitcnt lgkmcnt(0)
	s_cmp_ge_i32 s6, s18
	s_cbranch_scc1 .LBB397_12
; %bb.1:
	s_load_dwordx2 s[12:13], s[4:5], 0x48
	s_load_dwordx2 s[30:31], s[4:5], 0x30
	s_load_dwordx4 s[20:23], s[4:5], 0x60
	s_cmp_lg_u32 s7, 0
	s_cselect_b64 s[14:15], -1, 0
	s_cmp_eq_u32 s7, 0
	s_cselect_b64 vcc, -1, 0
	s_and_b64 s[0:1], vcc, exec
	s_waitcnt lgkmcnt(0)
	s_cselect_b32 s7, s19, s20
	s_add_i32 s0, s7, 1
	s_lshr_b32 s1, s0, 31
	s_add_i32 s0, s0, s1
	s_lshl_b32 s0, s0, 1
	v_lshlrev_b32_e32 v1, 3, v0
	s_and_b32 s10, s0, -4
	v_cmp_gt_i32_e64 s[2:3], s7, v1
	v_mov_b32_e32 v10, 0
	v_mov_b32_e32 v2, 0
	;; [unrolled: 1-line block ×9, first 2 shown]
	s_and_saveexec_b64 s[0:1], s[2:3]
	s_cbranch_execz .LBB397_3
; %bb.2:
	s_load_dwordx2 s[8:9], s[4:5], 0x28
	s_load_dwordx2 s[26:27], s[4:5], 0x40
	s_and_b64 s[24:25], vcc, exec
	s_cselect_b32 s11, s21, s22
	v_lshlrev_b32_e32 v11, 4, v0
	s_waitcnt lgkmcnt(0)
	s_cselect_b32 s18, s9, s31
	s_cselect_b32 s21, s8, s30
	s_mul_hi_i32 s9, s11, s6
	s_mul_i32 s8, s11, s6
	s_lshl_b64 s[8:9], s[8:9], 1
	s_add_u32 s24, s21, s8
	s_addc_u32 s18, s18, s9
	s_and_b64 s[8:9], vcc, exec
	s_mov_b32 s11, 0x20000
	s_cselect_b32 s8, s26, s12
	s_cselect_b32 s9, s27, s13
	s_and_b32 s25, s18, 0xffff
	s_mov_b32 s26, s10
	s_mov_b32 s27, s11
	s_and_b32 s9, s9, 0xffff
	buffer_load_dwordx4 v[6:9], v11, s[24:27], 0 offen glc slc
	buffer_load_dwordx4 v[2:5], v11, s[8:11], 0 offen
.LBB397_3:
	s_or_b64 exec, exec, s[0:1]
	v_mov_b32_e32 v11, 0
	v_mov_b32_e32 v16, 0
	;; [unrolled: 1-line block ×7, first 2 shown]
	s_and_saveexec_b64 s[0:1], s[2:3]
	s_cbranch_execz .LBB397_5
; %bb.4:
	s_waitcnt vmcnt(1)
	v_cvt_f32_f16_sdwa v11, v6 dst_sel:DWORD dst_unused:UNUSED_PAD src0_sel:WORD_1
	v_cvt_f32_f16_e32 v10, v6
	v_cvt_f32_f16_sdwa v17, v7 dst_sel:DWORD dst_unused:UNUSED_PAD src0_sel:WORD_1
	v_cvt_f32_f16_e32 v16, v7
	;; [unrolled: 2-line block ×4, first 2 shown]
.LBB397_5:
	s_or_b64 exec, exec, s[0:1]
	s_waitcnt vmcnt(1)
	v_mul_f32_e32 v6, v11, v11
	v_fmac_f32_e32 v6, v10, v10
	v_fmac_f32_e32 v6, v16, v16
	;; [unrolled: 1-line block ×7, first 2 shown]
	v_and_b32_e32 v8, 63, v0
	v_cmp_eq_u32_e64 s[0:1], 63, v8
	v_mov_b32_dpp v7, v6 quad_perm:[1,0,3,2] row_mask:0xf bank_mask:0xf
	v_add_f32_e32 v6, v6, v7
	s_nop 1
	v_mov_b32_dpp v7, v6 quad_perm:[2,3,0,1] row_mask:0xf bank_mask:0xf
	v_add_f32_e32 v6, v6, v7
	s_nop 1
	v_mov_b32_dpp v7, v6 row_half_mirror row_mask:0xf bank_mask:0xf
	v_add_f32_e32 v6, v6, v7
	s_nop 1
	v_mov_b32_dpp v7, v6 row_mirror row_mask:0xf bank_mask:0xf
	v_add_f32_e32 v6, v6, v7
	s_nop 1
	v_mov_b32_dpp v7, v6 row_bcast:15 row_mask:0xf bank_mask:0xf
	v_add_f32_e32 v6, v6, v7
	s_nop 1
	v_mov_b32_dpp v7, v6 row_bcast:31 row_mask:0xf bank_mask:0xf
	s_and_saveexec_b64 s[8:9], s[0:1]
	s_cbranch_execz .LBB397_7
; %bb.6:
	v_add_f32_e32 v6, v6, v7
	v_lshrrev_b32_e32 v7, 4, v0
	v_and_b32_e32 v7, 60, v7
	ds_write_b32 v7, v6 offset:8
.LBB397_7:
	s_or_b64 exec, exec, s[8:9]
	v_and_b32_e32 v6, 1, v0
	v_lshlrev_b32_e32 v18, 2, v6
	s_waitcnt lgkmcnt(0)
	s_barrier
	ds_read_b32 v6, v18 offset:8
	s_load_dwordx2 s[28:29], s[4:5], 0x18
	s_waitcnt lgkmcnt(0)
	v_mov_b32_dpp v7, v6 quad_perm:[1,0,3,2] row_mask:0xf bank_mask:0xf
	s_and_saveexec_b64 s[8:9], s[2:3]
	s_cbranch_execz .LBB397_9
; %bb.8:
	v_cvt_f32_u32_e32 v8, s7
	v_add_f32_e32 v6, v6, v7
	v_mov_b32_e32 v19, s17
	v_mov_b32_e32 v20, s16
	v_div_scale_f32 v7, s[24:25], v8, v8, v6
	v_rcp_f32_e32 v9, v7
	v_cndmask_b32_e32 v19, v19, v20, vcc
	s_mov_b32 s7, 0x800000
	v_fma_f32 v20, -v7, v9, 1.0
	v_fmac_f32_e32 v9, v20, v9
	v_div_scale_f32 v20, vcc, v6, v8, v6
	v_mul_f32_e32 v21, v20, v9
	v_fma_f32 v22, -v7, v21, v20
	v_fmac_f32_e32 v21, v22, v9
	v_fma_f32 v7, -v7, v21, v20
	v_div_fmas_f32 v7, v7, v9, v21
	v_div_fixup_f32 v6, v7, v8, v6
	v_add_f32_e32 v6, v19, v6
	v_mul_f32_e32 v7, 0x4b800000, v6
	v_cmp_gt_f32_e32 vcc, s7, v6
	v_cndmask_b32_e32 v6, v6, v7, vcc
	v_rsq_f32_e32 v6, v6
	s_waitcnt vmcnt(0)
	v_cvt_f32_f16_sdwa v21, v5 dst_sel:DWORD dst_unused:UNUSED_PAD src0_sel:WORD_1
	v_cvt_f32_f16_e32 v20, v5
	v_mul_f32_e32 v7, 0x45800000, v6
	v_cndmask_b32_e32 v6, v6, v7, vcc
	v_mov_b32_e32 v7, v6
	;;#ASMSTART
	v_pk_mul_f32 v[8:9], v[10:11], v[6:7]
	;;#ASMEND
	;;#ASMSTART
	v_pk_mul_f32 v[16:17], v[16:17], v[6:7]
	;;#ASMEND
	;; [unrolled: 3-line block ×4, first 2 shown]
	v_cvt_f32_f16_sdwa v11, v2 dst_sel:DWORD dst_unused:UNUSED_PAD src0_sel:WORD_1
	v_cvt_f32_f16_e32 v10, v2
	v_cvt_f32_f16_sdwa v13, v3 dst_sel:DWORD dst_unused:UNUSED_PAD src0_sel:WORD_1
	v_cvt_f32_f16_e32 v12, v3
	;; [unrolled: 2-line block ×3, first 2 shown]
	;;#ASMSTART
	v_pk_mul_f32 v[10:11], v[8:9], v[10:11]
	;;#ASMEND
	;;#ASMSTART
	v_pk_mul_f32 v[16:17], v[16:17], v[12:13]
	;;#ASMEND
	;; [unrolled: 3-line block ×4, first 2 shown]
.LBB397_9:
	s_or_b64 exec, exec, s[8:9]
	s_load_dword s7, s[4:5], 0x80
	s_mov_b64 s[8:9], -1
	s_and_b64 vcc, exec, s[14:15]
	s_cbranch_vccnz .LBB397_13
; %bb.10:
	s_andn2_b64 vcc, exec, s[8:9]
	s_cbranch_vccz .LBB397_16
.LBB397_11:
	s_cmp_lt_i32 s20, 1
	s_cbranch_scc0 .LBB397_25
.LBB397_12:
	s_endpgm
.LBB397_13:
	s_and_saveexec_b64 s[14:15], s[2:3]
	s_cbranch_execz .LBB397_15
; %bb.14:
	s_waitcnt lgkmcnt(0)
	s_mul_hi_i32 s9, s7, s6
	s_mul_i32 s8, s7, s6
	s_waitcnt vmcnt(0)
	v_cvt_f16_f32_e32 v2, v10
	v_cvt_f16_f32_e32 v3, v16
	;; [unrolled: 1-line block ×8, first 2 shown]
	s_lshl_b64 s[8:9], s[8:9], 1
	s_add_u32 s8, s28, s8
	s_addc_u32 s9, s29, s9
	s_and_b32 s9, s9, 0xffff
	s_mov_b32 s11, 0x20000
	v_pack_b32_f16 v5, v5, v6
	v_pack_b32_f16 v4, v4, v7
	;; [unrolled: 1-line block ×4, first 2 shown]
	v_lshlrev_b32_e32 v6, 4, v0
	buffer_store_dwordx4 v[2:5], v6, s[8:11], 0 offen
	;;#ASMSTART
	s_nop 0
	;;#ASMEND
.LBB397_15:
	s_or_b64 exec, exec, s[14:15]
	s_cbranch_execnz .LBB397_11
.LBB397_16:
	s_load_dwordx4 s[24:27], s[4:5], 0x70
	s_waitcnt vmcnt(0)
	v_mov_b32_e32 v2, 0
	s_and_saveexec_b64 s[14:15], s[2:3]
	s_cbranch_execz .LBB397_18
; %bb.17:
	s_load_dwordx2 s[8:9], s[4:5], 0x10
	s_waitcnt lgkmcnt(0)
	s_mul_hi_i32 s35, s27, s6
	s_mul_i32 s34, s27, s6
	v_cvt_f16_f32_e32 v2, v10
	v_cvt_f16_f32_e32 v3, v16
	;; [unrolled: 1-line block ×8, first 2 shown]
	s_lshl_b64 s[34:35], s[34:35], 1
	s_add_u32 s8, s8, s34
	s_addc_u32 s9, s9, s35
	s_mov_b32 s11, 0x20000
	s_and_b32 s9, s9, 0xffff
	v_pack_b32_f16 v5, v5, v6
	v_pack_b32_f16 v4, v4, v7
	;; [unrolled: 1-line block ×4, first 2 shown]
	v_lshlrev_b32_e32 v6, 4, v0
	buffer_store_dwordx4 v[2:5], v6, s[8:11], 0 offen
	;;#ASMSTART
	s_nop 0
	;;#ASMEND
	s_nop 0
	v_mov_b32_e32 v2, 0x2edbe6ff
.LBB397_18:
	s_or_b64 exec, exec, s[14:15]
	s_and_saveexec_b64 s[8:9], s[2:3]
	s_cbranch_execz .LBB397_20
; %bb.19:
	v_and_b32_e32 v3, 0x7fffffff, v10
	v_and_b32_e32 v4, 0x7fffffff, v11
	;;#ASMSTART
	v_max3_f32 v2, v2, v3, v4

	;;#ASMEND
	v_and_b32_e32 v3, 0x7fffffff, v16
	v_and_b32_e32 v4, 0x7fffffff, v17
	;;#ASMSTART
	v_max3_f32 v2, v2, v3, v4

	;;#ASMEND
	;; [unrolled: 6-line block ×4, first 2 shown]
.LBB397_20:
	s_or_b64 exec, exec, s[8:9]
	;;#ASMSTART
	v_max_f32 v3, v2, v2 quad_perm:[1,0,3,2] row_mask:0xf bank_mask:0xf bound_ctrl:1
	;;#ASMEND
	;;#ASMSTART
	v_max_f32 v2, v3, v3 quad_perm:[2,3,0,1] row_mask:0xf bank_mask:0xf bound_ctrl:1
	;;#ASMEND
	;;#ASMSTART
	v_max_f32 v3, v2, v2 row_half_mirror row_mask:0xf bank_mask:0xf bound_ctrl:1
	;;#ASMEND
	v_mul_f32_e32 v2, 0x3b124925, v3
	v_and_b32_e32 v3, 7, v0
	v_cmp_eq_u32_e32 vcc, 0, v3
	v_cmp_gt_i32_e64 s[8:9], s19, v1
	s_and_b64 s[10:11], vcc, s[8:9]
	s_and_saveexec_b64 s[8:9], s[10:11]
	s_cbranch_execz .LBB397_22
; %bb.21:
	s_load_dwordx2 s[10:11], s[4:5], 0x8
	s_waitcnt lgkmcnt(0)
	s_mul_hi_i32 s15, s25, s6
	s_mul_i32 s14, s25, s6
	v_lshrrev_b32_e32 v3, 3, v0
	s_lshl_b64 s[14:15], s[14:15], 2
	v_mad_i64_i32 v[4:5], s[26:27], s26, v3, 0
	s_add_u32 s10, s10, s14
	s_addc_u32 s11, s11, s15
	v_lshlrev_b64 v[4:5], 2, v[4:5]
	v_mov_b32_e32 v3, s11
	v_add_co_u32_e32 v4, vcc, s10, v4
	v_addc_co_u32_e32 v5, vcc, v3, v5, vcc
	global_store_dword v[4:5], v2, off
.LBB397_22:
	s_or_b64 exec, exec, s[8:9]
	;;#ASMSTART
	v_rcp_f32 v2, v2
	;;#ASMEND
	s_and_saveexec_b64 s[14:15], s[2:3]
	s_cbranch_execz .LBB397_24
; %bb.23:
	s_load_dwordx2 s[2:3], s[4:5], 0x0
	s_waitcnt lgkmcnt(0)
	s_mul_i32 s8, s24, s6
	s_mul_hi_i32 s9, s24, s6
	v_mov_b32_e32 v3, v2
	;;#ASMSTART
	v_pk_mul_f32 v[4:5], v[10:11], v[2:3]
	;;#ASMEND
	s_add_u32 s8, s2, s8
	s_addc_u32 s2, s3, s9
	s_add_i32 s3, s19, 3
	s_ashr_i32 s9, s3, 31
	v_mov_b32_e32 v8, 0xc3e00000
	v_mov_b32_e32 v9, 0x43e00000
	;;#ASMSTART
	v_med3_f32 v4, v4, v8, v9
v_med3_f32 v5, v5, v8, v9
v_cvt_pk_fp8_f32 v6, v4, v5
	;;#ASMEND
	s_lshr_b32 s9, s9, 30
	;;#ASMSTART
	v_pk_mul_f32 v[4:5], v[16:17], v[2:3]
	;;#ASMEND
	s_add_i32 s3, s3, s9
	s_and_b32 s9, s2, 0xffff
	;;#ASMSTART
	v_med3_f32 v4, v4, v8, v9
v_med3_f32 v5, v5, v8, v9
v_cvt_pk_fp8_f32 v7, v4, v5
	;;#ASMEND
	s_mov_b32 s2, 0x5040100
	v_perm_b32 v5, v7, v6, s2
	s_movk_i32 s2, 0xff
	v_and_b32_e32 v4, 0xffffff00, v7
	v_and_b32_sdwa v6, v5, s2 dst_sel:DWORD dst_unused:UNUSED_PAD src0_sel:WORD_1 src1_sel:DWORD
	s_mov_b32 s16, 0xffff
	v_or_b32_sdwa v4, v6, v4 dst_sel:WORD_1 dst_unused:UNUSED_PAD src0_sel:DWORD src1_sel:DWORD
	v_and_or_b32 v4, v5, s16, v4
	;;#ASMSTART
	v_pk_mul_f32 v[6:7], v[14:15], v[2:3]
	;;#ASMEND
	v_mov_b32_e32 v5, v7
	;;#ASMSTART
	v_med3_f32 v6, v6, v8, v9
v_med3_f32 v5, v5, v8, v9
v_cvt_pk_fp8_f32 v7, v6, v5
	;;#ASMEND
	;;#ASMSTART
	v_pk_mul_f32 v[2:3], v[12:13], v[2:3]
	;;#ASMEND
	;;#ASMSTART
	v_med3_f32 v2, v2, v8, v9
v_med3_f32 v3, v3, v8, v9
v_cvt_pk_fp8_f32 v5, v2, v3
	;;#ASMEND
	v_lshlrev_b32_e32 v2, 16, v5
	s_and_b32 s10, s3, -4
	s_mov_b32 s11, 0x20000
	v_and_or_b32 v5, v7, s16, v2
	buffer_store_dwordx2 v[4:5], v1, s[8:11], 0 offen
	;;#ASMSTART
	s_nop 0
	;;#ASMEND
.LBB397_24:
	s_or_b64 exec, exec, s[14:15]
	s_cmp_lt_i32 s20, 1
	s_cbranch_scc1 .LBB397_12
.LBB397_25:
	s_load_dword s2, s[4:5], 0x94
	s_waitcnt lgkmcnt(0)
	s_cmp_lg_u32 s2, 1
	s_cbranch_scc1 .LBB397_12
; %bb.26:
	s_lshl_b32 s2, s20, 1
	s_add_i32 s2, s2, 2
	v_cmp_gt_u32_e32 vcc, s20, v1
	s_and_b32 s14, s2, -4
	v_mov_b32_e32 v10, 0
	v_lshlrev_b32_e32 v1, 4, v0
	v_mov_b32_e32 v6, 0
	v_mov_b32_e32 v7, 0
	v_mov_b32_e32 v8, 0
	v_mov_b32_e32 v9, 0
	s_waitcnt vmcnt(0)
	v_mov_b32_e32 v2, 0
	v_mov_b32_e32 v3, 0
	;; [unrolled: 1-line block ×4, first 2 shown]
	s_barrier
	s_and_saveexec_b64 s[2:3], vcc
	s_cbranch_execz .LBB397_28
; %bb.27:
	s_mul_hi_i32 s5, s22, s6
	s_mul_i32 s4, s22, s6
	s_and_b32 s13, s13, 0xffff
	s_lshl_b64 s[4:5], s[4:5], 1
	s_add_u32 s8, s30, s4
	s_mov_b32 s15, 0x20000
	s_addc_u32 s4, s31, s5
	s_and_b32 s9, s4, 0xffff
	s_mov_b32 s10, s14
	s_mov_b32 s11, s15
	buffer_load_dwordx4 v[6:9], v1, s[8:11], 0 offen glc slc
	buffer_load_dwordx4 v[2:5], v1, s[12:15], 0 offen
.LBB397_28:
	s_or_b64 exec, exec, s[2:3]
	v_mov_b32_e32 v11, 0
	v_mov_b32_e32 v16, 0
	;; [unrolled: 1-line block ×7, first 2 shown]
	s_and_saveexec_b64 s[2:3], vcc
	s_cbranch_execz .LBB397_30
; %bb.29:
	s_waitcnt vmcnt(1)
	v_cvt_f32_f16_sdwa v11, v6 dst_sel:DWORD dst_unused:UNUSED_PAD src0_sel:WORD_1
	v_cvt_f32_f16_e32 v10, v6
	v_cvt_f32_f16_sdwa v17, v7 dst_sel:DWORD dst_unused:UNUSED_PAD src0_sel:WORD_1
	v_cvt_f32_f16_e32 v16, v7
	;; [unrolled: 2-line block ×4, first 2 shown]
.LBB397_30:
	s_or_b64 exec, exec, s[2:3]
	s_waitcnt vmcnt(1)
	v_mul_f32_e32 v6, v11, v11
	v_fmac_f32_e32 v6, v10, v10
	v_fmac_f32_e32 v6, v16, v16
	v_fmac_f32_e32 v6, v17, v17
	v_fmac_f32_e32 v6, v14, v14
	v_fmac_f32_e32 v6, v15, v15
	v_fmac_f32_e32 v6, v12, v12
	v_fmac_f32_e32 v6, v13, v13
	s_nop 1
	v_mov_b32_dpp v7, v6 quad_perm:[1,0,3,2] row_mask:0xf bank_mask:0xf
	v_add_f32_e32 v6, v6, v7
	s_nop 1
	v_mov_b32_dpp v7, v6 quad_perm:[2,3,0,1] row_mask:0xf bank_mask:0xf
	v_add_f32_e32 v6, v6, v7
	s_nop 1
	v_mov_b32_dpp v7, v6 row_half_mirror row_mask:0xf bank_mask:0xf
	v_add_f32_e32 v6, v6, v7
	s_nop 1
	v_mov_b32_dpp v7, v6 row_mirror row_mask:0xf bank_mask:0xf
	v_add_f32_e32 v6, v6, v7
	s_nop 1
	v_mov_b32_dpp v7, v6 row_bcast:15 row_mask:0xf bank_mask:0xf
	v_add_f32_e32 v6, v6, v7
	s_nop 1
	v_mov_b32_dpp v7, v6 row_bcast:31 row_mask:0xf bank_mask:0xf
	s_and_saveexec_b64 s[2:3], s[0:1]
	s_cbranch_execz .LBB397_32
; %bb.31:
	v_lshrrev_b32_e32 v0, 4, v0
	v_add_f32_e32 v6, v6, v7
	v_and_b32_e32 v0, 60, v0
	ds_write_b32 v0, v6
.LBB397_32:
	s_or_b64 exec, exec, s[2:3]
	s_waitcnt lgkmcnt(0)
	s_barrier
	ds_read_b32 v0, v18
	s_waitcnt lgkmcnt(0)
	s_nop 0
	v_mov_b32_dpp v6, v0 quad_perm:[1,0,3,2] row_mask:0xf bank_mask:0xf
	s_and_saveexec_b64 s[0:1], vcc
	s_cbranch_execz .LBB397_12
; %bb.33:
	v_cvt_f32_u32_e32 v7, s20
	v_add_f32_e32 v0, v0, v6
	s_mov_b32 s15, 0x20000
	v_div_scale_f32 v6, s[0:1], v7, v7, v0
	v_rcp_f32_e32 v8, v6
	v_div_scale_f32 v9, vcc, v0, v7, v0
	s_mov_b32 s0, 0x800000
	v_fma_f32 v18, -v6, v8, 1.0
	v_fmac_f32_e32 v8, v18, v8
	v_mul_f32_e32 v18, v9, v8
	v_fma_f32 v19, -v6, v18, v9
	v_fmac_f32_e32 v18, v19, v8
	v_fma_f32 v6, -v6, v18, v9
	v_div_fmas_f32 v6, v6, v8, v18
	v_div_fixup_f32 v0, v6, v7, v0
	v_add_f32_e32 v0, s17, v0
	v_mul_f32_e32 v6, 0x4b800000, v0
	v_cmp_gt_f32_e32 vcc, s0, v0
	v_cndmask_b32_e32 v0, v0, v6, vcc
	v_rsq_f32_e32 v0, v0
	s_waitcnt vmcnt(0)
	v_cvt_f32_f16_sdwa v19, v5 dst_sel:DWORD dst_unused:UNUSED_PAD src0_sel:WORD_1
	v_cvt_f32_f16_e32 v18, v5
	s_mul_hi_i32 s1, s7, s6
	v_mul_f32_e32 v6, 0x45800000, v0
	v_cndmask_b32_e32 v6, v0, v6, vcc
	v_mov_b32_e32 v7, v6
	;;#ASMSTART
	v_pk_mul_f32 v[8:9], v[10:11], v[6:7]
	;;#ASMEND
	;;#ASMSTART
	v_pk_mul_f32 v[10:11], v[16:17], v[6:7]
	;;#ASMEND
	;; [unrolled: 3-line block ×4, first 2 shown]
	v_cvt_f32_f16_sdwa v13, v2 dst_sel:DWORD dst_unused:UNUSED_PAD src0_sel:WORD_1
	v_cvt_f32_f16_e32 v12, v2
	v_cvt_f32_f16_sdwa v17, v3 dst_sel:DWORD dst_unused:UNUSED_PAD src0_sel:WORD_1
	v_cvt_f32_f16_e32 v16, v3
	;; [unrolled: 2-line block ×3, first 2 shown]
	;;#ASMSTART
	v_pk_mul_f32 v[4:5], v[8:9], v[12:13]
	;;#ASMEND
	;;#ASMSTART
	v_pk_mul_f32 v[8:9], v[10:11], v[16:17]
	;;#ASMEND
	;; [unrolled: 3-line block ×4, first 2 shown]
	s_mul_i32 s0, s7, s6
	v_cvt_f16_f32_e32 v0, v4
	v_cvt_f16_f32_e32 v4, v5
	v_cvt_f16_f32_e32 v5, v8
	v_cvt_f16_f32_e32 v8, v9
	v_cvt_f16_f32_e32 v9, v2
	v_cvt_f16_f32_e32 v10, v3
	v_cvt_f16_f32_e32 v6, v6
	v_cvt_f16_f32_e32 v7, v7
	s_lshl_b64 s[0:1], s[0:1], 1
	s_add_u32 s12, s28, s0
	s_addc_u32 s0, s29, s1
	s_and_b32 s13, s0, 0xffff
	v_pack_b32_f16 v2, v0, v4
	v_pack_b32_f16 v3, v5, v8
	;; [unrolled: 1-line block ×4, first 2 shown]
	buffer_store_dwordx4 v[2:5], v1, s[12:15], 0 offen
	;;#ASMSTART
	s_nop 0
	;;#ASMEND
	s_endpgm
	.section	.rodata,"a",@progbits
	.p2align	6, 0x0
	.amdhsa_kernel _ZN5aiter35fused_qk_rmsnorm_group_quant_kernelIDF16_DB8_Li128ELi8ELi8ELb0ELb1ELb0ELb0ELb0ELb0EEEvPT0_PvPT_S6_S6_PKS5_S8_S8_S8_S8_ffiiiiiiiiiiiii
		.amdhsa_group_segment_fixed_size 16
		.amdhsa_private_segment_fixed_size 0
		.amdhsa_kernarg_size 400
		.amdhsa_user_sgpr_count 6
		.amdhsa_user_sgpr_private_segment_buffer 1
		.amdhsa_user_sgpr_dispatch_ptr 0
		.amdhsa_user_sgpr_queue_ptr 0
		.amdhsa_user_sgpr_kernarg_segment_ptr 1
		.amdhsa_user_sgpr_dispatch_id 0
		.amdhsa_user_sgpr_flat_scratch_init 0
		.amdhsa_user_sgpr_kernarg_preload_length 0
		.amdhsa_user_sgpr_kernarg_preload_offset 0
		.amdhsa_user_sgpr_private_segment_size 0
		.amdhsa_uses_dynamic_stack 0
		.amdhsa_system_sgpr_private_segment_wavefront_offset 0
		.amdhsa_system_sgpr_workgroup_id_x 1
		.amdhsa_system_sgpr_workgroup_id_y 1
		.amdhsa_system_sgpr_workgroup_id_z 0
		.amdhsa_system_sgpr_workgroup_info 0
		.amdhsa_system_vgpr_workitem_id 0
		.amdhsa_next_free_vgpr 23
		.amdhsa_next_free_sgpr 36
		.amdhsa_accum_offset 24
		.amdhsa_reserve_vcc 1
		.amdhsa_reserve_flat_scratch 0
		.amdhsa_float_round_mode_32 0
		.amdhsa_float_round_mode_16_64 0
		.amdhsa_float_denorm_mode_32 3
		.amdhsa_float_denorm_mode_16_64 3
		.amdhsa_dx10_clamp 1
		.amdhsa_ieee_mode 1
		.amdhsa_fp16_overflow 0
		.amdhsa_tg_split 0
		.amdhsa_exception_fp_ieee_invalid_op 0
		.amdhsa_exception_fp_denorm_src 0
		.amdhsa_exception_fp_ieee_div_zero 0
		.amdhsa_exception_fp_ieee_overflow 0
		.amdhsa_exception_fp_ieee_underflow 0
		.amdhsa_exception_fp_ieee_inexact 0
		.amdhsa_exception_int_div_zero 0
	.end_amdhsa_kernel
	.section	.text._ZN5aiter35fused_qk_rmsnorm_group_quant_kernelIDF16_DB8_Li128ELi8ELi8ELb0ELb1ELb0ELb0ELb0ELb0EEEvPT0_PvPT_S6_S6_PKS5_S8_S8_S8_S8_ffiiiiiiiiiiiii,"axG",@progbits,_ZN5aiter35fused_qk_rmsnorm_group_quant_kernelIDF16_DB8_Li128ELi8ELi8ELb0ELb1ELb0ELb0ELb0ELb0EEEvPT0_PvPT_S6_S6_PKS5_S8_S8_S8_S8_ffiiiiiiiiiiiii,comdat
.Lfunc_end397:
	.size	_ZN5aiter35fused_qk_rmsnorm_group_quant_kernelIDF16_DB8_Li128ELi8ELi8ELb0ELb1ELb0ELb0ELb0ELb0EEEvPT0_PvPT_S6_S6_PKS5_S8_S8_S8_S8_ffiiiiiiiiiiiii, .Lfunc_end397-_ZN5aiter35fused_qk_rmsnorm_group_quant_kernelIDF16_DB8_Li128ELi8ELi8ELb0ELb1ELb0ELb0ELb0ELb0EEEvPT0_PvPT_S6_S6_PKS5_S8_S8_S8_S8_ffiiiiiiiiiiiii
                                        ; -- End function
	.section	.AMDGPU.csdata,"",@progbits
; Kernel info:
; codeLenInByte = 2596
; NumSgprs: 40
; NumVgprs: 23
; NumAgprs: 0
; TotalNumVgprs: 23
; ScratchSize: 0
; MemoryBound: 0
; FloatMode: 240
; IeeeMode: 1
; LDSByteSize: 16 bytes/workgroup (compile time only)
; SGPRBlocks: 4
; VGPRBlocks: 2
; NumSGPRsForWavesPerEU: 40
; NumVGPRsForWavesPerEU: 23
; AccumOffset: 24
; Occupancy: 8
; WaveLimiterHint : 0
; COMPUTE_PGM_RSRC2:SCRATCH_EN: 0
; COMPUTE_PGM_RSRC2:USER_SGPR: 6
; COMPUTE_PGM_RSRC2:TRAP_HANDLER: 0
; COMPUTE_PGM_RSRC2:TGID_X_EN: 1
; COMPUTE_PGM_RSRC2:TGID_Y_EN: 1
; COMPUTE_PGM_RSRC2:TGID_Z_EN: 0
; COMPUTE_PGM_RSRC2:TIDIG_COMP_CNT: 0
; COMPUTE_PGM_RSRC3_GFX90A:ACCUM_OFFSET: 5
; COMPUTE_PGM_RSRC3_GFX90A:TG_SPLIT: 0
	.section	.text._ZN5aiter35fused_qk_rmsnorm_group_quant_kernelItDB8_Li128ELi8ELi8ELb0ELb1ELb0ELb0ELb0ELb0EEEvPT0_PvPT_S6_S6_PKS5_S8_S8_S8_S8_ffiiiiiiiiiiiii,"axG",@progbits,_ZN5aiter35fused_qk_rmsnorm_group_quant_kernelItDB8_Li128ELi8ELi8ELb0ELb1ELb0ELb0ELb0ELb0EEEvPT0_PvPT_S6_S6_PKS5_S8_S8_S8_S8_ffiiiiiiiiiiiii,comdat
	.protected	_ZN5aiter35fused_qk_rmsnorm_group_quant_kernelItDB8_Li128ELi8ELi8ELb0ELb1ELb0ELb0ELb0ELb0EEEvPT0_PvPT_S6_S6_PKS5_S8_S8_S8_S8_ffiiiiiiiiiiiii ; -- Begin function _ZN5aiter35fused_qk_rmsnorm_group_quant_kernelItDB8_Li128ELi8ELi8ELb0ELb1ELb0ELb0ELb0ELb0EEEvPT0_PvPT_S6_S6_PKS5_S8_S8_S8_S8_ffiiiiiiiiiiiii
	.globl	_ZN5aiter35fused_qk_rmsnorm_group_quant_kernelItDB8_Li128ELi8ELi8ELb0ELb1ELb0ELb0ELb0ELb0EEEvPT0_PvPT_S6_S6_PKS5_S8_S8_S8_S8_ffiiiiiiiiiiiii
	.p2align	8
	.type	_ZN5aiter35fused_qk_rmsnorm_group_quant_kernelItDB8_Li128ELi8ELi8ELb0ELb1ELb0ELb0ELb0ELb0EEEvPT0_PvPT_S6_S6_PKS5_S8_S8_S8_S8_ffiiiiiiiiiiiii,@function
_ZN5aiter35fused_qk_rmsnorm_group_quant_kernelItDB8_Li128ELi8ELi8ELb0ELb1ELb0ELb0ELb0ELb0EEEvPT0_PvPT_S6_S6_PKS5_S8_S8_S8_S8_ffiiiiiiiiiiiii: ; @_ZN5aiter35fused_qk_rmsnorm_group_quant_kernelItDB8_Li128ELi8ELi8ELb0ELb1ELb0ELb0ELb0ELb0EEEvPT0_PvPT_S6_S6_PKS5_S8_S8_S8_S8_ffiiiiiiiiiiiii
; %bb.0:
	s_load_dwordx4 s[16:19], s[4:5], 0x50
	s_waitcnt lgkmcnt(0)
	s_cmp_ge_i32 s6, s18
	s_cbranch_scc1 .LBB398_10
; %bb.1:
	s_load_dwordx2 s[12:13], s[4:5], 0x48
	s_load_dwordx2 s[30:31], s[4:5], 0x30
	s_load_dwordx4 s[20:23], s[4:5], 0x60
	s_cmp_lg_u32 s7, 0
	s_cselect_b64 s[14:15], -1, 0
	s_cmp_eq_u32 s7, 0
	s_cselect_b64 vcc, -1, 0
	s_and_b64 s[0:1], vcc, exec
	s_waitcnt lgkmcnt(0)
	s_cselect_b32 s7, s19, s20
	s_add_i32 s0, s7, 1
	s_lshr_b32 s1, s0, 31
	s_add_i32 s0, s0, s1
	s_lshl_b32 s0, s0, 1
	v_lshlrev_b32_e32 v1, 3, v0
	s_and_b32 s10, s0, -4
	v_cmp_gt_i32_e64 s[2:3], s7, v1
	v_mov_b32_e32 v2, 0
	v_mov_b32_e32 v3, 0
	;; [unrolled: 1-line block ×8, first 2 shown]
	s_and_saveexec_b64 s[0:1], s[2:3]
	s_cbranch_execz .LBB398_3
; %bb.2:
	s_load_dwordx2 s[8:9], s[4:5], 0x28
	s_load_dwordx2 s[26:27], s[4:5], 0x40
	s_and_b64 s[24:25], vcc, exec
	s_cselect_b32 s11, s21, s22
	v_lshlrev_b32_e32 v10, 4, v0
	s_waitcnt lgkmcnt(0)
	s_cselect_b32 s18, s9, s31
	s_cselect_b32 s21, s8, s30
	s_mul_hi_i32 s9, s11, s6
	s_mul_i32 s8, s11, s6
	s_lshl_b64 s[8:9], s[8:9], 1
	s_add_u32 s24, s21, s8
	s_addc_u32 s18, s18, s9
	s_and_b64 s[8:9], vcc, exec
	s_mov_b32 s11, 0x20000
	s_cselect_b32 s8, s26, s12
	s_cselect_b32 s9, s27, s13
	s_and_b32 s25, s18, 0xffff
	s_mov_b32 s26, s10
	s_mov_b32 s27, s11
	s_and_b32 s9, s9, 0xffff
	buffer_load_dwordx4 v[6:9], v10, s[24:27], 0 offen glc slc
	buffer_load_dwordx4 v[2:5], v10, s[8:11], 0 offen
.LBB398_3:
	s_or_b64 exec, exec, s[0:1]
	s_waitcnt vmcnt(1)
	v_cvt_f32_u32_sdwa v13, v6 dst_sel:DWORD dst_unused:UNUSED_PAD src0_sel:WORD_1
	v_cvt_f32_u32_sdwa v12, v6 dst_sel:DWORD dst_unused:UNUSED_PAD src0_sel:WORD_0
	v_cvt_f32_u32_sdwa v6, v9 dst_sel:DWORD dst_unused:UNUSED_PAD src0_sel:WORD_1
	v_cvt_f32_u32_sdwa v9, v9 dst_sel:DWORD dst_unused:UNUSED_PAD src0_sel:WORD_0
	v_cvt_f32_u32_sdwa v14, v8 dst_sel:DWORD dst_unused:UNUSED_PAD src0_sel:WORD_1
	v_cvt_f32_u32_sdwa v10, v7 dst_sel:DWORD dst_unused:UNUSED_PAD src0_sel:WORD_0
	v_cvt_f32_u32_sdwa v11, v7 dst_sel:DWORD dst_unused:UNUSED_PAD src0_sel:WORD_1
	v_cvt_f32_u32_sdwa v8, v8 dst_sel:DWORD dst_unused:UNUSED_PAD src0_sel:WORD_0
	v_cndmask_b32_e64 v13, 0, v13, s[2:3]
	v_cndmask_b32_e64 v7, 0, v6, s[2:3]
	;; [unrolled: 1-line block ×5, first 2 shown]
	v_mul_f32_e32 v14, v13, v13
	v_cndmask_b32_e64 v10, 0, v10, s[2:3]
	v_fmac_f32_e32 v14, v12, v12
	v_cndmask_b32_e64 v11, 0, v11, s[2:3]
	v_fmac_f32_e32 v14, v10, v10
	;; [unrolled: 2-line block ×3, first 2 shown]
	v_fmac_f32_e32 v14, v8, v8
	v_fmac_f32_e32 v14, v9, v9
	;; [unrolled: 1-line block ×4, first 2 shown]
	v_and_b32_e32 v16, 63, v0
	v_cmp_eq_u32_e64 s[0:1], 63, v16
	v_mov_b32_dpp v15, v14 quad_perm:[1,0,3,2] row_mask:0xf bank_mask:0xf
	v_add_f32_e32 v14, v14, v15
	s_nop 1
	v_mov_b32_dpp v15, v14 quad_perm:[2,3,0,1] row_mask:0xf bank_mask:0xf
	v_add_f32_e32 v14, v14, v15
	s_nop 1
	v_mov_b32_dpp v15, v14 row_half_mirror row_mask:0xf bank_mask:0xf
	v_add_f32_e32 v14, v14, v15
	s_nop 1
	v_mov_b32_dpp v15, v14 row_mirror row_mask:0xf bank_mask:0xf
	v_add_f32_e32 v14, v14, v15
	s_nop 1
	v_mov_b32_dpp v15, v14 row_bcast:15 row_mask:0xf bank_mask:0xf
	v_add_f32_e32 v14, v14, v15
	s_nop 1
	v_mov_b32_dpp v15, v14 row_bcast:31 row_mask:0xf bank_mask:0xf
	s_and_saveexec_b64 s[8:9], s[0:1]
	s_cbranch_execz .LBB398_5
; %bb.4:
	v_add_f32_e32 v14, v14, v15
	v_lshrrev_b32_e32 v15, 4, v0
	v_and_b32_e32 v15, 60, v15
	ds_write_b32 v15, v14 offset:8
.LBB398_5:
	s_or_b64 exec, exec, s[8:9]
	v_and_b32_e32 v14, 1, v0
	v_lshlrev_b32_e32 v14, 2, v14
	s_waitcnt lgkmcnt(0)
	s_barrier
	ds_read_b32 v15, v14 offset:8
	s_load_dwordx2 s[28:29], s[4:5], 0x18
	s_waitcnt lgkmcnt(0)
	v_mov_b32_dpp v16, v15 quad_perm:[1,0,3,2] row_mask:0xf bank_mask:0xf
	s_and_saveexec_b64 s[8:9], s[2:3]
	s_cbranch_execz .LBB398_7
; %bb.6:
	v_cvt_f32_u32_e32 v17, s7
	v_add_f32_e32 v15, v15, v16
	v_mov_b32_e32 v19, s17
	v_mov_b32_e32 v20, s16
	v_div_scale_f32 v16, s[24:25], v17, v17, v15
	v_rcp_f32_e32 v18, v16
	v_cndmask_b32_e32 v19, v19, v20, vcc
	s_mov_b32 s7, 0x800000
	v_fma_f32 v20, -v16, v18, 1.0
	v_fmac_f32_e32 v18, v20, v18
	v_div_scale_f32 v20, vcc, v15, v17, v15
	v_mul_f32_e32 v21, v20, v18
	v_fma_f32 v22, -v16, v21, v20
	v_fmac_f32_e32 v21, v22, v18
	v_fma_f32 v16, -v16, v21, v20
	v_div_fmas_f32 v16, v16, v18, v21
	v_div_fixup_f32 v15, v16, v17, v15
	v_add_f32_e32 v15, v19, v15
	v_mul_f32_e32 v16, 0x4b800000, v15
	v_cmp_gt_f32_e32 vcc, s7, v15
	v_cndmask_b32_e32 v15, v15, v16, vcc
	v_rsq_f32_e32 v15, v15
	s_waitcnt vmcnt(0)
	v_cvt_f32_u32_sdwa v19, v3 dst_sel:DWORD dst_unused:UNUSED_PAD src0_sel:WORD_1
	v_cvt_f32_u32_sdwa v18, v3 dst_sel:DWORD dst_unused:UNUSED_PAD src0_sel:WORD_0
	v_cvt_f32_u32_sdwa v3, v4 dst_sel:DWORD dst_unused:UNUSED_PAD src0_sel:WORD_1
	v_mul_f32_e32 v16, 0x45800000, v15
	v_cndmask_b32_e32 v16, v15, v16, vcc
	v_mov_b32_e32 v17, v16
	;;#ASMSTART
	v_pk_mul_f32 v[12:13], v[12:13], v[16:17]
	;;#ASMEND
	;;#ASMSTART
	v_pk_mul_f32 v[10:11], v[10:11], v[16:17]
	;;#ASMEND
	;; [unrolled: 3-line block ×4, first 2 shown]
	v_cvt_f32_u32_sdwa v17, v2 dst_sel:DWORD dst_unused:UNUSED_PAD src0_sel:WORD_1
	v_cvt_f32_u32_sdwa v16, v2 dst_sel:DWORD dst_unused:UNUSED_PAD src0_sel:WORD_0
	v_cvt_f32_u32_sdwa v2, v4 dst_sel:DWORD dst_unused:UNUSED_PAD src0_sel:WORD_0
	v_cvt_f32_u32_sdwa v21, v5 dst_sel:DWORD dst_unused:UNUSED_PAD src0_sel:WORD_1
	v_cvt_f32_u32_sdwa v20, v5 dst_sel:DWORD dst_unused:UNUSED_PAD src0_sel:WORD_0
	;;#ASMSTART
	v_pk_mul_f32 v[12:13], v[12:13], v[16:17]
	;;#ASMEND
	;;#ASMSTART
	v_pk_mul_f32 v[10:11], v[10:11], v[18:19]
	;;#ASMEND
	;; [unrolled: 3-line block ×4, first 2 shown]
.LBB398_7:
	s_or_b64 exec, exec, s[8:9]
	s_load_dword s7, s[4:5], 0x80
	s_mov_b64 s[8:9], -1
	s_and_b64 vcc, exec, s[14:15]
	s_cbranch_vccnz .LBB398_11
; %bb.8:
	s_andn2_b64 vcc, exec, s[8:9]
	s_cbranch_vccz .LBB398_14
.LBB398_9:
	s_cmp_lt_i32 s20, 1
	s_cbranch_scc0 .LBB398_23
.LBB398_10:
	s_endpgm
.LBB398_11:
	s_and_saveexec_b64 s[14:15], s[2:3]
	s_cbranch_execz .LBB398_13
; %bb.12:
	s_waitcnt lgkmcnt(0)
	s_mul_hi_i32 s9, s7, s6
	s_mul_i32 s8, s7, s6
	s_lshl_b64 s[8:9], s[8:9], 1
	s_add_u32 s8, s28, s8
	s_addc_u32 s9, s29, s9
	s_mov_b32 s16, 0x7060302
	s_and_b32 s9, s9, 0xffff
	s_mov_b32 s11, 0x20000
	s_waitcnt vmcnt(0)
	v_perm_b32 v2, v13, v12, s16
	v_perm_b32 v3, v11, v10, s16
	;; [unrolled: 1-line block ×4, first 2 shown]
	v_lshlrev_b32_e32 v15, 4, v0
	buffer_store_dwordx4 v[2:5], v15, s[8:11], 0 offen
	;;#ASMSTART
	s_nop 0
	;;#ASMEND
.LBB398_13:
	s_or_b64 exec, exec, s[14:15]
	s_cbranch_execnz .LBB398_9
.LBB398_14:
	s_load_dwordx4 s[24:27], s[4:5], 0x70
	s_waitcnt vmcnt(0)
	v_mov_b32_e32 v2, 0
	s_and_saveexec_b64 s[14:15], s[2:3]
	s_cbranch_execz .LBB398_16
; %bb.15:
	s_load_dwordx2 s[8:9], s[4:5], 0x10
	s_waitcnt lgkmcnt(0)
	s_mul_hi_i32 s35, s27, s6
	s_mul_i32 s34, s27, s6
	s_lshl_b64 s[34:35], s[34:35], 1
	s_mov_b32 s16, 0x7060302
	s_add_u32 s8, s8, s34
	s_addc_u32 s9, s9, s35
	s_mov_b32 s11, 0x20000
	s_and_b32 s9, s9, 0xffff
	v_perm_b32 v2, v13, v12, s16
	v_perm_b32 v3, v11, v10, s16
	;; [unrolled: 1-line block ×4, first 2 shown]
	v_lshlrev_b32_e32 v15, 4, v0
	buffer_store_dwordx4 v[2:5], v15, s[8:11], 0 offen
	;;#ASMSTART
	s_nop 0
	;;#ASMEND
	s_nop 0
	v_mov_b32_e32 v2, 0x2edbe6ff
.LBB398_16:
	s_or_b64 exec, exec, s[14:15]
	s_and_saveexec_b64 s[8:9], s[2:3]
	s_cbranch_execz .LBB398_18
; %bb.17:
	v_and_b32_e32 v3, 0x7fffffff, v12
	v_and_b32_e32 v4, 0x7fffffff, v13
	;;#ASMSTART
	v_max3_f32 v2, v2, v3, v4

	;;#ASMEND
	v_and_b32_e32 v3, 0x7fffffff, v10
	v_and_b32_e32 v4, 0x7fffffff, v11
	;;#ASMSTART
	v_max3_f32 v2, v2, v3, v4

	;;#ASMEND
	;; [unrolled: 6-line block ×4, first 2 shown]
.LBB398_18:
	s_or_b64 exec, exec, s[8:9]
	;;#ASMSTART
	v_max_f32 v3, v2, v2 quad_perm:[1,0,3,2] row_mask:0xf bank_mask:0xf bound_ctrl:1
	;;#ASMEND
	;;#ASMSTART
	v_max_f32 v2, v3, v3 quad_perm:[2,3,0,1] row_mask:0xf bank_mask:0xf bound_ctrl:1
	;;#ASMEND
	;;#ASMSTART
	v_max_f32 v3, v2, v2 row_half_mirror row_mask:0xf bank_mask:0xf bound_ctrl:1
	;;#ASMEND
	v_mul_f32_e32 v2, 0x3b124925, v3
	v_and_b32_e32 v3, 7, v0
	v_cmp_eq_u32_e32 vcc, 0, v3
	v_cmp_gt_i32_e64 s[8:9], s19, v1
	s_and_b64 s[10:11], vcc, s[8:9]
	s_and_saveexec_b64 s[8:9], s[10:11]
	s_cbranch_execz .LBB398_20
; %bb.19:
	s_load_dwordx2 s[10:11], s[4:5], 0x8
	s_waitcnt lgkmcnt(0)
	s_mul_hi_i32 s15, s25, s6
	s_mul_i32 s14, s25, s6
	v_lshrrev_b32_e32 v3, 3, v0
	s_lshl_b64 s[14:15], s[14:15], 2
	v_mad_i64_i32 v[4:5], s[26:27], s26, v3, 0
	s_add_u32 s10, s10, s14
	s_addc_u32 s11, s11, s15
	v_lshlrev_b64 v[4:5], 2, v[4:5]
	v_mov_b32_e32 v3, s11
	v_add_co_u32_e32 v4, vcc, s10, v4
	v_addc_co_u32_e32 v5, vcc, v3, v5, vcc
	global_store_dword v[4:5], v2, off
.LBB398_20:
	s_or_b64 exec, exec, s[8:9]
	;;#ASMSTART
	v_rcp_f32 v2, v2
	;;#ASMEND
	s_and_saveexec_b64 s[14:15], s[2:3]
	s_cbranch_execz .LBB398_22
; %bb.21:
	s_load_dwordx2 s[2:3], s[4:5], 0x0
	s_waitcnt lgkmcnt(0)
	s_mul_i32 s8, s24, s6
	s_mul_hi_i32 s9, s24, s6
	v_mov_b32_e32 v3, v2
	;;#ASMSTART
	v_pk_mul_f32 v[4:5], v[12:13], v[2:3]
	;;#ASMEND
	s_add_u32 s8, s2, s8
	s_addc_u32 s2, s3, s9
	s_add_i32 s3, s19, 3
	s_ashr_i32 s9, s3, 31
	v_mov_b32_e32 v12, 0xc3e00000
	v_mov_b32_e32 v13, 0x43e00000
	;;#ASMSTART
	v_med3_f32 v4, v4, v12, v13
v_med3_f32 v5, v5, v12, v13
v_cvt_pk_fp8_f32 v15, v4, v5
	;;#ASMEND
	s_lshr_b32 s9, s9, 30
	;;#ASMSTART
	v_pk_mul_f32 v[4:5], v[10:11], v[2:3]
	;;#ASMEND
	s_add_i32 s3, s3, s9
	s_and_b32 s9, s2, 0xffff
	;;#ASMSTART
	v_med3_f32 v4, v4, v12, v13
v_med3_f32 v5, v5, v12, v13
v_cvt_pk_fp8_f32 v10, v4, v5
	;;#ASMEND
	s_mov_b32 s2, 0x5040100
	v_perm_b32 v5, v10, v15, s2
	s_movk_i32 s2, 0xff
	v_and_b32_e32 v4, 0xffffff00, v10
	v_and_b32_sdwa v10, v5, s2 dst_sel:DWORD dst_unused:UNUSED_PAD src0_sel:WORD_1 src1_sel:DWORD
	s_mov_b32 s16, 0xffff
	v_or_b32_sdwa v4, v10, v4 dst_sel:WORD_1 dst_unused:UNUSED_PAD src0_sel:DWORD src1_sel:DWORD
	v_and_or_b32 v4, v5, s16, v4
	;;#ASMSTART
	v_pk_mul_f32 v[8:9], v[8:9], v[2:3]
	;;#ASMEND
	v_mov_b32_e32 v5, v8
	;;#ASMSTART
	v_med3_f32 v5, v5, v12, v13
v_med3_f32 v9, v9, v12, v13
v_cvt_pk_fp8_f32 v8, v5, v9
	;;#ASMEND
	;;#ASMSTART
	v_pk_mul_f32 v[2:3], v[6:7], v[2:3]
	;;#ASMEND
	;;#ASMSTART
	v_med3_f32 v2, v2, v12, v13
v_med3_f32 v3, v3, v12, v13
v_cvt_pk_fp8_f32 v5, v2, v3
	;;#ASMEND
	v_lshlrev_b32_e32 v2, 16, v5
	s_and_b32 s10, s3, -4
	s_mov_b32 s11, 0x20000
	v_and_or_b32 v5, v8, s16, v2
	buffer_store_dwordx2 v[4:5], v1, s[8:11], 0 offen
	;;#ASMSTART
	s_nop 0
	;;#ASMEND
.LBB398_22:
	s_or_b64 exec, exec, s[14:15]
	s_cmp_lt_i32 s20, 1
	s_cbranch_scc1 .LBB398_10
.LBB398_23:
	s_load_dword s2, s[4:5], 0x94
	s_waitcnt lgkmcnt(0)
	s_cmp_lg_u32 s2, 1
	s_cbranch_scc1 .LBB398_10
; %bb.24:
	s_lshl_b32 s2, s20, 1
	s_add_i32 s2, s2, 2
	v_cmp_gt_u32_e32 vcc, s20, v1
	s_and_b32 s14, s2, -4
	v_mov_b32_e32 v6, 0
	v_lshlrev_b32_e32 v1, 4, v0
	v_mov_b32_e32 v7, 0
	v_mov_b32_e32 v8, 0
	;; [unrolled: 1-line block ×3, first 2 shown]
	s_waitcnt vmcnt(0)
	v_mov_b32_e32 v2, 0
	v_mov_b32_e32 v3, 0
	;; [unrolled: 1-line block ×4, first 2 shown]
	s_barrier
	s_and_saveexec_b64 s[2:3], vcc
	s_cbranch_execz .LBB398_26
; %bb.25:
	s_mul_hi_i32 s5, s22, s6
	s_mul_i32 s4, s22, s6
	s_and_b32 s13, s13, 0xffff
	s_lshl_b64 s[4:5], s[4:5], 1
	s_add_u32 s8, s30, s4
	s_mov_b32 s15, 0x20000
	s_addc_u32 s4, s31, s5
	s_and_b32 s9, s4, 0xffff
	s_mov_b32 s10, s14
	s_mov_b32 s11, s15
	buffer_load_dwordx4 v[6:9], v1, s[8:11], 0 offen glc slc
	buffer_load_dwordx4 v[2:5], v1, s[12:15], 0 offen
.LBB398_26:
	s_or_b64 exec, exec, s[2:3]
	s_waitcnt vmcnt(1)
	v_cvt_f32_u32_sdwa v13, v6 dst_sel:DWORD dst_unused:UNUSED_PAD src0_sel:WORD_1
	v_cvt_f32_u32_sdwa v12, v6 dst_sel:DWORD dst_unused:UNUSED_PAD src0_sel:WORD_0
	v_cvt_f32_u32_sdwa v6, v9 dst_sel:DWORD dst_unused:UNUSED_PAD src0_sel:WORD_1
	v_cvt_f32_u32_sdwa v9, v9 dst_sel:DWORD dst_unused:UNUSED_PAD src0_sel:WORD_0
	;; [unrolled: 2-line block ×4, first 2 shown]
	v_cndmask_b32_e32 v13, 0, v13, vcc
	v_cndmask_b32_e32 v7, 0, v6, vcc
	;; [unrolled: 1-line block ×5, first 2 shown]
	v_mul_f32_e32 v15, v13, v13
	v_cndmask_b32_e32 v10, 0, v10, vcc
	v_fmac_f32_e32 v15, v12, v12
	v_cndmask_b32_e32 v11, 0, v11, vcc
	v_fmac_f32_e32 v15, v10, v10
	;; [unrolled: 2-line block ×3, first 2 shown]
	v_fmac_f32_e32 v15, v8, v8
	v_fmac_f32_e32 v15, v9, v9
	;; [unrolled: 1-line block ×4, first 2 shown]
	s_nop 1
	v_mov_b32_dpp v16, v15 quad_perm:[1,0,3,2] row_mask:0xf bank_mask:0xf
	v_add_f32_e32 v15, v15, v16
	s_nop 1
	v_mov_b32_dpp v16, v15 quad_perm:[2,3,0,1] row_mask:0xf bank_mask:0xf
	v_add_f32_e32 v15, v15, v16
	s_nop 1
	v_mov_b32_dpp v16, v15 row_half_mirror row_mask:0xf bank_mask:0xf
	v_add_f32_e32 v15, v15, v16
	s_nop 1
	v_mov_b32_dpp v16, v15 row_mirror row_mask:0xf bank_mask:0xf
	v_add_f32_e32 v15, v15, v16
	s_nop 1
	v_mov_b32_dpp v16, v15 row_bcast:15 row_mask:0xf bank_mask:0xf
	v_add_f32_e32 v15, v15, v16
	s_nop 1
	v_mov_b32_dpp v16, v15 row_bcast:31 row_mask:0xf bank_mask:0xf
	s_and_saveexec_b64 s[2:3], s[0:1]
	s_cbranch_execz .LBB398_28
; %bb.27:
	v_lshrrev_b32_e32 v0, 4, v0
	v_add_f32_e32 v15, v15, v16
	v_and_b32_e32 v0, 60, v0
	ds_write_b32 v0, v15
.LBB398_28:
	s_or_b64 exec, exec, s[2:3]
	s_waitcnt lgkmcnt(0)
	s_barrier
	ds_read_b32 v0, v14
	s_waitcnt lgkmcnt(0)
	s_nop 0
	v_mov_b32_dpp v14, v0 quad_perm:[1,0,3,2] row_mask:0xf bank_mask:0xf
	s_and_saveexec_b64 s[0:1], vcc
	s_cbranch_execz .LBB398_10
; %bb.29:
	v_cvt_f32_u32_e32 v15, s20
	v_add_f32_e32 v0, v0, v14
	s_mov_b32 s15, 0x20000
	v_div_scale_f32 v14, s[0:1], v15, v15, v0
	v_rcp_f32_e32 v16, v14
	v_div_scale_f32 v17, vcc, v0, v15, v0
	s_mov_b32 s0, 0x800000
	v_fma_f32 v18, -v14, v16, 1.0
	v_fmac_f32_e32 v16, v18, v16
	v_mul_f32_e32 v18, v17, v16
	v_fma_f32 v19, -v14, v18, v17
	v_fmac_f32_e32 v18, v19, v16
	v_fma_f32 v14, -v14, v18, v17
	v_div_fmas_f32 v14, v14, v16, v18
	v_div_fixup_f32 v0, v14, v15, v0
	v_add_f32_e32 v0, s17, v0
	v_mul_f32_e32 v14, 0x4b800000, v0
	v_cmp_gt_f32_e32 vcc, s0, v0
	v_cndmask_b32_e32 v0, v0, v14, vcc
	v_rsq_f32_e32 v0, v0
	s_mul_hi_i32 s1, s7, s6
	s_mul_i32 s0, s7, s6
	s_lshl_b64 s[0:1], s[0:1], 1
	v_mul_f32_e32 v14, 0x45800000, v0
	v_cndmask_b32_e32 v14, v0, v14, vcc
	s_add_u32 s12, s28, s0
	v_mov_b32_e32 v15, v14
	s_addc_u32 s0, s29, s1
	;;#ASMSTART
	v_pk_mul_f32 v[12:13], v[12:13], v[14:15]
	;;#ASMEND
	;;#ASMSTART
	v_pk_mul_f32 v[10:11], v[10:11], v[14:15]
	;;#ASMEND
	;; [unrolled: 3-line block ×4, first 2 shown]
	s_waitcnt vmcnt(0)
	v_cvt_f32_u32_sdwa v15, v2 dst_sel:DWORD dst_unused:UNUSED_PAD src0_sel:WORD_1
	v_cvt_f32_u32_sdwa v14, v2 dst_sel:DWORD dst_unused:UNUSED_PAD src0_sel:WORD_0
	v_cvt_f32_u32_sdwa v17, v3 dst_sel:DWORD dst_unused:UNUSED_PAD src0_sel:WORD_1
	v_cvt_f32_u32_sdwa v16, v3 dst_sel:DWORD dst_unused:UNUSED_PAD src0_sel:WORD_0
	;; [unrolled: 2-line block ×4, first 2 shown]
	;;#ASMSTART
	v_pk_mul_f32 v[4:5], v[12:13], v[14:15]
	;;#ASMEND
	s_and_b32 s13, s0, 0xffff
	s_mov_b32 s0, 0x7060302
	;;#ASMSTART
	v_pk_mul_f32 v[10:11], v[10:11], v[16:17]
	;;#ASMEND
	;;#ASMSTART
	v_pk_mul_f32 v[8:9], v[8:9], v[2:3]
	;;#ASMEND
	;; [unrolled: 3-line block ×3, first 2 shown]
	v_perm_b32 v2, v5, v4, s0
	v_perm_b32 v3, v11, v10, s0
	;; [unrolled: 1-line block ×4, first 2 shown]
	buffer_store_dwordx4 v[2:5], v1, s[12:15], 0 offen
	;;#ASMSTART
	s_nop 0
	;;#ASMEND
	s_endpgm
	.section	.rodata,"a",@progbits
	.p2align	6, 0x0
	.amdhsa_kernel _ZN5aiter35fused_qk_rmsnorm_group_quant_kernelItDB8_Li128ELi8ELi8ELb0ELb1ELb0ELb0ELb0ELb0EEEvPT0_PvPT_S6_S6_PKS5_S8_S8_S8_S8_ffiiiiiiiiiiiii
		.amdhsa_group_segment_fixed_size 16
		.amdhsa_private_segment_fixed_size 0
		.amdhsa_kernarg_size 400
		.amdhsa_user_sgpr_count 6
		.amdhsa_user_sgpr_private_segment_buffer 1
		.amdhsa_user_sgpr_dispatch_ptr 0
		.amdhsa_user_sgpr_queue_ptr 0
		.amdhsa_user_sgpr_kernarg_segment_ptr 1
		.amdhsa_user_sgpr_dispatch_id 0
		.amdhsa_user_sgpr_flat_scratch_init 0
		.amdhsa_user_sgpr_kernarg_preload_length 0
		.amdhsa_user_sgpr_kernarg_preload_offset 0
		.amdhsa_user_sgpr_private_segment_size 0
		.amdhsa_uses_dynamic_stack 0
		.amdhsa_system_sgpr_private_segment_wavefront_offset 0
		.amdhsa_system_sgpr_workgroup_id_x 1
		.amdhsa_system_sgpr_workgroup_id_y 1
		.amdhsa_system_sgpr_workgroup_id_z 0
		.amdhsa_system_sgpr_workgroup_info 0
		.amdhsa_system_vgpr_workitem_id 0
		.amdhsa_next_free_vgpr 23
		.amdhsa_next_free_sgpr 36
		.amdhsa_accum_offset 24
		.amdhsa_reserve_vcc 1
		.amdhsa_reserve_flat_scratch 0
		.amdhsa_float_round_mode_32 0
		.amdhsa_float_round_mode_16_64 0
		.amdhsa_float_denorm_mode_32 3
		.amdhsa_float_denorm_mode_16_64 3
		.amdhsa_dx10_clamp 1
		.amdhsa_ieee_mode 1
		.amdhsa_fp16_overflow 0
		.amdhsa_tg_split 0
		.amdhsa_exception_fp_ieee_invalid_op 0
		.amdhsa_exception_fp_denorm_src 0
		.amdhsa_exception_fp_ieee_div_zero 0
		.amdhsa_exception_fp_ieee_overflow 0
		.amdhsa_exception_fp_ieee_underflow 0
		.amdhsa_exception_fp_ieee_inexact 0
		.amdhsa_exception_int_div_zero 0
	.end_amdhsa_kernel
	.section	.text._ZN5aiter35fused_qk_rmsnorm_group_quant_kernelItDB8_Li128ELi8ELi8ELb0ELb1ELb0ELb0ELb0ELb0EEEvPT0_PvPT_S6_S6_PKS5_S8_S8_S8_S8_ffiiiiiiiiiiiii,"axG",@progbits,_ZN5aiter35fused_qk_rmsnorm_group_quant_kernelItDB8_Li128ELi8ELi8ELb0ELb1ELb0ELb0ELb0ELb0EEEvPT0_PvPT_S6_S6_PKS5_S8_S8_S8_S8_ffiiiiiiiiiiiii,comdat
.Lfunc_end398:
	.size	_ZN5aiter35fused_qk_rmsnorm_group_quant_kernelItDB8_Li128ELi8ELi8ELb0ELb1ELb0ELb0ELb0ELb0EEEvPT0_PvPT_S6_S6_PKS5_S8_S8_S8_S8_ffiiiiiiiiiiiii, .Lfunc_end398-_ZN5aiter35fused_qk_rmsnorm_group_quant_kernelItDB8_Li128ELi8ELi8ELb0ELb1ELb0ELb0ELb0ELb0EEEvPT0_PvPT_S6_S6_PKS5_S8_S8_S8_S8_ffiiiiiiiiiiiii
                                        ; -- End function
	.section	.AMDGPU.csdata,"",@progbits
; Kernel info:
; codeLenInByte = 2588
; NumSgprs: 40
; NumVgprs: 23
; NumAgprs: 0
; TotalNumVgprs: 23
; ScratchSize: 0
; MemoryBound: 0
; FloatMode: 240
; IeeeMode: 1
; LDSByteSize: 16 bytes/workgroup (compile time only)
; SGPRBlocks: 4
; VGPRBlocks: 2
; NumSGPRsForWavesPerEU: 40
; NumVGPRsForWavesPerEU: 23
; AccumOffset: 24
; Occupancy: 8
; WaveLimiterHint : 0
; COMPUTE_PGM_RSRC2:SCRATCH_EN: 0
; COMPUTE_PGM_RSRC2:USER_SGPR: 6
; COMPUTE_PGM_RSRC2:TRAP_HANDLER: 0
; COMPUTE_PGM_RSRC2:TGID_X_EN: 1
; COMPUTE_PGM_RSRC2:TGID_Y_EN: 1
; COMPUTE_PGM_RSRC2:TGID_Z_EN: 0
; COMPUTE_PGM_RSRC2:TIDIG_COMP_CNT: 0
; COMPUTE_PGM_RSRC3_GFX90A:ACCUM_OFFSET: 5
; COMPUTE_PGM_RSRC3_GFX90A:TG_SPLIT: 0
	.section	.text._ZN5aiter35fused_qk_rmsnorm_group_quant_kernelIDF16_N4opus5fp4_tELi128ELi8ELi8ELb0ELb1ELb0ELb0ELb0ELb0EEEvPT0_PvPT_S7_S7_PKS6_S9_S9_S9_S9_ffiiiiiiiiiiiii,"axG",@progbits,_ZN5aiter35fused_qk_rmsnorm_group_quant_kernelIDF16_N4opus5fp4_tELi128ELi8ELi8ELb0ELb1ELb0ELb0ELb0ELb0EEEvPT0_PvPT_S7_S7_PKS6_S9_S9_S9_S9_ffiiiiiiiiiiiii,comdat
	.protected	_ZN5aiter35fused_qk_rmsnorm_group_quant_kernelIDF16_N4opus5fp4_tELi128ELi8ELi8ELb0ELb1ELb0ELb0ELb0ELb0EEEvPT0_PvPT_S7_S7_PKS6_S9_S9_S9_S9_ffiiiiiiiiiiiii ; -- Begin function _ZN5aiter35fused_qk_rmsnorm_group_quant_kernelIDF16_N4opus5fp4_tELi128ELi8ELi8ELb0ELb1ELb0ELb0ELb0ELb0EEEvPT0_PvPT_S7_S7_PKS6_S9_S9_S9_S9_ffiiiiiiiiiiiii
	.globl	_ZN5aiter35fused_qk_rmsnorm_group_quant_kernelIDF16_N4opus5fp4_tELi128ELi8ELi8ELb0ELb1ELb0ELb0ELb0ELb0EEEvPT0_PvPT_S7_S7_PKS6_S9_S9_S9_S9_ffiiiiiiiiiiiii
	.p2align	8
	.type	_ZN5aiter35fused_qk_rmsnorm_group_quant_kernelIDF16_N4opus5fp4_tELi128ELi8ELi8ELb0ELb1ELb0ELb0ELb0ELb0EEEvPT0_PvPT_S7_S7_PKS6_S9_S9_S9_S9_ffiiiiiiiiiiiii,@function
_ZN5aiter35fused_qk_rmsnorm_group_quant_kernelIDF16_N4opus5fp4_tELi128ELi8ELi8ELb0ELb1ELb0ELb0ELb0ELb0EEEvPT0_PvPT_S7_S7_PKS6_S9_S9_S9_S9_ffiiiiiiiiiiiii: ; @_ZN5aiter35fused_qk_rmsnorm_group_quant_kernelIDF16_N4opus5fp4_tELi128ELi8ELi8ELb0ELb1ELb0ELb0ELb0ELb0EEEvPT0_PvPT_S7_S7_PKS6_S9_S9_S9_S9_ffiiiiiiiiiiiii
; %bb.0:
	s_load_dwordx4 s[16:19], s[4:5], 0x50
	s_waitcnt lgkmcnt(0)
	s_cmp_ge_i32 s6, s18
	s_cbranch_scc1 .LBB399_12
; %bb.1:
	s_load_dwordx2 s[12:13], s[4:5], 0x48
	s_load_dwordx2 s[30:31], s[4:5], 0x30
	s_load_dwordx4 s[20:23], s[4:5], 0x60
	s_cmp_lg_u32 s7, 0
	s_cselect_b64 s[14:15], -1, 0
	s_cmp_eq_u32 s7, 0
	s_cselect_b64 vcc, -1, 0
	s_and_b64 s[0:1], vcc, exec
	s_waitcnt lgkmcnt(0)
	s_cselect_b32 s7, s19, s20
	s_add_i32 s0, s7, 1
	s_lshr_b32 s1, s0, 31
	s_add_i32 s0, s0, s1
	s_lshl_b32 s0, s0, 1
	v_lshlrev_b32_e32 v1, 3, v0
	s_and_b32 s10, s0, -4
	v_cmp_gt_i32_e64 s[2:3], s7, v1
	v_mov_b32_e32 v10, 0
	v_mov_b32_e32 v2, 0
	;; [unrolled: 1-line block ×9, first 2 shown]
	s_and_saveexec_b64 s[0:1], s[2:3]
	s_cbranch_execz .LBB399_3
; %bb.2:
	s_load_dwordx2 s[8:9], s[4:5], 0x28
	s_load_dwordx2 s[26:27], s[4:5], 0x40
	s_and_b64 s[24:25], vcc, exec
	s_cselect_b32 s11, s21, s22
	v_lshlrev_b32_e32 v11, 4, v0
	s_waitcnt lgkmcnt(0)
	s_cselect_b32 s18, s9, s31
	s_cselect_b32 s21, s8, s30
	s_mul_hi_i32 s9, s11, s6
	s_mul_i32 s8, s11, s6
	s_lshl_b64 s[8:9], s[8:9], 1
	s_add_u32 s24, s21, s8
	s_addc_u32 s18, s18, s9
	s_and_b64 s[8:9], vcc, exec
	s_mov_b32 s11, 0x20000
	s_cselect_b32 s8, s26, s12
	s_cselect_b32 s9, s27, s13
	s_and_b32 s25, s18, 0xffff
	s_mov_b32 s26, s10
	s_mov_b32 s27, s11
	s_and_b32 s9, s9, 0xffff
	buffer_load_dwordx4 v[6:9], v11, s[24:27], 0 offen glc slc
	buffer_load_dwordx4 v[2:5], v11, s[8:11], 0 offen
.LBB399_3:
	s_or_b64 exec, exec, s[0:1]
	v_mov_b32_e32 v11, 0
	v_mov_b32_e32 v16, 0
	;; [unrolled: 1-line block ×7, first 2 shown]
	s_and_saveexec_b64 s[0:1], s[2:3]
	s_cbranch_execz .LBB399_5
; %bb.4:
	s_waitcnt vmcnt(1)
	v_cvt_f32_f16_sdwa v11, v6 dst_sel:DWORD dst_unused:UNUSED_PAD src0_sel:WORD_1
	v_cvt_f32_f16_e32 v10, v6
	v_cvt_f32_f16_sdwa v17, v7 dst_sel:DWORD dst_unused:UNUSED_PAD src0_sel:WORD_1
	v_cvt_f32_f16_e32 v16, v7
	;; [unrolled: 2-line block ×4, first 2 shown]
.LBB399_5:
	s_or_b64 exec, exec, s[0:1]
	s_waitcnt vmcnt(1)
	v_mul_f32_e32 v6, v11, v11
	v_fmac_f32_e32 v6, v10, v10
	v_fmac_f32_e32 v6, v16, v16
	;; [unrolled: 1-line block ×7, first 2 shown]
	v_and_b32_e32 v8, 63, v0
	v_cmp_eq_u32_e64 s[0:1], 63, v8
	v_mov_b32_dpp v7, v6 quad_perm:[1,0,3,2] row_mask:0xf bank_mask:0xf
	v_add_f32_e32 v6, v6, v7
	s_nop 1
	v_mov_b32_dpp v7, v6 quad_perm:[2,3,0,1] row_mask:0xf bank_mask:0xf
	v_add_f32_e32 v6, v6, v7
	s_nop 1
	v_mov_b32_dpp v7, v6 row_half_mirror row_mask:0xf bank_mask:0xf
	v_add_f32_e32 v6, v6, v7
	s_nop 1
	v_mov_b32_dpp v7, v6 row_mirror row_mask:0xf bank_mask:0xf
	v_add_f32_e32 v6, v6, v7
	s_nop 1
	v_mov_b32_dpp v7, v6 row_bcast:15 row_mask:0xf bank_mask:0xf
	v_add_f32_e32 v6, v6, v7
	s_nop 1
	v_mov_b32_dpp v7, v6 row_bcast:31 row_mask:0xf bank_mask:0xf
	s_and_saveexec_b64 s[8:9], s[0:1]
	s_cbranch_execz .LBB399_7
; %bb.6:
	v_add_f32_e32 v6, v6, v7
	v_lshrrev_b32_e32 v7, 4, v0
	v_and_b32_e32 v7, 60, v7
	ds_write_b32 v7, v6 offset:8
.LBB399_7:
	s_or_b64 exec, exec, s[8:9]
	v_and_b32_e32 v6, 1, v0
	v_lshlrev_b32_e32 v18, 2, v6
	s_waitcnt lgkmcnt(0)
	s_barrier
	ds_read_b32 v6, v18 offset:8
	s_load_dwordx2 s[28:29], s[4:5], 0x18
	s_waitcnt lgkmcnt(0)
	v_mov_b32_dpp v7, v6 quad_perm:[1,0,3,2] row_mask:0xf bank_mask:0xf
	s_and_saveexec_b64 s[8:9], s[2:3]
	s_cbranch_execz .LBB399_9
; %bb.8:
	v_cvt_f32_u32_e32 v8, s7
	v_add_f32_e32 v6, v6, v7
	v_mov_b32_e32 v19, s17
	v_mov_b32_e32 v20, s16
	v_div_scale_f32 v7, s[24:25], v8, v8, v6
	v_rcp_f32_e32 v9, v7
	v_cndmask_b32_e32 v19, v19, v20, vcc
	s_mov_b32 s7, 0x800000
	v_fma_f32 v20, -v7, v9, 1.0
	v_fmac_f32_e32 v9, v20, v9
	v_div_scale_f32 v20, vcc, v6, v8, v6
	v_mul_f32_e32 v21, v20, v9
	v_fma_f32 v22, -v7, v21, v20
	v_fmac_f32_e32 v21, v22, v9
	v_fma_f32 v7, -v7, v21, v20
	v_div_fmas_f32 v7, v7, v9, v21
	v_div_fixup_f32 v6, v7, v8, v6
	v_add_f32_e32 v6, v19, v6
	v_mul_f32_e32 v7, 0x4b800000, v6
	v_cmp_gt_f32_e32 vcc, s7, v6
	v_cndmask_b32_e32 v6, v6, v7, vcc
	v_rsq_f32_e32 v6, v6
	s_waitcnt vmcnt(0)
	v_cvt_f32_f16_sdwa v21, v5 dst_sel:DWORD dst_unused:UNUSED_PAD src0_sel:WORD_1
	v_cvt_f32_f16_e32 v20, v5
	v_mul_f32_e32 v7, 0x45800000, v6
	v_cndmask_b32_e32 v6, v6, v7, vcc
	v_mov_b32_e32 v7, v6
	;;#ASMSTART
	v_pk_mul_f32 v[8:9], v[10:11], v[6:7]
	;;#ASMEND
	;;#ASMSTART
	v_pk_mul_f32 v[16:17], v[16:17], v[6:7]
	;;#ASMEND
	;; [unrolled: 3-line block ×4, first 2 shown]
	v_cvt_f32_f16_sdwa v11, v2 dst_sel:DWORD dst_unused:UNUSED_PAD src0_sel:WORD_1
	v_cvt_f32_f16_e32 v10, v2
	v_cvt_f32_f16_sdwa v15, v3 dst_sel:DWORD dst_unused:UNUSED_PAD src0_sel:WORD_1
	v_cvt_f32_f16_e32 v14, v3
	;; [unrolled: 2-line block ×3, first 2 shown]
	;;#ASMSTART
	v_pk_mul_f32 v[10:11], v[8:9], v[10:11]
	;;#ASMEND
	;;#ASMSTART
	v_pk_mul_f32 v[16:17], v[16:17], v[14:15]
	;;#ASMEND
	;; [unrolled: 3-line block ×4, first 2 shown]
.LBB399_9:
	s_or_b64 exec, exec, s[8:9]
	s_load_dword s7, s[4:5], 0x80
	s_mov_b64 s[8:9], -1
	s_and_b64 vcc, exec, s[14:15]
	s_cbranch_vccnz .LBB399_13
; %bb.10:
	s_andn2_b64 vcc, exec, s[8:9]
	s_cbranch_vccz .LBB399_16
.LBB399_11:
	s_cmp_lt_i32 s20, 1
	s_cbranch_scc0 .LBB399_25
.LBB399_12:
	s_endpgm
.LBB399_13:
	s_and_saveexec_b64 s[14:15], s[2:3]
	s_cbranch_execz .LBB399_15
; %bb.14:
	s_waitcnt lgkmcnt(0)
	s_mul_hi_i32 s9, s7, s6
	s_mul_i32 s8, s7, s6
	s_waitcnt vmcnt(0)
	v_cvt_f16_f32_e32 v2, v10
	v_cvt_f16_f32_e32 v3, v16
	;; [unrolled: 1-line block ×8, first 2 shown]
	s_lshl_b64 s[8:9], s[8:9], 1
	s_add_u32 s8, s28, s8
	s_addc_u32 s9, s29, s9
	s_and_b32 s9, s9, 0xffff
	s_mov_b32 s11, 0x20000
	v_pack_b32_f16 v5, v5, v6
	v_pack_b32_f16 v4, v4, v7
	;; [unrolled: 1-line block ×4, first 2 shown]
	v_lshlrev_b32_e32 v6, 4, v0
	buffer_store_dwordx4 v[2:5], v6, s[8:11], 0 offen
	;;#ASMSTART
	s_nop 0
	;;#ASMEND
.LBB399_15:
	s_or_b64 exec, exec, s[14:15]
	s_cbranch_execnz .LBB399_11
.LBB399_16:
	s_load_dwordx4 s[24:27], s[4:5], 0x70
	s_waitcnt vmcnt(0)
	v_mov_b32_e32 v2, 0
	s_and_saveexec_b64 s[14:15], s[2:3]
	s_cbranch_execz .LBB399_18
; %bb.17:
	s_load_dwordx2 s[8:9], s[4:5], 0x10
	s_waitcnt lgkmcnt(0)
	s_mul_hi_i32 s35, s27, s6
	s_mul_i32 s34, s27, s6
	v_cvt_f16_f32_e32 v2, v10
	v_cvt_f16_f32_e32 v3, v16
	;; [unrolled: 1-line block ×8, first 2 shown]
	s_lshl_b64 s[34:35], s[34:35], 1
	s_add_u32 s8, s8, s34
	s_addc_u32 s9, s9, s35
	s_mov_b32 s11, 0x20000
	s_and_b32 s9, s9, 0xffff
	v_pack_b32_f16 v5, v5, v6
	v_pack_b32_f16 v4, v4, v7
	;; [unrolled: 1-line block ×4, first 2 shown]
	v_lshlrev_b32_e32 v6, 4, v0
	buffer_store_dwordx4 v[2:5], v6, s[8:11], 0 offen
	;;#ASMSTART
	s_nop 0
	;;#ASMEND
	s_nop 0
	v_mov_b32_e32 v2, 0x2edbe6ff
.LBB399_18:
	s_or_b64 exec, exec, s[14:15]
	s_and_saveexec_b64 s[8:9], s[2:3]
	s_cbranch_execz .LBB399_20
; %bb.19:
	v_and_b32_e32 v3, 0x7fffffff, v10
	v_and_b32_e32 v4, 0x7fffffff, v11
	;;#ASMSTART
	v_max3_f32 v2, v2, v3, v4

	;;#ASMEND
	v_and_b32_e32 v3, 0x7fffffff, v16
	v_and_b32_e32 v4, 0x7fffffff, v17
	;;#ASMSTART
	v_max3_f32 v2, v2, v3, v4

	;;#ASMEND
	;; [unrolled: 6-line block ×4, first 2 shown]
.LBB399_20:
	s_or_b64 exec, exec, s[8:9]
	;;#ASMSTART
	v_max_f32 v3, v2, v2 quad_perm:[1,0,3,2] row_mask:0xf bank_mask:0xf bound_ctrl:1
	;;#ASMEND
	;;#ASMSTART
	v_max_f32 v4, v3, v3 quad_perm:[2,3,0,1] row_mask:0xf bank_mask:0xf bound_ctrl:1
	;;#ASMEND
	v_and_b32_e32 v3, 7, v0
	v_cmp_eq_u32_e32 vcc, 0, v3
	v_cmp_gt_i32_e64 s[8:9], s19, v1
	s_and_b64 s[10:11], vcc, s[8:9]
	;;#ASMSTART
	v_max_f32 v2, v4, v4 row_half_mirror row_mask:0xf bank_mask:0xf bound_ctrl:1
	;;#ASMEND
	s_and_saveexec_b64 s[8:9], s[10:11]
	s_cbranch_execz .LBB399_22
; %bb.21:
	s_load_dwordx2 s[10:11], s[4:5], 0x8
	v_mul_f32_e32 v2, 0x3e2aaaab, v2
	v_lshrrev_b32_e32 v3, 23, v2
	v_and_b32_e32 v4, 0x7f800000, v2
	v_and_b32_e32 v2, 0x7fffff, v2
	v_cmp_ne_u32_e32 vcc, 0, v2
	s_waitcnt lgkmcnt(0)
	s_mul_i32 s16, s25, s6
	s_mov_b32 s14, 0x7f800000
	v_addc_co_u32_e32 v2, vcc, 0, v3, vcc
	s_mul_hi_i32 s15, s25, s6
	s_add_u32 s10, s10, s16
	v_cmp_ne_u32_e32 vcc, s14, v4
	s_addc_u32 s11, s11, s15
	v_lshrrev_b32_e32 v5, 3, v0
	v_cndmask_b32_e32 v4, -1, v2, vcc
	v_pk_mov_b32 v[2:3], s[10:11], s[10:11] op_sel:[0,1]
	v_mad_i64_i32 v[2:3], s[10:11], s26, v5, v[2:3]
	global_store_byte v[2:3], v4, off
.LBB399_22:
	s_or_b64 exec, exec, s[8:9]
	s_and_saveexec_b64 s[8:9], s[2:3]
	s_cbranch_execz .LBB399_24
; %bb.23:
	s_load_dwordx2 s[2:3], s[4:5], 0x0
	s_waitcnt lgkmcnt(0)
	s_mul_i32 s11, s24, s6
	s_mul_hi_i32 s10, s24, s6
	v_lshlrev_b32_e32 v2, 2, v0
	s_mov_b32 s27, 0x20000
	s_add_u32 s24, s2, s11
	s_addc_u32 s2, s3, s10
	s_lshr_b32 s3, s19, 31
	s_add_i32 s3, s19, s3
	s_ashr_i32 s3, s3, 1
	s_add_i32 s3, s3, 3
	s_ashr_i32 s10, s3, 31
	s_lshr_b32 s10, s10, 30
	s_add_i32 s3, s3, s10
	s_and_b32 s26, s3, -4
	s_and_b32 s25, s2, 0xffff
	v_mov_b32_e32 v3, 0
	buffer_store_dword v3, v2, s[24:27], 0 offen
	;;#ASMSTART
	s_nop 0
	;;#ASMEND
.LBB399_24:
	s_or_b64 exec, exec, s[8:9]
	s_cmp_lt_i32 s20, 1
	s_cbranch_scc1 .LBB399_12
.LBB399_25:
	s_load_dword s2, s[4:5], 0x94
	s_waitcnt lgkmcnt(0)
	s_cmp_lg_u32 s2, 1
	s_cbranch_scc1 .LBB399_12
; %bb.26:
	s_lshl_b32 s2, s20, 1
	s_add_i32 s2, s2, 2
	v_cmp_gt_u32_e32 vcc, s20, v1
	s_and_b32 s14, s2, -4
	v_mov_b32_e32 v10, 0
	v_lshlrev_b32_e32 v1, 4, v0
	v_mov_b32_e32 v6, 0
	v_mov_b32_e32 v7, 0
	;; [unrolled: 1-line block ×4, first 2 shown]
	s_waitcnt vmcnt(0)
	v_mov_b32_e32 v2, 0
	v_mov_b32_e32 v3, 0
	;; [unrolled: 1-line block ×4, first 2 shown]
	s_barrier
	s_and_saveexec_b64 s[2:3], vcc
	s_cbranch_execz .LBB399_28
; %bb.27:
	s_mul_hi_i32 s5, s22, s6
	s_mul_i32 s4, s22, s6
	s_and_b32 s13, s13, 0xffff
	s_lshl_b64 s[4:5], s[4:5], 1
	s_add_u32 s8, s30, s4
	s_mov_b32 s15, 0x20000
	s_addc_u32 s4, s31, s5
	s_and_b32 s9, s4, 0xffff
	s_mov_b32 s10, s14
	s_mov_b32 s11, s15
	buffer_load_dwordx4 v[6:9], v1, s[8:11], 0 offen glc slc
	buffer_load_dwordx4 v[2:5], v1, s[12:15], 0 offen
.LBB399_28:
	s_or_b64 exec, exec, s[2:3]
	v_mov_b32_e32 v11, 0
	v_mov_b32_e32 v16, 0
	;; [unrolled: 1-line block ×7, first 2 shown]
	s_and_saveexec_b64 s[2:3], vcc
	s_cbranch_execz .LBB399_30
; %bb.29:
	s_waitcnt vmcnt(1)
	v_cvt_f32_f16_sdwa v11, v6 dst_sel:DWORD dst_unused:UNUSED_PAD src0_sel:WORD_1
	v_cvt_f32_f16_e32 v10, v6
	v_cvt_f32_f16_sdwa v17, v7 dst_sel:DWORD dst_unused:UNUSED_PAD src0_sel:WORD_1
	v_cvt_f32_f16_e32 v16, v7
	;; [unrolled: 2-line block ×4, first 2 shown]
.LBB399_30:
	s_or_b64 exec, exec, s[2:3]
	s_waitcnt vmcnt(1)
	v_mul_f32_e32 v6, v11, v11
	v_fmac_f32_e32 v6, v10, v10
	v_fmac_f32_e32 v6, v16, v16
	;; [unrolled: 1-line block ×7, first 2 shown]
	s_nop 1
	v_mov_b32_dpp v7, v6 quad_perm:[1,0,3,2] row_mask:0xf bank_mask:0xf
	v_add_f32_e32 v6, v6, v7
	s_nop 1
	v_mov_b32_dpp v7, v6 quad_perm:[2,3,0,1] row_mask:0xf bank_mask:0xf
	v_add_f32_e32 v6, v6, v7
	s_nop 1
	v_mov_b32_dpp v7, v6 row_half_mirror row_mask:0xf bank_mask:0xf
	v_add_f32_e32 v6, v6, v7
	s_nop 1
	v_mov_b32_dpp v7, v6 row_mirror row_mask:0xf bank_mask:0xf
	v_add_f32_e32 v6, v6, v7
	s_nop 1
	v_mov_b32_dpp v7, v6 row_bcast:15 row_mask:0xf bank_mask:0xf
	v_add_f32_e32 v6, v6, v7
	s_nop 1
	v_mov_b32_dpp v7, v6 row_bcast:31 row_mask:0xf bank_mask:0xf
	s_and_saveexec_b64 s[2:3], s[0:1]
	s_cbranch_execz .LBB399_32
; %bb.31:
	v_lshrrev_b32_e32 v0, 4, v0
	v_add_f32_e32 v6, v6, v7
	v_and_b32_e32 v0, 60, v0
	ds_write_b32 v0, v6
.LBB399_32:
	s_or_b64 exec, exec, s[2:3]
	s_waitcnt lgkmcnt(0)
	s_barrier
	ds_read_b32 v0, v18
	s_waitcnt lgkmcnt(0)
	s_nop 0
	v_mov_b32_dpp v6, v0 quad_perm:[1,0,3,2] row_mask:0xf bank_mask:0xf
	s_and_saveexec_b64 s[0:1], vcc
	s_cbranch_execz .LBB399_12
; %bb.33:
	v_cvt_f32_u32_e32 v7, s20
	v_add_f32_e32 v0, v0, v6
	s_mov_b32 s15, 0x20000
	v_div_scale_f32 v6, s[0:1], v7, v7, v0
	v_rcp_f32_e32 v8, v6
	v_div_scale_f32 v9, vcc, v0, v7, v0
	s_mov_b32 s0, 0x800000
	v_fma_f32 v18, -v6, v8, 1.0
	v_fmac_f32_e32 v8, v18, v8
	v_mul_f32_e32 v18, v9, v8
	v_fma_f32 v19, -v6, v18, v9
	v_fmac_f32_e32 v18, v19, v8
	v_fma_f32 v6, -v6, v18, v9
	v_div_fmas_f32 v6, v6, v8, v18
	v_div_fixup_f32 v0, v6, v7, v0
	v_add_f32_e32 v0, s17, v0
	v_mul_f32_e32 v6, 0x4b800000, v0
	v_cmp_gt_f32_e32 vcc, s0, v0
	v_cndmask_b32_e32 v0, v0, v6, vcc
	v_rsq_f32_e32 v0, v0
	s_waitcnt vmcnt(0)
	v_cvt_f32_f16_sdwa v19, v5 dst_sel:DWORD dst_unused:UNUSED_PAD src0_sel:WORD_1
	v_cvt_f32_f16_e32 v18, v5
	s_mul_hi_i32 s1, s7, s6
	v_mul_f32_e32 v6, 0x45800000, v0
	v_cndmask_b32_e32 v6, v0, v6, vcc
	v_mov_b32_e32 v7, v6
	;;#ASMSTART
	v_pk_mul_f32 v[8:9], v[10:11], v[6:7]
	;;#ASMEND
	;;#ASMSTART
	v_pk_mul_f32 v[10:11], v[16:17], v[6:7]
	;;#ASMEND
	;; [unrolled: 3-line block ×4, first 2 shown]
	v_cvt_f32_f16_sdwa v13, v2 dst_sel:DWORD dst_unused:UNUSED_PAD src0_sel:WORD_1
	v_cvt_f32_f16_e32 v12, v2
	v_cvt_f32_f16_sdwa v17, v3 dst_sel:DWORD dst_unused:UNUSED_PAD src0_sel:WORD_1
	v_cvt_f32_f16_e32 v16, v3
	;; [unrolled: 2-line block ×3, first 2 shown]
	;;#ASMSTART
	v_pk_mul_f32 v[4:5], v[8:9], v[12:13]
	;;#ASMEND
	;;#ASMSTART
	v_pk_mul_f32 v[8:9], v[10:11], v[16:17]
	;;#ASMEND
	;; [unrolled: 3-line block ×4, first 2 shown]
	s_mul_i32 s0, s7, s6
	v_cvt_f16_f32_e32 v0, v4
	v_cvt_f16_f32_e32 v4, v5
	;; [unrolled: 1-line block ×8, first 2 shown]
	s_lshl_b64 s[0:1], s[0:1], 1
	s_add_u32 s12, s28, s0
	s_addc_u32 s0, s29, s1
	s_and_b32 s13, s0, 0xffff
	v_pack_b32_f16 v2, v0, v4
	v_pack_b32_f16 v3, v5, v8
	;; [unrolled: 1-line block ×4, first 2 shown]
	buffer_store_dwordx4 v[2:5], v1, s[12:15], 0 offen
	;;#ASMSTART
	s_nop 0
	;;#ASMEND
	s_endpgm
	.section	.rodata,"a",@progbits
	.p2align	6, 0x0
	.amdhsa_kernel _ZN5aiter35fused_qk_rmsnorm_group_quant_kernelIDF16_N4opus5fp4_tELi128ELi8ELi8ELb0ELb1ELb0ELb0ELb0ELb0EEEvPT0_PvPT_S7_S7_PKS6_S9_S9_S9_S9_ffiiiiiiiiiiiii
		.amdhsa_group_segment_fixed_size 16
		.amdhsa_private_segment_fixed_size 0
		.amdhsa_kernarg_size 400
		.amdhsa_user_sgpr_count 6
		.amdhsa_user_sgpr_private_segment_buffer 1
		.amdhsa_user_sgpr_dispatch_ptr 0
		.amdhsa_user_sgpr_queue_ptr 0
		.amdhsa_user_sgpr_kernarg_segment_ptr 1
		.amdhsa_user_sgpr_dispatch_id 0
		.amdhsa_user_sgpr_flat_scratch_init 0
		.amdhsa_user_sgpr_kernarg_preload_length 0
		.amdhsa_user_sgpr_kernarg_preload_offset 0
		.amdhsa_user_sgpr_private_segment_size 0
		.amdhsa_uses_dynamic_stack 0
		.amdhsa_system_sgpr_private_segment_wavefront_offset 0
		.amdhsa_system_sgpr_workgroup_id_x 1
		.amdhsa_system_sgpr_workgroup_id_y 1
		.amdhsa_system_sgpr_workgroup_id_z 0
		.amdhsa_system_sgpr_workgroup_info 0
		.amdhsa_system_vgpr_workitem_id 0
		.amdhsa_next_free_vgpr 23
		.amdhsa_next_free_sgpr 36
		.amdhsa_accum_offset 24
		.amdhsa_reserve_vcc 1
		.amdhsa_reserve_flat_scratch 0
		.amdhsa_float_round_mode_32 0
		.amdhsa_float_round_mode_16_64 0
		.amdhsa_float_denorm_mode_32 3
		.amdhsa_float_denorm_mode_16_64 3
		.amdhsa_dx10_clamp 1
		.amdhsa_ieee_mode 1
		.amdhsa_fp16_overflow 0
		.amdhsa_tg_split 0
		.amdhsa_exception_fp_ieee_invalid_op 0
		.amdhsa_exception_fp_denorm_src 0
		.amdhsa_exception_fp_ieee_div_zero 0
		.amdhsa_exception_fp_ieee_overflow 0
		.amdhsa_exception_fp_ieee_underflow 0
		.amdhsa_exception_fp_ieee_inexact 0
		.amdhsa_exception_int_div_zero 0
	.end_amdhsa_kernel
	.section	.text._ZN5aiter35fused_qk_rmsnorm_group_quant_kernelIDF16_N4opus5fp4_tELi128ELi8ELi8ELb0ELb1ELb0ELb0ELb0ELb0EEEvPT0_PvPT_S7_S7_PKS6_S9_S9_S9_S9_ffiiiiiiiiiiiii,"axG",@progbits,_ZN5aiter35fused_qk_rmsnorm_group_quant_kernelIDF16_N4opus5fp4_tELi128ELi8ELi8ELb0ELb1ELb0ELb0ELb0ELb0EEEvPT0_PvPT_S7_S7_PKS6_S9_S9_S9_S9_ffiiiiiiiiiiiii,comdat
.Lfunc_end399:
	.size	_ZN5aiter35fused_qk_rmsnorm_group_quant_kernelIDF16_N4opus5fp4_tELi128ELi8ELi8ELb0ELb1ELb0ELb0ELb0ELb0EEEvPT0_PvPT_S7_S7_PKS6_S9_S9_S9_S9_ffiiiiiiiiiiiii, .Lfunc_end399-_ZN5aiter35fused_qk_rmsnorm_group_quant_kernelIDF16_N4opus5fp4_tELi128ELi8ELi8ELb0ELb1ELb0ELb0ELb0ELb0EEEvPT0_PvPT_S7_S7_PKS6_S9_S9_S9_S9_ffiiiiiiiiiiiii
                                        ; -- End function
	.section	.AMDGPU.csdata,"",@progbits
; Kernel info:
; codeLenInByte = 2412
; NumSgprs: 40
; NumVgprs: 23
; NumAgprs: 0
; TotalNumVgprs: 23
; ScratchSize: 0
; MemoryBound: 0
; FloatMode: 240
; IeeeMode: 1
; LDSByteSize: 16 bytes/workgroup (compile time only)
; SGPRBlocks: 4
; VGPRBlocks: 2
; NumSGPRsForWavesPerEU: 40
; NumVGPRsForWavesPerEU: 23
; AccumOffset: 24
; Occupancy: 8
; WaveLimiterHint : 0
; COMPUTE_PGM_RSRC2:SCRATCH_EN: 0
; COMPUTE_PGM_RSRC2:USER_SGPR: 6
; COMPUTE_PGM_RSRC2:TRAP_HANDLER: 0
; COMPUTE_PGM_RSRC2:TGID_X_EN: 1
; COMPUTE_PGM_RSRC2:TGID_Y_EN: 1
; COMPUTE_PGM_RSRC2:TGID_Z_EN: 0
; COMPUTE_PGM_RSRC2:TIDIG_COMP_CNT: 0
; COMPUTE_PGM_RSRC3_GFX90A:ACCUM_OFFSET: 5
; COMPUTE_PGM_RSRC3_GFX90A:TG_SPLIT: 0
	.section	.text._ZN5aiter35fused_qk_rmsnorm_group_quant_kernelItN4opus5fp4_tELi128ELi8ELi8ELb0ELb1ELb0ELb0ELb0ELb0EEEvPT0_PvPT_S7_S7_PKS6_S9_S9_S9_S9_ffiiiiiiiiiiiii,"axG",@progbits,_ZN5aiter35fused_qk_rmsnorm_group_quant_kernelItN4opus5fp4_tELi128ELi8ELi8ELb0ELb1ELb0ELb0ELb0ELb0EEEvPT0_PvPT_S7_S7_PKS6_S9_S9_S9_S9_ffiiiiiiiiiiiii,comdat
	.protected	_ZN5aiter35fused_qk_rmsnorm_group_quant_kernelItN4opus5fp4_tELi128ELi8ELi8ELb0ELb1ELb0ELb0ELb0ELb0EEEvPT0_PvPT_S7_S7_PKS6_S9_S9_S9_S9_ffiiiiiiiiiiiii ; -- Begin function _ZN5aiter35fused_qk_rmsnorm_group_quant_kernelItN4opus5fp4_tELi128ELi8ELi8ELb0ELb1ELb0ELb0ELb0ELb0EEEvPT0_PvPT_S7_S7_PKS6_S9_S9_S9_S9_ffiiiiiiiiiiiii
	.globl	_ZN5aiter35fused_qk_rmsnorm_group_quant_kernelItN4opus5fp4_tELi128ELi8ELi8ELb0ELb1ELb0ELb0ELb0ELb0EEEvPT0_PvPT_S7_S7_PKS6_S9_S9_S9_S9_ffiiiiiiiiiiiii
	.p2align	8
	.type	_ZN5aiter35fused_qk_rmsnorm_group_quant_kernelItN4opus5fp4_tELi128ELi8ELi8ELb0ELb1ELb0ELb0ELb0ELb0EEEvPT0_PvPT_S7_S7_PKS6_S9_S9_S9_S9_ffiiiiiiiiiiiii,@function
_ZN5aiter35fused_qk_rmsnorm_group_quant_kernelItN4opus5fp4_tELi128ELi8ELi8ELb0ELb1ELb0ELb0ELb0ELb0EEEvPT0_PvPT_S7_S7_PKS6_S9_S9_S9_S9_ffiiiiiiiiiiiii: ; @_ZN5aiter35fused_qk_rmsnorm_group_quant_kernelItN4opus5fp4_tELi128ELi8ELi8ELb0ELb1ELb0ELb0ELb0ELb0EEEvPT0_PvPT_S7_S7_PKS6_S9_S9_S9_S9_ffiiiiiiiiiiiii
; %bb.0:
	s_load_dwordx4 s[16:19], s[4:5], 0x50
	s_waitcnt lgkmcnt(0)
	s_cmp_ge_i32 s6, s18
	s_cbranch_scc1 .LBB400_10
; %bb.1:
	s_load_dwordx2 s[12:13], s[4:5], 0x48
	s_load_dwordx2 s[30:31], s[4:5], 0x30
	s_load_dwordx4 s[20:23], s[4:5], 0x60
	s_cmp_lg_u32 s7, 0
	s_cselect_b64 s[14:15], -1, 0
	s_cmp_eq_u32 s7, 0
	s_cselect_b64 vcc, -1, 0
	s_and_b64 s[0:1], vcc, exec
	s_waitcnt lgkmcnt(0)
	s_cselect_b32 s7, s19, s20
	s_add_i32 s0, s7, 1
	s_lshr_b32 s1, s0, 31
	s_add_i32 s0, s0, s1
	s_lshl_b32 s0, s0, 1
	v_lshlrev_b32_e32 v1, 3, v0
	s_and_b32 s10, s0, -4
	v_cmp_gt_i32_e64 s[2:3], s7, v1
	v_mov_b32_e32 v2, 0
	v_mov_b32_e32 v3, 0
	v_mov_b32_e32 v4, 0
	v_mov_b32_e32 v5, 0
	v_mov_b32_e32 v6, 0
	v_mov_b32_e32 v7, 0
	v_mov_b32_e32 v8, 0
	v_mov_b32_e32 v9, 0
	s_and_saveexec_b64 s[0:1], s[2:3]
	s_cbranch_execz .LBB400_3
; %bb.2:
	s_load_dwordx2 s[8:9], s[4:5], 0x28
	s_load_dwordx2 s[26:27], s[4:5], 0x40
	s_and_b64 s[24:25], vcc, exec
	s_cselect_b32 s11, s21, s22
	v_lshlrev_b32_e32 v10, 4, v0
	s_waitcnt lgkmcnt(0)
	s_cselect_b32 s18, s9, s31
	s_cselect_b32 s21, s8, s30
	s_mul_hi_i32 s9, s11, s6
	s_mul_i32 s8, s11, s6
	s_lshl_b64 s[8:9], s[8:9], 1
	s_add_u32 s24, s21, s8
	s_addc_u32 s18, s18, s9
	s_and_b64 s[8:9], vcc, exec
	s_mov_b32 s11, 0x20000
	s_cselect_b32 s8, s26, s12
	s_cselect_b32 s9, s27, s13
	s_and_b32 s25, s18, 0xffff
	s_mov_b32 s26, s10
	s_mov_b32 s27, s11
	s_and_b32 s9, s9, 0xffff
	buffer_load_dwordx4 v[6:9], v10, s[24:27], 0 offen glc slc
	buffer_load_dwordx4 v[2:5], v10, s[8:11], 0 offen
.LBB400_3:
	s_or_b64 exec, exec, s[0:1]
	s_waitcnt vmcnt(1)
	v_cvt_f32_u32_sdwa v13, v6 dst_sel:DWORD dst_unused:UNUSED_PAD src0_sel:WORD_1
	v_cvt_f32_u32_sdwa v12, v6 dst_sel:DWORD dst_unused:UNUSED_PAD src0_sel:WORD_0
	v_cvt_f32_u32_sdwa v6, v9 dst_sel:DWORD dst_unused:UNUSED_PAD src0_sel:WORD_1
	v_cvt_f32_u32_sdwa v9, v9 dst_sel:DWORD dst_unused:UNUSED_PAD src0_sel:WORD_0
	v_cvt_f32_u32_sdwa v14, v8 dst_sel:DWORD dst_unused:UNUSED_PAD src0_sel:WORD_1
	v_cvt_f32_u32_sdwa v10, v7 dst_sel:DWORD dst_unused:UNUSED_PAD src0_sel:WORD_0
	v_cvt_f32_u32_sdwa v11, v7 dst_sel:DWORD dst_unused:UNUSED_PAD src0_sel:WORD_1
	v_cvt_f32_u32_sdwa v8, v8 dst_sel:DWORD dst_unused:UNUSED_PAD src0_sel:WORD_0
	v_cndmask_b32_e64 v13, 0, v13, s[2:3]
	v_cndmask_b32_e64 v7, 0, v6, s[2:3]
	;; [unrolled: 1-line block ×5, first 2 shown]
	v_mul_f32_e32 v14, v13, v13
	v_cndmask_b32_e64 v10, 0, v10, s[2:3]
	v_fmac_f32_e32 v14, v12, v12
	v_cndmask_b32_e64 v11, 0, v11, s[2:3]
	v_fmac_f32_e32 v14, v10, v10
	;; [unrolled: 2-line block ×3, first 2 shown]
	v_fmac_f32_e32 v14, v8, v8
	v_fmac_f32_e32 v14, v9, v9
	;; [unrolled: 1-line block ×4, first 2 shown]
	v_and_b32_e32 v16, 63, v0
	v_cmp_eq_u32_e64 s[0:1], 63, v16
	v_mov_b32_dpp v15, v14 quad_perm:[1,0,3,2] row_mask:0xf bank_mask:0xf
	v_add_f32_e32 v14, v14, v15
	s_nop 1
	v_mov_b32_dpp v15, v14 quad_perm:[2,3,0,1] row_mask:0xf bank_mask:0xf
	v_add_f32_e32 v14, v14, v15
	s_nop 1
	v_mov_b32_dpp v15, v14 row_half_mirror row_mask:0xf bank_mask:0xf
	v_add_f32_e32 v14, v14, v15
	s_nop 1
	v_mov_b32_dpp v15, v14 row_mirror row_mask:0xf bank_mask:0xf
	v_add_f32_e32 v14, v14, v15
	s_nop 1
	v_mov_b32_dpp v15, v14 row_bcast:15 row_mask:0xf bank_mask:0xf
	v_add_f32_e32 v14, v14, v15
	s_nop 1
	v_mov_b32_dpp v15, v14 row_bcast:31 row_mask:0xf bank_mask:0xf
	s_and_saveexec_b64 s[8:9], s[0:1]
	s_cbranch_execz .LBB400_5
; %bb.4:
	v_add_f32_e32 v14, v14, v15
	v_lshrrev_b32_e32 v15, 4, v0
	v_and_b32_e32 v15, 60, v15
	ds_write_b32 v15, v14 offset:8
.LBB400_5:
	s_or_b64 exec, exec, s[8:9]
	v_and_b32_e32 v14, 1, v0
	v_lshlrev_b32_e32 v14, 2, v14
	s_waitcnt lgkmcnt(0)
	s_barrier
	ds_read_b32 v15, v14 offset:8
	s_load_dwordx2 s[28:29], s[4:5], 0x18
	s_waitcnt lgkmcnt(0)
	v_mov_b32_dpp v16, v15 quad_perm:[1,0,3,2] row_mask:0xf bank_mask:0xf
	s_and_saveexec_b64 s[8:9], s[2:3]
	s_cbranch_execz .LBB400_7
; %bb.6:
	v_cvt_f32_u32_e32 v17, s7
	v_add_f32_e32 v15, v15, v16
	v_mov_b32_e32 v19, s17
	v_mov_b32_e32 v20, s16
	v_div_scale_f32 v16, s[24:25], v17, v17, v15
	v_rcp_f32_e32 v18, v16
	v_cndmask_b32_e32 v19, v19, v20, vcc
	s_mov_b32 s7, 0x800000
	v_fma_f32 v20, -v16, v18, 1.0
	v_fmac_f32_e32 v18, v20, v18
	v_div_scale_f32 v20, vcc, v15, v17, v15
	v_mul_f32_e32 v21, v20, v18
	v_fma_f32 v22, -v16, v21, v20
	v_fmac_f32_e32 v21, v22, v18
	v_fma_f32 v16, -v16, v21, v20
	v_div_fmas_f32 v16, v16, v18, v21
	v_div_fixup_f32 v15, v16, v17, v15
	v_add_f32_e32 v15, v19, v15
	v_mul_f32_e32 v16, 0x4b800000, v15
	v_cmp_gt_f32_e32 vcc, s7, v15
	v_cndmask_b32_e32 v15, v15, v16, vcc
	v_rsq_f32_e32 v15, v15
	s_waitcnt vmcnt(0)
	v_cvt_f32_u32_sdwa v19, v3 dst_sel:DWORD dst_unused:UNUSED_PAD src0_sel:WORD_1
	v_cvt_f32_u32_sdwa v18, v3 dst_sel:DWORD dst_unused:UNUSED_PAD src0_sel:WORD_0
	v_cvt_f32_u32_sdwa v3, v4 dst_sel:DWORD dst_unused:UNUSED_PAD src0_sel:WORD_1
	v_mul_f32_e32 v16, 0x45800000, v15
	v_cndmask_b32_e32 v16, v15, v16, vcc
	v_mov_b32_e32 v17, v16
	;;#ASMSTART
	v_pk_mul_f32 v[12:13], v[12:13], v[16:17]
	;;#ASMEND
	;;#ASMSTART
	v_pk_mul_f32 v[10:11], v[10:11], v[16:17]
	;;#ASMEND
	;;#ASMSTART
	v_pk_mul_f32 v[8:9], v[8:9], v[16:17]
	;;#ASMEND
	;;#ASMSTART
	v_pk_mul_f32 v[6:7], v[6:7], v[16:17]
	;;#ASMEND
	v_cvt_f32_u32_sdwa v17, v2 dst_sel:DWORD dst_unused:UNUSED_PAD src0_sel:WORD_1
	v_cvt_f32_u32_sdwa v16, v2 dst_sel:DWORD dst_unused:UNUSED_PAD src0_sel:WORD_0
	v_cvt_f32_u32_sdwa v2, v4 dst_sel:DWORD dst_unused:UNUSED_PAD src0_sel:WORD_0
	v_cvt_f32_u32_sdwa v21, v5 dst_sel:DWORD dst_unused:UNUSED_PAD src0_sel:WORD_1
	v_cvt_f32_u32_sdwa v20, v5 dst_sel:DWORD dst_unused:UNUSED_PAD src0_sel:WORD_0
	;;#ASMSTART
	v_pk_mul_f32 v[12:13], v[12:13], v[16:17]
	;;#ASMEND
	;;#ASMSTART
	v_pk_mul_f32 v[10:11], v[10:11], v[18:19]
	;;#ASMEND
	;; [unrolled: 3-line block ×4, first 2 shown]
.LBB400_7:
	s_or_b64 exec, exec, s[8:9]
	s_load_dword s7, s[4:5], 0x80
	s_mov_b64 s[8:9], -1
	s_and_b64 vcc, exec, s[14:15]
	s_cbranch_vccnz .LBB400_11
; %bb.8:
	s_andn2_b64 vcc, exec, s[8:9]
	s_cbranch_vccz .LBB400_14
.LBB400_9:
	s_cmp_lt_i32 s20, 1
	s_cbranch_scc0 .LBB400_23
.LBB400_10:
	s_endpgm
.LBB400_11:
	s_and_saveexec_b64 s[14:15], s[2:3]
	s_cbranch_execz .LBB400_13
; %bb.12:
	s_waitcnt lgkmcnt(0)
	s_mul_hi_i32 s9, s7, s6
	s_mul_i32 s8, s7, s6
	s_lshl_b64 s[8:9], s[8:9], 1
	s_add_u32 s8, s28, s8
	s_addc_u32 s9, s29, s9
	s_mov_b32 s16, 0x7060302
	s_and_b32 s9, s9, 0xffff
	s_mov_b32 s11, 0x20000
	s_waitcnt vmcnt(0)
	v_perm_b32 v2, v13, v12, s16
	v_perm_b32 v3, v11, v10, s16
	;; [unrolled: 1-line block ×4, first 2 shown]
	v_lshlrev_b32_e32 v15, 4, v0
	buffer_store_dwordx4 v[2:5], v15, s[8:11], 0 offen
	;;#ASMSTART
	s_nop 0
	;;#ASMEND
.LBB400_13:
	s_or_b64 exec, exec, s[14:15]
	s_cbranch_execnz .LBB400_9
.LBB400_14:
	s_load_dwordx4 s[24:27], s[4:5], 0x70
	s_waitcnt vmcnt(0)
	v_mov_b32_e32 v2, 0
	s_and_saveexec_b64 s[14:15], s[2:3]
	s_cbranch_execz .LBB400_16
; %bb.15:
	s_load_dwordx2 s[8:9], s[4:5], 0x10
	s_waitcnt lgkmcnt(0)
	s_mul_hi_i32 s35, s27, s6
	s_mul_i32 s34, s27, s6
	s_lshl_b64 s[34:35], s[34:35], 1
	s_mov_b32 s16, 0x7060302
	s_add_u32 s8, s8, s34
	s_addc_u32 s9, s9, s35
	s_mov_b32 s11, 0x20000
	s_and_b32 s9, s9, 0xffff
	v_perm_b32 v2, v13, v12, s16
	v_perm_b32 v3, v11, v10, s16
	;; [unrolled: 1-line block ×4, first 2 shown]
	v_lshlrev_b32_e32 v15, 4, v0
	buffer_store_dwordx4 v[2:5], v15, s[8:11], 0 offen
	;;#ASMSTART
	s_nop 0
	;;#ASMEND
	s_nop 0
	v_mov_b32_e32 v2, 0x2edbe6ff
.LBB400_16:
	s_or_b64 exec, exec, s[14:15]
	s_and_saveexec_b64 s[8:9], s[2:3]
	s_cbranch_execz .LBB400_18
; %bb.17:
	v_and_b32_e32 v3, 0x7fffffff, v12
	v_and_b32_e32 v4, 0x7fffffff, v13
	;;#ASMSTART
	v_max3_f32 v2, v2, v3, v4

	;;#ASMEND
	v_and_b32_e32 v3, 0x7fffffff, v10
	v_and_b32_e32 v4, 0x7fffffff, v11
	;;#ASMSTART
	v_max3_f32 v2, v2, v3, v4

	;;#ASMEND
	;; [unrolled: 6-line block ×4, first 2 shown]
.LBB400_18:
	s_or_b64 exec, exec, s[8:9]
	;;#ASMSTART
	v_max_f32 v3, v2, v2 quad_perm:[1,0,3,2] row_mask:0xf bank_mask:0xf bound_ctrl:1
	;;#ASMEND
	;;#ASMSTART
	v_max_f32 v4, v3, v3 quad_perm:[2,3,0,1] row_mask:0xf bank_mask:0xf bound_ctrl:1
	;;#ASMEND
	v_and_b32_e32 v3, 7, v0
	v_cmp_eq_u32_e32 vcc, 0, v3
	v_cmp_gt_i32_e64 s[8:9], s19, v1
	s_and_b64 s[10:11], vcc, s[8:9]
	;;#ASMSTART
	v_max_f32 v2, v4, v4 row_half_mirror row_mask:0xf bank_mask:0xf bound_ctrl:1
	;;#ASMEND
	s_and_saveexec_b64 s[8:9], s[10:11]
	s_cbranch_execz .LBB400_20
; %bb.19:
	s_load_dwordx2 s[10:11], s[4:5], 0x8
	v_mul_f32_e32 v2, 0x3e2aaaab, v2
	v_lshrrev_b32_e32 v3, 23, v2
	v_and_b32_e32 v4, 0x7f800000, v2
	v_and_b32_e32 v2, 0x7fffff, v2
	v_cmp_ne_u32_e32 vcc, 0, v2
	s_waitcnt lgkmcnt(0)
	s_mul_i32 s16, s25, s6
	s_mov_b32 s14, 0x7f800000
	v_addc_co_u32_e32 v2, vcc, 0, v3, vcc
	s_mul_hi_i32 s15, s25, s6
	s_add_u32 s10, s10, s16
	v_cmp_ne_u32_e32 vcc, s14, v4
	s_addc_u32 s11, s11, s15
	v_lshrrev_b32_e32 v5, 3, v0
	v_cndmask_b32_e32 v4, -1, v2, vcc
	v_pk_mov_b32 v[2:3], s[10:11], s[10:11] op_sel:[0,1]
	v_mad_i64_i32 v[2:3], s[10:11], s26, v5, v[2:3]
	global_store_byte v[2:3], v4, off
.LBB400_20:
	s_or_b64 exec, exec, s[8:9]
	s_and_saveexec_b64 s[8:9], s[2:3]
	s_cbranch_execz .LBB400_22
; %bb.21:
	s_load_dwordx2 s[2:3], s[4:5], 0x0
	s_waitcnt lgkmcnt(0)
	s_mul_i32 s11, s24, s6
	s_mul_hi_i32 s10, s24, s6
	v_lshlrev_b32_e32 v2, 2, v0
	s_mov_b32 s27, 0x20000
	s_add_u32 s24, s2, s11
	s_addc_u32 s2, s3, s10
	s_lshr_b32 s3, s19, 31
	s_add_i32 s3, s19, s3
	s_ashr_i32 s3, s3, 1
	s_add_i32 s3, s3, 3
	s_ashr_i32 s10, s3, 31
	s_lshr_b32 s10, s10, 30
	s_add_i32 s3, s3, s10
	s_and_b32 s26, s3, -4
	s_and_b32 s25, s2, 0xffff
	v_mov_b32_e32 v3, 0
	buffer_store_dword v3, v2, s[24:27], 0 offen
	;;#ASMSTART
	s_nop 0
	;;#ASMEND
.LBB400_22:
	s_or_b64 exec, exec, s[8:9]
	s_cmp_lt_i32 s20, 1
	s_cbranch_scc1 .LBB400_10
.LBB400_23:
	s_load_dword s2, s[4:5], 0x94
	s_waitcnt lgkmcnt(0)
	s_cmp_lg_u32 s2, 1
	s_cbranch_scc1 .LBB400_10
; %bb.24:
	s_lshl_b32 s2, s20, 1
	s_add_i32 s2, s2, 2
	v_cmp_gt_u32_e32 vcc, s20, v1
	s_and_b32 s14, s2, -4
	v_mov_b32_e32 v6, 0
	v_lshlrev_b32_e32 v1, 4, v0
	v_mov_b32_e32 v7, 0
	v_mov_b32_e32 v8, 0
	;; [unrolled: 1-line block ×3, first 2 shown]
	s_waitcnt vmcnt(0)
	v_mov_b32_e32 v2, 0
	v_mov_b32_e32 v3, 0
	;; [unrolled: 1-line block ×4, first 2 shown]
	s_barrier
	s_and_saveexec_b64 s[2:3], vcc
	s_cbranch_execz .LBB400_26
; %bb.25:
	s_mul_hi_i32 s5, s22, s6
	s_mul_i32 s4, s22, s6
	s_and_b32 s13, s13, 0xffff
	s_lshl_b64 s[4:5], s[4:5], 1
	s_add_u32 s8, s30, s4
	s_mov_b32 s15, 0x20000
	s_addc_u32 s4, s31, s5
	s_and_b32 s9, s4, 0xffff
	s_mov_b32 s10, s14
	s_mov_b32 s11, s15
	buffer_load_dwordx4 v[6:9], v1, s[8:11], 0 offen glc slc
	buffer_load_dwordx4 v[2:5], v1, s[12:15], 0 offen
.LBB400_26:
	s_or_b64 exec, exec, s[2:3]
	s_waitcnt vmcnt(1)
	v_cvt_f32_u32_sdwa v13, v6 dst_sel:DWORD dst_unused:UNUSED_PAD src0_sel:WORD_1
	v_cvt_f32_u32_sdwa v12, v6 dst_sel:DWORD dst_unused:UNUSED_PAD src0_sel:WORD_0
	v_cvt_f32_u32_sdwa v6, v9 dst_sel:DWORD dst_unused:UNUSED_PAD src0_sel:WORD_1
	v_cvt_f32_u32_sdwa v9, v9 dst_sel:DWORD dst_unused:UNUSED_PAD src0_sel:WORD_0
	;; [unrolled: 2-line block ×4, first 2 shown]
	v_cndmask_b32_e32 v13, 0, v13, vcc
	v_cndmask_b32_e32 v7, 0, v6, vcc
	;; [unrolled: 1-line block ×5, first 2 shown]
	v_mul_f32_e32 v15, v13, v13
	v_cndmask_b32_e32 v10, 0, v10, vcc
	v_fmac_f32_e32 v15, v12, v12
	v_cndmask_b32_e32 v11, 0, v11, vcc
	v_fmac_f32_e32 v15, v10, v10
	;; [unrolled: 2-line block ×3, first 2 shown]
	v_fmac_f32_e32 v15, v8, v8
	v_fmac_f32_e32 v15, v9, v9
	;; [unrolled: 1-line block ×4, first 2 shown]
	s_nop 1
	v_mov_b32_dpp v16, v15 quad_perm:[1,0,3,2] row_mask:0xf bank_mask:0xf
	v_add_f32_e32 v15, v15, v16
	s_nop 1
	v_mov_b32_dpp v16, v15 quad_perm:[2,3,0,1] row_mask:0xf bank_mask:0xf
	v_add_f32_e32 v15, v15, v16
	s_nop 1
	v_mov_b32_dpp v16, v15 row_half_mirror row_mask:0xf bank_mask:0xf
	v_add_f32_e32 v15, v15, v16
	s_nop 1
	v_mov_b32_dpp v16, v15 row_mirror row_mask:0xf bank_mask:0xf
	v_add_f32_e32 v15, v15, v16
	s_nop 1
	v_mov_b32_dpp v16, v15 row_bcast:15 row_mask:0xf bank_mask:0xf
	v_add_f32_e32 v15, v15, v16
	s_nop 1
	v_mov_b32_dpp v16, v15 row_bcast:31 row_mask:0xf bank_mask:0xf
	s_and_saveexec_b64 s[2:3], s[0:1]
	s_cbranch_execz .LBB400_28
; %bb.27:
	v_lshrrev_b32_e32 v0, 4, v0
	v_add_f32_e32 v15, v15, v16
	v_and_b32_e32 v0, 60, v0
	ds_write_b32 v0, v15
.LBB400_28:
	s_or_b64 exec, exec, s[2:3]
	s_waitcnt lgkmcnt(0)
	s_barrier
	ds_read_b32 v0, v14
	s_waitcnt lgkmcnt(0)
	s_nop 0
	v_mov_b32_dpp v14, v0 quad_perm:[1,0,3,2] row_mask:0xf bank_mask:0xf
	s_and_saveexec_b64 s[0:1], vcc
	s_cbranch_execz .LBB400_10
; %bb.29:
	v_cvt_f32_u32_e32 v15, s20
	v_add_f32_e32 v0, v0, v14
	s_mov_b32 s15, 0x20000
	v_div_scale_f32 v14, s[0:1], v15, v15, v0
	v_rcp_f32_e32 v16, v14
	v_div_scale_f32 v17, vcc, v0, v15, v0
	s_mov_b32 s0, 0x800000
	v_fma_f32 v18, -v14, v16, 1.0
	v_fmac_f32_e32 v16, v18, v16
	v_mul_f32_e32 v18, v17, v16
	v_fma_f32 v19, -v14, v18, v17
	v_fmac_f32_e32 v18, v19, v16
	v_fma_f32 v14, -v14, v18, v17
	v_div_fmas_f32 v14, v14, v16, v18
	v_div_fixup_f32 v0, v14, v15, v0
	v_add_f32_e32 v0, s17, v0
	v_mul_f32_e32 v14, 0x4b800000, v0
	v_cmp_gt_f32_e32 vcc, s0, v0
	v_cndmask_b32_e32 v0, v0, v14, vcc
	v_rsq_f32_e32 v0, v0
	s_mul_hi_i32 s1, s7, s6
	s_mul_i32 s0, s7, s6
	s_lshl_b64 s[0:1], s[0:1], 1
	v_mul_f32_e32 v14, 0x45800000, v0
	v_cndmask_b32_e32 v14, v0, v14, vcc
	s_add_u32 s12, s28, s0
	v_mov_b32_e32 v15, v14
	s_addc_u32 s0, s29, s1
	;;#ASMSTART
	v_pk_mul_f32 v[12:13], v[12:13], v[14:15]
	;;#ASMEND
	;;#ASMSTART
	v_pk_mul_f32 v[10:11], v[10:11], v[14:15]
	;;#ASMEND
	;; [unrolled: 3-line block ×4, first 2 shown]
	s_waitcnt vmcnt(0)
	v_cvt_f32_u32_sdwa v15, v2 dst_sel:DWORD dst_unused:UNUSED_PAD src0_sel:WORD_1
	v_cvt_f32_u32_sdwa v14, v2 dst_sel:DWORD dst_unused:UNUSED_PAD src0_sel:WORD_0
	v_cvt_f32_u32_sdwa v17, v3 dst_sel:DWORD dst_unused:UNUSED_PAD src0_sel:WORD_1
	v_cvt_f32_u32_sdwa v16, v3 dst_sel:DWORD dst_unused:UNUSED_PAD src0_sel:WORD_0
	;; [unrolled: 2-line block ×4, first 2 shown]
	;;#ASMSTART
	v_pk_mul_f32 v[4:5], v[12:13], v[14:15]
	;;#ASMEND
	s_and_b32 s13, s0, 0xffff
	s_mov_b32 s0, 0x7060302
	;;#ASMSTART
	v_pk_mul_f32 v[10:11], v[10:11], v[16:17]
	;;#ASMEND
	;;#ASMSTART
	v_pk_mul_f32 v[8:9], v[8:9], v[2:3]
	;;#ASMEND
	;; [unrolled: 3-line block ×3, first 2 shown]
	v_perm_b32 v2, v5, v4, s0
	v_perm_b32 v3, v11, v10, s0
	;; [unrolled: 1-line block ×4, first 2 shown]
	buffer_store_dwordx4 v[2:5], v1, s[12:15], 0 offen
	;;#ASMSTART
	s_nop 0
	;;#ASMEND
	s_endpgm
	.section	.rodata,"a",@progbits
	.p2align	6, 0x0
	.amdhsa_kernel _ZN5aiter35fused_qk_rmsnorm_group_quant_kernelItN4opus5fp4_tELi128ELi8ELi8ELb0ELb1ELb0ELb0ELb0ELb0EEEvPT0_PvPT_S7_S7_PKS6_S9_S9_S9_S9_ffiiiiiiiiiiiii
		.amdhsa_group_segment_fixed_size 16
		.amdhsa_private_segment_fixed_size 0
		.amdhsa_kernarg_size 400
		.amdhsa_user_sgpr_count 6
		.amdhsa_user_sgpr_private_segment_buffer 1
		.amdhsa_user_sgpr_dispatch_ptr 0
		.amdhsa_user_sgpr_queue_ptr 0
		.amdhsa_user_sgpr_kernarg_segment_ptr 1
		.amdhsa_user_sgpr_dispatch_id 0
		.amdhsa_user_sgpr_flat_scratch_init 0
		.amdhsa_user_sgpr_kernarg_preload_length 0
		.amdhsa_user_sgpr_kernarg_preload_offset 0
		.amdhsa_user_sgpr_private_segment_size 0
		.amdhsa_uses_dynamic_stack 0
		.amdhsa_system_sgpr_private_segment_wavefront_offset 0
		.amdhsa_system_sgpr_workgroup_id_x 1
		.amdhsa_system_sgpr_workgroup_id_y 1
		.amdhsa_system_sgpr_workgroup_id_z 0
		.amdhsa_system_sgpr_workgroup_info 0
		.amdhsa_system_vgpr_workitem_id 0
		.amdhsa_next_free_vgpr 23
		.amdhsa_next_free_sgpr 36
		.amdhsa_accum_offset 24
		.amdhsa_reserve_vcc 1
		.amdhsa_reserve_flat_scratch 0
		.amdhsa_float_round_mode_32 0
		.amdhsa_float_round_mode_16_64 0
		.amdhsa_float_denorm_mode_32 3
		.amdhsa_float_denorm_mode_16_64 3
		.amdhsa_dx10_clamp 1
		.amdhsa_ieee_mode 1
		.amdhsa_fp16_overflow 0
		.amdhsa_tg_split 0
		.amdhsa_exception_fp_ieee_invalid_op 0
		.amdhsa_exception_fp_denorm_src 0
		.amdhsa_exception_fp_ieee_div_zero 0
		.amdhsa_exception_fp_ieee_overflow 0
		.amdhsa_exception_fp_ieee_underflow 0
		.amdhsa_exception_fp_ieee_inexact 0
		.amdhsa_exception_int_div_zero 0
	.end_amdhsa_kernel
	.section	.text._ZN5aiter35fused_qk_rmsnorm_group_quant_kernelItN4opus5fp4_tELi128ELi8ELi8ELb0ELb1ELb0ELb0ELb0ELb0EEEvPT0_PvPT_S7_S7_PKS6_S9_S9_S9_S9_ffiiiiiiiiiiiii,"axG",@progbits,_ZN5aiter35fused_qk_rmsnorm_group_quant_kernelItN4opus5fp4_tELi128ELi8ELi8ELb0ELb1ELb0ELb0ELb0ELb0EEEvPT0_PvPT_S7_S7_PKS6_S9_S9_S9_S9_ffiiiiiiiiiiiii,comdat
.Lfunc_end400:
	.size	_ZN5aiter35fused_qk_rmsnorm_group_quant_kernelItN4opus5fp4_tELi128ELi8ELi8ELb0ELb1ELb0ELb0ELb0ELb0EEEvPT0_PvPT_S7_S7_PKS6_S9_S9_S9_S9_ffiiiiiiiiiiiii, .Lfunc_end400-_ZN5aiter35fused_qk_rmsnorm_group_quant_kernelItN4opus5fp4_tELi128ELi8ELi8ELb0ELb1ELb0ELb0ELb0ELb0EEEvPT0_PvPT_S7_S7_PKS6_S9_S9_S9_S9_ffiiiiiiiiiiiii
                                        ; -- End function
	.section	.AMDGPU.csdata,"",@progbits
; Kernel info:
; codeLenInByte = 2404
; NumSgprs: 40
; NumVgprs: 23
; NumAgprs: 0
; TotalNumVgprs: 23
; ScratchSize: 0
; MemoryBound: 0
; FloatMode: 240
; IeeeMode: 1
; LDSByteSize: 16 bytes/workgroup (compile time only)
; SGPRBlocks: 4
; VGPRBlocks: 2
; NumSGPRsForWavesPerEU: 40
; NumVGPRsForWavesPerEU: 23
; AccumOffset: 24
; Occupancy: 8
; WaveLimiterHint : 0
; COMPUTE_PGM_RSRC2:SCRATCH_EN: 0
; COMPUTE_PGM_RSRC2:USER_SGPR: 6
; COMPUTE_PGM_RSRC2:TRAP_HANDLER: 0
; COMPUTE_PGM_RSRC2:TGID_X_EN: 1
; COMPUTE_PGM_RSRC2:TGID_Y_EN: 1
; COMPUTE_PGM_RSRC2:TGID_Z_EN: 0
; COMPUTE_PGM_RSRC2:TIDIG_COMP_CNT: 0
; COMPUTE_PGM_RSRC3_GFX90A:ACCUM_OFFSET: 5
; COMPUTE_PGM_RSRC3_GFX90A:TG_SPLIT: 0
	.section	.text._ZN5aiter35fused_qk_rmsnorm_group_quant_kernelIDF16_DB8_Li128ELi8ELi8ELb0ELb0ELb1ELb0ELb0ELb0EEEvPT0_PvPT_S6_S6_PKS5_S8_S8_S8_S8_ffiiiiiiiiiiiii,"axG",@progbits,_ZN5aiter35fused_qk_rmsnorm_group_quant_kernelIDF16_DB8_Li128ELi8ELi8ELb0ELb0ELb1ELb0ELb0ELb0EEEvPT0_PvPT_S6_S6_PKS5_S8_S8_S8_S8_ffiiiiiiiiiiiii,comdat
	.protected	_ZN5aiter35fused_qk_rmsnorm_group_quant_kernelIDF16_DB8_Li128ELi8ELi8ELb0ELb0ELb1ELb0ELb0ELb0EEEvPT0_PvPT_S6_S6_PKS5_S8_S8_S8_S8_ffiiiiiiiiiiiii ; -- Begin function _ZN5aiter35fused_qk_rmsnorm_group_quant_kernelIDF16_DB8_Li128ELi8ELi8ELb0ELb0ELb1ELb0ELb0ELb0EEEvPT0_PvPT_S6_S6_PKS5_S8_S8_S8_S8_ffiiiiiiiiiiiii
	.globl	_ZN5aiter35fused_qk_rmsnorm_group_quant_kernelIDF16_DB8_Li128ELi8ELi8ELb0ELb0ELb1ELb0ELb0ELb0EEEvPT0_PvPT_S6_S6_PKS5_S8_S8_S8_S8_ffiiiiiiiiiiiii
	.p2align	8
	.type	_ZN5aiter35fused_qk_rmsnorm_group_quant_kernelIDF16_DB8_Li128ELi8ELi8ELb0ELb0ELb1ELb0ELb0ELb0EEEvPT0_PvPT_S6_S6_PKS5_S8_S8_S8_S8_ffiiiiiiiiiiiii,@function
_ZN5aiter35fused_qk_rmsnorm_group_quant_kernelIDF16_DB8_Li128ELi8ELi8ELb0ELb0ELb1ELb0ELb0ELb0EEEvPT0_PvPT_S6_S6_PKS5_S8_S8_S8_S8_ffiiiiiiiiiiiii: ; @_ZN5aiter35fused_qk_rmsnorm_group_quant_kernelIDF16_DB8_Li128ELi8ELi8ELb0ELb0ELb1ELb0ELb0ELb0EEEvPT0_PvPT_S6_S6_PKS5_S8_S8_S8_S8_ffiiiiiiiiiiiii
; %bb.0:
	s_load_dwordx4 s[16:19], s[4:5], 0x50
	s_waitcnt lgkmcnt(0)
	s_cmp_ge_i32 s6, s18
	s_cbranch_scc1 .LBB401_12
; %bb.1:
	s_load_dwordx2 s[12:13], s[4:5], 0x48
	s_load_dwordx2 s[30:31], s[4:5], 0x30
	s_load_dwordx4 s[20:23], s[4:5], 0x60
	s_cmp_lg_u32 s7, 0
	s_cselect_b64 s[14:15], -1, 0
	s_cmp_eq_u32 s7, 0
	s_cselect_b64 vcc, -1, 0
	s_and_b64 s[0:1], vcc, exec
	s_waitcnt lgkmcnt(0)
	s_cselect_b32 s7, s19, s20
	s_add_i32 s0, s7, 1
	s_lshr_b32 s1, s0, 31
	s_add_i32 s0, s0, s1
	s_lshl_b32 s0, s0, 1
	v_lshlrev_b32_e32 v1, 3, v0
	s_and_b32 s10, s0, -4
	v_cmp_gt_i32_e64 s[2:3], s7, v1
	v_mov_b32_e32 v10, 0
	v_mov_b32_e32 v2, 0
	;; [unrolled: 1-line block ×9, first 2 shown]
	s_and_saveexec_b64 s[0:1], s[2:3]
	s_cbranch_execz .LBB401_3
; %bb.2:
	s_load_dwordx2 s[8:9], s[4:5], 0x28
	s_load_dwordx2 s[26:27], s[4:5], 0x40
	s_and_b64 s[24:25], vcc, exec
	s_cselect_b32 s11, s21, s22
	v_lshlrev_b32_e32 v11, 4, v0
	s_waitcnt lgkmcnt(0)
	s_cselect_b32 s18, s9, s31
	s_cselect_b32 s21, s8, s30
	s_mul_hi_i32 s9, s11, s6
	s_mul_i32 s8, s11, s6
	s_lshl_b64 s[8:9], s[8:9], 1
	s_add_u32 s24, s21, s8
	s_addc_u32 s18, s18, s9
	s_and_b64 s[8:9], vcc, exec
	s_mov_b32 s11, 0x20000
	s_cselect_b32 s8, s26, s12
	s_cselect_b32 s9, s27, s13
	s_and_b32 s25, s18, 0xffff
	s_mov_b32 s26, s10
	s_mov_b32 s27, s11
	s_and_b32 s9, s9, 0xffff
	buffer_load_dwordx4 v[6:9], v11, s[24:27], 0 offen glc slc
	buffer_load_dwordx4 v[2:5], v11, s[8:11], 0 offen
.LBB401_3:
	s_or_b64 exec, exec, s[0:1]
	v_mov_b32_e32 v11, 0
	v_mov_b32_e32 v16, 0
	;; [unrolled: 1-line block ×7, first 2 shown]
	s_and_saveexec_b64 s[0:1], s[2:3]
	s_cbranch_execz .LBB401_5
; %bb.4:
	s_waitcnt vmcnt(1)
	v_cvt_f32_f16_sdwa v11, v6 dst_sel:DWORD dst_unused:UNUSED_PAD src0_sel:WORD_1
	v_cvt_f32_f16_e32 v10, v6
	v_cvt_f32_f16_sdwa v17, v7 dst_sel:DWORD dst_unused:UNUSED_PAD src0_sel:WORD_1
	v_cvt_f32_f16_e32 v16, v7
	;; [unrolled: 2-line block ×4, first 2 shown]
.LBB401_5:
	s_or_b64 exec, exec, s[0:1]
	s_waitcnt vmcnt(1)
	v_mul_f32_e32 v6, v11, v11
	v_fmac_f32_e32 v6, v10, v10
	v_fmac_f32_e32 v6, v16, v16
	;; [unrolled: 1-line block ×7, first 2 shown]
	v_and_b32_e32 v8, 63, v0
	v_cmp_eq_u32_e64 s[0:1], 63, v8
	v_mov_b32_dpp v7, v6 quad_perm:[1,0,3,2] row_mask:0xf bank_mask:0xf
	v_add_f32_e32 v6, v6, v7
	s_nop 1
	v_mov_b32_dpp v7, v6 quad_perm:[2,3,0,1] row_mask:0xf bank_mask:0xf
	v_add_f32_e32 v6, v6, v7
	s_nop 1
	v_mov_b32_dpp v7, v6 row_half_mirror row_mask:0xf bank_mask:0xf
	v_add_f32_e32 v6, v6, v7
	s_nop 1
	v_mov_b32_dpp v7, v6 row_mirror row_mask:0xf bank_mask:0xf
	v_add_f32_e32 v6, v6, v7
	s_nop 1
	v_mov_b32_dpp v7, v6 row_bcast:15 row_mask:0xf bank_mask:0xf
	v_add_f32_e32 v6, v6, v7
	s_nop 1
	v_mov_b32_dpp v7, v6 row_bcast:31 row_mask:0xf bank_mask:0xf
	s_and_saveexec_b64 s[8:9], s[0:1]
	s_cbranch_execz .LBB401_7
; %bb.6:
	v_add_f32_e32 v6, v6, v7
	v_lshrrev_b32_e32 v7, 4, v0
	v_and_b32_e32 v7, 60, v7
	ds_write_b32 v7, v6 offset:8
.LBB401_7:
	s_or_b64 exec, exec, s[8:9]
	v_and_b32_e32 v6, 1, v0
	v_lshlrev_b32_e32 v18, 2, v6
	s_waitcnt lgkmcnt(0)
	s_barrier
	ds_read_b32 v6, v18 offset:8
	s_load_dwordx2 s[28:29], s[4:5], 0x18
	s_waitcnt lgkmcnt(0)
	v_mov_b32_dpp v7, v6 quad_perm:[1,0,3,2] row_mask:0xf bank_mask:0xf
	s_and_saveexec_b64 s[8:9], s[2:3]
	s_cbranch_execz .LBB401_9
; %bb.8:
	v_cvt_f32_u32_e32 v8, s7
	v_add_f32_e32 v6, v6, v7
	v_mov_b32_e32 v19, s17
	v_mov_b32_e32 v20, s16
	v_div_scale_f32 v7, s[24:25], v8, v8, v6
	v_rcp_f32_e32 v9, v7
	v_cndmask_b32_e32 v19, v19, v20, vcc
	s_mov_b32 s7, 0x800000
	v_fma_f32 v20, -v7, v9, 1.0
	v_fmac_f32_e32 v9, v20, v9
	v_div_scale_f32 v20, vcc, v6, v8, v6
	v_mul_f32_e32 v21, v20, v9
	v_fma_f32 v22, -v7, v21, v20
	v_fmac_f32_e32 v21, v22, v9
	v_fma_f32 v7, -v7, v21, v20
	v_div_fmas_f32 v7, v7, v9, v21
	v_div_fixup_f32 v6, v7, v8, v6
	v_add_f32_e32 v6, v19, v6
	v_mul_f32_e32 v7, 0x4b800000, v6
	v_cmp_gt_f32_e32 vcc, s7, v6
	v_cndmask_b32_e32 v6, v6, v7, vcc
	v_rsq_f32_e32 v6, v6
	s_waitcnt vmcnt(0)
	v_cvt_f32_f16_sdwa v21, v3 dst_sel:DWORD dst_unused:UNUSED_PAD src0_sel:WORD_1
	v_cvt_f32_f16_e32 v20, v3
	v_mul_f32_e32 v7, 0x45800000, v6
	v_cndmask_b32_e32 v6, v6, v7, vcc
	v_mov_b32_e32 v7, v6
	;;#ASMSTART
	v_pk_mul_f32 v[8:9], v[10:11], v[6:7]
	;;#ASMEND
	v_cvt_f32_f16_sdwa v11, v2 dst_sel:DWORD dst_unused:UNUSED_PAD src0_sel:WORD_1
	v_cvt_f32_f16_e32 v10, v2
	;;#ASMSTART
	v_pk_mul_f32 v[16:17], v[16:17], v[6:7]
	;;#ASMEND
	;;#ASMSTART
	v_pk_mul_f32 v[14:15], v[14:15], v[6:7]
	;;#ASMEND
	;; [unrolled: 3-line block ×3, first 2 shown]
	v_pk_add_f32 v[6:7], v[10:11], 1.0 op_sel_hi:[1,0]
	;;#ASMSTART
	v_pk_mul_f32 v[10:11], v[8:9], v[6:7]
	;;#ASMEND
	v_cvt_f32_f16_sdwa v9, v4 dst_sel:DWORD dst_unused:UNUSED_PAD src0_sel:WORD_1
	v_cvt_f32_f16_e32 v8, v4
	v_cvt_f32_f16_sdwa v13, v5 dst_sel:DWORD dst_unused:UNUSED_PAD src0_sel:WORD_1
	v_cvt_f32_f16_e32 v12, v5
	v_pk_add_f32 v[6:7], v[20:21], 1.0 op_sel_hi:[1,0]
	v_pk_add_f32 v[4:5], v[8:9], 1.0 op_sel_hi:[1,0]
	;;#ASMSTART
	v_pk_mul_f32 v[16:17], v[16:17], v[6:7]
	;;#ASMEND
	;;#ASMSTART
	v_pk_mul_f32 v[14:15], v[14:15], v[4:5]
	;;#ASMEND
	v_pk_add_f32 v[4:5], v[12:13], 1.0 op_sel_hi:[1,0]
	;;#ASMSTART
	v_pk_mul_f32 v[12:13], v[2:3], v[4:5]
	;;#ASMEND
.LBB401_9:
	s_or_b64 exec, exec, s[8:9]
	s_load_dword s7, s[4:5], 0x80
	s_mov_b64 s[8:9], -1
	s_and_b64 vcc, exec, s[14:15]
	s_cbranch_vccnz .LBB401_13
; %bb.10:
	s_andn2_b64 vcc, exec, s[8:9]
	s_cbranch_vccz .LBB401_16
.LBB401_11:
	s_cmp_lt_i32 s20, 1
	s_cbranch_scc0 .LBB401_23
.LBB401_12:
	s_endpgm
.LBB401_13:
	s_and_saveexec_b64 s[14:15], s[2:3]
	s_cbranch_execz .LBB401_15
; %bb.14:
	s_waitcnt lgkmcnt(0)
	s_mul_hi_i32 s9, s7, s6
	s_mul_i32 s8, s7, s6
	s_waitcnt vmcnt(0)
	v_cvt_f16_f32_e32 v2, v10
	v_cvt_f16_f32_e32 v3, v16
	;; [unrolled: 1-line block ×8, first 2 shown]
	s_lshl_b64 s[8:9], s[8:9], 1
	s_add_u32 s8, s28, s8
	s_addc_u32 s9, s29, s9
	s_and_b32 s9, s9, 0xffff
	s_mov_b32 s11, 0x20000
	v_pack_b32_f16 v5, v5, v6
	v_pack_b32_f16 v4, v4, v7
	;; [unrolled: 1-line block ×4, first 2 shown]
	v_lshlrev_b32_e32 v6, 4, v0
	buffer_store_dwordx4 v[2:5], v6, s[8:11], 0 offen
	;;#ASMSTART
	s_nop 0
	;;#ASMEND
.LBB401_15:
	s_or_b64 exec, exec, s[14:15]
	s_cbranch_execnz .LBB401_11
.LBB401_16:
	s_waitcnt vmcnt(0)
	v_mov_b32_e32 v2, 0
	s_and_saveexec_b64 s[8:9], s[2:3]
	s_cbranch_execz .LBB401_18
; %bb.17:
	v_and_b32_e32 v2, 0x7fffffff, v10
	v_and_b32_e32 v3, 0x7fffffff, v11
	v_mov_b32_e32 v4, 0x2edbe6ff
	;;#ASMSTART
	v_max3_f32 v2, v4, v2, v3

	;;#ASMEND
	v_and_b32_e32 v3, 0x7fffffff, v16
	v_and_b32_e32 v4, 0x7fffffff, v17
	;;#ASMSTART
	v_max3_f32 v2, v2, v3, v4

	;;#ASMEND
	v_and_b32_e32 v3, 0x7fffffff, v14
	v_and_b32_e32 v4, 0x7fffffff, v15
	;; [unrolled: 6-line block ×3, first 2 shown]
	;;#ASMSTART
	v_max3_f32 v2, v2, v3, v4

	;;#ASMEND
.LBB401_18:
	s_or_b64 exec, exec, s[8:9]
	s_load_dwordx4 s[24:27], s[4:5], 0x70
	;;#ASMSTART
	v_max_f32 v3, v2, v2 quad_perm:[1,0,3,2] row_mask:0xf bank_mask:0xf bound_ctrl:1
	;;#ASMEND
	;;#ASMSTART
	v_max_f32 v2, v3, v3 quad_perm:[2,3,0,1] row_mask:0xf bank_mask:0xf bound_ctrl:1
	;;#ASMEND
	;;#ASMSTART
	v_max_f32 v3, v2, v2 row_half_mirror row_mask:0xf bank_mask:0xf bound_ctrl:1
	;;#ASMEND
	v_mul_f32_e32 v2, 0x3b124925, v3
	v_and_b32_e32 v3, 7, v0
	v_cmp_eq_u32_e32 vcc, 0, v3
	v_cmp_gt_i32_e64 s[8:9], s19, v1
	s_and_b64 s[10:11], vcc, s[8:9]
	s_and_saveexec_b64 s[8:9], s[10:11]
	s_cbranch_execz .LBB401_20
; %bb.19:
	s_load_dwordx2 s[10:11], s[4:5], 0x8
	s_waitcnt lgkmcnt(0)
	s_mul_hi_i32 s15, s25, s6
	s_mul_i32 s14, s25, s6
	v_lshrrev_b32_e32 v3, 3, v0
	s_lshl_b64 s[14:15], s[14:15], 2
	v_mad_i64_i32 v[4:5], s[26:27], s26, v3, 0
	s_add_u32 s10, s10, s14
	s_addc_u32 s11, s11, s15
	v_lshlrev_b64 v[4:5], 2, v[4:5]
	v_mov_b32_e32 v3, s11
	v_add_co_u32_e32 v4, vcc, s10, v4
	v_addc_co_u32_e32 v5, vcc, v3, v5, vcc
	global_store_dword v[4:5], v2, off
.LBB401_20:
	s_or_b64 exec, exec, s[8:9]
	;;#ASMSTART
	v_rcp_f32 v2, v2
	;;#ASMEND
	s_and_saveexec_b64 s[14:15], s[2:3]
	s_cbranch_execz .LBB401_22
; %bb.21:
	s_load_dwordx2 s[2:3], s[4:5], 0x0
	s_waitcnt lgkmcnt(0)
	s_mul_i32 s8, s24, s6
	s_mul_hi_i32 s9, s24, s6
	v_mov_b32_e32 v3, v2
	;;#ASMSTART
	v_pk_mul_f32 v[4:5], v[10:11], v[2:3]
	;;#ASMEND
	s_add_u32 s8, s2, s8
	s_addc_u32 s2, s3, s9
	s_add_i32 s3, s19, 3
	s_ashr_i32 s9, s3, 31
	v_mov_b32_e32 v8, 0xc3e00000
	v_mov_b32_e32 v9, 0x43e00000
	;;#ASMSTART
	v_med3_f32 v4, v4, v8, v9
v_med3_f32 v5, v5, v8, v9
v_cvt_pk_fp8_f32 v6, v4, v5
	;;#ASMEND
	s_lshr_b32 s9, s9, 30
	;;#ASMSTART
	v_pk_mul_f32 v[4:5], v[16:17], v[2:3]
	;;#ASMEND
	s_add_i32 s3, s3, s9
	s_and_b32 s9, s2, 0xffff
	;;#ASMSTART
	v_med3_f32 v4, v4, v8, v9
v_med3_f32 v5, v5, v8, v9
v_cvt_pk_fp8_f32 v7, v4, v5
	;;#ASMEND
	s_mov_b32 s2, 0x5040100
	v_perm_b32 v5, v7, v6, s2
	s_movk_i32 s2, 0xff
	v_and_b32_e32 v4, 0xffffff00, v7
	v_and_b32_sdwa v6, v5, s2 dst_sel:DWORD dst_unused:UNUSED_PAD src0_sel:WORD_1 src1_sel:DWORD
	s_mov_b32 s16, 0xffff
	v_or_b32_sdwa v4, v6, v4 dst_sel:WORD_1 dst_unused:UNUSED_PAD src0_sel:DWORD src1_sel:DWORD
	v_and_or_b32 v4, v5, s16, v4
	;;#ASMSTART
	v_pk_mul_f32 v[6:7], v[14:15], v[2:3]
	;;#ASMEND
	v_mov_b32_e32 v5, v7
	;;#ASMSTART
	v_med3_f32 v6, v6, v8, v9
v_med3_f32 v5, v5, v8, v9
v_cvt_pk_fp8_f32 v7, v6, v5
	;;#ASMEND
	;;#ASMSTART
	v_pk_mul_f32 v[2:3], v[12:13], v[2:3]
	;;#ASMEND
	;;#ASMSTART
	v_med3_f32 v2, v2, v8, v9
v_med3_f32 v3, v3, v8, v9
v_cvt_pk_fp8_f32 v5, v2, v3
	;;#ASMEND
	v_lshlrev_b32_e32 v2, 16, v5
	s_and_b32 s10, s3, -4
	s_mov_b32 s11, 0x20000
	v_and_or_b32 v5, v7, s16, v2
	buffer_store_dwordx2 v[4:5], v1, s[8:11], 0 offen
	;;#ASMSTART
	s_nop 0
	;;#ASMEND
.LBB401_22:
	s_or_b64 exec, exec, s[14:15]
	s_cmp_lt_i32 s20, 1
	s_cbranch_scc1 .LBB401_12
.LBB401_23:
	s_load_dword s2, s[4:5], 0x94
	s_waitcnt lgkmcnt(0)
	s_cmp_lg_u32 s2, 1
	s_cbranch_scc1 .LBB401_12
; %bb.24:
	s_lshl_b32 s2, s20, 1
	s_add_i32 s2, s2, 2
	v_cmp_gt_u32_e32 vcc, s20, v1
	s_and_b32 s14, s2, -4
	v_mov_b32_e32 v10, 0
	v_lshlrev_b32_e32 v1, 4, v0
	v_mov_b32_e32 v6, 0
	v_mov_b32_e32 v7, 0
	;; [unrolled: 1-line block ×4, first 2 shown]
	s_waitcnt vmcnt(0)
	v_mov_b32_e32 v2, 0
	v_mov_b32_e32 v3, 0
	;; [unrolled: 1-line block ×4, first 2 shown]
	s_barrier
	s_and_saveexec_b64 s[2:3], vcc
	s_cbranch_execz .LBB401_26
; %bb.25:
	s_mul_hi_i32 s5, s22, s6
	s_mul_i32 s4, s22, s6
	s_and_b32 s13, s13, 0xffff
	s_lshl_b64 s[4:5], s[4:5], 1
	s_add_u32 s8, s30, s4
	s_mov_b32 s15, 0x20000
	s_addc_u32 s4, s31, s5
	s_and_b32 s9, s4, 0xffff
	s_mov_b32 s10, s14
	s_mov_b32 s11, s15
	buffer_load_dwordx4 v[6:9], v1, s[8:11], 0 offen glc slc
	buffer_load_dwordx4 v[2:5], v1, s[12:15], 0 offen
.LBB401_26:
	s_or_b64 exec, exec, s[2:3]
	v_mov_b32_e32 v11, 0
	v_mov_b32_e32 v16, 0
	;; [unrolled: 1-line block ×7, first 2 shown]
	s_and_saveexec_b64 s[2:3], vcc
	s_cbranch_execz .LBB401_28
; %bb.27:
	s_waitcnt vmcnt(1)
	v_cvt_f32_f16_sdwa v11, v6 dst_sel:DWORD dst_unused:UNUSED_PAD src0_sel:WORD_1
	v_cvt_f32_f16_e32 v10, v6
	v_cvt_f32_f16_sdwa v17, v7 dst_sel:DWORD dst_unused:UNUSED_PAD src0_sel:WORD_1
	v_cvt_f32_f16_e32 v16, v7
	;; [unrolled: 2-line block ×4, first 2 shown]
.LBB401_28:
	s_or_b64 exec, exec, s[2:3]
	s_waitcnt vmcnt(1)
	v_mul_f32_e32 v6, v11, v11
	v_fmac_f32_e32 v6, v10, v10
	v_fmac_f32_e32 v6, v16, v16
	;; [unrolled: 1-line block ×7, first 2 shown]
	s_nop 1
	v_mov_b32_dpp v7, v6 quad_perm:[1,0,3,2] row_mask:0xf bank_mask:0xf
	v_add_f32_e32 v6, v6, v7
	s_nop 1
	v_mov_b32_dpp v7, v6 quad_perm:[2,3,0,1] row_mask:0xf bank_mask:0xf
	v_add_f32_e32 v6, v6, v7
	s_nop 1
	v_mov_b32_dpp v7, v6 row_half_mirror row_mask:0xf bank_mask:0xf
	v_add_f32_e32 v6, v6, v7
	s_nop 1
	v_mov_b32_dpp v7, v6 row_mirror row_mask:0xf bank_mask:0xf
	v_add_f32_e32 v6, v6, v7
	s_nop 1
	v_mov_b32_dpp v7, v6 row_bcast:15 row_mask:0xf bank_mask:0xf
	v_add_f32_e32 v6, v6, v7
	s_nop 1
	v_mov_b32_dpp v7, v6 row_bcast:31 row_mask:0xf bank_mask:0xf
	s_and_saveexec_b64 s[2:3], s[0:1]
	s_cbranch_execz .LBB401_30
; %bb.29:
	v_lshrrev_b32_e32 v0, 4, v0
	v_add_f32_e32 v6, v6, v7
	v_and_b32_e32 v0, 60, v0
	ds_write_b32 v0, v6
.LBB401_30:
	s_or_b64 exec, exec, s[2:3]
	s_waitcnt lgkmcnt(0)
	s_barrier
	ds_read_b32 v0, v18
	s_waitcnt lgkmcnt(0)
	s_nop 0
	v_mov_b32_dpp v6, v0 quad_perm:[1,0,3,2] row_mask:0xf bank_mask:0xf
	s_and_saveexec_b64 s[0:1], vcc
	s_cbranch_execz .LBB401_12
; %bb.31:
	v_cvt_f32_u32_e32 v7, s20
	v_add_f32_e32 v0, v0, v6
	s_mov_b32 s15, 0x20000
	v_div_scale_f32 v6, s[0:1], v7, v7, v0
	v_rcp_f32_e32 v8, v6
	v_div_scale_f32 v9, vcc, v0, v7, v0
	s_mov_b32 s0, 0x800000
	v_fma_f32 v18, -v6, v8, 1.0
	v_fmac_f32_e32 v8, v18, v8
	v_mul_f32_e32 v18, v9, v8
	v_fma_f32 v19, -v6, v18, v9
	v_fmac_f32_e32 v18, v19, v8
	v_fma_f32 v6, -v6, v18, v9
	v_div_fmas_f32 v6, v6, v8, v18
	v_div_fixup_f32 v0, v6, v7, v0
	v_add_f32_e32 v0, s17, v0
	v_mul_f32_e32 v6, 0x4b800000, v0
	v_cmp_gt_f32_e32 vcc, s0, v0
	v_cndmask_b32_e32 v0, v0, v6, vcc
	v_rsq_f32_e32 v0, v0
	s_waitcnt vmcnt(0)
	v_cvt_f32_f16_sdwa v19, v3 dst_sel:DWORD dst_unused:UNUSED_PAD src0_sel:WORD_1
	v_cvt_f32_f16_e32 v18, v3
	s_mul_hi_i32 s1, s7, s6
	v_mul_f32_e32 v6, 0x45800000, v0
	v_cndmask_b32_e32 v6, v0, v6, vcc
	v_mov_b32_e32 v7, v6
	;;#ASMSTART
	v_pk_mul_f32 v[8:9], v[10:11], v[6:7]
	;;#ASMEND
	;;#ASMSTART
	v_pk_mul_f32 v[10:11], v[16:17], v[6:7]
	;;#ASMEND
	v_cvt_f32_f16_sdwa v17, v2 dst_sel:DWORD dst_unused:UNUSED_PAD src0_sel:WORD_1
	v_cvt_f32_f16_e32 v16, v2
	;;#ASMSTART
	v_pk_mul_f32 v[14:15], v[14:15], v[6:7]
	;;#ASMEND
	;;#ASMSTART
	v_pk_mul_f32 v[2:3], v[12:13], v[6:7]
	;;#ASMEND
	v_cvt_f32_f16_sdwa v13, v4 dst_sel:DWORD dst_unused:UNUSED_PAD src0_sel:WORD_1
	v_cvt_f32_f16_e32 v12, v4
	v_pk_add_f32 v[6:7], v[16:17], 1.0 op_sel_hi:[1,0]
	v_cvt_f32_f16_sdwa v17, v5 dst_sel:DWORD dst_unused:UNUSED_PAD src0_sel:WORD_1
	v_cvt_f32_f16_e32 v16, v5
	;;#ASMSTART
	v_pk_mul_f32 v[6:7], v[8:9], v[6:7]
	;;#ASMEND
	v_pk_add_f32 v[8:9], v[18:19], 1.0 op_sel_hi:[1,0]
	;;#ASMSTART
	v_pk_mul_f32 v[4:5], v[10:11], v[8:9]
	;;#ASMEND
	v_pk_add_f32 v[8:9], v[12:13], 1.0 op_sel_hi:[1,0]
	;; [unrolled: 4-line block ×3, first 2 shown]
	;;#ASMSTART
	v_pk_mul_f32 v[2:3], v[2:3], v[10:11]
	;;#ASMEND
	s_mul_i32 s0, s7, s6
	v_cvt_f16_f32_e32 v0, v6
	v_cvt_f16_f32_e32 v6, v7
	;; [unrolled: 1-line block ×8, first 2 shown]
	s_lshl_b64 s[0:1], s[0:1], 1
	s_add_u32 s12, s28, s0
	s_addc_u32 s0, s29, s1
	s_and_b32 s13, s0, 0xffff
	v_pack_b32_f16 v2, v0, v6
	v_pack_b32_f16 v3, v4, v5
	;; [unrolled: 1-line block ×4, first 2 shown]
	buffer_store_dwordx4 v[2:5], v1, s[12:15], 0 offen
	;;#ASMSTART
	s_nop 0
	;;#ASMEND
	s_endpgm
	.section	.rodata,"a",@progbits
	.p2align	6, 0x0
	.amdhsa_kernel _ZN5aiter35fused_qk_rmsnorm_group_quant_kernelIDF16_DB8_Li128ELi8ELi8ELb0ELb0ELb1ELb0ELb0ELb0EEEvPT0_PvPT_S6_S6_PKS5_S8_S8_S8_S8_ffiiiiiiiiiiiii
		.amdhsa_group_segment_fixed_size 16
		.amdhsa_private_segment_fixed_size 0
		.amdhsa_kernarg_size 400
		.amdhsa_user_sgpr_count 6
		.amdhsa_user_sgpr_private_segment_buffer 1
		.amdhsa_user_sgpr_dispatch_ptr 0
		.amdhsa_user_sgpr_queue_ptr 0
		.amdhsa_user_sgpr_kernarg_segment_ptr 1
		.amdhsa_user_sgpr_dispatch_id 0
		.amdhsa_user_sgpr_flat_scratch_init 0
		.amdhsa_user_sgpr_kernarg_preload_length 0
		.amdhsa_user_sgpr_kernarg_preload_offset 0
		.amdhsa_user_sgpr_private_segment_size 0
		.amdhsa_uses_dynamic_stack 0
		.amdhsa_system_sgpr_private_segment_wavefront_offset 0
		.amdhsa_system_sgpr_workgroup_id_x 1
		.amdhsa_system_sgpr_workgroup_id_y 1
		.amdhsa_system_sgpr_workgroup_id_z 0
		.amdhsa_system_sgpr_workgroup_info 0
		.amdhsa_system_vgpr_workitem_id 0
		.amdhsa_next_free_vgpr 23
		.amdhsa_next_free_sgpr 32
		.amdhsa_accum_offset 24
		.amdhsa_reserve_vcc 1
		.amdhsa_reserve_flat_scratch 0
		.amdhsa_float_round_mode_32 0
		.amdhsa_float_round_mode_16_64 0
		.amdhsa_float_denorm_mode_32 3
		.amdhsa_float_denorm_mode_16_64 3
		.amdhsa_dx10_clamp 1
		.amdhsa_ieee_mode 1
		.amdhsa_fp16_overflow 0
		.amdhsa_tg_split 0
		.amdhsa_exception_fp_ieee_invalid_op 0
		.amdhsa_exception_fp_denorm_src 0
		.amdhsa_exception_fp_ieee_div_zero 0
		.amdhsa_exception_fp_ieee_overflow 0
		.amdhsa_exception_fp_ieee_underflow 0
		.amdhsa_exception_fp_ieee_inexact 0
		.amdhsa_exception_int_div_zero 0
	.end_amdhsa_kernel
	.section	.text._ZN5aiter35fused_qk_rmsnorm_group_quant_kernelIDF16_DB8_Li128ELi8ELi8ELb0ELb0ELb1ELb0ELb0ELb0EEEvPT0_PvPT_S6_S6_PKS5_S8_S8_S8_S8_ffiiiiiiiiiiiii,"axG",@progbits,_ZN5aiter35fused_qk_rmsnorm_group_quant_kernelIDF16_DB8_Li128ELi8ELi8ELb0ELb0ELb1ELb0ELb0ELb0EEEvPT0_PvPT_S6_S6_PKS5_S8_S8_S8_S8_ffiiiiiiiiiiiii,comdat
.Lfunc_end401:
	.size	_ZN5aiter35fused_qk_rmsnorm_group_quant_kernelIDF16_DB8_Li128ELi8ELi8ELb0ELb0ELb1ELb0ELb0ELb0EEEvPT0_PvPT_S6_S6_PKS5_S8_S8_S8_S8_ffiiiiiiiiiiiii, .Lfunc_end401-_ZN5aiter35fused_qk_rmsnorm_group_quant_kernelIDF16_DB8_Li128ELi8ELi8ELb0ELb0ELb1ELb0ELb0ELb0EEEvPT0_PvPT_S6_S6_PKS5_S8_S8_S8_S8_ffiiiiiiiiiiiii
                                        ; -- End function
	.section	.AMDGPU.csdata,"",@progbits
; Kernel info:
; codeLenInByte = 2512
; NumSgprs: 36
; NumVgprs: 23
; NumAgprs: 0
; TotalNumVgprs: 23
; ScratchSize: 0
; MemoryBound: 0
; FloatMode: 240
; IeeeMode: 1
; LDSByteSize: 16 bytes/workgroup (compile time only)
; SGPRBlocks: 4
; VGPRBlocks: 2
; NumSGPRsForWavesPerEU: 36
; NumVGPRsForWavesPerEU: 23
; AccumOffset: 24
; Occupancy: 8
; WaveLimiterHint : 0
; COMPUTE_PGM_RSRC2:SCRATCH_EN: 0
; COMPUTE_PGM_RSRC2:USER_SGPR: 6
; COMPUTE_PGM_RSRC2:TRAP_HANDLER: 0
; COMPUTE_PGM_RSRC2:TGID_X_EN: 1
; COMPUTE_PGM_RSRC2:TGID_Y_EN: 1
; COMPUTE_PGM_RSRC2:TGID_Z_EN: 0
; COMPUTE_PGM_RSRC2:TIDIG_COMP_CNT: 0
; COMPUTE_PGM_RSRC3_GFX90A:ACCUM_OFFSET: 5
; COMPUTE_PGM_RSRC3_GFX90A:TG_SPLIT: 0
	.section	.text._ZN5aiter35fused_qk_rmsnorm_group_quant_kernelItDB8_Li128ELi8ELi8ELb0ELb0ELb1ELb0ELb0ELb0EEEvPT0_PvPT_S6_S6_PKS5_S8_S8_S8_S8_ffiiiiiiiiiiiii,"axG",@progbits,_ZN5aiter35fused_qk_rmsnorm_group_quant_kernelItDB8_Li128ELi8ELi8ELb0ELb0ELb1ELb0ELb0ELb0EEEvPT0_PvPT_S6_S6_PKS5_S8_S8_S8_S8_ffiiiiiiiiiiiii,comdat
	.protected	_ZN5aiter35fused_qk_rmsnorm_group_quant_kernelItDB8_Li128ELi8ELi8ELb0ELb0ELb1ELb0ELb0ELb0EEEvPT0_PvPT_S6_S6_PKS5_S8_S8_S8_S8_ffiiiiiiiiiiiii ; -- Begin function _ZN5aiter35fused_qk_rmsnorm_group_quant_kernelItDB8_Li128ELi8ELi8ELb0ELb0ELb1ELb0ELb0ELb0EEEvPT0_PvPT_S6_S6_PKS5_S8_S8_S8_S8_ffiiiiiiiiiiiii
	.globl	_ZN5aiter35fused_qk_rmsnorm_group_quant_kernelItDB8_Li128ELi8ELi8ELb0ELb0ELb1ELb0ELb0ELb0EEEvPT0_PvPT_S6_S6_PKS5_S8_S8_S8_S8_ffiiiiiiiiiiiii
	.p2align	8
	.type	_ZN5aiter35fused_qk_rmsnorm_group_quant_kernelItDB8_Li128ELi8ELi8ELb0ELb0ELb1ELb0ELb0ELb0EEEvPT0_PvPT_S6_S6_PKS5_S8_S8_S8_S8_ffiiiiiiiiiiiii,@function
_ZN5aiter35fused_qk_rmsnorm_group_quant_kernelItDB8_Li128ELi8ELi8ELb0ELb0ELb1ELb0ELb0ELb0EEEvPT0_PvPT_S6_S6_PKS5_S8_S8_S8_S8_ffiiiiiiiiiiiii: ; @_ZN5aiter35fused_qk_rmsnorm_group_quant_kernelItDB8_Li128ELi8ELi8ELb0ELb0ELb1ELb0ELb0ELb0EEEvPT0_PvPT_S6_S6_PKS5_S8_S8_S8_S8_ffiiiiiiiiiiiii
; %bb.0:
	s_load_dwordx4 s[16:19], s[4:5], 0x50
	s_waitcnt lgkmcnt(0)
	s_cmp_ge_i32 s6, s18
	s_cbranch_scc1 .LBB402_10
; %bb.1:
	s_load_dwordx2 s[12:13], s[4:5], 0x48
	s_load_dwordx2 s[30:31], s[4:5], 0x30
	s_load_dwordx4 s[20:23], s[4:5], 0x60
	s_cmp_lg_u32 s7, 0
	s_cselect_b64 s[14:15], -1, 0
	s_cmp_eq_u32 s7, 0
	s_cselect_b64 vcc, -1, 0
	s_and_b64 s[0:1], vcc, exec
	s_waitcnt lgkmcnt(0)
	s_cselect_b32 s7, s19, s20
	s_add_i32 s0, s7, 1
	s_lshr_b32 s1, s0, 31
	s_add_i32 s0, s0, s1
	s_lshl_b32 s0, s0, 1
	v_lshlrev_b32_e32 v1, 3, v0
	s_and_b32 s10, s0, -4
	v_cmp_gt_i32_e64 s[2:3], s7, v1
	v_mov_b32_e32 v2, 0
	v_mov_b32_e32 v3, 0
	;; [unrolled: 1-line block ×8, first 2 shown]
	s_and_saveexec_b64 s[0:1], s[2:3]
	s_cbranch_execz .LBB402_3
; %bb.2:
	s_load_dwordx2 s[8:9], s[4:5], 0x28
	s_load_dwordx2 s[26:27], s[4:5], 0x40
	s_and_b64 s[24:25], vcc, exec
	s_cselect_b32 s11, s21, s22
	v_lshlrev_b32_e32 v10, 4, v0
	s_waitcnt lgkmcnt(0)
	s_cselect_b32 s18, s9, s31
	s_cselect_b32 s21, s8, s30
	s_mul_hi_i32 s9, s11, s6
	s_mul_i32 s8, s11, s6
	s_lshl_b64 s[8:9], s[8:9], 1
	s_add_u32 s24, s21, s8
	s_addc_u32 s18, s18, s9
	s_and_b64 s[8:9], vcc, exec
	s_mov_b32 s11, 0x20000
	s_cselect_b32 s8, s26, s12
	s_cselect_b32 s9, s27, s13
	s_and_b32 s25, s18, 0xffff
	s_mov_b32 s26, s10
	s_mov_b32 s27, s11
	s_and_b32 s9, s9, 0xffff
	buffer_load_dwordx4 v[6:9], v10, s[24:27], 0 offen glc slc
	buffer_load_dwordx4 v[2:5], v10, s[8:11], 0 offen
.LBB402_3:
	s_or_b64 exec, exec, s[0:1]
	s_waitcnt vmcnt(1)
	v_cvt_f32_u32_sdwa v13, v6 dst_sel:DWORD dst_unused:UNUSED_PAD src0_sel:WORD_1
	v_cvt_f32_u32_sdwa v12, v6 dst_sel:DWORD dst_unused:UNUSED_PAD src0_sel:WORD_0
	v_cvt_f32_u32_sdwa v6, v9 dst_sel:DWORD dst_unused:UNUSED_PAD src0_sel:WORD_1
	v_cvt_f32_u32_sdwa v9, v9 dst_sel:DWORD dst_unused:UNUSED_PAD src0_sel:WORD_0
	v_cvt_f32_u32_sdwa v14, v8 dst_sel:DWORD dst_unused:UNUSED_PAD src0_sel:WORD_1
	v_cvt_f32_u32_sdwa v10, v7 dst_sel:DWORD dst_unused:UNUSED_PAD src0_sel:WORD_0
	v_cvt_f32_u32_sdwa v11, v7 dst_sel:DWORD dst_unused:UNUSED_PAD src0_sel:WORD_1
	v_cvt_f32_u32_sdwa v8, v8 dst_sel:DWORD dst_unused:UNUSED_PAD src0_sel:WORD_0
	v_cndmask_b32_e64 v13, 0, v13, s[2:3]
	v_cndmask_b32_e64 v7, 0, v6, s[2:3]
	;; [unrolled: 1-line block ×5, first 2 shown]
	v_mul_f32_e32 v14, v13, v13
	v_cndmask_b32_e64 v10, 0, v10, s[2:3]
	v_fmac_f32_e32 v14, v12, v12
	v_cndmask_b32_e64 v11, 0, v11, s[2:3]
	v_fmac_f32_e32 v14, v10, v10
	;; [unrolled: 2-line block ×3, first 2 shown]
	v_fmac_f32_e32 v14, v8, v8
	v_fmac_f32_e32 v14, v9, v9
	;; [unrolled: 1-line block ×4, first 2 shown]
	v_and_b32_e32 v16, 63, v0
	v_cmp_eq_u32_e64 s[0:1], 63, v16
	v_mov_b32_dpp v15, v14 quad_perm:[1,0,3,2] row_mask:0xf bank_mask:0xf
	v_add_f32_e32 v14, v14, v15
	s_nop 1
	v_mov_b32_dpp v15, v14 quad_perm:[2,3,0,1] row_mask:0xf bank_mask:0xf
	v_add_f32_e32 v14, v14, v15
	s_nop 1
	v_mov_b32_dpp v15, v14 row_half_mirror row_mask:0xf bank_mask:0xf
	v_add_f32_e32 v14, v14, v15
	s_nop 1
	v_mov_b32_dpp v15, v14 row_mirror row_mask:0xf bank_mask:0xf
	v_add_f32_e32 v14, v14, v15
	s_nop 1
	v_mov_b32_dpp v15, v14 row_bcast:15 row_mask:0xf bank_mask:0xf
	v_add_f32_e32 v14, v14, v15
	s_nop 1
	v_mov_b32_dpp v15, v14 row_bcast:31 row_mask:0xf bank_mask:0xf
	s_and_saveexec_b64 s[8:9], s[0:1]
	s_cbranch_execz .LBB402_5
; %bb.4:
	v_add_f32_e32 v14, v14, v15
	v_lshrrev_b32_e32 v15, 4, v0
	v_and_b32_e32 v15, 60, v15
	ds_write_b32 v15, v14 offset:8
.LBB402_5:
	s_or_b64 exec, exec, s[8:9]
	v_and_b32_e32 v14, 1, v0
	v_lshlrev_b32_e32 v14, 2, v14
	s_waitcnt lgkmcnt(0)
	s_barrier
	ds_read_b32 v15, v14 offset:8
	s_load_dwordx2 s[28:29], s[4:5], 0x18
	s_waitcnt lgkmcnt(0)
	v_mov_b32_dpp v16, v15 quad_perm:[1,0,3,2] row_mask:0xf bank_mask:0xf
	s_and_saveexec_b64 s[8:9], s[2:3]
	s_cbranch_execz .LBB402_7
; %bb.6:
	v_cvt_f32_u32_e32 v17, s7
	v_add_f32_e32 v15, v15, v16
	v_mov_b32_e32 v19, s17
	v_mov_b32_e32 v20, s16
	v_div_scale_f32 v16, s[24:25], v17, v17, v15
	v_rcp_f32_e32 v18, v16
	v_cndmask_b32_e32 v19, v19, v20, vcc
	s_mov_b32 s7, 0x800000
	v_fma_f32 v20, -v16, v18, 1.0
	v_fmac_f32_e32 v18, v20, v18
	v_div_scale_f32 v20, vcc, v15, v17, v15
	v_mul_f32_e32 v21, v20, v18
	v_fma_f32 v22, -v16, v21, v20
	v_fmac_f32_e32 v21, v22, v18
	v_fma_f32 v16, -v16, v21, v20
	v_div_fmas_f32 v16, v16, v18, v21
	v_div_fixup_f32 v15, v16, v17, v15
	v_add_f32_e32 v15, v19, v15
	v_mul_f32_e32 v16, 0x4b800000, v15
	v_cmp_gt_f32_e32 vcc, s7, v15
	v_cndmask_b32_e32 v15, v15, v16, vcc
	v_rsq_f32_e32 v15, v15
	s_waitcnt vmcnt(0)
	v_cvt_f32_u32_sdwa v19, v2 dst_sel:DWORD dst_unused:UNUSED_PAD src0_sel:WORD_1
	v_cvt_f32_u32_sdwa v18, v2 dst_sel:DWORD dst_unused:UNUSED_PAD src0_sel:WORD_0
	v_cvt_f32_u32_sdwa v21, v3 dst_sel:DWORD dst_unused:UNUSED_PAD src0_sel:WORD_1
	v_mul_f32_e32 v16, 0x45800000, v15
	v_cndmask_b32_e32 v16, v15, v16, vcc
	v_mov_b32_e32 v17, v16
	;;#ASMSTART
	v_pk_mul_f32 v[12:13], v[12:13], v[16:17]
	;;#ASMEND
	;;#ASMSTART
	v_pk_mul_f32 v[10:11], v[10:11], v[16:17]
	;;#ASMEND
	;; [unrolled: 3-line block ×3, first 2 shown]
	v_cvt_f32_u32_sdwa v20, v3 dst_sel:DWORD dst_unused:UNUSED_PAD src0_sel:WORD_0
	;;#ASMSTART
	v_pk_mul_f32 v[2:3], v[6:7], v[16:17]
	;;#ASMEND
	v_cvt_f32_u32_sdwa v17, v4 dst_sel:DWORD dst_unused:UNUSED_PAD src0_sel:WORD_1
	v_cvt_f32_u32_sdwa v16, v4 dst_sel:DWORD dst_unused:UNUSED_PAD src0_sel:WORD_0
	v_pk_add_f32 v[6:7], v[18:19], 1.0 op_sel_hi:[1,0]
	v_cvt_f32_u32_sdwa v19, v5 dst_sel:DWORD dst_unused:UNUSED_PAD src0_sel:WORD_1
	v_cvt_f32_u32_sdwa v18, v5 dst_sel:DWORD dst_unused:UNUSED_PAD src0_sel:WORD_0
	;;#ASMSTART
	v_pk_mul_f32 v[12:13], v[12:13], v[6:7]
	;;#ASMEND
	v_pk_add_f32 v[6:7], v[20:21], 1.0 op_sel_hi:[1,0]
	v_pk_add_f32 v[4:5], v[16:17], 1.0 op_sel_hi:[1,0]
	;;#ASMSTART
	v_pk_mul_f32 v[10:11], v[10:11], v[6:7]
	;;#ASMEND
	;;#ASMSTART
	v_pk_mul_f32 v[8:9], v[8:9], v[4:5]
	;;#ASMEND
	v_pk_add_f32 v[4:5], v[18:19], 1.0 op_sel_hi:[1,0]
	;;#ASMSTART
	v_pk_mul_f32 v[6:7], v[2:3], v[4:5]
	;;#ASMEND
.LBB402_7:
	s_or_b64 exec, exec, s[8:9]
	s_load_dword s7, s[4:5], 0x80
	s_mov_b64 s[8:9], -1
	s_and_b64 vcc, exec, s[14:15]
	s_cbranch_vccnz .LBB402_11
; %bb.8:
	s_andn2_b64 vcc, exec, s[8:9]
	s_cbranch_vccz .LBB402_14
.LBB402_9:
	s_cmp_lt_i32 s20, 1
	s_cbranch_scc0 .LBB402_21
.LBB402_10:
	s_endpgm
.LBB402_11:
	s_and_saveexec_b64 s[14:15], s[2:3]
	s_cbranch_execz .LBB402_13
; %bb.12:
	s_waitcnt lgkmcnt(0)
	s_mul_hi_i32 s9, s7, s6
	s_mul_i32 s8, s7, s6
	s_lshl_b64 s[8:9], s[8:9], 1
	s_add_u32 s8, s28, s8
	s_addc_u32 s9, s29, s9
	s_mov_b32 s16, 0x7060302
	s_and_b32 s9, s9, 0xffff
	s_mov_b32 s11, 0x20000
	s_waitcnt vmcnt(0)
	v_perm_b32 v2, v13, v12, s16
	v_perm_b32 v3, v11, v10, s16
	v_perm_b32 v4, v9, v8, s16
	v_perm_b32 v5, v7, v6, s16
	v_lshlrev_b32_e32 v15, 4, v0
	buffer_store_dwordx4 v[2:5], v15, s[8:11], 0 offen
	;;#ASMSTART
	s_nop 0
	;;#ASMEND
.LBB402_13:
	s_or_b64 exec, exec, s[14:15]
	s_cbranch_execnz .LBB402_9
.LBB402_14:
	s_waitcnt vmcnt(0)
	v_mov_b32_e32 v2, 0
	s_and_saveexec_b64 s[8:9], s[2:3]
	s_cbranch_execz .LBB402_16
; %bb.15:
	v_and_b32_e32 v2, 0x7fffffff, v12
	v_and_b32_e32 v3, 0x7fffffff, v13
	v_mov_b32_e32 v4, 0x2edbe6ff
	;;#ASMSTART
	v_max3_f32 v2, v4, v2, v3

	;;#ASMEND
	v_and_b32_e32 v3, 0x7fffffff, v10
	v_and_b32_e32 v4, 0x7fffffff, v11
	;;#ASMSTART
	v_max3_f32 v2, v2, v3, v4

	;;#ASMEND
	v_and_b32_e32 v3, 0x7fffffff, v8
	v_and_b32_e32 v4, 0x7fffffff, v9
	;; [unrolled: 6-line block ×3, first 2 shown]
	;;#ASMSTART
	v_max3_f32 v2, v2, v3, v4

	;;#ASMEND
.LBB402_16:
	s_or_b64 exec, exec, s[8:9]
	s_load_dwordx4 s[24:27], s[4:5], 0x70
	;;#ASMSTART
	v_max_f32 v3, v2, v2 quad_perm:[1,0,3,2] row_mask:0xf bank_mask:0xf bound_ctrl:1
	;;#ASMEND
	;;#ASMSTART
	v_max_f32 v2, v3, v3 quad_perm:[2,3,0,1] row_mask:0xf bank_mask:0xf bound_ctrl:1
	;;#ASMEND
	;;#ASMSTART
	v_max_f32 v3, v2, v2 row_half_mirror row_mask:0xf bank_mask:0xf bound_ctrl:1
	;;#ASMEND
	v_mul_f32_e32 v2, 0x3b124925, v3
	v_and_b32_e32 v3, 7, v0
	v_cmp_eq_u32_e32 vcc, 0, v3
	v_cmp_gt_i32_e64 s[8:9], s19, v1
	s_and_b64 s[10:11], vcc, s[8:9]
	s_and_saveexec_b64 s[8:9], s[10:11]
	s_cbranch_execz .LBB402_18
; %bb.17:
	s_load_dwordx2 s[10:11], s[4:5], 0x8
	s_waitcnt lgkmcnt(0)
	s_mul_hi_i32 s15, s25, s6
	s_mul_i32 s14, s25, s6
	v_lshrrev_b32_e32 v3, 3, v0
	s_lshl_b64 s[14:15], s[14:15], 2
	v_mad_i64_i32 v[4:5], s[26:27], s26, v3, 0
	s_add_u32 s10, s10, s14
	s_addc_u32 s11, s11, s15
	v_lshlrev_b64 v[4:5], 2, v[4:5]
	v_mov_b32_e32 v3, s11
	v_add_co_u32_e32 v4, vcc, s10, v4
	v_addc_co_u32_e32 v5, vcc, v3, v5, vcc
	global_store_dword v[4:5], v2, off
.LBB402_18:
	s_or_b64 exec, exec, s[8:9]
	;;#ASMSTART
	v_rcp_f32 v2, v2
	;;#ASMEND
	s_and_saveexec_b64 s[14:15], s[2:3]
	s_cbranch_execz .LBB402_20
; %bb.19:
	s_load_dwordx2 s[2:3], s[4:5], 0x0
	s_waitcnt lgkmcnt(0)
	s_mul_i32 s8, s24, s6
	s_mul_hi_i32 s9, s24, s6
	v_mov_b32_e32 v3, v2
	;;#ASMSTART
	v_pk_mul_f32 v[4:5], v[12:13], v[2:3]
	;;#ASMEND
	s_add_u32 s8, s2, s8
	s_addc_u32 s2, s3, s9
	s_add_i32 s3, s19, 3
	s_ashr_i32 s9, s3, 31
	v_mov_b32_e32 v12, 0xc3e00000
	v_mov_b32_e32 v13, 0x43e00000
	;;#ASMSTART
	v_med3_f32 v4, v4, v12, v13
v_med3_f32 v5, v5, v12, v13
v_cvt_pk_fp8_f32 v15, v4, v5
	;;#ASMEND
	s_lshr_b32 s9, s9, 30
	;;#ASMSTART
	v_pk_mul_f32 v[4:5], v[10:11], v[2:3]
	;;#ASMEND
	s_add_i32 s3, s3, s9
	s_and_b32 s9, s2, 0xffff
	;;#ASMSTART
	v_med3_f32 v4, v4, v12, v13
v_med3_f32 v5, v5, v12, v13
v_cvt_pk_fp8_f32 v10, v4, v5
	;;#ASMEND
	s_mov_b32 s2, 0x5040100
	v_perm_b32 v5, v10, v15, s2
	s_movk_i32 s2, 0xff
	v_and_b32_e32 v4, 0xffffff00, v10
	v_and_b32_sdwa v10, v5, s2 dst_sel:DWORD dst_unused:UNUSED_PAD src0_sel:WORD_1 src1_sel:DWORD
	s_mov_b32 s16, 0xffff
	v_or_b32_sdwa v4, v10, v4 dst_sel:WORD_1 dst_unused:UNUSED_PAD src0_sel:DWORD src1_sel:DWORD
	v_and_or_b32 v4, v5, s16, v4
	;;#ASMSTART
	v_pk_mul_f32 v[8:9], v[8:9], v[2:3]
	;;#ASMEND
	v_mov_b32_e32 v5, v9
	;;#ASMSTART
	v_med3_f32 v8, v8, v12, v13
v_med3_f32 v5, v5, v12, v13
v_cvt_pk_fp8_f32 v9, v8, v5
	;;#ASMEND
	;;#ASMSTART
	v_pk_mul_f32 v[2:3], v[6:7], v[2:3]
	;;#ASMEND
	;;#ASMSTART
	v_med3_f32 v2, v2, v12, v13
v_med3_f32 v3, v3, v12, v13
v_cvt_pk_fp8_f32 v5, v2, v3
	;;#ASMEND
	v_lshlrev_b32_e32 v2, 16, v5
	s_and_b32 s10, s3, -4
	s_mov_b32 s11, 0x20000
	v_and_or_b32 v5, v9, s16, v2
	buffer_store_dwordx2 v[4:5], v1, s[8:11], 0 offen
	;;#ASMSTART
	s_nop 0
	;;#ASMEND
.LBB402_20:
	s_or_b64 exec, exec, s[14:15]
	s_cmp_lt_i32 s20, 1
	s_cbranch_scc1 .LBB402_10
.LBB402_21:
	s_load_dword s2, s[4:5], 0x94
	s_waitcnt lgkmcnt(0)
	s_cmp_lg_u32 s2, 1
	s_cbranch_scc1 .LBB402_10
; %bb.22:
	s_lshl_b32 s2, s20, 1
	s_add_i32 s2, s2, 2
	v_cmp_gt_u32_e32 vcc, s20, v1
	s_and_b32 s14, s2, -4
	v_mov_b32_e32 v6, 0
	v_lshlrev_b32_e32 v1, 4, v0
	v_mov_b32_e32 v7, 0
	v_mov_b32_e32 v8, 0
	;; [unrolled: 1-line block ×3, first 2 shown]
	s_waitcnt vmcnt(0)
	v_mov_b32_e32 v2, 0
	v_mov_b32_e32 v3, 0
	;; [unrolled: 1-line block ×4, first 2 shown]
	s_barrier
	s_and_saveexec_b64 s[2:3], vcc
	s_cbranch_execz .LBB402_24
; %bb.23:
	s_mul_hi_i32 s5, s22, s6
	s_mul_i32 s4, s22, s6
	s_and_b32 s13, s13, 0xffff
	s_lshl_b64 s[4:5], s[4:5], 1
	s_add_u32 s8, s30, s4
	s_mov_b32 s15, 0x20000
	s_addc_u32 s4, s31, s5
	s_and_b32 s9, s4, 0xffff
	s_mov_b32 s10, s14
	s_mov_b32 s11, s15
	buffer_load_dwordx4 v[6:9], v1, s[8:11], 0 offen glc slc
	buffer_load_dwordx4 v[2:5], v1, s[12:15], 0 offen
.LBB402_24:
	s_or_b64 exec, exec, s[2:3]
	s_waitcnt vmcnt(1)
	v_cvt_f32_u32_sdwa v13, v6 dst_sel:DWORD dst_unused:UNUSED_PAD src0_sel:WORD_1
	v_cvt_f32_u32_sdwa v12, v6 dst_sel:DWORD dst_unused:UNUSED_PAD src0_sel:WORD_0
	v_cvt_f32_u32_sdwa v6, v9 dst_sel:DWORD dst_unused:UNUSED_PAD src0_sel:WORD_1
	v_cvt_f32_u32_sdwa v9, v9 dst_sel:DWORD dst_unused:UNUSED_PAD src0_sel:WORD_0
	;; [unrolled: 2-line block ×4, first 2 shown]
	v_cndmask_b32_e32 v13, 0, v13, vcc
	v_cndmask_b32_e32 v7, 0, v6, vcc
	;; [unrolled: 1-line block ×5, first 2 shown]
	v_mul_f32_e32 v15, v13, v13
	v_cndmask_b32_e32 v10, 0, v10, vcc
	v_fmac_f32_e32 v15, v12, v12
	v_cndmask_b32_e32 v11, 0, v11, vcc
	v_fmac_f32_e32 v15, v10, v10
	;; [unrolled: 2-line block ×3, first 2 shown]
	v_fmac_f32_e32 v15, v8, v8
	v_fmac_f32_e32 v15, v9, v9
	;; [unrolled: 1-line block ×4, first 2 shown]
	s_nop 1
	v_mov_b32_dpp v16, v15 quad_perm:[1,0,3,2] row_mask:0xf bank_mask:0xf
	v_add_f32_e32 v15, v15, v16
	s_nop 1
	v_mov_b32_dpp v16, v15 quad_perm:[2,3,0,1] row_mask:0xf bank_mask:0xf
	v_add_f32_e32 v15, v15, v16
	s_nop 1
	v_mov_b32_dpp v16, v15 row_half_mirror row_mask:0xf bank_mask:0xf
	v_add_f32_e32 v15, v15, v16
	s_nop 1
	v_mov_b32_dpp v16, v15 row_mirror row_mask:0xf bank_mask:0xf
	v_add_f32_e32 v15, v15, v16
	s_nop 1
	v_mov_b32_dpp v16, v15 row_bcast:15 row_mask:0xf bank_mask:0xf
	v_add_f32_e32 v15, v15, v16
	s_nop 1
	v_mov_b32_dpp v16, v15 row_bcast:31 row_mask:0xf bank_mask:0xf
	s_and_saveexec_b64 s[2:3], s[0:1]
	s_cbranch_execz .LBB402_26
; %bb.25:
	v_lshrrev_b32_e32 v0, 4, v0
	v_add_f32_e32 v15, v15, v16
	v_and_b32_e32 v0, 60, v0
	ds_write_b32 v0, v15
.LBB402_26:
	s_or_b64 exec, exec, s[2:3]
	s_waitcnt lgkmcnt(0)
	s_barrier
	ds_read_b32 v0, v14
	s_waitcnt lgkmcnt(0)
	s_nop 0
	v_mov_b32_dpp v14, v0 quad_perm:[1,0,3,2] row_mask:0xf bank_mask:0xf
	s_and_saveexec_b64 s[0:1], vcc
	s_cbranch_execz .LBB402_10
; %bb.27:
	v_cvt_f32_u32_e32 v15, s20
	v_add_f32_e32 v0, v0, v14
	s_mov_b32 s15, 0x20000
	v_div_scale_f32 v14, s[0:1], v15, v15, v0
	v_rcp_f32_e32 v16, v14
	v_div_scale_f32 v17, vcc, v0, v15, v0
	s_mov_b32 s0, 0x800000
	v_fma_f32 v18, -v14, v16, 1.0
	v_fmac_f32_e32 v16, v18, v16
	v_mul_f32_e32 v18, v17, v16
	v_fma_f32 v19, -v14, v18, v17
	v_fmac_f32_e32 v18, v19, v16
	v_fma_f32 v14, -v14, v18, v17
	v_div_fmas_f32 v14, v14, v16, v18
	v_div_fixup_f32 v0, v14, v15, v0
	v_add_f32_e32 v0, s17, v0
	v_mul_f32_e32 v14, 0x4b800000, v0
	v_cmp_gt_f32_e32 vcc, s0, v0
	v_cndmask_b32_e32 v0, v0, v14, vcc
	v_rsq_f32_e32 v0, v0
	s_waitcnt vmcnt(0)
	v_cvt_f32_u32_sdwa v17, v2 dst_sel:DWORD dst_unused:UNUSED_PAD src0_sel:WORD_1
	v_cvt_f32_u32_sdwa v16, v2 dst_sel:DWORD dst_unused:UNUSED_PAD src0_sel:WORD_0
	v_cvt_f32_u32_sdwa v19, v3 dst_sel:DWORD dst_unused:UNUSED_PAD src0_sel:WORD_1
	v_mul_f32_e32 v14, 0x45800000, v0
	v_cndmask_b32_e32 v14, v0, v14, vcc
	v_mov_b32_e32 v15, v14
	;;#ASMSTART
	v_pk_mul_f32 v[12:13], v[12:13], v[14:15]
	;;#ASMEND
	;;#ASMSTART
	v_pk_mul_f32 v[10:11], v[10:11], v[14:15]
	;;#ASMEND
	;; [unrolled: 3-line block ×3, first 2 shown]
	v_cvt_f32_u32_sdwa v18, v3 dst_sel:DWORD dst_unused:UNUSED_PAD src0_sel:WORD_0
	;;#ASMSTART
	v_pk_mul_f32 v[2:3], v[6:7], v[14:15]
	;;#ASMEND
	v_cvt_f32_u32_sdwa v15, v4 dst_sel:DWORD dst_unused:UNUSED_PAD src0_sel:WORD_1
	v_cvt_f32_u32_sdwa v14, v4 dst_sel:DWORD dst_unused:UNUSED_PAD src0_sel:WORD_0
	v_pk_add_f32 v[6:7], v[16:17], 1.0 op_sel_hi:[1,0]
	v_cvt_f32_u32_sdwa v17, v5 dst_sel:DWORD dst_unused:UNUSED_PAD src0_sel:WORD_1
	v_cvt_f32_u32_sdwa v16, v5 dst_sel:DWORD dst_unused:UNUSED_PAD src0_sel:WORD_0
	s_mul_hi_i32 s1, s7, s6
	s_mul_i32 s0, s7, s6
	s_lshl_b64 s[0:1], s[0:1], 1
	s_add_u32 s12, s28, s0
	;;#ASMSTART
	v_pk_mul_f32 v[6:7], v[12:13], v[6:7]
	;;#ASMEND
	v_pk_add_f32 v[12:13], v[18:19], 1.0 op_sel_hi:[1,0]
	;;#ASMSTART
	v_pk_mul_f32 v[4:5], v[10:11], v[12:13]
	;;#ASMEND
	v_pk_add_f32 v[10:11], v[14:15], 1.0 op_sel_hi:[1,0]
	s_addc_u32 s0, s29, s1
	;;#ASMSTART
	v_pk_mul_f32 v[8:9], v[8:9], v[10:11]
	;;#ASMEND
	v_pk_add_f32 v[10:11], v[16:17], 1.0 op_sel_hi:[1,0]
	s_and_b32 s13, s0, 0xffff
	s_mov_b32 s0, 0x7060302
	;;#ASMSTART
	v_pk_mul_f32 v[10:11], v[2:3], v[10:11]
	;;#ASMEND
	v_perm_b32 v2, v7, v6, s0
	v_perm_b32 v3, v5, v4, s0
	;; [unrolled: 1-line block ×4, first 2 shown]
	buffer_store_dwordx4 v[2:5], v1, s[12:15], 0 offen
	;;#ASMSTART
	s_nop 0
	;;#ASMEND
	s_endpgm
	.section	.rodata,"a",@progbits
	.p2align	6, 0x0
	.amdhsa_kernel _ZN5aiter35fused_qk_rmsnorm_group_quant_kernelItDB8_Li128ELi8ELi8ELb0ELb0ELb1ELb0ELb0ELb0EEEvPT0_PvPT_S6_S6_PKS5_S8_S8_S8_S8_ffiiiiiiiiiiiii
		.amdhsa_group_segment_fixed_size 16
		.amdhsa_private_segment_fixed_size 0
		.amdhsa_kernarg_size 400
		.amdhsa_user_sgpr_count 6
		.amdhsa_user_sgpr_private_segment_buffer 1
		.amdhsa_user_sgpr_dispatch_ptr 0
		.amdhsa_user_sgpr_queue_ptr 0
		.amdhsa_user_sgpr_kernarg_segment_ptr 1
		.amdhsa_user_sgpr_dispatch_id 0
		.amdhsa_user_sgpr_flat_scratch_init 0
		.amdhsa_user_sgpr_kernarg_preload_length 0
		.amdhsa_user_sgpr_kernarg_preload_offset 0
		.amdhsa_user_sgpr_private_segment_size 0
		.amdhsa_uses_dynamic_stack 0
		.amdhsa_system_sgpr_private_segment_wavefront_offset 0
		.amdhsa_system_sgpr_workgroup_id_x 1
		.amdhsa_system_sgpr_workgroup_id_y 1
		.amdhsa_system_sgpr_workgroup_id_z 0
		.amdhsa_system_sgpr_workgroup_info 0
		.amdhsa_system_vgpr_workitem_id 0
		.amdhsa_next_free_vgpr 23
		.amdhsa_next_free_sgpr 32
		.amdhsa_accum_offset 24
		.amdhsa_reserve_vcc 1
		.amdhsa_reserve_flat_scratch 0
		.amdhsa_float_round_mode_32 0
		.amdhsa_float_round_mode_16_64 0
		.amdhsa_float_denorm_mode_32 3
		.amdhsa_float_denorm_mode_16_64 3
		.amdhsa_dx10_clamp 1
		.amdhsa_ieee_mode 1
		.amdhsa_fp16_overflow 0
		.amdhsa_tg_split 0
		.amdhsa_exception_fp_ieee_invalid_op 0
		.amdhsa_exception_fp_denorm_src 0
		.amdhsa_exception_fp_ieee_div_zero 0
		.amdhsa_exception_fp_ieee_overflow 0
		.amdhsa_exception_fp_ieee_underflow 0
		.amdhsa_exception_fp_ieee_inexact 0
		.amdhsa_exception_int_div_zero 0
	.end_amdhsa_kernel
	.section	.text._ZN5aiter35fused_qk_rmsnorm_group_quant_kernelItDB8_Li128ELi8ELi8ELb0ELb0ELb1ELb0ELb0ELb0EEEvPT0_PvPT_S6_S6_PKS5_S8_S8_S8_S8_ffiiiiiiiiiiiii,"axG",@progbits,_ZN5aiter35fused_qk_rmsnorm_group_quant_kernelItDB8_Li128ELi8ELi8ELb0ELb0ELb1ELb0ELb0ELb0EEEvPT0_PvPT_S6_S6_PKS5_S8_S8_S8_S8_ffiiiiiiiiiiiii,comdat
.Lfunc_end402:
	.size	_ZN5aiter35fused_qk_rmsnorm_group_quant_kernelItDB8_Li128ELi8ELi8ELb0ELb0ELb1ELb0ELb0ELb0EEEvPT0_PvPT_S6_S6_PKS5_S8_S8_S8_S8_ffiiiiiiiiiiiii, .Lfunc_end402-_ZN5aiter35fused_qk_rmsnorm_group_quant_kernelItDB8_Li128ELi8ELi8ELb0ELb0ELb1ELb0ELb0ELb0EEEvPT0_PvPT_S6_S6_PKS5_S8_S8_S8_S8_ffiiiiiiiiiiiii
                                        ; -- End function
	.section	.AMDGPU.csdata,"",@progbits
; Kernel info:
; codeLenInByte = 2528
; NumSgprs: 36
; NumVgprs: 23
; NumAgprs: 0
; TotalNumVgprs: 23
; ScratchSize: 0
; MemoryBound: 0
; FloatMode: 240
; IeeeMode: 1
; LDSByteSize: 16 bytes/workgroup (compile time only)
; SGPRBlocks: 4
; VGPRBlocks: 2
; NumSGPRsForWavesPerEU: 36
; NumVGPRsForWavesPerEU: 23
; AccumOffset: 24
; Occupancy: 8
; WaveLimiterHint : 0
; COMPUTE_PGM_RSRC2:SCRATCH_EN: 0
; COMPUTE_PGM_RSRC2:USER_SGPR: 6
; COMPUTE_PGM_RSRC2:TRAP_HANDLER: 0
; COMPUTE_PGM_RSRC2:TGID_X_EN: 1
; COMPUTE_PGM_RSRC2:TGID_Y_EN: 1
; COMPUTE_PGM_RSRC2:TGID_Z_EN: 0
; COMPUTE_PGM_RSRC2:TIDIG_COMP_CNT: 0
; COMPUTE_PGM_RSRC3_GFX90A:ACCUM_OFFSET: 5
; COMPUTE_PGM_RSRC3_GFX90A:TG_SPLIT: 0
	.section	.text._ZN5aiter35fused_qk_rmsnorm_group_quant_kernelIDF16_N4opus5fp4_tELi128ELi8ELi8ELb0ELb0ELb1ELb0ELb0ELb0EEEvPT0_PvPT_S7_S7_PKS6_S9_S9_S9_S9_ffiiiiiiiiiiiii,"axG",@progbits,_ZN5aiter35fused_qk_rmsnorm_group_quant_kernelIDF16_N4opus5fp4_tELi128ELi8ELi8ELb0ELb0ELb1ELb0ELb0ELb0EEEvPT0_PvPT_S7_S7_PKS6_S9_S9_S9_S9_ffiiiiiiiiiiiii,comdat
	.protected	_ZN5aiter35fused_qk_rmsnorm_group_quant_kernelIDF16_N4opus5fp4_tELi128ELi8ELi8ELb0ELb0ELb1ELb0ELb0ELb0EEEvPT0_PvPT_S7_S7_PKS6_S9_S9_S9_S9_ffiiiiiiiiiiiii ; -- Begin function _ZN5aiter35fused_qk_rmsnorm_group_quant_kernelIDF16_N4opus5fp4_tELi128ELi8ELi8ELb0ELb0ELb1ELb0ELb0ELb0EEEvPT0_PvPT_S7_S7_PKS6_S9_S9_S9_S9_ffiiiiiiiiiiiii
	.globl	_ZN5aiter35fused_qk_rmsnorm_group_quant_kernelIDF16_N4opus5fp4_tELi128ELi8ELi8ELb0ELb0ELb1ELb0ELb0ELb0EEEvPT0_PvPT_S7_S7_PKS6_S9_S9_S9_S9_ffiiiiiiiiiiiii
	.p2align	8
	.type	_ZN5aiter35fused_qk_rmsnorm_group_quant_kernelIDF16_N4opus5fp4_tELi128ELi8ELi8ELb0ELb0ELb1ELb0ELb0ELb0EEEvPT0_PvPT_S7_S7_PKS6_S9_S9_S9_S9_ffiiiiiiiiiiiii,@function
_ZN5aiter35fused_qk_rmsnorm_group_quant_kernelIDF16_N4opus5fp4_tELi128ELi8ELi8ELb0ELb0ELb1ELb0ELb0ELb0EEEvPT0_PvPT_S7_S7_PKS6_S9_S9_S9_S9_ffiiiiiiiiiiiii: ; @_ZN5aiter35fused_qk_rmsnorm_group_quant_kernelIDF16_N4opus5fp4_tELi128ELi8ELi8ELb0ELb0ELb1ELb0ELb0ELb0EEEvPT0_PvPT_S7_S7_PKS6_S9_S9_S9_S9_ffiiiiiiiiiiiii
; %bb.0:
	s_load_dwordx4 s[16:19], s[4:5], 0x50
	s_waitcnt lgkmcnt(0)
	s_cmp_ge_i32 s6, s18
	s_cbranch_scc1 .LBB403_12
; %bb.1:
	s_load_dwordx2 s[12:13], s[4:5], 0x48
	s_load_dwordx2 s[30:31], s[4:5], 0x30
	s_load_dwordx4 s[20:23], s[4:5], 0x60
	s_cmp_lg_u32 s7, 0
	s_cselect_b64 s[14:15], -1, 0
	s_cmp_eq_u32 s7, 0
	s_cselect_b64 vcc, -1, 0
	s_and_b64 s[0:1], vcc, exec
	s_waitcnt lgkmcnt(0)
	s_cselect_b32 s7, s19, s20
	s_add_i32 s0, s7, 1
	s_lshr_b32 s1, s0, 31
	s_add_i32 s0, s0, s1
	s_lshl_b32 s0, s0, 1
	v_lshlrev_b32_e32 v1, 3, v0
	s_and_b32 s10, s0, -4
	v_cmp_gt_i32_e64 s[2:3], s7, v1
	v_mov_b32_e32 v10, 0
	v_mov_b32_e32 v2, 0
	;; [unrolled: 1-line block ×9, first 2 shown]
	s_and_saveexec_b64 s[0:1], s[2:3]
	s_cbranch_execz .LBB403_3
; %bb.2:
	s_load_dwordx2 s[8:9], s[4:5], 0x28
	s_load_dwordx2 s[26:27], s[4:5], 0x40
	s_and_b64 s[24:25], vcc, exec
	s_cselect_b32 s11, s21, s22
	v_lshlrev_b32_e32 v11, 4, v0
	s_waitcnt lgkmcnt(0)
	s_cselect_b32 s18, s9, s31
	s_cselect_b32 s21, s8, s30
	s_mul_hi_i32 s9, s11, s6
	s_mul_i32 s8, s11, s6
	s_lshl_b64 s[8:9], s[8:9], 1
	s_add_u32 s24, s21, s8
	s_addc_u32 s18, s18, s9
	s_and_b64 s[8:9], vcc, exec
	s_mov_b32 s11, 0x20000
	s_cselect_b32 s8, s26, s12
	s_cselect_b32 s9, s27, s13
	s_and_b32 s25, s18, 0xffff
	s_mov_b32 s26, s10
	s_mov_b32 s27, s11
	s_and_b32 s9, s9, 0xffff
	buffer_load_dwordx4 v[6:9], v11, s[24:27], 0 offen glc slc
	buffer_load_dwordx4 v[2:5], v11, s[8:11], 0 offen
.LBB403_3:
	s_or_b64 exec, exec, s[0:1]
	v_mov_b32_e32 v11, 0
	v_mov_b32_e32 v16, 0
	;; [unrolled: 1-line block ×7, first 2 shown]
	s_and_saveexec_b64 s[0:1], s[2:3]
	s_cbranch_execz .LBB403_5
; %bb.4:
	s_waitcnt vmcnt(1)
	v_cvt_f32_f16_sdwa v11, v6 dst_sel:DWORD dst_unused:UNUSED_PAD src0_sel:WORD_1
	v_cvt_f32_f16_e32 v10, v6
	v_cvt_f32_f16_sdwa v17, v7 dst_sel:DWORD dst_unused:UNUSED_PAD src0_sel:WORD_1
	v_cvt_f32_f16_e32 v16, v7
	;; [unrolled: 2-line block ×4, first 2 shown]
.LBB403_5:
	s_or_b64 exec, exec, s[0:1]
	s_waitcnt vmcnt(1)
	v_mul_f32_e32 v6, v11, v11
	v_fmac_f32_e32 v6, v10, v10
	v_fmac_f32_e32 v6, v16, v16
	;; [unrolled: 1-line block ×7, first 2 shown]
	v_and_b32_e32 v8, 63, v0
	v_cmp_eq_u32_e64 s[0:1], 63, v8
	v_mov_b32_dpp v7, v6 quad_perm:[1,0,3,2] row_mask:0xf bank_mask:0xf
	v_add_f32_e32 v6, v6, v7
	s_nop 1
	v_mov_b32_dpp v7, v6 quad_perm:[2,3,0,1] row_mask:0xf bank_mask:0xf
	v_add_f32_e32 v6, v6, v7
	s_nop 1
	v_mov_b32_dpp v7, v6 row_half_mirror row_mask:0xf bank_mask:0xf
	v_add_f32_e32 v6, v6, v7
	s_nop 1
	v_mov_b32_dpp v7, v6 row_mirror row_mask:0xf bank_mask:0xf
	v_add_f32_e32 v6, v6, v7
	s_nop 1
	v_mov_b32_dpp v7, v6 row_bcast:15 row_mask:0xf bank_mask:0xf
	v_add_f32_e32 v6, v6, v7
	s_nop 1
	v_mov_b32_dpp v7, v6 row_bcast:31 row_mask:0xf bank_mask:0xf
	s_and_saveexec_b64 s[8:9], s[0:1]
	s_cbranch_execz .LBB403_7
; %bb.6:
	v_add_f32_e32 v6, v6, v7
	v_lshrrev_b32_e32 v7, 4, v0
	v_and_b32_e32 v7, 60, v7
	ds_write_b32 v7, v6 offset:8
.LBB403_7:
	s_or_b64 exec, exec, s[8:9]
	v_and_b32_e32 v6, 1, v0
	v_lshlrev_b32_e32 v18, 2, v6
	s_waitcnt lgkmcnt(0)
	s_barrier
	ds_read_b32 v6, v18 offset:8
	s_load_dwordx2 s[28:29], s[4:5], 0x18
	s_waitcnt lgkmcnt(0)
	v_mov_b32_dpp v7, v6 quad_perm:[1,0,3,2] row_mask:0xf bank_mask:0xf
	s_and_saveexec_b64 s[8:9], s[2:3]
	s_cbranch_execz .LBB403_9
; %bb.8:
	v_cvt_f32_u32_e32 v8, s7
	v_add_f32_e32 v6, v6, v7
	v_mov_b32_e32 v19, s17
	v_mov_b32_e32 v20, s16
	v_div_scale_f32 v7, s[24:25], v8, v8, v6
	v_rcp_f32_e32 v9, v7
	v_cndmask_b32_e32 v19, v19, v20, vcc
	s_mov_b32 s7, 0x800000
	v_fma_f32 v20, -v7, v9, 1.0
	v_fmac_f32_e32 v9, v20, v9
	v_div_scale_f32 v20, vcc, v6, v8, v6
	v_mul_f32_e32 v21, v20, v9
	v_fma_f32 v22, -v7, v21, v20
	v_fmac_f32_e32 v21, v22, v9
	v_fma_f32 v7, -v7, v21, v20
	v_div_fmas_f32 v7, v7, v9, v21
	v_div_fixup_f32 v6, v7, v8, v6
	v_add_f32_e32 v6, v19, v6
	v_mul_f32_e32 v7, 0x4b800000, v6
	v_cmp_gt_f32_e32 vcc, s7, v6
	v_cndmask_b32_e32 v6, v6, v7, vcc
	v_rsq_f32_e32 v6, v6
	s_waitcnt vmcnt(0)
	v_cvt_f32_f16_sdwa v21, v3 dst_sel:DWORD dst_unused:UNUSED_PAD src0_sel:WORD_1
	v_cvt_f32_f16_e32 v20, v3
	v_mul_f32_e32 v7, 0x45800000, v6
	v_cndmask_b32_e32 v6, v6, v7, vcc
	v_mov_b32_e32 v7, v6
	;;#ASMSTART
	v_pk_mul_f32 v[8:9], v[10:11], v[6:7]
	;;#ASMEND
	v_cvt_f32_f16_sdwa v11, v2 dst_sel:DWORD dst_unused:UNUSED_PAD src0_sel:WORD_1
	v_cvt_f32_f16_e32 v10, v2
	;;#ASMSTART
	v_pk_mul_f32 v[16:17], v[16:17], v[6:7]
	;;#ASMEND
	;;#ASMSTART
	v_pk_mul_f32 v[14:15], v[14:15], v[6:7]
	;;#ASMEND
	;; [unrolled: 3-line block ×3, first 2 shown]
	v_pk_add_f32 v[6:7], v[10:11], 1.0 op_sel_hi:[1,0]
	;;#ASMSTART
	v_pk_mul_f32 v[10:11], v[8:9], v[6:7]
	;;#ASMEND
	v_cvt_f32_f16_sdwa v9, v4 dst_sel:DWORD dst_unused:UNUSED_PAD src0_sel:WORD_1
	v_cvt_f32_f16_e32 v8, v4
	v_cvt_f32_f16_sdwa v13, v5 dst_sel:DWORD dst_unused:UNUSED_PAD src0_sel:WORD_1
	v_cvt_f32_f16_e32 v12, v5
	v_pk_add_f32 v[6:7], v[20:21], 1.0 op_sel_hi:[1,0]
	v_pk_add_f32 v[4:5], v[8:9], 1.0 op_sel_hi:[1,0]
	;;#ASMSTART
	v_pk_mul_f32 v[16:17], v[16:17], v[6:7]
	;;#ASMEND
	;;#ASMSTART
	v_pk_mul_f32 v[14:15], v[14:15], v[4:5]
	;;#ASMEND
	v_pk_add_f32 v[4:5], v[12:13], 1.0 op_sel_hi:[1,0]
	;;#ASMSTART
	v_pk_mul_f32 v[12:13], v[2:3], v[4:5]
	;;#ASMEND
.LBB403_9:
	s_or_b64 exec, exec, s[8:9]
	s_load_dword s7, s[4:5], 0x80
	s_mov_b64 s[8:9], -1
	s_and_b64 vcc, exec, s[14:15]
	s_cbranch_vccnz .LBB403_13
; %bb.10:
	s_andn2_b64 vcc, exec, s[8:9]
	s_cbranch_vccz .LBB403_16
.LBB403_11:
	s_cmp_lt_i32 s20, 1
	s_cbranch_scc0 .LBB403_23
.LBB403_12:
	s_endpgm
.LBB403_13:
	s_and_saveexec_b64 s[14:15], s[2:3]
	s_cbranch_execz .LBB403_15
; %bb.14:
	s_waitcnt lgkmcnt(0)
	s_mul_hi_i32 s9, s7, s6
	s_mul_i32 s8, s7, s6
	s_waitcnt vmcnt(0)
	v_cvt_f16_f32_e32 v2, v10
	v_cvt_f16_f32_e32 v3, v16
	;; [unrolled: 1-line block ×8, first 2 shown]
	s_lshl_b64 s[8:9], s[8:9], 1
	s_add_u32 s8, s28, s8
	s_addc_u32 s9, s29, s9
	s_and_b32 s9, s9, 0xffff
	s_mov_b32 s11, 0x20000
	v_pack_b32_f16 v5, v5, v6
	v_pack_b32_f16 v4, v4, v7
	;; [unrolled: 1-line block ×4, first 2 shown]
	v_lshlrev_b32_e32 v6, 4, v0
	buffer_store_dwordx4 v[2:5], v6, s[8:11], 0 offen
	;;#ASMSTART
	s_nop 0
	;;#ASMEND
.LBB403_15:
	s_or_b64 exec, exec, s[14:15]
	s_cbranch_execnz .LBB403_11
.LBB403_16:
	s_waitcnt vmcnt(0)
	v_mov_b32_e32 v2, 0
	s_and_saveexec_b64 s[8:9], s[2:3]
	s_cbranch_execz .LBB403_18
; %bb.17:
	v_and_b32_e32 v2, 0x7fffffff, v10
	v_and_b32_e32 v3, 0x7fffffff, v11
	v_mov_b32_e32 v4, 0x2edbe6ff
	;;#ASMSTART
	v_max3_f32 v2, v4, v2, v3

	;;#ASMEND
	v_and_b32_e32 v3, 0x7fffffff, v16
	v_and_b32_e32 v4, 0x7fffffff, v17
	;;#ASMSTART
	v_max3_f32 v2, v2, v3, v4

	;;#ASMEND
	v_and_b32_e32 v3, 0x7fffffff, v14
	v_and_b32_e32 v4, 0x7fffffff, v15
	;; [unrolled: 6-line block ×3, first 2 shown]
	;;#ASMSTART
	v_max3_f32 v2, v2, v3, v4

	;;#ASMEND
.LBB403_18:
	s_or_b64 exec, exec, s[8:9]
	s_load_dwordx4 s[24:27], s[4:5], 0x70
	;;#ASMSTART
	v_max_f32 v3, v2, v2 quad_perm:[1,0,3,2] row_mask:0xf bank_mask:0xf bound_ctrl:1
	;;#ASMEND
	;;#ASMSTART
	v_max_f32 v4, v3, v3 quad_perm:[2,3,0,1] row_mask:0xf bank_mask:0xf bound_ctrl:1
	;;#ASMEND
	v_and_b32_e32 v3, 7, v0
	v_cmp_eq_u32_e32 vcc, 0, v3
	v_cmp_gt_i32_e64 s[8:9], s19, v1
	s_and_b64 s[10:11], vcc, s[8:9]
	;;#ASMSTART
	v_max_f32 v2, v4, v4 row_half_mirror row_mask:0xf bank_mask:0xf bound_ctrl:1
	;;#ASMEND
	s_and_saveexec_b64 s[8:9], s[10:11]
	s_cbranch_execz .LBB403_20
; %bb.19:
	s_load_dwordx2 s[10:11], s[4:5], 0x8
	v_mul_f32_e32 v2, 0x3e2aaaab, v2
	v_lshrrev_b32_e32 v3, 23, v2
	v_and_b32_e32 v4, 0x7f800000, v2
	v_and_b32_e32 v2, 0x7fffff, v2
	v_cmp_ne_u32_e32 vcc, 0, v2
	s_waitcnt lgkmcnt(0)
	s_mul_i32 s16, s25, s6
	s_mov_b32 s14, 0x7f800000
	v_addc_co_u32_e32 v2, vcc, 0, v3, vcc
	s_mul_hi_i32 s15, s25, s6
	s_add_u32 s10, s10, s16
	v_cmp_ne_u32_e32 vcc, s14, v4
	s_addc_u32 s11, s11, s15
	v_lshrrev_b32_e32 v5, 3, v0
	v_cndmask_b32_e32 v4, -1, v2, vcc
	v_pk_mov_b32 v[2:3], s[10:11], s[10:11] op_sel:[0,1]
	v_mad_i64_i32 v[2:3], s[10:11], s26, v5, v[2:3]
	global_store_byte v[2:3], v4, off
.LBB403_20:
	s_or_b64 exec, exec, s[8:9]
	s_and_saveexec_b64 s[8:9], s[2:3]
	s_cbranch_execz .LBB403_22
; %bb.21:
	s_load_dwordx2 s[2:3], s[4:5], 0x0
	s_waitcnt lgkmcnt(0)
	s_mul_i32 s11, s24, s6
	s_mul_hi_i32 s10, s24, s6
	v_lshlrev_b32_e32 v2, 2, v0
	s_mov_b32 s27, 0x20000
	s_add_u32 s24, s2, s11
	s_addc_u32 s2, s3, s10
	s_lshr_b32 s3, s19, 31
	s_add_i32 s3, s19, s3
	s_ashr_i32 s3, s3, 1
	s_add_i32 s3, s3, 3
	s_ashr_i32 s10, s3, 31
	s_lshr_b32 s10, s10, 30
	s_add_i32 s3, s3, s10
	s_and_b32 s26, s3, -4
	s_and_b32 s25, s2, 0xffff
	v_mov_b32_e32 v3, 0
	buffer_store_dword v3, v2, s[24:27], 0 offen
	;;#ASMSTART
	s_nop 0
	;;#ASMEND
.LBB403_22:
	s_or_b64 exec, exec, s[8:9]
	s_cmp_lt_i32 s20, 1
	s_cbranch_scc1 .LBB403_12
.LBB403_23:
	s_load_dword s2, s[4:5], 0x94
	s_waitcnt lgkmcnt(0)
	s_cmp_lg_u32 s2, 1
	s_cbranch_scc1 .LBB403_12
; %bb.24:
	s_lshl_b32 s2, s20, 1
	s_add_i32 s2, s2, 2
	v_cmp_gt_u32_e32 vcc, s20, v1
	s_and_b32 s14, s2, -4
	v_mov_b32_e32 v10, 0
	v_lshlrev_b32_e32 v1, 4, v0
	v_mov_b32_e32 v6, 0
	v_mov_b32_e32 v7, 0
	v_mov_b32_e32 v8, 0
	v_mov_b32_e32 v9, 0
	s_waitcnt vmcnt(0)
	v_mov_b32_e32 v2, 0
	v_mov_b32_e32 v3, 0
	;; [unrolled: 1-line block ×4, first 2 shown]
	s_barrier
	s_and_saveexec_b64 s[2:3], vcc
	s_cbranch_execz .LBB403_26
; %bb.25:
	s_mul_hi_i32 s5, s22, s6
	s_mul_i32 s4, s22, s6
	s_and_b32 s13, s13, 0xffff
	s_lshl_b64 s[4:5], s[4:5], 1
	s_add_u32 s8, s30, s4
	s_mov_b32 s15, 0x20000
	s_addc_u32 s4, s31, s5
	s_and_b32 s9, s4, 0xffff
	s_mov_b32 s10, s14
	s_mov_b32 s11, s15
	buffer_load_dwordx4 v[6:9], v1, s[8:11], 0 offen glc slc
	buffer_load_dwordx4 v[2:5], v1, s[12:15], 0 offen
.LBB403_26:
	s_or_b64 exec, exec, s[2:3]
	v_mov_b32_e32 v11, 0
	v_mov_b32_e32 v16, 0
	;; [unrolled: 1-line block ×7, first 2 shown]
	s_and_saveexec_b64 s[2:3], vcc
	s_cbranch_execz .LBB403_28
; %bb.27:
	s_waitcnt vmcnt(1)
	v_cvt_f32_f16_sdwa v11, v6 dst_sel:DWORD dst_unused:UNUSED_PAD src0_sel:WORD_1
	v_cvt_f32_f16_e32 v10, v6
	v_cvt_f32_f16_sdwa v17, v7 dst_sel:DWORD dst_unused:UNUSED_PAD src0_sel:WORD_1
	v_cvt_f32_f16_e32 v16, v7
	;; [unrolled: 2-line block ×4, first 2 shown]
.LBB403_28:
	s_or_b64 exec, exec, s[2:3]
	s_waitcnt vmcnt(1)
	v_mul_f32_e32 v6, v11, v11
	v_fmac_f32_e32 v6, v10, v10
	v_fmac_f32_e32 v6, v16, v16
	;; [unrolled: 1-line block ×7, first 2 shown]
	s_nop 1
	v_mov_b32_dpp v7, v6 quad_perm:[1,0,3,2] row_mask:0xf bank_mask:0xf
	v_add_f32_e32 v6, v6, v7
	s_nop 1
	v_mov_b32_dpp v7, v6 quad_perm:[2,3,0,1] row_mask:0xf bank_mask:0xf
	v_add_f32_e32 v6, v6, v7
	s_nop 1
	v_mov_b32_dpp v7, v6 row_half_mirror row_mask:0xf bank_mask:0xf
	v_add_f32_e32 v6, v6, v7
	s_nop 1
	v_mov_b32_dpp v7, v6 row_mirror row_mask:0xf bank_mask:0xf
	v_add_f32_e32 v6, v6, v7
	s_nop 1
	v_mov_b32_dpp v7, v6 row_bcast:15 row_mask:0xf bank_mask:0xf
	v_add_f32_e32 v6, v6, v7
	s_nop 1
	v_mov_b32_dpp v7, v6 row_bcast:31 row_mask:0xf bank_mask:0xf
	s_and_saveexec_b64 s[2:3], s[0:1]
	s_cbranch_execz .LBB403_30
; %bb.29:
	v_lshrrev_b32_e32 v0, 4, v0
	v_add_f32_e32 v6, v6, v7
	v_and_b32_e32 v0, 60, v0
	ds_write_b32 v0, v6
.LBB403_30:
	s_or_b64 exec, exec, s[2:3]
	s_waitcnt lgkmcnt(0)
	s_barrier
	ds_read_b32 v0, v18
	s_waitcnt lgkmcnt(0)
	s_nop 0
	v_mov_b32_dpp v6, v0 quad_perm:[1,0,3,2] row_mask:0xf bank_mask:0xf
	s_and_saveexec_b64 s[0:1], vcc
	s_cbranch_execz .LBB403_12
; %bb.31:
	v_cvt_f32_u32_e32 v7, s20
	v_add_f32_e32 v0, v0, v6
	s_mov_b32 s15, 0x20000
	v_div_scale_f32 v6, s[0:1], v7, v7, v0
	v_rcp_f32_e32 v8, v6
	v_div_scale_f32 v9, vcc, v0, v7, v0
	s_mov_b32 s0, 0x800000
	v_fma_f32 v18, -v6, v8, 1.0
	v_fmac_f32_e32 v8, v18, v8
	v_mul_f32_e32 v18, v9, v8
	v_fma_f32 v19, -v6, v18, v9
	v_fmac_f32_e32 v18, v19, v8
	v_fma_f32 v6, -v6, v18, v9
	v_div_fmas_f32 v6, v6, v8, v18
	v_div_fixup_f32 v0, v6, v7, v0
	v_add_f32_e32 v0, s17, v0
	v_mul_f32_e32 v6, 0x4b800000, v0
	v_cmp_gt_f32_e32 vcc, s0, v0
	v_cndmask_b32_e32 v0, v0, v6, vcc
	v_rsq_f32_e32 v0, v0
	s_waitcnt vmcnt(0)
	v_cvt_f32_f16_sdwa v19, v3 dst_sel:DWORD dst_unused:UNUSED_PAD src0_sel:WORD_1
	v_cvt_f32_f16_e32 v18, v3
	s_mul_hi_i32 s1, s7, s6
	v_mul_f32_e32 v6, 0x45800000, v0
	v_cndmask_b32_e32 v6, v0, v6, vcc
	v_mov_b32_e32 v7, v6
	;;#ASMSTART
	v_pk_mul_f32 v[8:9], v[10:11], v[6:7]
	;;#ASMEND
	;;#ASMSTART
	v_pk_mul_f32 v[10:11], v[16:17], v[6:7]
	;;#ASMEND
	v_cvt_f32_f16_sdwa v17, v2 dst_sel:DWORD dst_unused:UNUSED_PAD src0_sel:WORD_1
	v_cvt_f32_f16_e32 v16, v2
	;;#ASMSTART
	v_pk_mul_f32 v[14:15], v[14:15], v[6:7]
	;;#ASMEND
	;;#ASMSTART
	v_pk_mul_f32 v[2:3], v[12:13], v[6:7]
	;;#ASMEND
	v_cvt_f32_f16_sdwa v13, v4 dst_sel:DWORD dst_unused:UNUSED_PAD src0_sel:WORD_1
	v_cvt_f32_f16_e32 v12, v4
	v_pk_add_f32 v[6:7], v[16:17], 1.0 op_sel_hi:[1,0]
	v_cvt_f32_f16_sdwa v17, v5 dst_sel:DWORD dst_unused:UNUSED_PAD src0_sel:WORD_1
	v_cvt_f32_f16_e32 v16, v5
	;;#ASMSTART
	v_pk_mul_f32 v[6:7], v[8:9], v[6:7]
	;;#ASMEND
	v_pk_add_f32 v[8:9], v[18:19], 1.0 op_sel_hi:[1,0]
	;;#ASMSTART
	v_pk_mul_f32 v[4:5], v[10:11], v[8:9]
	;;#ASMEND
	v_pk_add_f32 v[8:9], v[12:13], 1.0 op_sel_hi:[1,0]
	;; [unrolled: 4-line block ×3, first 2 shown]
	;;#ASMSTART
	v_pk_mul_f32 v[2:3], v[2:3], v[10:11]
	;;#ASMEND
	s_mul_i32 s0, s7, s6
	v_cvt_f16_f32_e32 v0, v6
	v_cvt_f16_f32_e32 v6, v7
	;; [unrolled: 1-line block ×8, first 2 shown]
	s_lshl_b64 s[0:1], s[0:1], 1
	s_add_u32 s12, s28, s0
	s_addc_u32 s0, s29, s1
	s_and_b32 s13, s0, 0xffff
	v_pack_b32_f16 v2, v0, v6
	v_pack_b32_f16 v3, v4, v5
	;; [unrolled: 1-line block ×4, first 2 shown]
	buffer_store_dwordx4 v[2:5], v1, s[12:15], 0 offen
	;;#ASMSTART
	s_nop 0
	;;#ASMEND
	s_endpgm
	.section	.rodata,"a",@progbits
	.p2align	6, 0x0
	.amdhsa_kernel _ZN5aiter35fused_qk_rmsnorm_group_quant_kernelIDF16_N4opus5fp4_tELi128ELi8ELi8ELb0ELb0ELb1ELb0ELb0ELb0EEEvPT0_PvPT_S7_S7_PKS6_S9_S9_S9_S9_ffiiiiiiiiiiiii
		.amdhsa_group_segment_fixed_size 16
		.amdhsa_private_segment_fixed_size 0
		.amdhsa_kernarg_size 400
		.amdhsa_user_sgpr_count 6
		.amdhsa_user_sgpr_private_segment_buffer 1
		.amdhsa_user_sgpr_dispatch_ptr 0
		.amdhsa_user_sgpr_queue_ptr 0
		.amdhsa_user_sgpr_kernarg_segment_ptr 1
		.amdhsa_user_sgpr_dispatch_id 0
		.amdhsa_user_sgpr_flat_scratch_init 0
		.amdhsa_user_sgpr_kernarg_preload_length 0
		.amdhsa_user_sgpr_kernarg_preload_offset 0
		.amdhsa_user_sgpr_private_segment_size 0
		.amdhsa_uses_dynamic_stack 0
		.amdhsa_system_sgpr_private_segment_wavefront_offset 0
		.amdhsa_system_sgpr_workgroup_id_x 1
		.amdhsa_system_sgpr_workgroup_id_y 1
		.amdhsa_system_sgpr_workgroup_id_z 0
		.amdhsa_system_sgpr_workgroup_info 0
		.amdhsa_system_vgpr_workitem_id 0
		.amdhsa_next_free_vgpr 23
		.amdhsa_next_free_sgpr 32
		.amdhsa_accum_offset 24
		.amdhsa_reserve_vcc 1
		.amdhsa_reserve_flat_scratch 0
		.amdhsa_float_round_mode_32 0
		.amdhsa_float_round_mode_16_64 0
		.amdhsa_float_denorm_mode_32 3
		.amdhsa_float_denorm_mode_16_64 3
		.amdhsa_dx10_clamp 1
		.amdhsa_ieee_mode 1
		.amdhsa_fp16_overflow 0
		.amdhsa_tg_split 0
		.amdhsa_exception_fp_ieee_invalid_op 0
		.amdhsa_exception_fp_denorm_src 0
		.amdhsa_exception_fp_ieee_div_zero 0
		.amdhsa_exception_fp_ieee_overflow 0
		.amdhsa_exception_fp_ieee_underflow 0
		.amdhsa_exception_fp_ieee_inexact 0
		.amdhsa_exception_int_div_zero 0
	.end_amdhsa_kernel
	.section	.text._ZN5aiter35fused_qk_rmsnorm_group_quant_kernelIDF16_N4opus5fp4_tELi128ELi8ELi8ELb0ELb0ELb1ELb0ELb0ELb0EEEvPT0_PvPT_S7_S7_PKS6_S9_S9_S9_S9_ffiiiiiiiiiiiii,"axG",@progbits,_ZN5aiter35fused_qk_rmsnorm_group_quant_kernelIDF16_N4opus5fp4_tELi128ELi8ELi8ELb0ELb0ELb1ELb0ELb0ELb0EEEvPT0_PvPT_S7_S7_PKS6_S9_S9_S9_S9_ffiiiiiiiiiiiii,comdat
.Lfunc_end403:
	.size	_ZN5aiter35fused_qk_rmsnorm_group_quant_kernelIDF16_N4opus5fp4_tELi128ELi8ELi8ELb0ELb0ELb1ELb0ELb0ELb0EEEvPT0_PvPT_S7_S7_PKS6_S9_S9_S9_S9_ffiiiiiiiiiiiii, .Lfunc_end403-_ZN5aiter35fused_qk_rmsnorm_group_quant_kernelIDF16_N4opus5fp4_tELi128ELi8ELi8ELb0ELb0ELb1ELb0ELb0ELb0EEEvPT0_PvPT_S7_S7_PKS6_S9_S9_S9_S9_ffiiiiiiiiiiiii
                                        ; -- End function
	.section	.AMDGPU.csdata,"",@progbits
; Kernel info:
; codeLenInByte = 2328
; NumSgprs: 36
; NumVgprs: 23
; NumAgprs: 0
; TotalNumVgprs: 23
; ScratchSize: 0
; MemoryBound: 0
; FloatMode: 240
; IeeeMode: 1
; LDSByteSize: 16 bytes/workgroup (compile time only)
; SGPRBlocks: 4
; VGPRBlocks: 2
; NumSGPRsForWavesPerEU: 36
; NumVGPRsForWavesPerEU: 23
; AccumOffset: 24
; Occupancy: 8
; WaveLimiterHint : 0
; COMPUTE_PGM_RSRC2:SCRATCH_EN: 0
; COMPUTE_PGM_RSRC2:USER_SGPR: 6
; COMPUTE_PGM_RSRC2:TRAP_HANDLER: 0
; COMPUTE_PGM_RSRC2:TGID_X_EN: 1
; COMPUTE_PGM_RSRC2:TGID_Y_EN: 1
; COMPUTE_PGM_RSRC2:TGID_Z_EN: 0
; COMPUTE_PGM_RSRC2:TIDIG_COMP_CNT: 0
; COMPUTE_PGM_RSRC3_GFX90A:ACCUM_OFFSET: 5
; COMPUTE_PGM_RSRC3_GFX90A:TG_SPLIT: 0
	.section	.text._ZN5aiter35fused_qk_rmsnorm_group_quant_kernelItN4opus5fp4_tELi128ELi8ELi8ELb0ELb0ELb1ELb0ELb0ELb0EEEvPT0_PvPT_S7_S7_PKS6_S9_S9_S9_S9_ffiiiiiiiiiiiii,"axG",@progbits,_ZN5aiter35fused_qk_rmsnorm_group_quant_kernelItN4opus5fp4_tELi128ELi8ELi8ELb0ELb0ELb1ELb0ELb0ELb0EEEvPT0_PvPT_S7_S7_PKS6_S9_S9_S9_S9_ffiiiiiiiiiiiii,comdat
	.protected	_ZN5aiter35fused_qk_rmsnorm_group_quant_kernelItN4opus5fp4_tELi128ELi8ELi8ELb0ELb0ELb1ELb0ELb0ELb0EEEvPT0_PvPT_S7_S7_PKS6_S9_S9_S9_S9_ffiiiiiiiiiiiii ; -- Begin function _ZN5aiter35fused_qk_rmsnorm_group_quant_kernelItN4opus5fp4_tELi128ELi8ELi8ELb0ELb0ELb1ELb0ELb0ELb0EEEvPT0_PvPT_S7_S7_PKS6_S9_S9_S9_S9_ffiiiiiiiiiiiii
	.globl	_ZN5aiter35fused_qk_rmsnorm_group_quant_kernelItN4opus5fp4_tELi128ELi8ELi8ELb0ELb0ELb1ELb0ELb0ELb0EEEvPT0_PvPT_S7_S7_PKS6_S9_S9_S9_S9_ffiiiiiiiiiiiii
	.p2align	8
	.type	_ZN5aiter35fused_qk_rmsnorm_group_quant_kernelItN4opus5fp4_tELi128ELi8ELi8ELb0ELb0ELb1ELb0ELb0ELb0EEEvPT0_PvPT_S7_S7_PKS6_S9_S9_S9_S9_ffiiiiiiiiiiiii,@function
_ZN5aiter35fused_qk_rmsnorm_group_quant_kernelItN4opus5fp4_tELi128ELi8ELi8ELb0ELb0ELb1ELb0ELb0ELb0EEEvPT0_PvPT_S7_S7_PKS6_S9_S9_S9_S9_ffiiiiiiiiiiiii: ; @_ZN5aiter35fused_qk_rmsnorm_group_quant_kernelItN4opus5fp4_tELi128ELi8ELi8ELb0ELb0ELb1ELb0ELb0ELb0EEEvPT0_PvPT_S7_S7_PKS6_S9_S9_S9_S9_ffiiiiiiiiiiiii
; %bb.0:
	s_load_dwordx4 s[16:19], s[4:5], 0x50
	s_waitcnt lgkmcnt(0)
	s_cmp_ge_i32 s6, s18
	s_cbranch_scc1 .LBB404_10
; %bb.1:
	s_load_dwordx2 s[12:13], s[4:5], 0x48
	s_load_dwordx2 s[30:31], s[4:5], 0x30
	s_load_dwordx4 s[20:23], s[4:5], 0x60
	s_cmp_lg_u32 s7, 0
	s_cselect_b64 s[14:15], -1, 0
	s_cmp_eq_u32 s7, 0
	s_cselect_b64 vcc, -1, 0
	s_and_b64 s[0:1], vcc, exec
	s_waitcnt lgkmcnt(0)
	s_cselect_b32 s7, s19, s20
	s_add_i32 s0, s7, 1
	s_lshr_b32 s1, s0, 31
	s_add_i32 s0, s0, s1
	s_lshl_b32 s0, s0, 1
	v_lshlrev_b32_e32 v1, 3, v0
	s_and_b32 s10, s0, -4
	v_cmp_gt_i32_e64 s[2:3], s7, v1
	v_mov_b32_e32 v2, 0
	v_mov_b32_e32 v3, 0
	;; [unrolled: 1-line block ×8, first 2 shown]
	s_and_saveexec_b64 s[0:1], s[2:3]
	s_cbranch_execz .LBB404_3
; %bb.2:
	s_load_dwordx2 s[8:9], s[4:5], 0x28
	s_load_dwordx2 s[26:27], s[4:5], 0x40
	s_and_b64 s[24:25], vcc, exec
	s_cselect_b32 s11, s21, s22
	v_lshlrev_b32_e32 v10, 4, v0
	s_waitcnt lgkmcnt(0)
	s_cselect_b32 s18, s9, s31
	s_cselect_b32 s21, s8, s30
	s_mul_hi_i32 s9, s11, s6
	s_mul_i32 s8, s11, s6
	s_lshl_b64 s[8:9], s[8:9], 1
	s_add_u32 s24, s21, s8
	s_addc_u32 s18, s18, s9
	s_and_b64 s[8:9], vcc, exec
	s_mov_b32 s11, 0x20000
	s_cselect_b32 s8, s26, s12
	s_cselect_b32 s9, s27, s13
	s_and_b32 s25, s18, 0xffff
	s_mov_b32 s26, s10
	s_mov_b32 s27, s11
	s_and_b32 s9, s9, 0xffff
	buffer_load_dwordx4 v[6:9], v10, s[24:27], 0 offen glc slc
	buffer_load_dwordx4 v[2:5], v10, s[8:11], 0 offen
.LBB404_3:
	s_or_b64 exec, exec, s[0:1]
	s_waitcnt vmcnt(1)
	v_cvt_f32_u32_sdwa v11, v6 dst_sel:DWORD dst_unused:UNUSED_PAD src0_sel:WORD_1
	v_cvt_f32_u32_sdwa v10, v6 dst_sel:DWORD dst_unused:UNUSED_PAD src0_sel:WORD_0
	v_cvt_f32_u32_sdwa v6, v9 dst_sel:DWORD dst_unused:UNUSED_PAD src0_sel:WORD_1
	v_cvt_f32_u32_sdwa v9, v9 dst_sel:DWORD dst_unused:UNUSED_PAD src0_sel:WORD_0
	;; [unrolled: 2-line block ×4, first 2 shown]
	v_cndmask_b32_e64 v11, 0, v11, s[2:3]
	v_cndmask_b32_e64 v7, 0, v6, s[2:3]
	;; [unrolled: 1-line block ×5, first 2 shown]
	v_mul_f32_e32 v14, v11, v11
	v_cndmask_b32_e64 v12, 0, v12, s[2:3]
	v_fmac_f32_e32 v14, v10, v10
	v_cndmask_b32_e64 v13, 0, v13, s[2:3]
	v_fmac_f32_e32 v14, v12, v12
	;; [unrolled: 2-line block ×3, first 2 shown]
	v_fmac_f32_e32 v14, v8, v8
	v_fmac_f32_e32 v14, v9, v9
	;; [unrolled: 1-line block ×4, first 2 shown]
	v_and_b32_e32 v16, 63, v0
	v_cmp_eq_u32_e64 s[0:1], 63, v16
	v_mov_b32_dpp v15, v14 quad_perm:[1,0,3,2] row_mask:0xf bank_mask:0xf
	v_add_f32_e32 v14, v14, v15
	s_nop 1
	v_mov_b32_dpp v15, v14 quad_perm:[2,3,0,1] row_mask:0xf bank_mask:0xf
	v_add_f32_e32 v14, v14, v15
	s_nop 1
	v_mov_b32_dpp v15, v14 row_half_mirror row_mask:0xf bank_mask:0xf
	v_add_f32_e32 v14, v14, v15
	s_nop 1
	v_mov_b32_dpp v15, v14 row_mirror row_mask:0xf bank_mask:0xf
	v_add_f32_e32 v14, v14, v15
	s_nop 1
	v_mov_b32_dpp v15, v14 row_bcast:15 row_mask:0xf bank_mask:0xf
	v_add_f32_e32 v14, v14, v15
	s_nop 1
	v_mov_b32_dpp v15, v14 row_bcast:31 row_mask:0xf bank_mask:0xf
	s_and_saveexec_b64 s[8:9], s[0:1]
	s_cbranch_execz .LBB404_5
; %bb.4:
	v_add_f32_e32 v14, v14, v15
	v_lshrrev_b32_e32 v15, 4, v0
	v_and_b32_e32 v15, 60, v15
	ds_write_b32 v15, v14 offset:8
.LBB404_5:
	s_or_b64 exec, exec, s[8:9]
	v_and_b32_e32 v14, 1, v0
	v_lshlrev_b32_e32 v14, 2, v14
	s_waitcnt lgkmcnt(0)
	s_barrier
	ds_read_b32 v15, v14 offset:8
	s_load_dwordx2 s[28:29], s[4:5], 0x18
	s_waitcnt lgkmcnt(0)
	v_mov_b32_dpp v16, v15 quad_perm:[1,0,3,2] row_mask:0xf bank_mask:0xf
	s_and_saveexec_b64 s[8:9], s[2:3]
	s_cbranch_execz .LBB404_7
; %bb.6:
	v_cvt_f32_u32_e32 v17, s7
	v_add_f32_e32 v15, v15, v16
	v_mov_b32_e32 v19, s17
	v_mov_b32_e32 v20, s16
	v_div_scale_f32 v16, s[24:25], v17, v17, v15
	v_rcp_f32_e32 v18, v16
	v_cndmask_b32_e32 v19, v19, v20, vcc
	s_mov_b32 s7, 0x800000
	v_fma_f32 v20, -v16, v18, 1.0
	v_fmac_f32_e32 v18, v20, v18
	v_div_scale_f32 v20, vcc, v15, v17, v15
	v_mul_f32_e32 v21, v20, v18
	v_fma_f32 v22, -v16, v21, v20
	v_fmac_f32_e32 v21, v22, v18
	v_fma_f32 v16, -v16, v21, v20
	v_div_fmas_f32 v16, v16, v18, v21
	v_div_fixup_f32 v15, v16, v17, v15
	v_add_f32_e32 v15, v19, v15
	v_mul_f32_e32 v16, 0x4b800000, v15
	v_cmp_gt_f32_e32 vcc, s7, v15
	v_cndmask_b32_e32 v15, v15, v16, vcc
	v_rsq_f32_e32 v15, v15
	s_waitcnt vmcnt(0)
	v_cvt_f32_u32_sdwa v19, v2 dst_sel:DWORD dst_unused:UNUSED_PAD src0_sel:WORD_1
	v_cvt_f32_u32_sdwa v18, v2 dst_sel:DWORD dst_unused:UNUSED_PAD src0_sel:WORD_0
	v_cvt_f32_u32_sdwa v21, v3 dst_sel:DWORD dst_unused:UNUSED_PAD src0_sel:WORD_1
	v_mul_f32_e32 v16, 0x45800000, v15
	v_cndmask_b32_e32 v16, v15, v16, vcc
	v_mov_b32_e32 v17, v16
	;;#ASMSTART
	v_pk_mul_f32 v[10:11], v[10:11], v[16:17]
	;;#ASMEND
	;;#ASMSTART
	v_pk_mul_f32 v[12:13], v[12:13], v[16:17]
	;;#ASMEND
	;;#ASMSTART
	v_pk_mul_f32 v[8:9], v[8:9], v[16:17]
	;;#ASMEND
	v_cvt_f32_u32_sdwa v20, v3 dst_sel:DWORD dst_unused:UNUSED_PAD src0_sel:WORD_0
	;;#ASMSTART
	v_pk_mul_f32 v[2:3], v[6:7], v[16:17]
	;;#ASMEND
	v_cvt_f32_u32_sdwa v17, v4 dst_sel:DWORD dst_unused:UNUSED_PAD src0_sel:WORD_1
	v_cvt_f32_u32_sdwa v16, v4 dst_sel:DWORD dst_unused:UNUSED_PAD src0_sel:WORD_0
	v_pk_add_f32 v[6:7], v[18:19], 1.0 op_sel_hi:[1,0]
	v_cvt_f32_u32_sdwa v19, v5 dst_sel:DWORD dst_unused:UNUSED_PAD src0_sel:WORD_1
	v_cvt_f32_u32_sdwa v18, v5 dst_sel:DWORD dst_unused:UNUSED_PAD src0_sel:WORD_0
	;;#ASMSTART
	v_pk_mul_f32 v[10:11], v[10:11], v[6:7]
	;;#ASMEND
	v_pk_add_f32 v[6:7], v[20:21], 1.0 op_sel_hi:[1,0]
	v_pk_add_f32 v[4:5], v[16:17], 1.0 op_sel_hi:[1,0]
	;;#ASMSTART
	v_pk_mul_f32 v[12:13], v[12:13], v[6:7]
	;;#ASMEND
	;;#ASMSTART
	v_pk_mul_f32 v[8:9], v[8:9], v[4:5]
	;;#ASMEND
	v_pk_add_f32 v[4:5], v[18:19], 1.0 op_sel_hi:[1,0]
	;;#ASMSTART
	v_pk_mul_f32 v[6:7], v[2:3], v[4:5]
	;;#ASMEND
.LBB404_7:
	s_or_b64 exec, exec, s[8:9]
	s_load_dword s7, s[4:5], 0x80
	s_mov_b64 s[8:9], -1
	s_and_b64 vcc, exec, s[14:15]
	s_cbranch_vccnz .LBB404_11
; %bb.8:
	s_andn2_b64 vcc, exec, s[8:9]
	s_cbranch_vccz .LBB404_14
.LBB404_9:
	s_cmp_lt_i32 s20, 1
	s_cbranch_scc0 .LBB404_21
.LBB404_10:
	s_endpgm
.LBB404_11:
	s_and_saveexec_b64 s[14:15], s[2:3]
	s_cbranch_execz .LBB404_13
; %bb.12:
	s_waitcnt lgkmcnt(0)
	s_mul_hi_i32 s9, s7, s6
	s_mul_i32 s8, s7, s6
	s_lshl_b64 s[8:9], s[8:9], 1
	s_add_u32 s8, s28, s8
	s_addc_u32 s9, s29, s9
	s_mov_b32 s16, 0x7060302
	s_and_b32 s9, s9, 0xffff
	s_mov_b32 s11, 0x20000
	s_waitcnt vmcnt(0)
	v_perm_b32 v2, v11, v10, s16
	v_perm_b32 v3, v13, v12, s16
	;; [unrolled: 1-line block ×4, first 2 shown]
	v_lshlrev_b32_e32 v15, 4, v0
	buffer_store_dwordx4 v[2:5], v15, s[8:11], 0 offen
	;;#ASMSTART
	s_nop 0
	;;#ASMEND
.LBB404_13:
	s_or_b64 exec, exec, s[14:15]
	s_cbranch_execnz .LBB404_9
.LBB404_14:
	s_waitcnt vmcnt(0)
	v_mov_b32_e32 v2, 0
	s_and_saveexec_b64 s[8:9], s[2:3]
	s_cbranch_execz .LBB404_16
; %bb.15:
	v_and_b32_e32 v2, 0x7fffffff, v10
	v_and_b32_e32 v3, 0x7fffffff, v11
	v_mov_b32_e32 v4, 0x2edbe6ff
	;;#ASMSTART
	v_max3_f32 v2, v4, v2, v3

	;;#ASMEND
	v_and_b32_e32 v3, 0x7fffffff, v12
	v_and_b32_e32 v4, 0x7fffffff, v13
	;;#ASMSTART
	v_max3_f32 v2, v2, v3, v4

	;;#ASMEND
	v_and_b32_e32 v3, 0x7fffffff, v8
	v_and_b32_e32 v4, 0x7fffffff, v9
	;; [unrolled: 6-line block ×3, first 2 shown]
	;;#ASMSTART
	v_max3_f32 v2, v2, v3, v4

	;;#ASMEND
.LBB404_16:
	s_or_b64 exec, exec, s[8:9]
	s_load_dwordx4 s[24:27], s[4:5], 0x70
	;;#ASMSTART
	v_max_f32 v3, v2, v2 quad_perm:[1,0,3,2] row_mask:0xf bank_mask:0xf bound_ctrl:1
	;;#ASMEND
	;;#ASMSTART
	v_max_f32 v4, v3, v3 quad_perm:[2,3,0,1] row_mask:0xf bank_mask:0xf bound_ctrl:1
	;;#ASMEND
	v_and_b32_e32 v3, 7, v0
	v_cmp_eq_u32_e32 vcc, 0, v3
	v_cmp_gt_i32_e64 s[8:9], s19, v1
	s_and_b64 s[10:11], vcc, s[8:9]
	;;#ASMSTART
	v_max_f32 v2, v4, v4 row_half_mirror row_mask:0xf bank_mask:0xf bound_ctrl:1
	;;#ASMEND
	s_and_saveexec_b64 s[8:9], s[10:11]
	s_cbranch_execz .LBB404_18
; %bb.17:
	s_load_dwordx2 s[10:11], s[4:5], 0x8
	v_mul_f32_e32 v2, 0x3e2aaaab, v2
	v_lshrrev_b32_e32 v3, 23, v2
	v_and_b32_e32 v4, 0x7f800000, v2
	v_and_b32_e32 v2, 0x7fffff, v2
	v_cmp_ne_u32_e32 vcc, 0, v2
	s_waitcnt lgkmcnt(0)
	s_mul_i32 s16, s25, s6
	s_mov_b32 s14, 0x7f800000
	v_addc_co_u32_e32 v2, vcc, 0, v3, vcc
	s_mul_hi_i32 s15, s25, s6
	s_add_u32 s10, s10, s16
	v_cmp_ne_u32_e32 vcc, s14, v4
	s_addc_u32 s11, s11, s15
	v_lshrrev_b32_e32 v5, 3, v0
	v_cndmask_b32_e32 v4, -1, v2, vcc
	v_pk_mov_b32 v[2:3], s[10:11], s[10:11] op_sel:[0,1]
	v_mad_i64_i32 v[2:3], s[10:11], s26, v5, v[2:3]
	global_store_byte v[2:3], v4, off
.LBB404_18:
	s_or_b64 exec, exec, s[8:9]
	s_and_saveexec_b64 s[8:9], s[2:3]
	s_cbranch_execz .LBB404_20
; %bb.19:
	s_load_dwordx2 s[2:3], s[4:5], 0x0
	s_waitcnt lgkmcnt(0)
	s_mul_i32 s11, s24, s6
	s_mul_hi_i32 s10, s24, s6
	v_lshlrev_b32_e32 v2, 2, v0
	s_mov_b32 s27, 0x20000
	s_add_u32 s24, s2, s11
	s_addc_u32 s2, s3, s10
	s_lshr_b32 s3, s19, 31
	s_add_i32 s3, s19, s3
	s_ashr_i32 s3, s3, 1
	s_add_i32 s3, s3, 3
	s_ashr_i32 s10, s3, 31
	s_lshr_b32 s10, s10, 30
	s_add_i32 s3, s3, s10
	s_and_b32 s26, s3, -4
	s_and_b32 s25, s2, 0xffff
	v_mov_b32_e32 v3, 0
	buffer_store_dword v3, v2, s[24:27], 0 offen
	;;#ASMSTART
	s_nop 0
	;;#ASMEND
.LBB404_20:
	s_or_b64 exec, exec, s[8:9]
	s_cmp_lt_i32 s20, 1
	s_cbranch_scc1 .LBB404_10
.LBB404_21:
	s_load_dword s2, s[4:5], 0x94
	s_waitcnt lgkmcnt(0)
	s_cmp_lg_u32 s2, 1
	s_cbranch_scc1 .LBB404_10
; %bb.22:
	s_lshl_b32 s2, s20, 1
	s_add_i32 s2, s2, 2
	v_cmp_gt_u32_e32 vcc, s20, v1
	s_and_b32 s14, s2, -4
	v_mov_b32_e32 v6, 0
	v_lshlrev_b32_e32 v1, 4, v0
	v_mov_b32_e32 v7, 0
	v_mov_b32_e32 v8, 0
	;; [unrolled: 1-line block ×3, first 2 shown]
	s_waitcnt vmcnt(0)
	v_mov_b32_e32 v2, 0
	v_mov_b32_e32 v3, 0
	v_mov_b32_e32 v4, 0
	v_mov_b32_e32 v5, 0
	s_barrier
	s_and_saveexec_b64 s[2:3], vcc
	s_cbranch_execz .LBB404_24
; %bb.23:
	s_mul_hi_i32 s5, s22, s6
	s_mul_i32 s4, s22, s6
	s_and_b32 s13, s13, 0xffff
	s_lshl_b64 s[4:5], s[4:5], 1
	s_add_u32 s8, s30, s4
	s_mov_b32 s15, 0x20000
	s_addc_u32 s4, s31, s5
	s_and_b32 s9, s4, 0xffff
	s_mov_b32 s10, s14
	s_mov_b32 s11, s15
	buffer_load_dwordx4 v[6:9], v1, s[8:11], 0 offen glc slc
	buffer_load_dwordx4 v[2:5], v1, s[12:15], 0 offen
.LBB404_24:
	s_or_b64 exec, exec, s[2:3]
	s_waitcnt vmcnt(1)
	v_cvt_f32_u32_sdwa v13, v6 dst_sel:DWORD dst_unused:UNUSED_PAD src0_sel:WORD_1
	v_cvt_f32_u32_sdwa v12, v6 dst_sel:DWORD dst_unused:UNUSED_PAD src0_sel:WORD_0
	v_cvt_f32_u32_sdwa v6, v9 dst_sel:DWORD dst_unused:UNUSED_PAD src0_sel:WORD_1
	v_cvt_f32_u32_sdwa v9, v9 dst_sel:DWORD dst_unused:UNUSED_PAD src0_sel:WORD_0
	;; [unrolled: 2-line block ×4, first 2 shown]
	v_cndmask_b32_e32 v13, 0, v13, vcc
	v_cndmask_b32_e32 v7, 0, v6, vcc
	;; [unrolled: 1-line block ×5, first 2 shown]
	v_mul_f32_e32 v15, v13, v13
	v_cndmask_b32_e32 v10, 0, v10, vcc
	v_fmac_f32_e32 v15, v12, v12
	v_cndmask_b32_e32 v11, 0, v11, vcc
	v_fmac_f32_e32 v15, v10, v10
	v_cndmask_b32_e32 v8, 0, v8, vcc
	v_fmac_f32_e32 v15, v11, v11
	v_fmac_f32_e32 v15, v8, v8
	v_fmac_f32_e32 v15, v9, v9
	;; [unrolled: 1-line block ×4, first 2 shown]
	s_nop 1
	v_mov_b32_dpp v16, v15 quad_perm:[1,0,3,2] row_mask:0xf bank_mask:0xf
	v_add_f32_e32 v15, v15, v16
	s_nop 1
	v_mov_b32_dpp v16, v15 quad_perm:[2,3,0,1] row_mask:0xf bank_mask:0xf
	v_add_f32_e32 v15, v15, v16
	s_nop 1
	v_mov_b32_dpp v16, v15 row_half_mirror row_mask:0xf bank_mask:0xf
	v_add_f32_e32 v15, v15, v16
	s_nop 1
	v_mov_b32_dpp v16, v15 row_mirror row_mask:0xf bank_mask:0xf
	v_add_f32_e32 v15, v15, v16
	s_nop 1
	v_mov_b32_dpp v16, v15 row_bcast:15 row_mask:0xf bank_mask:0xf
	v_add_f32_e32 v15, v15, v16
	s_nop 1
	v_mov_b32_dpp v16, v15 row_bcast:31 row_mask:0xf bank_mask:0xf
	s_and_saveexec_b64 s[2:3], s[0:1]
	s_cbranch_execz .LBB404_26
; %bb.25:
	v_lshrrev_b32_e32 v0, 4, v0
	v_add_f32_e32 v15, v15, v16
	v_and_b32_e32 v0, 60, v0
	ds_write_b32 v0, v15
.LBB404_26:
	s_or_b64 exec, exec, s[2:3]
	s_waitcnt lgkmcnt(0)
	s_barrier
	ds_read_b32 v0, v14
	s_waitcnt lgkmcnt(0)
	s_nop 0
	v_mov_b32_dpp v14, v0 quad_perm:[1,0,3,2] row_mask:0xf bank_mask:0xf
	s_and_saveexec_b64 s[0:1], vcc
	s_cbranch_execz .LBB404_10
; %bb.27:
	v_cvt_f32_u32_e32 v15, s20
	v_add_f32_e32 v0, v0, v14
	s_mov_b32 s15, 0x20000
	v_div_scale_f32 v14, s[0:1], v15, v15, v0
	v_rcp_f32_e32 v16, v14
	v_div_scale_f32 v17, vcc, v0, v15, v0
	s_mov_b32 s0, 0x800000
	v_fma_f32 v18, -v14, v16, 1.0
	v_fmac_f32_e32 v16, v18, v16
	v_mul_f32_e32 v18, v17, v16
	v_fma_f32 v19, -v14, v18, v17
	v_fmac_f32_e32 v18, v19, v16
	v_fma_f32 v14, -v14, v18, v17
	v_div_fmas_f32 v14, v14, v16, v18
	v_div_fixup_f32 v0, v14, v15, v0
	v_add_f32_e32 v0, s17, v0
	v_mul_f32_e32 v14, 0x4b800000, v0
	v_cmp_gt_f32_e32 vcc, s0, v0
	v_cndmask_b32_e32 v0, v0, v14, vcc
	v_rsq_f32_e32 v0, v0
	s_waitcnt vmcnt(0)
	v_cvt_f32_u32_sdwa v17, v2 dst_sel:DWORD dst_unused:UNUSED_PAD src0_sel:WORD_1
	v_cvt_f32_u32_sdwa v16, v2 dst_sel:DWORD dst_unused:UNUSED_PAD src0_sel:WORD_0
	v_cvt_f32_u32_sdwa v19, v3 dst_sel:DWORD dst_unused:UNUSED_PAD src0_sel:WORD_1
	v_mul_f32_e32 v14, 0x45800000, v0
	v_cndmask_b32_e32 v14, v0, v14, vcc
	v_mov_b32_e32 v15, v14
	;;#ASMSTART
	v_pk_mul_f32 v[12:13], v[12:13], v[14:15]
	;;#ASMEND
	;;#ASMSTART
	v_pk_mul_f32 v[10:11], v[10:11], v[14:15]
	;;#ASMEND
	;; [unrolled: 3-line block ×3, first 2 shown]
	v_cvt_f32_u32_sdwa v18, v3 dst_sel:DWORD dst_unused:UNUSED_PAD src0_sel:WORD_0
	;;#ASMSTART
	v_pk_mul_f32 v[2:3], v[6:7], v[14:15]
	;;#ASMEND
	v_cvt_f32_u32_sdwa v15, v4 dst_sel:DWORD dst_unused:UNUSED_PAD src0_sel:WORD_1
	v_cvt_f32_u32_sdwa v14, v4 dst_sel:DWORD dst_unused:UNUSED_PAD src0_sel:WORD_0
	v_pk_add_f32 v[6:7], v[16:17], 1.0 op_sel_hi:[1,0]
	v_cvt_f32_u32_sdwa v17, v5 dst_sel:DWORD dst_unused:UNUSED_PAD src0_sel:WORD_1
	v_cvt_f32_u32_sdwa v16, v5 dst_sel:DWORD dst_unused:UNUSED_PAD src0_sel:WORD_0
	s_mul_hi_i32 s1, s7, s6
	s_mul_i32 s0, s7, s6
	s_lshl_b64 s[0:1], s[0:1], 1
	s_add_u32 s12, s28, s0
	;;#ASMSTART
	v_pk_mul_f32 v[6:7], v[12:13], v[6:7]
	;;#ASMEND
	v_pk_add_f32 v[12:13], v[18:19], 1.0 op_sel_hi:[1,0]
	;;#ASMSTART
	v_pk_mul_f32 v[4:5], v[10:11], v[12:13]
	;;#ASMEND
	v_pk_add_f32 v[10:11], v[14:15], 1.0 op_sel_hi:[1,0]
	s_addc_u32 s0, s29, s1
	;;#ASMSTART
	v_pk_mul_f32 v[8:9], v[8:9], v[10:11]
	;;#ASMEND
	v_pk_add_f32 v[10:11], v[16:17], 1.0 op_sel_hi:[1,0]
	s_and_b32 s13, s0, 0xffff
	s_mov_b32 s0, 0x7060302
	;;#ASMSTART
	v_pk_mul_f32 v[10:11], v[2:3], v[10:11]
	;;#ASMEND
	v_perm_b32 v2, v7, v6, s0
	v_perm_b32 v3, v5, v4, s0
	;; [unrolled: 1-line block ×4, first 2 shown]
	buffer_store_dwordx4 v[2:5], v1, s[12:15], 0 offen
	;;#ASMSTART
	s_nop 0
	;;#ASMEND
	s_endpgm
	.section	.rodata,"a",@progbits
	.p2align	6, 0x0
	.amdhsa_kernel _ZN5aiter35fused_qk_rmsnorm_group_quant_kernelItN4opus5fp4_tELi128ELi8ELi8ELb0ELb0ELb1ELb0ELb0ELb0EEEvPT0_PvPT_S7_S7_PKS6_S9_S9_S9_S9_ffiiiiiiiiiiiii
		.amdhsa_group_segment_fixed_size 16
		.amdhsa_private_segment_fixed_size 0
		.amdhsa_kernarg_size 400
		.amdhsa_user_sgpr_count 6
		.amdhsa_user_sgpr_private_segment_buffer 1
		.amdhsa_user_sgpr_dispatch_ptr 0
		.amdhsa_user_sgpr_queue_ptr 0
		.amdhsa_user_sgpr_kernarg_segment_ptr 1
		.amdhsa_user_sgpr_dispatch_id 0
		.amdhsa_user_sgpr_flat_scratch_init 0
		.amdhsa_user_sgpr_kernarg_preload_length 0
		.amdhsa_user_sgpr_kernarg_preload_offset 0
		.amdhsa_user_sgpr_private_segment_size 0
		.amdhsa_uses_dynamic_stack 0
		.amdhsa_system_sgpr_private_segment_wavefront_offset 0
		.amdhsa_system_sgpr_workgroup_id_x 1
		.amdhsa_system_sgpr_workgroup_id_y 1
		.amdhsa_system_sgpr_workgroup_id_z 0
		.amdhsa_system_sgpr_workgroup_info 0
		.amdhsa_system_vgpr_workitem_id 0
		.amdhsa_next_free_vgpr 23
		.amdhsa_next_free_sgpr 32
		.amdhsa_accum_offset 24
		.amdhsa_reserve_vcc 1
		.amdhsa_reserve_flat_scratch 0
		.amdhsa_float_round_mode_32 0
		.amdhsa_float_round_mode_16_64 0
		.amdhsa_float_denorm_mode_32 3
		.amdhsa_float_denorm_mode_16_64 3
		.amdhsa_dx10_clamp 1
		.amdhsa_ieee_mode 1
		.amdhsa_fp16_overflow 0
		.amdhsa_tg_split 0
		.amdhsa_exception_fp_ieee_invalid_op 0
		.amdhsa_exception_fp_denorm_src 0
		.amdhsa_exception_fp_ieee_div_zero 0
		.amdhsa_exception_fp_ieee_overflow 0
		.amdhsa_exception_fp_ieee_underflow 0
		.amdhsa_exception_fp_ieee_inexact 0
		.amdhsa_exception_int_div_zero 0
	.end_amdhsa_kernel
	.section	.text._ZN5aiter35fused_qk_rmsnorm_group_quant_kernelItN4opus5fp4_tELi128ELi8ELi8ELb0ELb0ELb1ELb0ELb0ELb0EEEvPT0_PvPT_S7_S7_PKS6_S9_S9_S9_S9_ffiiiiiiiiiiiii,"axG",@progbits,_ZN5aiter35fused_qk_rmsnorm_group_quant_kernelItN4opus5fp4_tELi128ELi8ELi8ELb0ELb0ELb1ELb0ELb0ELb0EEEvPT0_PvPT_S7_S7_PKS6_S9_S9_S9_S9_ffiiiiiiiiiiiii,comdat
.Lfunc_end404:
	.size	_ZN5aiter35fused_qk_rmsnorm_group_quant_kernelItN4opus5fp4_tELi128ELi8ELi8ELb0ELb0ELb1ELb0ELb0ELb0EEEvPT0_PvPT_S7_S7_PKS6_S9_S9_S9_S9_ffiiiiiiiiiiiii, .Lfunc_end404-_ZN5aiter35fused_qk_rmsnorm_group_quant_kernelItN4opus5fp4_tELi128ELi8ELi8ELb0ELb0ELb1ELb0ELb0ELb0EEEvPT0_PvPT_S7_S7_PKS6_S9_S9_S9_S9_ffiiiiiiiiiiiii
                                        ; -- End function
	.section	.AMDGPU.csdata,"",@progbits
; Kernel info:
; codeLenInByte = 2344
; NumSgprs: 36
; NumVgprs: 23
; NumAgprs: 0
; TotalNumVgprs: 23
; ScratchSize: 0
; MemoryBound: 0
; FloatMode: 240
; IeeeMode: 1
; LDSByteSize: 16 bytes/workgroup (compile time only)
; SGPRBlocks: 4
; VGPRBlocks: 2
; NumSGPRsForWavesPerEU: 36
; NumVGPRsForWavesPerEU: 23
; AccumOffset: 24
; Occupancy: 8
; WaveLimiterHint : 0
; COMPUTE_PGM_RSRC2:SCRATCH_EN: 0
; COMPUTE_PGM_RSRC2:USER_SGPR: 6
; COMPUTE_PGM_RSRC2:TRAP_HANDLER: 0
; COMPUTE_PGM_RSRC2:TGID_X_EN: 1
; COMPUTE_PGM_RSRC2:TGID_Y_EN: 1
; COMPUTE_PGM_RSRC2:TGID_Z_EN: 0
; COMPUTE_PGM_RSRC2:TIDIG_COMP_CNT: 0
; COMPUTE_PGM_RSRC3_GFX90A:ACCUM_OFFSET: 5
; COMPUTE_PGM_RSRC3_GFX90A:TG_SPLIT: 0
	.section	.text._ZN5aiter35fused_qk_rmsnorm_group_quant_kernelIDF16_DB8_Li128ELi8ELi8ELb0ELb0ELb0ELb0ELb0ELb0EEEvPT0_PvPT_S6_S6_PKS5_S8_S8_S8_S8_ffiiiiiiiiiiiii,"axG",@progbits,_ZN5aiter35fused_qk_rmsnorm_group_quant_kernelIDF16_DB8_Li128ELi8ELi8ELb0ELb0ELb0ELb0ELb0ELb0EEEvPT0_PvPT_S6_S6_PKS5_S8_S8_S8_S8_ffiiiiiiiiiiiii,comdat
	.protected	_ZN5aiter35fused_qk_rmsnorm_group_quant_kernelIDF16_DB8_Li128ELi8ELi8ELb0ELb0ELb0ELb0ELb0ELb0EEEvPT0_PvPT_S6_S6_PKS5_S8_S8_S8_S8_ffiiiiiiiiiiiii ; -- Begin function _ZN5aiter35fused_qk_rmsnorm_group_quant_kernelIDF16_DB8_Li128ELi8ELi8ELb0ELb0ELb0ELb0ELb0ELb0EEEvPT0_PvPT_S6_S6_PKS5_S8_S8_S8_S8_ffiiiiiiiiiiiii
	.globl	_ZN5aiter35fused_qk_rmsnorm_group_quant_kernelIDF16_DB8_Li128ELi8ELi8ELb0ELb0ELb0ELb0ELb0ELb0EEEvPT0_PvPT_S6_S6_PKS5_S8_S8_S8_S8_ffiiiiiiiiiiiii
	.p2align	8
	.type	_ZN5aiter35fused_qk_rmsnorm_group_quant_kernelIDF16_DB8_Li128ELi8ELi8ELb0ELb0ELb0ELb0ELb0ELb0EEEvPT0_PvPT_S6_S6_PKS5_S8_S8_S8_S8_ffiiiiiiiiiiiii,@function
_ZN5aiter35fused_qk_rmsnorm_group_quant_kernelIDF16_DB8_Li128ELi8ELi8ELb0ELb0ELb0ELb0ELb0ELb0EEEvPT0_PvPT_S6_S6_PKS5_S8_S8_S8_S8_ffiiiiiiiiiiiii: ; @_ZN5aiter35fused_qk_rmsnorm_group_quant_kernelIDF16_DB8_Li128ELi8ELi8ELb0ELb0ELb0ELb0ELb0ELb0EEEvPT0_PvPT_S6_S6_PKS5_S8_S8_S8_S8_ffiiiiiiiiiiiii
; %bb.0:
	s_load_dwordx4 s[16:19], s[4:5], 0x50
	s_waitcnt lgkmcnt(0)
	s_cmp_ge_i32 s6, s18
	s_cbranch_scc1 .LBB405_12
; %bb.1:
	s_load_dwordx2 s[12:13], s[4:5], 0x48
	s_load_dwordx2 s[30:31], s[4:5], 0x30
	s_load_dwordx4 s[20:23], s[4:5], 0x60
	s_cmp_lg_u32 s7, 0
	s_cselect_b64 s[14:15], -1, 0
	s_cmp_eq_u32 s7, 0
	s_cselect_b64 vcc, -1, 0
	s_and_b64 s[0:1], vcc, exec
	s_waitcnt lgkmcnt(0)
	s_cselect_b32 s7, s19, s20
	s_add_i32 s0, s7, 1
	s_lshr_b32 s1, s0, 31
	s_add_i32 s0, s0, s1
	s_lshl_b32 s0, s0, 1
	v_lshlrev_b32_e32 v1, 3, v0
	s_and_b32 s10, s0, -4
	v_cmp_gt_i32_e64 s[2:3], s7, v1
	v_mov_b32_e32 v10, 0
	v_mov_b32_e32 v2, 0
	;; [unrolled: 1-line block ×9, first 2 shown]
	s_and_saveexec_b64 s[0:1], s[2:3]
	s_cbranch_execz .LBB405_3
; %bb.2:
	s_load_dwordx2 s[8:9], s[4:5], 0x28
	s_load_dwordx2 s[26:27], s[4:5], 0x40
	s_and_b64 s[24:25], vcc, exec
	s_cselect_b32 s11, s21, s22
	v_lshlrev_b32_e32 v11, 4, v0
	s_waitcnt lgkmcnt(0)
	s_cselect_b32 s18, s9, s31
	s_cselect_b32 s21, s8, s30
	s_mul_hi_i32 s9, s11, s6
	s_mul_i32 s8, s11, s6
	s_lshl_b64 s[8:9], s[8:9], 1
	s_add_u32 s24, s21, s8
	s_addc_u32 s18, s18, s9
	s_and_b64 s[8:9], vcc, exec
	s_mov_b32 s11, 0x20000
	s_cselect_b32 s8, s26, s12
	s_cselect_b32 s9, s27, s13
	s_and_b32 s25, s18, 0xffff
	s_mov_b32 s26, s10
	s_mov_b32 s27, s11
	s_and_b32 s9, s9, 0xffff
	buffer_load_dwordx4 v[6:9], v11, s[24:27], 0 offen glc slc
	buffer_load_dwordx4 v[2:5], v11, s[8:11], 0 offen
.LBB405_3:
	s_or_b64 exec, exec, s[0:1]
	v_mov_b32_e32 v11, 0
	v_mov_b32_e32 v16, 0
	;; [unrolled: 1-line block ×7, first 2 shown]
	s_and_saveexec_b64 s[0:1], s[2:3]
	s_cbranch_execz .LBB405_5
; %bb.4:
	s_waitcnt vmcnt(1)
	v_cvt_f32_f16_sdwa v11, v6 dst_sel:DWORD dst_unused:UNUSED_PAD src0_sel:WORD_1
	v_cvt_f32_f16_e32 v10, v6
	v_cvt_f32_f16_sdwa v17, v7 dst_sel:DWORD dst_unused:UNUSED_PAD src0_sel:WORD_1
	v_cvt_f32_f16_e32 v16, v7
	;; [unrolled: 2-line block ×4, first 2 shown]
.LBB405_5:
	s_or_b64 exec, exec, s[0:1]
	s_waitcnt vmcnt(1)
	v_mul_f32_e32 v6, v11, v11
	v_fmac_f32_e32 v6, v10, v10
	v_fmac_f32_e32 v6, v16, v16
	;; [unrolled: 1-line block ×7, first 2 shown]
	v_and_b32_e32 v8, 63, v0
	v_cmp_eq_u32_e64 s[0:1], 63, v8
	v_mov_b32_dpp v7, v6 quad_perm:[1,0,3,2] row_mask:0xf bank_mask:0xf
	v_add_f32_e32 v6, v6, v7
	s_nop 1
	v_mov_b32_dpp v7, v6 quad_perm:[2,3,0,1] row_mask:0xf bank_mask:0xf
	v_add_f32_e32 v6, v6, v7
	s_nop 1
	v_mov_b32_dpp v7, v6 row_half_mirror row_mask:0xf bank_mask:0xf
	v_add_f32_e32 v6, v6, v7
	s_nop 1
	v_mov_b32_dpp v7, v6 row_mirror row_mask:0xf bank_mask:0xf
	v_add_f32_e32 v6, v6, v7
	s_nop 1
	v_mov_b32_dpp v7, v6 row_bcast:15 row_mask:0xf bank_mask:0xf
	v_add_f32_e32 v6, v6, v7
	s_nop 1
	v_mov_b32_dpp v7, v6 row_bcast:31 row_mask:0xf bank_mask:0xf
	s_and_saveexec_b64 s[8:9], s[0:1]
	s_cbranch_execz .LBB405_7
; %bb.6:
	v_add_f32_e32 v6, v6, v7
	v_lshrrev_b32_e32 v7, 4, v0
	v_and_b32_e32 v7, 60, v7
	ds_write_b32 v7, v6 offset:8
.LBB405_7:
	s_or_b64 exec, exec, s[8:9]
	v_and_b32_e32 v6, 1, v0
	v_lshlrev_b32_e32 v18, 2, v6
	s_waitcnt lgkmcnt(0)
	s_barrier
	ds_read_b32 v6, v18 offset:8
	s_load_dwordx2 s[28:29], s[4:5], 0x18
	s_waitcnt lgkmcnt(0)
	v_mov_b32_dpp v7, v6 quad_perm:[1,0,3,2] row_mask:0xf bank_mask:0xf
	s_and_saveexec_b64 s[8:9], s[2:3]
	s_cbranch_execz .LBB405_9
; %bb.8:
	v_cvt_f32_u32_e32 v8, s7
	v_add_f32_e32 v6, v6, v7
	v_mov_b32_e32 v19, s17
	v_mov_b32_e32 v20, s16
	v_div_scale_f32 v7, s[24:25], v8, v8, v6
	v_rcp_f32_e32 v9, v7
	v_cndmask_b32_e32 v19, v19, v20, vcc
	s_mov_b32 s7, 0x800000
	v_fma_f32 v20, -v7, v9, 1.0
	v_fmac_f32_e32 v9, v20, v9
	v_div_scale_f32 v20, vcc, v6, v8, v6
	v_mul_f32_e32 v21, v20, v9
	v_fma_f32 v22, -v7, v21, v20
	v_fmac_f32_e32 v21, v22, v9
	v_fma_f32 v7, -v7, v21, v20
	v_div_fmas_f32 v7, v7, v9, v21
	v_div_fixup_f32 v6, v7, v8, v6
	v_add_f32_e32 v6, v19, v6
	v_mul_f32_e32 v7, 0x4b800000, v6
	v_cmp_gt_f32_e32 vcc, s7, v6
	v_cndmask_b32_e32 v6, v6, v7, vcc
	v_rsq_f32_e32 v6, v6
	s_waitcnt vmcnt(0)
	v_cvt_f32_f16_sdwa v21, v5 dst_sel:DWORD dst_unused:UNUSED_PAD src0_sel:WORD_1
	v_cvt_f32_f16_e32 v20, v5
	v_mul_f32_e32 v7, 0x45800000, v6
	v_cndmask_b32_e32 v6, v6, v7, vcc
	v_mov_b32_e32 v7, v6
	;;#ASMSTART
	v_pk_mul_f32 v[8:9], v[10:11], v[6:7]
	;;#ASMEND
	;;#ASMSTART
	v_pk_mul_f32 v[16:17], v[16:17], v[6:7]
	;;#ASMEND
	;; [unrolled: 3-line block ×4, first 2 shown]
	v_cvt_f32_f16_sdwa v11, v2 dst_sel:DWORD dst_unused:UNUSED_PAD src0_sel:WORD_1
	v_cvt_f32_f16_e32 v10, v2
	v_cvt_f32_f16_sdwa v13, v3 dst_sel:DWORD dst_unused:UNUSED_PAD src0_sel:WORD_1
	v_cvt_f32_f16_e32 v12, v3
	;; [unrolled: 2-line block ×3, first 2 shown]
	;;#ASMSTART
	v_pk_mul_f32 v[10:11], v[8:9], v[10:11]
	;;#ASMEND
	;;#ASMSTART
	v_pk_mul_f32 v[16:17], v[16:17], v[12:13]
	;;#ASMEND
	;; [unrolled: 3-line block ×4, first 2 shown]
.LBB405_9:
	s_or_b64 exec, exec, s[8:9]
	s_load_dword s7, s[4:5], 0x80
	s_mov_b64 s[8:9], -1
	s_and_b64 vcc, exec, s[14:15]
	s_cbranch_vccnz .LBB405_13
; %bb.10:
	s_andn2_b64 vcc, exec, s[8:9]
	s_cbranch_vccz .LBB405_16
.LBB405_11:
	s_cmp_lt_i32 s20, 1
	s_cbranch_scc0 .LBB405_23
.LBB405_12:
	s_endpgm
.LBB405_13:
	s_and_saveexec_b64 s[14:15], s[2:3]
	s_cbranch_execz .LBB405_15
; %bb.14:
	s_waitcnt lgkmcnt(0)
	s_mul_hi_i32 s9, s7, s6
	s_mul_i32 s8, s7, s6
	s_waitcnt vmcnt(0)
	v_cvt_f16_f32_e32 v2, v10
	v_cvt_f16_f32_e32 v3, v16
	;; [unrolled: 1-line block ×8, first 2 shown]
	s_lshl_b64 s[8:9], s[8:9], 1
	s_add_u32 s8, s28, s8
	s_addc_u32 s9, s29, s9
	s_and_b32 s9, s9, 0xffff
	s_mov_b32 s11, 0x20000
	v_pack_b32_f16 v5, v5, v6
	v_pack_b32_f16 v4, v4, v7
	;; [unrolled: 1-line block ×4, first 2 shown]
	v_lshlrev_b32_e32 v6, 4, v0
	buffer_store_dwordx4 v[2:5], v6, s[8:11], 0 offen
	;;#ASMSTART
	s_nop 0
	;;#ASMEND
.LBB405_15:
	s_or_b64 exec, exec, s[14:15]
	s_cbranch_execnz .LBB405_11
.LBB405_16:
	s_waitcnt vmcnt(0)
	v_mov_b32_e32 v2, 0
	s_and_saveexec_b64 s[8:9], s[2:3]
	s_cbranch_execz .LBB405_18
; %bb.17:
	v_and_b32_e32 v2, 0x7fffffff, v10
	v_and_b32_e32 v3, 0x7fffffff, v11
	v_mov_b32_e32 v4, 0x2edbe6ff
	;;#ASMSTART
	v_max3_f32 v2, v4, v2, v3

	;;#ASMEND
	v_and_b32_e32 v3, 0x7fffffff, v16
	v_and_b32_e32 v4, 0x7fffffff, v17
	;;#ASMSTART
	v_max3_f32 v2, v2, v3, v4

	;;#ASMEND
	v_and_b32_e32 v3, 0x7fffffff, v14
	v_and_b32_e32 v4, 0x7fffffff, v15
	;; [unrolled: 6-line block ×3, first 2 shown]
	;;#ASMSTART
	v_max3_f32 v2, v2, v3, v4

	;;#ASMEND
.LBB405_18:
	s_or_b64 exec, exec, s[8:9]
	s_load_dwordx4 s[24:27], s[4:5], 0x70
	;;#ASMSTART
	v_max_f32 v3, v2, v2 quad_perm:[1,0,3,2] row_mask:0xf bank_mask:0xf bound_ctrl:1
	;;#ASMEND
	;;#ASMSTART
	v_max_f32 v2, v3, v3 quad_perm:[2,3,0,1] row_mask:0xf bank_mask:0xf bound_ctrl:1
	;;#ASMEND
	;;#ASMSTART
	v_max_f32 v3, v2, v2 row_half_mirror row_mask:0xf bank_mask:0xf bound_ctrl:1
	;;#ASMEND
	v_mul_f32_e32 v2, 0x3b124925, v3
	v_and_b32_e32 v3, 7, v0
	v_cmp_eq_u32_e32 vcc, 0, v3
	v_cmp_gt_i32_e64 s[8:9], s19, v1
	s_and_b64 s[10:11], vcc, s[8:9]
	s_and_saveexec_b64 s[8:9], s[10:11]
	s_cbranch_execz .LBB405_20
; %bb.19:
	s_load_dwordx2 s[10:11], s[4:5], 0x8
	s_waitcnt lgkmcnt(0)
	s_mul_hi_i32 s15, s25, s6
	s_mul_i32 s14, s25, s6
	v_lshrrev_b32_e32 v3, 3, v0
	s_lshl_b64 s[14:15], s[14:15], 2
	v_mad_i64_i32 v[4:5], s[26:27], s26, v3, 0
	s_add_u32 s10, s10, s14
	s_addc_u32 s11, s11, s15
	v_lshlrev_b64 v[4:5], 2, v[4:5]
	v_mov_b32_e32 v3, s11
	v_add_co_u32_e32 v4, vcc, s10, v4
	v_addc_co_u32_e32 v5, vcc, v3, v5, vcc
	global_store_dword v[4:5], v2, off
.LBB405_20:
	s_or_b64 exec, exec, s[8:9]
	;;#ASMSTART
	v_rcp_f32 v2, v2
	;;#ASMEND
	s_and_saveexec_b64 s[14:15], s[2:3]
	s_cbranch_execz .LBB405_22
; %bb.21:
	s_load_dwordx2 s[2:3], s[4:5], 0x0
	s_waitcnt lgkmcnt(0)
	s_mul_i32 s8, s24, s6
	s_mul_hi_i32 s9, s24, s6
	v_mov_b32_e32 v3, v2
	;;#ASMSTART
	v_pk_mul_f32 v[4:5], v[10:11], v[2:3]
	;;#ASMEND
	s_add_u32 s8, s2, s8
	s_addc_u32 s2, s3, s9
	s_add_i32 s3, s19, 3
	s_ashr_i32 s9, s3, 31
	v_mov_b32_e32 v8, 0xc3e00000
	v_mov_b32_e32 v9, 0x43e00000
	;;#ASMSTART
	v_med3_f32 v4, v4, v8, v9
v_med3_f32 v5, v5, v8, v9
v_cvt_pk_fp8_f32 v6, v4, v5
	;;#ASMEND
	s_lshr_b32 s9, s9, 30
	;;#ASMSTART
	v_pk_mul_f32 v[4:5], v[16:17], v[2:3]
	;;#ASMEND
	s_add_i32 s3, s3, s9
	s_and_b32 s9, s2, 0xffff
	;;#ASMSTART
	v_med3_f32 v4, v4, v8, v9
v_med3_f32 v5, v5, v8, v9
v_cvt_pk_fp8_f32 v7, v4, v5
	;;#ASMEND
	s_mov_b32 s2, 0x5040100
	v_perm_b32 v5, v7, v6, s2
	s_movk_i32 s2, 0xff
	v_and_b32_e32 v4, 0xffffff00, v7
	v_and_b32_sdwa v6, v5, s2 dst_sel:DWORD dst_unused:UNUSED_PAD src0_sel:WORD_1 src1_sel:DWORD
	s_mov_b32 s16, 0xffff
	v_or_b32_sdwa v4, v6, v4 dst_sel:WORD_1 dst_unused:UNUSED_PAD src0_sel:DWORD src1_sel:DWORD
	v_and_or_b32 v4, v5, s16, v4
	;;#ASMSTART
	v_pk_mul_f32 v[6:7], v[14:15], v[2:3]
	;;#ASMEND
	v_mov_b32_e32 v5, v7
	;;#ASMSTART
	v_med3_f32 v6, v6, v8, v9
v_med3_f32 v5, v5, v8, v9
v_cvt_pk_fp8_f32 v7, v6, v5
	;;#ASMEND
	;;#ASMSTART
	v_pk_mul_f32 v[2:3], v[12:13], v[2:3]
	;;#ASMEND
	;;#ASMSTART
	v_med3_f32 v2, v2, v8, v9
v_med3_f32 v3, v3, v8, v9
v_cvt_pk_fp8_f32 v5, v2, v3
	;;#ASMEND
	v_lshlrev_b32_e32 v2, 16, v5
	s_and_b32 s10, s3, -4
	s_mov_b32 s11, 0x20000
	v_and_or_b32 v5, v7, s16, v2
	buffer_store_dwordx2 v[4:5], v1, s[8:11], 0 offen
	;;#ASMSTART
	s_nop 0
	;;#ASMEND
.LBB405_22:
	s_or_b64 exec, exec, s[14:15]
	s_cmp_lt_i32 s20, 1
	s_cbranch_scc1 .LBB405_12
.LBB405_23:
	s_load_dword s2, s[4:5], 0x94
	s_waitcnt lgkmcnt(0)
	s_cmp_lg_u32 s2, 1
	s_cbranch_scc1 .LBB405_12
; %bb.24:
	s_lshl_b32 s2, s20, 1
	s_add_i32 s2, s2, 2
	v_cmp_gt_u32_e32 vcc, s20, v1
	s_and_b32 s14, s2, -4
	v_mov_b32_e32 v10, 0
	v_lshlrev_b32_e32 v1, 4, v0
	v_mov_b32_e32 v6, 0
	v_mov_b32_e32 v7, 0
	;; [unrolled: 1-line block ×4, first 2 shown]
	s_waitcnt vmcnt(0)
	v_mov_b32_e32 v2, 0
	v_mov_b32_e32 v3, 0
	v_mov_b32_e32 v4, 0
	v_mov_b32_e32 v5, 0
	s_barrier
	s_and_saveexec_b64 s[2:3], vcc
	s_cbranch_execz .LBB405_26
; %bb.25:
	s_mul_hi_i32 s5, s22, s6
	s_mul_i32 s4, s22, s6
	s_and_b32 s13, s13, 0xffff
	s_lshl_b64 s[4:5], s[4:5], 1
	s_add_u32 s8, s30, s4
	s_mov_b32 s15, 0x20000
	s_addc_u32 s4, s31, s5
	s_and_b32 s9, s4, 0xffff
	s_mov_b32 s10, s14
	s_mov_b32 s11, s15
	buffer_load_dwordx4 v[6:9], v1, s[8:11], 0 offen glc slc
	buffer_load_dwordx4 v[2:5], v1, s[12:15], 0 offen
.LBB405_26:
	s_or_b64 exec, exec, s[2:3]
	v_mov_b32_e32 v11, 0
	v_mov_b32_e32 v16, 0
	;; [unrolled: 1-line block ×7, first 2 shown]
	s_and_saveexec_b64 s[2:3], vcc
	s_cbranch_execz .LBB405_28
; %bb.27:
	s_waitcnt vmcnt(1)
	v_cvt_f32_f16_sdwa v11, v6 dst_sel:DWORD dst_unused:UNUSED_PAD src0_sel:WORD_1
	v_cvt_f32_f16_e32 v10, v6
	v_cvt_f32_f16_sdwa v17, v7 dst_sel:DWORD dst_unused:UNUSED_PAD src0_sel:WORD_1
	v_cvt_f32_f16_e32 v16, v7
	;; [unrolled: 2-line block ×4, first 2 shown]
.LBB405_28:
	s_or_b64 exec, exec, s[2:3]
	s_waitcnt vmcnt(1)
	v_mul_f32_e32 v6, v11, v11
	v_fmac_f32_e32 v6, v10, v10
	v_fmac_f32_e32 v6, v16, v16
	;; [unrolled: 1-line block ×7, first 2 shown]
	s_nop 1
	v_mov_b32_dpp v7, v6 quad_perm:[1,0,3,2] row_mask:0xf bank_mask:0xf
	v_add_f32_e32 v6, v6, v7
	s_nop 1
	v_mov_b32_dpp v7, v6 quad_perm:[2,3,0,1] row_mask:0xf bank_mask:0xf
	v_add_f32_e32 v6, v6, v7
	s_nop 1
	v_mov_b32_dpp v7, v6 row_half_mirror row_mask:0xf bank_mask:0xf
	v_add_f32_e32 v6, v6, v7
	s_nop 1
	v_mov_b32_dpp v7, v6 row_mirror row_mask:0xf bank_mask:0xf
	v_add_f32_e32 v6, v6, v7
	s_nop 1
	v_mov_b32_dpp v7, v6 row_bcast:15 row_mask:0xf bank_mask:0xf
	v_add_f32_e32 v6, v6, v7
	s_nop 1
	v_mov_b32_dpp v7, v6 row_bcast:31 row_mask:0xf bank_mask:0xf
	s_and_saveexec_b64 s[2:3], s[0:1]
	s_cbranch_execz .LBB405_30
; %bb.29:
	v_lshrrev_b32_e32 v0, 4, v0
	v_add_f32_e32 v6, v6, v7
	v_and_b32_e32 v0, 60, v0
	ds_write_b32 v0, v6
.LBB405_30:
	s_or_b64 exec, exec, s[2:3]
	s_waitcnt lgkmcnt(0)
	s_barrier
	ds_read_b32 v0, v18
	s_waitcnt lgkmcnt(0)
	s_nop 0
	v_mov_b32_dpp v6, v0 quad_perm:[1,0,3,2] row_mask:0xf bank_mask:0xf
	s_and_saveexec_b64 s[0:1], vcc
	s_cbranch_execz .LBB405_12
; %bb.31:
	v_cvt_f32_u32_e32 v7, s20
	v_add_f32_e32 v0, v0, v6
	s_mov_b32 s15, 0x20000
	v_div_scale_f32 v6, s[0:1], v7, v7, v0
	v_rcp_f32_e32 v8, v6
	v_div_scale_f32 v9, vcc, v0, v7, v0
	s_mov_b32 s0, 0x800000
	v_fma_f32 v18, -v6, v8, 1.0
	v_fmac_f32_e32 v8, v18, v8
	v_mul_f32_e32 v18, v9, v8
	v_fma_f32 v19, -v6, v18, v9
	v_fmac_f32_e32 v18, v19, v8
	v_fma_f32 v6, -v6, v18, v9
	v_div_fmas_f32 v6, v6, v8, v18
	v_div_fixup_f32 v0, v6, v7, v0
	v_add_f32_e32 v0, s17, v0
	v_mul_f32_e32 v6, 0x4b800000, v0
	v_cmp_gt_f32_e32 vcc, s0, v0
	v_cndmask_b32_e32 v0, v0, v6, vcc
	v_rsq_f32_e32 v0, v0
	s_waitcnt vmcnt(0)
	v_cvt_f32_f16_sdwa v19, v5 dst_sel:DWORD dst_unused:UNUSED_PAD src0_sel:WORD_1
	v_cvt_f32_f16_e32 v18, v5
	s_mul_hi_i32 s1, s7, s6
	v_mul_f32_e32 v6, 0x45800000, v0
	v_cndmask_b32_e32 v6, v0, v6, vcc
	v_mov_b32_e32 v7, v6
	;;#ASMSTART
	v_pk_mul_f32 v[8:9], v[10:11], v[6:7]
	;;#ASMEND
	;;#ASMSTART
	v_pk_mul_f32 v[10:11], v[16:17], v[6:7]
	;;#ASMEND
	;; [unrolled: 3-line block ×4, first 2 shown]
	v_cvt_f32_f16_sdwa v13, v2 dst_sel:DWORD dst_unused:UNUSED_PAD src0_sel:WORD_1
	v_cvt_f32_f16_e32 v12, v2
	v_cvt_f32_f16_sdwa v17, v3 dst_sel:DWORD dst_unused:UNUSED_PAD src0_sel:WORD_1
	v_cvt_f32_f16_e32 v16, v3
	v_cvt_f32_f16_sdwa v3, v4 dst_sel:DWORD dst_unused:UNUSED_PAD src0_sel:WORD_1
	v_cvt_f32_f16_e32 v2, v4
	;;#ASMSTART
	v_pk_mul_f32 v[4:5], v[8:9], v[12:13]
	;;#ASMEND
	;;#ASMSTART
	v_pk_mul_f32 v[8:9], v[10:11], v[16:17]
	;;#ASMEND
	;; [unrolled: 3-line block ×4, first 2 shown]
	s_mul_i32 s0, s7, s6
	v_cvt_f16_f32_e32 v0, v4
	v_cvt_f16_f32_e32 v4, v5
	;; [unrolled: 1-line block ×8, first 2 shown]
	s_lshl_b64 s[0:1], s[0:1], 1
	s_add_u32 s12, s28, s0
	s_addc_u32 s0, s29, s1
	s_and_b32 s13, s0, 0xffff
	v_pack_b32_f16 v2, v0, v4
	v_pack_b32_f16 v3, v5, v8
	;; [unrolled: 1-line block ×4, first 2 shown]
	buffer_store_dwordx4 v[2:5], v1, s[12:15], 0 offen
	;;#ASMSTART
	s_nop 0
	;;#ASMEND
	s_endpgm
	.section	.rodata,"a",@progbits
	.p2align	6, 0x0
	.amdhsa_kernel _ZN5aiter35fused_qk_rmsnorm_group_quant_kernelIDF16_DB8_Li128ELi8ELi8ELb0ELb0ELb0ELb0ELb0ELb0EEEvPT0_PvPT_S6_S6_PKS5_S8_S8_S8_S8_ffiiiiiiiiiiiii
		.amdhsa_group_segment_fixed_size 16
		.amdhsa_private_segment_fixed_size 0
		.amdhsa_kernarg_size 400
		.amdhsa_user_sgpr_count 6
		.amdhsa_user_sgpr_private_segment_buffer 1
		.amdhsa_user_sgpr_dispatch_ptr 0
		.amdhsa_user_sgpr_queue_ptr 0
		.amdhsa_user_sgpr_kernarg_segment_ptr 1
		.amdhsa_user_sgpr_dispatch_id 0
		.amdhsa_user_sgpr_flat_scratch_init 0
		.amdhsa_user_sgpr_kernarg_preload_length 0
		.amdhsa_user_sgpr_kernarg_preload_offset 0
		.amdhsa_user_sgpr_private_segment_size 0
		.amdhsa_uses_dynamic_stack 0
		.amdhsa_system_sgpr_private_segment_wavefront_offset 0
		.amdhsa_system_sgpr_workgroup_id_x 1
		.amdhsa_system_sgpr_workgroup_id_y 1
		.amdhsa_system_sgpr_workgroup_id_z 0
		.amdhsa_system_sgpr_workgroup_info 0
		.amdhsa_system_vgpr_workitem_id 0
		.amdhsa_next_free_vgpr 23
		.amdhsa_next_free_sgpr 32
		.amdhsa_accum_offset 24
		.amdhsa_reserve_vcc 1
		.amdhsa_reserve_flat_scratch 0
		.amdhsa_float_round_mode_32 0
		.amdhsa_float_round_mode_16_64 0
		.amdhsa_float_denorm_mode_32 3
		.amdhsa_float_denorm_mode_16_64 3
		.amdhsa_dx10_clamp 1
		.amdhsa_ieee_mode 1
		.amdhsa_fp16_overflow 0
		.amdhsa_tg_split 0
		.amdhsa_exception_fp_ieee_invalid_op 0
		.amdhsa_exception_fp_denorm_src 0
		.amdhsa_exception_fp_ieee_div_zero 0
		.amdhsa_exception_fp_ieee_overflow 0
		.amdhsa_exception_fp_ieee_underflow 0
		.amdhsa_exception_fp_ieee_inexact 0
		.amdhsa_exception_int_div_zero 0
	.end_amdhsa_kernel
	.section	.text._ZN5aiter35fused_qk_rmsnorm_group_quant_kernelIDF16_DB8_Li128ELi8ELi8ELb0ELb0ELb0ELb0ELb0ELb0EEEvPT0_PvPT_S6_S6_PKS5_S8_S8_S8_S8_ffiiiiiiiiiiiii,"axG",@progbits,_ZN5aiter35fused_qk_rmsnorm_group_quant_kernelIDF16_DB8_Li128ELi8ELi8ELb0ELb0ELb0ELb0ELb0ELb0EEEvPT0_PvPT_S6_S6_PKS5_S8_S8_S8_S8_ffiiiiiiiiiiiii,comdat
.Lfunc_end405:
	.size	_ZN5aiter35fused_qk_rmsnorm_group_quant_kernelIDF16_DB8_Li128ELi8ELi8ELb0ELb0ELb0ELb0ELb0ELb0EEEvPT0_PvPT_S6_S6_PKS5_S8_S8_S8_S8_ffiiiiiiiiiiiii, .Lfunc_end405-_ZN5aiter35fused_qk_rmsnorm_group_quant_kernelIDF16_DB8_Li128ELi8ELi8ELb0ELb0ELb0ELb0ELb0ELb0EEEvPT0_PvPT_S6_S6_PKS5_S8_S8_S8_S8_ffiiiiiiiiiiiii
                                        ; -- End function
	.section	.AMDGPU.csdata,"",@progbits
; Kernel info:
; codeLenInByte = 2448
; NumSgprs: 36
; NumVgprs: 23
; NumAgprs: 0
; TotalNumVgprs: 23
; ScratchSize: 0
; MemoryBound: 0
; FloatMode: 240
; IeeeMode: 1
; LDSByteSize: 16 bytes/workgroup (compile time only)
; SGPRBlocks: 4
; VGPRBlocks: 2
; NumSGPRsForWavesPerEU: 36
; NumVGPRsForWavesPerEU: 23
; AccumOffset: 24
; Occupancy: 8
; WaveLimiterHint : 0
; COMPUTE_PGM_RSRC2:SCRATCH_EN: 0
; COMPUTE_PGM_RSRC2:USER_SGPR: 6
; COMPUTE_PGM_RSRC2:TRAP_HANDLER: 0
; COMPUTE_PGM_RSRC2:TGID_X_EN: 1
; COMPUTE_PGM_RSRC2:TGID_Y_EN: 1
; COMPUTE_PGM_RSRC2:TGID_Z_EN: 0
; COMPUTE_PGM_RSRC2:TIDIG_COMP_CNT: 0
; COMPUTE_PGM_RSRC3_GFX90A:ACCUM_OFFSET: 5
; COMPUTE_PGM_RSRC3_GFX90A:TG_SPLIT: 0
	.section	.text._ZN5aiter35fused_qk_rmsnorm_group_quant_kernelItDB8_Li128ELi8ELi8ELb0ELb0ELb0ELb0ELb0ELb0EEEvPT0_PvPT_S6_S6_PKS5_S8_S8_S8_S8_ffiiiiiiiiiiiii,"axG",@progbits,_ZN5aiter35fused_qk_rmsnorm_group_quant_kernelItDB8_Li128ELi8ELi8ELb0ELb0ELb0ELb0ELb0ELb0EEEvPT0_PvPT_S6_S6_PKS5_S8_S8_S8_S8_ffiiiiiiiiiiiii,comdat
	.protected	_ZN5aiter35fused_qk_rmsnorm_group_quant_kernelItDB8_Li128ELi8ELi8ELb0ELb0ELb0ELb0ELb0ELb0EEEvPT0_PvPT_S6_S6_PKS5_S8_S8_S8_S8_ffiiiiiiiiiiiii ; -- Begin function _ZN5aiter35fused_qk_rmsnorm_group_quant_kernelItDB8_Li128ELi8ELi8ELb0ELb0ELb0ELb0ELb0ELb0EEEvPT0_PvPT_S6_S6_PKS5_S8_S8_S8_S8_ffiiiiiiiiiiiii
	.globl	_ZN5aiter35fused_qk_rmsnorm_group_quant_kernelItDB8_Li128ELi8ELi8ELb0ELb0ELb0ELb0ELb0ELb0EEEvPT0_PvPT_S6_S6_PKS5_S8_S8_S8_S8_ffiiiiiiiiiiiii
	.p2align	8
	.type	_ZN5aiter35fused_qk_rmsnorm_group_quant_kernelItDB8_Li128ELi8ELi8ELb0ELb0ELb0ELb0ELb0ELb0EEEvPT0_PvPT_S6_S6_PKS5_S8_S8_S8_S8_ffiiiiiiiiiiiii,@function
_ZN5aiter35fused_qk_rmsnorm_group_quant_kernelItDB8_Li128ELi8ELi8ELb0ELb0ELb0ELb0ELb0ELb0EEEvPT0_PvPT_S6_S6_PKS5_S8_S8_S8_S8_ffiiiiiiiiiiiii: ; @_ZN5aiter35fused_qk_rmsnorm_group_quant_kernelItDB8_Li128ELi8ELi8ELb0ELb0ELb0ELb0ELb0ELb0EEEvPT0_PvPT_S6_S6_PKS5_S8_S8_S8_S8_ffiiiiiiiiiiiii
; %bb.0:
	s_load_dwordx4 s[16:19], s[4:5], 0x50
	s_waitcnt lgkmcnt(0)
	s_cmp_ge_i32 s6, s18
	s_cbranch_scc1 .LBB406_10
; %bb.1:
	s_load_dwordx2 s[12:13], s[4:5], 0x48
	s_load_dwordx2 s[30:31], s[4:5], 0x30
	s_load_dwordx4 s[20:23], s[4:5], 0x60
	s_cmp_lg_u32 s7, 0
	s_cselect_b64 s[14:15], -1, 0
	s_cmp_eq_u32 s7, 0
	s_cselect_b64 vcc, -1, 0
	s_and_b64 s[0:1], vcc, exec
	s_waitcnt lgkmcnt(0)
	s_cselect_b32 s7, s19, s20
	s_add_i32 s0, s7, 1
	s_lshr_b32 s1, s0, 31
	s_add_i32 s0, s0, s1
	s_lshl_b32 s0, s0, 1
	v_lshlrev_b32_e32 v1, 3, v0
	s_and_b32 s10, s0, -4
	v_cmp_gt_i32_e64 s[2:3], s7, v1
	v_mov_b32_e32 v2, 0
	v_mov_b32_e32 v3, 0
	v_mov_b32_e32 v4, 0
	v_mov_b32_e32 v5, 0
	v_mov_b32_e32 v6, 0
	v_mov_b32_e32 v7, 0
	v_mov_b32_e32 v8, 0
	v_mov_b32_e32 v9, 0
	s_and_saveexec_b64 s[0:1], s[2:3]
	s_cbranch_execz .LBB406_3
; %bb.2:
	s_load_dwordx2 s[8:9], s[4:5], 0x28
	s_load_dwordx2 s[26:27], s[4:5], 0x40
	s_and_b64 s[24:25], vcc, exec
	s_cselect_b32 s11, s21, s22
	v_lshlrev_b32_e32 v10, 4, v0
	s_waitcnt lgkmcnt(0)
	s_cselect_b32 s18, s9, s31
	s_cselect_b32 s21, s8, s30
	s_mul_hi_i32 s9, s11, s6
	s_mul_i32 s8, s11, s6
	s_lshl_b64 s[8:9], s[8:9], 1
	s_add_u32 s24, s21, s8
	s_addc_u32 s18, s18, s9
	s_and_b64 s[8:9], vcc, exec
	s_mov_b32 s11, 0x20000
	s_cselect_b32 s8, s26, s12
	s_cselect_b32 s9, s27, s13
	s_and_b32 s25, s18, 0xffff
	s_mov_b32 s26, s10
	s_mov_b32 s27, s11
	s_and_b32 s9, s9, 0xffff
	buffer_load_dwordx4 v[6:9], v10, s[24:27], 0 offen glc slc
	buffer_load_dwordx4 v[2:5], v10, s[8:11], 0 offen
.LBB406_3:
	s_or_b64 exec, exec, s[0:1]
	s_waitcnt vmcnt(1)
	v_cvt_f32_u32_sdwa v13, v6 dst_sel:DWORD dst_unused:UNUSED_PAD src0_sel:WORD_1
	v_cvt_f32_u32_sdwa v12, v6 dst_sel:DWORD dst_unused:UNUSED_PAD src0_sel:WORD_0
	v_cvt_f32_u32_sdwa v6, v9 dst_sel:DWORD dst_unused:UNUSED_PAD src0_sel:WORD_1
	v_cvt_f32_u32_sdwa v9, v9 dst_sel:DWORD dst_unused:UNUSED_PAD src0_sel:WORD_0
	;; [unrolled: 2-line block ×4, first 2 shown]
	v_cndmask_b32_e64 v13, 0, v13, s[2:3]
	v_cndmask_b32_e64 v7, 0, v6, s[2:3]
	;; [unrolled: 1-line block ×5, first 2 shown]
	v_mul_f32_e32 v14, v13, v13
	v_cndmask_b32_e64 v10, 0, v10, s[2:3]
	v_fmac_f32_e32 v14, v12, v12
	v_cndmask_b32_e64 v11, 0, v11, s[2:3]
	v_fmac_f32_e32 v14, v10, v10
	;; [unrolled: 2-line block ×3, first 2 shown]
	v_fmac_f32_e32 v14, v8, v8
	v_fmac_f32_e32 v14, v9, v9
	;; [unrolled: 1-line block ×4, first 2 shown]
	v_and_b32_e32 v16, 63, v0
	v_cmp_eq_u32_e64 s[0:1], 63, v16
	v_mov_b32_dpp v15, v14 quad_perm:[1,0,3,2] row_mask:0xf bank_mask:0xf
	v_add_f32_e32 v14, v14, v15
	s_nop 1
	v_mov_b32_dpp v15, v14 quad_perm:[2,3,0,1] row_mask:0xf bank_mask:0xf
	v_add_f32_e32 v14, v14, v15
	s_nop 1
	v_mov_b32_dpp v15, v14 row_half_mirror row_mask:0xf bank_mask:0xf
	v_add_f32_e32 v14, v14, v15
	s_nop 1
	v_mov_b32_dpp v15, v14 row_mirror row_mask:0xf bank_mask:0xf
	v_add_f32_e32 v14, v14, v15
	s_nop 1
	v_mov_b32_dpp v15, v14 row_bcast:15 row_mask:0xf bank_mask:0xf
	v_add_f32_e32 v14, v14, v15
	s_nop 1
	v_mov_b32_dpp v15, v14 row_bcast:31 row_mask:0xf bank_mask:0xf
	s_and_saveexec_b64 s[8:9], s[0:1]
	s_cbranch_execz .LBB406_5
; %bb.4:
	v_add_f32_e32 v14, v14, v15
	v_lshrrev_b32_e32 v15, 4, v0
	v_and_b32_e32 v15, 60, v15
	ds_write_b32 v15, v14 offset:8
.LBB406_5:
	s_or_b64 exec, exec, s[8:9]
	v_and_b32_e32 v14, 1, v0
	v_lshlrev_b32_e32 v14, 2, v14
	s_waitcnt lgkmcnt(0)
	s_barrier
	ds_read_b32 v15, v14 offset:8
	s_load_dwordx2 s[28:29], s[4:5], 0x18
	s_waitcnt lgkmcnt(0)
	v_mov_b32_dpp v16, v15 quad_perm:[1,0,3,2] row_mask:0xf bank_mask:0xf
	s_and_saveexec_b64 s[8:9], s[2:3]
	s_cbranch_execz .LBB406_7
; %bb.6:
	v_cvt_f32_u32_e32 v17, s7
	v_add_f32_e32 v15, v15, v16
	v_mov_b32_e32 v19, s17
	v_mov_b32_e32 v20, s16
	v_div_scale_f32 v16, s[24:25], v17, v17, v15
	v_rcp_f32_e32 v18, v16
	v_cndmask_b32_e32 v19, v19, v20, vcc
	s_mov_b32 s7, 0x800000
	v_fma_f32 v20, -v16, v18, 1.0
	v_fmac_f32_e32 v18, v20, v18
	v_div_scale_f32 v20, vcc, v15, v17, v15
	v_mul_f32_e32 v21, v20, v18
	v_fma_f32 v22, -v16, v21, v20
	v_fmac_f32_e32 v21, v22, v18
	v_fma_f32 v16, -v16, v21, v20
	v_div_fmas_f32 v16, v16, v18, v21
	v_div_fixup_f32 v15, v16, v17, v15
	v_add_f32_e32 v15, v19, v15
	v_mul_f32_e32 v16, 0x4b800000, v15
	v_cmp_gt_f32_e32 vcc, s7, v15
	v_cndmask_b32_e32 v15, v15, v16, vcc
	v_rsq_f32_e32 v15, v15
	s_waitcnt vmcnt(0)
	v_cvt_f32_u32_sdwa v19, v3 dst_sel:DWORD dst_unused:UNUSED_PAD src0_sel:WORD_1
	v_cvt_f32_u32_sdwa v18, v3 dst_sel:DWORD dst_unused:UNUSED_PAD src0_sel:WORD_0
	v_cvt_f32_u32_sdwa v3, v4 dst_sel:DWORD dst_unused:UNUSED_PAD src0_sel:WORD_1
	v_mul_f32_e32 v16, 0x45800000, v15
	v_cndmask_b32_e32 v16, v15, v16, vcc
	v_mov_b32_e32 v17, v16
	;;#ASMSTART
	v_pk_mul_f32 v[12:13], v[12:13], v[16:17]
	;;#ASMEND
	;;#ASMSTART
	v_pk_mul_f32 v[10:11], v[10:11], v[16:17]
	;;#ASMEND
	;; [unrolled: 3-line block ×4, first 2 shown]
	v_cvt_f32_u32_sdwa v17, v2 dst_sel:DWORD dst_unused:UNUSED_PAD src0_sel:WORD_1
	v_cvt_f32_u32_sdwa v16, v2 dst_sel:DWORD dst_unused:UNUSED_PAD src0_sel:WORD_0
	v_cvt_f32_u32_sdwa v2, v4 dst_sel:DWORD dst_unused:UNUSED_PAD src0_sel:WORD_0
	v_cvt_f32_u32_sdwa v21, v5 dst_sel:DWORD dst_unused:UNUSED_PAD src0_sel:WORD_1
	v_cvt_f32_u32_sdwa v20, v5 dst_sel:DWORD dst_unused:UNUSED_PAD src0_sel:WORD_0
	;;#ASMSTART
	v_pk_mul_f32 v[12:13], v[12:13], v[16:17]
	;;#ASMEND
	;;#ASMSTART
	v_pk_mul_f32 v[10:11], v[10:11], v[18:19]
	;;#ASMEND
	;; [unrolled: 3-line block ×4, first 2 shown]
.LBB406_7:
	s_or_b64 exec, exec, s[8:9]
	s_load_dword s7, s[4:5], 0x80
	s_mov_b64 s[8:9], -1
	s_and_b64 vcc, exec, s[14:15]
	s_cbranch_vccnz .LBB406_11
; %bb.8:
	s_andn2_b64 vcc, exec, s[8:9]
	s_cbranch_vccz .LBB406_14
.LBB406_9:
	s_cmp_lt_i32 s20, 1
	s_cbranch_scc0 .LBB406_21
.LBB406_10:
	s_endpgm
.LBB406_11:
	s_and_saveexec_b64 s[14:15], s[2:3]
	s_cbranch_execz .LBB406_13
; %bb.12:
	s_waitcnt lgkmcnt(0)
	s_mul_hi_i32 s9, s7, s6
	s_mul_i32 s8, s7, s6
	s_lshl_b64 s[8:9], s[8:9], 1
	s_add_u32 s8, s28, s8
	s_addc_u32 s9, s29, s9
	s_mov_b32 s16, 0x7060302
	s_and_b32 s9, s9, 0xffff
	s_mov_b32 s11, 0x20000
	s_waitcnt vmcnt(0)
	v_perm_b32 v2, v13, v12, s16
	v_perm_b32 v3, v11, v10, s16
	v_perm_b32 v4, v9, v8, s16
	v_perm_b32 v5, v7, v6, s16
	v_lshlrev_b32_e32 v15, 4, v0
	buffer_store_dwordx4 v[2:5], v15, s[8:11], 0 offen
	;;#ASMSTART
	s_nop 0
	;;#ASMEND
.LBB406_13:
	s_or_b64 exec, exec, s[14:15]
	s_cbranch_execnz .LBB406_9
.LBB406_14:
	s_waitcnt vmcnt(0)
	v_mov_b32_e32 v2, 0
	s_and_saveexec_b64 s[8:9], s[2:3]
	s_cbranch_execz .LBB406_16
; %bb.15:
	v_and_b32_e32 v2, 0x7fffffff, v12
	v_and_b32_e32 v3, 0x7fffffff, v13
	v_mov_b32_e32 v4, 0x2edbe6ff
	;;#ASMSTART
	v_max3_f32 v2, v4, v2, v3

	;;#ASMEND
	v_and_b32_e32 v3, 0x7fffffff, v10
	v_and_b32_e32 v4, 0x7fffffff, v11
	;;#ASMSTART
	v_max3_f32 v2, v2, v3, v4

	;;#ASMEND
	v_and_b32_e32 v3, 0x7fffffff, v8
	v_and_b32_e32 v4, 0x7fffffff, v9
	;; [unrolled: 6-line block ×3, first 2 shown]
	;;#ASMSTART
	v_max3_f32 v2, v2, v3, v4

	;;#ASMEND
.LBB406_16:
	s_or_b64 exec, exec, s[8:9]
	s_load_dwordx4 s[24:27], s[4:5], 0x70
	;;#ASMSTART
	v_max_f32 v3, v2, v2 quad_perm:[1,0,3,2] row_mask:0xf bank_mask:0xf bound_ctrl:1
	;;#ASMEND
	;;#ASMSTART
	v_max_f32 v2, v3, v3 quad_perm:[2,3,0,1] row_mask:0xf bank_mask:0xf bound_ctrl:1
	;;#ASMEND
	;;#ASMSTART
	v_max_f32 v3, v2, v2 row_half_mirror row_mask:0xf bank_mask:0xf bound_ctrl:1
	;;#ASMEND
	v_mul_f32_e32 v2, 0x3b124925, v3
	v_and_b32_e32 v3, 7, v0
	v_cmp_eq_u32_e32 vcc, 0, v3
	v_cmp_gt_i32_e64 s[8:9], s19, v1
	s_and_b64 s[10:11], vcc, s[8:9]
	s_and_saveexec_b64 s[8:9], s[10:11]
	s_cbranch_execz .LBB406_18
; %bb.17:
	s_load_dwordx2 s[10:11], s[4:5], 0x8
	s_waitcnt lgkmcnt(0)
	s_mul_hi_i32 s15, s25, s6
	s_mul_i32 s14, s25, s6
	v_lshrrev_b32_e32 v3, 3, v0
	s_lshl_b64 s[14:15], s[14:15], 2
	v_mad_i64_i32 v[4:5], s[26:27], s26, v3, 0
	s_add_u32 s10, s10, s14
	s_addc_u32 s11, s11, s15
	v_lshlrev_b64 v[4:5], 2, v[4:5]
	v_mov_b32_e32 v3, s11
	v_add_co_u32_e32 v4, vcc, s10, v4
	v_addc_co_u32_e32 v5, vcc, v3, v5, vcc
	global_store_dword v[4:5], v2, off
.LBB406_18:
	s_or_b64 exec, exec, s[8:9]
	;;#ASMSTART
	v_rcp_f32 v2, v2
	;;#ASMEND
	s_and_saveexec_b64 s[14:15], s[2:3]
	s_cbranch_execz .LBB406_20
; %bb.19:
	s_load_dwordx2 s[2:3], s[4:5], 0x0
	s_waitcnt lgkmcnt(0)
	s_mul_i32 s8, s24, s6
	s_mul_hi_i32 s9, s24, s6
	v_mov_b32_e32 v3, v2
	;;#ASMSTART
	v_pk_mul_f32 v[4:5], v[12:13], v[2:3]
	;;#ASMEND
	s_add_u32 s8, s2, s8
	s_addc_u32 s2, s3, s9
	s_add_i32 s3, s19, 3
	s_ashr_i32 s9, s3, 31
	v_mov_b32_e32 v12, 0xc3e00000
	v_mov_b32_e32 v13, 0x43e00000
	;;#ASMSTART
	v_med3_f32 v4, v4, v12, v13
v_med3_f32 v5, v5, v12, v13
v_cvt_pk_fp8_f32 v15, v4, v5
	;;#ASMEND
	s_lshr_b32 s9, s9, 30
	;;#ASMSTART
	v_pk_mul_f32 v[4:5], v[10:11], v[2:3]
	;;#ASMEND
	s_add_i32 s3, s3, s9
	s_and_b32 s9, s2, 0xffff
	;;#ASMSTART
	v_med3_f32 v4, v4, v12, v13
v_med3_f32 v5, v5, v12, v13
v_cvt_pk_fp8_f32 v10, v4, v5
	;;#ASMEND
	s_mov_b32 s2, 0x5040100
	v_perm_b32 v5, v10, v15, s2
	s_movk_i32 s2, 0xff
	v_and_b32_e32 v4, 0xffffff00, v10
	v_and_b32_sdwa v10, v5, s2 dst_sel:DWORD dst_unused:UNUSED_PAD src0_sel:WORD_1 src1_sel:DWORD
	s_mov_b32 s16, 0xffff
	v_or_b32_sdwa v4, v10, v4 dst_sel:WORD_1 dst_unused:UNUSED_PAD src0_sel:DWORD src1_sel:DWORD
	v_and_or_b32 v4, v5, s16, v4
	;;#ASMSTART
	v_pk_mul_f32 v[8:9], v[8:9], v[2:3]
	;;#ASMEND
	v_mov_b32_e32 v5, v9
	;;#ASMSTART
	v_med3_f32 v8, v8, v12, v13
v_med3_f32 v5, v5, v12, v13
v_cvt_pk_fp8_f32 v9, v8, v5
	;;#ASMEND
	;;#ASMSTART
	v_pk_mul_f32 v[2:3], v[6:7], v[2:3]
	;;#ASMEND
	;;#ASMSTART
	v_med3_f32 v2, v2, v12, v13
v_med3_f32 v3, v3, v12, v13
v_cvt_pk_fp8_f32 v5, v2, v3
	;;#ASMEND
	v_lshlrev_b32_e32 v2, 16, v5
	s_and_b32 s10, s3, -4
	s_mov_b32 s11, 0x20000
	v_and_or_b32 v5, v9, s16, v2
	buffer_store_dwordx2 v[4:5], v1, s[8:11], 0 offen
	;;#ASMSTART
	s_nop 0
	;;#ASMEND
.LBB406_20:
	s_or_b64 exec, exec, s[14:15]
	s_cmp_lt_i32 s20, 1
	s_cbranch_scc1 .LBB406_10
.LBB406_21:
	s_load_dword s2, s[4:5], 0x94
	s_waitcnt lgkmcnt(0)
	s_cmp_lg_u32 s2, 1
	s_cbranch_scc1 .LBB406_10
; %bb.22:
	s_lshl_b32 s2, s20, 1
	s_add_i32 s2, s2, 2
	v_cmp_gt_u32_e32 vcc, s20, v1
	s_and_b32 s14, s2, -4
	v_mov_b32_e32 v6, 0
	v_lshlrev_b32_e32 v1, 4, v0
	v_mov_b32_e32 v7, 0
	v_mov_b32_e32 v8, 0
	;; [unrolled: 1-line block ×3, first 2 shown]
	s_waitcnt vmcnt(0)
	v_mov_b32_e32 v2, 0
	v_mov_b32_e32 v3, 0
	v_mov_b32_e32 v4, 0
	v_mov_b32_e32 v5, 0
	s_barrier
	s_and_saveexec_b64 s[2:3], vcc
	s_cbranch_execz .LBB406_24
; %bb.23:
	s_mul_hi_i32 s5, s22, s6
	s_mul_i32 s4, s22, s6
	s_and_b32 s13, s13, 0xffff
	s_lshl_b64 s[4:5], s[4:5], 1
	s_add_u32 s8, s30, s4
	s_mov_b32 s15, 0x20000
	s_addc_u32 s4, s31, s5
	s_and_b32 s9, s4, 0xffff
	s_mov_b32 s10, s14
	s_mov_b32 s11, s15
	buffer_load_dwordx4 v[6:9], v1, s[8:11], 0 offen glc slc
	buffer_load_dwordx4 v[2:5], v1, s[12:15], 0 offen
.LBB406_24:
	s_or_b64 exec, exec, s[2:3]
	s_waitcnt vmcnt(1)
	v_cvt_f32_u32_sdwa v13, v6 dst_sel:DWORD dst_unused:UNUSED_PAD src0_sel:WORD_1
	v_cvt_f32_u32_sdwa v12, v6 dst_sel:DWORD dst_unused:UNUSED_PAD src0_sel:WORD_0
	v_cvt_f32_u32_sdwa v6, v9 dst_sel:DWORD dst_unused:UNUSED_PAD src0_sel:WORD_1
	v_cvt_f32_u32_sdwa v9, v9 dst_sel:DWORD dst_unused:UNUSED_PAD src0_sel:WORD_0
	;; [unrolled: 2-line block ×4, first 2 shown]
	v_cndmask_b32_e32 v13, 0, v13, vcc
	v_cndmask_b32_e32 v7, 0, v6, vcc
	;; [unrolled: 1-line block ×5, first 2 shown]
	v_mul_f32_e32 v15, v13, v13
	v_cndmask_b32_e32 v10, 0, v10, vcc
	v_fmac_f32_e32 v15, v12, v12
	v_cndmask_b32_e32 v11, 0, v11, vcc
	v_fmac_f32_e32 v15, v10, v10
	;; [unrolled: 2-line block ×3, first 2 shown]
	v_fmac_f32_e32 v15, v8, v8
	v_fmac_f32_e32 v15, v9, v9
	;; [unrolled: 1-line block ×4, first 2 shown]
	s_nop 1
	v_mov_b32_dpp v16, v15 quad_perm:[1,0,3,2] row_mask:0xf bank_mask:0xf
	v_add_f32_e32 v15, v15, v16
	s_nop 1
	v_mov_b32_dpp v16, v15 quad_perm:[2,3,0,1] row_mask:0xf bank_mask:0xf
	v_add_f32_e32 v15, v15, v16
	s_nop 1
	v_mov_b32_dpp v16, v15 row_half_mirror row_mask:0xf bank_mask:0xf
	v_add_f32_e32 v15, v15, v16
	s_nop 1
	v_mov_b32_dpp v16, v15 row_mirror row_mask:0xf bank_mask:0xf
	v_add_f32_e32 v15, v15, v16
	s_nop 1
	v_mov_b32_dpp v16, v15 row_bcast:15 row_mask:0xf bank_mask:0xf
	v_add_f32_e32 v15, v15, v16
	s_nop 1
	v_mov_b32_dpp v16, v15 row_bcast:31 row_mask:0xf bank_mask:0xf
	s_and_saveexec_b64 s[2:3], s[0:1]
	s_cbranch_execz .LBB406_26
; %bb.25:
	v_lshrrev_b32_e32 v0, 4, v0
	v_add_f32_e32 v15, v15, v16
	v_and_b32_e32 v0, 60, v0
	ds_write_b32 v0, v15
.LBB406_26:
	s_or_b64 exec, exec, s[2:3]
	s_waitcnt lgkmcnt(0)
	s_barrier
	ds_read_b32 v0, v14
	s_waitcnt lgkmcnt(0)
	s_nop 0
	v_mov_b32_dpp v14, v0 quad_perm:[1,0,3,2] row_mask:0xf bank_mask:0xf
	s_and_saveexec_b64 s[0:1], vcc
	s_cbranch_execz .LBB406_10
; %bb.27:
	v_cvt_f32_u32_e32 v15, s20
	v_add_f32_e32 v0, v0, v14
	s_mov_b32 s15, 0x20000
	v_div_scale_f32 v14, s[0:1], v15, v15, v0
	v_rcp_f32_e32 v16, v14
	v_div_scale_f32 v17, vcc, v0, v15, v0
	s_mov_b32 s0, 0x800000
	v_fma_f32 v18, -v14, v16, 1.0
	v_fmac_f32_e32 v16, v18, v16
	v_mul_f32_e32 v18, v17, v16
	v_fma_f32 v19, -v14, v18, v17
	v_fmac_f32_e32 v18, v19, v16
	v_fma_f32 v14, -v14, v18, v17
	v_div_fmas_f32 v14, v14, v16, v18
	v_div_fixup_f32 v0, v14, v15, v0
	v_add_f32_e32 v0, s17, v0
	v_mul_f32_e32 v14, 0x4b800000, v0
	v_cmp_gt_f32_e32 vcc, s0, v0
	v_cndmask_b32_e32 v0, v0, v14, vcc
	v_rsq_f32_e32 v0, v0
	s_mul_hi_i32 s1, s7, s6
	s_mul_i32 s0, s7, s6
	s_lshl_b64 s[0:1], s[0:1], 1
	v_mul_f32_e32 v14, 0x45800000, v0
	v_cndmask_b32_e32 v14, v0, v14, vcc
	s_add_u32 s12, s28, s0
	v_mov_b32_e32 v15, v14
	s_addc_u32 s0, s29, s1
	;;#ASMSTART
	v_pk_mul_f32 v[12:13], v[12:13], v[14:15]
	;;#ASMEND
	;;#ASMSTART
	v_pk_mul_f32 v[10:11], v[10:11], v[14:15]
	;;#ASMEND
	;; [unrolled: 3-line block ×4, first 2 shown]
	s_waitcnt vmcnt(0)
	v_cvt_f32_u32_sdwa v15, v2 dst_sel:DWORD dst_unused:UNUSED_PAD src0_sel:WORD_1
	v_cvt_f32_u32_sdwa v14, v2 dst_sel:DWORD dst_unused:UNUSED_PAD src0_sel:WORD_0
	v_cvt_f32_u32_sdwa v17, v3 dst_sel:DWORD dst_unused:UNUSED_PAD src0_sel:WORD_1
	v_cvt_f32_u32_sdwa v16, v3 dst_sel:DWORD dst_unused:UNUSED_PAD src0_sel:WORD_0
	;; [unrolled: 2-line block ×4, first 2 shown]
	;;#ASMSTART
	v_pk_mul_f32 v[4:5], v[12:13], v[14:15]
	;;#ASMEND
	s_and_b32 s13, s0, 0xffff
	s_mov_b32 s0, 0x7060302
	;;#ASMSTART
	v_pk_mul_f32 v[10:11], v[10:11], v[16:17]
	;;#ASMEND
	;;#ASMSTART
	v_pk_mul_f32 v[8:9], v[8:9], v[2:3]
	;;#ASMEND
	;; [unrolled: 3-line block ×3, first 2 shown]
	v_perm_b32 v2, v5, v4, s0
	v_perm_b32 v3, v11, v10, s0
	;; [unrolled: 1-line block ×4, first 2 shown]
	buffer_store_dwordx4 v[2:5], v1, s[12:15], 0 offen
	;;#ASMSTART
	s_nop 0
	;;#ASMEND
	s_endpgm
	.section	.rodata,"a",@progbits
	.p2align	6, 0x0
	.amdhsa_kernel _ZN5aiter35fused_qk_rmsnorm_group_quant_kernelItDB8_Li128ELi8ELi8ELb0ELb0ELb0ELb0ELb0ELb0EEEvPT0_PvPT_S6_S6_PKS5_S8_S8_S8_S8_ffiiiiiiiiiiiii
		.amdhsa_group_segment_fixed_size 16
		.amdhsa_private_segment_fixed_size 0
		.amdhsa_kernarg_size 400
		.amdhsa_user_sgpr_count 6
		.amdhsa_user_sgpr_private_segment_buffer 1
		.amdhsa_user_sgpr_dispatch_ptr 0
		.amdhsa_user_sgpr_queue_ptr 0
		.amdhsa_user_sgpr_kernarg_segment_ptr 1
		.amdhsa_user_sgpr_dispatch_id 0
		.amdhsa_user_sgpr_flat_scratch_init 0
		.amdhsa_user_sgpr_kernarg_preload_length 0
		.amdhsa_user_sgpr_kernarg_preload_offset 0
		.amdhsa_user_sgpr_private_segment_size 0
		.amdhsa_uses_dynamic_stack 0
		.amdhsa_system_sgpr_private_segment_wavefront_offset 0
		.amdhsa_system_sgpr_workgroup_id_x 1
		.amdhsa_system_sgpr_workgroup_id_y 1
		.amdhsa_system_sgpr_workgroup_id_z 0
		.amdhsa_system_sgpr_workgroup_info 0
		.amdhsa_system_vgpr_workitem_id 0
		.amdhsa_next_free_vgpr 23
		.amdhsa_next_free_sgpr 32
		.amdhsa_accum_offset 24
		.amdhsa_reserve_vcc 1
		.amdhsa_reserve_flat_scratch 0
		.amdhsa_float_round_mode_32 0
		.amdhsa_float_round_mode_16_64 0
		.amdhsa_float_denorm_mode_32 3
		.amdhsa_float_denorm_mode_16_64 3
		.amdhsa_dx10_clamp 1
		.amdhsa_ieee_mode 1
		.amdhsa_fp16_overflow 0
		.amdhsa_tg_split 0
		.amdhsa_exception_fp_ieee_invalid_op 0
		.amdhsa_exception_fp_denorm_src 0
		.amdhsa_exception_fp_ieee_div_zero 0
		.amdhsa_exception_fp_ieee_overflow 0
		.amdhsa_exception_fp_ieee_underflow 0
		.amdhsa_exception_fp_ieee_inexact 0
		.amdhsa_exception_int_div_zero 0
	.end_amdhsa_kernel
	.section	.text._ZN5aiter35fused_qk_rmsnorm_group_quant_kernelItDB8_Li128ELi8ELi8ELb0ELb0ELb0ELb0ELb0ELb0EEEvPT0_PvPT_S6_S6_PKS5_S8_S8_S8_S8_ffiiiiiiiiiiiii,"axG",@progbits,_ZN5aiter35fused_qk_rmsnorm_group_quant_kernelItDB8_Li128ELi8ELi8ELb0ELb0ELb0ELb0ELb0ELb0EEEvPT0_PvPT_S6_S6_PKS5_S8_S8_S8_S8_ffiiiiiiiiiiiii,comdat
.Lfunc_end406:
	.size	_ZN5aiter35fused_qk_rmsnorm_group_quant_kernelItDB8_Li128ELi8ELi8ELb0ELb0ELb0ELb0ELb0ELb0EEEvPT0_PvPT_S6_S6_PKS5_S8_S8_S8_S8_ffiiiiiiiiiiiii, .Lfunc_end406-_ZN5aiter35fused_qk_rmsnorm_group_quant_kernelItDB8_Li128ELi8ELi8ELb0ELb0ELb0ELb0ELb0ELb0EEEvPT0_PvPT_S6_S6_PKS5_S8_S8_S8_S8_ffiiiiiiiiiiiii
                                        ; -- End function
	.section	.AMDGPU.csdata,"",@progbits
; Kernel info:
; codeLenInByte = 2464
; NumSgprs: 36
; NumVgprs: 23
; NumAgprs: 0
; TotalNumVgprs: 23
; ScratchSize: 0
; MemoryBound: 0
; FloatMode: 240
; IeeeMode: 1
; LDSByteSize: 16 bytes/workgroup (compile time only)
; SGPRBlocks: 4
; VGPRBlocks: 2
; NumSGPRsForWavesPerEU: 36
; NumVGPRsForWavesPerEU: 23
; AccumOffset: 24
; Occupancy: 8
; WaveLimiterHint : 0
; COMPUTE_PGM_RSRC2:SCRATCH_EN: 0
; COMPUTE_PGM_RSRC2:USER_SGPR: 6
; COMPUTE_PGM_RSRC2:TRAP_HANDLER: 0
; COMPUTE_PGM_RSRC2:TGID_X_EN: 1
; COMPUTE_PGM_RSRC2:TGID_Y_EN: 1
; COMPUTE_PGM_RSRC2:TGID_Z_EN: 0
; COMPUTE_PGM_RSRC2:TIDIG_COMP_CNT: 0
; COMPUTE_PGM_RSRC3_GFX90A:ACCUM_OFFSET: 5
; COMPUTE_PGM_RSRC3_GFX90A:TG_SPLIT: 0
	.section	.text._ZN5aiter35fused_qk_rmsnorm_group_quant_kernelIDF16_N4opus5fp4_tELi128ELi8ELi8ELb0ELb0ELb0ELb0ELb0ELb0EEEvPT0_PvPT_S7_S7_PKS6_S9_S9_S9_S9_ffiiiiiiiiiiiii,"axG",@progbits,_ZN5aiter35fused_qk_rmsnorm_group_quant_kernelIDF16_N4opus5fp4_tELi128ELi8ELi8ELb0ELb0ELb0ELb0ELb0ELb0EEEvPT0_PvPT_S7_S7_PKS6_S9_S9_S9_S9_ffiiiiiiiiiiiii,comdat
	.protected	_ZN5aiter35fused_qk_rmsnorm_group_quant_kernelIDF16_N4opus5fp4_tELi128ELi8ELi8ELb0ELb0ELb0ELb0ELb0ELb0EEEvPT0_PvPT_S7_S7_PKS6_S9_S9_S9_S9_ffiiiiiiiiiiiii ; -- Begin function _ZN5aiter35fused_qk_rmsnorm_group_quant_kernelIDF16_N4opus5fp4_tELi128ELi8ELi8ELb0ELb0ELb0ELb0ELb0ELb0EEEvPT0_PvPT_S7_S7_PKS6_S9_S9_S9_S9_ffiiiiiiiiiiiii
	.globl	_ZN5aiter35fused_qk_rmsnorm_group_quant_kernelIDF16_N4opus5fp4_tELi128ELi8ELi8ELb0ELb0ELb0ELb0ELb0ELb0EEEvPT0_PvPT_S7_S7_PKS6_S9_S9_S9_S9_ffiiiiiiiiiiiii
	.p2align	8
	.type	_ZN5aiter35fused_qk_rmsnorm_group_quant_kernelIDF16_N4opus5fp4_tELi128ELi8ELi8ELb0ELb0ELb0ELb0ELb0ELb0EEEvPT0_PvPT_S7_S7_PKS6_S9_S9_S9_S9_ffiiiiiiiiiiiii,@function
_ZN5aiter35fused_qk_rmsnorm_group_quant_kernelIDF16_N4opus5fp4_tELi128ELi8ELi8ELb0ELb0ELb0ELb0ELb0ELb0EEEvPT0_PvPT_S7_S7_PKS6_S9_S9_S9_S9_ffiiiiiiiiiiiii: ; @_ZN5aiter35fused_qk_rmsnorm_group_quant_kernelIDF16_N4opus5fp4_tELi128ELi8ELi8ELb0ELb0ELb0ELb0ELb0ELb0EEEvPT0_PvPT_S7_S7_PKS6_S9_S9_S9_S9_ffiiiiiiiiiiiii
; %bb.0:
	s_load_dwordx4 s[16:19], s[4:5], 0x50
	s_waitcnt lgkmcnt(0)
	s_cmp_ge_i32 s6, s18
	s_cbranch_scc1 .LBB407_12
; %bb.1:
	s_load_dwordx2 s[12:13], s[4:5], 0x48
	s_load_dwordx2 s[30:31], s[4:5], 0x30
	s_load_dwordx4 s[20:23], s[4:5], 0x60
	s_cmp_lg_u32 s7, 0
	s_cselect_b64 s[14:15], -1, 0
	s_cmp_eq_u32 s7, 0
	s_cselect_b64 vcc, -1, 0
	s_and_b64 s[0:1], vcc, exec
	s_waitcnt lgkmcnt(0)
	s_cselect_b32 s7, s19, s20
	s_add_i32 s0, s7, 1
	s_lshr_b32 s1, s0, 31
	s_add_i32 s0, s0, s1
	s_lshl_b32 s0, s0, 1
	v_lshlrev_b32_e32 v1, 3, v0
	s_and_b32 s10, s0, -4
	v_cmp_gt_i32_e64 s[2:3], s7, v1
	v_mov_b32_e32 v10, 0
	v_mov_b32_e32 v2, 0
	;; [unrolled: 1-line block ×9, first 2 shown]
	s_and_saveexec_b64 s[0:1], s[2:3]
	s_cbranch_execz .LBB407_3
; %bb.2:
	s_load_dwordx2 s[8:9], s[4:5], 0x28
	s_load_dwordx2 s[26:27], s[4:5], 0x40
	s_and_b64 s[24:25], vcc, exec
	s_cselect_b32 s11, s21, s22
	v_lshlrev_b32_e32 v11, 4, v0
	s_waitcnt lgkmcnt(0)
	s_cselect_b32 s18, s9, s31
	s_cselect_b32 s21, s8, s30
	s_mul_hi_i32 s9, s11, s6
	s_mul_i32 s8, s11, s6
	s_lshl_b64 s[8:9], s[8:9], 1
	s_add_u32 s24, s21, s8
	s_addc_u32 s18, s18, s9
	s_and_b64 s[8:9], vcc, exec
	s_mov_b32 s11, 0x20000
	s_cselect_b32 s8, s26, s12
	s_cselect_b32 s9, s27, s13
	s_and_b32 s25, s18, 0xffff
	s_mov_b32 s26, s10
	s_mov_b32 s27, s11
	s_and_b32 s9, s9, 0xffff
	buffer_load_dwordx4 v[6:9], v11, s[24:27], 0 offen glc slc
	buffer_load_dwordx4 v[2:5], v11, s[8:11], 0 offen
.LBB407_3:
	s_or_b64 exec, exec, s[0:1]
	v_mov_b32_e32 v11, 0
	v_mov_b32_e32 v16, 0
	v_mov_b32_e32 v17, 0
	v_mov_b32_e32 v12, 0
	v_mov_b32_e32 v13, 0
	v_mov_b32_e32 v14, 0
	v_mov_b32_e32 v15, 0
	s_and_saveexec_b64 s[0:1], s[2:3]
	s_cbranch_execz .LBB407_5
; %bb.4:
	s_waitcnt vmcnt(1)
	v_cvt_f32_f16_sdwa v11, v6 dst_sel:DWORD dst_unused:UNUSED_PAD src0_sel:WORD_1
	v_cvt_f32_f16_e32 v10, v6
	v_cvt_f32_f16_sdwa v17, v7 dst_sel:DWORD dst_unused:UNUSED_PAD src0_sel:WORD_1
	v_cvt_f32_f16_e32 v16, v7
	;; [unrolled: 2-line block ×4, first 2 shown]
.LBB407_5:
	s_or_b64 exec, exec, s[0:1]
	s_waitcnt vmcnt(1)
	v_mul_f32_e32 v6, v11, v11
	v_fmac_f32_e32 v6, v10, v10
	v_fmac_f32_e32 v6, v16, v16
	;; [unrolled: 1-line block ×7, first 2 shown]
	v_and_b32_e32 v8, 63, v0
	v_cmp_eq_u32_e64 s[0:1], 63, v8
	v_mov_b32_dpp v7, v6 quad_perm:[1,0,3,2] row_mask:0xf bank_mask:0xf
	v_add_f32_e32 v6, v6, v7
	s_nop 1
	v_mov_b32_dpp v7, v6 quad_perm:[2,3,0,1] row_mask:0xf bank_mask:0xf
	v_add_f32_e32 v6, v6, v7
	s_nop 1
	v_mov_b32_dpp v7, v6 row_half_mirror row_mask:0xf bank_mask:0xf
	v_add_f32_e32 v6, v6, v7
	s_nop 1
	v_mov_b32_dpp v7, v6 row_mirror row_mask:0xf bank_mask:0xf
	v_add_f32_e32 v6, v6, v7
	s_nop 1
	v_mov_b32_dpp v7, v6 row_bcast:15 row_mask:0xf bank_mask:0xf
	v_add_f32_e32 v6, v6, v7
	s_nop 1
	v_mov_b32_dpp v7, v6 row_bcast:31 row_mask:0xf bank_mask:0xf
	s_and_saveexec_b64 s[8:9], s[0:1]
	s_cbranch_execz .LBB407_7
; %bb.6:
	v_add_f32_e32 v6, v6, v7
	v_lshrrev_b32_e32 v7, 4, v0
	v_and_b32_e32 v7, 60, v7
	ds_write_b32 v7, v6 offset:8
.LBB407_7:
	s_or_b64 exec, exec, s[8:9]
	v_and_b32_e32 v6, 1, v0
	v_lshlrev_b32_e32 v18, 2, v6
	s_waitcnt lgkmcnt(0)
	s_barrier
	ds_read_b32 v6, v18 offset:8
	s_load_dwordx2 s[28:29], s[4:5], 0x18
	s_waitcnt lgkmcnt(0)
	v_mov_b32_dpp v7, v6 quad_perm:[1,0,3,2] row_mask:0xf bank_mask:0xf
	s_and_saveexec_b64 s[8:9], s[2:3]
	s_cbranch_execz .LBB407_9
; %bb.8:
	v_cvt_f32_u32_e32 v8, s7
	v_add_f32_e32 v6, v6, v7
	v_mov_b32_e32 v19, s17
	v_mov_b32_e32 v20, s16
	v_div_scale_f32 v7, s[24:25], v8, v8, v6
	v_rcp_f32_e32 v9, v7
	v_cndmask_b32_e32 v19, v19, v20, vcc
	s_mov_b32 s7, 0x800000
	v_fma_f32 v20, -v7, v9, 1.0
	v_fmac_f32_e32 v9, v20, v9
	v_div_scale_f32 v20, vcc, v6, v8, v6
	v_mul_f32_e32 v21, v20, v9
	v_fma_f32 v22, -v7, v21, v20
	v_fmac_f32_e32 v21, v22, v9
	v_fma_f32 v7, -v7, v21, v20
	v_div_fmas_f32 v7, v7, v9, v21
	v_div_fixup_f32 v6, v7, v8, v6
	v_add_f32_e32 v6, v19, v6
	v_mul_f32_e32 v7, 0x4b800000, v6
	v_cmp_gt_f32_e32 vcc, s7, v6
	v_cndmask_b32_e32 v6, v6, v7, vcc
	v_rsq_f32_e32 v6, v6
	s_waitcnt vmcnt(0)
	v_cvt_f32_f16_sdwa v21, v5 dst_sel:DWORD dst_unused:UNUSED_PAD src0_sel:WORD_1
	v_cvt_f32_f16_e32 v20, v5
	v_mul_f32_e32 v7, 0x45800000, v6
	v_cndmask_b32_e32 v6, v6, v7, vcc
	v_mov_b32_e32 v7, v6
	;;#ASMSTART
	v_pk_mul_f32 v[8:9], v[10:11], v[6:7]
	;;#ASMEND
	;;#ASMSTART
	v_pk_mul_f32 v[16:17], v[16:17], v[6:7]
	;;#ASMEND
	;; [unrolled: 3-line block ×4, first 2 shown]
	v_cvt_f32_f16_sdwa v11, v2 dst_sel:DWORD dst_unused:UNUSED_PAD src0_sel:WORD_1
	v_cvt_f32_f16_e32 v10, v2
	v_cvt_f32_f16_sdwa v15, v3 dst_sel:DWORD dst_unused:UNUSED_PAD src0_sel:WORD_1
	v_cvt_f32_f16_e32 v14, v3
	v_cvt_f32_f16_sdwa v3, v4 dst_sel:DWORD dst_unused:UNUSED_PAD src0_sel:WORD_1
	v_cvt_f32_f16_e32 v2, v4
	;;#ASMSTART
	v_pk_mul_f32 v[10:11], v[8:9], v[10:11]
	;;#ASMEND
	;;#ASMSTART
	v_pk_mul_f32 v[16:17], v[16:17], v[14:15]
	;;#ASMEND
	;; [unrolled: 3-line block ×4, first 2 shown]
.LBB407_9:
	s_or_b64 exec, exec, s[8:9]
	s_load_dword s7, s[4:5], 0x80
	s_mov_b64 s[8:9], -1
	s_and_b64 vcc, exec, s[14:15]
	s_cbranch_vccnz .LBB407_13
; %bb.10:
	s_andn2_b64 vcc, exec, s[8:9]
	s_cbranch_vccz .LBB407_16
.LBB407_11:
	s_cmp_lt_i32 s20, 1
	s_cbranch_scc0 .LBB407_23
.LBB407_12:
	s_endpgm
.LBB407_13:
	s_and_saveexec_b64 s[14:15], s[2:3]
	s_cbranch_execz .LBB407_15
; %bb.14:
	s_waitcnt lgkmcnt(0)
	s_mul_hi_i32 s9, s7, s6
	s_mul_i32 s8, s7, s6
	s_waitcnt vmcnt(0)
	v_cvt_f16_f32_e32 v2, v10
	v_cvt_f16_f32_e32 v3, v16
	;; [unrolled: 1-line block ×8, first 2 shown]
	s_lshl_b64 s[8:9], s[8:9], 1
	s_add_u32 s8, s28, s8
	s_addc_u32 s9, s29, s9
	s_and_b32 s9, s9, 0xffff
	s_mov_b32 s11, 0x20000
	v_pack_b32_f16 v5, v5, v6
	v_pack_b32_f16 v4, v4, v7
	v_pack_b32_f16 v3, v3, v8
	v_pack_b32_f16 v2, v2, v9
	v_lshlrev_b32_e32 v6, 4, v0
	buffer_store_dwordx4 v[2:5], v6, s[8:11], 0 offen
	;;#ASMSTART
	s_nop 0
	;;#ASMEND
.LBB407_15:
	s_or_b64 exec, exec, s[14:15]
	s_cbranch_execnz .LBB407_11
.LBB407_16:
	s_waitcnt vmcnt(0)
	v_mov_b32_e32 v2, 0
	s_and_saveexec_b64 s[8:9], s[2:3]
	s_cbranch_execz .LBB407_18
; %bb.17:
	v_and_b32_e32 v2, 0x7fffffff, v10
	v_and_b32_e32 v3, 0x7fffffff, v11
	v_mov_b32_e32 v4, 0x2edbe6ff
	;;#ASMSTART
	v_max3_f32 v2, v4, v2, v3

	;;#ASMEND
	v_and_b32_e32 v3, 0x7fffffff, v16
	v_and_b32_e32 v4, 0x7fffffff, v17
	;;#ASMSTART
	v_max3_f32 v2, v2, v3, v4

	;;#ASMEND
	v_and_b32_e32 v3, 0x7fffffff, v12
	v_and_b32_e32 v4, 0x7fffffff, v13
	;;#ASMSTART
	v_max3_f32 v2, v2, v3, v4

	;;#ASMEND
	v_and_b32_e32 v3, 0x7fffffff, v14
	v_and_b32_e32 v4, 0x7fffffff, v15
	;;#ASMSTART
	v_max3_f32 v2, v2, v3, v4

	;;#ASMEND
.LBB407_18:
	s_or_b64 exec, exec, s[8:9]
	s_load_dwordx4 s[24:27], s[4:5], 0x70
	;;#ASMSTART
	v_max_f32 v3, v2, v2 quad_perm:[1,0,3,2] row_mask:0xf bank_mask:0xf bound_ctrl:1
	;;#ASMEND
	;;#ASMSTART
	v_max_f32 v4, v3, v3 quad_perm:[2,3,0,1] row_mask:0xf bank_mask:0xf bound_ctrl:1
	;;#ASMEND
	v_and_b32_e32 v3, 7, v0
	v_cmp_eq_u32_e32 vcc, 0, v3
	v_cmp_gt_i32_e64 s[8:9], s19, v1
	s_and_b64 s[10:11], vcc, s[8:9]
	;;#ASMSTART
	v_max_f32 v2, v4, v4 row_half_mirror row_mask:0xf bank_mask:0xf bound_ctrl:1
	;;#ASMEND
	s_and_saveexec_b64 s[8:9], s[10:11]
	s_cbranch_execz .LBB407_20
; %bb.19:
	s_load_dwordx2 s[10:11], s[4:5], 0x8
	v_mul_f32_e32 v2, 0x3e2aaaab, v2
	v_lshrrev_b32_e32 v3, 23, v2
	v_and_b32_e32 v4, 0x7f800000, v2
	v_and_b32_e32 v2, 0x7fffff, v2
	v_cmp_ne_u32_e32 vcc, 0, v2
	s_waitcnt lgkmcnt(0)
	s_mul_i32 s16, s25, s6
	s_mov_b32 s14, 0x7f800000
	v_addc_co_u32_e32 v2, vcc, 0, v3, vcc
	s_mul_hi_i32 s15, s25, s6
	s_add_u32 s10, s10, s16
	v_cmp_ne_u32_e32 vcc, s14, v4
	s_addc_u32 s11, s11, s15
	v_lshrrev_b32_e32 v5, 3, v0
	v_cndmask_b32_e32 v4, -1, v2, vcc
	v_pk_mov_b32 v[2:3], s[10:11], s[10:11] op_sel:[0,1]
	v_mad_i64_i32 v[2:3], s[10:11], s26, v5, v[2:3]
	global_store_byte v[2:3], v4, off
.LBB407_20:
	s_or_b64 exec, exec, s[8:9]
	s_and_saveexec_b64 s[8:9], s[2:3]
	s_cbranch_execz .LBB407_22
; %bb.21:
	s_load_dwordx2 s[2:3], s[4:5], 0x0
	s_waitcnt lgkmcnt(0)
	s_mul_i32 s11, s24, s6
	s_mul_hi_i32 s10, s24, s6
	v_lshlrev_b32_e32 v2, 2, v0
	s_mov_b32 s27, 0x20000
	s_add_u32 s24, s2, s11
	s_addc_u32 s2, s3, s10
	s_lshr_b32 s3, s19, 31
	s_add_i32 s3, s19, s3
	s_ashr_i32 s3, s3, 1
	s_add_i32 s3, s3, 3
	s_ashr_i32 s10, s3, 31
	s_lshr_b32 s10, s10, 30
	s_add_i32 s3, s3, s10
	s_and_b32 s26, s3, -4
	s_and_b32 s25, s2, 0xffff
	v_mov_b32_e32 v3, 0
	buffer_store_dword v3, v2, s[24:27], 0 offen
	;;#ASMSTART
	s_nop 0
	;;#ASMEND
.LBB407_22:
	s_or_b64 exec, exec, s[8:9]
	s_cmp_lt_i32 s20, 1
	s_cbranch_scc1 .LBB407_12
.LBB407_23:
	s_load_dword s2, s[4:5], 0x94
	s_waitcnt lgkmcnt(0)
	s_cmp_lg_u32 s2, 1
	s_cbranch_scc1 .LBB407_12
; %bb.24:
	s_lshl_b32 s2, s20, 1
	s_add_i32 s2, s2, 2
	v_cmp_gt_u32_e32 vcc, s20, v1
	s_and_b32 s14, s2, -4
	v_mov_b32_e32 v10, 0
	v_lshlrev_b32_e32 v1, 4, v0
	v_mov_b32_e32 v6, 0
	v_mov_b32_e32 v7, 0
	;; [unrolled: 1-line block ×4, first 2 shown]
	s_waitcnt vmcnt(0)
	v_mov_b32_e32 v2, 0
	v_mov_b32_e32 v3, 0
	;; [unrolled: 1-line block ×4, first 2 shown]
	s_barrier
	s_and_saveexec_b64 s[2:3], vcc
	s_cbranch_execz .LBB407_26
; %bb.25:
	s_mul_hi_i32 s5, s22, s6
	s_mul_i32 s4, s22, s6
	s_and_b32 s13, s13, 0xffff
	s_lshl_b64 s[4:5], s[4:5], 1
	s_add_u32 s8, s30, s4
	s_mov_b32 s15, 0x20000
	s_addc_u32 s4, s31, s5
	s_and_b32 s9, s4, 0xffff
	s_mov_b32 s10, s14
	s_mov_b32 s11, s15
	buffer_load_dwordx4 v[6:9], v1, s[8:11], 0 offen glc slc
	buffer_load_dwordx4 v[2:5], v1, s[12:15], 0 offen
.LBB407_26:
	s_or_b64 exec, exec, s[2:3]
	v_mov_b32_e32 v11, 0
	v_mov_b32_e32 v16, 0
	;; [unrolled: 1-line block ×7, first 2 shown]
	s_and_saveexec_b64 s[2:3], vcc
	s_cbranch_execz .LBB407_28
; %bb.27:
	s_waitcnt vmcnt(1)
	v_cvt_f32_f16_sdwa v11, v6 dst_sel:DWORD dst_unused:UNUSED_PAD src0_sel:WORD_1
	v_cvt_f32_f16_e32 v10, v6
	v_cvt_f32_f16_sdwa v17, v7 dst_sel:DWORD dst_unused:UNUSED_PAD src0_sel:WORD_1
	v_cvt_f32_f16_e32 v16, v7
	;; [unrolled: 2-line block ×4, first 2 shown]
.LBB407_28:
	s_or_b64 exec, exec, s[2:3]
	s_waitcnt vmcnt(1)
	v_mul_f32_e32 v6, v11, v11
	v_fmac_f32_e32 v6, v10, v10
	v_fmac_f32_e32 v6, v16, v16
	;; [unrolled: 1-line block ×7, first 2 shown]
	s_nop 1
	v_mov_b32_dpp v7, v6 quad_perm:[1,0,3,2] row_mask:0xf bank_mask:0xf
	v_add_f32_e32 v6, v6, v7
	s_nop 1
	v_mov_b32_dpp v7, v6 quad_perm:[2,3,0,1] row_mask:0xf bank_mask:0xf
	v_add_f32_e32 v6, v6, v7
	s_nop 1
	v_mov_b32_dpp v7, v6 row_half_mirror row_mask:0xf bank_mask:0xf
	v_add_f32_e32 v6, v6, v7
	s_nop 1
	v_mov_b32_dpp v7, v6 row_mirror row_mask:0xf bank_mask:0xf
	v_add_f32_e32 v6, v6, v7
	s_nop 1
	v_mov_b32_dpp v7, v6 row_bcast:15 row_mask:0xf bank_mask:0xf
	v_add_f32_e32 v6, v6, v7
	s_nop 1
	v_mov_b32_dpp v7, v6 row_bcast:31 row_mask:0xf bank_mask:0xf
	s_and_saveexec_b64 s[2:3], s[0:1]
	s_cbranch_execz .LBB407_30
; %bb.29:
	v_lshrrev_b32_e32 v0, 4, v0
	v_add_f32_e32 v6, v6, v7
	v_and_b32_e32 v0, 60, v0
	ds_write_b32 v0, v6
.LBB407_30:
	s_or_b64 exec, exec, s[2:3]
	s_waitcnt lgkmcnt(0)
	s_barrier
	ds_read_b32 v0, v18
	s_waitcnt lgkmcnt(0)
	s_nop 0
	v_mov_b32_dpp v6, v0 quad_perm:[1,0,3,2] row_mask:0xf bank_mask:0xf
	s_and_saveexec_b64 s[0:1], vcc
	s_cbranch_execz .LBB407_12
; %bb.31:
	v_cvt_f32_u32_e32 v7, s20
	v_add_f32_e32 v0, v0, v6
	s_mov_b32 s15, 0x20000
	v_div_scale_f32 v6, s[0:1], v7, v7, v0
	v_rcp_f32_e32 v8, v6
	v_div_scale_f32 v9, vcc, v0, v7, v0
	s_mov_b32 s0, 0x800000
	v_fma_f32 v18, -v6, v8, 1.0
	v_fmac_f32_e32 v8, v18, v8
	v_mul_f32_e32 v18, v9, v8
	v_fma_f32 v19, -v6, v18, v9
	v_fmac_f32_e32 v18, v19, v8
	v_fma_f32 v6, -v6, v18, v9
	v_div_fmas_f32 v6, v6, v8, v18
	v_div_fixup_f32 v0, v6, v7, v0
	v_add_f32_e32 v0, s17, v0
	v_mul_f32_e32 v6, 0x4b800000, v0
	v_cmp_gt_f32_e32 vcc, s0, v0
	v_cndmask_b32_e32 v0, v0, v6, vcc
	v_rsq_f32_e32 v0, v0
	s_waitcnt vmcnt(0)
	v_cvt_f32_f16_sdwa v19, v5 dst_sel:DWORD dst_unused:UNUSED_PAD src0_sel:WORD_1
	v_cvt_f32_f16_e32 v18, v5
	s_mul_hi_i32 s1, s7, s6
	v_mul_f32_e32 v6, 0x45800000, v0
	v_cndmask_b32_e32 v6, v0, v6, vcc
	v_mov_b32_e32 v7, v6
	;;#ASMSTART
	v_pk_mul_f32 v[8:9], v[10:11], v[6:7]
	;;#ASMEND
	;;#ASMSTART
	v_pk_mul_f32 v[10:11], v[16:17], v[6:7]
	;;#ASMEND
	;; [unrolled: 3-line block ×4, first 2 shown]
	v_cvt_f32_f16_sdwa v13, v2 dst_sel:DWORD dst_unused:UNUSED_PAD src0_sel:WORD_1
	v_cvt_f32_f16_e32 v12, v2
	v_cvt_f32_f16_sdwa v17, v3 dst_sel:DWORD dst_unused:UNUSED_PAD src0_sel:WORD_1
	v_cvt_f32_f16_e32 v16, v3
	;; [unrolled: 2-line block ×3, first 2 shown]
	;;#ASMSTART
	v_pk_mul_f32 v[4:5], v[8:9], v[12:13]
	;;#ASMEND
	;;#ASMSTART
	v_pk_mul_f32 v[8:9], v[10:11], v[16:17]
	;;#ASMEND
	;; [unrolled: 3-line block ×4, first 2 shown]
	s_mul_i32 s0, s7, s6
	v_cvt_f16_f32_e32 v0, v4
	v_cvt_f16_f32_e32 v4, v5
	;; [unrolled: 1-line block ×8, first 2 shown]
	s_lshl_b64 s[0:1], s[0:1], 1
	s_add_u32 s12, s28, s0
	s_addc_u32 s0, s29, s1
	s_and_b32 s13, s0, 0xffff
	v_pack_b32_f16 v2, v0, v4
	v_pack_b32_f16 v3, v5, v8
	;; [unrolled: 1-line block ×4, first 2 shown]
	buffer_store_dwordx4 v[2:5], v1, s[12:15], 0 offen
	;;#ASMSTART
	s_nop 0
	;;#ASMEND
	s_endpgm
	.section	.rodata,"a",@progbits
	.p2align	6, 0x0
	.amdhsa_kernel _ZN5aiter35fused_qk_rmsnorm_group_quant_kernelIDF16_N4opus5fp4_tELi128ELi8ELi8ELb0ELb0ELb0ELb0ELb0ELb0EEEvPT0_PvPT_S7_S7_PKS6_S9_S9_S9_S9_ffiiiiiiiiiiiii
		.amdhsa_group_segment_fixed_size 16
		.amdhsa_private_segment_fixed_size 0
		.amdhsa_kernarg_size 400
		.amdhsa_user_sgpr_count 6
		.amdhsa_user_sgpr_private_segment_buffer 1
		.amdhsa_user_sgpr_dispatch_ptr 0
		.amdhsa_user_sgpr_queue_ptr 0
		.amdhsa_user_sgpr_kernarg_segment_ptr 1
		.amdhsa_user_sgpr_dispatch_id 0
		.amdhsa_user_sgpr_flat_scratch_init 0
		.amdhsa_user_sgpr_kernarg_preload_length 0
		.amdhsa_user_sgpr_kernarg_preload_offset 0
		.amdhsa_user_sgpr_private_segment_size 0
		.amdhsa_uses_dynamic_stack 0
		.amdhsa_system_sgpr_private_segment_wavefront_offset 0
		.amdhsa_system_sgpr_workgroup_id_x 1
		.amdhsa_system_sgpr_workgroup_id_y 1
		.amdhsa_system_sgpr_workgroup_id_z 0
		.amdhsa_system_sgpr_workgroup_info 0
		.amdhsa_system_vgpr_workitem_id 0
		.amdhsa_next_free_vgpr 23
		.amdhsa_next_free_sgpr 32
		.amdhsa_accum_offset 24
		.amdhsa_reserve_vcc 1
		.amdhsa_reserve_flat_scratch 0
		.amdhsa_float_round_mode_32 0
		.amdhsa_float_round_mode_16_64 0
		.amdhsa_float_denorm_mode_32 3
		.amdhsa_float_denorm_mode_16_64 3
		.amdhsa_dx10_clamp 1
		.amdhsa_ieee_mode 1
		.amdhsa_fp16_overflow 0
		.amdhsa_tg_split 0
		.amdhsa_exception_fp_ieee_invalid_op 0
		.amdhsa_exception_fp_denorm_src 0
		.amdhsa_exception_fp_ieee_div_zero 0
		.amdhsa_exception_fp_ieee_overflow 0
		.amdhsa_exception_fp_ieee_underflow 0
		.amdhsa_exception_fp_ieee_inexact 0
		.amdhsa_exception_int_div_zero 0
	.end_amdhsa_kernel
	.section	.text._ZN5aiter35fused_qk_rmsnorm_group_quant_kernelIDF16_N4opus5fp4_tELi128ELi8ELi8ELb0ELb0ELb0ELb0ELb0ELb0EEEvPT0_PvPT_S7_S7_PKS6_S9_S9_S9_S9_ffiiiiiiiiiiiii,"axG",@progbits,_ZN5aiter35fused_qk_rmsnorm_group_quant_kernelIDF16_N4opus5fp4_tELi128ELi8ELi8ELb0ELb0ELb0ELb0ELb0ELb0EEEvPT0_PvPT_S7_S7_PKS6_S9_S9_S9_S9_ffiiiiiiiiiiiii,comdat
.Lfunc_end407:
	.size	_ZN5aiter35fused_qk_rmsnorm_group_quant_kernelIDF16_N4opus5fp4_tELi128ELi8ELi8ELb0ELb0ELb0ELb0ELb0ELb0EEEvPT0_PvPT_S7_S7_PKS6_S9_S9_S9_S9_ffiiiiiiiiiiiii, .Lfunc_end407-_ZN5aiter35fused_qk_rmsnorm_group_quant_kernelIDF16_N4opus5fp4_tELi128ELi8ELi8ELb0ELb0ELb0ELb0ELb0ELb0EEEvPT0_PvPT_S7_S7_PKS6_S9_S9_S9_S9_ffiiiiiiiiiiiii
                                        ; -- End function
	.section	.AMDGPU.csdata,"",@progbits
; Kernel info:
; codeLenInByte = 2264
; NumSgprs: 36
; NumVgprs: 23
; NumAgprs: 0
; TotalNumVgprs: 23
; ScratchSize: 0
; MemoryBound: 0
; FloatMode: 240
; IeeeMode: 1
; LDSByteSize: 16 bytes/workgroup (compile time only)
; SGPRBlocks: 4
; VGPRBlocks: 2
; NumSGPRsForWavesPerEU: 36
; NumVGPRsForWavesPerEU: 23
; AccumOffset: 24
; Occupancy: 8
; WaveLimiterHint : 0
; COMPUTE_PGM_RSRC2:SCRATCH_EN: 0
; COMPUTE_PGM_RSRC2:USER_SGPR: 6
; COMPUTE_PGM_RSRC2:TRAP_HANDLER: 0
; COMPUTE_PGM_RSRC2:TGID_X_EN: 1
; COMPUTE_PGM_RSRC2:TGID_Y_EN: 1
; COMPUTE_PGM_RSRC2:TGID_Z_EN: 0
; COMPUTE_PGM_RSRC2:TIDIG_COMP_CNT: 0
; COMPUTE_PGM_RSRC3_GFX90A:ACCUM_OFFSET: 5
; COMPUTE_PGM_RSRC3_GFX90A:TG_SPLIT: 0
	.section	.text._ZN5aiter35fused_qk_rmsnorm_group_quant_kernelItN4opus5fp4_tELi128ELi8ELi8ELb0ELb0ELb0ELb0ELb0ELb0EEEvPT0_PvPT_S7_S7_PKS6_S9_S9_S9_S9_ffiiiiiiiiiiiii,"axG",@progbits,_ZN5aiter35fused_qk_rmsnorm_group_quant_kernelItN4opus5fp4_tELi128ELi8ELi8ELb0ELb0ELb0ELb0ELb0ELb0EEEvPT0_PvPT_S7_S7_PKS6_S9_S9_S9_S9_ffiiiiiiiiiiiii,comdat
	.protected	_ZN5aiter35fused_qk_rmsnorm_group_quant_kernelItN4opus5fp4_tELi128ELi8ELi8ELb0ELb0ELb0ELb0ELb0ELb0EEEvPT0_PvPT_S7_S7_PKS6_S9_S9_S9_S9_ffiiiiiiiiiiiii ; -- Begin function _ZN5aiter35fused_qk_rmsnorm_group_quant_kernelItN4opus5fp4_tELi128ELi8ELi8ELb0ELb0ELb0ELb0ELb0ELb0EEEvPT0_PvPT_S7_S7_PKS6_S9_S9_S9_S9_ffiiiiiiiiiiiii
	.globl	_ZN5aiter35fused_qk_rmsnorm_group_quant_kernelItN4opus5fp4_tELi128ELi8ELi8ELb0ELb0ELb0ELb0ELb0ELb0EEEvPT0_PvPT_S7_S7_PKS6_S9_S9_S9_S9_ffiiiiiiiiiiiii
	.p2align	8
	.type	_ZN5aiter35fused_qk_rmsnorm_group_quant_kernelItN4opus5fp4_tELi128ELi8ELi8ELb0ELb0ELb0ELb0ELb0ELb0EEEvPT0_PvPT_S7_S7_PKS6_S9_S9_S9_S9_ffiiiiiiiiiiiii,@function
_ZN5aiter35fused_qk_rmsnorm_group_quant_kernelItN4opus5fp4_tELi128ELi8ELi8ELb0ELb0ELb0ELb0ELb0ELb0EEEvPT0_PvPT_S7_S7_PKS6_S9_S9_S9_S9_ffiiiiiiiiiiiii: ; @_ZN5aiter35fused_qk_rmsnorm_group_quant_kernelItN4opus5fp4_tELi128ELi8ELi8ELb0ELb0ELb0ELb0ELb0ELb0EEEvPT0_PvPT_S7_S7_PKS6_S9_S9_S9_S9_ffiiiiiiiiiiiii
; %bb.0:
	s_load_dwordx4 s[16:19], s[4:5], 0x50
	s_waitcnt lgkmcnt(0)
	s_cmp_ge_i32 s6, s18
	s_cbranch_scc1 .LBB408_10
; %bb.1:
	s_load_dwordx2 s[12:13], s[4:5], 0x48
	s_load_dwordx2 s[30:31], s[4:5], 0x30
	s_load_dwordx4 s[20:23], s[4:5], 0x60
	s_cmp_lg_u32 s7, 0
	s_cselect_b64 s[14:15], -1, 0
	s_cmp_eq_u32 s7, 0
	s_cselect_b64 vcc, -1, 0
	s_and_b64 s[0:1], vcc, exec
	s_waitcnt lgkmcnt(0)
	s_cselect_b32 s7, s19, s20
	s_add_i32 s0, s7, 1
	s_lshr_b32 s1, s0, 31
	s_add_i32 s0, s0, s1
	s_lshl_b32 s0, s0, 1
	v_lshlrev_b32_e32 v1, 3, v0
	s_and_b32 s10, s0, -4
	v_cmp_gt_i32_e64 s[2:3], s7, v1
	v_mov_b32_e32 v2, 0
	v_mov_b32_e32 v3, 0
	;; [unrolled: 1-line block ×8, first 2 shown]
	s_and_saveexec_b64 s[0:1], s[2:3]
	s_cbranch_execz .LBB408_3
; %bb.2:
	s_load_dwordx2 s[8:9], s[4:5], 0x28
	s_load_dwordx2 s[26:27], s[4:5], 0x40
	s_and_b64 s[24:25], vcc, exec
	s_cselect_b32 s11, s21, s22
	v_lshlrev_b32_e32 v10, 4, v0
	s_waitcnt lgkmcnt(0)
	s_cselect_b32 s18, s9, s31
	s_cselect_b32 s21, s8, s30
	s_mul_hi_i32 s9, s11, s6
	s_mul_i32 s8, s11, s6
	s_lshl_b64 s[8:9], s[8:9], 1
	s_add_u32 s24, s21, s8
	s_addc_u32 s18, s18, s9
	s_and_b64 s[8:9], vcc, exec
	s_mov_b32 s11, 0x20000
	s_cselect_b32 s8, s26, s12
	s_cselect_b32 s9, s27, s13
	s_and_b32 s25, s18, 0xffff
	s_mov_b32 s26, s10
	s_mov_b32 s27, s11
	s_and_b32 s9, s9, 0xffff
	buffer_load_dwordx4 v[6:9], v10, s[24:27], 0 offen glc slc
	buffer_load_dwordx4 v[2:5], v10, s[8:11], 0 offen
.LBB408_3:
	s_or_b64 exec, exec, s[0:1]
	s_waitcnt vmcnt(1)
	v_cvt_f32_u32_sdwa v13, v6 dst_sel:DWORD dst_unused:UNUSED_PAD src0_sel:WORD_1
	v_cvt_f32_u32_sdwa v12, v6 dst_sel:DWORD dst_unused:UNUSED_PAD src0_sel:WORD_0
	v_cvt_f32_u32_sdwa v6, v9 dst_sel:DWORD dst_unused:UNUSED_PAD src0_sel:WORD_1
	v_cvt_f32_u32_sdwa v9, v9 dst_sel:DWORD dst_unused:UNUSED_PAD src0_sel:WORD_0
	;; [unrolled: 2-line block ×4, first 2 shown]
	v_cndmask_b32_e64 v13, 0, v13, s[2:3]
	v_cndmask_b32_e64 v7, 0, v6, s[2:3]
	;; [unrolled: 1-line block ×5, first 2 shown]
	v_mul_f32_e32 v14, v13, v13
	v_cndmask_b32_e64 v10, 0, v10, s[2:3]
	v_fmac_f32_e32 v14, v12, v12
	v_cndmask_b32_e64 v11, 0, v11, s[2:3]
	v_fmac_f32_e32 v14, v10, v10
	;; [unrolled: 2-line block ×3, first 2 shown]
	v_fmac_f32_e32 v14, v8, v8
	v_fmac_f32_e32 v14, v9, v9
	;; [unrolled: 1-line block ×4, first 2 shown]
	v_and_b32_e32 v16, 63, v0
	v_cmp_eq_u32_e64 s[0:1], 63, v16
	v_mov_b32_dpp v15, v14 quad_perm:[1,0,3,2] row_mask:0xf bank_mask:0xf
	v_add_f32_e32 v14, v14, v15
	s_nop 1
	v_mov_b32_dpp v15, v14 quad_perm:[2,3,0,1] row_mask:0xf bank_mask:0xf
	v_add_f32_e32 v14, v14, v15
	s_nop 1
	v_mov_b32_dpp v15, v14 row_half_mirror row_mask:0xf bank_mask:0xf
	v_add_f32_e32 v14, v14, v15
	s_nop 1
	v_mov_b32_dpp v15, v14 row_mirror row_mask:0xf bank_mask:0xf
	v_add_f32_e32 v14, v14, v15
	s_nop 1
	v_mov_b32_dpp v15, v14 row_bcast:15 row_mask:0xf bank_mask:0xf
	v_add_f32_e32 v14, v14, v15
	s_nop 1
	v_mov_b32_dpp v15, v14 row_bcast:31 row_mask:0xf bank_mask:0xf
	s_and_saveexec_b64 s[8:9], s[0:1]
	s_cbranch_execz .LBB408_5
; %bb.4:
	v_add_f32_e32 v14, v14, v15
	v_lshrrev_b32_e32 v15, 4, v0
	v_and_b32_e32 v15, 60, v15
	ds_write_b32 v15, v14 offset:8
.LBB408_5:
	s_or_b64 exec, exec, s[8:9]
	v_and_b32_e32 v14, 1, v0
	v_lshlrev_b32_e32 v14, 2, v14
	s_waitcnt lgkmcnt(0)
	s_barrier
	ds_read_b32 v15, v14 offset:8
	s_load_dwordx2 s[28:29], s[4:5], 0x18
	s_waitcnt lgkmcnt(0)
	v_mov_b32_dpp v16, v15 quad_perm:[1,0,3,2] row_mask:0xf bank_mask:0xf
	s_and_saveexec_b64 s[8:9], s[2:3]
	s_cbranch_execz .LBB408_7
; %bb.6:
	v_cvt_f32_u32_e32 v17, s7
	v_add_f32_e32 v15, v15, v16
	v_mov_b32_e32 v19, s17
	v_mov_b32_e32 v20, s16
	v_div_scale_f32 v16, s[24:25], v17, v17, v15
	v_rcp_f32_e32 v18, v16
	v_cndmask_b32_e32 v19, v19, v20, vcc
	s_mov_b32 s7, 0x800000
	v_fma_f32 v20, -v16, v18, 1.0
	v_fmac_f32_e32 v18, v20, v18
	v_div_scale_f32 v20, vcc, v15, v17, v15
	v_mul_f32_e32 v21, v20, v18
	v_fma_f32 v22, -v16, v21, v20
	v_fmac_f32_e32 v21, v22, v18
	v_fma_f32 v16, -v16, v21, v20
	v_div_fmas_f32 v16, v16, v18, v21
	v_div_fixup_f32 v15, v16, v17, v15
	v_add_f32_e32 v15, v19, v15
	v_mul_f32_e32 v16, 0x4b800000, v15
	v_cmp_gt_f32_e32 vcc, s7, v15
	v_cndmask_b32_e32 v15, v15, v16, vcc
	v_rsq_f32_e32 v15, v15
	s_waitcnt vmcnt(0)
	v_cvt_f32_u32_sdwa v19, v3 dst_sel:DWORD dst_unused:UNUSED_PAD src0_sel:WORD_1
	v_cvt_f32_u32_sdwa v18, v3 dst_sel:DWORD dst_unused:UNUSED_PAD src0_sel:WORD_0
	v_cvt_f32_u32_sdwa v3, v4 dst_sel:DWORD dst_unused:UNUSED_PAD src0_sel:WORD_1
	v_mul_f32_e32 v16, 0x45800000, v15
	v_cndmask_b32_e32 v16, v15, v16, vcc
	v_mov_b32_e32 v17, v16
	;;#ASMSTART
	v_pk_mul_f32 v[12:13], v[12:13], v[16:17]
	;;#ASMEND
	;;#ASMSTART
	v_pk_mul_f32 v[10:11], v[10:11], v[16:17]
	;;#ASMEND
	;; [unrolled: 3-line block ×4, first 2 shown]
	v_cvt_f32_u32_sdwa v17, v2 dst_sel:DWORD dst_unused:UNUSED_PAD src0_sel:WORD_1
	v_cvt_f32_u32_sdwa v16, v2 dst_sel:DWORD dst_unused:UNUSED_PAD src0_sel:WORD_0
	v_cvt_f32_u32_sdwa v2, v4 dst_sel:DWORD dst_unused:UNUSED_PAD src0_sel:WORD_0
	v_cvt_f32_u32_sdwa v21, v5 dst_sel:DWORD dst_unused:UNUSED_PAD src0_sel:WORD_1
	v_cvt_f32_u32_sdwa v20, v5 dst_sel:DWORD dst_unused:UNUSED_PAD src0_sel:WORD_0
	;;#ASMSTART
	v_pk_mul_f32 v[12:13], v[12:13], v[16:17]
	;;#ASMEND
	;;#ASMSTART
	v_pk_mul_f32 v[10:11], v[10:11], v[18:19]
	;;#ASMEND
	;; [unrolled: 3-line block ×4, first 2 shown]
.LBB408_7:
	s_or_b64 exec, exec, s[8:9]
	s_load_dword s7, s[4:5], 0x80
	s_mov_b64 s[8:9], -1
	s_and_b64 vcc, exec, s[14:15]
	s_cbranch_vccnz .LBB408_11
; %bb.8:
	s_andn2_b64 vcc, exec, s[8:9]
	s_cbranch_vccz .LBB408_14
.LBB408_9:
	s_cmp_lt_i32 s20, 1
	s_cbranch_scc0 .LBB408_21
.LBB408_10:
	s_endpgm
.LBB408_11:
	s_and_saveexec_b64 s[14:15], s[2:3]
	s_cbranch_execz .LBB408_13
; %bb.12:
	s_waitcnt lgkmcnt(0)
	s_mul_hi_i32 s9, s7, s6
	s_mul_i32 s8, s7, s6
	s_lshl_b64 s[8:9], s[8:9], 1
	s_add_u32 s8, s28, s8
	s_addc_u32 s9, s29, s9
	s_mov_b32 s16, 0x7060302
	s_and_b32 s9, s9, 0xffff
	s_mov_b32 s11, 0x20000
	s_waitcnt vmcnt(0)
	v_perm_b32 v2, v13, v12, s16
	v_perm_b32 v3, v11, v10, s16
	;; [unrolled: 1-line block ×4, first 2 shown]
	v_lshlrev_b32_e32 v15, 4, v0
	buffer_store_dwordx4 v[2:5], v15, s[8:11], 0 offen
	;;#ASMSTART
	s_nop 0
	;;#ASMEND
.LBB408_13:
	s_or_b64 exec, exec, s[14:15]
	s_cbranch_execnz .LBB408_9
.LBB408_14:
	s_waitcnt vmcnt(0)
	v_mov_b32_e32 v2, 0
	s_and_saveexec_b64 s[8:9], s[2:3]
	s_cbranch_execz .LBB408_16
; %bb.15:
	v_and_b32_e32 v2, 0x7fffffff, v12
	v_and_b32_e32 v3, 0x7fffffff, v13
	v_mov_b32_e32 v4, 0x2edbe6ff
	;;#ASMSTART
	v_max3_f32 v2, v4, v2, v3

	;;#ASMEND
	v_and_b32_e32 v3, 0x7fffffff, v10
	v_and_b32_e32 v4, 0x7fffffff, v11
	;;#ASMSTART
	v_max3_f32 v2, v2, v3, v4

	;;#ASMEND
	v_and_b32_e32 v3, 0x7fffffff, v8
	v_and_b32_e32 v4, 0x7fffffff, v9
	;; [unrolled: 6-line block ×3, first 2 shown]
	;;#ASMSTART
	v_max3_f32 v2, v2, v3, v4

	;;#ASMEND
.LBB408_16:
	s_or_b64 exec, exec, s[8:9]
	s_load_dwordx4 s[24:27], s[4:5], 0x70
	;;#ASMSTART
	v_max_f32 v3, v2, v2 quad_perm:[1,0,3,2] row_mask:0xf bank_mask:0xf bound_ctrl:1
	;;#ASMEND
	;;#ASMSTART
	v_max_f32 v4, v3, v3 quad_perm:[2,3,0,1] row_mask:0xf bank_mask:0xf bound_ctrl:1
	;;#ASMEND
	v_and_b32_e32 v3, 7, v0
	v_cmp_eq_u32_e32 vcc, 0, v3
	v_cmp_gt_i32_e64 s[8:9], s19, v1
	s_and_b64 s[10:11], vcc, s[8:9]
	;;#ASMSTART
	v_max_f32 v2, v4, v4 row_half_mirror row_mask:0xf bank_mask:0xf bound_ctrl:1
	;;#ASMEND
	s_and_saveexec_b64 s[8:9], s[10:11]
	s_cbranch_execz .LBB408_18
; %bb.17:
	s_load_dwordx2 s[10:11], s[4:5], 0x8
	v_mul_f32_e32 v2, 0x3e2aaaab, v2
	v_lshrrev_b32_e32 v3, 23, v2
	v_and_b32_e32 v4, 0x7f800000, v2
	v_and_b32_e32 v2, 0x7fffff, v2
	v_cmp_ne_u32_e32 vcc, 0, v2
	s_waitcnt lgkmcnt(0)
	s_mul_i32 s16, s25, s6
	s_mov_b32 s14, 0x7f800000
	v_addc_co_u32_e32 v2, vcc, 0, v3, vcc
	s_mul_hi_i32 s15, s25, s6
	s_add_u32 s10, s10, s16
	v_cmp_ne_u32_e32 vcc, s14, v4
	s_addc_u32 s11, s11, s15
	v_lshrrev_b32_e32 v5, 3, v0
	v_cndmask_b32_e32 v4, -1, v2, vcc
	v_pk_mov_b32 v[2:3], s[10:11], s[10:11] op_sel:[0,1]
	v_mad_i64_i32 v[2:3], s[10:11], s26, v5, v[2:3]
	global_store_byte v[2:3], v4, off
.LBB408_18:
	s_or_b64 exec, exec, s[8:9]
	s_and_saveexec_b64 s[8:9], s[2:3]
	s_cbranch_execz .LBB408_20
; %bb.19:
	s_load_dwordx2 s[2:3], s[4:5], 0x0
	s_waitcnt lgkmcnt(0)
	s_mul_i32 s11, s24, s6
	s_mul_hi_i32 s10, s24, s6
	v_lshlrev_b32_e32 v2, 2, v0
	s_mov_b32 s27, 0x20000
	s_add_u32 s24, s2, s11
	s_addc_u32 s2, s3, s10
	s_lshr_b32 s3, s19, 31
	s_add_i32 s3, s19, s3
	s_ashr_i32 s3, s3, 1
	s_add_i32 s3, s3, 3
	s_ashr_i32 s10, s3, 31
	s_lshr_b32 s10, s10, 30
	s_add_i32 s3, s3, s10
	s_and_b32 s26, s3, -4
	s_and_b32 s25, s2, 0xffff
	v_mov_b32_e32 v3, 0
	buffer_store_dword v3, v2, s[24:27], 0 offen
	;;#ASMSTART
	s_nop 0
	;;#ASMEND
.LBB408_20:
	s_or_b64 exec, exec, s[8:9]
	s_cmp_lt_i32 s20, 1
	s_cbranch_scc1 .LBB408_10
.LBB408_21:
	s_load_dword s2, s[4:5], 0x94
	s_waitcnt lgkmcnt(0)
	s_cmp_lg_u32 s2, 1
	s_cbranch_scc1 .LBB408_10
; %bb.22:
	s_lshl_b32 s2, s20, 1
	s_add_i32 s2, s2, 2
	v_cmp_gt_u32_e32 vcc, s20, v1
	s_and_b32 s14, s2, -4
	v_mov_b32_e32 v6, 0
	v_lshlrev_b32_e32 v1, 4, v0
	v_mov_b32_e32 v7, 0
	v_mov_b32_e32 v8, 0
	;; [unrolled: 1-line block ×3, first 2 shown]
	s_waitcnt vmcnt(0)
	v_mov_b32_e32 v2, 0
	v_mov_b32_e32 v3, 0
	;; [unrolled: 1-line block ×4, first 2 shown]
	s_barrier
	s_and_saveexec_b64 s[2:3], vcc
	s_cbranch_execz .LBB408_24
; %bb.23:
	s_mul_hi_i32 s5, s22, s6
	s_mul_i32 s4, s22, s6
	s_and_b32 s13, s13, 0xffff
	s_lshl_b64 s[4:5], s[4:5], 1
	s_add_u32 s8, s30, s4
	s_mov_b32 s15, 0x20000
	s_addc_u32 s4, s31, s5
	s_and_b32 s9, s4, 0xffff
	s_mov_b32 s10, s14
	s_mov_b32 s11, s15
	buffer_load_dwordx4 v[6:9], v1, s[8:11], 0 offen glc slc
	buffer_load_dwordx4 v[2:5], v1, s[12:15], 0 offen
.LBB408_24:
	s_or_b64 exec, exec, s[2:3]
	s_waitcnt vmcnt(1)
	v_cvt_f32_u32_sdwa v13, v6 dst_sel:DWORD dst_unused:UNUSED_PAD src0_sel:WORD_1
	v_cvt_f32_u32_sdwa v12, v6 dst_sel:DWORD dst_unused:UNUSED_PAD src0_sel:WORD_0
	v_cvt_f32_u32_sdwa v6, v9 dst_sel:DWORD dst_unused:UNUSED_PAD src0_sel:WORD_1
	v_cvt_f32_u32_sdwa v9, v9 dst_sel:DWORD dst_unused:UNUSED_PAD src0_sel:WORD_0
	;; [unrolled: 2-line block ×4, first 2 shown]
	v_cndmask_b32_e32 v13, 0, v13, vcc
	v_cndmask_b32_e32 v7, 0, v6, vcc
	;; [unrolled: 1-line block ×5, first 2 shown]
	v_mul_f32_e32 v15, v13, v13
	v_cndmask_b32_e32 v10, 0, v10, vcc
	v_fmac_f32_e32 v15, v12, v12
	v_cndmask_b32_e32 v11, 0, v11, vcc
	v_fmac_f32_e32 v15, v10, v10
	;; [unrolled: 2-line block ×3, first 2 shown]
	v_fmac_f32_e32 v15, v8, v8
	v_fmac_f32_e32 v15, v9, v9
	v_fmac_f32_e32 v15, v6, v6
	v_fmac_f32_e32 v15, v7, v7
	s_nop 1
	v_mov_b32_dpp v16, v15 quad_perm:[1,0,3,2] row_mask:0xf bank_mask:0xf
	v_add_f32_e32 v15, v15, v16
	s_nop 1
	v_mov_b32_dpp v16, v15 quad_perm:[2,3,0,1] row_mask:0xf bank_mask:0xf
	v_add_f32_e32 v15, v15, v16
	s_nop 1
	v_mov_b32_dpp v16, v15 row_half_mirror row_mask:0xf bank_mask:0xf
	v_add_f32_e32 v15, v15, v16
	s_nop 1
	v_mov_b32_dpp v16, v15 row_mirror row_mask:0xf bank_mask:0xf
	v_add_f32_e32 v15, v15, v16
	s_nop 1
	v_mov_b32_dpp v16, v15 row_bcast:15 row_mask:0xf bank_mask:0xf
	v_add_f32_e32 v15, v15, v16
	s_nop 1
	v_mov_b32_dpp v16, v15 row_bcast:31 row_mask:0xf bank_mask:0xf
	s_and_saveexec_b64 s[2:3], s[0:1]
	s_cbranch_execz .LBB408_26
; %bb.25:
	v_lshrrev_b32_e32 v0, 4, v0
	v_add_f32_e32 v15, v15, v16
	v_and_b32_e32 v0, 60, v0
	ds_write_b32 v0, v15
.LBB408_26:
	s_or_b64 exec, exec, s[2:3]
	s_waitcnt lgkmcnt(0)
	s_barrier
	ds_read_b32 v0, v14
	s_waitcnt lgkmcnt(0)
	s_nop 0
	v_mov_b32_dpp v14, v0 quad_perm:[1,0,3,2] row_mask:0xf bank_mask:0xf
	s_and_saveexec_b64 s[0:1], vcc
	s_cbranch_execz .LBB408_10
; %bb.27:
	v_cvt_f32_u32_e32 v15, s20
	v_add_f32_e32 v0, v0, v14
	s_mov_b32 s15, 0x20000
	v_div_scale_f32 v14, s[0:1], v15, v15, v0
	v_rcp_f32_e32 v16, v14
	v_div_scale_f32 v17, vcc, v0, v15, v0
	s_mov_b32 s0, 0x800000
	v_fma_f32 v18, -v14, v16, 1.0
	v_fmac_f32_e32 v16, v18, v16
	v_mul_f32_e32 v18, v17, v16
	v_fma_f32 v19, -v14, v18, v17
	v_fmac_f32_e32 v18, v19, v16
	v_fma_f32 v14, -v14, v18, v17
	v_div_fmas_f32 v14, v14, v16, v18
	v_div_fixup_f32 v0, v14, v15, v0
	v_add_f32_e32 v0, s17, v0
	v_mul_f32_e32 v14, 0x4b800000, v0
	v_cmp_gt_f32_e32 vcc, s0, v0
	v_cndmask_b32_e32 v0, v0, v14, vcc
	v_rsq_f32_e32 v0, v0
	s_mul_hi_i32 s1, s7, s6
	s_mul_i32 s0, s7, s6
	s_lshl_b64 s[0:1], s[0:1], 1
	v_mul_f32_e32 v14, 0x45800000, v0
	v_cndmask_b32_e32 v14, v0, v14, vcc
	s_add_u32 s12, s28, s0
	v_mov_b32_e32 v15, v14
	s_addc_u32 s0, s29, s1
	;;#ASMSTART
	v_pk_mul_f32 v[12:13], v[12:13], v[14:15]
	;;#ASMEND
	;;#ASMSTART
	v_pk_mul_f32 v[10:11], v[10:11], v[14:15]
	;;#ASMEND
	;; [unrolled: 3-line block ×4, first 2 shown]
	s_waitcnt vmcnt(0)
	v_cvt_f32_u32_sdwa v15, v2 dst_sel:DWORD dst_unused:UNUSED_PAD src0_sel:WORD_1
	v_cvt_f32_u32_sdwa v14, v2 dst_sel:DWORD dst_unused:UNUSED_PAD src0_sel:WORD_0
	v_cvt_f32_u32_sdwa v17, v3 dst_sel:DWORD dst_unused:UNUSED_PAD src0_sel:WORD_1
	v_cvt_f32_u32_sdwa v16, v3 dst_sel:DWORD dst_unused:UNUSED_PAD src0_sel:WORD_0
	;; [unrolled: 2-line block ×4, first 2 shown]
	;;#ASMSTART
	v_pk_mul_f32 v[4:5], v[12:13], v[14:15]
	;;#ASMEND
	s_and_b32 s13, s0, 0xffff
	s_mov_b32 s0, 0x7060302
	;;#ASMSTART
	v_pk_mul_f32 v[10:11], v[10:11], v[16:17]
	;;#ASMEND
	;;#ASMSTART
	v_pk_mul_f32 v[8:9], v[8:9], v[2:3]
	;;#ASMEND
	;; [unrolled: 3-line block ×3, first 2 shown]
	v_perm_b32 v2, v5, v4, s0
	v_perm_b32 v3, v11, v10, s0
	;; [unrolled: 1-line block ×4, first 2 shown]
	buffer_store_dwordx4 v[2:5], v1, s[12:15], 0 offen
	;;#ASMSTART
	s_nop 0
	;;#ASMEND
	s_endpgm
	.section	.rodata,"a",@progbits
	.p2align	6, 0x0
	.amdhsa_kernel _ZN5aiter35fused_qk_rmsnorm_group_quant_kernelItN4opus5fp4_tELi128ELi8ELi8ELb0ELb0ELb0ELb0ELb0ELb0EEEvPT0_PvPT_S7_S7_PKS6_S9_S9_S9_S9_ffiiiiiiiiiiiii
		.amdhsa_group_segment_fixed_size 16
		.amdhsa_private_segment_fixed_size 0
		.amdhsa_kernarg_size 400
		.amdhsa_user_sgpr_count 6
		.amdhsa_user_sgpr_private_segment_buffer 1
		.amdhsa_user_sgpr_dispatch_ptr 0
		.amdhsa_user_sgpr_queue_ptr 0
		.amdhsa_user_sgpr_kernarg_segment_ptr 1
		.amdhsa_user_sgpr_dispatch_id 0
		.amdhsa_user_sgpr_flat_scratch_init 0
		.amdhsa_user_sgpr_kernarg_preload_length 0
		.amdhsa_user_sgpr_kernarg_preload_offset 0
		.amdhsa_user_sgpr_private_segment_size 0
		.amdhsa_uses_dynamic_stack 0
		.amdhsa_system_sgpr_private_segment_wavefront_offset 0
		.amdhsa_system_sgpr_workgroup_id_x 1
		.amdhsa_system_sgpr_workgroup_id_y 1
		.amdhsa_system_sgpr_workgroup_id_z 0
		.amdhsa_system_sgpr_workgroup_info 0
		.amdhsa_system_vgpr_workitem_id 0
		.amdhsa_next_free_vgpr 23
		.amdhsa_next_free_sgpr 32
		.amdhsa_accum_offset 24
		.amdhsa_reserve_vcc 1
		.amdhsa_reserve_flat_scratch 0
		.amdhsa_float_round_mode_32 0
		.amdhsa_float_round_mode_16_64 0
		.amdhsa_float_denorm_mode_32 3
		.amdhsa_float_denorm_mode_16_64 3
		.amdhsa_dx10_clamp 1
		.amdhsa_ieee_mode 1
		.amdhsa_fp16_overflow 0
		.amdhsa_tg_split 0
		.amdhsa_exception_fp_ieee_invalid_op 0
		.amdhsa_exception_fp_denorm_src 0
		.amdhsa_exception_fp_ieee_div_zero 0
		.amdhsa_exception_fp_ieee_overflow 0
		.amdhsa_exception_fp_ieee_underflow 0
		.amdhsa_exception_fp_ieee_inexact 0
		.amdhsa_exception_int_div_zero 0
	.end_amdhsa_kernel
	.section	.text._ZN5aiter35fused_qk_rmsnorm_group_quant_kernelItN4opus5fp4_tELi128ELi8ELi8ELb0ELb0ELb0ELb0ELb0ELb0EEEvPT0_PvPT_S7_S7_PKS6_S9_S9_S9_S9_ffiiiiiiiiiiiii,"axG",@progbits,_ZN5aiter35fused_qk_rmsnorm_group_quant_kernelItN4opus5fp4_tELi128ELi8ELi8ELb0ELb0ELb0ELb0ELb0ELb0EEEvPT0_PvPT_S7_S7_PKS6_S9_S9_S9_S9_ffiiiiiiiiiiiii,comdat
.Lfunc_end408:
	.size	_ZN5aiter35fused_qk_rmsnorm_group_quant_kernelItN4opus5fp4_tELi128ELi8ELi8ELb0ELb0ELb0ELb0ELb0ELb0EEEvPT0_PvPT_S7_S7_PKS6_S9_S9_S9_S9_ffiiiiiiiiiiiii, .Lfunc_end408-_ZN5aiter35fused_qk_rmsnorm_group_quant_kernelItN4opus5fp4_tELi128ELi8ELi8ELb0ELb0ELb0ELb0ELb0ELb0EEEvPT0_PvPT_S7_S7_PKS6_S9_S9_S9_S9_ffiiiiiiiiiiiii
                                        ; -- End function
	.section	.AMDGPU.csdata,"",@progbits
; Kernel info:
; codeLenInByte = 2280
; NumSgprs: 36
; NumVgprs: 23
; NumAgprs: 0
; TotalNumVgprs: 23
; ScratchSize: 0
; MemoryBound: 0
; FloatMode: 240
; IeeeMode: 1
; LDSByteSize: 16 bytes/workgroup (compile time only)
; SGPRBlocks: 4
; VGPRBlocks: 2
; NumSGPRsForWavesPerEU: 36
; NumVGPRsForWavesPerEU: 23
; AccumOffset: 24
; Occupancy: 8
; WaveLimiterHint : 0
; COMPUTE_PGM_RSRC2:SCRATCH_EN: 0
; COMPUTE_PGM_RSRC2:USER_SGPR: 6
; COMPUTE_PGM_RSRC2:TRAP_HANDLER: 0
; COMPUTE_PGM_RSRC2:TGID_X_EN: 1
; COMPUTE_PGM_RSRC2:TGID_Y_EN: 1
; COMPUTE_PGM_RSRC2:TGID_Z_EN: 0
; COMPUTE_PGM_RSRC2:TIDIG_COMP_CNT: 0
; COMPUTE_PGM_RSRC3_GFX90A:ACCUM_OFFSET: 5
; COMPUTE_PGM_RSRC3_GFX90A:TG_SPLIT: 0
	.section	.text._ZN5aiter35fused_qk_rmsnorm_group_quant_kernelIDF16_DB8_Li128ELi8ELi4ELb1ELb1ELb1ELb1ELb0ELb0EEEvPT0_PvPT_S6_S6_PKS5_S8_S8_S8_S8_ffiiiiiiiiiiiii,"axG",@progbits,_ZN5aiter35fused_qk_rmsnorm_group_quant_kernelIDF16_DB8_Li128ELi8ELi4ELb1ELb1ELb1ELb1ELb0ELb0EEEvPT0_PvPT_S6_S6_PKS5_S8_S8_S8_S8_ffiiiiiiiiiiiii,comdat
	.protected	_ZN5aiter35fused_qk_rmsnorm_group_quant_kernelIDF16_DB8_Li128ELi8ELi4ELb1ELb1ELb1ELb1ELb0ELb0EEEvPT0_PvPT_S6_S6_PKS5_S8_S8_S8_S8_ffiiiiiiiiiiiii ; -- Begin function _ZN5aiter35fused_qk_rmsnorm_group_quant_kernelIDF16_DB8_Li128ELi8ELi4ELb1ELb1ELb1ELb1ELb0ELb0EEEvPT0_PvPT_S6_S6_PKS5_S8_S8_S8_S8_ffiiiiiiiiiiiii
	.globl	_ZN5aiter35fused_qk_rmsnorm_group_quant_kernelIDF16_DB8_Li128ELi8ELi4ELb1ELb1ELb1ELb1ELb0ELb0EEEvPT0_PvPT_S6_S6_PKS5_S8_S8_S8_S8_ffiiiiiiiiiiiii
	.p2align	8
	.type	_ZN5aiter35fused_qk_rmsnorm_group_quant_kernelIDF16_DB8_Li128ELi8ELi4ELb1ELb1ELb1ELb1ELb0ELb0EEEvPT0_PvPT_S6_S6_PKS5_S8_S8_S8_S8_ffiiiiiiiiiiiii,@function
_ZN5aiter35fused_qk_rmsnorm_group_quant_kernelIDF16_DB8_Li128ELi8ELi4ELb1ELb1ELb1ELb1ELb0ELb0EEEvPT0_PvPT_S6_S6_PKS5_S8_S8_S8_S8_ffiiiiiiiiiiiii: ; @_ZN5aiter35fused_qk_rmsnorm_group_quant_kernelIDF16_DB8_Li128ELi8ELi4ELb1ELb1ELb1ELb1ELb0ELb0EEEvPT0_PvPT_S6_S6_PKS5_S8_S8_S8_S8_ffiiiiiiiiiiiii
; %bb.0:
	s_load_dwordx8 s[12:19], s[4:5], 0x50
	s_waitcnt lgkmcnt(0)
	s_cmp_ge_i32 s6, s14
	s_cbranch_scc1 .LBB409_17
; %bb.1:
	s_cmp_lg_u32 s7, 0
	s_cselect_b64 s[22:23], -1, 0
	s_cmp_eq_u32 s7, 0
	s_cselect_b64 s[2:3], -1, 0
	s_and_b64 s[0:1], s[2:3], exec
	s_cselect_b32 s7, s15, s16
	s_load_dwordx2 s[10:11], s[4:5], 0x30
	s_load_dwordx2 s[20:21], s[4:5], 0x48
	s_add_i32 s0, s7, 1
	s_lshr_b32 s1, s0, 31
	s_add_i32 s0, s0, s1
	s_lshl_b32 s0, s0, 1
	v_lshlrev_b32_e32 v1, 3, v0
	s_and_b32 s30, s0, -4
	v_cmp_gt_i32_e64 s[0:1], s7, v1
	v_mov_b32_e32 v2, 0
	v_mov_b32_e32 v3, 0
	;; [unrolled: 1-line block ×8, first 2 shown]
	s_and_saveexec_b64 s[8:9], s[0:1]
	s_cbranch_execz .LBB409_3
; %bb.2:
	s_load_dwordx2 s[14:15], s[4:5], 0x28
	s_load_dwordx2 s[26:27], s[4:5], 0x40
	s_and_b64 s[24:25], s[2:3], exec
	s_cselect_b32 s17, s17, s18
	s_mov_b32 s31, 0x20000
	s_waitcnt lgkmcnt(0)
	s_cselect_b32 s25, s15, s11
	s_cselect_b32 s24, s14, s10
	s_mul_hi_i32 s15, s17, s6
	s_mul_i32 s14, s17, s6
	s_lshl_b64 s[14:15], s[14:15], 1
	s_add_u32 s24, s24, s14
	s_addc_u32 s17, s25, s15
	s_and_b64 s[14:15], s[2:3], exec
	s_cselect_b32 s28, s26, s20
	s_cselect_b32 s14, s27, s21
	v_lshlrev_b32_e32 v10, 4, v0
	s_and_b32 s25, s17, 0xffff
	s_mov_b32 s26, s30
	s_mov_b32 s27, s31
	s_and_b32 s29, s14, 0xffff
	buffer_load_dwordx4 v[6:9], v10, s[24:27], 0 offen glc slc
	buffer_load_dwordx4 v[2:5], v10, s[28:31], 0 offen
.LBB409_3:
	s_or_b64 exec, exec, s[8:9]
	s_load_dwordx4 s[24:27], s[4:5], 0x7c
	s_and_b64 vcc, exec, s[22:23]
	s_cbranch_vccz .LBB409_7
; %bb.4:
	v_mov_b32_e32 v11, 0
	v_mov_b32_e32 v10, 0
	;; [unrolled: 1-line block ×8, first 2 shown]
	s_and_saveexec_b64 s[8:9], s[0:1]
	s_cbranch_execz .LBB409_6
; %bb.5:
	s_waitcnt vmcnt(1)
	v_cvt_f32_f16_sdwa v13, v6 dst_sel:DWORD dst_unused:UNUSED_PAD src0_sel:WORD_1
	v_cvt_f32_f16_e32 v12, v6
	v_cvt_f32_f16_sdwa v17, v7 dst_sel:DWORD dst_unused:UNUSED_PAD src0_sel:WORD_1
	v_cvt_f32_f16_e32 v16, v7
	;; [unrolled: 2-line block ×4, first 2 shown]
.LBB409_6:
	s_or_b64 exec, exec, s[8:9]
	s_cbranch_execz .LBB409_8
	s_branch .LBB409_11
.LBB409_7:
                                        ; implicit-def: $vgpr11
                                        ; implicit-def: $vgpr15
                                        ; implicit-def: $vgpr17
                                        ; implicit-def: $vgpr13
.LBB409_8:
	v_mov_b32_e32 v11, 0
	v_mov_b32_e32 v10, 0
	;; [unrolled: 1-line block ×8, first 2 shown]
	s_and_saveexec_b64 s[8:9], s[0:1]
	s_cbranch_execz .LBB409_10
; %bb.9:
	s_load_dwordx2 s[14:15], s[4:5], 0x38
	s_mul_hi_i32 s29, s19, s6
	s_mul_i32 s28, s19, s6
	s_lshl_b64 s[28:29], s[28:29], 1
	s_mov_b32 s31, 0x20000
	s_waitcnt lgkmcnt(0)
	s_add_u32 s28, s14, s28
	s_addc_u32 s14, s15, s29
	s_and_b32 s29, s14, 0xffff
	v_lshlrev_b32_e32 v24, 4, v0
	buffer_load_dwordx4 v[10:13], v24, s[28:31], 0 offen glc slc
	s_waitcnt vmcnt(2)
	v_cvt_f32_f16_sdwa v15, v6 dst_sel:DWORD dst_unused:UNUSED_PAD src0_sel:WORD_1
	v_cvt_f32_f16_e32 v14, v6
	v_cvt_f32_f16_sdwa v17, v7 dst_sel:DWORD dst_unused:UNUSED_PAD src0_sel:WORD_1
	v_cvt_f32_f16_e32 v16, v7
	;; [unrolled: 2-line block ×4, first 2 shown]
	s_load_dwordx2 s[14:15], s[4:5], 0x20
	s_mul_hi_i32 s27, s26, s6
	s_mul_i32 s26, s26, s6
	s_lshl_b64 s[26:27], s[26:27], 1
	s_waitcnt lgkmcnt(0)
	s_add_u32 s28, s14, s26
	s_addc_u32 s14, s15, s27
	s_and_b32 s29, s14, 0xffff
	s_waitcnt vmcnt(0)
	v_cvt_f32_f16_e32 v8, v10
	v_cvt_f32_f16_sdwa v9, v10 dst_sel:DWORD dst_unused:UNUSED_PAD src0_sel:WORD_1
	v_cvt_f32_f16_e32 v10, v11
	v_cvt_f32_f16_sdwa v11, v11 dst_sel:DWORD dst_unused:UNUSED_PAD src0_sel:WORD_1
	;; [unrolled: 2-line block ×4, first 2 shown]
	v_pk_add_f32 v[12:13], v[14:15], v[8:9]
	v_pk_add_f32 v[16:17], v[16:17], v[10:11]
	;; [unrolled: 1-line block ×4, first 2 shown]
	v_cvt_f16_f32_e32 v6, v13
	v_cvt_f16_f32_e32 v7, v17
	;; [unrolled: 1-line block ×8, first 2 shown]
	v_pack_b32_f16 v9, v18, v9
	v_pack_b32_f16 v8, v19, v8
	;; [unrolled: 1-line block ×4, first 2 shown]
	buffer_store_dwordx4 v[6:9], v24, s[28:31], 0 offen glc slc
	;;#ASMSTART
	s_nop 0
	;;#ASMEND
.LBB409_10:
	s_or_b64 exec, exec, s[8:9]
.LBB409_11:
	s_waitcnt vmcnt(1)
	v_mul_f32_e32 v6, v13, v13
	v_fmac_f32_e32 v6, v12, v12
	v_fmac_f32_e32 v6, v16, v16
	;; [unrolled: 1-line block ×7, first 2 shown]
	v_and_b32_e32 v8, 63, v0
	v_cmp_eq_u32_e64 s[8:9], 63, v8
	v_mov_b32_dpp v7, v6 quad_perm:[1,0,3,2] row_mask:0xf bank_mask:0xf
	v_add_f32_e32 v6, v6, v7
	s_nop 1
	v_mov_b32_dpp v7, v6 quad_perm:[2,3,0,1] row_mask:0xf bank_mask:0xf
	v_add_f32_e32 v6, v6, v7
	s_nop 1
	v_mov_b32_dpp v7, v6 row_half_mirror row_mask:0xf bank_mask:0xf
	v_add_f32_e32 v6, v6, v7
	s_nop 1
	v_mov_b32_dpp v7, v6 row_mirror row_mask:0xf bank_mask:0xf
	v_add_f32_e32 v6, v6, v7
	s_nop 1
	v_mov_b32_dpp v7, v6 row_bcast:15 row_mask:0xf bank_mask:0xf
	v_add_f32_e32 v6, v6, v7
	s_nop 1
	v_mov_b32_dpp v7, v6 row_bcast:31 row_mask:0xf bank_mask:0xf
	s_and_saveexec_b64 s[14:15], s[8:9]
	s_cbranch_execz .LBB409_13
; %bb.12:
	v_add_f32_e32 v6, v6, v7
	v_lshrrev_b32_e32 v7, 4, v0
	v_and_b32_e32 v7, 60, v7
	ds_write_b32 v7, v6 offset:8
.LBB409_13:
	s_or_b64 exec, exec, s[14:15]
	v_and_b32_e32 v6, 1, v0
	v_lshlrev_b32_e32 v18, 2, v6
	s_waitcnt lgkmcnt(0)
	s_barrier
	ds_read_b32 v6, v18 offset:8
	s_load_dwordx2 s[14:15], s[4:5], 0x18
	s_waitcnt lgkmcnt(0)
	v_mov_b32_dpp v7, v6 quad_perm:[1,0,3,2] row_mask:0xf bank_mask:0xf
	s_and_saveexec_b64 s[26:27], s[0:1]
	s_cbranch_execnz .LBB409_18
; %bb.14:
	s_or_b64 exec, exec, s[26:27]
	s_mov_b64 s[2:3], -1
	s_and_b64 vcc, exec, s[22:23]
	s_cbranch_vccnz .LBB409_19
.LBB409_15:
	s_andn2_b64 vcc, exec, s[2:3]
	s_cbranch_vccz .LBB409_22
.LBB409_16:
	s_cmp_lt_i32 s16, 1
	s_cbranch_scc0 .LBB409_25
.LBB409_17:
	s_endpgm
.LBB409_18:
	v_cvt_f32_u32_e32 v8, s7
	v_add_f32_e32 v6, v6, v7
	v_mov_b32_e32 v19, s13
	v_mov_b32_e32 v20, s12
	v_div_scale_f32 v7, s[28:29], v8, v8, v6
	v_rcp_f32_e32 v9, v7
	v_cndmask_b32_e64 v19, v19, v20, s[2:3]
	s_mov_b32 s2, 0x800000
	v_fma_f32 v20, -v7, v9, 1.0
	v_fmac_f32_e32 v9, v20, v9
	v_div_scale_f32 v20, vcc, v6, v8, v6
	v_mul_f32_e32 v21, v20, v9
	v_fma_f32 v22, -v7, v21, v20
	v_fmac_f32_e32 v21, v22, v9
	v_fma_f32 v7, -v7, v21, v20
	v_div_fmas_f32 v7, v7, v9, v21
	v_div_fixup_f32 v6, v7, v8, v6
	v_add_f32_e32 v6, v19, v6
	v_mul_f32_e32 v7, 0x4b800000, v6
	v_cmp_gt_f32_e32 vcc, s2, v6
	v_cndmask_b32_e32 v6, v6, v7, vcc
	v_rsq_f32_e32 v6, v6
	s_waitcnt vmcnt(0)
	v_cvt_f32_f16_sdwa v21, v3 dst_sel:DWORD dst_unused:UNUSED_PAD src0_sel:WORD_1
	v_cvt_f32_f16_e32 v20, v3
	v_mul_f32_e32 v7, 0x45800000, v6
	v_cndmask_b32_e32 v6, v6, v7, vcc
	v_mov_b32_e32 v7, v6
	;;#ASMSTART
	v_pk_mul_f32 v[8:9], v[12:13], v[6:7]
	;;#ASMEND
	v_cvt_f32_f16_sdwa v13, v2 dst_sel:DWORD dst_unused:UNUSED_PAD src0_sel:WORD_1
	v_cvt_f32_f16_e32 v12, v2
	;;#ASMSTART
	v_pk_mul_f32 v[16:17], v[16:17], v[6:7]
	;;#ASMEND
	;;#ASMSTART
	v_pk_mul_f32 v[14:15], v[14:15], v[6:7]
	;;#ASMEND
	;;#ASMSTART
	v_pk_mul_f32 v[2:3], v[10:11], v[6:7]
	;;#ASMEND
	v_pk_add_f32 v[6:7], v[12:13], 1.0 op_sel_hi:[1,0]
	;;#ASMSTART
	v_pk_mul_f32 v[12:13], v[8:9], v[6:7]
	;;#ASMEND
	v_cvt_f32_f16_sdwa v9, v4 dst_sel:DWORD dst_unused:UNUSED_PAD src0_sel:WORD_1
	v_cvt_f32_f16_e32 v8, v4
	v_cvt_f32_f16_sdwa v11, v5 dst_sel:DWORD dst_unused:UNUSED_PAD src0_sel:WORD_1
	v_cvt_f32_f16_e32 v10, v5
	v_pk_add_f32 v[6:7], v[20:21], 1.0 op_sel_hi:[1,0]
	v_pk_add_f32 v[4:5], v[8:9], 1.0 op_sel_hi:[1,0]
	;;#ASMSTART
	v_pk_mul_f32 v[16:17], v[16:17], v[6:7]
	;;#ASMEND
	;;#ASMSTART
	v_pk_mul_f32 v[14:15], v[14:15], v[4:5]
	;;#ASMEND
	v_pk_add_f32 v[4:5], v[10:11], 1.0 op_sel_hi:[1,0]
	;;#ASMSTART
	v_pk_mul_f32 v[10:11], v[2:3], v[4:5]
	;;#ASMEND
	s_or_b64 exec, exec, s[26:27]
	s_mov_b64 s[2:3], -1
	s_and_b64 vcc, exec, s[22:23]
	s_cbranch_vccz .LBB409_15
.LBB409_19:
	s_and_saveexec_b64 s[2:3], s[0:1]
	s_cbranch_execz .LBB409_21
; %bb.20:
	s_mul_hi_i32 s23, s25, s6
	s_mul_i32 s22, s25, s6
	s_waitcnt vmcnt(0)
	v_cvt_f16_f32_e32 v2, v12
	v_cvt_f16_f32_e32 v3, v16
	;; [unrolled: 1-line block ×8, first 2 shown]
	s_lshl_b64 s[22:23], s[22:23], 1
	s_add_u32 s28, s14, s22
	s_addc_u32 s7, s15, s23
	s_and_b32 s29, s7, 0xffff
	s_mov_b32 s31, 0x20000
	v_pack_b32_f16 v5, v5, v6
	v_pack_b32_f16 v4, v4, v7
	;; [unrolled: 1-line block ×4, first 2 shown]
	v_lshlrev_b32_e32 v6, 4, v0
	buffer_store_dwordx4 v[2:5], v6, s[28:31], 0 offen
	;;#ASMSTART
	s_nop 0
	;;#ASMEND
.LBB409_21:
	s_or_b64 exec, exec, s[2:3]
	s_cbranch_execnz .LBB409_16
.LBB409_22:
	s_and_saveexec_b64 s[2:3], s[0:1]
	s_cbranch_execz .LBB409_24
; %bb.23:
	s_load_dwordx2 s[0:1], s[4:5], 0x10
	s_mul_hi_i32 s23, s24, s6
	s_mul_i32 s22, s24, s6
	s_waitcnt vmcnt(0)
	v_cvt_f16_f32_e32 v2, v12
	v_cvt_f16_f32_e32 v3, v16
	v_cvt_f16_f32_e32 v4, v14
	v_cvt_f16_f32_e32 v5, v10
	v_cvt_f16_f32_e32 v6, v11
	v_cvt_f16_f32_e32 v7, v15
	v_cvt_f16_f32_e32 v8, v17
	v_cvt_f16_f32_e32 v9, v13
	s_lshl_b64 s[22:23], s[22:23], 1
	s_waitcnt lgkmcnt(0)
	s_add_u32 s28, s0, s22
	s_addc_u32 s0, s1, s23
	s_mov_b32 s31, 0x20000
	s_and_b32 s29, s0, 0xffff
	v_pack_b32_f16 v5, v5, v6
	v_pack_b32_f16 v4, v4, v7
	;; [unrolled: 1-line block ×4, first 2 shown]
	v_lshlrev_b32_e32 v6, 4, v0
	buffer_store_dwordx4 v[2:5], v6, s[28:31], 0 offen
	;;#ASMSTART
	s_nop 0
	;;#ASMEND
.LBB409_24:
	s_or_b64 exec, exec, s[2:3]
	s_cmp_lt_i32 s16, 1
	s_cbranch_scc1 .LBB409_17
.LBB409_25:
	s_load_dword s0, s[4:5], 0x94
	s_waitcnt lgkmcnt(0)
	s_cmp_lg_u32 s0, 1
	s_cbranch_scc1 .LBB409_17
; %bb.26:
	s_lshl_b32 s0, s16, 1
	s_add_i32 s0, s0, 2
	v_cmp_gt_u32_e32 vcc, s16, v1
	s_and_b32 s22, s0, -4
	v_mov_b32_e32 v10, 0
	v_lshlrev_b32_e32 v1, 4, v0
	v_mov_b32_e32 v6, 0
	v_mov_b32_e32 v7, 0
	v_mov_b32_e32 v8, 0
	v_mov_b32_e32 v9, 0
	s_waitcnt vmcnt(0)
	v_mov_b32_e32 v2, 0
	v_mov_b32_e32 v3, 0
	;; [unrolled: 1-line block ×4, first 2 shown]
	s_barrier
	s_and_saveexec_b64 s[0:1], vcc
	s_cbranch_execz .LBB409_28
; %bb.27:
	s_mul_hi_i32 s3, s18, s6
	s_mul_i32 s2, s18, s6
	s_and_b32 s21, s21, 0xffff
	s_lshl_b64 s[2:3], s[2:3], 1
	s_add_u32 s28, s10, s2
	s_mov_b32 s23, 0x20000
	s_addc_u32 s2, s11, s3
	s_and_b32 s29, s2, 0xffff
	s_mov_b32 s30, s22
	s_mov_b32 s31, s23
	buffer_load_dwordx4 v[6:9], v1, s[28:31], 0 offen glc slc
	buffer_load_dwordx4 v[2:5], v1, s[20:23], 0 offen
.LBB409_28:
	s_or_b64 exec, exec, s[0:1]
	v_mov_b32_e32 v11, 0
	v_mov_b32_e32 v16, 0
	;; [unrolled: 1-line block ×7, first 2 shown]
	s_and_saveexec_b64 s[0:1], vcc
	s_cbranch_execz .LBB409_30
; %bb.29:
	s_waitcnt vmcnt(1)
	v_cvt_f32_f16_sdwa v11, v6 dst_sel:DWORD dst_unused:UNUSED_PAD src0_sel:WORD_1
	v_cvt_f32_f16_e32 v10, v6
	v_cvt_f32_f16_sdwa v17, v7 dst_sel:DWORD dst_unused:UNUSED_PAD src0_sel:WORD_1
	v_cvt_f32_f16_e32 v16, v7
	;; [unrolled: 2-line block ×4, first 2 shown]
.LBB409_30:
	s_or_b64 exec, exec, s[0:1]
	s_waitcnt vmcnt(1)
	v_mul_f32_e32 v6, v11, v11
	v_fmac_f32_e32 v6, v10, v10
	v_fmac_f32_e32 v6, v16, v16
	;; [unrolled: 1-line block ×7, first 2 shown]
	s_nop 1
	v_mov_b32_dpp v7, v6 quad_perm:[1,0,3,2] row_mask:0xf bank_mask:0xf
	v_add_f32_e32 v6, v6, v7
	s_nop 1
	v_mov_b32_dpp v7, v6 quad_perm:[2,3,0,1] row_mask:0xf bank_mask:0xf
	v_add_f32_e32 v6, v6, v7
	s_nop 1
	v_mov_b32_dpp v7, v6 row_half_mirror row_mask:0xf bank_mask:0xf
	v_add_f32_e32 v6, v6, v7
	s_nop 1
	v_mov_b32_dpp v7, v6 row_mirror row_mask:0xf bank_mask:0xf
	v_add_f32_e32 v6, v6, v7
	s_nop 1
	v_mov_b32_dpp v7, v6 row_bcast:15 row_mask:0xf bank_mask:0xf
	v_add_f32_e32 v6, v6, v7
	s_nop 1
	v_mov_b32_dpp v7, v6 row_bcast:31 row_mask:0xf bank_mask:0xf
	s_and_saveexec_b64 s[0:1], s[8:9]
	s_cbranch_execz .LBB409_32
; %bb.31:
	v_lshrrev_b32_e32 v0, 4, v0
	v_add_f32_e32 v6, v6, v7
	v_and_b32_e32 v0, 60, v0
	ds_write_b32 v0, v6
.LBB409_32:
	s_or_b64 exec, exec, s[0:1]
	s_waitcnt lgkmcnt(0)
	s_barrier
	ds_read_b32 v0, v18
	s_waitcnt lgkmcnt(0)
	s_nop 0
	v_mov_b32_dpp v6, v0 quad_perm:[1,0,3,2] row_mask:0xf bank_mask:0xf
	s_and_saveexec_b64 s[0:1], vcc
	s_cbranch_execz .LBB409_17
; %bb.33:
	v_cvt_f32_u32_e32 v7, s16
	v_add_f32_e32 v0, v0, v6
	s_mov_b32 s23, 0x20000
	v_div_scale_f32 v6, s[0:1], v7, v7, v0
	v_rcp_f32_e32 v8, v6
	v_div_scale_f32 v9, vcc, v0, v7, v0
	s_mov_b32 s0, 0x800000
	v_fma_f32 v18, -v6, v8, 1.0
	v_fmac_f32_e32 v8, v18, v8
	v_mul_f32_e32 v18, v9, v8
	v_fma_f32 v19, -v6, v18, v9
	v_fmac_f32_e32 v18, v19, v8
	v_fma_f32 v6, -v6, v18, v9
	v_div_fmas_f32 v6, v6, v8, v18
	v_div_fixup_f32 v0, v6, v7, v0
	v_add_f32_e32 v0, s13, v0
	v_mul_f32_e32 v6, 0x4b800000, v0
	v_cmp_gt_f32_e32 vcc, s0, v0
	v_cndmask_b32_e32 v0, v0, v6, vcc
	v_rsq_f32_e32 v0, v0
	s_waitcnt vmcnt(0)
	v_cvt_f32_f16_sdwa v19, v3 dst_sel:DWORD dst_unused:UNUSED_PAD src0_sel:WORD_1
	v_cvt_f32_f16_e32 v18, v3
	s_mul_hi_i32 s1, s25, s6
	v_mul_f32_e32 v6, 0x45800000, v0
	v_cndmask_b32_e32 v6, v0, v6, vcc
	v_mov_b32_e32 v7, v6
	;;#ASMSTART
	v_pk_mul_f32 v[8:9], v[10:11], v[6:7]
	;;#ASMEND
	;;#ASMSTART
	v_pk_mul_f32 v[10:11], v[16:17], v[6:7]
	;;#ASMEND
	v_cvt_f32_f16_sdwa v17, v2 dst_sel:DWORD dst_unused:UNUSED_PAD src0_sel:WORD_1
	v_cvt_f32_f16_e32 v16, v2
	;;#ASMSTART
	v_pk_mul_f32 v[14:15], v[14:15], v[6:7]
	;;#ASMEND
	;;#ASMSTART
	v_pk_mul_f32 v[2:3], v[12:13], v[6:7]
	;;#ASMEND
	v_cvt_f32_f16_sdwa v13, v4 dst_sel:DWORD dst_unused:UNUSED_PAD src0_sel:WORD_1
	v_cvt_f32_f16_e32 v12, v4
	v_pk_add_f32 v[6:7], v[16:17], 1.0 op_sel_hi:[1,0]
	v_cvt_f32_f16_sdwa v17, v5 dst_sel:DWORD dst_unused:UNUSED_PAD src0_sel:WORD_1
	v_cvt_f32_f16_e32 v16, v5
	;;#ASMSTART
	v_pk_mul_f32 v[6:7], v[8:9], v[6:7]
	;;#ASMEND
	v_pk_add_f32 v[8:9], v[18:19], 1.0 op_sel_hi:[1,0]
	;;#ASMSTART
	v_pk_mul_f32 v[4:5], v[10:11], v[8:9]
	;;#ASMEND
	v_pk_add_f32 v[8:9], v[12:13], 1.0 op_sel_hi:[1,0]
	;;#ASMSTART
	v_pk_mul_f32 v[8:9], v[14:15], v[8:9]
	;;#ASMEND
	v_pk_add_f32 v[10:11], v[16:17], 1.0 op_sel_hi:[1,0]
	;;#ASMSTART
	v_pk_mul_f32 v[2:3], v[2:3], v[10:11]
	;;#ASMEND
	s_mul_i32 s0, s25, s6
	v_cvt_f16_f32_e32 v0, v6
	v_cvt_f16_f32_e32 v6, v7
	;; [unrolled: 1-line block ×8, first 2 shown]
	s_lshl_b64 s[0:1], s[0:1], 1
	s_add_u32 s20, s14, s0
	s_addc_u32 s0, s15, s1
	s_and_b32 s21, s0, 0xffff
	v_pack_b32_f16 v2, v0, v6
	v_pack_b32_f16 v3, v4, v5
	;; [unrolled: 1-line block ×4, first 2 shown]
	buffer_store_dwordx4 v[2:5], v1, s[20:23], 0 offen
	;;#ASMSTART
	s_nop 0
	;;#ASMEND
	s_endpgm
	.section	.rodata,"a",@progbits
	.p2align	6, 0x0
	.amdhsa_kernel _ZN5aiter35fused_qk_rmsnorm_group_quant_kernelIDF16_DB8_Li128ELi8ELi4ELb1ELb1ELb1ELb1ELb0ELb0EEEvPT0_PvPT_S6_S6_PKS5_S8_S8_S8_S8_ffiiiiiiiiiiiii
		.amdhsa_group_segment_fixed_size 16
		.amdhsa_private_segment_fixed_size 0
		.amdhsa_kernarg_size 400
		.amdhsa_user_sgpr_count 6
		.amdhsa_user_sgpr_private_segment_buffer 1
		.amdhsa_user_sgpr_dispatch_ptr 0
		.amdhsa_user_sgpr_queue_ptr 0
		.amdhsa_user_sgpr_kernarg_segment_ptr 1
		.amdhsa_user_sgpr_dispatch_id 0
		.amdhsa_user_sgpr_flat_scratch_init 0
		.amdhsa_user_sgpr_kernarg_preload_length 0
		.amdhsa_user_sgpr_kernarg_preload_offset 0
		.amdhsa_user_sgpr_private_segment_size 0
		.amdhsa_uses_dynamic_stack 0
		.amdhsa_system_sgpr_private_segment_wavefront_offset 0
		.amdhsa_system_sgpr_workgroup_id_x 1
		.amdhsa_system_sgpr_workgroup_id_y 1
		.amdhsa_system_sgpr_workgroup_id_z 0
		.amdhsa_system_sgpr_workgroup_info 0
		.amdhsa_system_vgpr_workitem_id 0
		.amdhsa_next_free_vgpr 25
		.amdhsa_next_free_sgpr 32
		.amdhsa_accum_offset 28
		.amdhsa_reserve_vcc 1
		.amdhsa_reserve_flat_scratch 0
		.amdhsa_float_round_mode_32 0
		.amdhsa_float_round_mode_16_64 0
		.amdhsa_float_denorm_mode_32 3
		.amdhsa_float_denorm_mode_16_64 3
		.amdhsa_dx10_clamp 1
		.amdhsa_ieee_mode 1
		.amdhsa_fp16_overflow 0
		.amdhsa_tg_split 0
		.amdhsa_exception_fp_ieee_invalid_op 0
		.amdhsa_exception_fp_denorm_src 0
		.amdhsa_exception_fp_ieee_div_zero 0
		.amdhsa_exception_fp_ieee_overflow 0
		.amdhsa_exception_fp_ieee_underflow 0
		.amdhsa_exception_fp_ieee_inexact 0
		.amdhsa_exception_int_div_zero 0
	.end_amdhsa_kernel
	.section	.text._ZN5aiter35fused_qk_rmsnorm_group_quant_kernelIDF16_DB8_Li128ELi8ELi4ELb1ELb1ELb1ELb1ELb0ELb0EEEvPT0_PvPT_S6_S6_PKS5_S8_S8_S8_S8_ffiiiiiiiiiiiii,"axG",@progbits,_ZN5aiter35fused_qk_rmsnorm_group_quant_kernelIDF16_DB8_Li128ELi8ELi4ELb1ELb1ELb1ELb1ELb0ELb0EEEvPT0_PvPT_S6_S6_PKS5_S8_S8_S8_S8_ffiiiiiiiiiiiii,comdat
.Lfunc_end409:
	.size	_ZN5aiter35fused_qk_rmsnorm_group_quant_kernelIDF16_DB8_Li128ELi8ELi4ELb1ELb1ELb1ELb1ELb0ELb0EEEvPT0_PvPT_S6_S6_PKS5_S8_S8_S8_S8_ffiiiiiiiiiiiii, .Lfunc_end409-_ZN5aiter35fused_qk_rmsnorm_group_quant_kernelIDF16_DB8_Li128ELi8ELi4ELb1ELb1ELb1ELb1ELb0ELb0EEEvPT0_PvPT_S6_S6_PKS5_S8_S8_S8_S8_ffiiiiiiiiiiiii
                                        ; -- End function
	.section	.AMDGPU.csdata,"",@progbits
; Kernel info:
; codeLenInByte = 2448
; NumSgprs: 36
; NumVgprs: 25
; NumAgprs: 0
; TotalNumVgprs: 25
; ScratchSize: 0
; MemoryBound: 0
; FloatMode: 240
; IeeeMode: 1
; LDSByteSize: 16 bytes/workgroup (compile time only)
; SGPRBlocks: 4
; VGPRBlocks: 3
; NumSGPRsForWavesPerEU: 36
; NumVGPRsForWavesPerEU: 25
; AccumOffset: 28
; Occupancy: 8
; WaveLimiterHint : 0
; COMPUTE_PGM_RSRC2:SCRATCH_EN: 0
; COMPUTE_PGM_RSRC2:USER_SGPR: 6
; COMPUTE_PGM_RSRC2:TRAP_HANDLER: 0
; COMPUTE_PGM_RSRC2:TGID_X_EN: 1
; COMPUTE_PGM_RSRC2:TGID_Y_EN: 1
; COMPUTE_PGM_RSRC2:TGID_Z_EN: 0
; COMPUTE_PGM_RSRC2:TIDIG_COMP_CNT: 0
; COMPUTE_PGM_RSRC3_GFX90A:ACCUM_OFFSET: 6
; COMPUTE_PGM_RSRC3_GFX90A:TG_SPLIT: 0
	.section	.text._ZN5aiter35fused_qk_rmsnorm_group_quant_kernelItDB8_Li128ELi8ELi4ELb1ELb1ELb1ELb1ELb0ELb0EEEvPT0_PvPT_S6_S6_PKS5_S8_S8_S8_S8_ffiiiiiiiiiiiii,"axG",@progbits,_ZN5aiter35fused_qk_rmsnorm_group_quant_kernelItDB8_Li128ELi8ELi4ELb1ELb1ELb1ELb1ELb0ELb0EEEvPT0_PvPT_S6_S6_PKS5_S8_S8_S8_S8_ffiiiiiiiiiiiii,comdat
	.protected	_ZN5aiter35fused_qk_rmsnorm_group_quant_kernelItDB8_Li128ELi8ELi4ELb1ELb1ELb1ELb1ELb0ELb0EEEvPT0_PvPT_S6_S6_PKS5_S8_S8_S8_S8_ffiiiiiiiiiiiii ; -- Begin function _ZN5aiter35fused_qk_rmsnorm_group_quant_kernelItDB8_Li128ELi8ELi4ELb1ELb1ELb1ELb1ELb0ELb0EEEvPT0_PvPT_S6_S6_PKS5_S8_S8_S8_S8_ffiiiiiiiiiiiii
	.globl	_ZN5aiter35fused_qk_rmsnorm_group_quant_kernelItDB8_Li128ELi8ELi4ELb1ELb1ELb1ELb1ELb0ELb0EEEvPT0_PvPT_S6_S6_PKS5_S8_S8_S8_S8_ffiiiiiiiiiiiii
	.p2align	8
	.type	_ZN5aiter35fused_qk_rmsnorm_group_quant_kernelItDB8_Li128ELi8ELi4ELb1ELb1ELb1ELb1ELb0ELb0EEEvPT0_PvPT_S6_S6_PKS5_S8_S8_S8_S8_ffiiiiiiiiiiiii,@function
_ZN5aiter35fused_qk_rmsnorm_group_quant_kernelItDB8_Li128ELi8ELi4ELb1ELb1ELb1ELb1ELb0ELb0EEEvPT0_PvPT_S6_S6_PKS5_S8_S8_S8_S8_ffiiiiiiiiiiiii: ; @_ZN5aiter35fused_qk_rmsnorm_group_quant_kernelItDB8_Li128ELi8ELi4ELb1ELb1ELb1ELb1ELb0ELb0EEEvPT0_PvPT_S6_S6_PKS5_S8_S8_S8_S8_ffiiiiiiiiiiiii
; %bb.0:
	s_load_dwordx8 s[12:19], s[4:5], 0x50
	s_waitcnt lgkmcnt(0)
	s_cmp_ge_i32 s6, s14
	s_cbranch_scc1 .LBB410_17
; %bb.1:
	s_cmp_lg_u32 s7, 0
	s_cselect_b64 s[22:23], -1, 0
	s_cmp_eq_u32 s7, 0
	s_cselect_b64 s[8:9], -1, 0
	s_and_b64 s[0:1], s[8:9], exec
	s_cselect_b32 s7, s15, s16
	s_load_dwordx2 s[10:11], s[4:5], 0x30
	s_load_dwordx2 s[20:21], s[4:5], 0x48
	s_add_i32 s0, s7, 1
	s_lshr_b32 s1, s0, 31
	s_add_i32 s0, s0, s1
	s_lshl_b32 s0, s0, 1
	v_lshlrev_b32_e32 v1, 3, v0
	s_and_b32 s30, s0, -4
	v_cmp_gt_i32_e64 s[0:1], s7, v1
	v_mov_b32_e32 v10, 0
	v_mov_b32_e32 v11, 0
	;; [unrolled: 1-line block ×8, first 2 shown]
	s_and_saveexec_b64 s[2:3], s[0:1]
	s_cbranch_execz .LBB410_3
; %bb.2:
	s_load_dwordx2 s[14:15], s[4:5], 0x28
	s_load_dwordx2 s[26:27], s[4:5], 0x40
	s_and_b64 s[24:25], s[8:9], exec
	s_cselect_b32 s17, s17, s18
	s_mov_b32 s31, 0x20000
	s_waitcnt lgkmcnt(0)
	s_cselect_b32 s25, s15, s11
	s_cselect_b32 s24, s14, s10
	s_mul_hi_i32 s15, s17, s6
	s_mul_i32 s14, s17, s6
	s_lshl_b64 s[14:15], s[14:15], 1
	s_add_u32 s24, s24, s14
	s_addc_u32 s17, s25, s15
	s_and_b64 s[14:15], s[8:9], exec
	s_cselect_b32 s28, s26, s20
	s_cselect_b32 s14, s27, s21
	v_lshlrev_b32_e32 v2, 4, v0
	s_and_b32 s25, s17, 0xffff
	s_mov_b32 s26, s30
	s_mov_b32 s27, s31
	s_and_b32 s29, s14, 0xffff
	buffer_load_dwordx4 v[14:17], v2, s[24:27], 0 offen glc slc
	buffer_load_dwordx4 v[10:13], v2, s[28:31], 0 offen
.LBB410_3:
	s_or_b64 exec, exec, s[2:3]
	s_load_dwordx4 s[24:27], s[4:5], 0x7c
	s_and_b64 vcc, exec, s[22:23]
	s_cbranch_vccz .LBB410_7
; %bb.4:
	s_mov_b32 s36, 0
	s_mov_b32 s37, s36
	;; [unrolled: 1-line block ×8, first 2 shown]
	v_pk_mov_b32 v[2:3], s[36:37], s[36:37] op_sel:[0,1]
	v_pk_mov_b32 v[4:5], s[38:39], s[38:39] op_sel:[0,1]
	;; [unrolled: 1-line block ×4, first 2 shown]
	s_and_saveexec_b64 s[2:3], s[0:1]
	s_cbranch_execz .LBB410_6
; %bb.5:
	s_waitcnt vmcnt(1)
	v_cvt_f32_u32_sdwa v3, v14 dst_sel:DWORD dst_unused:UNUSED_PAD src0_sel:WORD_1
	v_cvt_f32_u32_sdwa v2, v14 dst_sel:DWORD dst_unused:UNUSED_PAD src0_sel:WORD_0
	v_cvt_f32_u32_sdwa v5, v15 dst_sel:DWORD dst_unused:UNUSED_PAD src0_sel:WORD_1
	v_cvt_f32_u32_sdwa v4, v15 dst_sel:DWORD dst_unused:UNUSED_PAD src0_sel:WORD_0
	;; [unrolled: 2-line block ×4, first 2 shown]
.LBB410_6:
	s_or_b64 exec, exec, s[2:3]
	s_cbranch_execz .LBB410_8
	s_branch .LBB410_11
.LBB410_7:
                                        ; implicit-def: $vgpr2_vgpr3_vgpr4_vgpr5_vgpr6_vgpr7_vgpr8_vgpr9
.LBB410_8:
	s_mov_b32 s36, 0
	s_mov_b32 s37, s36
	;; [unrolled: 1-line block ×8, first 2 shown]
	v_pk_mov_b32 v[2:3], s[36:37], s[36:37] op_sel:[0,1]
	v_pk_mov_b32 v[4:5], s[38:39], s[38:39] op_sel:[0,1]
	;; [unrolled: 1-line block ×4, first 2 shown]
	s_and_saveexec_b64 s[2:3], s[0:1]
	s_cbranch_execz .LBB410_10
; %bb.9:
	s_load_dwordx2 s[14:15], s[4:5], 0x38
	s_mul_hi_i32 s29, s19, s6
	s_mul_i32 s28, s19, s6
	s_lshl_b64 s[28:29], s[28:29], 1
	s_mov_b32 s31, 0x20000
	s_waitcnt lgkmcnt(0)
	s_add_u32 s28, s14, s28
	s_addc_u32 s14, s15, s29
	s_and_b32 s29, s14, 0xffff
	v_lshlrev_b32_e32 v26, 4, v0
	buffer_load_dwordx4 v[2:5], v26, s[28:31], 0 offen glc slc
	s_load_dwordx2 s[14:15], s[4:5], 0x20
	s_waitcnt vmcnt(2)
	v_cvt_f32_u32_sdwa v7, v14 dst_sel:DWORD dst_unused:UNUSED_PAD src0_sel:WORD_1
	v_cvt_f32_u32_sdwa v6, v14 dst_sel:DWORD dst_unused:UNUSED_PAD src0_sel:WORD_0
	v_cvt_f32_u32_sdwa v9, v15 dst_sel:DWORD dst_unused:UNUSED_PAD src0_sel:WORD_1
	v_cvt_f32_u32_sdwa v8, v15 dst_sel:DWORD dst_unused:UNUSED_PAD src0_sel:WORD_0
	v_cvt_f32_u32_sdwa v15, v16 dst_sel:DWORD dst_unused:UNUSED_PAD src0_sel:WORD_1
	v_cvt_f32_u32_sdwa v14, v16 dst_sel:DWORD dst_unused:UNUSED_PAD src0_sel:WORD_0
	v_cvt_f32_u32_sdwa v19, v17 dst_sel:DWORD dst_unused:UNUSED_PAD src0_sel:WORD_1
	v_cvt_f32_u32_sdwa v18, v17 dst_sel:DWORD dst_unused:UNUSED_PAD src0_sel:WORD_0
	s_mul_hi_i32 s27, s26, s6
	s_mul_i32 s26, s26, s6
	s_lshl_b64 s[26:27], s[26:27], 1
	s_waitcnt lgkmcnt(0)
	s_add_u32 s28, s14, s26
	s_mov_b32 s17, 0x7060302
	s_addc_u32 s14, s15, s27
	s_and_b32 s29, s14, 0xffff
	s_waitcnt vmcnt(0)
	v_cvt_f32_u32_sdwa v17, v2 dst_sel:DWORD dst_unused:UNUSED_PAD src0_sel:WORD_1
	v_cvt_f32_u32_sdwa v16, v2 dst_sel:DWORD dst_unused:UNUSED_PAD src0_sel:WORD_0
	v_cvt_f32_u32_sdwa v21, v3 dst_sel:DWORD dst_unused:UNUSED_PAD src0_sel:WORD_1
	v_cvt_f32_u32_sdwa v20, v3 dst_sel:DWORD dst_unused:UNUSED_PAD src0_sel:WORD_0
	;; [unrolled: 2-line block ×4, first 2 shown]
	v_pk_add_f32 v[2:3], v[6:7], v[16:17]
	v_pk_add_f32 v[4:5], v[8:9], v[20:21]
	;; [unrolled: 1-line block ×4, first 2 shown]
	v_perm_b32 v17, v9, v8, s17
	v_perm_b32 v16, v7, v6, s17
	;; [unrolled: 1-line block ×4, first 2 shown]
	buffer_store_dwordx4 v[14:17], v26, s[28:31], 0 offen glc slc
	;;#ASMSTART
	s_nop 0
	;;#ASMEND
.LBB410_10:
	s_or_b64 exec, exec, s[2:3]
.LBB410_11:
	s_waitcnt vmcnt(1)
	v_mul_f32_e32 v14, v3, v3
	v_fmac_f32_e32 v14, v2, v2
	v_fmac_f32_e32 v14, v4, v4
	v_fmac_f32_e32 v14, v5, v5
	v_fmac_f32_e32 v14, v6, v6
	v_fmac_f32_e32 v14, v7, v7
	v_fmac_f32_e32 v14, v8, v8
	v_fmac_f32_e32 v14, v9, v9
	v_and_b32_e32 v16, 63, v0
	v_cmp_eq_u32_e64 s[2:3], 63, v16
	v_mov_b32_dpp v15, v14 quad_perm:[1,0,3,2] row_mask:0xf bank_mask:0xf
	v_add_f32_e32 v14, v14, v15
	s_nop 1
	v_mov_b32_dpp v15, v14 quad_perm:[2,3,0,1] row_mask:0xf bank_mask:0xf
	v_add_f32_e32 v14, v14, v15
	s_nop 1
	v_mov_b32_dpp v15, v14 row_half_mirror row_mask:0xf bank_mask:0xf
	v_add_f32_e32 v14, v14, v15
	s_nop 1
	v_mov_b32_dpp v15, v14 row_mirror row_mask:0xf bank_mask:0xf
	v_add_f32_e32 v14, v14, v15
	s_nop 1
	v_mov_b32_dpp v15, v14 row_bcast:15 row_mask:0xf bank_mask:0xf
	v_add_f32_e32 v14, v14, v15
	s_nop 1
	v_mov_b32_dpp v15, v14 row_bcast:31 row_mask:0xf bank_mask:0xf
	s_and_saveexec_b64 s[14:15], s[2:3]
	s_cbranch_execz .LBB410_13
; %bb.12:
	v_add_f32_e32 v14, v14, v15
	v_lshrrev_b32_e32 v15, 4, v0
	v_and_b32_e32 v15, 60, v15
	ds_write_b32 v15, v14 offset:8
.LBB410_13:
	s_or_b64 exec, exec, s[14:15]
	v_and_b32_e32 v14, 1, v0
	v_lshlrev_b32_e32 v14, 2, v14
	s_waitcnt lgkmcnt(0)
	s_barrier
	ds_read_b32 v15, v14 offset:8
	s_load_dwordx2 s[14:15], s[4:5], 0x18
	s_waitcnt lgkmcnt(0)
	v_mov_b32_dpp v16, v15 quad_perm:[1,0,3,2] row_mask:0xf bank_mask:0xf
	s_and_saveexec_b64 s[26:27], s[0:1]
	s_cbranch_execnz .LBB410_18
; %bb.14:
	s_or_b64 exec, exec, s[26:27]
	s_mov_b64 s[8:9], -1
	s_and_b64 vcc, exec, s[22:23]
	s_cbranch_vccnz .LBB410_19
.LBB410_15:
	s_andn2_b64 vcc, exec, s[8:9]
	s_cbranch_vccz .LBB410_22
.LBB410_16:
	s_cmp_lt_i32 s16, 1
	s_cbranch_scc0 .LBB410_25
.LBB410_17:
	s_endpgm
.LBB410_18:
	v_cvt_f32_u32_e32 v17, s7
	v_add_f32_e32 v15, v15, v16
	v_mov_b32_e32 v19, s13
	v_mov_b32_e32 v20, s12
	v_div_scale_f32 v16, s[28:29], v17, v17, v15
	v_rcp_f32_e32 v18, v16
	v_cndmask_b32_e64 v19, v19, v20, s[8:9]
	s_mov_b32 s7, 0x800000
	v_fma_f32 v20, -v16, v18, 1.0
	v_fmac_f32_e32 v18, v20, v18
	v_div_scale_f32 v20, vcc, v15, v17, v15
	v_mul_f32_e32 v21, v20, v18
	v_fma_f32 v22, -v16, v21, v20
	v_fmac_f32_e32 v21, v22, v18
	v_fma_f32 v16, -v16, v21, v20
	v_div_fmas_f32 v16, v16, v18, v21
	v_div_fixup_f32 v15, v16, v17, v15
	v_add_f32_e32 v15, v19, v15
	v_mul_f32_e32 v16, 0x4b800000, v15
	v_cmp_gt_f32_e32 vcc, s7, v15
	v_cndmask_b32_e32 v15, v15, v16, vcc
	v_rsq_f32_e32 v15, v15
	s_waitcnt vmcnt(0)
	v_cvt_f32_u32_sdwa v19, v10 dst_sel:DWORD dst_unused:UNUSED_PAD src0_sel:WORD_1
	v_cvt_f32_u32_sdwa v18, v10 dst_sel:DWORD dst_unused:UNUSED_PAD src0_sel:WORD_0
	v_cvt_f32_u32_sdwa v21, v11 dst_sel:DWORD dst_unused:UNUSED_PAD src0_sel:WORD_1
	v_mul_f32_e32 v16, 0x45800000, v15
	v_cndmask_b32_e32 v16, v15, v16, vcc
	v_mov_b32_e32 v17, v16
	v_cvt_f32_u32_sdwa v20, v11 dst_sel:DWORD dst_unused:UNUSED_PAD src0_sel:WORD_0
	;;#ASMSTART
	v_pk_mul_f32 v[2:3], v[2:3], v[16:17]
	;;#ASMEND
	;;#ASMSTART
	v_pk_mul_f32 v[4:5], v[4:5], v[16:17]
	;;#ASMEND
	;; [unrolled: 3-line block ×4, first 2 shown]
	v_cvt_f32_u32_sdwa v17, v12 dst_sel:DWORD dst_unused:UNUSED_PAD src0_sel:WORD_1
	v_cvt_f32_u32_sdwa v16, v12 dst_sel:DWORD dst_unused:UNUSED_PAD src0_sel:WORD_0
	v_pk_add_f32 v[10:11], v[18:19], 1.0 op_sel_hi:[1,0]
	v_cvt_f32_u32_sdwa v19, v13 dst_sel:DWORD dst_unused:UNUSED_PAD src0_sel:WORD_1
	v_cvt_f32_u32_sdwa v18, v13 dst_sel:DWORD dst_unused:UNUSED_PAD src0_sel:WORD_0
	;;#ASMSTART
	v_pk_mul_f32 v[2:3], v[2:3], v[10:11]
	;;#ASMEND
	v_pk_add_f32 v[10:11], v[20:21], 1.0 op_sel_hi:[1,0]
	;;#ASMSTART
	v_pk_mul_f32 v[4:5], v[4:5], v[10:11]
	;;#ASMEND
	v_pk_add_f32 v[10:11], v[16:17], 1.0 op_sel_hi:[1,0]
	;; [unrolled: 4-line block ×3, first 2 shown]
	;;#ASMSTART
	v_pk_mul_f32 v[8:9], v[8:9], v[10:11]
	;;#ASMEND
	s_or_b64 exec, exec, s[26:27]
	s_mov_b64 s[8:9], -1
	s_and_b64 vcc, exec, s[22:23]
	s_cbranch_vccz .LBB410_15
.LBB410_19:
	s_and_saveexec_b64 s[8:9], s[0:1]
	s_cbranch_execz .LBB410_21
; %bb.20:
	s_mul_hi_i32 s23, s25, s6
	s_mul_i32 s22, s25, s6
	s_lshl_b64 s[22:23], s[22:23], 1
	s_add_u32 s28, s14, s22
	s_addc_u32 s7, s15, s23
	s_and_b32 s29, s7, 0xffff
	s_mov_b32 s7, 0x7060302
	s_mov_b32 s31, 0x20000
	s_waitcnt vmcnt(0)
	v_perm_b32 v10, v3, v2, s7
	v_perm_b32 v11, v5, v4, s7
	;; [unrolled: 1-line block ×4, first 2 shown]
	v_lshlrev_b32_e32 v15, 4, v0
	buffer_store_dwordx4 v[10:13], v15, s[28:31], 0 offen
	;;#ASMSTART
	s_nop 0
	;;#ASMEND
.LBB410_21:
	s_or_b64 exec, exec, s[8:9]
	s_cbranch_execnz .LBB410_16
.LBB410_22:
	s_and_saveexec_b64 s[8:9], s[0:1]
	s_cbranch_execz .LBB410_24
; %bb.23:
	s_load_dwordx2 s[0:1], s[4:5], 0x10
	s_mul_hi_i32 s23, s24, s6
	s_mul_i32 s22, s24, s6
	s_lshl_b64 s[22:23], s[22:23], 1
	s_mov_b32 s31, 0x20000
	s_waitcnt lgkmcnt(0)
	s_add_u32 s28, s0, s22
	s_addc_u32 s0, s1, s23
	s_and_b32 s29, s0, 0xffff
	s_mov_b32 s0, 0x7060302
	v_perm_b32 v2, v3, v2, s0
	v_perm_b32 v3, v5, v4, s0
	;; [unrolled: 1-line block ×4, first 2 shown]
	v_lshlrev_b32_e32 v6, 4, v0
	buffer_store_dwordx4 v[2:5], v6, s[28:31], 0 offen
	;;#ASMSTART
	s_nop 0
	;;#ASMEND
.LBB410_24:
	s_or_b64 exec, exec, s[8:9]
	s_cmp_lt_i32 s16, 1
	s_cbranch_scc1 .LBB410_17
.LBB410_25:
	s_load_dword s0, s[4:5], 0x94
	s_waitcnt lgkmcnt(0)
	s_cmp_lg_u32 s0, 1
	s_cbranch_scc1 .LBB410_17
; %bb.26:
	s_lshl_b32 s0, s16, 1
	s_add_i32 s0, s0, 2
	v_cmp_gt_u32_e32 vcc, s16, v1
	s_and_b32 s22, s0, -4
	v_mov_b32_e32 v6, 0
	v_lshlrev_b32_e32 v1, 4, v0
	v_mov_b32_e32 v7, 0
	v_mov_b32_e32 v8, 0
	;; [unrolled: 1-line block ×7, first 2 shown]
	s_barrier
	s_and_saveexec_b64 s[0:1], vcc
	s_cbranch_execz .LBB410_28
; %bb.27:
	s_mul_hi_i32 s5, s18, s6
	s_mul_i32 s4, s18, s6
	s_and_b32 s21, s21, 0xffff
	s_lshl_b64 s[4:5], s[4:5], 1
	s_add_u32 s8, s10, s4
	s_mov_b32 s23, 0x20000
	s_addc_u32 s4, s11, s5
	s_and_b32 s9, s4, 0xffff
	s_mov_b32 s10, s22
	s_mov_b32 s11, s23
	buffer_load_dwordx4 v[6:9], v1, s[8:11], 0 offen glc slc
	buffer_load_dwordx4 v[2:5], v1, s[20:23], 0 offen
.LBB410_28:
	s_or_b64 exec, exec, s[0:1]
	s_waitcnt vmcnt(0)
	v_cvt_f32_u32_sdwa v13, v6 dst_sel:DWORD dst_unused:UNUSED_PAD src0_sel:WORD_1
	v_cvt_f32_u32_sdwa v12, v6 dst_sel:DWORD dst_unused:UNUSED_PAD src0_sel:WORD_0
	v_cvt_f32_u32_sdwa v6, v9 dst_sel:DWORD dst_unused:UNUSED_PAD src0_sel:WORD_1
	v_cvt_f32_u32_sdwa v9, v9 dst_sel:DWORD dst_unused:UNUSED_PAD src0_sel:WORD_0
	;; [unrolled: 2-line block ×4, first 2 shown]
	v_cndmask_b32_e32 v13, 0, v13, vcc
	v_cndmask_b32_e32 v7, 0, v6, vcc
	;; [unrolled: 1-line block ×5, first 2 shown]
	v_mul_f32_e32 v15, v13, v13
	v_cndmask_b32_e32 v10, 0, v10, vcc
	v_fmac_f32_e32 v15, v12, v12
	v_cndmask_b32_e32 v11, 0, v11, vcc
	v_fmac_f32_e32 v15, v10, v10
	;; [unrolled: 2-line block ×3, first 2 shown]
	v_fmac_f32_e32 v15, v8, v8
	v_fmac_f32_e32 v15, v9, v9
	v_fmac_f32_e32 v15, v6, v6
	v_fmac_f32_e32 v15, v7, v7
	s_nop 1
	v_mov_b32_dpp v16, v15 quad_perm:[1,0,3,2] row_mask:0xf bank_mask:0xf
	v_add_f32_e32 v15, v15, v16
	s_nop 1
	v_mov_b32_dpp v16, v15 quad_perm:[2,3,0,1] row_mask:0xf bank_mask:0xf
	v_add_f32_e32 v15, v15, v16
	s_nop 1
	v_mov_b32_dpp v16, v15 row_half_mirror row_mask:0xf bank_mask:0xf
	v_add_f32_e32 v15, v15, v16
	s_nop 1
	v_mov_b32_dpp v16, v15 row_mirror row_mask:0xf bank_mask:0xf
	v_add_f32_e32 v15, v15, v16
	s_nop 1
	v_mov_b32_dpp v16, v15 row_bcast:15 row_mask:0xf bank_mask:0xf
	v_add_f32_e32 v15, v15, v16
	s_nop 1
	v_mov_b32_dpp v16, v15 row_bcast:31 row_mask:0xf bank_mask:0xf
	s_and_saveexec_b64 s[0:1], s[2:3]
	s_cbranch_execz .LBB410_30
; %bb.29:
	v_lshrrev_b32_e32 v0, 4, v0
	v_add_f32_e32 v15, v15, v16
	v_and_b32_e32 v0, 60, v0
	ds_write_b32 v0, v15
.LBB410_30:
	s_or_b64 exec, exec, s[0:1]
	s_waitcnt lgkmcnt(0)
	s_barrier
	ds_read_b32 v0, v14
	s_waitcnt lgkmcnt(0)
	s_nop 0
	v_mov_b32_dpp v14, v0 quad_perm:[1,0,3,2] row_mask:0xf bank_mask:0xf
	s_and_saveexec_b64 s[0:1], vcc
	s_cbranch_execz .LBB410_17
; %bb.31:
	v_cvt_f32_u32_e32 v15, s16
	v_add_f32_e32 v0, v0, v14
	s_mov_b32 s23, 0x20000
	v_div_scale_f32 v14, s[0:1], v15, v15, v0
	v_rcp_f32_e32 v16, v14
	v_div_scale_f32 v17, vcc, v0, v15, v0
	s_mov_b32 s0, 0x800000
	v_fma_f32 v18, -v14, v16, 1.0
	v_fmac_f32_e32 v16, v18, v16
	v_mul_f32_e32 v18, v17, v16
	v_fma_f32 v19, -v14, v18, v17
	v_fmac_f32_e32 v18, v19, v16
	v_fma_f32 v14, -v14, v18, v17
	v_div_fmas_f32 v14, v14, v16, v18
	v_div_fixup_f32 v0, v14, v15, v0
	v_add_f32_e32 v0, s13, v0
	v_mul_f32_e32 v14, 0x4b800000, v0
	v_cmp_gt_f32_e32 vcc, s0, v0
	v_cndmask_b32_e32 v0, v0, v14, vcc
	v_rsq_f32_e32 v0, v0
	v_cvt_f32_u32_sdwa v17, v2 dst_sel:DWORD dst_unused:UNUSED_PAD src0_sel:WORD_1
	v_cvt_f32_u32_sdwa v16, v2 dst_sel:DWORD dst_unused:UNUSED_PAD src0_sel:WORD_0
	v_cvt_f32_u32_sdwa v19, v3 dst_sel:DWORD dst_unused:UNUSED_PAD src0_sel:WORD_1
	v_mul_f32_e32 v14, 0x45800000, v0
	v_cndmask_b32_e32 v14, v0, v14, vcc
	v_mov_b32_e32 v15, v14
	;;#ASMSTART
	v_pk_mul_f32 v[12:13], v[12:13], v[14:15]
	;;#ASMEND
	;;#ASMSTART
	v_pk_mul_f32 v[10:11], v[10:11], v[14:15]
	;;#ASMEND
	;; [unrolled: 3-line block ×3, first 2 shown]
	v_cvt_f32_u32_sdwa v18, v3 dst_sel:DWORD dst_unused:UNUSED_PAD src0_sel:WORD_0
	;;#ASMSTART
	v_pk_mul_f32 v[2:3], v[6:7], v[14:15]
	;;#ASMEND
	v_cvt_f32_u32_sdwa v15, v4 dst_sel:DWORD dst_unused:UNUSED_PAD src0_sel:WORD_1
	v_cvt_f32_u32_sdwa v14, v4 dst_sel:DWORD dst_unused:UNUSED_PAD src0_sel:WORD_0
	v_pk_add_f32 v[6:7], v[16:17], 1.0 op_sel_hi:[1,0]
	v_cvt_f32_u32_sdwa v17, v5 dst_sel:DWORD dst_unused:UNUSED_PAD src0_sel:WORD_1
	v_cvt_f32_u32_sdwa v16, v5 dst_sel:DWORD dst_unused:UNUSED_PAD src0_sel:WORD_0
	s_mul_hi_i32 s1, s25, s6
	s_mul_i32 s0, s25, s6
	s_lshl_b64 s[0:1], s[0:1], 1
	s_add_u32 s20, s14, s0
	;;#ASMSTART
	v_pk_mul_f32 v[6:7], v[12:13], v[6:7]
	;;#ASMEND
	v_pk_add_f32 v[12:13], v[18:19], 1.0 op_sel_hi:[1,0]
	;;#ASMSTART
	v_pk_mul_f32 v[4:5], v[10:11], v[12:13]
	;;#ASMEND
	v_pk_add_f32 v[10:11], v[14:15], 1.0 op_sel_hi:[1,0]
	s_addc_u32 s0, s15, s1
	;;#ASMSTART
	v_pk_mul_f32 v[8:9], v[8:9], v[10:11]
	;;#ASMEND
	v_pk_add_f32 v[10:11], v[16:17], 1.0 op_sel_hi:[1,0]
	s_and_b32 s21, s0, 0xffff
	s_mov_b32 s0, 0x7060302
	;;#ASMSTART
	v_pk_mul_f32 v[10:11], v[2:3], v[10:11]
	;;#ASMEND
	v_perm_b32 v2, v7, v6, s0
	v_perm_b32 v3, v5, v4, s0
	;; [unrolled: 1-line block ×4, first 2 shown]
	buffer_store_dwordx4 v[2:5], v1, s[20:23], 0 offen
	;;#ASMSTART
	s_nop 0
	;;#ASMEND
	s_endpgm
	.section	.rodata,"a",@progbits
	.p2align	6, 0x0
	.amdhsa_kernel _ZN5aiter35fused_qk_rmsnorm_group_quant_kernelItDB8_Li128ELi8ELi4ELb1ELb1ELb1ELb1ELb0ELb0EEEvPT0_PvPT_S6_S6_PKS5_S8_S8_S8_S8_ffiiiiiiiiiiiii
		.amdhsa_group_segment_fixed_size 16
		.amdhsa_private_segment_fixed_size 0
		.amdhsa_kernarg_size 400
		.amdhsa_user_sgpr_count 6
		.amdhsa_user_sgpr_private_segment_buffer 1
		.amdhsa_user_sgpr_dispatch_ptr 0
		.amdhsa_user_sgpr_queue_ptr 0
		.amdhsa_user_sgpr_kernarg_segment_ptr 1
		.amdhsa_user_sgpr_dispatch_id 0
		.amdhsa_user_sgpr_flat_scratch_init 0
		.amdhsa_user_sgpr_kernarg_preload_length 0
		.amdhsa_user_sgpr_kernarg_preload_offset 0
		.amdhsa_user_sgpr_private_segment_size 0
		.amdhsa_uses_dynamic_stack 0
		.amdhsa_system_sgpr_private_segment_wavefront_offset 0
		.amdhsa_system_sgpr_workgroup_id_x 1
		.amdhsa_system_sgpr_workgroup_id_y 1
		.amdhsa_system_sgpr_workgroup_id_z 0
		.amdhsa_system_sgpr_workgroup_info 0
		.amdhsa_system_vgpr_workitem_id 0
		.amdhsa_next_free_vgpr 27
		.amdhsa_next_free_sgpr 44
		.amdhsa_accum_offset 28
		.amdhsa_reserve_vcc 1
		.amdhsa_reserve_flat_scratch 0
		.amdhsa_float_round_mode_32 0
		.amdhsa_float_round_mode_16_64 0
		.amdhsa_float_denorm_mode_32 3
		.amdhsa_float_denorm_mode_16_64 3
		.amdhsa_dx10_clamp 1
		.amdhsa_ieee_mode 1
		.amdhsa_fp16_overflow 0
		.amdhsa_tg_split 0
		.amdhsa_exception_fp_ieee_invalid_op 0
		.amdhsa_exception_fp_denorm_src 0
		.amdhsa_exception_fp_ieee_div_zero 0
		.amdhsa_exception_fp_ieee_overflow 0
		.amdhsa_exception_fp_ieee_underflow 0
		.amdhsa_exception_fp_ieee_inexact 0
		.amdhsa_exception_int_div_zero 0
	.end_amdhsa_kernel
	.section	.text._ZN5aiter35fused_qk_rmsnorm_group_quant_kernelItDB8_Li128ELi8ELi4ELb1ELb1ELb1ELb1ELb0ELb0EEEvPT0_PvPT_S6_S6_PKS5_S8_S8_S8_S8_ffiiiiiiiiiiiii,"axG",@progbits,_ZN5aiter35fused_qk_rmsnorm_group_quant_kernelItDB8_Li128ELi8ELi4ELb1ELb1ELb1ELb1ELb0ELb0EEEvPT0_PvPT_S6_S6_PKS5_S8_S8_S8_S8_ffiiiiiiiiiiiii,comdat
.Lfunc_end410:
	.size	_ZN5aiter35fused_qk_rmsnorm_group_quant_kernelItDB8_Li128ELi8ELi4ELb1ELb1ELb1ELb1ELb0ELb0EEEvPT0_PvPT_S6_S6_PKS5_S8_S8_S8_S8_ffiiiiiiiiiiiii, .Lfunc_end410-_ZN5aiter35fused_qk_rmsnorm_group_quant_kernelItDB8_Li128ELi8ELi4ELb1ELb1ELb1ELb1ELb0ELb0EEEvPT0_PvPT_S6_S6_PKS5_S8_S8_S8_S8_ffiiiiiiiiiiiii
                                        ; -- End function
	.section	.AMDGPU.csdata,"",@progbits
; Kernel info:
; codeLenInByte = 2484
; NumSgprs: 48
; NumVgprs: 27
; NumAgprs: 0
; TotalNumVgprs: 27
; ScratchSize: 0
; MemoryBound: 0
; FloatMode: 240
; IeeeMode: 1
; LDSByteSize: 16 bytes/workgroup (compile time only)
; SGPRBlocks: 5
; VGPRBlocks: 3
; NumSGPRsForWavesPerEU: 48
; NumVGPRsForWavesPerEU: 27
; AccumOffset: 28
; Occupancy: 8
; WaveLimiterHint : 0
; COMPUTE_PGM_RSRC2:SCRATCH_EN: 0
; COMPUTE_PGM_RSRC2:USER_SGPR: 6
; COMPUTE_PGM_RSRC2:TRAP_HANDLER: 0
; COMPUTE_PGM_RSRC2:TGID_X_EN: 1
; COMPUTE_PGM_RSRC2:TGID_Y_EN: 1
; COMPUTE_PGM_RSRC2:TGID_Z_EN: 0
; COMPUTE_PGM_RSRC2:TIDIG_COMP_CNT: 0
; COMPUTE_PGM_RSRC3_GFX90A:ACCUM_OFFSET: 6
; COMPUTE_PGM_RSRC3_GFX90A:TG_SPLIT: 0
	.section	.text._ZN5aiter35fused_qk_rmsnorm_group_quant_kernelIDF16_N4opus5fp4_tELi128ELi8ELi4ELb1ELb1ELb1ELb1ELb0ELb0EEEvPT0_PvPT_S7_S7_PKS6_S9_S9_S9_S9_ffiiiiiiiiiiiii,"axG",@progbits,_ZN5aiter35fused_qk_rmsnorm_group_quant_kernelIDF16_N4opus5fp4_tELi128ELi8ELi4ELb1ELb1ELb1ELb1ELb0ELb0EEEvPT0_PvPT_S7_S7_PKS6_S9_S9_S9_S9_ffiiiiiiiiiiiii,comdat
	.protected	_ZN5aiter35fused_qk_rmsnorm_group_quant_kernelIDF16_N4opus5fp4_tELi128ELi8ELi4ELb1ELb1ELb1ELb1ELb0ELb0EEEvPT0_PvPT_S7_S7_PKS6_S9_S9_S9_S9_ffiiiiiiiiiiiii ; -- Begin function _ZN5aiter35fused_qk_rmsnorm_group_quant_kernelIDF16_N4opus5fp4_tELi128ELi8ELi4ELb1ELb1ELb1ELb1ELb0ELb0EEEvPT0_PvPT_S7_S7_PKS6_S9_S9_S9_S9_ffiiiiiiiiiiiii
	.globl	_ZN5aiter35fused_qk_rmsnorm_group_quant_kernelIDF16_N4opus5fp4_tELi128ELi8ELi4ELb1ELb1ELb1ELb1ELb0ELb0EEEvPT0_PvPT_S7_S7_PKS6_S9_S9_S9_S9_ffiiiiiiiiiiiii
	.p2align	8
	.type	_ZN5aiter35fused_qk_rmsnorm_group_quant_kernelIDF16_N4opus5fp4_tELi128ELi8ELi4ELb1ELb1ELb1ELb1ELb0ELb0EEEvPT0_PvPT_S7_S7_PKS6_S9_S9_S9_S9_ffiiiiiiiiiiiii,@function
_ZN5aiter35fused_qk_rmsnorm_group_quant_kernelIDF16_N4opus5fp4_tELi128ELi8ELi4ELb1ELb1ELb1ELb1ELb0ELb0EEEvPT0_PvPT_S7_S7_PKS6_S9_S9_S9_S9_ffiiiiiiiiiiiii: ; @_ZN5aiter35fused_qk_rmsnorm_group_quant_kernelIDF16_N4opus5fp4_tELi128ELi8ELi4ELb1ELb1ELb1ELb1ELb0ELb0EEEvPT0_PvPT_S7_S7_PKS6_S9_S9_S9_S9_ffiiiiiiiiiiiii
; %bb.0:
	s_load_dwordx8 s[12:19], s[4:5], 0x50
	s_waitcnt lgkmcnt(0)
	s_cmp_ge_i32 s6, s14
	s_cbranch_scc1 .LBB411_17
; %bb.1:
	s_cmp_lg_u32 s7, 0
	s_cselect_b64 s[22:23], -1, 0
	s_cmp_eq_u32 s7, 0
	s_cselect_b64 s[2:3], -1, 0
	s_and_b64 s[0:1], s[2:3], exec
	s_cselect_b32 s7, s15, s16
	s_load_dwordx2 s[10:11], s[4:5], 0x30
	s_load_dwordx2 s[20:21], s[4:5], 0x48
	s_add_i32 s0, s7, 1
	s_lshr_b32 s1, s0, 31
	s_add_i32 s0, s0, s1
	s_lshl_b32 s0, s0, 1
	v_lshlrev_b32_e32 v1, 3, v0
	s_and_b32 s30, s0, -4
	v_cmp_gt_i32_e64 s[0:1], s7, v1
	v_mov_b32_e32 v2, 0
	v_mov_b32_e32 v3, 0
	;; [unrolled: 1-line block ×8, first 2 shown]
	s_and_saveexec_b64 s[8:9], s[0:1]
	s_cbranch_execz .LBB411_3
; %bb.2:
	s_load_dwordx2 s[14:15], s[4:5], 0x28
	s_load_dwordx2 s[26:27], s[4:5], 0x40
	s_and_b64 s[24:25], s[2:3], exec
	s_cselect_b32 s17, s17, s18
	s_mov_b32 s31, 0x20000
	s_waitcnt lgkmcnt(0)
	s_cselect_b32 s25, s15, s11
	s_cselect_b32 s24, s14, s10
	s_mul_hi_i32 s15, s17, s6
	s_mul_i32 s14, s17, s6
	s_lshl_b64 s[14:15], s[14:15], 1
	s_add_u32 s24, s24, s14
	s_addc_u32 s17, s25, s15
	s_and_b64 s[14:15], s[2:3], exec
	s_cselect_b32 s28, s26, s20
	s_cselect_b32 s14, s27, s21
	v_lshlrev_b32_e32 v10, 4, v0
	s_and_b32 s25, s17, 0xffff
	s_mov_b32 s26, s30
	s_mov_b32 s27, s31
	s_and_b32 s29, s14, 0xffff
	buffer_load_dwordx4 v[6:9], v10, s[24:27], 0 offen glc slc
	buffer_load_dwordx4 v[2:5], v10, s[28:31], 0 offen
.LBB411_3:
	s_or_b64 exec, exec, s[8:9]
	s_load_dwordx4 s[24:27], s[4:5], 0x7c
	s_and_b64 vcc, exec, s[22:23]
	s_cbranch_vccz .LBB411_7
; %bb.4:
	v_mov_b32_e32 v11, 0
	v_mov_b32_e32 v10, 0
	v_mov_b32_e32 v15, 0
	v_mov_b32_e32 v14, 0
	v_mov_b32_e32 v17, 0
	v_mov_b32_e32 v16, 0
	v_mov_b32_e32 v13, 0
	v_mov_b32_e32 v12, 0
	s_and_saveexec_b64 s[8:9], s[0:1]
	s_cbranch_execz .LBB411_6
; %bb.5:
	s_waitcnt vmcnt(1)
	v_cvt_f32_f16_sdwa v13, v6 dst_sel:DWORD dst_unused:UNUSED_PAD src0_sel:WORD_1
	v_cvt_f32_f16_e32 v12, v6
	v_cvt_f32_f16_sdwa v17, v7 dst_sel:DWORD dst_unused:UNUSED_PAD src0_sel:WORD_1
	v_cvt_f32_f16_e32 v16, v7
	v_cvt_f32_f16_sdwa v15, v8 dst_sel:DWORD dst_unused:UNUSED_PAD src0_sel:WORD_1
	v_cvt_f32_f16_e32 v14, v8
	v_cvt_f32_f16_sdwa v11, v9 dst_sel:DWORD dst_unused:UNUSED_PAD src0_sel:WORD_1
	v_cvt_f32_f16_e32 v10, v9
.LBB411_6:
	s_or_b64 exec, exec, s[8:9]
	s_cbranch_execz .LBB411_8
	s_branch .LBB411_11
.LBB411_7:
                                        ; implicit-def: $vgpr11
                                        ; implicit-def: $vgpr15
                                        ; implicit-def: $vgpr17
                                        ; implicit-def: $vgpr13
.LBB411_8:
	v_mov_b32_e32 v11, 0
	v_mov_b32_e32 v10, 0
	;; [unrolled: 1-line block ×8, first 2 shown]
	s_and_saveexec_b64 s[8:9], s[0:1]
	s_cbranch_execz .LBB411_10
; %bb.9:
	s_load_dwordx2 s[14:15], s[4:5], 0x38
	s_mul_hi_i32 s29, s19, s6
	s_mul_i32 s28, s19, s6
	s_lshl_b64 s[28:29], s[28:29], 1
	s_mov_b32 s31, 0x20000
	s_waitcnt lgkmcnt(0)
	s_add_u32 s28, s14, s28
	s_addc_u32 s14, s15, s29
	s_and_b32 s29, s14, 0xffff
	v_lshlrev_b32_e32 v24, 4, v0
	buffer_load_dwordx4 v[10:13], v24, s[28:31], 0 offen glc slc
	s_waitcnt vmcnt(2)
	v_cvt_f32_f16_sdwa v15, v6 dst_sel:DWORD dst_unused:UNUSED_PAD src0_sel:WORD_1
	v_cvt_f32_f16_e32 v14, v6
	v_cvt_f32_f16_sdwa v17, v7 dst_sel:DWORD dst_unused:UNUSED_PAD src0_sel:WORD_1
	v_cvt_f32_f16_e32 v16, v7
	;; [unrolled: 2-line block ×4, first 2 shown]
	s_load_dwordx2 s[14:15], s[4:5], 0x20
	s_mul_hi_i32 s27, s26, s6
	s_mul_i32 s26, s26, s6
	s_lshl_b64 s[26:27], s[26:27], 1
	s_waitcnt lgkmcnt(0)
	s_add_u32 s28, s14, s26
	s_addc_u32 s14, s15, s27
	s_and_b32 s29, s14, 0xffff
	s_waitcnt vmcnt(0)
	v_cvt_f32_f16_e32 v8, v10
	v_cvt_f32_f16_sdwa v9, v10 dst_sel:DWORD dst_unused:UNUSED_PAD src0_sel:WORD_1
	v_cvt_f32_f16_e32 v10, v11
	v_cvt_f32_f16_sdwa v11, v11 dst_sel:DWORD dst_unused:UNUSED_PAD src0_sel:WORD_1
	;; [unrolled: 2-line block ×4, first 2 shown]
	v_pk_add_f32 v[12:13], v[14:15], v[8:9]
	v_pk_add_f32 v[16:17], v[16:17], v[10:11]
	v_pk_add_f32 v[14:15], v[6:7], v[20:21]
	v_pk_add_f32 v[10:11], v[18:19], v[22:23]
	v_cvt_f16_f32_e32 v6, v13
	v_cvt_f16_f32_e32 v7, v17
	;; [unrolled: 1-line block ×8, first 2 shown]
	v_pack_b32_f16 v9, v18, v9
	v_pack_b32_f16 v8, v19, v8
	;; [unrolled: 1-line block ×4, first 2 shown]
	buffer_store_dwordx4 v[6:9], v24, s[28:31], 0 offen glc slc
	;;#ASMSTART
	s_nop 0
	;;#ASMEND
.LBB411_10:
	s_or_b64 exec, exec, s[8:9]
.LBB411_11:
	s_waitcnt vmcnt(1)
	v_mul_f32_e32 v6, v13, v13
	v_fmac_f32_e32 v6, v12, v12
	v_fmac_f32_e32 v6, v16, v16
	;; [unrolled: 1-line block ×7, first 2 shown]
	v_and_b32_e32 v8, 63, v0
	v_cmp_eq_u32_e64 s[8:9], 63, v8
	v_mov_b32_dpp v7, v6 quad_perm:[1,0,3,2] row_mask:0xf bank_mask:0xf
	v_add_f32_e32 v6, v6, v7
	s_nop 1
	v_mov_b32_dpp v7, v6 quad_perm:[2,3,0,1] row_mask:0xf bank_mask:0xf
	v_add_f32_e32 v6, v6, v7
	s_nop 1
	v_mov_b32_dpp v7, v6 row_half_mirror row_mask:0xf bank_mask:0xf
	v_add_f32_e32 v6, v6, v7
	s_nop 1
	v_mov_b32_dpp v7, v6 row_mirror row_mask:0xf bank_mask:0xf
	v_add_f32_e32 v6, v6, v7
	s_nop 1
	v_mov_b32_dpp v7, v6 row_bcast:15 row_mask:0xf bank_mask:0xf
	v_add_f32_e32 v6, v6, v7
	s_nop 1
	v_mov_b32_dpp v7, v6 row_bcast:31 row_mask:0xf bank_mask:0xf
	s_and_saveexec_b64 s[14:15], s[8:9]
	s_cbranch_execz .LBB411_13
; %bb.12:
	v_add_f32_e32 v6, v6, v7
	v_lshrrev_b32_e32 v7, 4, v0
	v_and_b32_e32 v7, 60, v7
	ds_write_b32 v7, v6 offset:8
.LBB411_13:
	s_or_b64 exec, exec, s[14:15]
	v_and_b32_e32 v6, 1, v0
	v_lshlrev_b32_e32 v18, 2, v6
	s_waitcnt lgkmcnt(0)
	s_barrier
	ds_read_b32 v6, v18 offset:8
	s_load_dwordx2 s[14:15], s[4:5], 0x18
	s_waitcnt lgkmcnt(0)
	v_mov_b32_dpp v7, v6 quad_perm:[1,0,3,2] row_mask:0xf bank_mask:0xf
	s_and_saveexec_b64 s[26:27], s[0:1]
	s_cbranch_execnz .LBB411_18
; %bb.14:
	s_or_b64 exec, exec, s[26:27]
	s_mov_b64 s[2:3], -1
	s_and_b64 vcc, exec, s[22:23]
	s_cbranch_vccnz .LBB411_19
.LBB411_15:
	s_andn2_b64 vcc, exec, s[2:3]
	s_cbranch_vccz .LBB411_22
.LBB411_16:
	s_cmp_lt_i32 s16, 1
	s_cbranch_scc0 .LBB411_25
.LBB411_17:
	s_endpgm
.LBB411_18:
	v_cvt_f32_u32_e32 v8, s7
	v_add_f32_e32 v6, v6, v7
	v_mov_b32_e32 v19, s13
	v_mov_b32_e32 v20, s12
	v_div_scale_f32 v7, s[28:29], v8, v8, v6
	v_rcp_f32_e32 v9, v7
	v_cndmask_b32_e64 v19, v19, v20, s[2:3]
	s_mov_b32 s2, 0x800000
	v_fma_f32 v20, -v7, v9, 1.0
	v_fmac_f32_e32 v9, v20, v9
	v_div_scale_f32 v20, vcc, v6, v8, v6
	v_mul_f32_e32 v21, v20, v9
	v_fma_f32 v22, -v7, v21, v20
	v_fmac_f32_e32 v21, v22, v9
	v_fma_f32 v7, -v7, v21, v20
	v_div_fmas_f32 v7, v7, v9, v21
	v_div_fixup_f32 v6, v7, v8, v6
	v_add_f32_e32 v6, v19, v6
	v_mul_f32_e32 v7, 0x4b800000, v6
	v_cmp_gt_f32_e32 vcc, s2, v6
	v_cndmask_b32_e32 v6, v6, v7, vcc
	v_rsq_f32_e32 v6, v6
	s_waitcnt vmcnt(0)
	v_cvt_f32_f16_sdwa v21, v3 dst_sel:DWORD dst_unused:UNUSED_PAD src0_sel:WORD_1
	v_cvt_f32_f16_e32 v20, v3
	v_mul_f32_e32 v7, 0x45800000, v6
	v_cndmask_b32_e32 v6, v6, v7, vcc
	v_mov_b32_e32 v7, v6
	;;#ASMSTART
	v_pk_mul_f32 v[8:9], v[12:13], v[6:7]
	;;#ASMEND
	v_cvt_f32_f16_sdwa v13, v2 dst_sel:DWORD dst_unused:UNUSED_PAD src0_sel:WORD_1
	v_cvt_f32_f16_e32 v12, v2
	;;#ASMSTART
	v_pk_mul_f32 v[16:17], v[16:17], v[6:7]
	;;#ASMEND
	;;#ASMSTART
	v_pk_mul_f32 v[14:15], v[14:15], v[6:7]
	;;#ASMEND
	;; [unrolled: 3-line block ×3, first 2 shown]
	v_pk_add_f32 v[6:7], v[12:13], 1.0 op_sel_hi:[1,0]
	;;#ASMSTART
	v_pk_mul_f32 v[12:13], v[8:9], v[6:7]
	;;#ASMEND
	v_cvt_f32_f16_sdwa v9, v4 dst_sel:DWORD dst_unused:UNUSED_PAD src0_sel:WORD_1
	v_cvt_f32_f16_e32 v8, v4
	v_cvt_f32_f16_sdwa v11, v5 dst_sel:DWORD dst_unused:UNUSED_PAD src0_sel:WORD_1
	v_cvt_f32_f16_e32 v10, v5
	v_pk_add_f32 v[6:7], v[20:21], 1.0 op_sel_hi:[1,0]
	v_pk_add_f32 v[4:5], v[8:9], 1.0 op_sel_hi:[1,0]
	;;#ASMSTART
	v_pk_mul_f32 v[16:17], v[16:17], v[6:7]
	;;#ASMEND
	;;#ASMSTART
	v_pk_mul_f32 v[14:15], v[14:15], v[4:5]
	;;#ASMEND
	v_pk_add_f32 v[4:5], v[10:11], 1.0 op_sel_hi:[1,0]
	;;#ASMSTART
	v_pk_mul_f32 v[10:11], v[2:3], v[4:5]
	;;#ASMEND
	s_or_b64 exec, exec, s[26:27]
	s_mov_b64 s[2:3], -1
	s_and_b64 vcc, exec, s[22:23]
	s_cbranch_vccz .LBB411_15
.LBB411_19:
	s_and_saveexec_b64 s[2:3], s[0:1]
	s_cbranch_execz .LBB411_21
; %bb.20:
	s_mul_hi_i32 s23, s25, s6
	s_mul_i32 s22, s25, s6
	s_waitcnt vmcnt(0)
	v_cvt_f16_f32_e32 v2, v12
	v_cvt_f16_f32_e32 v3, v16
	;; [unrolled: 1-line block ×8, first 2 shown]
	s_lshl_b64 s[22:23], s[22:23], 1
	s_add_u32 s28, s14, s22
	s_addc_u32 s7, s15, s23
	s_and_b32 s29, s7, 0xffff
	s_mov_b32 s31, 0x20000
	v_pack_b32_f16 v5, v5, v6
	v_pack_b32_f16 v4, v4, v7
	;; [unrolled: 1-line block ×4, first 2 shown]
	v_lshlrev_b32_e32 v6, 4, v0
	buffer_store_dwordx4 v[2:5], v6, s[28:31], 0 offen
	;;#ASMSTART
	s_nop 0
	;;#ASMEND
.LBB411_21:
	s_or_b64 exec, exec, s[2:3]
	s_cbranch_execnz .LBB411_16
.LBB411_22:
	s_and_saveexec_b64 s[2:3], s[0:1]
	s_cbranch_execz .LBB411_24
; %bb.23:
	s_load_dwordx2 s[0:1], s[4:5], 0x10
	s_mul_hi_i32 s23, s24, s6
	s_mul_i32 s22, s24, s6
	s_waitcnt vmcnt(0)
	v_cvt_f16_f32_e32 v2, v12
	v_cvt_f16_f32_e32 v3, v16
	;; [unrolled: 1-line block ×8, first 2 shown]
	s_lshl_b64 s[22:23], s[22:23], 1
	s_waitcnt lgkmcnt(0)
	s_add_u32 s28, s0, s22
	s_addc_u32 s0, s1, s23
	s_mov_b32 s31, 0x20000
	s_and_b32 s29, s0, 0xffff
	v_pack_b32_f16 v5, v5, v6
	v_pack_b32_f16 v4, v4, v7
	;; [unrolled: 1-line block ×4, first 2 shown]
	v_lshlrev_b32_e32 v6, 4, v0
	buffer_store_dwordx4 v[2:5], v6, s[28:31], 0 offen
	;;#ASMSTART
	s_nop 0
	;;#ASMEND
.LBB411_24:
	s_or_b64 exec, exec, s[2:3]
	s_cmp_lt_i32 s16, 1
	s_cbranch_scc1 .LBB411_17
.LBB411_25:
	s_load_dword s0, s[4:5], 0x94
	s_waitcnt lgkmcnt(0)
	s_cmp_lg_u32 s0, 1
	s_cbranch_scc1 .LBB411_17
; %bb.26:
	s_lshl_b32 s0, s16, 1
	s_add_i32 s0, s0, 2
	v_cmp_gt_u32_e32 vcc, s16, v1
	s_and_b32 s22, s0, -4
	v_mov_b32_e32 v10, 0
	v_lshlrev_b32_e32 v1, 4, v0
	v_mov_b32_e32 v6, 0
	v_mov_b32_e32 v7, 0
	;; [unrolled: 1-line block ×4, first 2 shown]
	s_waitcnt vmcnt(0)
	v_mov_b32_e32 v2, 0
	v_mov_b32_e32 v3, 0
	;; [unrolled: 1-line block ×4, first 2 shown]
	s_barrier
	s_and_saveexec_b64 s[0:1], vcc
	s_cbranch_execz .LBB411_28
; %bb.27:
	s_mul_hi_i32 s3, s18, s6
	s_mul_i32 s2, s18, s6
	s_and_b32 s21, s21, 0xffff
	s_lshl_b64 s[2:3], s[2:3], 1
	s_add_u32 s28, s10, s2
	s_mov_b32 s23, 0x20000
	s_addc_u32 s2, s11, s3
	s_and_b32 s29, s2, 0xffff
	s_mov_b32 s30, s22
	s_mov_b32 s31, s23
	buffer_load_dwordx4 v[6:9], v1, s[28:31], 0 offen glc slc
	buffer_load_dwordx4 v[2:5], v1, s[20:23], 0 offen
.LBB411_28:
	s_or_b64 exec, exec, s[0:1]
	v_mov_b32_e32 v11, 0
	v_mov_b32_e32 v16, 0
	v_mov_b32_e32 v17, 0
	v_mov_b32_e32 v14, 0
	v_mov_b32_e32 v15, 0
	v_mov_b32_e32 v12, 0
	v_mov_b32_e32 v13, 0
	s_and_saveexec_b64 s[0:1], vcc
	s_cbranch_execz .LBB411_30
; %bb.29:
	s_waitcnt vmcnt(1)
	v_cvt_f32_f16_sdwa v11, v6 dst_sel:DWORD dst_unused:UNUSED_PAD src0_sel:WORD_1
	v_cvt_f32_f16_e32 v10, v6
	v_cvt_f32_f16_sdwa v17, v7 dst_sel:DWORD dst_unused:UNUSED_PAD src0_sel:WORD_1
	v_cvt_f32_f16_e32 v16, v7
	;; [unrolled: 2-line block ×4, first 2 shown]
.LBB411_30:
	s_or_b64 exec, exec, s[0:1]
	s_waitcnt vmcnt(1)
	v_mul_f32_e32 v6, v11, v11
	v_fmac_f32_e32 v6, v10, v10
	v_fmac_f32_e32 v6, v16, v16
	;; [unrolled: 1-line block ×7, first 2 shown]
	s_nop 1
	v_mov_b32_dpp v7, v6 quad_perm:[1,0,3,2] row_mask:0xf bank_mask:0xf
	v_add_f32_e32 v6, v6, v7
	s_nop 1
	v_mov_b32_dpp v7, v6 quad_perm:[2,3,0,1] row_mask:0xf bank_mask:0xf
	v_add_f32_e32 v6, v6, v7
	s_nop 1
	v_mov_b32_dpp v7, v6 row_half_mirror row_mask:0xf bank_mask:0xf
	v_add_f32_e32 v6, v6, v7
	s_nop 1
	v_mov_b32_dpp v7, v6 row_mirror row_mask:0xf bank_mask:0xf
	v_add_f32_e32 v6, v6, v7
	s_nop 1
	v_mov_b32_dpp v7, v6 row_bcast:15 row_mask:0xf bank_mask:0xf
	v_add_f32_e32 v6, v6, v7
	s_nop 1
	v_mov_b32_dpp v7, v6 row_bcast:31 row_mask:0xf bank_mask:0xf
	s_and_saveexec_b64 s[0:1], s[8:9]
	s_cbranch_execz .LBB411_32
; %bb.31:
	v_lshrrev_b32_e32 v0, 4, v0
	v_add_f32_e32 v6, v6, v7
	v_and_b32_e32 v0, 60, v0
	ds_write_b32 v0, v6
.LBB411_32:
	s_or_b64 exec, exec, s[0:1]
	s_waitcnt lgkmcnt(0)
	s_barrier
	ds_read_b32 v0, v18
	s_waitcnt lgkmcnt(0)
	s_nop 0
	v_mov_b32_dpp v6, v0 quad_perm:[1,0,3,2] row_mask:0xf bank_mask:0xf
	s_and_saveexec_b64 s[0:1], vcc
	s_cbranch_execz .LBB411_17
; %bb.33:
	v_cvt_f32_u32_e32 v7, s16
	v_add_f32_e32 v0, v0, v6
	s_mov_b32 s23, 0x20000
	v_div_scale_f32 v6, s[0:1], v7, v7, v0
	v_rcp_f32_e32 v8, v6
	v_div_scale_f32 v9, vcc, v0, v7, v0
	s_mov_b32 s0, 0x800000
	v_fma_f32 v18, -v6, v8, 1.0
	v_fmac_f32_e32 v8, v18, v8
	v_mul_f32_e32 v18, v9, v8
	v_fma_f32 v19, -v6, v18, v9
	v_fmac_f32_e32 v18, v19, v8
	v_fma_f32 v6, -v6, v18, v9
	v_div_fmas_f32 v6, v6, v8, v18
	v_div_fixup_f32 v0, v6, v7, v0
	v_add_f32_e32 v0, s13, v0
	v_mul_f32_e32 v6, 0x4b800000, v0
	v_cmp_gt_f32_e32 vcc, s0, v0
	v_cndmask_b32_e32 v0, v0, v6, vcc
	v_rsq_f32_e32 v0, v0
	s_waitcnt vmcnt(0)
	v_cvt_f32_f16_sdwa v19, v3 dst_sel:DWORD dst_unused:UNUSED_PAD src0_sel:WORD_1
	v_cvt_f32_f16_e32 v18, v3
	s_mul_hi_i32 s1, s25, s6
	v_mul_f32_e32 v6, 0x45800000, v0
	v_cndmask_b32_e32 v6, v0, v6, vcc
	v_mov_b32_e32 v7, v6
	;;#ASMSTART
	v_pk_mul_f32 v[8:9], v[10:11], v[6:7]
	;;#ASMEND
	;;#ASMSTART
	v_pk_mul_f32 v[10:11], v[16:17], v[6:7]
	;;#ASMEND
	v_cvt_f32_f16_sdwa v17, v2 dst_sel:DWORD dst_unused:UNUSED_PAD src0_sel:WORD_1
	v_cvt_f32_f16_e32 v16, v2
	;;#ASMSTART
	v_pk_mul_f32 v[14:15], v[14:15], v[6:7]
	;;#ASMEND
	;;#ASMSTART
	v_pk_mul_f32 v[2:3], v[12:13], v[6:7]
	;;#ASMEND
	v_cvt_f32_f16_sdwa v13, v4 dst_sel:DWORD dst_unused:UNUSED_PAD src0_sel:WORD_1
	v_cvt_f32_f16_e32 v12, v4
	v_pk_add_f32 v[6:7], v[16:17], 1.0 op_sel_hi:[1,0]
	v_cvt_f32_f16_sdwa v17, v5 dst_sel:DWORD dst_unused:UNUSED_PAD src0_sel:WORD_1
	v_cvt_f32_f16_e32 v16, v5
	;;#ASMSTART
	v_pk_mul_f32 v[6:7], v[8:9], v[6:7]
	;;#ASMEND
	v_pk_add_f32 v[8:9], v[18:19], 1.0 op_sel_hi:[1,0]
	;;#ASMSTART
	v_pk_mul_f32 v[4:5], v[10:11], v[8:9]
	;;#ASMEND
	v_pk_add_f32 v[8:9], v[12:13], 1.0 op_sel_hi:[1,0]
	;; [unrolled: 4-line block ×3, first 2 shown]
	;;#ASMSTART
	v_pk_mul_f32 v[2:3], v[2:3], v[10:11]
	;;#ASMEND
	s_mul_i32 s0, s25, s6
	v_cvt_f16_f32_e32 v0, v6
	v_cvt_f16_f32_e32 v6, v7
	;; [unrolled: 1-line block ×8, first 2 shown]
	s_lshl_b64 s[0:1], s[0:1], 1
	s_add_u32 s20, s14, s0
	s_addc_u32 s0, s15, s1
	s_and_b32 s21, s0, 0xffff
	v_pack_b32_f16 v2, v0, v6
	v_pack_b32_f16 v3, v4, v5
	;; [unrolled: 1-line block ×4, first 2 shown]
	buffer_store_dwordx4 v[2:5], v1, s[20:23], 0 offen
	;;#ASMSTART
	s_nop 0
	;;#ASMEND
	s_endpgm
	.section	.rodata,"a",@progbits
	.p2align	6, 0x0
	.amdhsa_kernel _ZN5aiter35fused_qk_rmsnorm_group_quant_kernelIDF16_N4opus5fp4_tELi128ELi8ELi4ELb1ELb1ELb1ELb1ELb0ELb0EEEvPT0_PvPT_S7_S7_PKS6_S9_S9_S9_S9_ffiiiiiiiiiiiii
		.amdhsa_group_segment_fixed_size 16
		.amdhsa_private_segment_fixed_size 0
		.amdhsa_kernarg_size 400
		.amdhsa_user_sgpr_count 6
		.amdhsa_user_sgpr_private_segment_buffer 1
		.amdhsa_user_sgpr_dispatch_ptr 0
		.amdhsa_user_sgpr_queue_ptr 0
		.amdhsa_user_sgpr_kernarg_segment_ptr 1
		.amdhsa_user_sgpr_dispatch_id 0
		.amdhsa_user_sgpr_flat_scratch_init 0
		.amdhsa_user_sgpr_kernarg_preload_length 0
		.amdhsa_user_sgpr_kernarg_preload_offset 0
		.amdhsa_user_sgpr_private_segment_size 0
		.amdhsa_uses_dynamic_stack 0
		.amdhsa_system_sgpr_private_segment_wavefront_offset 0
		.amdhsa_system_sgpr_workgroup_id_x 1
		.amdhsa_system_sgpr_workgroup_id_y 1
		.amdhsa_system_sgpr_workgroup_id_z 0
		.amdhsa_system_sgpr_workgroup_info 0
		.amdhsa_system_vgpr_workitem_id 0
		.amdhsa_next_free_vgpr 25
		.amdhsa_next_free_sgpr 32
		.amdhsa_accum_offset 28
		.amdhsa_reserve_vcc 1
		.amdhsa_reserve_flat_scratch 0
		.amdhsa_float_round_mode_32 0
		.amdhsa_float_round_mode_16_64 0
		.amdhsa_float_denorm_mode_32 3
		.amdhsa_float_denorm_mode_16_64 3
		.amdhsa_dx10_clamp 1
		.amdhsa_ieee_mode 1
		.amdhsa_fp16_overflow 0
		.amdhsa_tg_split 0
		.amdhsa_exception_fp_ieee_invalid_op 0
		.amdhsa_exception_fp_denorm_src 0
		.amdhsa_exception_fp_ieee_div_zero 0
		.amdhsa_exception_fp_ieee_overflow 0
		.amdhsa_exception_fp_ieee_underflow 0
		.amdhsa_exception_fp_ieee_inexact 0
		.amdhsa_exception_int_div_zero 0
	.end_amdhsa_kernel
	.section	.text._ZN5aiter35fused_qk_rmsnorm_group_quant_kernelIDF16_N4opus5fp4_tELi128ELi8ELi4ELb1ELb1ELb1ELb1ELb0ELb0EEEvPT0_PvPT_S7_S7_PKS6_S9_S9_S9_S9_ffiiiiiiiiiiiii,"axG",@progbits,_ZN5aiter35fused_qk_rmsnorm_group_quant_kernelIDF16_N4opus5fp4_tELi128ELi8ELi4ELb1ELb1ELb1ELb1ELb0ELb0EEEvPT0_PvPT_S7_S7_PKS6_S9_S9_S9_S9_ffiiiiiiiiiiiii,comdat
.Lfunc_end411:
	.size	_ZN5aiter35fused_qk_rmsnorm_group_quant_kernelIDF16_N4opus5fp4_tELi128ELi8ELi4ELb1ELb1ELb1ELb1ELb0ELb0EEEvPT0_PvPT_S7_S7_PKS6_S9_S9_S9_S9_ffiiiiiiiiiiiii, .Lfunc_end411-_ZN5aiter35fused_qk_rmsnorm_group_quant_kernelIDF16_N4opus5fp4_tELi128ELi8ELi4ELb1ELb1ELb1ELb1ELb0ELb0EEEvPT0_PvPT_S7_S7_PKS6_S9_S9_S9_S9_ffiiiiiiiiiiiii
                                        ; -- End function
	.section	.AMDGPU.csdata,"",@progbits
; Kernel info:
; codeLenInByte = 2448
; NumSgprs: 36
; NumVgprs: 25
; NumAgprs: 0
; TotalNumVgprs: 25
; ScratchSize: 0
; MemoryBound: 0
; FloatMode: 240
; IeeeMode: 1
; LDSByteSize: 16 bytes/workgroup (compile time only)
; SGPRBlocks: 4
; VGPRBlocks: 3
; NumSGPRsForWavesPerEU: 36
; NumVGPRsForWavesPerEU: 25
; AccumOffset: 28
; Occupancy: 8
; WaveLimiterHint : 0
; COMPUTE_PGM_RSRC2:SCRATCH_EN: 0
; COMPUTE_PGM_RSRC2:USER_SGPR: 6
; COMPUTE_PGM_RSRC2:TRAP_HANDLER: 0
; COMPUTE_PGM_RSRC2:TGID_X_EN: 1
; COMPUTE_PGM_RSRC2:TGID_Y_EN: 1
; COMPUTE_PGM_RSRC2:TGID_Z_EN: 0
; COMPUTE_PGM_RSRC2:TIDIG_COMP_CNT: 0
; COMPUTE_PGM_RSRC3_GFX90A:ACCUM_OFFSET: 6
; COMPUTE_PGM_RSRC3_GFX90A:TG_SPLIT: 0
	.section	.text._ZN5aiter35fused_qk_rmsnorm_group_quant_kernelItN4opus5fp4_tELi128ELi8ELi4ELb1ELb1ELb1ELb1ELb0ELb0EEEvPT0_PvPT_S7_S7_PKS6_S9_S9_S9_S9_ffiiiiiiiiiiiii,"axG",@progbits,_ZN5aiter35fused_qk_rmsnorm_group_quant_kernelItN4opus5fp4_tELi128ELi8ELi4ELb1ELb1ELb1ELb1ELb0ELb0EEEvPT0_PvPT_S7_S7_PKS6_S9_S9_S9_S9_ffiiiiiiiiiiiii,comdat
	.protected	_ZN5aiter35fused_qk_rmsnorm_group_quant_kernelItN4opus5fp4_tELi128ELi8ELi4ELb1ELb1ELb1ELb1ELb0ELb0EEEvPT0_PvPT_S7_S7_PKS6_S9_S9_S9_S9_ffiiiiiiiiiiiii ; -- Begin function _ZN5aiter35fused_qk_rmsnorm_group_quant_kernelItN4opus5fp4_tELi128ELi8ELi4ELb1ELb1ELb1ELb1ELb0ELb0EEEvPT0_PvPT_S7_S7_PKS6_S9_S9_S9_S9_ffiiiiiiiiiiiii
	.globl	_ZN5aiter35fused_qk_rmsnorm_group_quant_kernelItN4opus5fp4_tELi128ELi8ELi4ELb1ELb1ELb1ELb1ELb0ELb0EEEvPT0_PvPT_S7_S7_PKS6_S9_S9_S9_S9_ffiiiiiiiiiiiii
	.p2align	8
	.type	_ZN5aiter35fused_qk_rmsnorm_group_quant_kernelItN4opus5fp4_tELi128ELi8ELi4ELb1ELb1ELb1ELb1ELb0ELb0EEEvPT0_PvPT_S7_S7_PKS6_S9_S9_S9_S9_ffiiiiiiiiiiiii,@function
_ZN5aiter35fused_qk_rmsnorm_group_quant_kernelItN4opus5fp4_tELi128ELi8ELi4ELb1ELb1ELb1ELb1ELb0ELb0EEEvPT0_PvPT_S7_S7_PKS6_S9_S9_S9_S9_ffiiiiiiiiiiiii: ; @_ZN5aiter35fused_qk_rmsnorm_group_quant_kernelItN4opus5fp4_tELi128ELi8ELi4ELb1ELb1ELb1ELb1ELb0ELb0EEEvPT0_PvPT_S7_S7_PKS6_S9_S9_S9_S9_ffiiiiiiiiiiiii
; %bb.0:
	s_load_dwordx8 s[12:19], s[4:5], 0x50
	s_waitcnt lgkmcnt(0)
	s_cmp_ge_i32 s6, s14
	s_cbranch_scc1 .LBB412_17
; %bb.1:
	s_cmp_lg_u32 s7, 0
	s_cselect_b64 s[22:23], -1, 0
	s_cmp_eq_u32 s7, 0
	s_cselect_b64 s[8:9], -1, 0
	s_and_b64 s[0:1], s[8:9], exec
	s_cselect_b32 s7, s15, s16
	s_load_dwordx2 s[10:11], s[4:5], 0x30
	s_load_dwordx2 s[20:21], s[4:5], 0x48
	s_add_i32 s0, s7, 1
	s_lshr_b32 s1, s0, 31
	s_add_i32 s0, s0, s1
	s_lshl_b32 s0, s0, 1
	v_lshlrev_b32_e32 v1, 3, v0
	s_and_b32 s30, s0, -4
	v_cmp_gt_i32_e64 s[0:1], s7, v1
	v_mov_b32_e32 v10, 0
	v_mov_b32_e32 v11, 0
	v_mov_b32_e32 v12, 0
	v_mov_b32_e32 v13, 0
	v_mov_b32_e32 v14, 0
	v_mov_b32_e32 v15, 0
	v_mov_b32_e32 v16, 0
	v_mov_b32_e32 v17, 0
	s_and_saveexec_b64 s[2:3], s[0:1]
	s_cbranch_execz .LBB412_3
; %bb.2:
	s_load_dwordx2 s[14:15], s[4:5], 0x28
	s_load_dwordx2 s[26:27], s[4:5], 0x40
	s_and_b64 s[24:25], s[8:9], exec
	s_cselect_b32 s17, s17, s18
	s_mov_b32 s31, 0x20000
	s_waitcnt lgkmcnt(0)
	s_cselect_b32 s25, s15, s11
	s_cselect_b32 s24, s14, s10
	s_mul_hi_i32 s15, s17, s6
	s_mul_i32 s14, s17, s6
	s_lshl_b64 s[14:15], s[14:15], 1
	s_add_u32 s24, s24, s14
	s_addc_u32 s17, s25, s15
	s_and_b64 s[14:15], s[8:9], exec
	s_cselect_b32 s28, s26, s20
	s_cselect_b32 s14, s27, s21
	v_lshlrev_b32_e32 v2, 4, v0
	s_and_b32 s25, s17, 0xffff
	s_mov_b32 s26, s30
	s_mov_b32 s27, s31
	s_and_b32 s29, s14, 0xffff
	buffer_load_dwordx4 v[14:17], v2, s[24:27], 0 offen glc slc
	buffer_load_dwordx4 v[10:13], v2, s[28:31], 0 offen
.LBB412_3:
	s_or_b64 exec, exec, s[2:3]
	s_load_dwordx4 s[24:27], s[4:5], 0x7c
	s_and_b64 vcc, exec, s[22:23]
	s_cbranch_vccz .LBB412_7
; %bb.4:
	s_mov_b32 s36, 0
	s_mov_b32 s37, s36
	;; [unrolled: 1-line block ×8, first 2 shown]
	v_pk_mov_b32 v[2:3], s[36:37], s[36:37] op_sel:[0,1]
	v_pk_mov_b32 v[4:5], s[38:39], s[38:39] op_sel:[0,1]
	;; [unrolled: 1-line block ×4, first 2 shown]
	s_and_saveexec_b64 s[2:3], s[0:1]
	s_cbranch_execz .LBB412_6
; %bb.5:
	s_waitcnt vmcnt(1)
	v_cvt_f32_u32_sdwa v3, v14 dst_sel:DWORD dst_unused:UNUSED_PAD src0_sel:WORD_1
	v_cvt_f32_u32_sdwa v2, v14 dst_sel:DWORD dst_unused:UNUSED_PAD src0_sel:WORD_0
	v_cvt_f32_u32_sdwa v5, v15 dst_sel:DWORD dst_unused:UNUSED_PAD src0_sel:WORD_1
	v_cvt_f32_u32_sdwa v4, v15 dst_sel:DWORD dst_unused:UNUSED_PAD src0_sel:WORD_0
	;; [unrolled: 2-line block ×4, first 2 shown]
.LBB412_6:
	s_or_b64 exec, exec, s[2:3]
	s_cbranch_execz .LBB412_8
	s_branch .LBB412_11
.LBB412_7:
                                        ; implicit-def: $vgpr2_vgpr3_vgpr4_vgpr5_vgpr6_vgpr7_vgpr8_vgpr9
.LBB412_8:
	s_mov_b32 s36, 0
	s_mov_b32 s37, s36
	;; [unrolled: 1-line block ×8, first 2 shown]
	v_pk_mov_b32 v[2:3], s[36:37], s[36:37] op_sel:[0,1]
	v_pk_mov_b32 v[4:5], s[38:39], s[38:39] op_sel:[0,1]
	v_pk_mov_b32 v[6:7], s[40:41], s[40:41] op_sel:[0,1]
	v_pk_mov_b32 v[8:9], s[42:43], s[42:43] op_sel:[0,1]
	s_and_saveexec_b64 s[2:3], s[0:1]
	s_cbranch_execz .LBB412_10
; %bb.9:
	s_load_dwordx2 s[14:15], s[4:5], 0x38
	s_mul_hi_i32 s29, s19, s6
	s_mul_i32 s28, s19, s6
	s_lshl_b64 s[28:29], s[28:29], 1
	s_mov_b32 s31, 0x20000
	s_waitcnt lgkmcnt(0)
	s_add_u32 s28, s14, s28
	s_addc_u32 s14, s15, s29
	s_and_b32 s29, s14, 0xffff
	v_lshlrev_b32_e32 v26, 4, v0
	buffer_load_dwordx4 v[2:5], v26, s[28:31], 0 offen glc slc
	s_load_dwordx2 s[14:15], s[4:5], 0x20
	s_waitcnt vmcnt(2)
	v_cvt_f32_u32_sdwa v7, v14 dst_sel:DWORD dst_unused:UNUSED_PAD src0_sel:WORD_1
	v_cvt_f32_u32_sdwa v6, v14 dst_sel:DWORD dst_unused:UNUSED_PAD src0_sel:WORD_0
	v_cvt_f32_u32_sdwa v9, v15 dst_sel:DWORD dst_unused:UNUSED_PAD src0_sel:WORD_1
	v_cvt_f32_u32_sdwa v8, v15 dst_sel:DWORD dst_unused:UNUSED_PAD src0_sel:WORD_0
	;; [unrolled: 2-line block ×4, first 2 shown]
	s_mul_hi_i32 s27, s26, s6
	s_mul_i32 s26, s26, s6
	s_lshl_b64 s[26:27], s[26:27], 1
	s_waitcnt lgkmcnt(0)
	s_add_u32 s28, s14, s26
	s_mov_b32 s17, 0x7060302
	s_addc_u32 s14, s15, s27
	s_and_b32 s29, s14, 0xffff
	s_waitcnt vmcnt(0)
	v_cvt_f32_u32_sdwa v17, v2 dst_sel:DWORD dst_unused:UNUSED_PAD src0_sel:WORD_1
	v_cvt_f32_u32_sdwa v16, v2 dst_sel:DWORD dst_unused:UNUSED_PAD src0_sel:WORD_0
	v_cvt_f32_u32_sdwa v21, v3 dst_sel:DWORD dst_unused:UNUSED_PAD src0_sel:WORD_1
	v_cvt_f32_u32_sdwa v20, v3 dst_sel:DWORD dst_unused:UNUSED_PAD src0_sel:WORD_0
	;; [unrolled: 2-line block ×4, first 2 shown]
	v_pk_add_f32 v[2:3], v[6:7], v[16:17]
	v_pk_add_f32 v[4:5], v[8:9], v[20:21]
	;; [unrolled: 1-line block ×4, first 2 shown]
	v_perm_b32 v17, v9, v8, s17
	v_perm_b32 v16, v7, v6, s17
	v_perm_b32 v15, v5, v4, s17
	v_perm_b32 v14, v3, v2, s17
	buffer_store_dwordx4 v[14:17], v26, s[28:31], 0 offen glc slc
	;;#ASMSTART
	s_nop 0
	;;#ASMEND
.LBB412_10:
	s_or_b64 exec, exec, s[2:3]
.LBB412_11:
	s_waitcnt vmcnt(1)
	v_mul_f32_e32 v14, v3, v3
	v_fmac_f32_e32 v14, v2, v2
	v_fmac_f32_e32 v14, v4, v4
	;; [unrolled: 1-line block ×7, first 2 shown]
	v_and_b32_e32 v16, 63, v0
	v_cmp_eq_u32_e64 s[2:3], 63, v16
	v_mov_b32_dpp v15, v14 quad_perm:[1,0,3,2] row_mask:0xf bank_mask:0xf
	v_add_f32_e32 v14, v14, v15
	s_nop 1
	v_mov_b32_dpp v15, v14 quad_perm:[2,3,0,1] row_mask:0xf bank_mask:0xf
	v_add_f32_e32 v14, v14, v15
	s_nop 1
	v_mov_b32_dpp v15, v14 row_half_mirror row_mask:0xf bank_mask:0xf
	v_add_f32_e32 v14, v14, v15
	s_nop 1
	v_mov_b32_dpp v15, v14 row_mirror row_mask:0xf bank_mask:0xf
	v_add_f32_e32 v14, v14, v15
	s_nop 1
	v_mov_b32_dpp v15, v14 row_bcast:15 row_mask:0xf bank_mask:0xf
	v_add_f32_e32 v14, v14, v15
	s_nop 1
	v_mov_b32_dpp v15, v14 row_bcast:31 row_mask:0xf bank_mask:0xf
	s_and_saveexec_b64 s[14:15], s[2:3]
	s_cbranch_execz .LBB412_13
; %bb.12:
	v_add_f32_e32 v14, v14, v15
	v_lshrrev_b32_e32 v15, 4, v0
	v_and_b32_e32 v15, 60, v15
	ds_write_b32 v15, v14 offset:8
.LBB412_13:
	s_or_b64 exec, exec, s[14:15]
	v_and_b32_e32 v14, 1, v0
	v_lshlrev_b32_e32 v14, 2, v14
	s_waitcnt lgkmcnt(0)
	s_barrier
	ds_read_b32 v15, v14 offset:8
	s_load_dwordx2 s[14:15], s[4:5], 0x18
	s_waitcnt lgkmcnt(0)
	v_mov_b32_dpp v16, v15 quad_perm:[1,0,3,2] row_mask:0xf bank_mask:0xf
	s_and_saveexec_b64 s[26:27], s[0:1]
	s_cbranch_execnz .LBB412_18
; %bb.14:
	s_or_b64 exec, exec, s[26:27]
	s_mov_b64 s[8:9], -1
	s_and_b64 vcc, exec, s[22:23]
	s_cbranch_vccnz .LBB412_19
.LBB412_15:
	s_andn2_b64 vcc, exec, s[8:9]
	s_cbranch_vccz .LBB412_22
.LBB412_16:
	s_cmp_lt_i32 s16, 1
	s_cbranch_scc0 .LBB412_25
.LBB412_17:
	s_endpgm
.LBB412_18:
	v_cvt_f32_u32_e32 v17, s7
	v_add_f32_e32 v15, v15, v16
	v_mov_b32_e32 v19, s13
	v_mov_b32_e32 v20, s12
	v_div_scale_f32 v16, s[28:29], v17, v17, v15
	v_rcp_f32_e32 v18, v16
	v_cndmask_b32_e64 v19, v19, v20, s[8:9]
	s_mov_b32 s7, 0x800000
	v_fma_f32 v20, -v16, v18, 1.0
	v_fmac_f32_e32 v18, v20, v18
	v_div_scale_f32 v20, vcc, v15, v17, v15
	v_mul_f32_e32 v21, v20, v18
	v_fma_f32 v22, -v16, v21, v20
	v_fmac_f32_e32 v21, v22, v18
	v_fma_f32 v16, -v16, v21, v20
	v_div_fmas_f32 v16, v16, v18, v21
	v_div_fixup_f32 v15, v16, v17, v15
	v_add_f32_e32 v15, v19, v15
	v_mul_f32_e32 v16, 0x4b800000, v15
	v_cmp_gt_f32_e32 vcc, s7, v15
	v_cndmask_b32_e32 v15, v15, v16, vcc
	v_rsq_f32_e32 v15, v15
	s_waitcnt vmcnt(0)
	v_cvt_f32_u32_sdwa v19, v10 dst_sel:DWORD dst_unused:UNUSED_PAD src0_sel:WORD_1
	v_cvt_f32_u32_sdwa v18, v10 dst_sel:DWORD dst_unused:UNUSED_PAD src0_sel:WORD_0
	v_cvt_f32_u32_sdwa v21, v11 dst_sel:DWORD dst_unused:UNUSED_PAD src0_sel:WORD_1
	v_mul_f32_e32 v16, 0x45800000, v15
	v_cndmask_b32_e32 v16, v15, v16, vcc
	v_mov_b32_e32 v17, v16
	v_cvt_f32_u32_sdwa v20, v11 dst_sel:DWORD dst_unused:UNUSED_PAD src0_sel:WORD_0
	;;#ASMSTART
	v_pk_mul_f32 v[2:3], v[2:3], v[16:17]
	;;#ASMEND
	;;#ASMSTART
	v_pk_mul_f32 v[4:5], v[4:5], v[16:17]
	;;#ASMEND
	;; [unrolled: 3-line block ×4, first 2 shown]
	v_cvt_f32_u32_sdwa v17, v12 dst_sel:DWORD dst_unused:UNUSED_PAD src0_sel:WORD_1
	v_cvt_f32_u32_sdwa v16, v12 dst_sel:DWORD dst_unused:UNUSED_PAD src0_sel:WORD_0
	v_pk_add_f32 v[10:11], v[18:19], 1.0 op_sel_hi:[1,0]
	v_cvt_f32_u32_sdwa v19, v13 dst_sel:DWORD dst_unused:UNUSED_PAD src0_sel:WORD_1
	v_cvt_f32_u32_sdwa v18, v13 dst_sel:DWORD dst_unused:UNUSED_PAD src0_sel:WORD_0
	;;#ASMSTART
	v_pk_mul_f32 v[2:3], v[2:3], v[10:11]
	;;#ASMEND
	v_pk_add_f32 v[10:11], v[20:21], 1.0 op_sel_hi:[1,0]
	;;#ASMSTART
	v_pk_mul_f32 v[4:5], v[4:5], v[10:11]
	;;#ASMEND
	v_pk_add_f32 v[10:11], v[16:17], 1.0 op_sel_hi:[1,0]
	;; [unrolled: 4-line block ×3, first 2 shown]
	;;#ASMSTART
	v_pk_mul_f32 v[8:9], v[8:9], v[10:11]
	;;#ASMEND
	s_or_b64 exec, exec, s[26:27]
	s_mov_b64 s[8:9], -1
	s_and_b64 vcc, exec, s[22:23]
	s_cbranch_vccz .LBB412_15
.LBB412_19:
	s_and_saveexec_b64 s[8:9], s[0:1]
	s_cbranch_execz .LBB412_21
; %bb.20:
	s_mul_hi_i32 s23, s25, s6
	s_mul_i32 s22, s25, s6
	s_lshl_b64 s[22:23], s[22:23], 1
	s_add_u32 s28, s14, s22
	s_addc_u32 s7, s15, s23
	s_and_b32 s29, s7, 0xffff
	s_mov_b32 s7, 0x7060302
	s_mov_b32 s31, 0x20000
	s_waitcnt vmcnt(0)
	v_perm_b32 v10, v3, v2, s7
	v_perm_b32 v11, v5, v4, s7
	;; [unrolled: 1-line block ×4, first 2 shown]
	v_lshlrev_b32_e32 v15, 4, v0
	buffer_store_dwordx4 v[10:13], v15, s[28:31], 0 offen
	;;#ASMSTART
	s_nop 0
	;;#ASMEND
.LBB412_21:
	s_or_b64 exec, exec, s[8:9]
	s_cbranch_execnz .LBB412_16
.LBB412_22:
	s_and_saveexec_b64 s[8:9], s[0:1]
	s_cbranch_execz .LBB412_24
; %bb.23:
	s_load_dwordx2 s[0:1], s[4:5], 0x10
	s_mul_hi_i32 s23, s24, s6
	s_mul_i32 s22, s24, s6
	s_lshl_b64 s[22:23], s[22:23], 1
	s_mov_b32 s31, 0x20000
	s_waitcnt lgkmcnt(0)
	s_add_u32 s28, s0, s22
	s_addc_u32 s0, s1, s23
	s_and_b32 s29, s0, 0xffff
	s_mov_b32 s0, 0x7060302
	v_perm_b32 v2, v3, v2, s0
	v_perm_b32 v3, v5, v4, s0
	;; [unrolled: 1-line block ×4, first 2 shown]
	v_lshlrev_b32_e32 v6, 4, v0
	buffer_store_dwordx4 v[2:5], v6, s[28:31], 0 offen
	;;#ASMSTART
	s_nop 0
	;;#ASMEND
.LBB412_24:
	s_or_b64 exec, exec, s[8:9]
	s_cmp_lt_i32 s16, 1
	s_cbranch_scc1 .LBB412_17
.LBB412_25:
	s_load_dword s0, s[4:5], 0x94
	s_waitcnt lgkmcnt(0)
	s_cmp_lg_u32 s0, 1
	s_cbranch_scc1 .LBB412_17
; %bb.26:
	s_lshl_b32 s0, s16, 1
	s_add_i32 s0, s0, 2
	v_cmp_gt_u32_e32 vcc, s16, v1
	s_and_b32 s22, s0, -4
	v_mov_b32_e32 v6, 0
	v_lshlrev_b32_e32 v1, 4, v0
	v_mov_b32_e32 v7, 0
	v_mov_b32_e32 v8, 0
	;; [unrolled: 1-line block ×7, first 2 shown]
	s_barrier
	s_and_saveexec_b64 s[0:1], vcc
	s_cbranch_execz .LBB412_28
; %bb.27:
	s_mul_hi_i32 s5, s18, s6
	s_mul_i32 s4, s18, s6
	s_and_b32 s21, s21, 0xffff
	s_lshl_b64 s[4:5], s[4:5], 1
	s_add_u32 s8, s10, s4
	s_mov_b32 s23, 0x20000
	s_addc_u32 s4, s11, s5
	s_and_b32 s9, s4, 0xffff
	s_mov_b32 s10, s22
	s_mov_b32 s11, s23
	buffer_load_dwordx4 v[6:9], v1, s[8:11], 0 offen glc slc
	buffer_load_dwordx4 v[2:5], v1, s[20:23], 0 offen
.LBB412_28:
	s_or_b64 exec, exec, s[0:1]
	s_waitcnt vmcnt(0)
	v_cvt_f32_u32_sdwa v13, v6 dst_sel:DWORD dst_unused:UNUSED_PAD src0_sel:WORD_1
	v_cvt_f32_u32_sdwa v12, v6 dst_sel:DWORD dst_unused:UNUSED_PAD src0_sel:WORD_0
	v_cvt_f32_u32_sdwa v6, v9 dst_sel:DWORD dst_unused:UNUSED_PAD src0_sel:WORD_1
	v_cvt_f32_u32_sdwa v9, v9 dst_sel:DWORD dst_unused:UNUSED_PAD src0_sel:WORD_0
	;; [unrolled: 2-line block ×4, first 2 shown]
	v_cndmask_b32_e32 v13, 0, v13, vcc
	v_cndmask_b32_e32 v7, 0, v6, vcc
	;; [unrolled: 1-line block ×5, first 2 shown]
	v_mul_f32_e32 v15, v13, v13
	v_cndmask_b32_e32 v10, 0, v10, vcc
	v_fmac_f32_e32 v15, v12, v12
	v_cndmask_b32_e32 v11, 0, v11, vcc
	v_fmac_f32_e32 v15, v10, v10
	;; [unrolled: 2-line block ×3, first 2 shown]
	v_fmac_f32_e32 v15, v8, v8
	v_fmac_f32_e32 v15, v9, v9
	;; [unrolled: 1-line block ×4, first 2 shown]
	s_nop 1
	v_mov_b32_dpp v16, v15 quad_perm:[1,0,3,2] row_mask:0xf bank_mask:0xf
	v_add_f32_e32 v15, v15, v16
	s_nop 1
	v_mov_b32_dpp v16, v15 quad_perm:[2,3,0,1] row_mask:0xf bank_mask:0xf
	v_add_f32_e32 v15, v15, v16
	s_nop 1
	v_mov_b32_dpp v16, v15 row_half_mirror row_mask:0xf bank_mask:0xf
	v_add_f32_e32 v15, v15, v16
	s_nop 1
	v_mov_b32_dpp v16, v15 row_mirror row_mask:0xf bank_mask:0xf
	v_add_f32_e32 v15, v15, v16
	s_nop 1
	v_mov_b32_dpp v16, v15 row_bcast:15 row_mask:0xf bank_mask:0xf
	v_add_f32_e32 v15, v15, v16
	s_nop 1
	v_mov_b32_dpp v16, v15 row_bcast:31 row_mask:0xf bank_mask:0xf
	s_and_saveexec_b64 s[0:1], s[2:3]
	s_cbranch_execz .LBB412_30
; %bb.29:
	v_lshrrev_b32_e32 v0, 4, v0
	v_add_f32_e32 v15, v15, v16
	v_and_b32_e32 v0, 60, v0
	ds_write_b32 v0, v15
.LBB412_30:
	s_or_b64 exec, exec, s[0:1]
	s_waitcnt lgkmcnt(0)
	s_barrier
	ds_read_b32 v0, v14
	s_waitcnt lgkmcnt(0)
	s_nop 0
	v_mov_b32_dpp v14, v0 quad_perm:[1,0,3,2] row_mask:0xf bank_mask:0xf
	s_and_saveexec_b64 s[0:1], vcc
	s_cbranch_execz .LBB412_17
; %bb.31:
	v_cvt_f32_u32_e32 v15, s16
	v_add_f32_e32 v0, v0, v14
	s_mov_b32 s23, 0x20000
	v_div_scale_f32 v14, s[0:1], v15, v15, v0
	v_rcp_f32_e32 v16, v14
	v_div_scale_f32 v17, vcc, v0, v15, v0
	s_mov_b32 s0, 0x800000
	v_fma_f32 v18, -v14, v16, 1.0
	v_fmac_f32_e32 v16, v18, v16
	v_mul_f32_e32 v18, v17, v16
	v_fma_f32 v19, -v14, v18, v17
	v_fmac_f32_e32 v18, v19, v16
	v_fma_f32 v14, -v14, v18, v17
	v_div_fmas_f32 v14, v14, v16, v18
	v_div_fixup_f32 v0, v14, v15, v0
	v_add_f32_e32 v0, s13, v0
	v_mul_f32_e32 v14, 0x4b800000, v0
	v_cmp_gt_f32_e32 vcc, s0, v0
	v_cndmask_b32_e32 v0, v0, v14, vcc
	v_rsq_f32_e32 v0, v0
	v_cvt_f32_u32_sdwa v17, v2 dst_sel:DWORD dst_unused:UNUSED_PAD src0_sel:WORD_1
	v_cvt_f32_u32_sdwa v16, v2 dst_sel:DWORD dst_unused:UNUSED_PAD src0_sel:WORD_0
	v_cvt_f32_u32_sdwa v19, v3 dst_sel:DWORD dst_unused:UNUSED_PAD src0_sel:WORD_1
	v_mul_f32_e32 v14, 0x45800000, v0
	v_cndmask_b32_e32 v14, v0, v14, vcc
	v_mov_b32_e32 v15, v14
	;;#ASMSTART
	v_pk_mul_f32 v[12:13], v[12:13], v[14:15]
	;;#ASMEND
	;;#ASMSTART
	v_pk_mul_f32 v[10:11], v[10:11], v[14:15]
	;;#ASMEND
	;; [unrolled: 3-line block ×3, first 2 shown]
	v_cvt_f32_u32_sdwa v18, v3 dst_sel:DWORD dst_unused:UNUSED_PAD src0_sel:WORD_0
	;;#ASMSTART
	v_pk_mul_f32 v[2:3], v[6:7], v[14:15]
	;;#ASMEND
	v_cvt_f32_u32_sdwa v15, v4 dst_sel:DWORD dst_unused:UNUSED_PAD src0_sel:WORD_1
	v_cvt_f32_u32_sdwa v14, v4 dst_sel:DWORD dst_unused:UNUSED_PAD src0_sel:WORD_0
	v_pk_add_f32 v[6:7], v[16:17], 1.0 op_sel_hi:[1,0]
	v_cvt_f32_u32_sdwa v17, v5 dst_sel:DWORD dst_unused:UNUSED_PAD src0_sel:WORD_1
	v_cvt_f32_u32_sdwa v16, v5 dst_sel:DWORD dst_unused:UNUSED_PAD src0_sel:WORD_0
	s_mul_hi_i32 s1, s25, s6
	s_mul_i32 s0, s25, s6
	s_lshl_b64 s[0:1], s[0:1], 1
	s_add_u32 s20, s14, s0
	;;#ASMSTART
	v_pk_mul_f32 v[6:7], v[12:13], v[6:7]
	;;#ASMEND
	v_pk_add_f32 v[12:13], v[18:19], 1.0 op_sel_hi:[1,0]
	;;#ASMSTART
	v_pk_mul_f32 v[4:5], v[10:11], v[12:13]
	;;#ASMEND
	v_pk_add_f32 v[10:11], v[14:15], 1.0 op_sel_hi:[1,0]
	s_addc_u32 s0, s15, s1
	;;#ASMSTART
	v_pk_mul_f32 v[8:9], v[8:9], v[10:11]
	;;#ASMEND
	v_pk_add_f32 v[10:11], v[16:17], 1.0 op_sel_hi:[1,0]
	s_and_b32 s21, s0, 0xffff
	s_mov_b32 s0, 0x7060302
	;;#ASMSTART
	v_pk_mul_f32 v[10:11], v[2:3], v[10:11]
	;;#ASMEND
	v_perm_b32 v2, v7, v6, s0
	v_perm_b32 v3, v5, v4, s0
	;; [unrolled: 1-line block ×4, first 2 shown]
	buffer_store_dwordx4 v[2:5], v1, s[20:23], 0 offen
	;;#ASMSTART
	s_nop 0
	;;#ASMEND
	s_endpgm
	.section	.rodata,"a",@progbits
	.p2align	6, 0x0
	.amdhsa_kernel _ZN5aiter35fused_qk_rmsnorm_group_quant_kernelItN4opus5fp4_tELi128ELi8ELi4ELb1ELb1ELb1ELb1ELb0ELb0EEEvPT0_PvPT_S7_S7_PKS6_S9_S9_S9_S9_ffiiiiiiiiiiiii
		.amdhsa_group_segment_fixed_size 16
		.amdhsa_private_segment_fixed_size 0
		.amdhsa_kernarg_size 400
		.amdhsa_user_sgpr_count 6
		.amdhsa_user_sgpr_private_segment_buffer 1
		.amdhsa_user_sgpr_dispatch_ptr 0
		.amdhsa_user_sgpr_queue_ptr 0
		.amdhsa_user_sgpr_kernarg_segment_ptr 1
		.amdhsa_user_sgpr_dispatch_id 0
		.amdhsa_user_sgpr_flat_scratch_init 0
		.amdhsa_user_sgpr_kernarg_preload_length 0
		.amdhsa_user_sgpr_kernarg_preload_offset 0
		.amdhsa_user_sgpr_private_segment_size 0
		.amdhsa_uses_dynamic_stack 0
		.amdhsa_system_sgpr_private_segment_wavefront_offset 0
		.amdhsa_system_sgpr_workgroup_id_x 1
		.amdhsa_system_sgpr_workgroup_id_y 1
		.amdhsa_system_sgpr_workgroup_id_z 0
		.amdhsa_system_sgpr_workgroup_info 0
		.amdhsa_system_vgpr_workitem_id 0
		.amdhsa_next_free_vgpr 27
		.amdhsa_next_free_sgpr 44
		.amdhsa_accum_offset 28
		.amdhsa_reserve_vcc 1
		.amdhsa_reserve_flat_scratch 0
		.amdhsa_float_round_mode_32 0
		.amdhsa_float_round_mode_16_64 0
		.amdhsa_float_denorm_mode_32 3
		.amdhsa_float_denorm_mode_16_64 3
		.amdhsa_dx10_clamp 1
		.amdhsa_ieee_mode 1
		.amdhsa_fp16_overflow 0
		.amdhsa_tg_split 0
		.amdhsa_exception_fp_ieee_invalid_op 0
		.amdhsa_exception_fp_denorm_src 0
		.amdhsa_exception_fp_ieee_div_zero 0
		.amdhsa_exception_fp_ieee_overflow 0
		.amdhsa_exception_fp_ieee_underflow 0
		.amdhsa_exception_fp_ieee_inexact 0
		.amdhsa_exception_int_div_zero 0
	.end_amdhsa_kernel
	.section	.text._ZN5aiter35fused_qk_rmsnorm_group_quant_kernelItN4opus5fp4_tELi128ELi8ELi4ELb1ELb1ELb1ELb1ELb0ELb0EEEvPT0_PvPT_S7_S7_PKS6_S9_S9_S9_S9_ffiiiiiiiiiiiii,"axG",@progbits,_ZN5aiter35fused_qk_rmsnorm_group_quant_kernelItN4opus5fp4_tELi128ELi8ELi4ELb1ELb1ELb1ELb1ELb0ELb0EEEvPT0_PvPT_S7_S7_PKS6_S9_S9_S9_S9_ffiiiiiiiiiiiii,comdat
.Lfunc_end412:
	.size	_ZN5aiter35fused_qk_rmsnorm_group_quant_kernelItN4opus5fp4_tELi128ELi8ELi4ELb1ELb1ELb1ELb1ELb0ELb0EEEvPT0_PvPT_S7_S7_PKS6_S9_S9_S9_S9_ffiiiiiiiiiiiii, .Lfunc_end412-_ZN5aiter35fused_qk_rmsnorm_group_quant_kernelItN4opus5fp4_tELi128ELi8ELi4ELb1ELb1ELb1ELb1ELb0ELb0EEEvPT0_PvPT_S7_S7_PKS6_S9_S9_S9_S9_ffiiiiiiiiiiiii
                                        ; -- End function
	.section	.AMDGPU.csdata,"",@progbits
; Kernel info:
; codeLenInByte = 2484
; NumSgprs: 48
; NumVgprs: 27
; NumAgprs: 0
; TotalNumVgprs: 27
; ScratchSize: 0
; MemoryBound: 0
; FloatMode: 240
; IeeeMode: 1
; LDSByteSize: 16 bytes/workgroup (compile time only)
; SGPRBlocks: 5
; VGPRBlocks: 3
; NumSGPRsForWavesPerEU: 48
; NumVGPRsForWavesPerEU: 27
; AccumOffset: 28
; Occupancy: 8
; WaveLimiterHint : 0
; COMPUTE_PGM_RSRC2:SCRATCH_EN: 0
; COMPUTE_PGM_RSRC2:USER_SGPR: 6
; COMPUTE_PGM_RSRC2:TRAP_HANDLER: 0
; COMPUTE_PGM_RSRC2:TGID_X_EN: 1
; COMPUTE_PGM_RSRC2:TGID_Y_EN: 1
; COMPUTE_PGM_RSRC2:TGID_Z_EN: 0
; COMPUTE_PGM_RSRC2:TIDIG_COMP_CNT: 0
; COMPUTE_PGM_RSRC3_GFX90A:ACCUM_OFFSET: 6
; COMPUTE_PGM_RSRC3_GFX90A:TG_SPLIT: 0
	.section	.text._ZN5aiter35fused_qk_rmsnorm_group_quant_kernelIDF16_DB8_Li128ELi8ELi4ELb1ELb1ELb0ELb1ELb0ELb0EEEvPT0_PvPT_S6_S6_PKS5_S8_S8_S8_S8_ffiiiiiiiiiiiii,"axG",@progbits,_ZN5aiter35fused_qk_rmsnorm_group_quant_kernelIDF16_DB8_Li128ELi8ELi4ELb1ELb1ELb0ELb1ELb0ELb0EEEvPT0_PvPT_S6_S6_PKS5_S8_S8_S8_S8_ffiiiiiiiiiiiii,comdat
	.protected	_ZN5aiter35fused_qk_rmsnorm_group_quant_kernelIDF16_DB8_Li128ELi8ELi4ELb1ELb1ELb0ELb1ELb0ELb0EEEvPT0_PvPT_S6_S6_PKS5_S8_S8_S8_S8_ffiiiiiiiiiiiii ; -- Begin function _ZN5aiter35fused_qk_rmsnorm_group_quant_kernelIDF16_DB8_Li128ELi8ELi4ELb1ELb1ELb0ELb1ELb0ELb0EEEvPT0_PvPT_S6_S6_PKS5_S8_S8_S8_S8_ffiiiiiiiiiiiii
	.globl	_ZN5aiter35fused_qk_rmsnorm_group_quant_kernelIDF16_DB8_Li128ELi8ELi4ELb1ELb1ELb0ELb1ELb0ELb0EEEvPT0_PvPT_S6_S6_PKS5_S8_S8_S8_S8_ffiiiiiiiiiiiii
	.p2align	8
	.type	_ZN5aiter35fused_qk_rmsnorm_group_quant_kernelIDF16_DB8_Li128ELi8ELi4ELb1ELb1ELb0ELb1ELb0ELb0EEEvPT0_PvPT_S6_S6_PKS5_S8_S8_S8_S8_ffiiiiiiiiiiiii,@function
_ZN5aiter35fused_qk_rmsnorm_group_quant_kernelIDF16_DB8_Li128ELi8ELi4ELb1ELb1ELb0ELb1ELb0ELb0EEEvPT0_PvPT_S6_S6_PKS5_S8_S8_S8_S8_ffiiiiiiiiiiiii: ; @_ZN5aiter35fused_qk_rmsnorm_group_quant_kernelIDF16_DB8_Li128ELi8ELi4ELb1ELb1ELb0ELb1ELb0ELb0EEEvPT0_PvPT_S6_S6_PKS5_S8_S8_S8_S8_ffiiiiiiiiiiiii
; %bb.0:
	s_load_dwordx8 s[12:19], s[4:5], 0x50
	s_waitcnt lgkmcnt(0)
	s_cmp_ge_i32 s6, s14
	s_cbranch_scc1 .LBB413_17
; %bb.1:
	s_cmp_lg_u32 s7, 0
	s_cselect_b64 s[22:23], -1, 0
	s_cmp_eq_u32 s7, 0
	s_cselect_b64 s[2:3], -1, 0
	s_and_b64 s[0:1], s[2:3], exec
	s_cselect_b32 s7, s15, s16
	s_load_dwordx2 s[10:11], s[4:5], 0x30
	s_load_dwordx2 s[20:21], s[4:5], 0x48
	s_add_i32 s0, s7, 1
	s_lshr_b32 s1, s0, 31
	s_add_i32 s0, s0, s1
	s_lshl_b32 s0, s0, 1
	v_lshlrev_b32_e32 v1, 3, v0
	s_and_b32 s30, s0, -4
	v_cmp_gt_i32_e64 s[0:1], s7, v1
	v_mov_b32_e32 v2, 0
	v_mov_b32_e32 v3, 0
	;; [unrolled: 1-line block ×8, first 2 shown]
	s_and_saveexec_b64 s[8:9], s[0:1]
	s_cbranch_execz .LBB413_3
; %bb.2:
	s_load_dwordx2 s[14:15], s[4:5], 0x28
	s_load_dwordx2 s[26:27], s[4:5], 0x40
	s_and_b64 s[24:25], s[2:3], exec
	s_cselect_b32 s17, s17, s18
	s_mov_b32 s31, 0x20000
	s_waitcnt lgkmcnt(0)
	s_cselect_b32 s25, s15, s11
	s_cselect_b32 s24, s14, s10
	s_mul_hi_i32 s15, s17, s6
	s_mul_i32 s14, s17, s6
	s_lshl_b64 s[14:15], s[14:15], 1
	s_add_u32 s24, s24, s14
	s_addc_u32 s17, s25, s15
	s_and_b64 s[14:15], s[2:3], exec
	s_cselect_b32 s28, s26, s20
	s_cselect_b32 s14, s27, s21
	v_lshlrev_b32_e32 v10, 4, v0
	s_and_b32 s25, s17, 0xffff
	s_mov_b32 s26, s30
	s_mov_b32 s27, s31
	s_and_b32 s29, s14, 0xffff
	buffer_load_dwordx4 v[6:9], v10, s[24:27], 0 offen glc slc
	buffer_load_dwordx4 v[2:5], v10, s[28:31], 0 offen
.LBB413_3:
	s_or_b64 exec, exec, s[8:9]
	s_load_dwordx4 s[24:27], s[4:5], 0x7c
	s_and_b64 vcc, exec, s[22:23]
	s_cbranch_vccz .LBB413_7
; %bb.4:
	v_mov_b32_e32 v11, 0
	v_mov_b32_e32 v10, 0
	;; [unrolled: 1-line block ×8, first 2 shown]
	s_and_saveexec_b64 s[8:9], s[0:1]
	s_cbranch_execz .LBB413_6
; %bb.5:
	s_waitcnt vmcnt(1)
	v_cvt_f32_f16_sdwa v17, v6 dst_sel:DWORD dst_unused:UNUSED_PAD src0_sel:WORD_1
	v_cvt_f32_f16_e32 v16, v6
	v_cvt_f32_f16_sdwa v15, v7 dst_sel:DWORD dst_unused:UNUSED_PAD src0_sel:WORD_1
	v_cvt_f32_f16_e32 v14, v7
	;; [unrolled: 2-line block ×4, first 2 shown]
.LBB413_6:
	s_or_b64 exec, exec, s[8:9]
	s_cbranch_execz .LBB413_8
	s_branch .LBB413_11
.LBB413_7:
                                        ; implicit-def: $vgpr11
                                        ; implicit-def: $vgpr13
                                        ; implicit-def: $vgpr15
                                        ; implicit-def: $vgpr17
.LBB413_8:
	v_mov_b32_e32 v11, 0
	v_mov_b32_e32 v10, 0
	;; [unrolled: 1-line block ×8, first 2 shown]
	s_and_saveexec_b64 s[8:9], s[0:1]
	s_cbranch_execz .LBB413_10
; %bb.9:
	s_load_dwordx2 s[14:15], s[4:5], 0x38
	s_mul_hi_i32 s29, s19, s6
	s_mul_i32 s28, s19, s6
	s_lshl_b64 s[28:29], s[28:29], 1
	s_mov_b32 s31, 0x20000
	s_waitcnt lgkmcnt(0)
	s_add_u32 s28, s14, s28
	s_addc_u32 s14, s15, s29
	s_and_b32 s29, s14, 0xffff
	v_lshlrev_b32_e32 v26, 4, v0
	buffer_load_dwordx4 v[10:13], v26, s[28:31], 0 offen glc slc
	s_waitcnt vmcnt(2)
	v_cvt_f32_f16_sdwa v15, v6 dst_sel:DWORD dst_unused:UNUSED_PAD src0_sel:WORD_1
	v_cvt_f32_f16_e32 v14, v6
	v_cvt_f32_f16_sdwa v19, v7 dst_sel:DWORD dst_unused:UNUSED_PAD src0_sel:WORD_1
	v_cvt_f32_f16_e32 v18, v7
	;; [unrolled: 2-line block ×4, first 2 shown]
	s_load_dwordx2 s[14:15], s[4:5], 0x20
	s_mul_hi_i32 s27, s26, s6
	s_mul_i32 s26, s26, s6
	s_lshl_b64 s[26:27], s[26:27], 1
	s_waitcnt lgkmcnt(0)
	s_add_u32 s28, s14, s26
	s_addc_u32 s14, s15, s27
	s_and_b32 s29, s14, 0xffff
	s_waitcnt vmcnt(0)
	v_cvt_f32_f16_e32 v8, v10
	v_cvt_f32_f16_sdwa v9, v10 dst_sel:DWORD dst_unused:UNUSED_PAD src0_sel:WORD_1
	v_cvt_f32_f16_e32 v10, v11
	v_cvt_f32_f16_sdwa v11, v11 dst_sel:DWORD dst_unused:UNUSED_PAD src0_sel:WORD_1
	;; [unrolled: 2-line block ×4, first 2 shown]
	v_pk_add_f32 v[16:17], v[14:15], v[8:9]
	v_pk_add_f32 v[14:15], v[18:19], v[10:11]
	;; [unrolled: 1-line block ×4, first 2 shown]
	v_cvt_f16_f32_e32 v6, v17
	v_cvt_f16_f32_e32 v7, v15
	;; [unrolled: 1-line block ×8, first 2 shown]
	v_pack_b32_f16 v9, v18, v9
	v_pack_b32_f16 v8, v19, v8
	;; [unrolled: 1-line block ×4, first 2 shown]
	buffer_store_dwordx4 v[6:9], v26, s[28:31], 0 offen glc slc
	;;#ASMSTART
	s_nop 0
	;;#ASMEND
.LBB413_10:
	s_or_b64 exec, exec, s[8:9]
.LBB413_11:
	s_waitcnt vmcnt(1)
	v_mul_f32_e32 v6, v17, v17
	v_fmac_f32_e32 v6, v16, v16
	v_fmac_f32_e32 v6, v14, v14
	;; [unrolled: 1-line block ×7, first 2 shown]
	v_and_b32_e32 v8, 63, v0
	v_cmp_eq_u32_e64 s[8:9], 63, v8
	v_mov_b32_dpp v7, v6 quad_perm:[1,0,3,2] row_mask:0xf bank_mask:0xf
	v_add_f32_e32 v6, v6, v7
	s_nop 1
	v_mov_b32_dpp v7, v6 quad_perm:[2,3,0,1] row_mask:0xf bank_mask:0xf
	v_add_f32_e32 v6, v6, v7
	s_nop 1
	v_mov_b32_dpp v7, v6 row_half_mirror row_mask:0xf bank_mask:0xf
	v_add_f32_e32 v6, v6, v7
	s_nop 1
	v_mov_b32_dpp v7, v6 row_mirror row_mask:0xf bank_mask:0xf
	v_add_f32_e32 v6, v6, v7
	s_nop 1
	v_mov_b32_dpp v7, v6 row_bcast:15 row_mask:0xf bank_mask:0xf
	v_add_f32_e32 v6, v6, v7
	s_nop 1
	v_mov_b32_dpp v7, v6 row_bcast:31 row_mask:0xf bank_mask:0xf
	s_and_saveexec_b64 s[14:15], s[8:9]
	s_cbranch_execz .LBB413_13
; %bb.12:
	v_add_f32_e32 v6, v6, v7
	v_lshrrev_b32_e32 v7, 4, v0
	v_and_b32_e32 v7, 60, v7
	ds_write_b32 v7, v6 offset:8
.LBB413_13:
	s_or_b64 exec, exec, s[14:15]
	v_and_b32_e32 v6, 1, v0
	v_lshlrev_b32_e32 v18, 2, v6
	s_waitcnt lgkmcnt(0)
	s_barrier
	ds_read_b32 v6, v18 offset:8
	s_load_dwordx2 s[14:15], s[4:5], 0x18
	s_waitcnt lgkmcnt(0)
	v_mov_b32_dpp v7, v6 quad_perm:[1,0,3,2] row_mask:0xf bank_mask:0xf
	s_and_saveexec_b64 s[26:27], s[0:1]
	s_cbranch_execnz .LBB413_18
; %bb.14:
	s_or_b64 exec, exec, s[26:27]
	s_mov_b64 s[2:3], -1
	s_and_b64 vcc, exec, s[22:23]
	s_cbranch_vccnz .LBB413_19
.LBB413_15:
	s_andn2_b64 vcc, exec, s[2:3]
	s_cbranch_vccz .LBB413_22
.LBB413_16:
	s_cmp_lt_i32 s16, 1
	s_cbranch_scc0 .LBB413_25
.LBB413_17:
	s_endpgm
.LBB413_18:
	v_cvt_f32_u32_e32 v8, s7
	v_add_f32_e32 v6, v6, v7
	v_mov_b32_e32 v19, s13
	v_mov_b32_e32 v20, s12
	v_div_scale_f32 v7, s[28:29], v8, v8, v6
	v_rcp_f32_e32 v9, v7
	v_cndmask_b32_e64 v19, v19, v20, s[2:3]
	s_mov_b32 s2, 0x800000
	s_waitcnt vmcnt(0)
	v_cvt_f32_f16_sdwa v23, v5 dst_sel:DWORD dst_unused:UNUSED_PAD src0_sel:WORD_1
	v_fma_f32 v20, -v7, v9, 1.0
	v_fmac_f32_e32 v9, v20, v9
	v_div_scale_f32 v20, vcc, v6, v8, v6
	v_mul_f32_e32 v21, v20, v9
	v_fma_f32 v22, -v7, v21, v20
	v_fmac_f32_e32 v21, v22, v9
	v_fma_f32 v7, -v7, v21, v20
	v_div_fmas_f32 v7, v7, v9, v21
	v_div_fixup_f32 v6, v7, v8, v6
	v_add_f32_e32 v6, v19, v6
	v_mul_f32_e32 v7, 0x4b800000, v6
	v_cmp_gt_f32_e32 vcc, s2, v6
	v_cndmask_b32_e32 v6, v6, v7, vcc
	v_rsq_f32_e32 v6, v6
	v_cvt_f32_f16_sdwa v21, v3 dst_sel:DWORD dst_unused:UNUSED_PAD src0_sel:WORD_1
	v_cvt_f32_f16_e32 v20, v3
	v_cvt_f32_f16_sdwa v3, v4 dst_sel:DWORD dst_unused:UNUSED_PAD src0_sel:WORD_1
	v_mul_f32_e32 v7, 0x45800000, v6
	v_cndmask_b32_e32 v6, v6, v7, vcc
	v_mov_b32_e32 v7, v6
	;;#ASMSTART
	v_pk_mul_f32 v[8:9], v[16:17], v[6:7]
	;;#ASMEND
	;;#ASMSTART
	v_pk_mul_f32 v[14:15], v[14:15], v[6:7]
	;;#ASMEND
	;; [unrolled: 3-line block ×4, first 2 shown]
	v_cvt_f32_f16_sdwa v11, v2 dst_sel:DWORD dst_unused:UNUSED_PAD src0_sel:WORD_1
	v_cvt_f32_f16_e32 v10, v2
	v_cvt_f32_f16_e32 v2, v4
	v_cvt_f32_f16_e32 v22, v5
	;;#ASMSTART
	v_pk_mul_f32 v[16:17], v[8:9], v[10:11]
	;;#ASMEND
	;;#ASMSTART
	v_pk_mul_f32 v[14:15], v[14:15], v[20:21]
	;;#ASMEND
	;; [unrolled: 3-line block ×4, first 2 shown]
	s_or_b64 exec, exec, s[26:27]
	s_mov_b64 s[2:3], -1
	s_and_b64 vcc, exec, s[22:23]
	s_cbranch_vccz .LBB413_15
.LBB413_19:
	s_and_saveexec_b64 s[2:3], s[0:1]
	s_cbranch_execz .LBB413_21
; %bb.20:
	s_mul_hi_i32 s23, s25, s6
	s_mul_i32 s22, s25, s6
	s_waitcnt vmcnt(0)
	v_cvt_f16_f32_e32 v2, v16
	v_cvt_f16_f32_e32 v3, v14
	;; [unrolled: 1-line block ×8, first 2 shown]
	s_lshl_b64 s[22:23], s[22:23], 1
	s_add_u32 s28, s14, s22
	s_addc_u32 s7, s15, s23
	s_and_b32 s29, s7, 0xffff
	s_mov_b32 s31, 0x20000
	v_pack_b32_f16 v5, v5, v6
	v_pack_b32_f16 v4, v4, v7
	;; [unrolled: 1-line block ×4, first 2 shown]
	v_lshlrev_b32_e32 v6, 4, v0
	buffer_store_dwordx4 v[2:5], v6, s[28:31], 0 offen
	;;#ASMSTART
	s_nop 0
	;;#ASMEND
.LBB413_21:
	s_or_b64 exec, exec, s[2:3]
	s_cbranch_execnz .LBB413_16
.LBB413_22:
	s_and_saveexec_b64 s[2:3], s[0:1]
	s_cbranch_execz .LBB413_24
; %bb.23:
	s_load_dwordx2 s[0:1], s[4:5], 0x10
	s_mul_hi_i32 s23, s24, s6
	s_mul_i32 s22, s24, s6
	s_waitcnt vmcnt(0)
	v_cvt_f16_f32_e32 v2, v16
	v_cvt_f16_f32_e32 v3, v14
	;; [unrolled: 1-line block ×8, first 2 shown]
	s_lshl_b64 s[22:23], s[22:23], 1
	s_waitcnt lgkmcnt(0)
	s_add_u32 s28, s0, s22
	s_addc_u32 s0, s1, s23
	s_mov_b32 s31, 0x20000
	s_and_b32 s29, s0, 0xffff
	v_pack_b32_f16 v5, v5, v6
	v_pack_b32_f16 v4, v4, v7
	v_pack_b32_f16 v3, v3, v8
	v_pack_b32_f16 v2, v2, v9
	v_lshlrev_b32_e32 v6, 4, v0
	buffer_store_dwordx4 v[2:5], v6, s[28:31], 0 offen
	;;#ASMSTART
	s_nop 0
	;;#ASMEND
.LBB413_24:
	s_or_b64 exec, exec, s[2:3]
	s_cmp_lt_i32 s16, 1
	s_cbranch_scc1 .LBB413_17
.LBB413_25:
	s_load_dword s0, s[4:5], 0x94
	s_waitcnt lgkmcnt(0)
	s_cmp_lg_u32 s0, 1
	s_cbranch_scc1 .LBB413_17
; %bb.26:
	s_lshl_b32 s0, s16, 1
	s_add_i32 s0, s0, 2
	v_cmp_gt_u32_e32 vcc, s16, v1
	s_and_b32 s22, s0, -4
	v_mov_b32_e32 v10, 0
	v_lshlrev_b32_e32 v1, 4, v0
	v_mov_b32_e32 v6, 0
	v_mov_b32_e32 v7, 0
	;; [unrolled: 1-line block ×4, first 2 shown]
	s_waitcnt vmcnt(0)
	v_mov_b32_e32 v2, 0
	v_mov_b32_e32 v3, 0
	v_mov_b32_e32 v4, 0
	v_mov_b32_e32 v5, 0
	s_barrier
	s_and_saveexec_b64 s[0:1], vcc
	s_cbranch_execz .LBB413_28
; %bb.27:
	s_mul_hi_i32 s3, s18, s6
	s_mul_i32 s2, s18, s6
	s_and_b32 s21, s21, 0xffff
	s_lshl_b64 s[2:3], s[2:3], 1
	s_add_u32 s28, s10, s2
	s_mov_b32 s23, 0x20000
	s_addc_u32 s2, s11, s3
	s_and_b32 s29, s2, 0xffff
	s_mov_b32 s30, s22
	s_mov_b32 s31, s23
	buffer_load_dwordx4 v[6:9], v1, s[28:31], 0 offen glc slc
	buffer_load_dwordx4 v[2:5], v1, s[20:23], 0 offen
.LBB413_28:
	s_or_b64 exec, exec, s[0:1]
	v_mov_b32_e32 v11, 0
	v_mov_b32_e32 v16, 0
	;; [unrolled: 1-line block ×7, first 2 shown]
	s_and_saveexec_b64 s[0:1], vcc
	s_cbranch_execz .LBB413_30
; %bb.29:
	s_waitcnt vmcnt(1)
	v_cvt_f32_f16_sdwa v11, v6 dst_sel:DWORD dst_unused:UNUSED_PAD src0_sel:WORD_1
	v_cvt_f32_f16_e32 v10, v6
	v_cvt_f32_f16_sdwa v17, v7 dst_sel:DWORD dst_unused:UNUSED_PAD src0_sel:WORD_1
	v_cvt_f32_f16_e32 v16, v7
	;; [unrolled: 2-line block ×4, first 2 shown]
.LBB413_30:
	s_or_b64 exec, exec, s[0:1]
	s_waitcnt vmcnt(1)
	v_mul_f32_e32 v6, v11, v11
	v_fmac_f32_e32 v6, v10, v10
	v_fmac_f32_e32 v6, v16, v16
	;; [unrolled: 1-line block ×7, first 2 shown]
	s_nop 1
	v_mov_b32_dpp v7, v6 quad_perm:[1,0,3,2] row_mask:0xf bank_mask:0xf
	v_add_f32_e32 v6, v6, v7
	s_nop 1
	v_mov_b32_dpp v7, v6 quad_perm:[2,3,0,1] row_mask:0xf bank_mask:0xf
	v_add_f32_e32 v6, v6, v7
	s_nop 1
	v_mov_b32_dpp v7, v6 row_half_mirror row_mask:0xf bank_mask:0xf
	v_add_f32_e32 v6, v6, v7
	s_nop 1
	v_mov_b32_dpp v7, v6 row_mirror row_mask:0xf bank_mask:0xf
	v_add_f32_e32 v6, v6, v7
	s_nop 1
	v_mov_b32_dpp v7, v6 row_bcast:15 row_mask:0xf bank_mask:0xf
	v_add_f32_e32 v6, v6, v7
	s_nop 1
	v_mov_b32_dpp v7, v6 row_bcast:31 row_mask:0xf bank_mask:0xf
	s_and_saveexec_b64 s[0:1], s[8:9]
	s_cbranch_execz .LBB413_32
; %bb.31:
	v_lshrrev_b32_e32 v0, 4, v0
	v_add_f32_e32 v6, v6, v7
	v_and_b32_e32 v0, 60, v0
	ds_write_b32 v0, v6
.LBB413_32:
	s_or_b64 exec, exec, s[0:1]
	s_waitcnt lgkmcnt(0)
	s_barrier
	ds_read_b32 v0, v18
	s_waitcnt lgkmcnt(0)
	s_nop 0
	v_mov_b32_dpp v6, v0 quad_perm:[1,0,3,2] row_mask:0xf bank_mask:0xf
	s_and_saveexec_b64 s[0:1], vcc
	s_cbranch_execz .LBB413_17
; %bb.33:
	v_cvt_f32_u32_e32 v7, s16
	v_add_f32_e32 v0, v0, v6
	s_mov_b32 s23, 0x20000
	v_div_scale_f32 v6, s[0:1], v7, v7, v0
	v_rcp_f32_e32 v8, v6
	v_div_scale_f32 v9, vcc, v0, v7, v0
	s_mov_b32 s0, 0x800000
	v_fma_f32 v18, -v6, v8, 1.0
	v_fmac_f32_e32 v8, v18, v8
	v_mul_f32_e32 v18, v9, v8
	v_fma_f32 v19, -v6, v18, v9
	v_fmac_f32_e32 v18, v19, v8
	v_fma_f32 v6, -v6, v18, v9
	v_div_fmas_f32 v6, v6, v8, v18
	v_div_fixup_f32 v0, v6, v7, v0
	v_add_f32_e32 v0, s13, v0
	v_mul_f32_e32 v6, 0x4b800000, v0
	v_cmp_gt_f32_e32 vcc, s0, v0
	v_cndmask_b32_e32 v0, v0, v6, vcc
	v_rsq_f32_e32 v0, v0
	s_waitcnt vmcnt(0)
	v_cvt_f32_f16_sdwa v19, v5 dst_sel:DWORD dst_unused:UNUSED_PAD src0_sel:WORD_1
	v_cvt_f32_f16_e32 v18, v5
	s_mul_hi_i32 s1, s25, s6
	v_mul_f32_e32 v6, 0x45800000, v0
	v_cndmask_b32_e32 v6, v0, v6, vcc
	v_mov_b32_e32 v7, v6
	;;#ASMSTART
	v_pk_mul_f32 v[8:9], v[10:11], v[6:7]
	;;#ASMEND
	;;#ASMSTART
	v_pk_mul_f32 v[10:11], v[16:17], v[6:7]
	;;#ASMEND
	;; [unrolled: 3-line block ×4, first 2 shown]
	v_cvt_f32_f16_sdwa v13, v2 dst_sel:DWORD dst_unused:UNUSED_PAD src0_sel:WORD_1
	v_cvt_f32_f16_e32 v12, v2
	v_cvt_f32_f16_sdwa v17, v3 dst_sel:DWORD dst_unused:UNUSED_PAD src0_sel:WORD_1
	v_cvt_f32_f16_e32 v16, v3
	;; [unrolled: 2-line block ×3, first 2 shown]
	;;#ASMSTART
	v_pk_mul_f32 v[4:5], v[8:9], v[12:13]
	;;#ASMEND
	;;#ASMSTART
	v_pk_mul_f32 v[8:9], v[10:11], v[16:17]
	;;#ASMEND
	;; [unrolled: 3-line block ×4, first 2 shown]
	s_mul_i32 s0, s25, s6
	v_cvt_f16_f32_e32 v0, v4
	v_cvt_f16_f32_e32 v4, v5
	;; [unrolled: 1-line block ×8, first 2 shown]
	s_lshl_b64 s[0:1], s[0:1], 1
	s_add_u32 s20, s14, s0
	s_addc_u32 s0, s15, s1
	s_and_b32 s21, s0, 0xffff
	v_pack_b32_f16 v2, v0, v4
	v_pack_b32_f16 v3, v5, v8
	;; [unrolled: 1-line block ×4, first 2 shown]
	buffer_store_dwordx4 v[2:5], v1, s[20:23], 0 offen
	;;#ASMSTART
	s_nop 0
	;;#ASMEND
	s_endpgm
	.section	.rodata,"a",@progbits
	.p2align	6, 0x0
	.amdhsa_kernel _ZN5aiter35fused_qk_rmsnorm_group_quant_kernelIDF16_DB8_Li128ELi8ELi4ELb1ELb1ELb0ELb1ELb0ELb0EEEvPT0_PvPT_S6_S6_PKS5_S8_S8_S8_S8_ffiiiiiiiiiiiii
		.amdhsa_group_segment_fixed_size 16
		.amdhsa_private_segment_fixed_size 0
		.amdhsa_kernarg_size 400
		.amdhsa_user_sgpr_count 6
		.amdhsa_user_sgpr_private_segment_buffer 1
		.amdhsa_user_sgpr_dispatch_ptr 0
		.amdhsa_user_sgpr_queue_ptr 0
		.amdhsa_user_sgpr_kernarg_segment_ptr 1
		.amdhsa_user_sgpr_dispatch_id 0
		.amdhsa_user_sgpr_flat_scratch_init 0
		.amdhsa_user_sgpr_kernarg_preload_length 0
		.amdhsa_user_sgpr_kernarg_preload_offset 0
		.amdhsa_user_sgpr_private_segment_size 0
		.amdhsa_uses_dynamic_stack 0
		.amdhsa_system_sgpr_private_segment_wavefront_offset 0
		.amdhsa_system_sgpr_workgroup_id_x 1
		.amdhsa_system_sgpr_workgroup_id_y 1
		.amdhsa_system_sgpr_workgroup_id_z 0
		.amdhsa_system_sgpr_workgroup_info 0
		.amdhsa_system_vgpr_workitem_id 0
		.amdhsa_next_free_vgpr 27
		.amdhsa_next_free_sgpr 32
		.amdhsa_accum_offset 28
		.amdhsa_reserve_vcc 1
		.amdhsa_reserve_flat_scratch 0
		.amdhsa_float_round_mode_32 0
		.amdhsa_float_round_mode_16_64 0
		.amdhsa_float_denorm_mode_32 3
		.amdhsa_float_denorm_mode_16_64 3
		.amdhsa_dx10_clamp 1
		.amdhsa_ieee_mode 1
		.amdhsa_fp16_overflow 0
		.amdhsa_tg_split 0
		.amdhsa_exception_fp_ieee_invalid_op 0
		.amdhsa_exception_fp_denorm_src 0
		.amdhsa_exception_fp_ieee_div_zero 0
		.amdhsa_exception_fp_ieee_overflow 0
		.amdhsa_exception_fp_ieee_underflow 0
		.amdhsa_exception_fp_ieee_inexact 0
		.amdhsa_exception_int_div_zero 0
	.end_amdhsa_kernel
	.section	.text._ZN5aiter35fused_qk_rmsnorm_group_quant_kernelIDF16_DB8_Li128ELi8ELi4ELb1ELb1ELb0ELb1ELb0ELb0EEEvPT0_PvPT_S6_S6_PKS5_S8_S8_S8_S8_ffiiiiiiiiiiiii,"axG",@progbits,_ZN5aiter35fused_qk_rmsnorm_group_quant_kernelIDF16_DB8_Li128ELi8ELi4ELb1ELb1ELb0ELb1ELb0ELb0EEEvPT0_PvPT_S6_S6_PKS5_S8_S8_S8_S8_ffiiiiiiiiiiiii,comdat
.Lfunc_end413:
	.size	_ZN5aiter35fused_qk_rmsnorm_group_quant_kernelIDF16_DB8_Li128ELi8ELi4ELb1ELb1ELb0ELb1ELb0ELb0EEEvPT0_PvPT_S6_S6_PKS5_S8_S8_S8_S8_ffiiiiiiiiiiiii, .Lfunc_end413-_ZN5aiter35fused_qk_rmsnorm_group_quant_kernelIDF16_DB8_Li128ELi8ELi4ELb1ELb1ELb0ELb1ELb0ELb0EEEvPT0_PvPT_S6_S6_PKS5_S8_S8_S8_S8_ffiiiiiiiiiiiii
                                        ; -- End function
	.section	.AMDGPU.csdata,"",@progbits
; Kernel info:
; codeLenInByte = 2384
; NumSgprs: 36
; NumVgprs: 27
; NumAgprs: 0
; TotalNumVgprs: 27
; ScratchSize: 0
; MemoryBound: 0
; FloatMode: 240
; IeeeMode: 1
; LDSByteSize: 16 bytes/workgroup (compile time only)
; SGPRBlocks: 4
; VGPRBlocks: 3
; NumSGPRsForWavesPerEU: 36
; NumVGPRsForWavesPerEU: 27
; AccumOffset: 28
; Occupancy: 8
; WaveLimiterHint : 0
; COMPUTE_PGM_RSRC2:SCRATCH_EN: 0
; COMPUTE_PGM_RSRC2:USER_SGPR: 6
; COMPUTE_PGM_RSRC2:TRAP_HANDLER: 0
; COMPUTE_PGM_RSRC2:TGID_X_EN: 1
; COMPUTE_PGM_RSRC2:TGID_Y_EN: 1
; COMPUTE_PGM_RSRC2:TGID_Z_EN: 0
; COMPUTE_PGM_RSRC2:TIDIG_COMP_CNT: 0
; COMPUTE_PGM_RSRC3_GFX90A:ACCUM_OFFSET: 6
; COMPUTE_PGM_RSRC3_GFX90A:TG_SPLIT: 0
	.section	.text._ZN5aiter35fused_qk_rmsnorm_group_quant_kernelItDB8_Li128ELi8ELi4ELb1ELb1ELb0ELb1ELb0ELb0EEEvPT0_PvPT_S6_S6_PKS5_S8_S8_S8_S8_ffiiiiiiiiiiiii,"axG",@progbits,_ZN5aiter35fused_qk_rmsnorm_group_quant_kernelItDB8_Li128ELi8ELi4ELb1ELb1ELb0ELb1ELb0ELb0EEEvPT0_PvPT_S6_S6_PKS5_S8_S8_S8_S8_ffiiiiiiiiiiiii,comdat
	.protected	_ZN5aiter35fused_qk_rmsnorm_group_quant_kernelItDB8_Li128ELi8ELi4ELb1ELb1ELb0ELb1ELb0ELb0EEEvPT0_PvPT_S6_S6_PKS5_S8_S8_S8_S8_ffiiiiiiiiiiiii ; -- Begin function _ZN5aiter35fused_qk_rmsnorm_group_quant_kernelItDB8_Li128ELi8ELi4ELb1ELb1ELb0ELb1ELb0ELb0EEEvPT0_PvPT_S6_S6_PKS5_S8_S8_S8_S8_ffiiiiiiiiiiiii
	.globl	_ZN5aiter35fused_qk_rmsnorm_group_quant_kernelItDB8_Li128ELi8ELi4ELb1ELb1ELb0ELb1ELb0ELb0EEEvPT0_PvPT_S6_S6_PKS5_S8_S8_S8_S8_ffiiiiiiiiiiiii
	.p2align	8
	.type	_ZN5aiter35fused_qk_rmsnorm_group_quant_kernelItDB8_Li128ELi8ELi4ELb1ELb1ELb0ELb1ELb0ELb0EEEvPT0_PvPT_S6_S6_PKS5_S8_S8_S8_S8_ffiiiiiiiiiiiii,@function
_ZN5aiter35fused_qk_rmsnorm_group_quant_kernelItDB8_Li128ELi8ELi4ELb1ELb1ELb0ELb1ELb0ELb0EEEvPT0_PvPT_S6_S6_PKS5_S8_S8_S8_S8_ffiiiiiiiiiiiii: ; @_ZN5aiter35fused_qk_rmsnorm_group_quant_kernelItDB8_Li128ELi8ELi4ELb1ELb1ELb0ELb1ELb0ELb0EEEvPT0_PvPT_S6_S6_PKS5_S8_S8_S8_S8_ffiiiiiiiiiiiii
; %bb.0:
	s_load_dwordx8 s[12:19], s[4:5], 0x50
	s_waitcnt lgkmcnt(0)
	s_cmp_ge_i32 s6, s14
	s_cbranch_scc1 .LBB414_17
; %bb.1:
	s_cmp_lg_u32 s7, 0
	s_cselect_b64 s[22:23], -1, 0
	s_cmp_eq_u32 s7, 0
	s_cselect_b64 s[8:9], -1, 0
	s_and_b64 s[0:1], s[8:9], exec
	s_cselect_b32 s7, s15, s16
	s_load_dwordx2 s[10:11], s[4:5], 0x30
	s_load_dwordx2 s[20:21], s[4:5], 0x48
	s_add_i32 s0, s7, 1
	s_lshr_b32 s1, s0, 31
	s_add_i32 s0, s0, s1
	s_lshl_b32 s0, s0, 1
	v_lshlrev_b32_e32 v1, 3, v0
	s_and_b32 s30, s0, -4
	v_cmp_gt_i32_e64 s[0:1], s7, v1
	v_mov_b32_e32 v10, 0
	v_mov_b32_e32 v11, 0
	;; [unrolled: 1-line block ×8, first 2 shown]
	s_and_saveexec_b64 s[2:3], s[0:1]
	s_cbranch_execz .LBB414_3
; %bb.2:
	s_load_dwordx2 s[14:15], s[4:5], 0x28
	s_load_dwordx2 s[26:27], s[4:5], 0x40
	s_and_b64 s[24:25], s[8:9], exec
	s_cselect_b32 s17, s17, s18
	s_mov_b32 s31, 0x20000
	s_waitcnt lgkmcnt(0)
	s_cselect_b32 s25, s15, s11
	s_cselect_b32 s24, s14, s10
	s_mul_hi_i32 s15, s17, s6
	s_mul_i32 s14, s17, s6
	s_lshl_b64 s[14:15], s[14:15], 1
	s_add_u32 s24, s24, s14
	s_addc_u32 s17, s25, s15
	s_and_b64 s[14:15], s[8:9], exec
	s_cselect_b32 s28, s26, s20
	s_cselect_b32 s14, s27, s21
	v_lshlrev_b32_e32 v2, 4, v0
	s_and_b32 s25, s17, 0xffff
	s_mov_b32 s26, s30
	s_mov_b32 s27, s31
	s_and_b32 s29, s14, 0xffff
	buffer_load_dwordx4 v[14:17], v2, s[24:27], 0 offen glc slc
	buffer_load_dwordx4 v[10:13], v2, s[28:31], 0 offen
.LBB414_3:
	s_or_b64 exec, exec, s[2:3]
	s_load_dwordx4 s[24:27], s[4:5], 0x7c
	s_and_b64 vcc, exec, s[22:23]
	s_cbranch_vccz .LBB414_7
; %bb.4:
	s_mov_b32 s36, 0
	s_mov_b32 s37, s36
	;; [unrolled: 1-line block ×8, first 2 shown]
	v_pk_mov_b32 v[2:3], s[36:37], s[36:37] op_sel:[0,1]
	v_pk_mov_b32 v[4:5], s[38:39], s[38:39] op_sel:[0,1]
	;; [unrolled: 1-line block ×4, first 2 shown]
	s_and_saveexec_b64 s[2:3], s[0:1]
	s_cbranch_execz .LBB414_6
; %bb.5:
	s_waitcnt vmcnt(1)
	v_cvt_f32_u32_sdwa v3, v14 dst_sel:DWORD dst_unused:UNUSED_PAD src0_sel:WORD_1
	v_cvt_f32_u32_sdwa v2, v14 dst_sel:DWORD dst_unused:UNUSED_PAD src0_sel:WORD_0
	v_cvt_f32_u32_sdwa v5, v15 dst_sel:DWORD dst_unused:UNUSED_PAD src0_sel:WORD_1
	v_cvt_f32_u32_sdwa v4, v15 dst_sel:DWORD dst_unused:UNUSED_PAD src0_sel:WORD_0
	;; [unrolled: 2-line block ×4, first 2 shown]
.LBB414_6:
	s_or_b64 exec, exec, s[2:3]
	s_cbranch_execz .LBB414_8
	s_branch .LBB414_11
.LBB414_7:
                                        ; implicit-def: $vgpr2_vgpr3_vgpr4_vgpr5_vgpr6_vgpr7_vgpr8_vgpr9
.LBB414_8:
	s_mov_b32 s36, 0
	s_mov_b32 s37, s36
	;; [unrolled: 1-line block ×8, first 2 shown]
	v_pk_mov_b32 v[2:3], s[36:37], s[36:37] op_sel:[0,1]
	v_pk_mov_b32 v[4:5], s[38:39], s[38:39] op_sel:[0,1]
	;; [unrolled: 1-line block ×4, first 2 shown]
	s_and_saveexec_b64 s[2:3], s[0:1]
	s_cbranch_execz .LBB414_10
; %bb.9:
	s_load_dwordx2 s[14:15], s[4:5], 0x38
	s_mul_hi_i32 s29, s19, s6
	s_mul_i32 s28, s19, s6
	s_lshl_b64 s[28:29], s[28:29], 1
	s_mov_b32 s31, 0x20000
	s_waitcnt lgkmcnt(0)
	s_add_u32 s28, s14, s28
	s_addc_u32 s14, s15, s29
	s_and_b32 s29, s14, 0xffff
	v_lshlrev_b32_e32 v26, 4, v0
	buffer_load_dwordx4 v[2:5], v26, s[28:31], 0 offen glc slc
	s_load_dwordx2 s[14:15], s[4:5], 0x20
	s_waitcnt vmcnt(2)
	v_cvt_f32_u32_sdwa v7, v14 dst_sel:DWORD dst_unused:UNUSED_PAD src0_sel:WORD_1
	v_cvt_f32_u32_sdwa v6, v14 dst_sel:DWORD dst_unused:UNUSED_PAD src0_sel:WORD_0
	v_cvt_f32_u32_sdwa v9, v15 dst_sel:DWORD dst_unused:UNUSED_PAD src0_sel:WORD_1
	v_cvt_f32_u32_sdwa v8, v15 dst_sel:DWORD dst_unused:UNUSED_PAD src0_sel:WORD_0
	;; [unrolled: 2-line block ×4, first 2 shown]
	s_mul_hi_i32 s27, s26, s6
	s_mul_i32 s26, s26, s6
	s_lshl_b64 s[26:27], s[26:27], 1
	s_waitcnt lgkmcnt(0)
	s_add_u32 s28, s14, s26
	s_mov_b32 s17, 0x7060302
	s_addc_u32 s14, s15, s27
	s_and_b32 s29, s14, 0xffff
	s_waitcnt vmcnt(0)
	v_cvt_f32_u32_sdwa v17, v2 dst_sel:DWORD dst_unused:UNUSED_PAD src0_sel:WORD_1
	v_cvt_f32_u32_sdwa v16, v2 dst_sel:DWORD dst_unused:UNUSED_PAD src0_sel:WORD_0
	v_cvt_f32_u32_sdwa v21, v3 dst_sel:DWORD dst_unused:UNUSED_PAD src0_sel:WORD_1
	v_cvt_f32_u32_sdwa v20, v3 dst_sel:DWORD dst_unused:UNUSED_PAD src0_sel:WORD_0
	;; [unrolled: 2-line block ×4, first 2 shown]
	v_pk_add_f32 v[2:3], v[6:7], v[16:17]
	v_pk_add_f32 v[4:5], v[8:9], v[20:21]
	;; [unrolled: 1-line block ×4, first 2 shown]
	v_perm_b32 v17, v9, v8, s17
	v_perm_b32 v16, v7, v6, s17
	;; [unrolled: 1-line block ×4, first 2 shown]
	buffer_store_dwordx4 v[14:17], v26, s[28:31], 0 offen glc slc
	;;#ASMSTART
	s_nop 0
	;;#ASMEND
.LBB414_10:
	s_or_b64 exec, exec, s[2:3]
.LBB414_11:
	s_waitcnt vmcnt(1)
	v_mul_f32_e32 v14, v3, v3
	v_fmac_f32_e32 v14, v2, v2
	v_fmac_f32_e32 v14, v4, v4
	;; [unrolled: 1-line block ×7, first 2 shown]
	v_and_b32_e32 v16, 63, v0
	v_cmp_eq_u32_e64 s[2:3], 63, v16
	v_mov_b32_dpp v15, v14 quad_perm:[1,0,3,2] row_mask:0xf bank_mask:0xf
	v_add_f32_e32 v14, v14, v15
	s_nop 1
	v_mov_b32_dpp v15, v14 quad_perm:[2,3,0,1] row_mask:0xf bank_mask:0xf
	v_add_f32_e32 v14, v14, v15
	s_nop 1
	v_mov_b32_dpp v15, v14 row_half_mirror row_mask:0xf bank_mask:0xf
	v_add_f32_e32 v14, v14, v15
	s_nop 1
	v_mov_b32_dpp v15, v14 row_mirror row_mask:0xf bank_mask:0xf
	v_add_f32_e32 v14, v14, v15
	s_nop 1
	v_mov_b32_dpp v15, v14 row_bcast:15 row_mask:0xf bank_mask:0xf
	v_add_f32_e32 v14, v14, v15
	s_nop 1
	v_mov_b32_dpp v15, v14 row_bcast:31 row_mask:0xf bank_mask:0xf
	s_and_saveexec_b64 s[14:15], s[2:3]
	s_cbranch_execz .LBB414_13
; %bb.12:
	v_add_f32_e32 v14, v14, v15
	v_lshrrev_b32_e32 v15, 4, v0
	v_and_b32_e32 v15, 60, v15
	ds_write_b32 v15, v14 offset:8
.LBB414_13:
	s_or_b64 exec, exec, s[14:15]
	v_and_b32_e32 v14, 1, v0
	v_lshlrev_b32_e32 v14, 2, v14
	s_waitcnt lgkmcnt(0)
	s_barrier
	ds_read_b32 v15, v14 offset:8
	s_load_dwordx2 s[14:15], s[4:5], 0x18
	s_waitcnt lgkmcnt(0)
	v_mov_b32_dpp v16, v15 quad_perm:[1,0,3,2] row_mask:0xf bank_mask:0xf
	s_and_saveexec_b64 s[26:27], s[0:1]
	s_cbranch_execnz .LBB414_18
; %bb.14:
	s_or_b64 exec, exec, s[26:27]
	s_mov_b64 s[8:9], -1
	s_and_b64 vcc, exec, s[22:23]
	s_cbranch_vccnz .LBB414_19
.LBB414_15:
	s_andn2_b64 vcc, exec, s[8:9]
	s_cbranch_vccz .LBB414_22
.LBB414_16:
	s_cmp_lt_i32 s16, 1
	s_cbranch_scc0 .LBB414_25
.LBB414_17:
	s_endpgm
.LBB414_18:
	v_cvt_f32_u32_e32 v17, s7
	v_add_f32_e32 v15, v15, v16
	v_mov_b32_e32 v19, s13
	v_mov_b32_e32 v20, s12
	v_div_scale_f32 v16, s[28:29], v17, v17, v15
	v_rcp_f32_e32 v18, v16
	v_cndmask_b32_e64 v19, v19, v20, s[8:9]
	s_mov_b32 s7, 0x800000
	v_fma_f32 v20, -v16, v18, 1.0
	v_fmac_f32_e32 v18, v20, v18
	v_div_scale_f32 v20, vcc, v15, v17, v15
	v_mul_f32_e32 v21, v20, v18
	v_fma_f32 v22, -v16, v21, v20
	v_fmac_f32_e32 v21, v22, v18
	v_fma_f32 v16, -v16, v21, v20
	v_div_fmas_f32 v16, v16, v18, v21
	v_div_fixup_f32 v15, v16, v17, v15
	v_add_f32_e32 v15, v19, v15
	v_mul_f32_e32 v16, 0x4b800000, v15
	v_cmp_gt_f32_e32 vcc, s7, v15
	v_cndmask_b32_e32 v15, v15, v16, vcc
	v_rsq_f32_e32 v15, v15
	s_waitcnt vmcnt(0)
	v_cvt_f32_u32_sdwa v19, v11 dst_sel:DWORD dst_unused:UNUSED_PAD src0_sel:WORD_1
	v_cvt_f32_u32_sdwa v18, v11 dst_sel:DWORD dst_unused:UNUSED_PAD src0_sel:WORD_0
	v_cvt_f32_u32_sdwa v11, v12 dst_sel:DWORD dst_unused:UNUSED_PAD src0_sel:WORD_1
	v_mul_f32_e32 v16, 0x45800000, v15
	v_cndmask_b32_e32 v16, v15, v16, vcc
	v_mov_b32_e32 v17, v16
	;;#ASMSTART
	v_pk_mul_f32 v[2:3], v[2:3], v[16:17]
	;;#ASMEND
	;;#ASMSTART
	v_pk_mul_f32 v[4:5], v[4:5], v[16:17]
	;;#ASMEND
	;; [unrolled: 3-line block ×4, first 2 shown]
	v_cvt_f32_u32_sdwa v17, v10 dst_sel:DWORD dst_unused:UNUSED_PAD src0_sel:WORD_1
	v_cvt_f32_u32_sdwa v16, v10 dst_sel:DWORD dst_unused:UNUSED_PAD src0_sel:WORD_0
	v_cvt_f32_u32_sdwa v10, v12 dst_sel:DWORD dst_unused:UNUSED_PAD src0_sel:WORD_0
	v_cvt_f32_u32_sdwa v21, v13 dst_sel:DWORD dst_unused:UNUSED_PAD src0_sel:WORD_1
	v_cvt_f32_u32_sdwa v20, v13 dst_sel:DWORD dst_unused:UNUSED_PAD src0_sel:WORD_0
	;;#ASMSTART
	v_pk_mul_f32 v[2:3], v[2:3], v[16:17]
	;;#ASMEND
	;;#ASMSTART
	v_pk_mul_f32 v[4:5], v[4:5], v[18:19]
	;;#ASMEND
	;; [unrolled: 3-line block ×4, first 2 shown]
	s_or_b64 exec, exec, s[26:27]
	s_mov_b64 s[8:9], -1
	s_and_b64 vcc, exec, s[22:23]
	s_cbranch_vccz .LBB414_15
.LBB414_19:
	s_and_saveexec_b64 s[8:9], s[0:1]
	s_cbranch_execz .LBB414_21
; %bb.20:
	s_mul_hi_i32 s23, s25, s6
	s_mul_i32 s22, s25, s6
	s_lshl_b64 s[22:23], s[22:23], 1
	s_add_u32 s28, s14, s22
	s_addc_u32 s7, s15, s23
	s_and_b32 s29, s7, 0xffff
	s_mov_b32 s7, 0x7060302
	s_mov_b32 s31, 0x20000
	s_waitcnt vmcnt(0)
	v_perm_b32 v10, v3, v2, s7
	v_perm_b32 v11, v5, v4, s7
	;; [unrolled: 1-line block ×4, first 2 shown]
	v_lshlrev_b32_e32 v15, 4, v0
	buffer_store_dwordx4 v[10:13], v15, s[28:31], 0 offen
	;;#ASMSTART
	s_nop 0
	;;#ASMEND
.LBB414_21:
	s_or_b64 exec, exec, s[8:9]
	s_cbranch_execnz .LBB414_16
.LBB414_22:
	s_and_saveexec_b64 s[8:9], s[0:1]
	s_cbranch_execz .LBB414_24
; %bb.23:
	s_load_dwordx2 s[0:1], s[4:5], 0x10
	s_mul_hi_i32 s23, s24, s6
	s_mul_i32 s22, s24, s6
	s_lshl_b64 s[22:23], s[22:23], 1
	s_mov_b32 s31, 0x20000
	s_waitcnt lgkmcnt(0)
	s_add_u32 s28, s0, s22
	s_addc_u32 s0, s1, s23
	s_and_b32 s29, s0, 0xffff
	s_mov_b32 s0, 0x7060302
	v_perm_b32 v2, v3, v2, s0
	v_perm_b32 v3, v5, v4, s0
	;; [unrolled: 1-line block ×4, first 2 shown]
	v_lshlrev_b32_e32 v6, 4, v0
	buffer_store_dwordx4 v[2:5], v6, s[28:31], 0 offen
	;;#ASMSTART
	s_nop 0
	;;#ASMEND
.LBB414_24:
	s_or_b64 exec, exec, s[8:9]
	s_cmp_lt_i32 s16, 1
	s_cbranch_scc1 .LBB414_17
.LBB414_25:
	s_load_dword s0, s[4:5], 0x94
	s_waitcnt lgkmcnt(0)
	s_cmp_lg_u32 s0, 1
	s_cbranch_scc1 .LBB414_17
; %bb.26:
	s_lshl_b32 s0, s16, 1
	s_add_i32 s0, s0, 2
	v_cmp_gt_u32_e32 vcc, s16, v1
	s_and_b32 s22, s0, -4
	v_mov_b32_e32 v6, 0
	v_lshlrev_b32_e32 v1, 4, v0
	v_mov_b32_e32 v7, 0
	v_mov_b32_e32 v8, 0
	;; [unrolled: 1-line block ×7, first 2 shown]
	s_barrier
	s_and_saveexec_b64 s[0:1], vcc
	s_cbranch_execz .LBB414_28
; %bb.27:
	s_mul_hi_i32 s5, s18, s6
	s_mul_i32 s4, s18, s6
	s_and_b32 s21, s21, 0xffff
	s_lshl_b64 s[4:5], s[4:5], 1
	s_add_u32 s8, s10, s4
	s_mov_b32 s23, 0x20000
	s_addc_u32 s4, s11, s5
	s_and_b32 s9, s4, 0xffff
	s_mov_b32 s10, s22
	s_mov_b32 s11, s23
	buffer_load_dwordx4 v[6:9], v1, s[8:11], 0 offen glc slc
	buffer_load_dwordx4 v[2:5], v1, s[20:23], 0 offen
.LBB414_28:
	s_or_b64 exec, exec, s[0:1]
	s_waitcnt vmcnt(0)
	v_cvt_f32_u32_sdwa v13, v6 dst_sel:DWORD dst_unused:UNUSED_PAD src0_sel:WORD_1
	v_cvt_f32_u32_sdwa v12, v6 dst_sel:DWORD dst_unused:UNUSED_PAD src0_sel:WORD_0
	v_cvt_f32_u32_sdwa v6, v9 dst_sel:DWORD dst_unused:UNUSED_PAD src0_sel:WORD_1
	v_cvt_f32_u32_sdwa v9, v9 dst_sel:DWORD dst_unused:UNUSED_PAD src0_sel:WORD_0
	;; [unrolled: 2-line block ×4, first 2 shown]
	v_cndmask_b32_e32 v13, 0, v13, vcc
	v_cndmask_b32_e32 v7, 0, v6, vcc
	;; [unrolled: 1-line block ×5, first 2 shown]
	v_mul_f32_e32 v15, v13, v13
	v_cndmask_b32_e32 v10, 0, v10, vcc
	v_fmac_f32_e32 v15, v12, v12
	v_cndmask_b32_e32 v11, 0, v11, vcc
	v_fmac_f32_e32 v15, v10, v10
	;; [unrolled: 2-line block ×3, first 2 shown]
	v_fmac_f32_e32 v15, v8, v8
	v_fmac_f32_e32 v15, v9, v9
	;; [unrolled: 1-line block ×4, first 2 shown]
	s_nop 1
	v_mov_b32_dpp v16, v15 quad_perm:[1,0,3,2] row_mask:0xf bank_mask:0xf
	v_add_f32_e32 v15, v15, v16
	s_nop 1
	v_mov_b32_dpp v16, v15 quad_perm:[2,3,0,1] row_mask:0xf bank_mask:0xf
	v_add_f32_e32 v15, v15, v16
	s_nop 1
	v_mov_b32_dpp v16, v15 row_half_mirror row_mask:0xf bank_mask:0xf
	v_add_f32_e32 v15, v15, v16
	s_nop 1
	v_mov_b32_dpp v16, v15 row_mirror row_mask:0xf bank_mask:0xf
	v_add_f32_e32 v15, v15, v16
	s_nop 1
	v_mov_b32_dpp v16, v15 row_bcast:15 row_mask:0xf bank_mask:0xf
	v_add_f32_e32 v15, v15, v16
	s_nop 1
	v_mov_b32_dpp v16, v15 row_bcast:31 row_mask:0xf bank_mask:0xf
	s_and_saveexec_b64 s[0:1], s[2:3]
	s_cbranch_execz .LBB414_30
; %bb.29:
	v_lshrrev_b32_e32 v0, 4, v0
	v_add_f32_e32 v15, v15, v16
	v_and_b32_e32 v0, 60, v0
	ds_write_b32 v0, v15
.LBB414_30:
	s_or_b64 exec, exec, s[0:1]
	s_waitcnt lgkmcnt(0)
	s_barrier
	ds_read_b32 v0, v14
	s_waitcnt lgkmcnt(0)
	s_nop 0
	v_mov_b32_dpp v14, v0 quad_perm:[1,0,3,2] row_mask:0xf bank_mask:0xf
	s_and_saveexec_b64 s[0:1], vcc
	s_cbranch_execz .LBB414_17
; %bb.31:
	v_cvt_f32_u32_e32 v15, s16
	v_add_f32_e32 v0, v0, v14
	s_mov_b32 s23, 0x20000
	v_div_scale_f32 v14, s[0:1], v15, v15, v0
	v_rcp_f32_e32 v16, v14
	v_div_scale_f32 v17, vcc, v0, v15, v0
	s_mov_b32 s0, 0x800000
	v_fma_f32 v18, -v14, v16, 1.0
	v_fmac_f32_e32 v16, v18, v16
	v_mul_f32_e32 v18, v17, v16
	v_fma_f32 v19, -v14, v18, v17
	v_fmac_f32_e32 v18, v19, v16
	v_fma_f32 v14, -v14, v18, v17
	v_div_fmas_f32 v14, v14, v16, v18
	v_div_fixup_f32 v0, v14, v15, v0
	v_add_f32_e32 v0, s13, v0
	v_mul_f32_e32 v14, 0x4b800000, v0
	v_cmp_gt_f32_e32 vcc, s0, v0
	v_cndmask_b32_e32 v0, v0, v14, vcc
	v_rsq_f32_e32 v0, v0
	s_mul_hi_i32 s1, s25, s6
	s_mul_i32 s0, s25, s6
	s_lshl_b64 s[0:1], s[0:1], 1
	v_mul_f32_e32 v14, 0x45800000, v0
	v_cndmask_b32_e32 v14, v0, v14, vcc
	s_add_u32 s20, s14, s0
	v_mov_b32_e32 v15, v14
	s_addc_u32 s0, s15, s1
	;;#ASMSTART
	v_pk_mul_f32 v[12:13], v[12:13], v[14:15]
	;;#ASMEND
	;;#ASMSTART
	v_pk_mul_f32 v[10:11], v[10:11], v[14:15]
	;;#ASMEND
	;; [unrolled: 3-line block ×4, first 2 shown]
	v_cvt_f32_u32_sdwa v15, v2 dst_sel:DWORD dst_unused:UNUSED_PAD src0_sel:WORD_1
	v_cvt_f32_u32_sdwa v14, v2 dst_sel:DWORD dst_unused:UNUSED_PAD src0_sel:WORD_0
	v_cvt_f32_u32_sdwa v17, v3 dst_sel:DWORD dst_unused:UNUSED_PAD src0_sel:WORD_1
	v_cvt_f32_u32_sdwa v16, v3 dst_sel:DWORD dst_unused:UNUSED_PAD src0_sel:WORD_0
	v_cvt_f32_u32_sdwa v3, v4 dst_sel:DWORD dst_unused:UNUSED_PAD src0_sel:WORD_1
	v_cvt_f32_u32_sdwa v2, v4 dst_sel:DWORD dst_unused:UNUSED_PAD src0_sel:WORD_0
	v_cvt_f32_u32_sdwa v19, v5 dst_sel:DWORD dst_unused:UNUSED_PAD src0_sel:WORD_1
	v_cvt_f32_u32_sdwa v18, v5 dst_sel:DWORD dst_unused:UNUSED_PAD src0_sel:WORD_0
	;;#ASMSTART
	v_pk_mul_f32 v[4:5], v[12:13], v[14:15]
	;;#ASMEND
	s_and_b32 s21, s0, 0xffff
	s_mov_b32 s0, 0x7060302
	;;#ASMSTART
	v_pk_mul_f32 v[10:11], v[10:11], v[16:17]
	;;#ASMEND
	;;#ASMSTART
	v_pk_mul_f32 v[8:9], v[8:9], v[2:3]
	;;#ASMEND
	;; [unrolled: 3-line block ×3, first 2 shown]
	v_perm_b32 v2, v5, v4, s0
	v_perm_b32 v3, v11, v10, s0
	;; [unrolled: 1-line block ×4, first 2 shown]
	buffer_store_dwordx4 v[2:5], v1, s[20:23], 0 offen
	;;#ASMSTART
	s_nop 0
	;;#ASMEND
	s_endpgm
	.section	.rodata,"a",@progbits
	.p2align	6, 0x0
	.amdhsa_kernel _ZN5aiter35fused_qk_rmsnorm_group_quant_kernelItDB8_Li128ELi8ELi4ELb1ELb1ELb0ELb1ELb0ELb0EEEvPT0_PvPT_S6_S6_PKS5_S8_S8_S8_S8_ffiiiiiiiiiiiii
		.amdhsa_group_segment_fixed_size 16
		.amdhsa_private_segment_fixed_size 0
		.amdhsa_kernarg_size 400
		.amdhsa_user_sgpr_count 6
		.amdhsa_user_sgpr_private_segment_buffer 1
		.amdhsa_user_sgpr_dispatch_ptr 0
		.amdhsa_user_sgpr_queue_ptr 0
		.amdhsa_user_sgpr_kernarg_segment_ptr 1
		.amdhsa_user_sgpr_dispatch_id 0
		.amdhsa_user_sgpr_flat_scratch_init 0
		.amdhsa_user_sgpr_kernarg_preload_length 0
		.amdhsa_user_sgpr_kernarg_preload_offset 0
		.amdhsa_user_sgpr_private_segment_size 0
		.amdhsa_uses_dynamic_stack 0
		.amdhsa_system_sgpr_private_segment_wavefront_offset 0
		.amdhsa_system_sgpr_workgroup_id_x 1
		.amdhsa_system_sgpr_workgroup_id_y 1
		.amdhsa_system_sgpr_workgroup_id_z 0
		.amdhsa_system_sgpr_workgroup_info 0
		.amdhsa_system_vgpr_workitem_id 0
		.amdhsa_next_free_vgpr 27
		.amdhsa_next_free_sgpr 44
		.amdhsa_accum_offset 28
		.amdhsa_reserve_vcc 1
		.amdhsa_reserve_flat_scratch 0
		.amdhsa_float_round_mode_32 0
		.amdhsa_float_round_mode_16_64 0
		.amdhsa_float_denorm_mode_32 3
		.amdhsa_float_denorm_mode_16_64 3
		.amdhsa_dx10_clamp 1
		.amdhsa_ieee_mode 1
		.amdhsa_fp16_overflow 0
		.amdhsa_tg_split 0
		.amdhsa_exception_fp_ieee_invalid_op 0
		.amdhsa_exception_fp_denorm_src 0
		.amdhsa_exception_fp_ieee_div_zero 0
		.amdhsa_exception_fp_ieee_overflow 0
		.amdhsa_exception_fp_ieee_underflow 0
		.amdhsa_exception_fp_ieee_inexact 0
		.amdhsa_exception_int_div_zero 0
	.end_amdhsa_kernel
	.section	.text._ZN5aiter35fused_qk_rmsnorm_group_quant_kernelItDB8_Li128ELi8ELi4ELb1ELb1ELb0ELb1ELb0ELb0EEEvPT0_PvPT_S6_S6_PKS5_S8_S8_S8_S8_ffiiiiiiiiiiiii,"axG",@progbits,_ZN5aiter35fused_qk_rmsnorm_group_quant_kernelItDB8_Li128ELi8ELi4ELb1ELb1ELb0ELb1ELb0ELb0EEEvPT0_PvPT_S6_S6_PKS5_S8_S8_S8_S8_ffiiiiiiiiiiiii,comdat
.Lfunc_end414:
	.size	_ZN5aiter35fused_qk_rmsnorm_group_quant_kernelItDB8_Li128ELi8ELi4ELb1ELb1ELb0ELb1ELb0ELb0EEEvPT0_PvPT_S6_S6_PKS5_S8_S8_S8_S8_ffiiiiiiiiiiiii, .Lfunc_end414-_ZN5aiter35fused_qk_rmsnorm_group_quant_kernelItDB8_Li128ELi8ELi4ELb1ELb1ELb0ELb1ELb0ELb0EEEvPT0_PvPT_S6_S6_PKS5_S8_S8_S8_S8_ffiiiiiiiiiiiii
                                        ; -- End function
	.section	.AMDGPU.csdata,"",@progbits
; Kernel info:
; codeLenInByte = 2420
; NumSgprs: 48
; NumVgprs: 27
; NumAgprs: 0
; TotalNumVgprs: 27
; ScratchSize: 0
; MemoryBound: 0
; FloatMode: 240
; IeeeMode: 1
; LDSByteSize: 16 bytes/workgroup (compile time only)
; SGPRBlocks: 5
; VGPRBlocks: 3
; NumSGPRsForWavesPerEU: 48
; NumVGPRsForWavesPerEU: 27
; AccumOffset: 28
; Occupancy: 8
; WaveLimiterHint : 0
; COMPUTE_PGM_RSRC2:SCRATCH_EN: 0
; COMPUTE_PGM_RSRC2:USER_SGPR: 6
; COMPUTE_PGM_RSRC2:TRAP_HANDLER: 0
; COMPUTE_PGM_RSRC2:TGID_X_EN: 1
; COMPUTE_PGM_RSRC2:TGID_Y_EN: 1
; COMPUTE_PGM_RSRC2:TGID_Z_EN: 0
; COMPUTE_PGM_RSRC2:TIDIG_COMP_CNT: 0
; COMPUTE_PGM_RSRC3_GFX90A:ACCUM_OFFSET: 6
; COMPUTE_PGM_RSRC3_GFX90A:TG_SPLIT: 0
	.section	.text._ZN5aiter35fused_qk_rmsnorm_group_quant_kernelIDF16_N4opus5fp4_tELi128ELi8ELi4ELb1ELb1ELb0ELb1ELb0ELb0EEEvPT0_PvPT_S7_S7_PKS6_S9_S9_S9_S9_ffiiiiiiiiiiiii,"axG",@progbits,_ZN5aiter35fused_qk_rmsnorm_group_quant_kernelIDF16_N4opus5fp4_tELi128ELi8ELi4ELb1ELb1ELb0ELb1ELb0ELb0EEEvPT0_PvPT_S7_S7_PKS6_S9_S9_S9_S9_ffiiiiiiiiiiiii,comdat
	.protected	_ZN5aiter35fused_qk_rmsnorm_group_quant_kernelIDF16_N4opus5fp4_tELi128ELi8ELi4ELb1ELb1ELb0ELb1ELb0ELb0EEEvPT0_PvPT_S7_S7_PKS6_S9_S9_S9_S9_ffiiiiiiiiiiiii ; -- Begin function _ZN5aiter35fused_qk_rmsnorm_group_quant_kernelIDF16_N4opus5fp4_tELi128ELi8ELi4ELb1ELb1ELb0ELb1ELb0ELb0EEEvPT0_PvPT_S7_S7_PKS6_S9_S9_S9_S9_ffiiiiiiiiiiiii
	.globl	_ZN5aiter35fused_qk_rmsnorm_group_quant_kernelIDF16_N4opus5fp4_tELi128ELi8ELi4ELb1ELb1ELb0ELb1ELb0ELb0EEEvPT0_PvPT_S7_S7_PKS6_S9_S9_S9_S9_ffiiiiiiiiiiiii
	.p2align	8
	.type	_ZN5aiter35fused_qk_rmsnorm_group_quant_kernelIDF16_N4opus5fp4_tELi128ELi8ELi4ELb1ELb1ELb0ELb1ELb0ELb0EEEvPT0_PvPT_S7_S7_PKS6_S9_S9_S9_S9_ffiiiiiiiiiiiii,@function
_ZN5aiter35fused_qk_rmsnorm_group_quant_kernelIDF16_N4opus5fp4_tELi128ELi8ELi4ELb1ELb1ELb0ELb1ELb0ELb0EEEvPT0_PvPT_S7_S7_PKS6_S9_S9_S9_S9_ffiiiiiiiiiiiii: ; @_ZN5aiter35fused_qk_rmsnorm_group_quant_kernelIDF16_N4opus5fp4_tELi128ELi8ELi4ELb1ELb1ELb0ELb1ELb0ELb0EEEvPT0_PvPT_S7_S7_PKS6_S9_S9_S9_S9_ffiiiiiiiiiiiii
; %bb.0:
	s_load_dwordx8 s[12:19], s[4:5], 0x50
	s_waitcnt lgkmcnt(0)
	s_cmp_ge_i32 s6, s14
	s_cbranch_scc1 .LBB415_17
; %bb.1:
	s_cmp_lg_u32 s7, 0
	s_cselect_b64 s[22:23], -1, 0
	s_cmp_eq_u32 s7, 0
	s_cselect_b64 s[2:3], -1, 0
	s_and_b64 s[0:1], s[2:3], exec
	s_cselect_b32 s7, s15, s16
	s_load_dwordx2 s[10:11], s[4:5], 0x30
	s_load_dwordx2 s[20:21], s[4:5], 0x48
	s_add_i32 s0, s7, 1
	s_lshr_b32 s1, s0, 31
	s_add_i32 s0, s0, s1
	s_lshl_b32 s0, s0, 1
	v_lshlrev_b32_e32 v1, 3, v0
	s_and_b32 s30, s0, -4
	v_cmp_gt_i32_e64 s[0:1], s7, v1
	v_mov_b32_e32 v2, 0
	v_mov_b32_e32 v3, 0
	;; [unrolled: 1-line block ×8, first 2 shown]
	s_and_saveexec_b64 s[8:9], s[0:1]
	s_cbranch_execz .LBB415_3
; %bb.2:
	s_load_dwordx2 s[14:15], s[4:5], 0x28
	s_load_dwordx2 s[26:27], s[4:5], 0x40
	s_and_b64 s[24:25], s[2:3], exec
	s_cselect_b32 s17, s17, s18
	s_mov_b32 s31, 0x20000
	s_waitcnt lgkmcnt(0)
	s_cselect_b32 s25, s15, s11
	s_cselect_b32 s24, s14, s10
	s_mul_hi_i32 s15, s17, s6
	s_mul_i32 s14, s17, s6
	s_lshl_b64 s[14:15], s[14:15], 1
	s_add_u32 s24, s24, s14
	s_addc_u32 s17, s25, s15
	s_and_b64 s[14:15], s[2:3], exec
	s_cselect_b32 s28, s26, s20
	s_cselect_b32 s14, s27, s21
	v_lshlrev_b32_e32 v10, 4, v0
	s_and_b32 s25, s17, 0xffff
	s_mov_b32 s26, s30
	s_mov_b32 s27, s31
	s_and_b32 s29, s14, 0xffff
	buffer_load_dwordx4 v[6:9], v10, s[24:27], 0 offen glc slc
	buffer_load_dwordx4 v[2:5], v10, s[28:31], 0 offen
.LBB415_3:
	s_or_b64 exec, exec, s[8:9]
	s_load_dwordx4 s[24:27], s[4:5], 0x7c
	s_and_b64 vcc, exec, s[22:23]
	s_cbranch_vccz .LBB415_7
; %bb.4:
	v_mov_b32_e32 v11, 0
	v_mov_b32_e32 v10, 0
	;; [unrolled: 1-line block ×8, first 2 shown]
	s_and_saveexec_b64 s[8:9], s[0:1]
	s_cbranch_execz .LBB415_6
; %bb.5:
	s_waitcnt vmcnt(1)
	v_cvt_f32_f16_sdwa v17, v6 dst_sel:DWORD dst_unused:UNUSED_PAD src0_sel:WORD_1
	v_cvt_f32_f16_e32 v16, v6
	v_cvt_f32_f16_sdwa v15, v7 dst_sel:DWORD dst_unused:UNUSED_PAD src0_sel:WORD_1
	v_cvt_f32_f16_e32 v14, v7
	;; [unrolled: 2-line block ×4, first 2 shown]
.LBB415_6:
	s_or_b64 exec, exec, s[8:9]
	s_cbranch_execz .LBB415_8
	s_branch .LBB415_11
.LBB415_7:
                                        ; implicit-def: $vgpr11
                                        ; implicit-def: $vgpr13
                                        ; implicit-def: $vgpr15
                                        ; implicit-def: $vgpr17
.LBB415_8:
	v_mov_b32_e32 v11, 0
	v_mov_b32_e32 v10, 0
	v_mov_b32_e32 v13, 0
	v_mov_b32_e32 v12, 0
	v_mov_b32_e32 v15, 0
	v_mov_b32_e32 v14, 0
	v_mov_b32_e32 v17, 0
	v_mov_b32_e32 v16, 0
	s_and_saveexec_b64 s[8:9], s[0:1]
	s_cbranch_execz .LBB415_10
; %bb.9:
	s_load_dwordx2 s[14:15], s[4:5], 0x38
	s_mul_hi_i32 s29, s19, s6
	s_mul_i32 s28, s19, s6
	s_lshl_b64 s[28:29], s[28:29], 1
	s_mov_b32 s31, 0x20000
	s_waitcnt lgkmcnt(0)
	s_add_u32 s28, s14, s28
	s_addc_u32 s14, s15, s29
	s_and_b32 s29, s14, 0xffff
	v_lshlrev_b32_e32 v26, 4, v0
	buffer_load_dwordx4 v[10:13], v26, s[28:31], 0 offen glc slc
	s_waitcnt vmcnt(2)
	v_cvt_f32_f16_sdwa v15, v6 dst_sel:DWORD dst_unused:UNUSED_PAD src0_sel:WORD_1
	v_cvt_f32_f16_e32 v14, v6
	v_cvt_f32_f16_sdwa v19, v7 dst_sel:DWORD dst_unused:UNUSED_PAD src0_sel:WORD_1
	v_cvt_f32_f16_e32 v18, v7
	;; [unrolled: 2-line block ×4, first 2 shown]
	s_load_dwordx2 s[14:15], s[4:5], 0x20
	s_mul_hi_i32 s27, s26, s6
	s_mul_i32 s26, s26, s6
	s_lshl_b64 s[26:27], s[26:27], 1
	s_waitcnt lgkmcnt(0)
	s_add_u32 s28, s14, s26
	s_addc_u32 s14, s15, s27
	s_and_b32 s29, s14, 0xffff
	s_waitcnt vmcnt(0)
	v_cvt_f32_f16_e32 v8, v10
	v_cvt_f32_f16_sdwa v9, v10 dst_sel:DWORD dst_unused:UNUSED_PAD src0_sel:WORD_1
	v_cvt_f32_f16_e32 v10, v11
	v_cvt_f32_f16_sdwa v11, v11 dst_sel:DWORD dst_unused:UNUSED_PAD src0_sel:WORD_1
	;; [unrolled: 2-line block ×4, first 2 shown]
	v_pk_add_f32 v[16:17], v[14:15], v[8:9]
	v_pk_add_f32 v[14:15], v[18:19], v[10:11]
	v_pk_add_f32 v[12:13], v[6:7], v[22:23]
	v_pk_add_f32 v[10:11], v[20:21], v[24:25]
	v_cvt_f16_f32_e32 v6, v17
	v_cvt_f16_f32_e32 v7, v15
	;; [unrolled: 1-line block ×8, first 2 shown]
	v_pack_b32_f16 v9, v18, v9
	v_pack_b32_f16 v8, v19, v8
	;; [unrolled: 1-line block ×4, first 2 shown]
	buffer_store_dwordx4 v[6:9], v26, s[28:31], 0 offen glc slc
	;;#ASMSTART
	s_nop 0
	;;#ASMEND
.LBB415_10:
	s_or_b64 exec, exec, s[8:9]
.LBB415_11:
	s_waitcnt vmcnt(1)
	v_mul_f32_e32 v6, v17, v17
	v_fmac_f32_e32 v6, v16, v16
	v_fmac_f32_e32 v6, v14, v14
	;; [unrolled: 1-line block ×7, first 2 shown]
	v_and_b32_e32 v8, 63, v0
	v_cmp_eq_u32_e64 s[8:9], 63, v8
	v_mov_b32_dpp v7, v6 quad_perm:[1,0,3,2] row_mask:0xf bank_mask:0xf
	v_add_f32_e32 v6, v6, v7
	s_nop 1
	v_mov_b32_dpp v7, v6 quad_perm:[2,3,0,1] row_mask:0xf bank_mask:0xf
	v_add_f32_e32 v6, v6, v7
	s_nop 1
	v_mov_b32_dpp v7, v6 row_half_mirror row_mask:0xf bank_mask:0xf
	v_add_f32_e32 v6, v6, v7
	s_nop 1
	v_mov_b32_dpp v7, v6 row_mirror row_mask:0xf bank_mask:0xf
	v_add_f32_e32 v6, v6, v7
	s_nop 1
	v_mov_b32_dpp v7, v6 row_bcast:15 row_mask:0xf bank_mask:0xf
	v_add_f32_e32 v6, v6, v7
	s_nop 1
	v_mov_b32_dpp v7, v6 row_bcast:31 row_mask:0xf bank_mask:0xf
	s_and_saveexec_b64 s[14:15], s[8:9]
	s_cbranch_execz .LBB415_13
; %bb.12:
	v_add_f32_e32 v6, v6, v7
	v_lshrrev_b32_e32 v7, 4, v0
	v_and_b32_e32 v7, 60, v7
	ds_write_b32 v7, v6 offset:8
.LBB415_13:
	s_or_b64 exec, exec, s[14:15]
	v_and_b32_e32 v6, 1, v0
	v_lshlrev_b32_e32 v18, 2, v6
	s_waitcnt lgkmcnt(0)
	s_barrier
	ds_read_b32 v6, v18 offset:8
	s_load_dwordx2 s[14:15], s[4:5], 0x18
	s_waitcnt lgkmcnt(0)
	v_mov_b32_dpp v7, v6 quad_perm:[1,0,3,2] row_mask:0xf bank_mask:0xf
	s_and_saveexec_b64 s[26:27], s[0:1]
	s_cbranch_execnz .LBB415_18
; %bb.14:
	s_or_b64 exec, exec, s[26:27]
	s_mov_b64 s[2:3], -1
	s_and_b64 vcc, exec, s[22:23]
	s_cbranch_vccnz .LBB415_19
.LBB415_15:
	s_andn2_b64 vcc, exec, s[2:3]
	s_cbranch_vccz .LBB415_22
.LBB415_16:
	s_cmp_lt_i32 s16, 1
	s_cbranch_scc0 .LBB415_25
.LBB415_17:
	s_endpgm
.LBB415_18:
	v_cvt_f32_u32_e32 v8, s7
	v_add_f32_e32 v6, v6, v7
	v_mov_b32_e32 v19, s13
	v_mov_b32_e32 v20, s12
	v_div_scale_f32 v7, s[28:29], v8, v8, v6
	v_rcp_f32_e32 v9, v7
	v_cndmask_b32_e64 v19, v19, v20, s[2:3]
	s_mov_b32 s2, 0x800000
	s_waitcnt vmcnt(0)
	v_cvt_f32_f16_sdwa v23, v5 dst_sel:DWORD dst_unused:UNUSED_PAD src0_sel:WORD_1
	v_fma_f32 v20, -v7, v9, 1.0
	v_fmac_f32_e32 v9, v20, v9
	v_div_scale_f32 v20, vcc, v6, v8, v6
	v_mul_f32_e32 v21, v20, v9
	v_fma_f32 v22, -v7, v21, v20
	v_fmac_f32_e32 v21, v22, v9
	v_fma_f32 v7, -v7, v21, v20
	v_div_fmas_f32 v7, v7, v9, v21
	v_div_fixup_f32 v6, v7, v8, v6
	v_add_f32_e32 v6, v19, v6
	v_mul_f32_e32 v7, 0x4b800000, v6
	v_cmp_gt_f32_e32 vcc, s2, v6
	v_cndmask_b32_e32 v6, v6, v7, vcc
	v_rsq_f32_e32 v6, v6
	v_cvt_f32_f16_sdwa v21, v3 dst_sel:DWORD dst_unused:UNUSED_PAD src0_sel:WORD_1
	v_cvt_f32_f16_e32 v20, v3
	v_cvt_f32_f16_sdwa v3, v4 dst_sel:DWORD dst_unused:UNUSED_PAD src0_sel:WORD_1
	v_mul_f32_e32 v7, 0x45800000, v6
	v_cndmask_b32_e32 v6, v6, v7, vcc
	v_mov_b32_e32 v7, v6
	;;#ASMSTART
	v_pk_mul_f32 v[8:9], v[16:17], v[6:7]
	;;#ASMEND
	;;#ASMSTART
	v_pk_mul_f32 v[14:15], v[14:15], v[6:7]
	;;#ASMEND
	;; [unrolled: 3-line block ×4, first 2 shown]
	v_cvt_f32_f16_sdwa v11, v2 dst_sel:DWORD dst_unused:UNUSED_PAD src0_sel:WORD_1
	v_cvt_f32_f16_e32 v10, v2
	v_cvt_f32_f16_e32 v2, v4
	;; [unrolled: 1-line block ×3, first 2 shown]
	;;#ASMSTART
	v_pk_mul_f32 v[16:17], v[8:9], v[10:11]
	;;#ASMEND
	;;#ASMSTART
	v_pk_mul_f32 v[14:15], v[14:15], v[20:21]
	;;#ASMEND
	;; [unrolled: 3-line block ×4, first 2 shown]
	s_or_b64 exec, exec, s[26:27]
	s_mov_b64 s[2:3], -1
	s_and_b64 vcc, exec, s[22:23]
	s_cbranch_vccz .LBB415_15
.LBB415_19:
	s_and_saveexec_b64 s[2:3], s[0:1]
	s_cbranch_execz .LBB415_21
; %bb.20:
	s_mul_hi_i32 s23, s25, s6
	s_mul_i32 s22, s25, s6
	s_waitcnt vmcnt(0)
	v_cvt_f16_f32_e32 v2, v16
	v_cvt_f16_f32_e32 v3, v14
	;; [unrolled: 1-line block ×8, first 2 shown]
	s_lshl_b64 s[22:23], s[22:23], 1
	s_add_u32 s28, s14, s22
	s_addc_u32 s7, s15, s23
	s_and_b32 s29, s7, 0xffff
	s_mov_b32 s31, 0x20000
	v_pack_b32_f16 v5, v5, v6
	v_pack_b32_f16 v4, v4, v7
	;; [unrolled: 1-line block ×4, first 2 shown]
	v_lshlrev_b32_e32 v6, 4, v0
	buffer_store_dwordx4 v[2:5], v6, s[28:31], 0 offen
	;;#ASMSTART
	s_nop 0
	;;#ASMEND
.LBB415_21:
	s_or_b64 exec, exec, s[2:3]
	s_cbranch_execnz .LBB415_16
.LBB415_22:
	s_and_saveexec_b64 s[2:3], s[0:1]
	s_cbranch_execz .LBB415_24
; %bb.23:
	s_load_dwordx2 s[0:1], s[4:5], 0x10
	s_mul_hi_i32 s23, s24, s6
	s_mul_i32 s22, s24, s6
	s_waitcnt vmcnt(0)
	v_cvt_f16_f32_e32 v2, v16
	v_cvt_f16_f32_e32 v3, v14
	;; [unrolled: 1-line block ×8, first 2 shown]
	s_lshl_b64 s[22:23], s[22:23], 1
	s_waitcnt lgkmcnt(0)
	s_add_u32 s28, s0, s22
	s_addc_u32 s0, s1, s23
	s_mov_b32 s31, 0x20000
	s_and_b32 s29, s0, 0xffff
	v_pack_b32_f16 v5, v5, v6
	v_pack_b32_f16 v4, v4, v7
	;; [unrolled: 1-line block ×4, first 2 shown]
	v_lshlrev_b32_e32 v6, 4, v0
	buffer_store_dwordx4 v[2:5], v6, s[28:31], 0 offen
	;;#ASMSTART
	s_nop 0
	;;#ASMEND
.LBB415_24:
	s_or_b64 exec, exec, s[2:3]
	s_cmp_lt_i32 s16, 1
	s_cbranch_scc1 .LBB415_17
.LBB415_25:
	s_load_dword s0, s[4:5], 0x94
	s_waitcnt lgkmcnt(0)
	s_cmp_lg_u32 s0, 1
	s_cbranch_scc1 .LBB415_17
; %bb.26:
	s_lshl_b32 s0, s16, 1
	s_add_i32 s0, s0, 2
	v_cmp_gt_u32_e32 vcc, s16, v1
	s_and_b32 s22, s0, -4
	v_mov_b32_e32 v10, 0
	v_lshlrev_b32_e32 v1, 4, v0
	v_mov_b32_e32 v6, 0
	v_mov_b32_e32 v7, 0
	;; [unrolled: 1-line block ×4, first 2 shown]
	s_waitcnt vmcnt(0)
	v_mov_b32_e32 v2, 0
	v_mov_b32_e32 v3, 0
	;; [unrolled: 1-line block ×4, first 2 shown]
	s_barrier
	s_and_saveexec_b64 s[0:1], vcc
	s_cbranch_execz .LBB415_28
; %bb.27:
	s_mul_hi_i32 s3, s18, s6
	s_mul_i32 s2, s18, s6
	s_and_b32 s21, s21, 0xffff
	s_lshl_b64 s[2:3], s[2:3], 1
	s_add_u32 s28, s10, s2
	s_mov_b32 s23, 0x20000
	s_addc_u32 s2, s11, s3
	s_and_b32 s29, s2, 0xffff
	s_mov_b32 s30, s22
	s_mov_b32 s31, s23
	buffer_load_dwordx4 v[6:9], v1, s[28:31], 0 offen glc slc
	buffer_load_dwordx4 v[2:5], v1, s[20:23], 0 offen
.LBB415_28:
	s_or_b64 exec, exec, s[0:1]
	v_mov_b32_e32 v11, 0
	v_mov_b32_e32 v16, 0
	;; [unrolled: 1-line block ×7, first 2 shown]
	s_and_saveexec_b64 s[0:1], vcc
	s_cbranch_execz .LBB415_30
; %bb.29:
	s_waitcnt vmcnt(1)
	v_cvt_f32_f16_sdwa v11, v6 dst_sel:DWORD dst_unused:UNUSED_PAD src0_sel:WORD_1
	v_cvt_f32_f16_e32 v10, v6
	v_cvt_f32_f16_sdwa v17, v7 dst_sel:DWORD dst_unused:UNUSED_PAD src0_sel:WORD_1
	v_cvt_f32_f16_e32 v16, v7
	;; [unrolled: 2-line block ×4, first 2 shown]
.LBB415_30:
	s_or_b64 exec, exec, s[0:1]
	s_waitcnt vmcnt(1)
	v_mul_f32_e32 v6, v11, v11
	v_fmac_f32_e32 v6, v10, v10
	v_fmac_f32_e32 v6, v16, v16
	v_fmac_f32_e32 v6, v17, v17
	v_fmac_f32_e32 v6, v14, v14
	v_fmac_f32_e32 v6, v15, v15
	v_fmac_f32_e32 v6, v12, v12
	v_fmac_f32_e32 v6, v13, v13
	s_nop 1
	v_mov_b32_dpp v7, v6 quad_perm:[1,0,3,2] row_mask:0xf bank_mask:0xf
	v_add_f32_e32 v6, v6, v7
	s_nop 1
	v_mov_b32_dpp v7, v6 quad_perm:[2,3,0,1] row_mask:0xf bank_mask:0xf
	v_add_f32_e32 v6, v6, v7
	s_nop 1
	v_mov_b32_dpp v7, v6 row_half_mirror row_mask:0xf bank_mask:0xf
	v_add_f32_e32 v6, v6, v7
	s_nop 1
	v_mov_b32_dpp v7, v6 row_mirror row_mask:0xf bank_mask:0xf
	v_add_f32_e32 v6, v6, v7
	s_nop 1
	v_mov_b32_dpp v7, v6 row_bcast:15 row_mask:0xf bank_mask:0xf
	v_add_f32_e32 v6, v6, v7
	s_nop 1
	v_mov_b32_dpp v7, v6 row_bcast:31 row_mask:0xf bank_mask:0xf
	s_and_saveexec_b64 s[0:1], s[8:9]
	s_cbranch_execz .LBB415_32
; %bb.31:
	v_lshrrev_b32_e32 v0, 4, v0
	v_add_f32_e32 v6, v6, v7
	v_and_b32_e32 v0, 60, v0
	ds_write_b32 v0, v6
.LBB415_32:
	s_or_b64 exec, exec, s[0:1]
	s_waitcnt lgkmcnt(0)
	s_barrier
	ds_read_b32 v0, v18
	s_waitcnt lgkmcnt(0)
	s_nop 0
	v_mov_b32_dpp v6, v0 quad_perm:[1,0,3,2] row_mask:0xf bank_mask:0xf
	s_and_saveexec_b64 s[0:1], vcc
	s_cbranch_execz .LBB415_17
; %bb.33:
	v_cvt_f32_u32_e32 v7, s16
	v_add_f32_e32 v0, v0, v6
	s_mov_b32 s23, 0x20000
	v_div_scale_f32 v6, s[0:1], v7, v7, v0
	v_rcp_f32_e32 v8, v6
	v_div_scale_f32 v9, vcc, v0, v7, v0
	s_mov_b32 s0, 0x800000
	v_fma_f32 v18, -v6, v8, 1.0
	v_fmac_f32_e32 v8, v18, v8
	v_mul_f32_e32 v18, v9, v8
	v_fma_f32 v19, -v6, v18, v9
	v_fmac_f32_e32 v18, v19, v8
	v_fma_f32 v6, -v6, v18, v9
	v_div_fmas_f32 v6, v6, v8, v18
	v_div_fixup_f32 v0, v6, v7, v0
	v_add_f32_e32 v0, s13, v0
	v_mul_f32_e32 v6, 0x4b800000, v0
	v_cmp_gt_f32_e32 vcc, s0, v0
	v_cndmask_b32_e32 v0, v0, v6, vcc
	v_rsq_f32_e32 v0, v0
	s_waitcnt vmcnt(0)
	v_cvt_f32_f16_sdwa v19, v5 dst_sel:DWORD dst_unused:UNUSED_PAD src0_sel:WORD_1
	v_cvt_f32_f16_e32 v18, v5
	s_mul_hi_i32 s1, s25, s6
	v_mul_f32_e32 v6, 0x45800000, v0
	v_cndmask_b32_e32 v6, v0, v6, vcc
	v_mov_b32_e32 v7, v6
	;;#ASMSTART
	v_pk_mul_f32 v[8:9], v[10:11], v[6:7]
	;;#ASMEND
	;;#ASMSTART
	v_pk_mul_f32 v[10:11], v[16:17], v[6:7]
	;;#ASMEND
	;; [unrolled: 3-line block ×4, first 2 shown]
	v_cvt_f32_f16_sdwa v13, v2 dst_sel:DWORD dst_unused:UNUSED_PAD src0_sel:WORD_1
	v_cvt_f32_f16_e32 v12, v2
	v_cvt_f32_f16_sdwa v17, v3 dst_sel:DWORD dst_unused:UNUSED_PAD src0_sel:WORD_1
	v_cvt_f32_f16_e32 v16, v3
	;; [unrolled: 2-line block ×3, first 2 shown]
	;;#ASMSTART
	v_pk_mul_f32 v[4:5], v[8:9], v[12:13]
	;;#ASMEND
	;;#ASMSTART
	v_pk_mul_f32 v[8:9], v[10:11], v[16:17]
	;;#ASMEND
	;; [unrolled: 3-line block ×4, first 2 shown]
	s_mul_i32 s0, s25, s6
	v_cvt_f16_f32_e32 v0, v4
	v_cvt_f16_f32_e32 v4, v5
	;; [unrolled: 1-line block ×8, first 2 shown]
	s_lshl_b64 s[0:1], s[0:1], 1
	s_add_u32 s20, s14, s0
	s_addc_u32 s0, s15, s1
	s_and_b32 s21, s0, 0xffff
	v_pack_b32_f16 v2, v0, v4
	v_pack_b32_f16 v3, v5, v8
	;; [unrolled: 1-line block ×4, first 2 shown]
	buffer_store_dwordx4 v[2:5], v1, s[20:23], 0 offen
	;;#ASMSTART
	s_nop 0
	;;#ASMEND
	s_endpgm
	.section	.rodata,"a",@progbits
	.p2align	6, 0x0
	.amdhsa_kernel _ZN5aiter35fused_qk_rmsnorm_group_quant_kernelIDF16_N4opus5fp4_tELi128ELi8ELi4ELb1ELb1ELb0ELb1ELb0ELb0EEEvPT0_PvPT_S7_S7_PKS6_S9_S9_S9_S9_ffiiiiiiiiiiiii
		.amdhsa_group_segment_fixed_size 16
		.amdhsa_private_segment_fixed_size 0
		.amdhsa_kernarg_size 400
		.amdhsa_user_sgpr_count 6
		.amdhsa_user_sgpr_private_segment_buffer 1
		.amdhsa_user_sgpr_dispatch_ptr 0
		.amdhsa_user_sgpr_queue_ptr 0
		.amdhsa_user_sgpr_kernarg_segment_ptr 1
		.amdhsa_user_sgpr_dispatch_id 0
		.amdhsa_user_sgpr_flat_scratch_init 0
		.amdhsa_user_sgpr_kernarg_preload_length 0
		.amdhsa_user_sgpr_kernarg_preload_offset 0
		.amdhsa_user_sgpr_private_segment_size 0
		.amdhsa_uses_dynamic_stack 0
		.amdhsa_system_sgpr_private_segment_wavefront_offset 0
		.amdhsa_system_sgpr_workgroup_id_x 1
		.amdhsa_system_sgpr_workgroup_id_y 1
		.amdhsa_system_sgpr_workgroup_id_z 0
		.amdhsa_system_sgpr_workgroup_info 0
		.amdhsa_system_vgpr_workitem_id 0
		.amdhsa_next_free_vgpr 27
		.amdhsa_next_free_sgpr 32
		.amdhsa_accum_offset 28
		.amdhsa_reserve_vcc 1
		.amdhsa_reserve_flat_scratch 0
		.amdhsa_float_round_mode_32 0
		.amdhsa_float_round_mode_16_64 0
		.amdhsa_float_denorm_mode_32 3
		.amdhsa_float_denorm_mode_16_64 3
		.amdhsa_dx10_clamp 1
		.amdhsa_ieee_mode 1
		.amdhsa_fp16_overflow 0
		.amdhsa_tg_split 0
		.amdhsa_exception_fp_ieee_invalid_op 0
		.amdhsa_exception_fp_denorm_src 0
		.amdhsa_exception_fp_ieee_div_zero 0
		.amdhsa_exception_fp_ieee_overflow 0
		.amdhsa_exception_fp_ieee_underflow 0
		.amdhsa_exception_fp_ieee_inexact 0
		.amdhsa_exception_int_div_zero 0
	.end_amdhsa_kernel
	.section	.text._ZN5aiter35fused_qk_rmsnorm_group_quant_kernelIDF16_N4opus5fp4_tELi128ELi8ELi4ELb1ELb1ELb0ELb1ELb0ELb0EEEvPT0_PvPT_S7_S7_PKS6_S9_S9_S9_S9_ffiiiiiiiiiiiii,"axG",@progbits,_ZN5aiter35fused_qk_rmsnorm_group_quant_kernelIDF16_N4opus5fp4_tELi128ELi8ELi4ELb1ELb1ELb0ELb1ELb0ELb0EEEvPT0_PvPT_S7_S7_PKS6_S9_S9_S9_S9_ffiiiiiiiiiiiii,comdat
.Lfunc_end415:
	.size	_ZN5aiter35fused_qk_rmsnorm_group_quant_kernelIDF16_N4opus5fp4_tELi128ELi8ELi4ELb1ELb1ELb0ELb1ELb0ELb0EEEvPT0_PvPT_S7_S7_PKS6_S9_S9_S9_S9_ffiiiiiiiiiiiii, .Lfunc_end415-_ZN5aiter35fused_qk_rmsnorm_group_quant_kernelIDF16_N4opus5fp4_tELi128ELi8ELi4ELb1ELb1ELb0ELb1ELb0ELb0EEEvPT0_PvPT_S7_S7_PKS6_S9_S9_S9_S9_ffiiiiiiiiiiiii
                                        ; -- End function
	.section	.AMDGPU.csdata,"",@progbits
; Kernel info:
; codeLenInByte = 2384
; NumSgprs: 36
; NumVgprs: 27
; NumAgprs: 0
; TotalNumVgprs: 27
; ScratchSize: 0
; MemoryBound: 0
; FloatMode: 240
; IeeeMode: 1
; LDSByteSize: 16 bytes/workgroup (compile time only)
; SGPRBlocks: 4
; VGPRBlocks: 3
; NumSGPRsForWavesPerEU: 36
; NumVGPRsForWavesPerEU: 27
; AccumOffset: 28
; Occupancy: 8
; WaveLimiterHint : 0
; COMPUTE_PGM_RSRC2:SCRATCH_EN: 0
; COMPUTE_PGM_RSRC2:USER_SGPR: 6
; COMPUTE_PGM_RSRC2:TRAP_HANDLER: 0
; COMPUTE_PGM_RSRC2:TGID_X_EN: 1
; COMPUTE_PGM_RSRC2:TGID_Y_EN: 1
; COMPUTE_PGM_RSRC2:TGID_Z_EN: 0
; COMPUTE_PGM_RSRC2:TIDIG_COMP_CNT: 0
; COMPUTE_PGM_RSRC3_GFX90A:ACCUM_OFFSET: 6
; COMPUTE_PGM_RSRC3_GFX90A:TG_SPLIT: 0
	.section	.text._ZN5aiter35fused_qk_rmsnorm_group_quant_kernelItN4opus5fp4_tELi128ELi8ELi4ELb1ELb1ELb0ELb1ELb0ELb0EEEvPT0_PvPT_S7_S7_PKS6_S9_S9_S9_S9_ffiiiiiiiiiiiii,"axG",@progbits,_ZN5aiter35fused_qk_rmsnorm_group_quant_kernelItN4opus5fp4_tELi128ELi8ELi4ELb1ELb1ELb0ELb1ELb0ELb0EEEvPT0_PvPT_S7_S7_PKS6_S9_S9_S9_S9_ffiiiiiiiiiiiii,comdat
	.protected	_ZN5aiter35fused_qk_rmsnorm_group_quant_kernelItN4opus5fp4_tELi128ELi8ELi4ELb1ELb1ELb0ELb1ELb0ELb0EEEvPT0_PvPT_S7_S7_PKS6_S9_S9_S9_S9_ffiiiiiiiiiiiii ; -- Begin function _ZN5aiter35fused_qk_rmsnorm_group_quant_kernelItN4opus5fp4_tELi128ELi8ELi4ELb1ELb1ELb0ELb1ELb0ELb0EEEvPT0_PvPT_S7_S7_PKS6_S9_S9_S9_S9_ffiiiiiiiiiiiii
	.globl	_ZN5aiter35fused_qk_rmsnorm_group_quant_kernelItN4opus5fp4_tELi128ELi8ELi4ELb1ELb1ELb0ELb1ELb0ELb0EEEvPT0_PvPT_S7_S7_PKS6_S9_S9_S9_S9_ffiiiiiiiiiiiii
	.p2align	8
	.type	_ZN5aiter35fused_qk_rmsnorm_group_quant_kernelItN4opus5fp4_tELi128ELi8ELi4ELb1ELb1ELb0ELb1ELb0ELb0EEEvPT0_PvPT_S7_S7_PKS6_S9_S9_S9_S9_ffiiiiiiiiiiiii,@function
_ZN5aiter35fused_qk_rmsnorm_group_quant_kernelItN4opus5fp4_tELi128ELi8ELi4ELb1ELb1ELb0ELb1ELb0ELb0EEEvPT0_PvPT_S7_S7_PKS6_S9_S9_S9_S9_ffiiiiiiiiiiiii: ; @_ZN5aiter35fused_qk_rmsnorm_group_quant_kernelItN4opus5fp4_tELi128ELi8ELi4ELb1ELb1ELb0ELb1ELb0ELb0EEEvPT0_PvPT_S7_S7_PKS6_S9_S9_S9_S9_ffiiiiiiiiiiiii
; %bb.0:
	s_load_dwordx8 s[12:19], s[4:5], 0x50
	s_waitcnt lgkmcnt(0)
	s_cmp_ge_i32 s6, s14
	s_cbranch_scc1 .LBB416_17
; %bb.1:
	s_cmp_lg_u32 s7, 0
	s_cselect_b64 s[22:23], -1, 0
	s_cmp_eq_u32 s7, 0
	s_cselect_b64 s[8:9], -1, 0
	s_and_b64 s[0:1], s[8:9], exec
	s_cselect_b32 s7, s15, s16
	s_load_dwordx2 s[10:11], s[4:5], 0x30
	s_load_dwordx2 s[20:21], s[4:5], 0x48
	s_add_i32 s0, s7, 1
	s_lshr_b32 s1, s0, 31
	s_add_i32 s0, s0, s1
	s_lshl_b32 s0, s0, 1
	v_lshlrev_b32_e32 v1, 3, v0
	s_and_b32 s30, s0, -4
	v_cmp_gt_i32_e64 s[0:1], s7, v1
	v_mov_b32_e32 v10, 0
	v_mov_b32_e32 v11, 0
	v_mov_b32_e32 v12, 0
	v_mov_b32_e32 v13, 0
	v_mov_b32_e32 v14, 0
	v_mov_b32_e32 v15, 0
	v_mov_b32_e32 v16, 0
	v_mov_b32_e32 v17, 0
	s_and_saveexec_b64 s[2:3], s[0:1]
	s_cbranch_execz .LBB416_3
; %bb.2:
	s_load_dwordx2 s[14:15], s[4:5], 0x28
	s_load_dwordx2 s[26:27], s[4:5], 0x40
	s_and_b64 s[24:25], s[8:9], exec
	s_cselect_b32 s17, s17, s18
	s_mov_b32 s31, 0x20000
	s_waitcnt lgkmcnt(0)
	s_cselect_b32 s25, s15, s11
	s_cselect_b32 s24, s14, s10
	s_mul_hi_i32 s15, s17, s6
	s_mul_i32 s14, s17, s6
	s_lshl_b64 s[14:15], s[14:15], 1
	s_add_u32 s24, s24, s14
	s_addc_u32 s17, s25, s15
	s_and_b64 s[14:15], s[8:9], exec
	s_cselect_b32 s28, s26, s20
	s_cselect_b32 s14, s27, s21
	v_lshlrev_b32_e32 v2, 4, v0
	s_and_b32 s25, s17, 0xffff
	s_mov_b32 s26, s30
	s_mov_b32 s27, s31
	s_and_b32 s29, s14, 0xffff
	buffer_load_dwordx4 v[14:17], v2, s[24:27], 0 offen glc slc
	buffer_load_dwordx4 v[10:13], v2, s[28:31], 0 offen
.LBB416_3:
	s_or_b64 exec, exec, s[2:3]
	s_load_dwordx4 s[24:27], s[4:5], 0x7c
	s_and_b64 vcc, exec, s[22:23]
	s_cbranch_vccz .LBB416_7
; %bb.4:
	s_mov_b32 s36, 0
	s_mov_b32 s37, s36
	;; [unrolled: 1-line block ×8, first 2 shown]
	v_pk_mov_b32 v[2:3], s[36:37], s[36:37] op_sel:[0,1]
	v_pk_mov_b32 v[4:5], s[38:39], s[38:39] op_sel:[0,1]
	v_pk_mov_b32 v[6:7], s[40:41], s[40:41] op_sel:[0,1]
	v_pk_mov_b32 v[8:9], s[42:43], s[42:43] op_sel:[0,1]
	s_and_saveexec_b64 s[2:3], s[0:1]
	s_cbranch_execz .LBB416_6
; %bb.5:
	s_waitcnt vmcnt(1)
	v_cvt_f32_u32_sdwa v3, v14 dst_sel:DWORD dst_unused:UNUSED_PAD src0_sel:WORD_1
	v_cvt_f32_u32_sdwa v2, v14 dst_sel:DWORD dst_unused:UNUSED_PAD src0_sel:WORD_0
	v_cvt_f32_u32_sdwa v5, v15 dst_sel:DWORD dst_unused:UNUSED_PAD src0_sel:WORD_1
	v_cvt_f32_u32_sdwa v4, v15 dst_sel:DWORD dst_unused:UNUSED_PAD src0_sel:WORD_0
	;; [unrolled: 2-line block ×4, first 2 shown]
.LBB416_6:
	s_or_b64 exec, exec, s[2:3]
	s_cbranch_execz .LBB416_8
	s_branch .LBB416_11
.LBB416_7:
                                        ; implicit-def: $vgpr2_vgpr3_vgpr4_vgpr5_vgpr6_vgpr7_vgpr8_vgpr9
.LBB416_8:
	s_mov_b32 s36, 0
	s_mov_b32 s37, s36
	;; [unrolled: 1-line block ×8, first 2 shown]
	v_pk_mov_b32 v[2:3], s[36:37], s[36:37] op_sel:[0,1]
	v_pk_mov_b32 v[4:5], s[38:39], s[38:39] op_sel:[0,1]
	;; [unrolled: 1-line block ×4, first 2 shown]
	s_and_saveexec_b64 s[2:3], s[0:1]
	s_cbranch_execz .LBB416_10
; %bb.9:
	s_load_dwordx2 s[14:15], s[4:5], 0x38
	s_mul_hi_i32 s29, s19, s6
	s_mul_i32 s28, s19, s6
	s_lshl_b64 s[28:29], s[28:29], 1
	s_mov_b32 s31, 0x20000
	s_waitcnt lgkmcnt(0)
	s_add_u32 s28, s14, s28
	s_addc_u32 s14, s15, s29
	s_and_b32 s29, s14, 0xffff
	v_lshlrev_b32_e32 v26, 4, v0
	buffer_load_dwordx4 v[2:5], v26, s[28:31], 0 offen glc slc
	s_load_dwordx2 s[14:15], s[4:5], 0x20
	s_waitcnt vmcnt(2)
	v_cvt_f32_u32_sdwa v7, v14 dst_sel:DWORD dst_unused:UNUSED_PAD src0_sel:WORD_1
	v_cvt_f32_u32_sdwa v6, v14 dst_sel:DWORD dst_unused:UNUSED_PAD src0_sel:WORD_0
	v_cvt_f32_u32_sdwa v9, v15 dst_sel:DWORD dst_unused:UNUSED_PAD src0_sel:WORD_1
	v_cvt_f32_u32_sdwa v8, v15 dst_sel:DWORD dst_unused:UNUSED_PAD src0_sel:WORD_0
	;; [unrolled: 2-line block ×4, first 2 shown]
	s_mul_hi_i32 s27, s26, s6
	s_mul_i32 s26, s26, s6
	s_lshl_b64 s[26:27], s[26:27], 1
	s_waitcnt lgkmcnt(0)
	s_add_u32 s28, s14, s26
	s_mov_b32 s17, 0x7060302
	s_addc_u32 s14, s15, s27
	s_and_b32 s29, s14, 0xffff
	s_waitcnt vmcnt(0)
	v_cvt_f32_u32_sdwa v17, v2 dst_sel:DWORD dst_unused:UNUSED_PAD src0_sel:WORD_1
	v_cvt_f32_u32_sdwa v16, v2 dst_sel:DWORD dst_unused:UNUSED_PAD src0_sel:WORD_0
	v_cvt_f32_u32_sdwa v21, v3 dst_sel:DWORD dst_unused:UNUSED_PAD src0_sel:WORD_1
	v_cvt_f32_u32_sdwa v20, v3 dst_sel:DWORD dst_unused:UNUSED_PAD src0_sel:WORD_0
	;; [unrolled: 2-line block ×4, first 2 shown]
	v_pk_add_f32 v[2:3], v[6:7], v[16:17]
	v_pk_add_f32 v[4:5], v[8:9], v[20:21]
	;; [unrolled: 1-line block ×4, first 2 shown]
	v_perm_b32 v17, v9, v8, s17
	v_perm_b32 v16, v7, v6, s17
	;; [unrolled: 1-line block ×4, first 2 shown]
	buffer_store_dwordx4 v[14:17], v26, s[28:31], 0 offen glc slc
	;;#ASMSTART
	s_nop 0
	;;#ASMEND
.LBB416_10:
	s_or_b64 exec, exec, s[2:3]
.LBB416_11:
	s_waitcnt vmcnt(1)
	v_mul_f32_e32 v14, v3, v3
	v_fmac_f32_e32 v14, v2, v2
	v_fmac_f32_e32 v14, v4, v4
	;; [unrolled: 1-line block ×7, first 2 shown]
	v_and_b32_e32 v16, 63, v0
	v_cmp_eq_u32_e64 s[2:3], 63, v16
	v_mov_b32_dpp v15, v14 quad_perm:[1,0,3,2] row_mask:0xf bank_mask:0xf
	v_add_f32_e32 v14, v14, v15
	s_nop 1
	v_mov_b32_dpp v15, v14 quad_perm:[2,3,0,1] row_mask:0xf bank_mask:0xf
	v_add_f32_e32 v14, v14, v15
	s_nop 1
	v_mov_b32_dpp v15, v14 row_half_mirror row_mask:0xf bank_mask:0xf
	v_add_f32_e32 v14, v14, v15
	s_nop 1
	v_mov_b32_dpp v15, v14 row_mirror row_mask:0xf bank_mask:0xf
	v_add_f32_e32 v14, v14, v15
	s_nop 1
	v_mov_b32_dpp v15, v14 row_bcast:15 row_mask:0xf bank_mask:0xf
	v_add_f32_e32 v14, v14, v15
	s_nop 1
	v_mov_b32_dpp v15, v14 row_bcast:31 row_mask:0xf bank_mask:0xf
	s_and_saveexec_b64 s[14:15], s[2:3]
	s_cbranch_execz .LBB416_13
; %bb.12:
	v_add_f32_e32 v14, v14, v15
	v_lshrrev_b32_e32 v15, 4, v0
	v_and_b32_e32 v15, 60, v15
	ds_write_b32 v15, v14 offset:8
.LBB416_13:
	s_or_b64 exec, exec, s[14:15]
	v_and_b32_e32 v14, 1, v0
	v_lshlrev_b32_e32 v14, 2, v14
	s_waitcnt lgkmcnt(0)
	s_barrier
	ds_read_b32 v15, v14 offset:8
	s_load_dwordx2 s[14:15], s[4:5], 0x18
	s_waitcnt lgkmcnt(0)
	v_mov_b32_dpp v16, v15 quad_perm:[1,0,3,2] row_mask:0xf bank_mask:0xf
	s_and_saveexec_b64 s[26:27], s[0:1]
	s_cbranch_execnz .LBB416_18
; %bb.14:
	s_or_b64 exec, exec, s[26:27]
	s_mov_b64 s[8:9], -1
	s_and_b64 vcc, exec, s[22:23]
	s_cbranch_vccnz .LBB416_19
.LBB416_15:
	s_andn2_b64 vcc, exec, s[8:9]
	s_cbranch_vccz .LBB416_22
.LBB416_16:
	s_cmp_lt_i32 s16, 1
	s_cbranch_scc0 .LBB416_25
.LBB416_17:
	s_endpgm
.LBB416_18:
	v_cvt_f32_u32_e32 v17, s7
	v_add_f32_e32 v15, v15, v16
	v_mov_b32_e32 v19, s13
	v_mov_b32_e32 v20, s12
	v_div_scale_f32 v16, s[28:29], v17, v17, v15
	v_rcp_f32_e32 v18, v16
	v_cndmask_b32_e64 v19, v19, v20, s[8:9]
	s_mov_b32 s7, 0x800000
	v_fma_f32 v20, -v16, v18, 1.0
	v_fmac_f32_e32 v18, v20, v18
	v_div_scale_f32 v20, vcc, v15, v17, v15
	v_mul_f32_e32 v21, v20, v18
	v_fma_f32 v22, -v16, v21, v20
	v_fmac_f32_e32 v21, v22, v18
	v_fma_f32 v16, -v16, v21, v20
	v_div_fmas_f32 v16, v16, v18, v21
	v_div_fixup_f32 v15, v16, v17, v15
	v_add_f32_e32 v15, v19, v15
	v_mul_f32_e32 v16, 0x4b800000, v15
	v_cmp_gt_f32_e32 vcc, s7, v15
	v_cndmask_b32_e32 v15, v15, v16, vcc
	v_rsq_f32_e32 v15, v15
	s_waitcnt vmcnt(0)
	v_cvt_f32_u32_sdwa v19, v11 dst_sel:DWORD dst_unused:UNUSED_PAD src0_sel:WORD_1
	v_cvt_f32_u32_sdwa v18, v11 dst_sel:DWORD dst_unused:UNUSED_PAD src0_sel:WORD_0
	v_cvt_f32_u32_sdwa v11, v12 dst_sel:DWORD dst_unused:UNUSED_PAD src0_sel:WORD_1
	v_mul_f32_e32 v16, 0x45800000, v15
	v_cndmask_b32_e32 v16, v15, v16, vcc
	v_mov_b32_e32 v17, v16
	;;#ASMSTART
	v_pk_mul_f32 v[2:3], v[2:3], v[16:17]
	;;#ASMEND
	;;#ASMSTART
	v_pk_mul_f32 v[4:5], v[4:5], v[16:17]
	;;#ASMEND
	;; [unrolled: 3-line block ×4, first 2 shown]
	v_cvt_f32_u32_sdwa v17, v10 dst_sel:DWORD dst_unused:UNUSED_PAD src0_sel:WORD_1
	v_cvt_f32_u32_sdwa v16, v10 dst_sel:DWORD dst_unused:UNUSED_PAD src0_sel:WORD_0
	v_cvt_f32_u32_sdwa v10, v12 dst_sel:DWORD dst_unused:UNUSED_PAD src0_sel:WORD_0
	v_cvt_f32_u32_sdwa v21, v13 dst_sel:DWORD dst_unused:UNUSED_PAD src0_sel:WORD_1
	v_cvt_f32_u32_sdwa v20, v13 dst_sel:DWORD dst_unused:UNUSED_PAD src0_sel:WORD_0
	;;#ASMSTART
	v_pk_mul_f32 v[2:3], v[2:3], v[16:17]
	;;#ASMEND
	;;#ASMSTART
	v_pk_mul_f32 v[4:5], v[4:5], v[18:19]
	;;#ASMEND
	;; [unrolled: 3-line block ×4, first 2 shown]
	s_or_b64 exec, exec, s[26:27]
	s_mov_b64 s[8:9], -1
	s_and_b64 vcc, exec, s[22:23]
	s_cbranch_vccz .LBB416_15
.LBB416_19:
	s_and_saveexec_b64 s[8:9], s[0:1]
	s_cbranch_execz .LBB416_21
; %bb.20:
	s_mul_hi_i32 s23, s25, s6
	s_mul_i32 s22, s25, s6
	s_lshl_b64 s[22:23], s[22:23], 1
	s_add_u32 s28, s14, s22
	s_addc_u32 s7, s15, s23
	s_and_b32 s29, s7, 0xffff
	s_mov_b32 s7, 0x7060302
	s_mov_b32 s31, 0x20000
	s_waitcnt vmcnt(0)
	v_perm_b32 v10, v3, v2, s7
	v_perm_b32 v11, v5, v4, s7
	;; [unrolled: 1-line block ×4, first 2 shown]
	v_lshlrev_b32_e32 v15, 4, v0
	buffer_store_dwordx4 v[10:13], v15, s[28:31], 0 offen
	;;#ASMSTART
	s_nop 0
	;;#ASMEND
.LBB416_21:
	s_or_b64 exec, exec, s[8:9]
	s_cbranch_execnz .LBB416_16
.LBB416_22:
	s_and_saveexec_b64 s[8:9], s[0:1]
	s_cbranch_execz .LBB416_24
; %bb.23:
	s_load_dwordx2 s[0:1], s[4:5], 0x10
	s_mul_hi_i32 s23, s24, s6
	s_mul_i32 s22, s24, s6
	s_lshl_b64 s[22:23], s[22:23], 1
	s_mov_b32 s31, 0x20000
	s_waitcnt lgkmcnt(0)
	s_add_u32 s28, s0, s22
	s_addc_u32 s0, s1, s23
	s_and_b32 s29, s0, 0xffff
	s_mov_b32 s0, 0x7060302
	v_perm_b32 v2, v3, v2, s0
	v_perm_b32 v3, v5, v4, s0
	;; [unrolled: 1-line block ×4, first 2 shown]
	v_lshlrev_b32_e32 v6, 4, v0
	buffer_store_dwordx4 v[2:5], v6, s[28:31], 0 offen
	;;#ASMSTART
	s_nop 0
	;;#ASMEND
.LBB416_24:
	s_or_b64 exec, exec, s[8:9]
	s_cmp_lt_i32 s16, 1
	s_cbranch_scc1 .LBB416_17
.LBB416_25:
	s_load_dword s0, s[4:5], 0x94
	s_waitcnt lgkmcnt(0)
	s_cmp_lg_u32 s0, 1
	s_cbranch_scc1 .LBB416_17
; %bb.26:
	s_lshl_b32 s0, s16, 1
	s_add_i32 s0, s0, 2
	v_cmp_gt_u32_e32 vcc, s16, v1
	s_and_b32 s22, s0, -4
	v_mov_b32_e32 v6, 0
	v_lshlrev_b32_e32 v1, 4, v0
	v_mov_b32_e32 v7, 0
	v_mov_b32_e32 v8, 0
	;; [unrolled: 1-line block ×7, first 2 shown]
	s_barrier
	s_and_saveexec_b64 s[0:1], vcc
	s_cbranch_execz .LBB416_28
; %bb.27:
	s_mul_hi_i32 s5, s18, s6
	s_mul_i32 s4, s18, s6
	s_and_b32 s21, s21, 0xffff
	s_lshl_b64 s[4:5], s[4:5], 1
	s_add_u32 s8, s10, s4
	s_mov_b32 s23, 0x20000
	s_addc_u32 s4, s11, s5
	s_and_b32 s9, s4, 0xffff
	s_mov_b32 s10, s22
	s_mov_b32 s11, s23
	buffer_load_dwordx4 v[6:9], v1, s[8:11], 0 offen glc slc
	buffer_load_dwordx4 v[2:5], v1, s[20:23], 0 offen
.LBB416_28:
	s_or_b64 exec, exec, s[0:1]
	s_waitcnt vmcnt(0)
	v_cvt_f32_u32_sdwa v13, v6 dst_sel:DWORD dst_unused:UNUSED_PAD src0_sel:WORD_1
	v_cvt_f32_u32_sdwa v12, v6 dst_sel:DWORD dst_unused:UNUSED_PAD src0_sel:WORD_0
	v_cvt_f32_u32_sdwa v6, v9 dst_sel:DWORD dst_unused:UNUSED_PAD src0_sel:WORD_1
	v_cvt_f32_u32_sdwa v9, v9 dst_sel:DWORD dst_unused:UNUSED_PAD src0_sel:WORD_0
	;; [unrolled: 2-line block ×4, first 2 shown]
	v_cndmask_b32_e32 v13, 0, v13, vcc
	v_cndmask_b32_e32 v7, 0, v6, vcc
	;; [unrolled: 1-line block ×5, first 2 shown]
	v_mul_f32_e32 v15, v13, v13
	v_cndmask_b32_e32 v10, 0, v10, vcc
	v_fmac_f32_e32 v15, v12, v12
	v_cndmask_b32_e32 v11, 0, v11, vcc
	v_fmac_f32_e32 v15, v10, v10
	;; [unrolled: 2-line block ×3, first 2 shown]
	v_fmac_f32_e32 v15, v8, v8
	v_fmac_f32_e32 v15, v9, v9
	;; [unrolled: 1-line block ×4, first 2 shown]
	s_nop 1
	v_mov_b32_dpp v16, v15 quad_perm:[1,0,3,2] row_mask:0xf bank_mask:0xf
	v_add_f32_e32 v15, v15, v16
	s_nop 1
	v_mov_b32_dpp v16, v15 quad_perm:[2,3,0,1] row_mask:0xf bank_mask:0xf
	v_add_f32_e32 v15, v15, v16
	s_nop 1
	v_mov_b32_dpp v16, v15 row_half_mirror row_mask:0xf bank_mask:0xf
	v_add_f32_e32 v15, v15, v16
	s_nop 1
	v_mov_b32_dpp v16, v15 row_mirror row_mask:0xf bank_mask:0xf
	v_add_f32_e32 v15, v15, v16
	s_nop 1
	v_mov_b32_dpp v16, v15 row_bcast:15 row_mask:0xf bank_mask:0xf
	v_add_f32_e32 v15, v15, v16
	s_nop 1
	v_mov_b32_dpp v16, v15 row_bcast:31 row_mask:0xf bank_mask:0xf
	s_and_saveexec_b64 s[0:1], s[2:3]
	s_cbranch_execz .LBB416_30
; %bb.29:
	v_lshrrev_b32_e32 v0, 4, v0
	v_add_f32_e32 v15, v15, v16
	v_and_b32_e32 v0, 60, v0
	ds_write_b32 v0, v15
.LBB416_30:
	s_or_b64 exec, exec, s[0:1]
	s_waitcnt lgkmcnt(0)
	s_barrier
	ds_read_b32 v0, v14
	s_waitcnt lgkmcnt(0)
	s_nop 0
	v_mov_b32_dpp v14, v0 quad_perm:[1,0,3,2] row_mask:0xf bank_mask:0xf
	s_and_saveexec_b64 s[0:1], vcc
	s_cbranch_execz .LBB416_17
; %bb.31:
	v_cvt_f32_u32_e32 v15, s16
	v_add_f32_e32 v0, v0, v14
	s_mov_b32 s23, 0x20000
	v_div_scale_f32 v14, s[0:1], v15, v15, v0
	v_rcp_f32_e32 v16, v14
	v_div_scale_f32 v17, vcc, v0, v15, v0
	s_mov_b32 s0, 0x800000
	v_fma_f32 v18, -v14, v16, 1.0
	v_fmac_f32_e32 v16, v18, v16
	v_mul_f32_e32 v18, v17, v16
	v_fma_f32 v19, -v14, v18, v17
	v_fmac_f32_e32 v18, v19, v16
	v_fma_f32 v14, -v14, v18, v17
	v_div_fmas_f32 v14, v14, v16, v18
	v_div_fixup_f32 v0, v14, v15, v0
	v_add_f32_e32 v0, s13, v0
	v_mul_f32_e32 v14, 0x4b800000, v0
	v_cmp_gt_f32_e32 vcc, s0, v0
	v_cndmask_b32_e32 v0, v0, v14, vcc
	v_rsq_f32_e32 v0, v0
	s_mul_hi_i32 s1, s25, s6
	s_mul_i32 s0, s25, s6
	s_lshl_b64 s[0:1], s[0:1], 1
	v_mul_f32_e32 v14, 0x45800000, v0
	v_cndmask_b32_e32 v14, v0, v14, vcc
	s_add_u32 s20, s14, s0
	v_mov_b32_e32 v15, v14
	s_addc_u32 s0, s15, s1
	;;#ASMSTART
	v_pk_mul_f32 v[12:13], v[12:13], v[14:15]
	;;#ASMEND
	;;#ASMSTART
	v_pk_mul_f32 v[10:11], v[10:11], v[14:15]
	;;#ASMEND
	;; [unrolled: 3-line block ×4, first 2 shown]
	v_cvt_f32_u32_sdwa v15, v2 dst_sel:DWORD dst_unused:UNUSED_PAD src0_sel:WORD_1
	v_cvt_f32_u32_sdwa v14, v2 dst_sel:DWORD dst_unused:UNUSED_PAD src0_sel:WORD_0
	v_cvt_f32_u32_sdwa v17, v3 dst_sel:DWORD dst_unused:UNUSED_PAD src0_sel:WORD_1
	v_cvt_f32_u32_sdwa v16, v3 dst_sel:DWORD dst_unused:UNUSED_PAD src0_sel:WORD_0
	;; [unrolled: 2-line block ×4, first 2 shown]
	;;#ASMSTART
	v_pk_mul_f32 v[4:5], v[12:13], v[14:15]
	;;#ASMEND
	s_and_b32 s21, s0, 0xffff
	s_mov_b32 s0, 0x7060302
	;;#ASMSTART
	v_pk_mul_f32 v[10:11], v[10:11], v[16:17]
	;;#ASMEND
	;;#ASMSTART
	v_pk_mul_f32 v[8:9], v[8:9], v[2:3]
	;;#ASMEND
	;; [unrolled: 3-line block ×3, first 2 shown]
	v_perm_b32 v2, v5, v4, s0
	v_perm_b32 v3, v11, v10, s0
	;; [unrolled: 1-line block ×4, first 2 shown]
	buffer_store_dwordx4 v[2:5], v1, s[20:23], 0 offen
	;;#ASMSTART
	s_nop 0
	;;#ASMEND
	s_endpgm
	.section	.rodata,"a",@progbits
	.p2align	6, 0x0
	.amdhsa_kernel _ZN5aiter35fused_qk_rmsnorm_group_quant_kernelItN4opus5fp4_tELi128ELi8ELi4ELb1ELb1ELb0ELb1ELb0ELb0EEEvPT0_PvPT_S7_S7_PKS6_S9_S9_S9_S9_ffiiiiiiiiiiiii
		.amdhsa_group_segment_fixed_size 16
		.amdhsa_private_segment_fixed_size 0
		.amdhsa_kernarg_size 400
		.amdhsa_user_sgpr_count 6
		.amdhsa_user_sgpr_private_segment_buffer 1
		.amdhsa_user_sgpr_dispatch_ptr 0
		.amdhsa_user_sgpr_queue_ptr 0
		.amdhsa_user_sgpr_kernarg_segment_ptr 1
		.amdhsa_user_sgpr_dispatch_id 0
		.amdhsa_user_sgpr_flat_scratch_init 0
		.amdhsa_user_sgpr_kernarg_preload_length 0
		.amdhsa_user_sgpr_kernarg_preload_offset 0
		.amdhsa_user_sgpr_private_segment_size 0
		.amdhsa_uses_dynamic_stack 0
		.amdhsa_system_sgpr_private_segment_wavefront_offset 0
		.amdhsa_system_sgpr_workgroup_id_x 1
		.amdhsa_system_sgpr_workgroup_id_y 1
		.amdhsa_system_sgpr_workgroup_id_z 0
		.amdhsa_system_sgpr_workgroup_info 0
		.amdhsa_system_vgpr_workitem_id 0
		.amdhsa_next_free_vgpr 27
		.amdhsa_next_free_sgpr 44
		.amdhsa_accum_offset 28
		.amdhsa_reserve_vcc 1
		.amdhsa_reserve_flat_scratch 0
		.amdhsa_float_round_mode_32 0
		.amdhsa_float_round_mode_16_64 0
		.amdhsa_float_denorm_mode_32 3
		.amdhsa_float_denorm_mode_16_64 3
		.amdhsa_dx10_clamp 1
		.amdhsa_ieee_mode 1
		.amdhsa_fp16_overflow 0
		.amdhsa_tg_split 0
		.amdhsa_exception_fp_ieee_invalid_op 0
		.amdhsa_exception_fp_denorm_src 0
		.amdhsa_exception_fp_ieee_div_zero 0
		.amdhsa_exception_fp_ieee_overflow 0
		.amdhsa_exception_fp_ieee_underflow 0
		.amdhsa_exception_fp_ieee_inexact 0
		.amdhsa_exception_int_div_zero 0
	.end_amdhsa_kernel
	.section	.text._ZN5aiter35fused_qk_rmsnorm_group_quant_kernelItN4opus5fp4_tELi128ELi8ELi4ELb1ELb1ELb0ELb1ELb0ELb0EEEvPT0_PvPT_S7_S7_PKS6_S9_S9_S9_S9_ffiiiiiiiiiiiii,"axG",@progbits,_ZN5aiter35fused_qk_rmsnorm_group_quant_kernelItN4opus5fp4_tELi128ELi8ELi4ELb1ELb1ELb0ELb1ELb0ELb0EEEvPT0_PvPT_S7_S7_PKS6_S9_S9_S9_S9_ffiiiiiiiiiiiii,comdat
.Lfunc_end416:
	.size	_ZN5aiter35fused_qk_rmsnorm_group_quant_kernelItN4opus5fp4_tELi128ELi8ELi4ELb1ELb1ELb0ELb1ELb0ELb0EEEvPT0_PvPT_S7_S7_PKS6_S9_S9_S9_S9_ffiiiiiiiiiiiii, .Lfunc_end416-_ZN5aiter35fused_qk_rmsnorm_group_quant_kernelItN4opus5fp4_tELi128ELi8ELi4ELb1ELb1ELb0ELb1ELb0ELb0EEEvPT0_PvPT_S7_S7_PKS6_S9_S9_S9_S9_ffiiiiiiiiiiiii
                                        ; -- End function
	.section	.AMDGPU.csdata,"",@progbits
; Kernel info:
; codeLenInByte = 2420
; NumSgprs: 48
; NumVgprs: 27
; NumAgprs: 0
; TotalNumVgprs: 27
; ScratchSize: 0
; MemoryBound: 0
; FloatMode: 240
; IeeeMode: 1
; LDSByteSize: 16 bytes/workgroup (compile time only)
; SGPRBlocks: 5
; VGPRBlocks: 3
; NumSGPRsForWavesPerEU: 48
; NumVGPRsForWavesPerEU: 27
; AccumOffset: 28
; Occupancy: 8
; WaveLimiterHint : 0
; COMPUTE_PGM_RSRC2:SCRATCH_EN: 0
; COMPUTE_PGM_RSRC2:USER_SGPR: 6
; COMPUTE_PGM_RSRC2:TRAP_HANDLER: 0
; COMPUTE_PGM_RSRC2:TGID_X_EN: 1
; COMPUTE_PGM_RSRC2:TGID_Y_EN: 1
; COMPUTE_PGM_RSRC2:TGID_Z_EN: 0
; COMPUTE_PGM_RSRC2:TIDIG_COMP_CNT: 0
; COMPUTE_PGM_RSRC3_GFX90A:ACCUM_OFFSET: 6
; COMPUTE_PGM_RSRC3_GFX90A:TG_SPLIT: 0
	.section	.text._ZN5aiter35fused_qk_rmsnorm_group_quant_kernelIDF16_DB8_Li128ELi8ELi4ELb0ELb1ELb1ELb1ELb0ELb0EEEvPT0_PvPT_S6_S6_PKS5_S8_S8_S8_S8_ffiiiiiiiiiiiii,"axG",@progbits,_ZN5aiter35fused_qk_rmsnorm_group_quant_kernelIDF16_DB8_Li128ELi8ELi4ELb0ELb1ELb1ELb1ELb0ELb0EEEvPT0_PvPT_S6_S6_PKS5_S8_S8_S8_S8_ffiiiiiiiiiiiii,comdat
	.protected	_ZN5aiter35fused_qk_rmsnorm_group_quant_kernelIDF16_DB8_Li128ELi8ELi4ELb0ELb1ELb1ELb1ELb0ELb0EEEvPT0_PvPT_S6_S6_PKS5_S8_S8_S8_S8_ffiiiiiiiiiiiii ; -- Begin function _ZN5aiter35fused_qk_rmsnorm_group_quant_kernelIDF16_DB8_Li128ELi8ELi4ELb0ELb1ELb1ELb1ELb0ELb0EEEvPT0_PvPT_S6_S6_PKS5_S8_S8_S8_S8_ffiiiiiiiiiiiii
	.globl	_ZN5aiter35fused_qk_rmsnorm_group_quant_kernelIDF16_DB8_Li128ELi8ELi4ELb0ELb1ELb1ELb1ELb0ELb0EEEvPT0_PvPT_S6_S6_PKS5_S8_S8_S8_S8_ffiiiiiiiiiiiii
	.p2align	8
	.type	_ZN5aiter35fused_qk_rmsnorm_group_quant_kernelIDF16_DB8_Li128ELi8ELi4ELb0ELb1ELb1ELb1ELb0ELb0EEEvPT0_PvPT_S6_S6_PKS5_S8_S8_S8_S8_ffiiiiiiiiiiiii,@function
_ZN5aiter35fused_qk_rmsnorm_group_quant_kernelIDF16_DB8_Li128ELi8ELi4ELb0ELb1ELb1ELb1ELb0ELb0EEEvPT0_PvPT_S6_S6_PKS5_S8_S8_S8_S8_ffiiiiiiiiiiiii: ; @_ZN5aiter35fused_qk_rmsnorm_group_quant_kernelIDF16_DB8_Li128ELi8ELi4ELb0ELb1ELb1ELb1ELb0ELb0EEEvPT0_PvPT_S6_S6_PKS5_S8_S8_S8_S8_ffiiiiiiiiiiiii
; %bb.0:
	s_load_dwordx4 s[12:15], s[4:5], 0x50
	s_waitcnt lgkmcnt(0)
	s_cmp_ge_i32 s6, s14
	s_cbranch_scc1 .LBB417_12
; %bb.1:
	s_load_dwordx2 s[24:25], s[4:5], 0x30
	s_load_dwordx2 s[8:9], s[4:5], 0x48
	s_load_dwordx4 s[16:19], s[4:5], 0x60
	s_cmp_lg_u32 s7, 0
	s_cselect_b64 s[10:11], -1, 0
	s_cmp_eq_u32 s7, 0
	s_cselect_b64 vcc, -1, 0
	s_and_b64 s[0:1], vcc, exec
	s_waitcnt lgkmcnt(0)
	s_cselect_b32 s7, s15, s16
	s_add_i32 s0, s7, 1
	s_lshr_b32 s1, s0, 31
	s_add_i32 s0, s0, s1
	s_lshl_b32 s0, s0, 1
	v_lshlrev_b32_e32 v1, 3, v0
	s_and_b32 s22, s0, -4
	v_cmp_gt_i32_e64 s[2:3], s7, v1
	v_mov_b32_e32 v10, 0
	v_mov_b32_e32 v2, 0
	;; [unrolled: 1-line block ×9, first 2 shown]
	s_and_saveexec_b64 s[0:1], s[2:3]
	s_cbranch_execz .LBB417_3
; %bb.2:
	s_load_dwordx2 s[14:15], s[4:5], 0x28
	s_load_dwordx2 s[20:21], s[4:5], 0x40
	s_and_b64 s[26:27], vcc, exec
	s_cselect_b32 s17, s17, s18
	v_lshlrev_b32_e32 v11, 4, v0
	s_waitcnt lgkmcnt(0)
	s_cselect_b32 s19, s15, s25
	s_cselect_b32 s23, s14, s24
	s_mul_hi_i32 s15, s17, s6
	s_mul_i32 s14, s17, s6
	s_lshl_b64 s[14:15], s[14:15], 1
	s_add_u32 s28, s23, s14
	s_addc_u32 s17, s19, s15
	s_and_b64 s[14:15], vcc, exec
	s_mov_b32 s23, 0x20000
	s_cselect_b32 s20, s20, s8
	s_cselect_b32 s14, s21, s9
	s_and_b32 s29, s17, 0xffff
	s_mov_b32 s30, s22
	s_mov_b32 s31, s23
	s_and_b32 s21, s14, 0xffff
	buffer_load_dwordx4 v[6:9], v11, s[28:31], 0 offen glc slc
	buffer_load_dwordx4 v[2:5], v11, s[20:23], 0 offen
.LBB417_3:
	s_or_b64 exec, exec, s[0:1]
	v_mov_b32_e32 v11, 0
	v_mov_b32_e32 v14, 0
	;; [unrolled: 1-line block ×7, first 2 shown]
	s_and_saveexec_b64 s[0:1], s[2:3]
	s_cbranch_execz .LBB417_5
; %bb.4:
	s_waitcnt vmcnt(1)
	v_cvt_f32_f16_sdwa v11, v6 dst_sel:DWORD dst_unused:UNUSED_PAD src0_sel:WORD_1
	v_cvt_f32_f16_e32 v10, v6
	v_cvt_f32_f16_sdwa v15, v7 dst_sel:DWORD dst_unused:UNUSED_PAD src0_sel:WORD_1
	v_cvt_f32_f16_e32 v14, v7
	v_cvt_f32_f16_sdwa v17, v8 dst_sel:DWORD dst_unused:UNUSED_PAD src0_sel:WORD_1
	v_cvt_f32_f16_e32 v16, v8
	v_cvt_f32_f16_sdwa v13, v9 dst_sel:DWORD dst_unused:UNUSED_PAD src0_sel:WORD_1
	v_cvt_f32_f16_e32 v12, v9
.LBB417_5:
	s_or_b64 exec, exec, s[0:1]
	s_waitcnt vmcnt(1)
	v_mul_f32_e32 v6, v11, v11
	v_fmac_f32_e32 v6, v10, v10
	v_fmac_f32_e32 v6, v14, v14
	;; [unrolled: 1-line block ×7, first 2 shown]
	v_and_b32_e32 v8, 63, v0
	v_cmp_eq_u32_e64 s[0:1], 63, v8
	v_mov_b32_dpp v7, v6 quad_perm:[1,0,3,2] row_mask:0xf bank_mask:0xf
	v_add_f32_e32 v6, v6, v7
	s_nop 1
	v_mov_b32_dpp v7, v6 quad_perm:[2,3,0,1] row_mask:0xf bank_mask:0xf
	v_add_f32_e32 v6, v6, v7
	s_nop 1
	v_mov_b32_dpp v7, v6 row_half_mirror row_mask:0xf bank_mask:0xf
	v_add_f32_e32 v6, v6, v7
	s_nop 1
	v_mov_b32_dpp v7, v6 row_mirror row_mask:0xf bank_mask:0xf
	v_add_f32_e32 v6, v6, v7
	s_nop 1
	v_mov_b32_dpp v7, v6 row_bcast:15 row_mask:0xf bank_mask:0xf
	v_add_f32_e32 v6, v6, v7
	s_nop 1
	v_mov_b32_dpp v7, v6 row_bcast:31 row_mask:0xf bank_mask:0xf
	s_and_saveexec_b64 s[14:15], s[0:1]
	s_cbranch_execz .LBB417_7
; %bb.6:
	v_add_f32_e32 v6, v6, v7
	v_lshrrev_b32_e32 v7, 4, v0
	v_and_b32_e32 v7, 60, v7
	ds_write_b32 v7, v6 offset:8
.LBB417_7:
	s_or_b64 exec, exec, s[14:15]
	v_and_b32_e32 v6, 1, v0
	v_lshlrev_b32_e32 v18, 2, v6
	s_waitcnt lgkmcnt(0)
	s_barrier
	ds_read_b32 v6, v18 offset:8
	s_load_dwordx2 s[14:15], s[4:5], 0x18
	s_waitcnt lgkmcnt(0)
	v_mov_b32_dpp v7, v6 quad_perm:[1,0,3,2] row_mask:0xf bank_mask:0xf
	s_and_saveexec_b64 s[20:21], s[2:3]
	s_cbranch_execz .LBB417_9
; %bb.8:
	v_cvt_f32_u32_e32 v8, s7
	v_add_f32_e32 v6, v6, v7
	v_mov_b32_e32 v19, s13
	v_mov_b32_e32 v20, s12
	v_div_scale_f32 v7, s[26:27], v8, v8, v6
	v_rcp_f32_e32 v9, v7
	v_cndmask_b32_e32 v19, v19, v20, vcc
	s_mov_b32 s7, 0x800000
	v_fma_f32 v20, -v7, v9, 1.0
	v_fmac_f32_e32 v9, v20, v9
	v_div_scale_f32 v20, vcc, v6, v8, v6
	v_mul_f32_e32 v21, v20, v9
	v_fma_f32 v22, -v7, v21, v20
	v_fmac_f32_e32 v21, v22, v9
	v_fma_f32 v7, -v7, v21, v20
	v_div_fmas_f32 v7, v7, v9, v21
	v_div_fixup_f32 v6, v7, v8, v6
	v_add_f32_e32 v6, v19, v6
	v_mul_f32_e32 v7, 0x4b800000, v6
	v_cmp_gt_f32_e32 vcc, s7, v6
	v_cndmask_b32_e32 v6, v6, v7, vcc
	v_rsq_f32_e32 v6, v6
	s_waitcnt vmcnt(0)
	v_cvt_f32_f16_sdwa v21, v3 dst_sel:DWORD dst_unused:UNUSED_PAD src0_sel:WORD_1
	v_cvt_f32_f16_e32 v20, v3
	v_mul_f32_e32 v7, 0x45800000, v6
	v_cndmask_b32_e32 v6, v6, v7, vcc
	v_mov_b32_e32 v7, v6
	;;#ASMSTART
	v_pk_mul_f32 v[8:9], v[10:11], v[6:7]
	;;#ASMEND
	v_cvt_f32_f16_sdwa v11, v2 dst_sel:DWORD dst_unused:UNUSED_PAD src0_sel:WORD_1
	v_cvt_f32_f16_e32 v10, v2
	;;#ASMSTART
	v_pk_mul_f32 v[14:15], v[14:15], v[6:7]
	;;#ASMEND
	;;#ASMSTART
	v_pk_mul_f32 v[16:17], v[16:17], v[6:7]
	;;#ASMEND
	;; [unrolled: 3-line block ×3, first 2 shown]
	v_pk_add_f32 v[6:7], v[10:11], 1.0 op_sel_hi:[1,0]
	;;#ASMSTART
	v_pk_mul_f32 v[10:11], v[8:9], v[6:7]
	;;#ASMEND
	v_cvt_f32_f16_sdwa v9, v4 dst_sel:DWORD dst_unused:UNUSED_PAD src0_sel:WORD_1
	v_cvt_f32_f16_e32 v8, v4
	v_cvt_f32_f16_sdwa v13, v5 dst_sel:DWORD dst_unused:UNUSED_PAD src0_sel:WORD_1
	v_cvt_f32_f16_e32 v12, v5
	v_pk_add_f32 v[6:7], v[20:21], 1.0 op_sel_hi:[1,0]
	v_pk_add_f32 v[4:5], v[8:9], 1.0 op_sel_hi:[1,0]
	;;#ASMSTART
	v_pk_mul_f32 v[14:15], v[14:15], v[6:7]
	;;#ASMEND
	;;#ASMSTART
	v_pk_mul_f32 v[16:17], v[16:17], v[4:5]
	;;#ASMEND
	v_pk_add_f32 v[4:5], v[12:13], 1.0 op_sel_hi:[1,0]
	;;#ASMSTART
	v_pk_mul_f32 v[12:13], v[2:3], v[4:5]
	;;#ASMEND
.LBB417_9:
	s_or_b64 exec, exec, s[20:21]
	s_load_dwordx2 s[26:27], s[4:5], 0x7c
	s_mov_b64 s[20:21], -1
	s_and_b64 vcc, exec, s[10:11]
	s_cbranch_vccnz .LBB417_13
; %bb.10:
	s_andn2_b64 vcc, exec, s[20:21]
	s_cbranch_vccz .LBB417_16
.LBB417_11:
	s_cmp_lt_i32 s16, 1
	s_cbranch_scc0 .LBB417_19
.LBB417_12:
	s_endpgm
.LBB417_13:
	s_and_saveexec_b64 s[10:11], s[2:3]
	s_cbranch_execz .LBB417_15
; %bb.14:
	s_waitcnt lgkmcnt(0)
	s_mul_hi_i32 s21, s27, s6
	s_mul_i32 s20, s27, s6
	s_waitcnt vmcnt(0)
	v_cvt_f16_f32_e32 v2, v10
	v_cvt_f16_f32_e32 v3, v14
	;; [unrolled: 1-line block ×8, first 2 shown]
	s_lshl_b64 s[20:21], s[20:21], 1
	s_add_u32 s20, s14, s20
	s_addc_u32 s7, s15, s21
	s_and_b32 s21, s7, 0xffff
	s_mov_b32 s23, 0x20000
	v_pack_b32_f16 v5, v5, v6
	v_pack_b32_f16 v4, v4, v7
	;; [unrolled: 1-line block ×4, first 2 shown]
	v_lshlrev_b32_e32 v6, 4, v0
	buffer_store_dwordx4 v[2:5], v6, s[20:23], 0 offen
	;;#ASMSTART
	s_nop 0
	;;#ASMEND
.LBB417_15:
	s_or_b64 exec, exec, s[10:11]
	s_cbranch_execnz .LBB417_11
.LBB417_16:
	s_and_saveexec_b64 s[10:11], s[2:3]
	s_cbranch_execz .LBB417_18
; %bb.17:
	s_load_dwordx2 s[2:3], s[4:5], 0x10
	s_waitcnt lgkmcnt(0)
	s_mul_hi_i32 s21, s26, s6
	s_mul_i32 s20, s26, s6
	s_waitcnt vmcnt(0)
	v_cvt_f16_f32_e32 v2, v10
	v_cvt_f16_f32_e32 v3, v14
	v_cvt_f16_f32_e32 v4, v16
	v_cvt_f16_f32_e32 v5, v12
	v_cvt_f16_f32_e32 v6, v13
	v_cvt_f16_f32_e32 v7, v17
	v_cvt_f16_f32_e32 v8, v15
	v_cvt_f16_f32_e32 v9, v11
	s_lshl_b64 s[20:21], s[20:21], 1
	s_add_u32 s20, s2, s20
	s_addc_u32 s2, s3, s21
	s_mov_b32 s23, 0x20000
	s_and_b32 s21, s2, 0xffff
	v_pack_b32_f16 v5, v5, v6
	v_pack_b32_f16 v4, v4, v7
	;; [unrolled: 1-line block ×4, first 2 shown]
	v_lshlrev_b32_e32 v6, 4, v0
	buffer_store_dwordx4 v[2:5], v6, s[20:23], 0 offen
	;;#ASMSTART
	s_nop 0
	;;#ASMEND
.LBB417_18:
	s_or_b64 exec, exec, s[10:11]
	s_cmp_lt_i32 s16, 1
	s_cbranch_scc1 .LBB417_12
.LBB417_19:
	s_load_dword s2, s[4:5], 0x94
	s_waitcnt lgkmcnt(0)
	s_cmp_lg_u32 s2, 1
	s_cbranch_scc1 .LBB417_12
; %bb.20:
	s_lshl_b32 s2, s16, 1
	s_add_i32 s2, s2, 2
	v_cmp_gt_u32_e32 vcc, s16, v1
	s_and_b32 s10, s2, -4
	v_mov_b32_e32 v10, 0
	v_lshlrev_b32_e32 v1, 4, v0
	v_mov_b32_e32 v6, 0
	v_mov_b32_e32 v7, 0
	;; [unrolled: 1-line block ×4, first 2 shown]
	s_waitcnt vmcnt(0)
	v_mov_b32_e32 v2, 0
	v_mov_b32_e32 v3, 0
	;; [unrolled: 1-line block ×4, first 2 shown]
	s_barrier
	s_and_saveexec_b64 s[2:3], vcc
	s_cbranch_execz .LBB417_22
; %bb.21:
	s_mul_hi_i32 s5, s18, s6
	s_mul_i32 s4, s18, s6
	s_and_b32 s9, s9, 0xffff
	s_lshl_b64 s[4:5], s[4:5], 1
	s_add_u32 s20, s24, s4
	s_mov_b32 s11, 0x20000
	s_addc_u32 s4, s25, s5
	s_and_b32 s21, s4, 0xffff
	s_mov_b32 s22, s10
	s_mov_b32 s23, s11
	buffer_load_dwordx4 v[6:9], v1, s[20:23], 0 offen glc slc
	buffer_load_dwordx4 v[2:5], v1, s[8:11], 0 offen
.LBB417_22:
	s_or_b64 exec, exec, s[2:3]
	v_mov_b32_e32 v11, 0
	v_mov_b32_e32 v16, 0
	;; [unrolled: 1-line block ×7, first 2 shown]
	s_and_saveexec_b64 s[2:3], vcc
	s_cbranch_execz .LBB417_24
; %bb.23:
	s_waitcnt vmcnt(1)
	v_cvt_f32_f16_sdwa v11, v6 dst_sel:DWORD dst_unused:UNUSED_PAD src0_sel:WORD_1
	v_cvt_f32_f16_e32 v10, v6
	v_cvt_f32_f16_sdwa v17, v7 dst_sel:DWORD dst_unused:UNUSED_PAD src0_sel:WORD_1
	v_cvt_f32_f16_e32 v16, v7
	;; [unrolled: 2-line block ×4, first 2 shown]
.LBB417_24:
	s_or_b64 exec, exec, s[2:3]
	s_waitcnt vmcnt(1)
	v_mul_f32_e32 v6, v11, v11
	v_fmac_f32_e32 v6, v10, v10
	v_fmac_f32_e32 v6, v16, v16
	;; [unrolled: 1-line block ×7, first 2 shown]
	s_nop 1
	v_mov_b32_dpp v7, v6 quad_perm:[1,0,3,2] row_mask:0xf bank_mask:0xf
	v_add_f32_e32 v6, v6, v7
	s_nop 1
	v_mov_b32_dpp v7, v6 quad_perm:[2,3,0,1] row_mask:0xf bank_mask:0xf
	v_add_f32_e32 v6, v6, v7
	s_nop 1
	v_mov_b32_dpp v7, v6 row_half_mirror row_mask:0xf bank_mask:0xf
	v_add_f32_e32 v6, v6, v7
	s_nop 1
	v_mov_b32_dpp v7, v6 row_mirror row_mask:0xf bank_mask:0xf
	v_add_f32_e32 v6, v6, v7
	s_nop 1
	v_mov_b32_dpp v7, v6 row_bcast:15 row_mask:0xf bank_mask:0xf
	v_add_f32_e32 v6, v6, v7
	s_nop 1
	v_mov_b32_dpp v7, v6 row_bcast:31 row_mask:0xf bank_mask:0xf
	s_and_saveexec_b64 s[2:3], s[0:1]
	s_cbranch_execz .LBB417_26
; %bb.25:
	v_lshrrev_b32_e32 v0, 4, v0
	v_add_f32_e32 v6, v6, v7
	v_and_b32_e32 v0, 60, v0
	ds_write_b32 v0, v6
.LBB417_26:
	s_or_b64 exec, exec, s[2:3]
	s_waitcnt lgkmcnt(0)
	s_barrier
	ds_read_b32 v0, v18
	s_waitcnt lgkmcnt(0)
	s_nop 0
	v_mov_b32_dpp v6, v0 quad_perm:[1,0,3,2] row_mask:0xf bank_mask:0xf
	s_and_saveexec_b64 s[0:1], vcc
	s_cbranch_execz .LBB417_12
; %bb.27:
	v_cvt_f32_u32_e32 v7, s16
	v_add_f32_e32 v0, v0, v6
	s_mov_b32 s11, 0x20000
	v_div_scale_f32 v6, s[0:1], v7, v7, v0
	v_rcp_f32_e32 v8, v6
	v_div_scale_f32 v9, vcc, v0, v7, v0
	s_mov_b32 s0, 0x800000
	v_fma_f32 v18, -v6, v8, 1.0
	v_fmac_f32_e32 v8, v18, v8
	v_mul_f32_e32 v18, v9, v8
	v_fma_f32 v19, -v6, v18, v9
	v_fmac_f32_e32 v18, v19, v8
	v_fma_f32 v6, -v6, v18, v9
	v_div_fmas_f32 v6, v6, v8, v18
	v_div_fixup_f32 v0, v6, v7, v0
	v_add_f32_e32 v0, s13, v0
	v_mul_f32_e32 v6, 0x4b800000, v0
	v_cmp_gt_f32_e32 vcc, s0, v0
	v_cndmask_b32_e32 v0, v0, v6, vcc
	v_rsq_f32_e32 v0, v0
	s_waitcnt vmcnt(0)
	v_cvt_f32_f16_sdwa v19, v3 dst_sel:DWORD dst_unused:UNUSED_PAD src0_sel:WORD_1
	v_cvt_f32_f16_e32 v18, v3
	s_mul_hi_i32 s1, s27, s6
	v_mul_f32_e32 v6, 0x45800000, v0
	v_cndmask_b32_e32 v6, v0, v6, vcc
	v_mov_b32_e32 v7, v6
	;;#ASMSTART
	v_pk_mul_f32 v[8:9], v[10:11], v[6:7]
	;;#ASMEND
	;;#ASMSTART
	v_pk_mul_f32 v[10:11], v[16:17], v[6:7]
	;;#ASMEND
	v_cvt_f32_f16_sdwa v17, v2 dst_sel:DWORD dst_unused:UNUSED_PAD src0_sel:WORD_1
	v_cvt_f32_f16_e32 v16, v2
	;;#ASMSTART
	v_pk_mul_f32 v[14:15], v[14:15], v[6:7]
	;;#ASMEND
	;;#ASMSTART
	v_pk_mul_f32 v[2:3], v[12:13], v[6:7]
	;;#ASMEND
	v_cvt_f32_f16_sdwa v13, v4 dst_sel:DWORD dst_unused:UNUSED_PAD src0_sel:WORD_1
	v_cvt_f32_f16_e32 v12, v4
	v_pk_add_f32 v[6:7], v[16:17], 1.0 op_sel_hi:[1,0]
	v_cvt_f32_f16_sdwa v17, v5 dst_sel:DWORD dst_unused:UNUSED_PAD src0_sel:WORD_1
	v_cvt_f32_f16_e32 v16, v5
	;;#ASMSTART
	v_pk_mul_f32 v[6:7], v[8:9], v[6:7]
	;;#ASMEND
	v_pk_add_f32 v[8:9], v[18:19], 1.0 op_sel_hi:[1,0]
	;;#ASMSTART
	v_pk_mul_f32 v[4:5], v[10:11], v[8:9]
	;;#ASMEND
	v_pk_add_f32 v[8:9], v[12:13], 1.0 op_sel_hi:[1,0]
	;; [unrolled: 4-line block ×3, first 2 shown]
	;;#ASMSTART
	v_pk_mul_f32 v[2:3], v[2:3], v[10:11]
	;;#ASMEND
	s_mul_i32 s0, s27, s6
	v_cvt_f16_f32_e32 v0, v6
	v_cvt_f16_f32_e32 v6, v7
	;; [unrolled: 1-line block ×8, first 2 shown]
	s_lshl_b64 s[0:1], s[0:1], 1
	s_add_u32 s8, s14, s0
	s_addc_u32 s0, s15, s1
	s_and_b32 s9, s0, 0xffff
	v_pack_b32_f16 v2, v0, v6
	v_pack_b32_f16 v3, v4, v5
	v_pack_b32_f16 v4, v7, v8
	v_pack_b32_f16 v5, v9, v10
	buffer_store_dwordx4 v[2:5], v1, s[8:11], 0 offen
	;;#ASMSTART
	s_nop 0
	;;#ASMEND
	s_endpgm
	.section	.rodata,"a",@progbits
	.p2align	6, 0x0
	.amdhsa_kernel _ZN5aiter35fused_qk_rmsnorm_group_quant_kernelIDF16_DB8_Li128ELi8ELi4ELb0ELb1ELb1ELb1ELb0ELb0EEEvPT0_PvPT_S6_S6_PKS5_S8_S8_S8_S8_ffiiiiiiiiiiiii
		.amdhsa_group_segment_fixed_size 16
		.amdhsa_private_segment_fixed_size 0
		.amdhsa_kernarg_size 400
		.amdhsa_user_sgpr_count 6
		.amdhsa_user_sgpr_private_segment_buffer 1
		.amdhsa_user_sgpr_dispatch_ptr 0
		.amdhsa_user_sgpr_queue_ptr 0
		.amdhsa_user_sgpr_kernarg_segment_ptr 1
		.amdhsa_user_sgpr_dispatch_id 0
		.amdhsa_user_sgpr_flat_scratch_init 0
		.amdhsa_user_sgpr_kernarg_preload_length 0
		.amdhsa_user_sgpr_kernarg_preload_offset 0
		.amdhsa_user_sgpr_private_segment_size 0
		.amdhsa_uses_dynamic_stack 0
		.amdhsa_system_sgpr_private_segment_wavefront_offset 0
		.amdhsa_system_sgpr_workgroup_id_x 1
		.amdhsa_system_sgpr_workgroup_id_y 1
		.amdhsa_system_sgpr_workgroup_id_z 0
		.amdhsa_system_sgpr_workgroup_info 0
		.amdhsa_system_vgpr_workitem_id 0
		.amdhsa_next_free_vgpr 23
		.amdhsa_next_free_sgpr 32
		.amdhsa_accum_offset 24
		.amdhsa_reserve_vcc 1
		.amdhsa_reserve_flat_scratch 0
		.amdhsa_float_round_mode_32 0
		.amdhsa_float_round_mode_16_64 0
		.amdhsa_float_denorm_mode_32 3
		.amdhsa_float_denorm_mode_16_64 3
		.amdhsa_dx10_clamp 1
		.amdhsa_ieee_mode 1
		.amdhsa_fp16_overflow 0
		.amdhsa_tg_split 0
		.amdhsa_exception_fp_ieee_invalid_op 0
		.amdhsa_exception_fp_denorm_src 0
		.amdhsa_exception_fp_ieee_div_zero 0
		.amdhsa_exception_fp_ieee_overflow 0
		.amdhsa_exception_fp_ieee_underflow 0
		.amdhsa_exception_fp_ieee_inexact 0
		.amdhsa_exception_int_div_zero 0
	.end_amdhsa_kernel
	.section	.text._ZN5aiter35fused_qk_rmsnorm_group_quant_kernelIDF16_DB8_Li128ELi8ELi4ELb0ELb1ELb1ELb1ELb0ELb0EEEvPT0_PvPT_S6_S6_PKS5_S8_S8_S8_S8_ffiiiiiiiiiiiii,"axG",@progbits,_ZN5aiter35fused_qk_rmsnorm_group_quant_kernelIDF16_DB8_Li128ELi8ELi4ELb0ELb1ELb1ELb1ELb0ELb0EEEvPT0_PvPT_S6_S6_PKS5_S8_S8_S8_S8_ffiiiiiiiiiiiii,comdat
.Lfunc_end417:
	.size	_ZN5aiter35fused_qk_rmsnorm_group_quant_kernelIDF16_DB8_Li128ELi8ELi4ELb0ELb1ELb1ELb1ELb0ELb0EEEvPT0_PvPT_S6_S6_PKS5_S8_S8_S8_S8_ffiiiiiiiiiiiii, .Lfunc_end417-_ZN5aiter35fused_qk_rmsnorm_group_quant_kernelIDF16_DB8_Li128ELi8ELi4ELb0ELb1ELb1ELb1ELb0ELb0EEEvPT0_PvPT_S6_S6_PKS5_S8_S8_S8_S8_ffiiiiiiiiiiiii
                                        ; -- End function
	.section	.AMDGPU.csdata,"",@progbits
; Kernel info:
; codeLenInByte = 2068
; NumSgprs: 36
; NumVgprs: 23
; NumAgprs: 0
; TotalNumVgprs: 23
; ScratchSize: 0
; MemoryBound: 0
; FloatMode: 240
; IeeeMode: 1
; LDSByteSize: 16 bytes/workgroup (compile time only)
; SGPRBlocks: 4
; VGPRBlocks: 2
; NumSGPRsForWavesPerEU: 36
; NumVGPRsForWavesPerEU: 23
; AccumOffset: 24
; Occupancy: 8
; WaveLimiterHint : 0
; COMPUTE_PGM_RSRC2:SCRATCH_EN: 0
; COMPUTE_PGM_RSRC2:USER_SGPR: 6
; COMPUTE_PGM_RSRC2:TRAP_HANDLER: 0
; COMPUTE_PGM_RSRC2:TGID_X_EN: 1
; COMPUTE_PGM_RSRC2:TGID_Y_EN: 1
; COMPUTE_PGM_RSRC2:TGID_Z_EN: 0
; COMPUTE_PGM_RSRC2:TIDIG_COMP_CNT: 0
; COMPUTE_PGM_RSRC3_GFX90A:ACCUM_OFFSET: 5
; COMPUTE_PGM_RSRC3_GFX90A:TG_SPLIT: 0
	.section	.text._ZN5aiter35fused_qk_rmsnorm_group_quant_kernelItDB8_Li128ELi8ELi4ELb0ELb1ELb1ELb1ELb0ELb0EEEvPT0_PvPT_S6_S6_PKS5_S8_S8_S8_S8_ffiiiiiiiiiiiii,"axG",@progbits,_ZN5aiter35fused_qk_rmsnorm_group_quant_kernelItDB8_Li128ELi8ELi4ELb0ELb1ELb1ELb1ELb0ELb0EEEvPT0_PvPT_S6_S6_PKS5_S8_S8_S8_S8_ffiiiiiiiiiiiii,comdat
	.protected	_ZN5aiter35fused_qk_rmsnorm_group_quant_kernelItDB8_Li128ELi8ELi4ELb0ELb1ELb1ELb1ELb0ELb0EEEvPT0_PvPT_S6_S6_PKS5_S8_S8_S8_S8_ffiiiiiiiiiiiii ; -- Begin function _ZN5aiter35fused_qk_rmsnorm_group_quant_kernelItDB8_Li128ELi8ELi4ELb0ELb1ELb1ELb1ELb0ELb0EEEvPT0_PvPT_S6_S6_PKS5_S8_S8_S8_S8_ffiiiiiiiiiiiii
	.globl	_ZN5aiter35fused_qk_rmsnorm_group_quant_kernelItDB8_Li128ELi8ELi4ELb0ELb1ELb1ELb1ELb0ELb0EEEvPT0_PvPT_S6_S6_PKS5_S8_S8_S8_S8_ffiiiiiiiiiiiii
	.p2align	8
	.type	_ZN5aiter35fused_qk_rmsnorm_group_quant_kernelItDB8_Li128ELi8ELi4ELb0ELb1ELb1ELb1ELb0ELb0EEEvPT0_PvPT_S6_S6_PKS5_S8_S8_S8_S8_ffiiiiiiiiiiiii,@function
_ZN5aiter35fused_qk_rmsnorm_group_quant_kernelItDB8_Li128ELi8ELi4ELb0ELb1ELb1ELb1ELb0ELb0EEEvPT0_PvPT_S6_S6_PKS5_S8_S8_S8_S8_ffiiiiiiiiiiiii: ; @_ZN5aiter35fused_qk_rmsnorm_group_quant_kernelItDB8_Li128ELi8ELi4ELb0ELb1ELb1ELb1ELb0ELb0EEEvPT0_PvPT_S6_S6_PKS5_S8_S8_S8_S8_ffiiiiiiiiiiiii
; %bb.0:
	s_load_dwordx4 s[12:15], s[4:5], 0x50
	s_waitcnt lgkmcnt(0)
	s_cmp_ge_i32 s6, s14
	s_cbranch_scc1 .LBB418_10
; %bb.1:
	s_load_dwordx2 s[24:25], s[4:5], 0x30
	s_load_dwordx2 s[8:9], s[4:5], 0x48
	s_load_dwordx4 s[16:19], s[4:5], 0x60
	s_cmp_lg_u32 s7, 0
	s_cselect_b64 s[10:11], -1, 0
	s_cmp_eq_u32 s7, 0
	s_cselect_b64 vcc, -1, 0
	s_and_b64 s[0:1], vcc, exec
	s_waitcnt lgkmcnt(0)
	s_cselect_b32 s7, s15, s16
	s_add_i32 s0, s7, 1
	s_lshr_b32 s1, s0, 31
	s_add_i32 s0, s0, s1
	s_lshl_b32 s0, s0, 1
	v_lshlrev_b32_e32 v1, 3, v0
	s_and_b32 s22, s0, -4
	v_cmp_gt_i32_e64 s[2:3], s7, v1
	v_mov_b32_e32 v2, 0
	v_mov_b32_e32 v3, 0
	;; [unrolled: 1-line block ×8, first 2 shown]
	s_and_saveexec_b64 s[0:1], s[2:3]
	s_cbranch_execz .LBB418_3
; %bb.2:
	s_load_dwordx2 s[14:15], s[4:5], 0x28
	s_load_dwordx2 s[20:21], s[4:5], 0x40
	s_and_b64 s[26:27], vcc, exec
	s_cselect_b32 s17, s17, s18
	v_lshlrev_b32_e32 v10, 4, v0
	s_waitcnt lgkmcnt(0)
	s_cselect_b32 s19, s15, s25
	s_cselect_b32 s23, s14, s24
	s_mul_hi_i32 s15, s17, s6
	s_mul_i32 s14, s17, s6
	s_lshl_b64 s[14:15], s[14:15], 1
	s_add_u32 s28, s23, s14
	s_addc_u32 s17, s19, s15
	s_and_b64 s[14:15], vcc, exec
	s_mov_b32 s23, 0x20000
	s_cselect_b32 s20, s20, s8
	s_cselect_b32 s14, s21, s9
	s_and_b32 s29, s17, 0xffff
	s_mov_b32 s30, s22
	s_mov_b32 s31, s23
	s_and_b32 s21, s14, 0xffff
	buffer_load_dwordx4 v[6:9], v10, s[28:31], 0 offen glc slc
	buffer_load_dwordx4 v[2:5], v10, s[20:23], 0 offen
.LBB418_3:
	s_or_b64 exec, exec, s[0:1]
	s_waitcnt vmcnt(1)
	v_cvt_f32_u32_sdwa v14, v6 dst_sel:DWORD dst_unused:UNUSED_PAD src0_sel:WORD_0
	v_cvt_f32_u32_sdwa v15, v6 dst_sel:DWORD dst_unused:UNUSED_PAD src0_sel:WORD_1
	v_cvt_f32_u32_sdwa v6, v9 dst_sel:DWORD dst_unused:UNUSED_PAD src0_sel:WORD_1
	v_cvt_f32_u32_sdwa v9, v9 dst_sel:DWORD dst_unused:UNUSED_PAD src0_sel:WORD_0
	v_cvt_f32_u32_sdwa v10, v8 dst_sel:DWORD dst_unused:UNUSED_PAD src0_sel:WORD_1
	v_cvt_f32_u32_sdwa v8, v8 dst_sel:DWORD dst_unused:UNUSED_PAD src0_sel:WORD_0
	v_cvt_f32_u32_sdwa v12, v7 dst_sel:DWORD dst_unused:UNUSED_PAD src0_sel:WORD_0
	v_cvt_f32_u32_sdwa v13, v7 dst_sel:DWORD dst_unused:UNUSED_PAD src0_sel:WORD_1
	v_cndmask_b32_e64 v7, 0, v6, s[2:3]
	v_cndmask_b32_e64 v6, 0, v9, s[2:3]
	;; [unrolled: 1-line block ×6, first 2 shown]
	v_mul_f32_e32 v14, v9, v9
	v_cndmask_b32_e64 v12, 0, v12, s[2:3]
	v_fmac_f32_e32 v14, v8, v8
	v_cndmask_b32_e64 v13, 0, v13, s[2:3]
	v_fmac_f32_e32 v14, v12, v12
	v_fmac_f32_e32 v14, v13, v13
	;; [unrolled: 1-line block ×6, first 2 shown]
	v_and_b32_e32 v16, 63, v0
	v_cmp_eq_u32_e64 s[0:1], 63, v16
	v_mov_b32_dpp v15, v14 quad_perm:[1,0,3,2] row_mask:0xf bank_mask:0xf
	v_add_f32_e32 v14, v14, v15
	s_nop 1
	v_mov_b32_dpp v15, v14 quad_perm:[2,3,0,1] row_mask:0xf bank_mask:0xf
	v_add_f32_e32 v14, v14, v15
	s_nop 1
	v_mov_b32_dpp v15, v14 row_half_mirror row_mask:0xf bank_mask:0xf
	v_add_f32_e32 v14, v14, v15
	s_nop 1
	v_mov_b32_dpp v15, v14 row_mirror row_mask:0xf bank_mask:0xf
	v_add_f32_e32 v14, v14, v15
	s_nop 1
	v_mov_b32_dpp v15, v14 row_bcast:15 row_mask:0xf bank_mask:0xf
	v_add_f32_e32 v14, v14, v15
	s_nop 1
	v_mov_b32_dpp v15, v14 row_bcast:31 row_mask:0xf bank_mask:0xf
	s_and_saveexec_b64 s[14:15], s[0:1]
	s_cbranch_execz .LBB418_5
; %bb.4:
	v_add_f32_e32 v14, v14, v15
	v_lshrrev_b32_e32 v15, 4, v0
	v_and_b32_e32 v15, 60, v15
	ds_write_b32 v15, v14 offset:8
.LBB418_5:
	s_or_b64 exec, exec, s[14:15]
	v_and_b32_e32 v14, 1, v0
	v_lshlrev_b32_e32 v14, 2, v14
	s_waitcnt lgkmcnt(0)
	s_barrier
	ds_read_b32 v15, v14 offset:8
	s_load_dwordx2 s[14:15], s[4:5], 0x18
	s_waitcnt lgkmcnt(0)
	v_mov_b32_dpp v16, v15 quad_perm:[1,0,3,2] row_mask:0xf bank_mask:0xf
	s_and_saveexec_b64 s[20:21], s[2:3]
	s_cbranch_execz .LBB418_7
; %bb.6:
	v_cvt_f32_u32_e32 v17, s7
	v_add_f32_e32 v15, v15, v16
	v_mov_b32_e32 v19, s13
	v_mov_b32_e32 v20, s12
	v_div_scale_f32 v16, s[26:27], v17, v17, v15
	v_rcp_f32_e32 v18, v16
	v_cndmask_b32_e32 v19, v19, v20, vcc
	s_mov_b32 s7, 0x800000
	v_fma_f32 v20, -v16, v18, 1.0
	v_fmac_f32_e32 v18, v20, v18
	v_div_scale_f32 v20, vcc, v15, v17, v15
	v_mul_f32_e32 v21, v20, v18
	v_fma_f32 v22, -v16, v21, v20
	v_fmac_f32_e32 v21, v22, v18
	v_fma_f32 v16, -v16, v21, v20
	v_div_fmas_f32 v16, v16, v18, v21
	v_div_fixup_f32 v15, v16, v17, v15
	v_add_f32_e32 v15, v19, v15
	v_mul_f32_e32 v16, 0x4b800000, v15
	v_cmp_gt_f32_e32 vcc, s7, v15
	v_cndmask_b32_e32 v15, v15, v16, vcc
	v_rsq_f32_e32 v15, v15
	s_waitcnt vmcnt(0)
	v_cvt_f32_u32_sdwa v19, v2 dst_sel:DWORD dst_unused:UNUSED_PAD src0_sel:WORD_1
	v_cvt_f32_u32_sdwa v18, v2 dst_sel:DWORD dst_unused:UNUSED_PAD src0_sel:WORD_0
	v_cvt_f32_u32_sdwa v21, v3 dst_sel:DWORD dst_unused:UNUSED_PAD src0_sel:WORD_1
	v_mul_f32_e32 v16, 0x45800000, v15
	v_cndmask_b32_e32 v16, v15, v16, vcc
	v_mov_b32_e32 v17, v16
	;;#ASMSTART
	v_pk_mul_f32 v[8:9], v[8:9], v[16:17]
	;;#ASMEND
	;;#ASMSTART
	v_pk_mul_f32 v[12:13], v[12:13], v[16:17]
	;;#ASMEND
	;; [unrolled: 3-line block ×3, first 2 shown]
	v_cvt_f32_u32_sdwa v20, v3 dst_sel:DWORD dst_unused:UNUSED_PAD src0_sel:WORD_0
	;;#ASMSTART
	v_pk_mul_f32 v[2:3], v[6:7], v[16:17]
	;;#ASMEND
	v_cvt_f32_u32_sdwa v17, v4 dst_sel:DWORD dst_unused:UNUSED_PAD src0_sel:WORD_1
	v_cvt_f32_u32_sdwa v16, v4 dst_sel:DWORD dst_unused:UNUSED_PAD src0_sel:WORD_0
	v_pk_add_f32 v[6:7], v[18:19], 1.0 op_sel_hi:[1,0]
	v_cvt_f32_u32_sdwa v19, v5 dst_sel:DWORD dst_unused:UNUSED_PAD src0_sel:WORD_1
	v_cvt_f32_u32_sdwa v18, v5 dst_sel:DWORD dst_unused:UNUSED_PAD src0_sel:WORD_0
	;;#ASMSTART
	v_pk_mul_f32 v[8:9], v[8:9], v[6:7]
	;;#ASMEND
	v_pk_add_f32 v[6:7], v[20:21], 1.0 op_sel_hi:[1,0]
	v_pk_add_f32 v[4:5], v[16:17], 1.0 op_sel_hi:[1,0]
	;;#ASMSTART
	v_pk_mul_f32 v[12:13], v[12:13], v[6:7]
	;;#ASMEND
	;;#ASMSTART
	v_pk_mul_f32 v[10:11], v[10:11], v[4:5]
	;;#ASMEND
	v_pk_add_f32 v[4:5], v[18:19], 1.0 op_sel_hi:[1,0]
	;;#ASMSTART
	v_pk_mul_f32 v[6:7], v[2:3], v[4:5]
	;;#ASMEND
.LBB418_7:
	s_or_b64 exec, exec, s[20:21]
	s_load_dwordx2 s[26:27], s[4:5], 0x7c
	s_mov_b64 s[20:21], -1
	s_and_b64 vcc, exec, s[10:11]
	s_cbranch_vccnz .LBB418_11
; %bb.8:
	s_andn2_b64 vcc, exec, s[20:21]
	s_cbranch_vccz .LBB418_14
.LBB418_9:
	s_cmp_lt_i32 s16, 1
	s_cbranch_scc0 .LBB418_17
.LBB418_10:
	s_endpgm
.LBB418_11:
	s_and_saveexec_b64 s[10:11], s[2:3]
	s_cbranch_execz .LBB418_13
; %bb.12:
	s_waitcnt lgkmcnt(0)
	s_mul_hi_i32 s21, s27, s6
	s_mul_i32 s20, s27, s6
	s_lshl_b64 s[20:21], s[20:21], 1
	s_add_u32 s20, s14, s20
	s_addc_u32 s7, s15, s21
	s_and_b32 s21, s7, 0xffff
	s_mov_b32 s7, 0x7060302
	s_mov_b32 s23, 0x20000
	s_waitcnt vmcnt(0)
	v_perm_b32 v2, v9, v8, s7
	v_perm_b32 v3, v13, v12, s7
	;; [unrolled: 1-line block ×4, first 2 shown]
	v_lshlrev_b32_e32 v15, 4, v0
	buffer_store_dwordx4 v[2:5], v15, s[20:23], 0 offen
	;;#ASMSTART
	s_nop 0
	;;#ASMEND
.LBB418_13:
	s_or_b64 exec, exec, s[10:11]
	s_cbranch_execnz .LBB418_9
.LBB418_14:
	s_and_saveexec_b64 s[10:11], s[2:3]
	s_cbranch_execz .LBB418_16
; %bb.15:
	s_load_dwordx2 s[2:3], s[4:5], 0x10
	s_waitcnt lgkmcnt(0)
	s_mul_hi_i32 s21, s26, s6
	s_mul_i32 s20, s26, s6
	s_lshl_b64 s[20:21], s[20:21], 1
	s_mov_b32 s23, 0x20000
	s_add_u32 s20, s2, s20
	s_addc_u32 s2, s3, s21
	s_and_b32 s21, s2, 0xffff
	s_mov_b32 s2, 0x7060302
	s_waitcnt vmcnt(0)
	v_perm_b32 v2, v9, v8, s2
	v_perm_b32 v3, v13, v12, s2
	;; [unrolled: 1-line block ×4, first 2 shown]
	v_lshlrev_b32_e32 v6, 4, v0
	buffer_store_dwordx4 v[2:5], v6, s[20:23], 0 offen
	;;#ASMSTART
	s_nop 0
	;;#ASMEND
.LBB418_16:
	s_or_b64 exec, exec, s[10:11]
	s_cmp_lt_i32 s16, 1
	s_cbranch_scc1 .LBB418_10
.LBB418_17:
	s_load_dword s2, s[4:5], 0x94
	s_waitcnt lgkmcnt(0)
	s_cmp_lg_u32 s2, 1
	s_cbranch_scc1 .LBB418_10
; %bb.18:
	s_lshl_b32 s2, s16, 1
	s_add_i32 s2, s2, 2
	v_cmp_gt_u32_e32 vcc, s16, v1
	s_and_b32 s10, s2, -4
	v_mov_b32_e32 v6, 0
	v_lshlrev_b32_e32 v1, 4, v0
	v_mov_b32_e32 v7, 0
	v_mov_b32_e32 v8, 0
	v_mov_b32_e32 v9, 0
	s_waitcnt vmcnt(0)
	v_mov_b32_e32 v2, 0
	v_mov_b32_e32 v3, 0
	v_mov_b32_e32 v4, 0
	v_mov_b32_e32 v5, 0
	s_barrier
	s_and_saveexec_b64 s[2:3], vcc
	s_cbranch_execz .LBB418_20
; %bb.19:
	s_mul_hi_i32 s5, s18, s6
	s_mul_i32 s4, s18, s6
	s_and_b32 s9, s9, 0xffff
	s_lshl_b64 s[4:5], s[4:5], 1
	s_add_u32 s20, s24, s4
	s_mov_b32 s11, 0x20000
	s_addc_u32 s4, s25, s5
	s_and_b32 s21, s4, 0xffff
	s_mov_b32 s22, s10
	s_mov_b32 s23, s11
	buffer_load_dwordx4 v[6:9], v1, s[20:23], 0 offen glc slc
	buffer_load_dwordx4 v[2:5], v1, s[8:11], 0 offen
.LBB418_20:
	s_or_b64 exec, exec, s[2:3]
	s_waitcnt vmcnt(1)
	v_cvt_f32_u32_sdwa v13, v6 dst_sel:DWORD dst_unused:UNUSED_PAD src0_sel:WORD_1
	v_cvt_f32_u32_sdwa v12, v6 dst_sel:DWORD dst_unused:UNUSED_PAD src0_sel:WORD_0
	v_cvt_f32_u32_sdwa v6, v9 dst_sel:DWORD dst_unused:UNUSED_PAD src0_sel:WORD_1
	v_cvt_f32_u32_sdwa v9, v9 dst_sel:DWORD dst_unused:UNUSED_PAD src0_sel:WORD_0
	;; [unrolled: 2-line block ×4, first 2 shown]
	v_cndmask_b32_e32 v13, 0, v13, vcc
	v_cndmask_b32_e32 v7, 0, v6, vcc
	;; [unrolled: 1-line block ×5, first 2 shown]
	v_mul_f32_e32 v15, v13, v13
	v_cndmask_b32_e32 v10, 0, v10, vcc
	v_fmac_f32_e32 v15, v12, v12
	v_cndmask_b32_e32 v11, 0, v11, vcc
	v_fmac_f32_e32 v15, v10, v10
	;; [unrolled: 2-line block ×3, first 2 shown]
	v_fmac_f32_e32 v15, v8, v8
	v_fmac_f32_e32 v15, v9, v9
	;; [unrolled: 1-line block ×4, first 2 shown]
	s_nop 1
	v_mov_b32_dpp v16, v15 quad_perm:[1,0,3,2] row_mask:0xf bank_mask:0xf
	v_add_f32_e32 v15, v15, v16
	s_nop 1
	v_mov_b32_dpp v16, v15 quad_perm:[2,3,0,1] row_mask:0xf bank_mask:0xf
	v_add_f32_e32 v15, v15, v16
	s_nop 1
	v_mov_b32_dpp v16, v15 row_half_mirror row_mask:0xf bank_mask:0xf
	v_add_f32_e32 v15, v15, v16
	s_nop 1
	v_mov_b32_dpp v16, v15 row_mirror row_mask:0xf bank_mask:0xf
	v_add_f32_e32 v15, v15, v16
	s_nop 1
	v_mov_b32_dpp v16, v15 row_bcast:15 row_mask:0xf bank_mask:0xf
	v_add_f32_e32 v15, v15, v16
	s_nop 1
	v_mov_b32_dpp v16, v15 row_bcast:31 row_mask:0xf bank_mask:0xf
	s_and_saveexec_b64 s[2:3], s[0:1]
	s_cbranch_execz .LBB418_22
; %bb.21:
	v_lshrrev_b32_e32 v0, 4, v0
	v_add_f32_e32 v15, v15, v16
	v_and_b32_e32 v0, 60, v0
	ds_write_b32 v0, v15
.LBB418_22:
	s_or_b64 exec, exec, s[2:3]
	s_waitcnt lgkmcnt(0)
	s_barrier
	ds_read_b32 v0, v14
	s_waitcnt lgkmcnt(0)
	s_nop 0
	v_mov_b32_dpp v14, v0 quad_perm:[1,0,3,2] row_mask:0xf bank_mask:0xf
	s_and_saveexec_b64 s[0:1], vcc
	s_cbranch_execz .LBB418_10
; %bb.23:
	v_cvt_f32_u32_e32 v15, s16
	v_add_f32_e32 v0, v0, v14
	s_mov_b32 s11, 0x20000
	v_div_scale_f32 v14, s[0:1], v15, v15, v0
	v_rcp_f32_e32 v16, v14
	v_div_scale_f32 v17, vcc, v0, v15, v0
	s_mov_b32 s0, 0x800000
	v_fma_f32 v18, -v14, v16, 1.0
	v_fmac_f32_e32 v16, v18, v16
	v_mul_f32_e32 v18, v17, v16
	v_fma_f32 v19, -v14, v18, v17
	v_fmac_f32_e32 v18, v19, v16
	v_fma_f32 v14, -v14, v18, v17
	v_div_fmas_f32 v14, v14, v16, v18
	v_div_fixup_f32 v0, v14, v15, v0
	v_add_f32_e32 v0, s13, v0
	v_mul_f32_e32 v14, 0x4b800000, v0
	v_cmp_gt_f32_e32 vcc, s0, v0
	v_cndmask_b32_e32 v0, v0, v14, vcc
	v_rsq_f32_e32 v0, v0
	s_waitcnt vmcnt(0)
	v_cvt_f32_u32_sdwa v17, v2 dst_sel:DWORD dst_unused:UNUSED_PAD src0_sel:WORD_1
	v_cvt_f32_u32_sdwa v16, v2 dst_sel:DWORD dst_unused:UNUSED_PAD src0_sel:WORD_0
	v_cvt_f32_u32_sdwa v19, v3 dst_sel:DWORD dst_unused:UNUSED_PAD src0_sel:WORD_1
	v_mul_f32_e32 v14, 0x45800000, v0
	v_cndmask_b32_e32 v14, v0, v14, vcc
	v_mov_b32_e32 v15, v14
	;;#ASMSTART
	v_pk_mul_f32 v[12:13], v[12:13], v[14:15]
	;;#ASMEND
	;;#ASMSTART
	v_pk_mul_f32 v[10:11], v[10:11], v[14:15]
	;;#ASMEND
	;; [unrolled: 3-line block ×3, first 2 shown]
	v_cvt_f32_u32_sdwa v18, v3 dst_sel:DWORD dst_unused:UNUSED_PAD src0_sel:WORD_0
	;;#ASMSTART
	v_pk_mul_f32 v[2:3], v[6:7], v[14:15]
	;;#ASMEND
	v_cvt_f32_u32_sdwa v15, v4 dst_sel:DWORD dst_unused:UNUSED_PAD src0_sel:WORD_1
	v_cvt_f32_u32_sdwa v14, v4 dst_sel:DWORD dst_unused:UNUSED_PAD src0_sel:WORD_0
	v_pk_add_f32 v[6:7], v[16:17], 1.0 op_sel_hi:[1,0]
	v_cvt_f32_u32_sdwa v17, v5 dst_sel:DWORD dst_unused:UNUSED_PAD src0_sel:WORD_1
	v_cvt_f32_u32_sdwa v16, v5 dst_sel:DWORD dst_unused:UNUSED_PAD src0_sel:WORD_0
	s_mul_hi_i32 s1, s27, s6
	s_mul_i32 s0, s27, s6
	s_lshl_b64 s[0:1], s[0:1], 1
	s_add_u32 s8, s14, s0
	;;#ASMSTART
	v_pk_mul_f32 v[6:7], v[12:13], v[6:7]
	;;#ASMEND
	v_pk_add_f32 v[12:13], v[18:19], 1.0 op_sel_hi:[1,0]
	;;#ASMSTART
	v_pk_mul_f32 v[4:5], v[10:11], v[12:13]
	;;#ASMEND
	v_pk_add_f32 v[10:11], v[14:15], 1.0 op_sel_hi:[1,0]
	s_addc_u32 s0, s15, s1
	;;#ASMSTART
	v_pk_mul_f32 v[8:9], v[8:9], v[10:11]
	;;#ASMEND
	v_pk_add_f32 v[10:11], v[16:17], 1.0 op_sel_hi:[1,0]
	s_and_b32 s9, s0, 0xffff
	s_mov_b32 s0, 0x7060302
	;;#ASMSTART
	v_pk_mul_f32 v[10:11], v[2:3], v[10:11]
	;;#ASMEND
	v_perm_b32 v2, v7, v6, s0
	v_perm_b32 v3, v5, v4, s0
	;; [unrolled: 1-line block ×4, first 2 shown]
	buffer_store_dwordx4 v[2:5], v1, s[8:11], 0 offen
	;;#ASMSTART
	s_nop 0
	;;#ASMEND
	s_endpgm
	.section	.rodata,"a",@progbits
	.p2align	6, 0x0
	.amdhsa_kernel _ZN5aiter35fused_qk_rmsnorm_group_quant_kernelItDB8_Li128ELi8ELi4ELb0ELb1ELb1ELb1ELb0ELb0EEEvPT0_PvPT_S6_S6_PKS5_S8_S8_S8_S8_ffiiiiiiiiiiiii
		.amdhsa_group_segment_fixed_size 16
		.amdhsa_private_segment_fixed_size 0
		.amdhsa_kernarg_size 400
		.amdhsa_user_sgpr_count 6
		.amdhsa_user_sgpr_private_segment_buffer 1
		.amdhsa_user_sgpr_dispatch_ptr 0
		.amdhsa_user_sgpr_queue_ptr 0
		.amdhsa_user_sgpr_kernarg_segment_ptr 1
		.amdhsa_user_sgpr_dispatch_id 0
		.amdhsa_user_sgpr_flat_scratch_init 0
		.amdhsa_user_sgpr_kernarg_preload_length 0
		.amdhsa_user_sgpr_kernarg_preload_offset 0
		.amdhsa_user_sgpr_private_segment_size 0
		.amdhsa_uses_dynamic_stack 0
		.amdhsa_system_sgpr_private_segment_wavefront_offset 0
		.amdhsa_system_sgpr_workgroup_id_x 1
		.amdhsa_system_sgpr_workgroup_id_y 1
		.amdhsa_system_sgpr_workgroup_id_z 0
		.amdhsa_system_sgpr_workgroup_info 0
		.amdhsa_system_vgpr_workitem_id 0
		.amdhsa_next_free_vgpr 23
		.amdhsa_next_free_sgpr 32
		.amdhsa_accum_offset 24
		.amdhsa_reserve_vcc 1
		.amdhsa_reserve_flat_scratch 0
		.amdhsa_float_round_mode_32 0
		.amdhsa_float_round_mode_16_64 0
		.amdhsa_float_denorm_mode_32 3
		.amdhsa_float_denorm_mode_16_64 3
		.amdhsa_dx10_clamp 1
		.amdhsa_ieee_mode 1
		.amdhsa_fp16_overflow 0
		.amdhsa_tg_split 0
		.amdhsa_exception_fp_ieee_invalid_op 0
		.amdhsa_exception_fp_denorm_src 0
		.amdhsa_exception_fp_ieee_div_zero 0
		.amdhsa_exception_fp_ieee_overflow 0
		.amdhsa_exception_fp_ieee_underflow 0
		.amdhsa_exception_fp_ieee_inexact 0
		.amdhsa_exception_int_div_zero 0
	.end_amdhsa_kernel
	.section	.text._ZN5aiter35fused_qk_rmsnorm_group_quant_kernelItDB8_Li128ELi8ELi4ELb0ELb1ELb1ELb1ELb0ELb0EEEvPT0_PvPT_S6_S6_PKS5_S8_S8_S8_S8_ffiiiiiiiiiiiii,"axG",@progbits,_ZN5aiter35fused_qk_rmsnorm_group_quant_kernelItDB8_Li128ELi8ELi4ELb0ELb1ELb1ELb1ELb0ELb0EEEvPT0_PvPT_S6_S6_PKS5_S8_S8_S8_S8_ffiiiiiiiiiiiii,comdat
.Lfunc_end418:
	.size	_ZN5aiter35fused_qk_rmsnorm_group_quant_kernelItDB8_Li128ELi8ELi4ELb0ELb1ELb1ELb1ELb0ELb0EEEvPT0_PvPT_S6_S6_PKS5_S8_S8_S8_S8_ffiiiiiiiiiiiii, .Lfunc_end418-_ZN5aiter35fused_qk_rmsnorm_group_quant_kernelItDB8_Li128ELi8ELi4ELb0ELb1ELb1ELb1ELb0ELb0EEEvPT0_PvPT_S6_S6_PKS5_S8_S8_S8_S8_ffiiiiiiiiiiiii
                                        ; -- End function
	.section	.AMDGPU.csdata,"",@progbits
; Kernel info:
; codeLenInByte = 2060
; NumSgprs: 36
; NumVgprs: 23
; NumAgprs: 0
; TotalNumVgprs: 23
; ScratchSize: 0
; MemoryBound: 0
; FloatMode: 240
; IeeeMode: 1
; LDSByteSize: 16 bytes/workgroup (compile time only)
; SGPRBlocks: 4
; VGPRBlocks: 2
; NumSGPRsForWavesPerEU: 36
; NumVGPRsForWavesPerEU: 23
; AccumOffset: 24
; Occupancy: 8
; WaveLimiterHint : 0
; COMPUTE_PGM_RSRC2:SCRATCH_EN: 0
; COMPUTE_PGM_RSRC2:USER_SGPR: 6
; COMPUTE_PGM_RSRC2:TRAP_HANDLER: 0
; COMPUTE_PGM_RSRC2:TGID_X_EN: 1
; COMPUTE_PGM_RSRC2:TGID_Y_EN: 1
; COMPUTE_PGM_RSRC2:TGID_Z_EN: 0
; COMPUTE_PGM_RSRC2:TIDIG_COMP_CNT: 0
; COMPUTE_PGM_RSRC3_GFX90A:ACCUM_OFFSET: 5
; COMPUTE_PGM_RSRC3_GFX90A:TG_SPLIT: 0
	.section	.text._ZN5aiter35fused_qk_rmsnorm_group_quant_kernelIDF16_N4opus5fp4_tELi128ELi8ELi4ELb0ELb1ELb1ELb1ELb0ELb0EEEvPT0_PvPT_S7_S7_PKS6_S9_S9_S9_S9_ffiiiiiiiiiiiii,"axG",@progbits,_ZN5aiter35fused_qk_rmsnorm_group_quant_kernelIDF16_N4opus5fp4_tELi128ELi8ELi4ELb0ELb1ELb1ELb1ELb0ELb0EEEvPT0_PvPT_S7_S7_PKS6_S9_S9_S9_S9_ffiiiiiiiiiiiii,comdat
	.protected	_ZN5aiter35fused_qk_rmsnorm_group_quant_kernelIDF16_N4opus5fp4_tELi128ELi8ELi4ELb0ELb1ELb1ELb1ELb0ELb0EEEvPT0_PvPT_S7_S7_PKS6_S9_S9_S9_S9_ffiiiiiiiiiiiii ; -- Begin function _ZN5aiter35fused_qk_rmsnorm_group_quant_kernelIDF16_N4opus5fp4_tELi128ELi8ELi4ELb0ELb1ELb1ELb1ELb0ELb0EEEvPT0_PvPT_S7_S7_PKS6_S9_S9_S9_S9_ffiiiiiiiiiiiii
	.globl	_ZN5aiter35fused_qk_rmsnorm_group_quant_kernelIDF16_N4opus5fp4_tELi128ELi8ELi4ELb0ELb1ELb1ELb1ELb0ELb0EEEvPT0_PvPT_S7_S7_PKS6_S9_S9_S9_S9_ffiiiiiiiiiiiii
	.p2align	8
	.type	_ZN5aiter35fused_qk_rmsnorm_group_quant_kernelIDF16_N4opus5fp4_tELi128ELi8ELi4ELb0ELb1ELb1ELb1ELb0ELb0EEEvPT0_PvPT_S7_S7_PKS6_S9_S9_S9_S9_ffiiiiiiiiiiiii,@function
_ZN5aiter35fused_qk_rmsnorm_group_quant_kernelIDF16_N4opus5fp4_tELi128ELi8ELi4ELb0ELb1ELb1ELb1ELb0ELb0EEEvPT0_PvPT_S7_S7_PKS6_S9_S9_S9_S9_ffiiiiiiiiiiiii: ; @_ZN5aiter35fused_qk_rmsnorm_group_quant_kernelIDF16_N4opus5fp4_tELi128ELi8ELi4ELb0ELb1ELb1ELb1ELb0ELb0EEEvPT0_PvPT_S7_S7_PKS6_S9_S9_S9_S9_ffiiiiiiiiiiiii
; %bb.0:
	s_load_dwordx4 s[12:15], s[4:5], 0x50
	s_waitcnt lgkmcnt(0)
	s_cmp_ge_i32 s6, s14
	s_cbranch_scc1 .LBB419_12
; %bb.1:
	s_load_dwordx2 s[24:25], s[4:5], 0x30
	s_load_dwordx2 s[8:9], s[4:5], 0x48
	s_load_dwordx4 s[16:19], s[4:5], 0x60
	s_cmp_lg_u32 s7, 0
	s_cselect_b64 s[10:11], -1, 0
	s_cmp_eq_u32 s7, 0
	s_cselect_b64 vcc, -1, 0
	s_and_b64 s[0:1], vcc, exec
	s_waitcnt lgkmcnt(0)
	s_cselect_b32 s7, s15, s16
	s_add_i32 s0, s7, 1
	s_lshr_b32 s1, s0, 31
	s_add_i32 s0, s0, s1
	s_lshl_b32 s0, s0, 1
	v_lshlrev_b32_e32 v1, 3, v0
	s_and_b32 s22, s0, -4
	v_cmp_gt_i32_e64 s[2:3], s7, v1
	v_mov_b32_e32 v10, 0
	v_mov_b32_e32 v2, 0
	;; [unrolled: 1-line block ×9, first 2 shown]
	s_and_saveexec_b64 s[0:1], s[2:3]
	s_cbranch_execz .LBB419_3
; %bb.2:
	s_load_dwordx2 s[14:15], s[4:5], 0x28
	s_load_dwordx2 s[20:21], s[4:5], 0x40
	s_and_b64 s[26:27], vcc, exec
	s_cselect_b32 s17, s17, s18
	v_lshlrev_b32_e32 v11, 4, v0
	s_waitcnt lgkmcnt(0)
	s_cselect_b32 s19, s15, s25
	s_cselect_b32 s23, s14, s24
	s_mul_hi_i32 s15, s17, s6
	s_mul_i32 s14, s17, s6
	s_lshl_b64 s[14:15], s[14:15], 1
	s_add_u32 s28, s23, s14
	s_addc_u32 s17, s19, s15
	s_and_b64 s[14:15], vcc, exec
	s_mov_b32 s23, 0x20000
	s_cselect_b32 s20, s20, s8
	s_cselect_b32 s14, s21, s9
	s_and_b32 s29, s17, 0xffff
	s_mov_b32 s30, s22
	s_mov_b32 s31, s23
	s_and_b32 s21, s14, 0xffff
	buffer_load_dwordx4 v[6:9], v11, s[28:31], 0 offen glc slc
	buffer_load_dwordx4 v[2:5], v11, s[20:23], 0 offen
.LBB419_3:
	s_or_b64 exec, exec, s[0:1]
	v_mov_b32_e32 v11, 0
	v_mov_b32_e32 v14, 0
	;; [unrolled: 1-line block ×7, first 2 shown]
	s_and_saveexec_b64 s[0:1], s[2:3]
	s_cbranch_execz .LBB419_5
; %bb.4:
	s_waitcnt vmcnt(1)
	v_cvt_f32_f16_sdwa v11, v6 dst_sel:DWORD dst_unused:UNUSED_PAD src0_sel:WORD_1
	v_cvt_f32_f16_e32 v10, v6
	v_cvt_f32_f16_sdwa v15, v7 dst_sel:DWORD dst_unused:UNUSED_PAD src0_sel:WORD_1
	v_cvt_f32_f16_e32 v14, v7
	;; [unrolled: 2-line block ×4, first 2 shown]
.LBB419_5:
	s_or_b64 exec, exec, s[0:1]
	s_waitcnt vmcnt(1)
	v_mul_f32_e32 v6, v11, v11
	v_fmac_f32_e32 v6, v10, v10
	v_fmac_f32_e32 v6, v14, v14
	;; [unrolled: 1-line block ×7, first 2 shown]
	v_and_b32_e32 v8, 63, v0
	v_cmp_eq_u32_e64 s[0:1], 63, v8
	v_mov_b32_dpp v7, v6 quad_perm:[1,0,3,2] row_mask:0xf bank_mask:0xf
	v_add_f32_e32 v6, v6, v7
	s_nop 1
	v_mov_b32_dpp v7, v6 quad_perm:[2,3,0,1] row_mask:0xf bank_mask:0xf
	v_add_f32_e32 v6, v6, v7
	s_nop 1
	v_mov_b32_dpp v7, v6 row_half_mirror row_mask:0xf bank_mask:0xf
	v_add_f32_e32 v6, v6, v7
	s_nop 1
	v_mov_b32_dpp v7, v6 row_mirror row_mask:0xf bank_mask:0xf
	v_add_f32_e32 v6, v6, v7
	s_nop 1
	v_mov_b32_dpp v7, v6 row_bcast:15 row_mask:0xf bank_mask:0xf
	v_add_f32_e32 v6, v6, v7
	s_nop 1
	v_mov_b32_dpp v7, v6 row_bcast:31 row_mask:0xf bank_mask:0xf
	s_and_saveexec_b64 s[14:15], s[0:1]
	s_cbranch_execz .LBB419_7
; %bb.6:
	v_add_f32_e32 v6, v6, v7
	v_lshrrev_b32_e32 v7, 4, v0
	v_and_b32_e32 v7, 60, v7
	ds_write_b32 v7, v6 offset:8
.LBB419_7:
	s_or_b64 exec, exec, s[14:15]
	v_and_b32_e32 v6, 1, v0
	v_lshlrev_b32_e32 v18, 2, v6
	s_waitcnt lgkmcnt(0)
	s_barrier
	ds_read_b32 v6, v18 offset:8
	s_load_dwordx2 s[14:15], s[4:5], 0x18
	s_waitcnt lgkmcnt(0)
	v_mov_b32_dpp v7, v6 quad_perm:[1,0,3,2] row_mask:0xf bank_mask:0xf
	s_and_saveexec_b64 s[20:21], s[2:3]
	s_cbranch_execz .LBB419_9
; %bb.8:
	v_cvt_f32_u32_e32 v8, s7
	v_add_f32_e32 v6, v6, v7
	v_mov_b32_e32 v19, s13
	v_mov_b32_e32 v20, s12
	v_div_scale_f32 v7, s[26:27], v8, v8, v6
	v_rcp_f32_e32 v9, v7
	v_cndmask_b32_e32 v19, v19, v20, vcc
	s_mov_b32 s7, 0x800000
	v_fma_f32 v20, -v7, v9, 1.0
	v_fmac_f32_e32 v9, v20, v9
	v_div_scale_f32 v20, vcc, v6, v8, v6
	v_mul_f32_e32 v21, v20, v9
	v_fma_f32 v22, -v7, v21, v20
	v_fmac_f32_e32 v21, v22, v9
	v_fma_f32 v7, -v7, v21, v20
	v_div_fmas_f32 v7, v7, v9, v21
	v_div_fixup_f32 v6, v7, v8, v6
	v_add_f32_e32 v6, v19, v6
	v_mul_f32_e32 v7, 0x4b800000, v6
	v_cmp_gt_f32_e32 vcc, s7, v6
	v_cndmask_b32_e32 v6, v6, v7, vcc
	v_rsq_f32_e32 v6, v6
	s_waitcnt vmcnt(0)
	v_cvt_f32_f16_sdwa v21, v3 dst_sel:DWORD dst_unused:UNUSED_PAD src0_sel:WORD_1
	v_cvt_f32_f16_e32 v20, v3
	v_mul_f32_e32 v7, 0x45800000, v6
	v_cndmask_b32_e32 v6, v6, v7, vcc
	v_mov_b32_e32 v7, v6
	;;#ASMSTART
	v_pk_mul_f32 v[8:9], v[10:11], v[6:7]
	;;#ASMEND
	v_cvt_f32_f16_sdwa v11, v2 dst_sel:DWORD dst_unused:UNUSED_PAD src0_sel:WORD_1
	v_cvt_f32_f16_e32 v10, v2
	;;#ASMSTART
	v_pk_mul_f32 v[14:15], v[14:15], v[6:7]
	;;#ASMEND
	;;#ASMSTART
	v_pk_mul_f32 v[16:17], v[16:17], v[6:7]
	;;#ASMEND
	;; [unrolled: 3-line block ×3, first 2 shown]
	v_pk_add_f32 v[6:7], v[10:11], 1.0 op_sel_hi:[1,0]
	;;#ASMSTART
	v_pk_mul_f32 v[10:11], v[8:9], v[6:7]
	;;#ASMEND
	v_cvt_f32_f16_sdwa v9, v4 dst_sel:DWORD dst_unused:UNUSED_PAD src0_sel:WORD_1
	v_cvt_f32_f16_e32 v8, v4
	v_cvt_f32_f16_sdwa v13, v5 dst_sel:DWORD dst_unused:UNUSED_PAD src0_sel:WORD_1
	v_cvt_f32_f16_e32 v12, v5
	v_pk_add_f32 v[6:7], v[20:21], 1.0 op_sel_hi:[1,0]
	v_pk_add_f32 v[4:5], v[8:9], 1.0 op_sel_hi:[1,0]
	;;#ASMSTART
	v_pk_mul_f32 v[14:15], v[14:15], v[6:7]
	;;#ASMEND
	;;#ASMSTART
	v_pk_mul_f32 v[16:17], v[16:17], v[4:5]
	;;#ASMEND
	v_pk_add_f32 v[4:5], v[12:13], 1.0 op_sel_hi:[1,0]
	;;#ASMSTART
	v_pk_mul_f32 v[12:13], v[2:3], v[4:5]
	;;#ASMEND
.LBB419_9:
	s_or_b64 exec, exec, s[20:21]
	s_load_dwordx2 s[26:27], s[4:5], 0x7c
	s_mov_b64 s[20:21], -1
	s_and_b64 vcc, exec, s[10:11]
	s_cbranch_vccnz .LBB419_13
; %bb.10:
	s_andn2_b64 vcc, exec, s[20:21]
	s_cbranch_vccz .LBB419_16
.LBB419_11:
	s_cmp_lt_i32 s16, 1
	s_cbranch_scc0 .LBB419_19
.LBB419_12:
	s_endpgm
.LBB419_13:
	s_and_saveexec_b64 s[10:11], s[2:3]
	s_cbranch_execz .LBB419_15
; %bb.14:
	s_waitcnt lgkmcnt(0)
	s_mul_hi_i32 s21, s27, s6
	s_mul_i32 s20, s27, s6
	s_waitcnt vmcnt(0)
	v_cvt_f16_f32_e32 v2, v10
	v_cvt_f16_f32_e32 v3, v14
	;; [unrolled: 1-line block ×8, first 2 shown]
	s_lshl_b64 s[20:21], s[20:21], 1
	s_add_u32 s20, s14, s20
	s_addc_u32 s7, s15, s21
	s_and_b32 s21, s7, 0xffff
	s_mov_b32 s23, 0x20000
	v_pack_b32_f16 v5, v5, v6
	v_pack_b32_f16 v4, v4, v7
	;; [unrolled: 1-line block ×4, first 2 shown]
	v_lshlrev_b32_e32 v6, 4, v0
	buffer_store_dwordx4 v[2:5], v6, s[20:23], 0 offen
	;;#ASMSTART
	s_nop 0
	;;#ASMEND
.LBB419_15:
	s_or_b64 exec, exec, s[10:11]
	s_cbranch_execnz .LBB419_11
.LBB419_16:
	s_and_saveexec_b64 s[10:11], s[2:3]
	s_cbranch_execz .LBB419_18
; %bb.17:
	s_load_dwordx2 s[2:3], s[4:5], 0x10
	s_waitcnt lgkmcnt(0)
	s_mul_hi_i32 s21, s26, s6
	s_mul_i32 s20, s26, s6
	s_waitcnt vmcnt(0)
	v_cvt_f16_f32_e32 v2, v10
	v_cvt_f16_f32_e32 v3, v14
	v_cvt_f16_f32_e32 v4, v16
	v_cvt_f16_f32_e32 v5, v12
	v_cvt_f16_f32_e32 v6, v13
	v_cvt_f16_f32_e32 v7, v17
	v_cvt_f16_f32_e32 v8, v15
	v_cvt_f16_f32_e32 v9, v11
	s_lshl_b64 s[20:21], s[20:21], 1
	s_add_u32 s20, s2, s20
	s_addc_u32 s2, s3, s21
	s_mov_b32 s23, 0x20000
	s_and_b32 s21, s2, 0xffff
	v_pack_b32_f16 v5, v5, v6
	v_pack_b32_f16 v4, v4, v7
	;; [unrolled: 1-line block ×4, first 2 shown]
	v_lshlrev_b32_e32 v6, 4, v0
	buffer_store_dwordx4 v[2:5], v6, s[20:23], 0 offen
	;;#ASMSTART
	s_nop 0
	;;#ASMEND
.LBB419_18:
	s_or_b64 exec, exec, s[10:11]
	s_cmp_lt_i32 s16, 1
	s_cbranch_scc1 .LBB419_12
.LBB419_19:
	s_load_dword s2, s[4:5], 0x94
	s_waitcnt lgkmcnt(0)
	s_cmp_lg_u32 s2, 1
	s_cbranch_scc1 .LBB419_12
; %bb.20:
	s_lshl_b32 s2, s16, 1
	s_add_i32 s2, s2, 2
	v_cmp_gt_u32_e32 vcc, s16, v1
	s_and_b32 s10, s2, -4
	v_mov_b32_e32 v10, 0
	v_lshlrev_b32_e32 v1, 4, v0
	v_mov_b32_e32 v6, 0
	v_mov_b32_e32 v7, 0
	v_mov_b32_e32 v8, 0
	v_mov_b32_e32 v9, 0
	s_waitcnt vmcnt(0)
	v_mov_b32_e32 v2, 0
	v_mov_b32_e32 v3, 0
	;; [unrolled: 1-line block ×4, first 2 shown]
	s_barrier
	s_and_saveexec_b64 s[2:3], vcc
	s_cbranch_execz .LBB419_22
; %bb.21:
	s_mul_hi_i32 s5, s18, s6
	s_mul_i32 s4, s18, s6
	s_and_b32 s9, s9, 0xffff
	s_lshl_b64 s[4:5], s[4:5], 1
	s_add_u32 s20, s24, s4
	s_mov_b32 s11, 0x20000
	s_addc_u32 s4, s25, s5
	s_and_b32 s21, s4, 0xffff
	s_mov_b32 s22, s10
	s_mov_b32 s23, s11
	buffer_load_dwordx4 v[6:9], v1, s[20:23], 0 offen glc slc
	buffer_load_dwordx4 v[2:5], v1, s[8:11], 0 offen
.LBB419_22:
	s_or_b64 exec, exec, s[2:3]
	v_mov_b32_e32 v11, 0
	v_mov_b32_e32 v16, 0
	v_mov_b32_e32 v17, 0
	v_mov_b32_e32 v14, 0
	v_mov_b32_e32 v15, 0
	v_mov_b32_e32 v12, 0
	v_mov_b32_e32 v13, 0
	s_and_saveexec_b64 s[2:3], vcc
	s_cbranch_execz .LBB419_24
; %bb.23:
	s_waitcnt vmcnt(1)
	v_cvt_f32_f16_sdwa v11, v6 dst_sel:DWORD dst_unused:UNUSED_PAD src0_sel:WORD_1
	v_cvt_f32_f16_e32 v10, v6
	v_cvt_f32_f16_sdwa v17, v7 dst_sel:DWORD dst_unused:UNUSED_PAD src0_sel:WORD_1
	v_cvt_f32_f16_e32 v16, v7
	v_cvt_f32_f16_sdwa v15, v8 dst_sel:DWORD dst_unused:UNUSED_PAD src0_sel:WORD_1
	v_cvt_f32_f16_e32 v14, v8
	v_cvt_f32_f16_sdwa v13, v9 dst_sel:DWORD dst_unused:UNUSED_PAD src0_sel:WORD_1
	v_cvt_f32_f16_e32 v12, v9
.LBB419_24:
	s_or_b64 exec, exec, s[2:3]
	s_waitcnt vmcnt(1)
	v_mul_f32_e32 v6, v11, v11
	v_fmac_f32_e32 v6, v10, v10
	v_fmac_f32_e32 v6, v16, v16
	;; [unrolled: 1-line block ×7, first 2 shown]
	s_nop 1
	v_mov_b32_dpp v7, v6 quad_perm:[1,0,3,2] row_mask:0xf bank_mask:0xf
	v_add_f32_e32 v6, v6, v7
	s_nop 1
	v_mov_b32_dpp v7, v6 quad_perm:[2,3,0,1] row_mask:0xf bank_mask:0xf
	v_add_f32_e32 v6, v6, v7
	s_nop 1
	v_mov_b32_dpp v7, v6 row_half_mirror row_mask:0xf bank_mask:0xf
	v_add_f32_e32 v6, v6, v7
	s_nop 1
	v_mov_b32_dpp v7, v6 row_mirror row_mask:0xf bank_mask:0xf
	v_add_f32_e32 v6, v6, v7
	s_nop 1
	v_mov_b32_dpp v7, v6 row_bcast:15 row_mask:0xf bank_mask:0xf
	v_add_f32_e32 v6, v6, v7
	s_nop 1
	v_mov_b32_dpp v7, v6 row_bcast:31 row_mask:0xf bank_mask:0xf
	s_and_saveexec_b64 s[2:3], s[0:1]
	s_cbranch_execz .LBB419_26
; %bb.25:
	v_lshrrev_b32_e32 v0, 4, v0
	v_add_f32_e32 v6, v6, v7
	v_and_b32_e32 v0, 60, v0
	ds_write_b32 v0, v6
.LBB419_26:
	s_or_b64 exec, exec, s[2:3]
	s_waitcnt lgkmcnt(0)
	s_barrier
	ds_read_b32 v0, v18
	s_waitcnt lgkmcnt(0)
	s_nop 0
	v_mov_b32_dpp v6, v0 quad_perm:[1,0,3,2] row_mask:0xf bank_mask:0xf
	s_and_saveexec_b64 s[0:1], vcc
	s_cbranch_execz .LBB419_12
; %bb.27:
	v_cvt_f32_u32_e32 v7, s16
	v_add_f32_e32 v0, v0, v6
	s_mov_b32 s11, 0x20000
	v_div_scale_f32 v6, s[0:1], v7, v7, v0
	v_rcp_f32_e32 v8, v6
	v_div_scale_f32 v9, vcc, v0, v7, v0
	s_mov_b32 s0, 0x800000
	v_fma_f32 v18, -v6, v8, 1.0
	v_fmac_f32_e32 v8, v18, v8
	v_mul_f32_e32 v18, v9, v8
	v_fma_f32 v19, -v6, v18, v9
	v_fmac_f32_e32 v18, v19, v8
	v_fma_f32 v6, -v6, v18, v9
	v_div_fmas_f32 v6, v6, v8, v18
	v_div_fixup_f32 v0, v6, v7, v0
	v_add_f32_e32 v0, s13, v0
	v_mul_f32_e32 v6, 0x4b800000, v0
	v_cmp_gt_f32_e32 vcc, s0, v0
	v_cndmask_b32_e32 v0, v0, v6, vcc
	v_rsq_f32_e32 v0, v0
	s_waitcnt vmcnt(0)
	v_cvt_f32_f16_sdwa v19, v3 dst_sel:DWORD dst_unused:UNUSED_PAD src0_sel:WORD_1
	v_cvt_f32_f16_e32 v18, v3
	s_mul_hi_i32 s1, s27, s6
	v_mul_f32_e32 v6, 0x45800000, v0
	v_cndmask_b32_e32 v6, v0, v6, vcc
	v_mov_b32_e32 v7, v6
	;;#ASMSTART
	v_pk_mul_f32 v[8:9], v[10:11], v[6:7]
	;;#ASMEND
	;;#ASMSTART
	v_pk_mul_f32 v[10:11], v[16:17], v[6:7]
	;;#ASMEND
	v_cvt_f32_f16_sdwa v17, v2 dst_sel:DWORD dst_unused:UNUSED_PAD src0_sel:WORD_1
	v_cvt_f32_f16_e32 v16, v2
	;;#ASMSTART
	v_pk_mul_f32 v[14:15], v[14:15], v[6:7]
	;;#ASMEND
	;;#ASMSTART
	v_pk_mul_f32 v[2:3], v[12:13], v[6:7]
	;;#ASMEND
	v_cvt_f32_f16_sdwa v13, v4 dst_sel:DWORD dst_unused:UNUSED_PAD src0_sel:WORD_1
	v_cvt_f32_f16_e32 v12, v4
	v_pk_add_f32 v[6:7], v[16:17], 1.0 op_sel_hi:[1,0]
	v_cvt_f32_f16_sdwa v17, v5 dst_sel:DWORD dst_unused:UNUSED_PAD src0_sel:WORD_1
	v_cvt_f32_f16_e32 v16, v5
	;;#ASMSTART
	v_pk_mul_f32 v[6:7], v[8:9], v[6:7]
	;;#ASMEND
	v_pk_add_f32 v[8:9], v[18:19], 1.0 op_sel_hi:[1,0]
	;;#ASMSTART
	v_pk_mul_f32 v[4:5], v[10:11], v[8:9]
	;;#ASMEND
	v_pk_add_f32 v[8:9], v[12:13], 1.0 op_sel_hi:[1,0]
	;; [unrolled: 4-line block ×3, first 2 shown]
	;;#ASMSTART
	v_pk_mul_f32 v[2:3], v[2:3], v[10:11]
	;;#ASMEND
	s_mul_i32 s0, s27, s6
	v_cvt_f16_f32_e32 v0, v6
	v_cvt_f16_f32_e32 v6, v7
	;; [unrolled: 1-line block ×8, first 2 shown]
	s_lshl_b64 s[0:1], s[0:1], 1
	s_add_u32 s8, s14, s0
	s_addc_u32 s0, s15, s1
	s_and_b32 s9, s0, 0xffff
	v_pack_b32_f16 v2, v0, v6
	v_pack_b32_f16 v3, v4, v5
	;; [unrolled: 1-line block ×4, first 2 shown]
	buffer_store_dwordx4 v[2:5], v1, s[8:11], 0 offen
	;;#ASMSTART
	s_nop 0
	;;#ASMEND
	s_endpgm
	.section	.rodata,"a",@progbits
	.p2align	6, 0x0
	.amdhsa_kernel _ZN5aiter35fused_qk_rmsnorm_group_quant_kernelIDF16_N4opus5fp4_tELi128ELi8ELi4ELb0ELb1ELb1ELb1ELb0ELb0EEEvPT0_PvPT_S7_S7_PKS6_S9_S9_S9_S9_ffiiiiiiiiiiiii
		.amdhsa_group_segment_fixed_size 16
		.amdhsa_private_segment_fixed_size 0
		.amdhsa_kernarg_size 400
		.amdhsa_user_sgpr_count 6
		.amdhsa_user_sgpr_private_segment_buffer 1
		.amdhsa_user_sgpr_dispatch_ptr 0
		.amdhsa_user_sgpr_queue_ptr 0
		.amdhsa_user_sgpr_kernarg_segment_ptr 1
		.amdhsa_user_sgpr_dispatch_id 0
		.amdhsa_user_sgpr_flat_scratch_init 0
		.amdhsa_user_sgpr_kernarg_preload_length 0
		.amdhsa_user_sgpr_kernarg_preload_offset 0
		.amdhsa_user_sgpr_private_segment_size 0
		.amdhsa_uses_dynamic_stack 0
		.amdhsa_system_sgpr_private_segment_wavefront_offset 0
		.amdhsa_system_sgpr_workgroup_id_x 1
		.amdhsa_system_sgpr_workgroup_id_y 1
		.amdhsa_system_sgpr_workgroup_id_z 0
		.amdhsa_system_sgpr_workgroup_info 0
		.amdhsa_system_vgpr_workitem_id 0
		.amdhsa_next_free_vgpr 23
		.amdhsa_next_free_sgpr 32
		.amdhsa_accum_offset 24
		.amdhsa_reserve_vcc 1
		.amdhsa_reserve_flat_scratch 0
		.amdhsa_float_round_mode_32 0
		.amdhsa_float_round_mode_16_64 0
		.amdhsa_float_denorm_mode_32 3
		.amdhsa_float_denorm_mode_16_64 3
		.amdhsa_dx10_clamp 1
		.amdhsa_ieee_mode 1
		.amdhsa_fp16_overflow 0
		.amdhsa_tg_split 0
		.amdhsa_exception_fp_ieee_invalid_op 0
		.amdhsa_exception_fp_denorm_src 0
		.amdhsa_exception_fp_ieee_div_zero 0
		.amdhsa_exception_fp_ieee_overflow 0
		.amdhsa_exception_fp_ieee_underflow 0
		.amdhsa_exception_fp_ieee_inexact 0
		.amdhsa_exception_int_div_zero 0
	.end_amdhsa_kernel
	.section	.text._ZN5aiter35fused_qk_rmsnorm_group_quant_kernelIDF16_N4opus5fp4_tELi128ELi8ELi4ELb0ELb1ELb1ELb1ELb0ELb0EEEvPT0_PvPT_S7_S7_PKS6_S9_S9_S9_S9_ffiiiiiiiiiiiii,"axG",@progbits,_ZN5aiter35fused_qk_rmsnorm_group_quant_kernelIDF16_N4opus5fp4_tELi128ELi8ELi4ELb0ELb1ELb1ELb1ELb0ELb0EEEvPT0_PvPT_S7_S7_PKS6_S9_S9_S9_S9_ffiiiiiiiiiiiii,comdat
.Lfunc_end419:
	.size	_ZN5aiter35fused_qk_rmsnorm_group_quant_kernelIDF16_N4opus5fp4_tELi128ELi8ELi4ELb0ELb1ELb1ELb1ELb0ELb0EEEvPT0_PvPT_S7_S7_PKS6_S9_S9_S9_S9_ffiiiiiiiiiiiii, .Lfunc_end419-_ZN5aiter35fused_qk_rmsnorm_group_quant_kernelIDF16_N4opus5fp4_tELi128ELi8ELi4ELb0ELb1ELb1ELb1ELb0ELb0EEEvPT0_PvPT_S7_S7_PKS6_S9_S9_S9_S9_ffiiiiiiiiiiiii
                                        ; -- End function
	.section	.AMDGPU.csdata,"",@progbits
; Kernel info:
; codeLenInByte = 2068
; NumSgprs: 36
; NumVgprs: 23
; NumAgprs: 0
; TotalNumVgprs: 23
; ScratchSize: 0
; MemoryBound: 0
; FloatMode: 240
; IeeeMode: 1
; LDSByteSize: 16 bytes/workgroup (compile time only)
; SGPRBlocks: 4
; VGPRBlocks: 2
; NumSGPRsForWavesPerEU: 36
; NumVGPRsForWavesPerEU: 23
; AccumOffset: 24
; Occupancy: 8
; WaveLimiterHint : 0
; COMPUTE_PGM_RSRC2:SCRATCH_EN: 0
; COMPUTE_PGM_RSRC2:USER_SGPR: 6
; COMPUTE_PGM_RSRC2:TRAP_HANDLER: 0
; COMPUTE_PGM_RSRC2:TGID_X_EN: 1
; COMPUTE_PGM_RSRC2:TGID_Y_EN: 1
; COMPUTE_PGM_RSRC2:TGID_Z_EN: 0
; COMPUTE_PGM_RSRC2:TIDIG_COMP_CNT: 0
; COMPUTE_PGM_RSRC3_GFX90A:ACCUM_OFFSET: 5
; COMPUTE_PGM_RSRC3_GFX90A:TG_SPLIT: 0
	.section	.text._ZN5aiter35fused_qk_rmsnorm_group_quant_kernelItN4opus5fp4_tELi128ELi8ELi4ELb0ELb1ELb1ELb1ELb0ELb0EEEvPT0_PvPT_S7_S7_PKS6_S9_S9_S9_S9_ffiiiiiiiiiiiii,"axG",@progbits,_ZN5aiter35fused_qk_rmsnorm_group_quant_kernelItN4opus5fp4_tELi128ELi8ELi4ELb0ELb1ELb1ELb1ELb0ELb0EEEvPT0_PvPT_S7_S7_PKS6_S9_S9_S9_S9_ffiiiiiiiiiiiii,comdat
	.protected	_ZN5aiter35fused_qk_rmsnorm_group_quant_kernelItN4opus5fp4_tELi128ELi8ELi4ELb0ELb1ELb1ELb1ELb0ELb0EEEvPT0_PvPT_S7_S7_PKS6_S9_S9_S9_S9_ffiiiiiiiiiiiii ; -- Begin function _ZN5aiter35fused_qk_rmsnorm_group_quant_kernelItN4opus5fp4_tELi128ELi8ELi4ELb0ELb1ELb1ELb1ELb0ELb0EEEvPT0_PvPT_S7_S7_PKS6_S9_S9_S9_S9_ffiiiiiiiiiiiii
	.globl	_ZN5aiter35fused_qk_rmsnorm_group_quant_kernelItN4opus5fp4_tELi128ELi8ELi4ELb0ELb1ELb1ELb1ELb0ELb0EEEvPT0_PvPT_S7_S7_PKS6_S9_S9_S9_S9_ffiiiiiiiiiiiii
	.p2align	8
	.type	_ZN5aiter35fused_qk_rmsnorm_group_quant_kernelItN4opus5fp4_tELi128ELi8ELi4ELb0ELb1ELb1ELb1ELb0ELb0EEEvPT0_PvPT_S7_S7_PKS6_S9_S9_S9_S9_ffiiiiiiiiiiiii,@function
_ZN5aiter35fused_qk_rmsnorm_group_quant_kernelItN4opus5fp4_tELi128ELi8ELi4ELb0ELb1ELb1ELb1ELb0ELb0EEEvPT0_PvPT_S7_S7_PKS6_S9_S9_S9_S9_ffiiiiiiiiiiiii: ; @_ZN5aiter35fused_qk_rmsnorm_group_quant_kernelItN4opus5fp4_tELi128ELi8ELi4ELb0ELb1ELb1ELb1ELb0ELb0EEEvPT0_PvPT_S7_S7_PKS6_S9_S9_S9_S9_ffiiiiiiiiiiiii
; %bb.0:
	s_load_dwordx4 s[12:15], s[4:5], 0x50
	s_waitcnt lgkmcnt(0)
	s_cmp_ge_i32 s6, s14
	s_cbranch_scc1 .LBB420_10
; %bb.1:
	s_load_dwordx2 s[24:25], s[4:5], 0x30
	s_load_dwordx2 s[8:9], s[4:5], 0x48
	s_load_dwordx4 s[16:19], s[4:5], 0x60
	s_cmp_lg_u32 s7, 0
	s_cselect_b64 s[10:11], -1, 0
	s_cmp_eq_u32 s7, 0
	s_cselect_b64 vcc, -1, 0
	s_and_b64 s[0:1], vcc, exec
	s_waitcnt lgkmcnt(0)
	s_cselect_b32 s7, s15, s16
	s_add_i32 s0, s7, 1
	s_lshr_b32 s1, s0, 31
	s_add_i32 s0, s0, s1
	s_lshl_b32 s0, s0, 1
	v_lshlrev_b32_e32 v1, 3, v0
	s_and_b32 s22, s0, -4
	v_cmp_gt_i32_e64 s[2:3], s7, v1
	v_mov_b32_e32 v2, 0
	v_mov_b32_e32 v3, 0
	;; [unrolled: 1-line block ×8, first 2 shown]
	s_and_saveexec_b64 s[0:1], s[2:3]
	s_cbranch_execz .LBB420_3
; %bb.2:
	s_load_dwordx2 s[14:15], s[4:5], 0x28
	s_load_dwordx2 s[20:21], s[4:5], 0x40
	s_and_b64 s[26:27], vcc, exec
	s_cselect_b32 s17, s17, s18
	v_lshlrev_b32_e32 v10, 4, v0
	s_waitcnt lgkmcnt(0)
	s_cselect_b32 s19, s15, s25
	s_cselect_b32 s23, s14, s24
	s_mul_hi_i32 s15, s17, s6
	s_mul_i32 s14, s17, s6
	s_lshl_b64 s[14:15], s[14:15], 1
	s_add_u32 s28, s23, s14
	s_addc_u32 s17, s19, s15
	s_and_b64 s[14:15], vcc, exec
	s_mov_b32 s23, 0x20000
	s_cselect_b32 s20, s20, s8
	s_cselect_b32 s14, s21, s9
	s_and_b32 s29, s17, 0xffff
	s_mov_b32 s30, s22
	s_mov_b32 s31, s23
	s_and_b32 s21, s14, 0xffff
	buffer_load_dwordx4 v[6:9], v10, s[28:31], 0 offen glc slc
	buffer_load_dwordx4 v[2:5], v10, s[20:23], 0 offen
.LBB420_3:
	s_or_b64 exec, exec, s[0:1]
	s_waitcnt vmcnt(1)
	v_cvt_f32_u32_sdwa v14, v6 dst_sel:DWORD dst_unused:UNUSED_PAD src0_sel:WORD_0
	v_cvt_f32_u32_sdwa v15, v6 dst_sel:DWORD dst_unused:UNUSED_PAD src0_sel:WORD_1
	v_cvt_f32_u32_sdwa v6, v9 dst_sel:DWORD dst_unused:UNUSED_PAD src0_sel:WORD_1
	v_cvt_f32_u32_sdwa v9, v9 dst_sel:DWORD dst_unused:UNUSED_PAD src0_sel:WORD_0
	v_cvt_f32_u32_sdwa v10, v8 dst_sel:DWORD dst_unused:UNUSED_PAD src0_sel:WORD_1
	v_cvt_f32_u32_sdwa v8, v8 dst_sel:DWORD dst_unused:UNUSED_PAD src0_sel:WORD_0
	v_cvt_f32_u32_sdwa v12, v7 dst_sel:DWORD dst_unused:UNUSED_PAD src0_sel:WORD_0
	v_cvt_f32_u32_sdwa v13, v7 dst_sel:DWORD dst_unused:UNUSED_PAD src0_sel:WORD_1
	v_cndmask_b32_e64 v7, 0, v6, s[2:3]
	v_cndmask_b32_e64 v6, 0, v9, s[2:3]
	;; [unrolled: 1-line block ×6, first 2 shown]
	v_mul_f32_e32 v14, v9, v9
	v_cndmask_b32_e64 v12, 0, v12, s[2:3]
	v_fmac_f32_e32 v14, v8, v8
	v_cndmask_b32_e64 v13, 0, v13, s[2:3]
	v_fmac_f32_e32 v14, v12, v12
	v_fmac_f32_e32 v14, v13, v13
	;; [unrolled: 1-line block ×6, first 2 shown]
	v_and_b32_e32 v16, 63, v0
	v_cmp_eq_u32_e64 s[0:1], 63, v16
	v_mov_b32_dpp v15, v14 quad_perm:[1,0,3,2] row_mask:0xf bank_mask:0xf
	v_add_f32_e32 v14, v14, v15
	s_nop 1
	v_mov_b32_dpp v15, v14 quad_perm:[2,3,0,1] row_mask:0xf bank_mask:0xf
	v_add_f32_e32 v14, v14, v15
	s_nop 1
	v_mov_b32_dpp v15, v14 row_half_mirror row_mask:0xf bank_mask:0xf
	v_add_f32_e32 v14, v14, v15
	s_nop 1
	v_mov_b32_dpp v15, v14 row_mirror row_mask:0xf bank_mask:0xf
	v_add_f32_e32 v14, v14, v15
	s_nop 1
	v_mov_b32_dpp v15, v14 row_bcast:15 row_mask:0xf bank_mask:0xf
	v_add_f32_e32 v14, v14, v15
	s_nop 1
	v_mov_b32_dpp v15, v14 row_bcast:31 row_mask:0xf bank_mask:0xf
	s_and_saveexec_b64 s[14:15], s[0:1]
	s_cbranch_execz .LBB420_5
; %bb.4:
	v_add_f32_e32 v14, v14, v15
	v_lshrrev_b32_e32 v15, 4, v0
	v_and_b32_e32 v15, 60, v15
	ds_write_b32 v15, v14 offset:8
.LBB420_5:
	s_or_b64 exec, exec, s[14:15]
	v_and_b32_e32 v14, 1, v0
	v_lshlrev_b32_e32 v14, 2, v14
	s_waitcnt lgkmcnt(0)
	s_barrier
	ds_read_b32 v15, v14 offset:8
	s_load_dwordx2 s[14:15], s[4:5], 0x18
	s_waitcnt lgkmcnt(0)
	v_mov_b32_dpp v16, v15 quad_perm:[1,0,3,2] row_mask:0xf bank_mask:0xf
	s_and_saveexec_b64 s[20:21], s[2:3]
	s_cbranch_execz .LBB420_7
; %bb.6:
	v_cvt_f32_u32_e32 v17, s7
	v_add_f32_e32 v15, v15, v16
	v_mov_b32_e32 v19, s13
	v_mov_b32_e32 v20, s12
	v_div_scale_f32 v16, s[26:27], v17, v17, v15
	v_rcp_f32_e32 v18, v16
	v_cndmask_b32_e32 v19, v19, v20, vcc
	s_mov_b32 s7, 0x800000
	v_fma_f32 v20, -v16, v18, 1.0
	v_fmac_f32_e32 v18, v20, v18
	v_div_scale_f32 v20, vcc, v15, v17, v15
	v_mul_f32_e32 v21, v20, v18
	v_fma_f32 v22, -v16, v21, v20
	v_fmac_f32_e32 v21, v22, v18
	v_fma_f32 v16, -v16, v21, v20
	v_div_fmas_f32 v16, v16, v18, v21
	v_div_fixup_f32 v15, v16, v17, v15
	v_add_f32_e32 v15, v19, v15
	v_mul_f32_e32 v16, 0x4b800000, v15
	v_cmp_gt_f32_e32 vcc, s7, v15
	v_cndmask_b32_e32 v15, v15, v16, vcc
	v_rsq_f32_e32 v15, v15
	s_waitcnt vmcnt(0)
	v_cvt_f32_u32_sdwa v19, v2 dst_sel:DWORD dst_unused:UNUSED_PAD src0_sel:WORD_1
	v_cvt_f32_u32_sdwa v18, v2 dst_sel:DWORD dst_unused:UNUSED_PAD src0_sel:WORD_0
	v_cvt_f32_u32_sdwa v21, v3 dst_sel:DWORD dst_unused:UNUSED_PAD src0_sel:WORD_1
	v_mul_f32_e32 v16, 0x45800000, v15
	v_cndmask_b32_e32 v16, v15, v16, vcc
	v_mov_b32_e32 v17, v16
	;;#ASMSTART
	v_pk_mul_f32 v[8:9], v[8:9], v[16:17]
	;;#ASMEND
	;;#ASMSTART
	v_pk_mul_f32 v[12:13], v[12:13], v[16:17]
	;;#ASMEND
	;; [unrolled: 3-line block ×3, first 2 shown]
	v_cvt_f32_u32_sdwa v20, v3 dst_sel:DWORD dst_unused:UNUSED_PAD src0_sel:WORD_0
	;;#ASMSTART
	v_pk_mul_f32 v[2:3], v[6:7], v[16:17]
	;;#ASMEND
	v_cvt_f32_u32_sdwa v17, v4 dst_sel:DWORD dst_unused:UNUSED_PAD src0_sel:WORD_1
	v_cvt_f32_u32_sdwa v16, v4 dst_sel:DWORD dst_unused:UNUSED_PAD src0_sel:WORD_0
	v_pk_add_f32 v[6:7], v[18:19], 1.0 op_sel_hi:[1,0]
	v_cvt_f32_u32_sdwa v19, v5 dst_sel:DWORD dst_unused:UNUSED_PAD src0_sel:WORD_1
	v_cvt_f32_u32_sdwa v18, v5 dst_sel:DWORD dst_unused:UNUSED_PAD src0_sel:WORD_0
	;;#ASMSTART
	v_pk_mul_f32 v[8:9], v[8:9], v[6:7]
	;;#ASMEND
	v_pk_add_f32 v[6:7], v[20:21], 1.0 op_sel_hi:[1,0]
	v_pk_add_f32 v[4:5], v[16:17], 1.0 op_sel_hi:[1,0]
	;;#ASMSTART
	v_pk_mul_f32 v[12:13], v[12:13], v[6:7]
	;;#ASMEND
	;;#ASMSTART
	v_pk_mul_f32 v[10:11], v[10:11], v[4:5]
	;;#ASMEND
	v_pk_add_f32 v[4:5], v[18:19], 1.0 op_sel_hi:[1,0]
	;;#ASMSTART
	v_pk_mul_f32 v[6:7], v[2:3], v[4:5]
	;;#ASMEND
.LBB420_7:
	s_or_b64 exec, exec, s[20:21]
	s_load_dwordx2 s[26:27], s[4:5], 0x7c
	s_mov_b64 s[20:21], -1
	s_and_b64 vcc, exec, s[10:11]
	s_cbranch_vccnz .LBB420_11
; %bb.8:
	s_andn2_b64 vcc, exec, s[20:21]
	s_cbranch_vccz .LBB420_14
.LBB420_9:
	s_cmp_lt_i32 s16, 1
	s_cbranch_scc0 .LBB420_17
.LBB420_10:
	s_endpgm
.LBB420_11:
	s_and_saveexec_b64 s[10:11], s[2:3]
	s_cbranch_execz .LBB420_13
; %bb.12:
	s_waitcnt lgkmcnt(0)
	s_mul_hi_i32 s21, s27, s6
	s_mul_i32 s20, s27, s6
	s_lshl_b64 s[20:21], s[20:21], 1
	s_add_u32 s20, s14, s20
	s_addc_u32 s7, s15, s21
	s_and_b32 s21, s7, 0xffff
	s_mov_b32 s7, 0x7060302
	s_mov_b32 s23, 0x20000
	s_waitcnt vmcnt(0)
	v_perm_b32 v2, v9, v8, s7
	v_perm_b32 v3, v13, v12, s7
	;; [unrolled: 1-line block ×4, first 2 shown]
	v_lshlrev_b32_e32 v15, 4, v0
	buffer_store_dwordx4 v[2:5], v15, s[20:23], 0 offen
	;;#ASMSTART
	s_nop 0
	;;#ASMEND
.LBB420_13:
	s_or_b64 exec, exec, s[10:11]
	s_cbranch_execnz .LBB420_9
.LBB420_14:
	s_and_saveexec_b64 s[10:11], s[2:3]
	s_cbranch_execz .LBB420_16
; %bb.15:
	s_load_dwordx2 s[2:3], s[4:5], 0x10
	s_waitcnt lgkmcnt(0)
	s_mul_hi_i32 s21, s26, s6
	s_mul_i32 s20, s26, s6
	s_lshl_b64 s[20:21], s[20:21], 1
	s_mov_b32 s23, 0x20000
	s_add_u32 s20, s2, s20
	s_addc_u32 s2, s3, s21
	s_and_b32 s21, s2, 0xffff
	s_mov_b32 s2, 0x7060302
	s_waitcnt vmcnt(0)
	v_perm_b32 v2, v9, v8, s2
	v_perm_b32 v3, v13, v12, s2
	;; [unrolled: 1-line block ×4, first 2 shown]
	v_lshlrev_b32_e32 v6, 4, v0
	buffer_store_dwordx4 v[2:5], v6, s[20:23], 0 offen
	;;#ASMSTART
	s_nop 0
	;;#ASMEND
.LBB420_16:
	s_or_b64 exec, exec, s[10:11]
	s_cmp_lt_i32 s16, 1
	s_cbranch_scc1 .LBB420_10
.LBB420_17:
	s_load_dword s2, s[4:5], 0x94
	s_waitcnt lgkmcnt(0)
	s_cmp_lg_u32 s2, 1
	s_cbranch_scc1 .LBB420_10
; %bb.18:
	s_lshl_b32 s2, s16, 1
	s_add_i32 s2, s2, 2
	v_cmp_gt_u32_e32 vcc, s16, v1
	s_and_b32 s10, s2, -4
	v_mov_b32_e32 v6, 0
	v_lshlrev_b32_e32 v1, 4, v0
	v_mov_b32_e32 v7, 0
	v_mov_b32_e32 v8, 0
	;; [unrolled: 1-line block ×3, first 2 shown]
	s_waitcnt vmcnt(0)
	v_mov_b32_e32 v2, 0
	v_mov_b32_e32 v3, 0
	v_mov_b32_e32 v4, 0
	v_mov_b32_e32 v5, 0
	s_barrier
	s_and_saveexec_b64 s[2:3], vcc
	s_cbranch_execz .LBB420_20
; %bb.19:
	s_mul_hi_i32 s5, s18, s6
	s_mul_i32 s4, s18, s6
	s_and_b32 s9, s9, 0xffff
	s_lshl_b64 s[4:5], s[4:5], 1
	s_add_u32 s20, s24, s4
	s_mov_b32 s11, 0x20000
	s_addc_u32 s4, s25, s5
	s_and_b32 s21, s4, 0xffff
	s_mov_b32 s22, s10
	s_mov_b32 s23, s11
	buffer_load_dwordx4 v[6:9], v1, s[20:23], 0 offen glc slc
	buffer_load_dwordx4 v[2:5], v1, s[8:11], 0 offen
.LBB420_20:
	s_or_b64 exec, exec, s[2:3]
	s_waitcnt vmcnt(1)
	v_cvt_f32_u32_sdwa v13, v6 dst_sel:DWORD dst_unused:UNUSED_PAD src0_sel:WORD_1
	v_cvt_f32_u32_sdwa v12, v6 dst_sel:DWORD dst_unused:UNUSED_PAD src0_sel:WORD_0
	v_cvt_f32_u32_sdwa v6, v9 dst_sel:DWORD dst_unused:UNUSED_PAD src0_sel:WORD_1
	v_cvt_f32_u32_sdwa v9, v9 dst_sel:DWORD dst_unused:UNUSED_PAD src0_sel:WORD_0
	;; [unrolled: 2-line block ×4, first 2 shown]
	v_cndmask_b32_e32 v13, 0, v13, vcc
	v_cndmask_b32_e32 v7, 0, v6, vcc
	;; [unrolled: 1-line block ×5, first 2 shown]
	v_mul_f32_e32 v15, v13, v13
	v_cndmask_b32_e32 v10, 0, v10, vcc
	v_fmac_f32_e32 v15, v12, v12
	v_cndmask_b32_e32 v11, 0, v11, vcc
	v_fmac_f32_e32 v15, v10, v10
	;; [unrolled: 2-line block ×3, first 2 shown]
	v_fmac_f32_e32 v15, v8, v8
	v_fmac_f32_e32 v15, v9, v9
	;; [unrolled: 1-line block ×4, first 2 shown]
	s_nop 1
	v_mov_b32_dpp v16, v15 quad_perm:[1,0,3,2] row_mask:0xf bank_mask:0xf
	v_add_f32_e32 v15, v15, v16
	s_nop 1
	v_mov_b32_dpp v16, v15 quad_perm:[2,3,0,1] row_mask:0xf bank_mask:0xf
	v_add_f32_e32 v15, v15, v16
	s_nop 1
	v_mov_b32_dpp v16, v15 row_half_mirror row_mask:0xf bank_mask:0xf
	v_add_f32_e32 v15, v15, v16
	s_nop 1
	v_mov_b32_dpp v16, v15 row_mirror row_mask:0xf bank_mask:0xf
	v_add_f32_e32 v15, v15, v16
	s_nop 1
	v_mov_b32_dpp v16, v15 row_bcast:15 row_mask:0xf bank_mask:0xf
	v_add_f32_e32 v15, v15, v16
	s_nop 1
	v_mov_b32_dpp v16, v15 row_bcast:31 row_mask:0xf bank_mask:0xf
	s_and_saveexec_b64 s[2:3], s[0:1]
	s_cbranch_execz .LBB420_22
; %bb.21:
	v_lshrrev_b32_e32 v0, 4, v0
	v_add_f32_e32 v15, v15, v16
	v_and_b32_e32 v0, 60, v0
	ds_write_b32 v0, v15
.LBB420_22:
	s_or_b64 exec, exec, s[2:3]
	s_waitcnt lgkmcnt(0)
	s_barrier
	ds_read_b32 v0, v14
	s_waitcnt lgkmcnt(0)
	s_nop 0
	v_mov_b32_dpp v14, v0 quad_perm:[1,0,3,2] row_mask:0xf bank_mask:0xf
	s_and_saveexec_b64 s[0:1], vcc
	s_cbranch_execz .LBB420_10
; %bb.23:
	v_cvt_f32_u32_e32 v15, s16
	v_add_f32_e32 v0, v0, v14
	s_mov_b32 s11, 0x20000
	v_div_scale_f32 v14, s[0:1], v15, v15, v0
	v_rcp_f32_e32 v16, v14
	v_div_scale_f32 v17, vcc, v0, v15, v0
	s_mov_b32 s0, 0x800000
	v_fma_f32 v18, -v14, v16, 1.0
	v_fmac_f32_e32 v16, v18, v16
	v_mul_f32_e32 v18, v17, v16
	v_fma_f32 v19, -v14, v18, v17
	v_fmac_f32_e32 v18, v19, v16
	v_fma_f32 v14, -v14, v18, v17
	v_div_fmas_f32 v14, v14, v16, v18
	v_div_fixup_f32 v0, v14, v15, v0
	v_add_f32_e32 v0, s13, v0
	v_mul_f32_e32 v14, 0x4b800000, v0
	v_cmp_gt_f32_e32 vcc, s0, v0
	v_cndmask_b32_e32 v0, v0, v14, vcc
	v_rsq_f32_e32 v0, v0
	s_waitcnt vmcnt(0)
	v_cvt_f32_u32_sdwa v17, v2 dst_sel:DWORD dst_unused:UNUSED_PAD src0_sel:WORD_1
	v_cvt_f32_u32_sdwa v16, v2 dst_sel:DWORD dst_unused:UNUSED_PAD src0_sel:WORD_0
	v_cvt_f32_u32_sdwa v19, v3 dst_sel:DWORD dst_unused:UNUSED_PAD src0_sel:WORD_1
	v_mul_f32_e32 v14, 0x45800000, v0
	v_cndmask_b32_e32 v14, v0, v14, vcc
	v_mov_b32_e32 v15, v14
	;;#ASMSTART
	v_pk_mul_f32 v[12:13], v[12:13], v[14:15]
	;;#ASMEND
	;;#ASMSTART
	v_pk_mul_f32 v[10:11], v[10:11], v[14:15]
	;;#ASMEND
	;; [unrolled: 3-line block ×3, first 2 shown]
	v_cvt_f32_u32_sdwa v18, v3 dst_sel:DWORD dst_unused:UNUSED_PAD src0_sel:WORD_0
	;;#ASMSTART
	v_pk_mul_f32 v[2:3], v[6:7], v[14:15]
	;;#ASMEND
	v_cvt_f32_u32_sdwa v15, v4 dst_sel:DWORD dst_unused:UNUSED_PAD src0_sel:WORD_1
	v_cvt_f32_u32_sdwa v14, v4 dst_sel:DWORD dst_unused:UNUSED_PAD src0_sel:WORD_0
	v_pk_add_f32 v[6:7], v[16:17], 1.0 op_sel_hi:[1,0]
	v_cvt_f32_u32_sdwa v17, v5 dst_sel:DWORD dst_unused:UNUSED_PAD src0_sel:WORD_1
	v_cvt_f32_u32_sdwa v16, v5 dst_sel:DWORD dst_unused:UNUSED_PAD src0_sel:WORD_0
	s_mul_hi_i32 s1, s27, s6
	s_mul_i32 s0, s27, s6
	s_lshl_b64 s[0:1], s[0:1], 1
	s_add_u32 s8, s14, s0
	;;#ASMSTART
	v_pk_mul_f32 v[6:7], v[12:13], v[6:7]
	;;#ASMEND
	v_pk_add_f32 v[12:13], v[18:19], 1.0 op_sel_hi:[1,0]
	;;#ASMSTART
	v_pk_mul_f32 v[4:5], v[10:11], v[12:13]
	;;#ASMEND
	v_pk_add_f32 v[10:11], v[14:15], 1.0 op_sel_hi:[1,0]
	s_addc_u32 s0, s15, s1
	;;#ASMSTART
	v_pk_mul_f32 v[8:9], v[8:9], v[10:11]
	;;#ASMEND
	v_pk_add_f32 v[10:11], v[16:17], 1.0 op_sel_hi:[1,0]
	s_and_b32 s9, s0, 0xffff
	s_mov_b32 s0, 0x7060302
	;;#ASMSTART
	v_pk_mul_f32 v[10:11], v[2:3], v[10:11]
	;;#ASMEND
	v_perm_b32 v2, v7, v6, s0
	v_perm_b32 v3, v5, v4, s0
	;; [unrolled: 1-line block ×4, first 2 shown]
	buffer_store_dwordx4 v[2:5], v1, s[8:11], 0 offen
	;;#ASMSTART
	s_nop 0
	;;#ASMEND
	s_endpgm
	.section	.rodata,"a",@progbits
	.p2align	6, 0x0
	.amdhsa_kernel _ZN5aiter35fused_qk_rmsnorm_group_quant_kernelItN4opus5fp4_tELi128ELi8ELi4ELb0ELb1ELb1ELb1ELb0ELb0EEEvPT0_PvPT_S7_S7_PKS6_S9_S9_S9_S9_ffiiiiiiiiiiiii
		.amdhsa_group_segment_fixed_size 16
		.amdhsa_private_segment_fixed_size 0
		.amdhsa_kernarg_size 400
		.amdhsa_user_sgpr_count 6
		.amdhsa_user_sgpr_private_segment_buffer 1
		.amdhsa_user_sgpr_dispatch_ptr 0
		.amdhsa_user_sgpr_queue_ptr 0
		.amdhsa_user_sgpr_kernarg_segment_ptr 1
		.amdhsa_user_sgpr_dispatch_id 0
		.amdhsa_user_sgpr_flat_scratch_init 0
		.amdhsa_user_sgpr_kernarg_preload_length 0
		.amdhsa_user_sgpr_kernarg_preload_offset 0
		.amdhsa_user_sgpr_private_segment_size 0
		.amdhsa_uses_dynamic_stack 0
		.amdhsa_system_sgpr_private_segment_wavefront_offset 0
		.amdhsa_system_sgpr_workgroup_id_x 1
		.amdhsa_system_sgpr_workgroup_id_y 1
		.amdhsa_system_sgpr_workgroup_id_z 0
		.amdhsa_system_sgpr_workgroup_info 0
		.amdhsa_system_vgpr_workitem_id 0
		.amdhsa_next_free_vgpr 23
		.amdhsa_next_free_sgpr 32
		.amdhsa_accum_offset 24
		.amdhsa_reserve_vcc 1
		.amdhsa_reserve_flat_scratch 0
		.amdhsa_float_round_mode_32 0
		.amdhsa_float_round_mode_16_64 0
		.amdhsa_float_denorm_mode_32 3
		.amdhsa_float_denorm_mode_16_64 3
		.amdhsa_dx10_clamp 1
		.amdhsa_ieee_mode 1
		.amdhsa_fp16_overflow 0
		.amdhsa_tg_split 0
		.amdhsa_exception_fp_ieee_invalid_op 0
		.amdhsa_exception_fp_denorm_src 0
		.amdhsa_exception_fp_ieee_div_zero 0
		.amdhsa_exception_fp_ieee_overflow 0
		.amdhsa_exception_fp_ieee_underflow 0
		.amdhsa_exception_fp_ieee_inexact 0
		.amdhsa_exception_int_div_zero 0
	.end_amdhsa_kernel
	.section	.text._ZN5aiter35fused_qk_rmsnorm_group_quant_kernelItN4opus5fp4_tELi128ELi8ELi4ELb0ELb1ELb1ELb1ELb0ELb0EEEvPT0_PvPT_S7_S7_PKS6_S9_S9_S9_S9_ffiiiiiiiiiiiii,"axG",@progbits,_ZN5aiter35fused_qk_rmsnorm_group_quant_kernelItN4opus5fp4_tELi128ELi8ELi4ELb0ELb1ELb1ELb1ELb0ELb0EEEvPT0_PvPT_S7_S7_PKS6_S9_S9_S9_S9_ffiiiiiiiiiiiii,comdat
.Lfunc_end420:
	.size	_ZN5aiter35fused_qk_rmsnorm_group_quant_kernelItN4opus5fp4_tELi128ELi8ELi4ELb0ELb1ELb1ELb1ELb0ELb0EEEvPT0_PvPT_S7_S7_PKS6_S9_S9_S9_S9_ffiiiiiiiiiiiii, .Lfunc_end420-_ZN5aiter35fused_qk_rmsnorm_group_quant_kernelItN4opus5fp4_tELi128ELi8ELi4ELb0ELb1ELb1ELb1ELb0ELb0EEEvPT0_PvPT_S7_S7_PKS6_S9_S9_S9_S9_ffiiiiiiiiiiiii
                                        ; -- End function
	.section	.AMDGPU.csdata,"",@progbits
; Kernel info:
; codeLenInByte = 2060
; NumSgprs: 36
; NumVgprs: 23
; NumAgprs: 0
; TotalNumVgprs: 23
; ScratchSize: 0
; MemoryBound: 0
; FloatMode: 240
; IeeeMode: 1
; LDSByteSize: 16 bytes/workgroup (compile time only)
; SGPRBlocks: 4
; VGPRBlocks: 2
; NumSGPRsForWavesPerEU: 36
; NumVGPRsForWavesPerEU: 23
; AccumOffset: 24
; Occupancy: 8
; WaveLimiterHint : 0
; COMPUTE_PGM_RSRC2:SCRATCH_EN: 0
; COMPUTE_PGM_RSRC2:USER_SGPR: 6
; COMPUTE_PGM_RSRC2:TRAP_HANDLER: 0
; COMPUTE_PGM_RSRC2:TGID_X_EN: 1
; COMPUTE_PGM_RSRC2:TGID_Y_EN: 1
; COMPUTE_PGM_RSRC2:TGID_Z_EN: 0
; COMPUTE_PGM_RSRC2:TIDIG_COMP_CNT: 0
; COMPUTE_PGM_RSRC3_GFX90A:ACCUM_OFFSET: 5
; COMPUTE_PGM_RSRC3_GFX90A:TG_SPLIT: 0
	.section	.text._ZN5aiter35fused_qk_rmsnorm_group_quant_kernelIDF16_DB8_Li128ELi8ELi4ELb0ELb1ELb0ELb1ELb0ELb0EEEvPT0_PvPT_S6_S6_PKS5_S8_S8_S8_S8_ffiiiiiiiiiiiii,"axG",@progbits,_ZN5aiter35fused_qk_rmsnorm_group_quant_kernelIDF16_DB8_Li128ELi8ELi4ELb0ELb1ELb0ELb1ELb0ELb0EEEvPT0_PvPT_S6_S6_PKS5_S8_S8_S8_S8_ffiiiiiiiiiiiii,comdat
	.protected	_ZN5aiter35fused_qk_rmsnorm_group_quant_kernelIDF16_DB8_Li128ELi8ELi4ELb0ELb1ELb0ELb1ELb0ELb0EEEvPT0_PvPT_S6_S6_PKS5_S8_S8_S8_S8_ffiiiiiiiiiiiii ; -- Begin function _ZN5aiter35fused_qk_rmsnorm_group_quant_kernelIDF16_DB8_Li128ELi8ELi4ELb0ELb1ELb0ELb1ELb0ELb0EEEvPT0_PvPT_S6_S6_PKS5_S8_S8_S8_S8_ffiiiiiiiiiiiii
	.globl	_ZN5aiter35fused_qk_rmsnorm_group_quant_kernelIDF16_DB8_Li128ELi8ELi4ELb0ELb1ELb0ELb1ELb0ELb0EEEvPT0_PvPT_S6_S6_PKS5_S8_S8_S8_S8_ffiiiiiiiiiiiii
	.p2align	8
	.type	_ZN5aiter35fused_qk_rmsnorm_group_quant_kernelIDF16_DB8_Li128ELi8ELi4ELb0ELb1ELb0ELb1ELb0ELb0EEEvPT0_PvPT_S6_S6_PKS5_S8_S8_S8_S8_ffiiiiiiiiiiiii,@function
_ZN5aiter35fused_qk_rmsnorm_group_quant_kernelIDF16_DB8_Li128ELi8ELi4ELb0ELb1ELb0ELb1ELb0ELb0EEEvPT0_PvPT_S6_S6_PKS5_S8_S8_S8_S8_ffiiiiiiiiiiiii: ; @_ZN5aiter35fused_qk_rmsnorm_group_quant_kernelIDF16_DB8_Li128ELi8ELi4ELb0ELb1ELb0ELb1ELb0ELb0EEEvPT0_PvPT_S6_S6_PKS5_S8_S8_S8_S8_ffiiiiiiiiiiiii
; %bb.0:
	s_load_dwordx4 s[12:15], s[4:5], 0x50
	s_waitcnt lgkmcnt(0)
	s_cmp_ge_i32 s6, s14
	s_cbranch_scc1 .LBB421_12
; %bb.1:
	s_load_dwordx2 s[24:25], s[4:5], 0x30
	s_load_dwordx2 s[8:9], s[4:5], 0x48
	s_load_dwordx4 s[16:19], s[4:5], 0x60
	s_cmp_lg_u32 s7, 0
	s_cselect_b64 s[10:11], -1, 0
	s_cmp_eq_u32 s7, 0
	s_cselect_b64 vcc, -1, 0
	s_and_b64 s[0:1], vcc, exec
	s_waitcnt lgkmcnt(0)
	s_cselect_b32 s7, s15, s16
	s_add_i32 s0, s7, 1
	s_lshr_b32 s1, s0, 31
	s_add_i32 s0, s0, s1
	s_lshl_b32 s0, s0, 1
	v_lshlrev_b32_e32 v1, 3, v0
	s_and_b32 s22, s0, -4
	v_cmp_gt_i32_e64 s[2:3], s7, v1
	v_mov_b32_e32 v10, 0
	v_mov_b32_e32 v2, 0
	;; [unrolled: 1-line block ×9, first 2 shown]
	s_and_saveexec_b64 s[0:1], s[2:3]
	s_cbranch_execz .LBB421_3
; %bb.2:
	s_load_dwordx2 s[14:15], s[4:5], 0x28
	s_load_dwordx2 s[20:21], s[4:5], 0x40
	s_and_b64 s[26:27], vcc, exec
	s_cselect_b32 s17, s17, s18
	v_lshlrev_b32_e32 v11, 4, v0
	s_waitcnt lgkmcnt(0)
	s_cselect_b32 s19, s15, s25
	s_cselect_b32 s23, s14, s24
	s_mul_hi_i32 s15, s17, s6
	s_mul_i32 s14, s17, s6
	s_lshl_b64 s[14:15], s[14:15], 1
	s_add_u32 s28, s23, s14
	s_addc_u32 s17, s19, s15
	s_and_b64 s[14:15], vcc, exec
	s_mov_b32 s23, 0x20000
	s_cselect_b32 s20, s20, s8
	s_cselect_b32 s14, s21, s9
	s_and_b32 s29, s17, 0xffff
	s_mov_b32 s30, s22
	s_mov_b32 s31, s23
	s_and_b32 s21, s14, 0xffff
	buffer_load_dwordx4 v[6:9], v11, s[28:31], 0 offen glc slc
	buffer_load_dwordx4 v[2:5], v11, s[20:23], 0 offen
.LBB421_3:
	s_or_b64 exec, exec, s[0:1]
	v_mov_b32_e32 v11, 0
	v_mov_b32_e32 v12, 0
	;; [unrolled: 1-line block ×7, first 2 shown]
	s_and_saveexec_b64 s[0:1], s[2:3]
	s_cbranch_execz .LBB421_5
; %bb.4:
	s_waitcnt vmcnt(1)
	v_cvt_f32_f16_sdwa v11, v6 dst_sel:DWORD dst_unused:UNUSED_PAD src0_sel:WORD_1
	v_cvt_f32_f16_e32 v10, v6
	v_cvt_f32_f16_sdwa v13, v7 dst_sel:DWORD dst_unused:UNUSED_PAD src0_sel:WORD_1
	v_cvt_f32_f16_e32 v12, v7
	;; [unrolled: 2-line block ×4, first 2 shown]
.LBB421_5:
	s_or_b64 exec, exec, s[0:1]
	s_waitcnt vmcnt(1)
	v_mul_f32_e32 v6, v11, v11
	v_fmac_f32_e32 v6, v10, v10
	v_fmac_f32_e32 v6, v12, v12
	;; [unrolled: 1-line block ×7, first 2 shown]
	v_and_b32_e32 v8, 63, v0
	v_cmp_eq_u32_e64 s[0:1], 63, v8
	v_mov_b32_dpp v7, v6 quad_perm:[1,0,3,2] row_mask:0xf bank_mask:0xf
	v_add_f32_e32 v6, v6, v7
	s_nop 1
	v_mov_b32_dpp v7, v6 quad_perm:[2,3,0,1] row_mask:0xf bank_mask:0xf
	v_add_f32_e32 v6, v6, v7
	s_nop 1
	v_mov_b32_dpp v7, v6 row_half_mirror row_mask:0xf bank_mask:0xf
	v_add_f32_e32 v6, v6, v7
	s_nop 1
	v_mov_b32_dpp v7, v6 row_mirror row_mask:0xf bank_mask:0xf
	v_add_f32_e32 v6, v6, v7
	s_nop 1
	v_mov_b32_dpp v7, v6 row_bcast:15 row_mask:0xf bank_mask:0xf
	v_add_f32_e32 v6, v6, v7
	s_nop 1
	v_mov_b32_dpp v7, v6 row_bcast:31 row_mask:0xf bank_mask:0xf
	s_and_saveexec_b64 s[14:15], s[0:1]
	s_cbranch_execz .LBB421_7
; %bb.6:
	v_add_f32_e32 v6, v6, v7
	v_lshrrev_b32_e32 v7, 4, v0
	v_and_b32_e32 v7, 60, v7
	ds_write_b32 v7, v6 offset:8
.LBB421_7:
	s_or_b64 exec, exec, s[14:15]
	v_and_b32_e32 v6, 1, v0
	v_lshlrev_b32_e32 v18, 2, v6
	s_waitcnt lgkmcnt(0)
	s_barrier
	ds_read_b32 v6, v18 offset:8
	s_load_dwordx2 s[14:15], s[4:5], 0x18
	s_waitcnt lgkmcnt(0)
	v_mov_b32_dpp v7, v6 quad_perm:[1,0,3,2] row_mask:0xf bank_mask:0xf
	s_and_saveexec_b64 s[20:21], s[2:3]
	s_cbranch_execz .LBB421_9
; %bb.8:
	v_cvt_f32_u32_e32 v8, s7
	v_add_f32_e32 v6, v6, v7
	v_mov_b32_e32 v19, s13
	v_mov_b32_e32 v20, s12
	v_div_scale_f32 v7, s[26:27], v8, v8, v6
	v_rcp_f32_e32 v9, v7
	v_cndmask_b32_e32 v19, v19, v20, vcc
	s_mov_b32 s7, 0x800000
	v_fma_f32 v20, -v7, v9, 1.0
	v_fmac_f32_e32 v9, v20, v9
	v_div_scale_f32 v20, vcc, v6, v8, v6
	v_mul_f32_e32 v21, v20, v9
	v_fma_f32 v22, -v7, v21, v20
	v_fmac_f32_e32 v21, v22, v9
	v_fma_f32 v7, -v7, v21, v20
	v_div_fmas_f32 v7, v7, v9, v21
	v_div_fixup_f32 v6, v7, v8, v6
	v_add_f32_e32 v6, v19, v6
	v_mul_f32_e32 v7, 0x4b800000, v6
	v_cmp_gt_f32_e32 vcc, s7, v6
	v_cndmask_b32_e32 v6, v6, v7, vcc
	v_rsq_f32_e32 v6, v6
	s_waitcnt vmcnt(0)
	v_cvt_f32_f16_sdwa v21, v5 dst_sel:DWORD dst_unused:UNUSED_PAD src0_sel:WORD_1
	v_cvt_f32_f16_e32 v20, v5
	v_mul_f32_e32 v7, 0x45800000, v6
	v_cndmask_b32_e32 v6, v6, v7, vcc
	v_mov_b32_e32 v7, v6
	;;#ASMSTART
	v_pk_mul_f32 v[8:9], v[10:11], v[6:7]
	;;#ASMEND
	;;#ASMSTART
	v_pk_mul_f32 v[12:13], v[12:13], v[6:7]
	;;#ASMEND
	;; [unrolled: 3-line block ×4, first 2 shown]
	v_cvt_f32_f16_sdwa v11, v2 dst_sel:DWORD dst_unused:UNUSED_PAD src0_sel:WORD_1
	v_cvt_f32_f16_e32 v10, v2
	v_cvt_f32_f16_sdwa v17, v3 dst_sel:DWORD dst_unused:UNUSED_PAD src0_sel:WORD_1
	v_cvt_f32_f16_e32 v16, v3
	;; [unrolled: 2-line block ×3, first 2 shown]
	;;#ASMSTART
	v_pk_mul_f32 v[10:11], v[8:9], v[10:11]
	;;#ASMEND
	;;#ASMSTART
	v_pk_mul_f32 v[12:13], v[12:13], v[16:17]
	;;#ASMEND
	;; [unrolled: 3-line block ×4, first 2 shown]
.LBB421_9:
	s_or_b64 exec, exec, s[20:21]
	s_load_dwordx2 s[26:27], s[4:5], 0x7c
	s_mov_b64 s[20:21], -1
	s_and_b64 vcc, exec, s[10:11]
	s_cbranch_vccnz .LBB421_13
; %bb.10:
	s_andn2_b64 vcc, exec, s[20:21]
	s_cbranch_vccz .LBB421_16
.LBB421_11:
	s_cmp_lt_i32 s16, 1
	s_cbranch_scc0 .LBB421_19
.LBB421_12:
	s_endpgm
.LBB421_13:
	s_and_saveexec_b64 s[10:11], s[2:3]
	s_cbranch_execz .LBB421_15
; %bb.14:
	s_waitcnt lgkmcnt(0)
	s_mul_hi_i32 s21, s27, s6
	s_mul_i32 s20, s27, s6
	s_waitcnt vmcnt(0)
	v_cvt_f16_f32_e32 v2, v10
	v_cvt_f16_f32_e32 v3, v12
	;; [unrolled: 1-line block ×8, first 2 shown]
	s_lshl_b64 s[20:21], s[20:21], 1
	s_add_u32 s20, s14, s20
	s_addc_u32 s7, s15, s21
	s_and_b32 s21, s7, 0xffff
	s_mov_b32 s23, 0x20000
	v_pack_b32_f16 v5, v5, v6
	v_pack_b32_f16 v4, v4, v7
	;; [unrolled: 1-line block ×4, first 2 shown]
	v_lshlrev_b32_e32 v6, 4, v0
	buffer_store_dwordx4 v[2:5], v6, s[20:23], 0 offen
	;;#ASMSTART
	s_nop 0
	;;#ASMEND
.LBB421_15:
	s_or_b64 exec, exec, s[10:11]
	s_cbranch_execnz .LBB421_11
.LBB421_16:
	s_and_saveexec_b64 s[10:11], s[2:3]
	s_cbranch_execz .LBB421_18
; %bb.17:
	s_load_dwordx2 s[2:3], s[4:5], 0x10
	s_waitcnt lgkmcnt(0)
	s_mul_hi_i32 s21, s26, s6
	s_mul_i32 s20, s26, s6
	s_waitcnt vmcnt(0)
	v_cvt_f16_f32_e32 v2, v10
	v_cvt_f16_f32_e32 v3, v12
	;; [unrolled: 1-line block ×8, first 2 shown]
	s_lshl_b64 s[20:21], s[20:21], 1
	s_add_u32 s20, s2, s20
	s_addc_u32 s2, s3, s21
	s_mov_b32 s23, 0x20000
	s_and_b32 s21, s2, 0xffff
	v_pack_b32_f16 v5, v5, v6
	v_pack_b32_f16 v4, v4, v7
	v_pack_b32_f16 v3, v3, v8
	v_pack_b32_f16 v2, v2, v9
	v_lshlrev_b32_e32 v6, 4, v0
	buffer_store_dwordx4 v[2:5], v6, s[20:23], 0 offen
	;;#ASMSTART
	s_nop 0
	;;#ASMEND
.LBB421_18:
	s_or_b64 exec, exec, s[10:11]
	s_cmp_lt_i32 s16, 1
	s_cbranch_scc1 .LBB421_12
.LBB421_19:
	s_load_dword s2, s[4:5], 0x94
	s_waitcnt lgkmcnt(0)
	s_cmp_lg_u32 s2, 1
	s_cbranch_scc1 .LBB421_12
; %bb.20:
	s_lshl_b32 s2, s16, 1
	s_add_i32 s2, s2, 2
	v_cmp_gt_u32_e32 vcc, s16, v1
	s_and_b32 s10, s2, -4
	v_mov_b32_e32 v10, 0
	v_lshlrev_b32_e32 v1, 4, v0
	v_mov_b32_e32 v6, 0
	v_mov_b32_e32 v7, 0
	;; [unrolled: 1-line block ×4, first 2 shown]
	s_waitcnt vmcnt(0)
	v_mov_b32_e32 v2, 0
	v_mov_b32_e32 v3, 0
	;; [unrolled: 1-line block ×4, first 2 shown]
	s_barrier
	s_and_saveexec_b64 s[2:3], vcc
	s_cbranch_execz .LBB421_22
; %bb.21:
	s_mul_hi_i32 s5, s18, s6
	s_mul_i32 s4, s18, s6
	s_and_b32 s9, s9, 0xffff
	s_lshl_b64 s[4:5], s[4:5], 1
	s_add_u32 s20, s24, s4
	s_mov_b32 s11, 0x20000
	s_addc_u32 s4, s25, s5
	s_and_b32 s21, s4, 0xffff
	s_mov_b32 s22, s10
	s_mov_b32 s23, s11
	buffer_load_dwordx4 v[6:9], v1, s[20:23], 0 offen glc slc
	buffer_load_dwordx4 v[2:5], v1, s[8:11], 0 offen
.LBB421_22:
	s_or_b64 exec, exec, s[2:3]
	v_mov_b32_e32 v11, 0
	v_mov_b32_e32 v16, 0
	;; [unrolled: 1-line block ×7, first 2 shown]
	s_and_saveexec_b64 s[2:3], vcc
	s_cbranch_execz .LBB421_24
; %bb.23:
	s_waitcnt vmcnt(1)
	v_cvt_f32_f16_sdwa v11, v6 dst_sel:DWORD dst_unused:UNUSED_PAD src0_sel:WORD_1
	v_cvt_f32_f16_e32 v10, v6
	v_cvt_f32_f16_sdwa v17, v7 dst_sel:DWORD dst_unused:UNUSED_PAD src0_sel:WORD_1
	v_cvt_f32_f16_e32 v16, v7
	;; [unrolled: 2-line block ×4, first 2 shown]
.LBB421_24:
	s_or_b64 exec, exec, s[2:3]
	s_waitcnt vmcnt(1)
	v_mul_f32_e32 v6, v11, v11
	v_fmac_f32_e32 v6, v10, v10
	v_fmac_f32_e32 v6, v16, v16
	;; [unrolled: 1-line block ×7, first 2 shown]
	s_nop 1
	v_mov_b32_dpp v7, v6 quad_perm:[1,0,3,2] row_mask:0xf bank_mask:0xf
	v_add_f32_e32 v6, v6, v7
	s_nop 1
	v_mov_b32_dpp v7, v6 quad_perm:[2,3,0,1] row_mask:0xf bank_mask:0xf
	v_add_f32_e32 v6, v6, v7
	s_nop 1
	v_mov_b32_dpp v7, v6 row_half_mirror row_mask:0xf bank_mask:0xf
	v_add_f32_e32 v6, v6, v7
	s_nop 1
	v_mov_b32_dpp v7, v6 row_mirror row_mask:0xf bank_mask:0xf
	v_add_f32_e32 v6, v6, v7
	s_nop 1
	v_mov_b32_dpp v7, v6 row_bcast:15 row_mask:0xf bank_mask:0xf
	v_add_f32_e32 v6, v6, v7
	s_nop 1
	v_mov_b32_dpp v7, v6 row_bcast:31 row_mask:0xf bank_mask:0xf
	s_and_saveexec_b64 s[2:3], s[0:1]
	s_cbranch_execz .LBB421_26
; %bb.25:
	v_lshrrev_b32_e32 v0, 4, v0
	v_add_f32_e32 v6, v6, v7
	v_and_b32_e32 v0, 60, v0
	ds_write_b32 v0, v6
.LBB421_26:
	s_or_b64 exec, exec, s[2:3]
	s_waitcnt lgkmcnt(0)
	s_barrier
	ds_read_b32 v0, v18
	s_waitcnt lgkmcnt(0)
	s_nop 0
	v_mov_b32_dpp v6, v0 quad_perm:[1,0,3,2] row_mask:0xf bank_mask:0xf
	s_and_saveexec_b64 s[0:1], vcc
	s_cbranch_execz .LBB421_12
; %bb.27:
	v_cvt_f32_u32_e32 v7, s16
	v_add_f32_e32 v0, v0, v6
	s_mov_b32 s11, 0x20000
	v_div_scale_f32 v6, s[0:1], v7, v7, v0
	v_rcp_f32_e32 v8, v6
	v_div_scale_f32 v9, vcc, v0, v7, v0
	s_mov_b32 s0, 0x800000
	v_fma_f32 v18, -v6, v8, 1.0
	v_fmac_f32_e32 v8, v18, v8
	v_mul_f32_e32 v18, v9, v8
	v_fma_f32 v19, -v6, v18, v9
	v_fmac_f32_e32 v18, v19, v8
	v_fma_f32 v6, -v6, v18, v9
	v_div_fmas_f32 v6, v6, v8, v18
	v_div_fixup_f32 v0, v6, v7, v0
	v_add_f32_e32 v0, s13, v0
	v_mul_f32_e32 v6, 0x4b800000, v0
	v_cmp_gt_f32_e32 vcc, s0, v0
	v_cndmask_b32_e32 v0, v0, v6, vcc
	v_rsq_f32_e32 v0, v0
	s_waitcnt vmcnt(0)
	v_cvt_f32_f16_sdwa v19, v5 dst_sel:DWORD dst_unused:UNUSED_PAD src0_sel:WORD_1
	v_cvt_f32_f16_e32 v18, v5
	s_mul_hi_i32 s1, s27, s6
	v_mul_f32_e32 v6, 0x45800000, v0
	v_cndmask_b32_e32 v6, v0, v6, vcc
	v_mov_b32_e32 v7, v6
	;;#ASMSTART
	v_pk_mul_f32 v[8:9], v[10:11], v[6:7]
	;;#ASMEND
	;;#ASMSTART
	v_pk_mul_f32 v[10:11], v[16:17], v[6:7]
	;;#ASMEND
	;; [unrolled: 3-line block ×4, first 2 shown]
	v_cvt_f32_f16_sdwa v13, v2 dst_sel:DWORD dst_unused:UNUSED_PAD src0_sel:WORD_1
	v_cvt_f32_f16_e32 v12, v2
	v_cvt_f32_f16_sdwa v17, v3 dst_sel:DWORD dst_unused:UNUSED_PAD src0_sel:WORD_1
	v_cvt_f32_f16_e32 v16, v3
	v_cvt_f32_f16_sdwa v3, v4 dst_sel:DWORD dst_unused:UNUSED_PAD src0_sel:WORD_1
	v_cvt_f32_f16_e32 v2, v4
	;;#ASMSTART
	v_pk_mul_f32 v[4:5], v[8:9], v[12:13]
	;;#ASMEND
	;;#ASMSTART
	v_pk_mul_f32 v[8:9], v[10:11], v[16:17]
	;;#ASMEND
	;; [unrolled: 3-line block ×4, first 2 shown]
	s_mul_i32 s0, s27, s6
	v_cvt_f16_f32_e32 v0, v4
	v_cvt_f16_f32_e32 v4, v5
	;; [unrolled: 1-line block ×8, first 2 shown]
	s_lshl_b64 s[0:1], s[0:1], 1
	s_add_u32 s8, s14, s0
	s_addc_u32 s0, s15, s1
	s_and_b32 s9, s0, 0xffff
	v_pack_b32_f16 v2, v0, v4
	v_pack_b32_f16 v3, v5, v8
	;; [unrolled: 1-line block ×4, first 2 shown]
	buffer_store_dwordx4 v[2:5], v1, s[8:11], 0 offen
	;;#ASMSTART
	s_nop 0
	;;#ASMEND
	s_endpgm
	.section	.rodata,"a",@progbits
	.p2align	6, 0x0
	.amdhsa_kernel _ZN5aiter35fused_qk_rmsnorm_group_quant_kernelIDF16_DB8_Li128ELi8ELi4ELb0ELb1ELb0ELb1ELb0ELb0EEEvPT0_PvPT_S6_S6_PKS5_S8_S8_S8_S8_ffiiiiiiiiiiiii
		.amdhsa_group_segment_fixed_size 16
		.amdhsa_private_segment_fixed_size 0
		.amdhsa_kernarg_size 400
		.amdhsa_user_sgpr_count 6
		.amdhsa_user_sgpr_private_segment_buffer 1
		.amdhsa_user_sgpr_dispatch_ptr 0
		.amdhsa_user_sgpr_queue_ptr 0
		.amdhsa_user_sgpr_kernarg_segment_ptr 1
		.amdhsa_user_sgpr_dispatch_id 0
		.amdhsa_user_sgpr_flat_scratch_init 0
		.amdhsa_user_sgpr_kernarg_preload_length 0
		.amdhsa_user_sgpr_kernarg_preload_offset 0
		.amdhsa_user_sgpr_private_segment_size 0
		.amdhsa_uses_dynamic_stack 0
		.amdhsa_system_sgpr_private_segment_wavefront_offset 0
		.amdhsa_system_sgpr_workgroup_id_x 1
		.amdhsa_system_sgpr_workgroup_id_y 1
		.amdhsa_system_sgpr_workgroup_id_z 0
		.amdhsa_system_sgpr_workgroup_info 0
		.amdhsa_system_vgpr_workitem_id 0
		.amdhsa_next_free_vgpr 23
		.amdhsa_next_free_sgpr 32
		.amdhsa_accum_offset 24
		.amdhsa_reserve_vcc 1
		.amdhsa_reserve_flat_scratch 0
		.amdhsa_float_round_mode_32 0
		.amdhsa_float_round_mode_16_64 0
		.amdhsa_float_denorm_mode_32 3
		.amdhsa_float_denorm_mode_16_64 3
		.amdhsa_dx10_clamp 1
		.amdhsa_ieee_mode 1
		.amdhsa_fp16_overflow 0
		.amdhsa_tg_split 0
		.amdhsa_exception_fp_ieee_invalid_op 0
		.amdhsa_exception_fp_denorm_src 0
		.amdhsa_exception_fp_ieee_div_zero 0
		.amdhsa_exception_fp_ieee_overflow 0
		.amdhsa_exception_fp_ieee_underflow 0
		.amdhsa_exception_fp_ieee_inexact 0
		.amdhsa_exception_int_div_zero 0
	.end_amdhsa_kernel
	.section	.text._ZN5aiter35fused_qk_rmsnorm_group_quant_kernelIDF16_DB8_Li128ELi8ELi4ELb0ELb1ELb0ELb1ELb0ELb0EEEvPT0_PvPT_S6_S6_PKS5_S8_S8_S8_S8_ffiiiiiiiiiiiii,"axG",@progbits,_ZN5aiter35fused_qk_rmsnorm_group_quant_kernelIDF16_DB8_Li128ELi8ELi4ELb0ELb1ELb0ELb1ELb0ELb0EEEvPT0_PvPT_S6_S6_PKS5_S8_S8_S8_S8_ffiiiiiiiiiiiii,comdat
.Lfunc_end421:
	.size	_ZN5aiter35fused_qk_rmsnorm_group_quant_kernelIDF16_DB8_Li128ELi8ELi4ELb0ELb1ELb0ELb1ELb0ELb0EEEvPT0_PvPT_S6_S6_PKS5_S8_S8_S8_S8_ffiiiiiiiiiiiii, .Lfunc_end421-_ZN5aiter35fused_qk_rmsnorm_group_quant_kernelIDF16_DB8_Li128ELi8ELi4ELb0ELb1ELb0ELb1ELb0ELb0EEEvPT0_PvPT_S6_S6_PKS5_S8_S8_S8_S8_ffiiiiiiiiiiiii
                                        ; -- End function
	.section	.AMDGPU.csdata,"",@progbits
; Kernel info:
; codeLenInByte = 2004
; NumSgprs: 36
; NumVgprs: 23
; NumAgprs: 0
; TotalNumVgprs: 23
; ScratchSize: 0
; MemoryBound: 0
; FloatMode: 240
; IeeeMode: 1
; LDSByteSize: 16 bytes/workgroup (compile time only)
; SGPRBlocks: 4
; VGPRBlocks: 2
; NumSGPRsForWavesPerEU: 36
; NumVGPRsForWavesPerEU: 23
; AccumOffset: 24
; Occupancy: 8
; WaveLimiterHint : 0
; COMPUTE_PGM_RSRC2:SCRATCH_EN: 0
; COMPUTE_PGM_RSRC2:USER_SGPR: 6
; COMPUTE_PGM_RSRC2:TRAP_HANDLER: 0
; COMPUTE_PGM_RSRC2:TGID_X_EN: 1
; COMPUTE_PGM_RSRC2:TGID_Y_EN: 1
; COMPUTE_PGM_RSRC2:TGID_Z_EN: 0
; COMPUTE_PGM_RSRC2:TIDIG_COMP_CNT: 0
; COMPUTE_PGM_RSRC3_GFX90A:ACCUM_OFFSET: 5
; COMPUTE_PGM_RSRC3_GFX90A:TG_SPLIT: 0
	.section	.text._ZN5aiter35fused_qk_rmsnorm_group_quant_kernelItDB8_Li128ELi8ELi4ELb0ELb1ELb0ELb1ELb0ELb0EEEvPT0_PvPT_S6_S6_PKS5_S8_S8_S8_S8_ffiiiiiiiiiiiii,"axG",@progbits,_ZN5aiter35fused_qk_rmsnorm_group_quant_kernelItDB8_Li128ELi8ELi4ELb0ELb1ELb0ELb1ELb0ELb0EEEvPT0_PvPT_S6_S6_PKS5_S8_S8_S8_S8_ffiiiiiiiiiiiii,comdat
	.protected	_ZN5aiter35fused_qk_rmsnorm_group_quant_kernelItDB8_Li128ELi8ELi4ELb0ELb1ELb0ELb1ELb0ELb0EEEvPT0_PvPT_S6_S6_PKS5_S8_S8_S8_S8_ffiiiiiiiiiiiii ; -- Begin function _ZN5aiter35fused_qk_rmsnorm_group_quant_kernelItDB8_Li128ELi8ELi4ELb0ELb1ELb0ELb1ELb0ELb0EEEvPT0_PvPT_S6_S6_PKS5_S8_S8_S8_S8_ffiiiiiiiiiiiii
	.globl	_ZN5aiter35fused_qk_rmsnorm_group_quant_kernelItDB8_Li128ELi8ELi4ELb0ELb1ELb0ELb1ELb0ELb0EEEvPT0_PvPT_S6_S6_PKS5_S8_S8_S8_S8_ffiiiiiiiiiiiii
	.p2align	8
	.type	_ZN5aiter35fused_qk_rmsnorm_group_quant_kernelItDB8_Li128ELi8ELi4ELb0ELb1ELb0ELb1ELb0ELb0EEEvPT0_PvPT_S6_S6_PKS5_S8_S8_S8_S8_ffiiiiiiiiiiiii,@function
_ZN5aiter35fused_qk_rmsnorm_group_quant_kernelItDB8_Li128ELi8ELi4ELb0ELb1ELb0ELb1ELb0ELb0EEEvPT0_PvPT_S6_S6_PKS5_S8_S8_S8_S8_ffiiiiiiiiiiiii: ; @_ZN5aiter35fused_qk_rmsnorm_group_quant_kernelItDB8_Li128ELi8ELi4ELb0ELb1ELb0ELb1ELb0ELb0EEEvPT0_PvPT_S6_S6_PKS5_S8_S8_S8_S8_ffiiiiiiiiiiiii
; %bb.0:
	s_load_dwordx4 s[12:15], s[4:5], 0x50
	s_waitcnt lgkmcnt(0)
	s_cmp_ge_i32 s6, s14
	s_cbranch_scc1 .LBB422_10
; %bb.1:
	s_load_dwordx2 s[24:25], s[4:5], 0x30
	s_load_dwordx2 s[8:9], s[4:5], 0x48
	s_load_dwordx4 s[16:19], s[4:5], 0x60
	s_cmp_lg_u32 s7, 0
	s_cselect_b64 s[10:11], -1, 0
	s_cmp_eq_u32 s7, 0
	s_cselect_b64 vcc, -1, 0
	s_and_b64 s[0:1], vcc, exec
	s_waitcnt lgkmcnt(0)
	s_cselect_b32 s7, s15, s16
	s_add_i32 s0, s7, 1
	s_lshr_b32 s1, s0, 31
	s_add_i32 s0, s0, s1
	s_lshl_b32 s0, s0, 1
	v_lshlrev_b32_e32 v1, 3, v0
	s_and_b32 s22, s0, -4
	v_cmp_gt_i32_e64 s[2:3], s7, v1
	v_mov_b32_e32 v2, 0
	v_mov_b32_e32 v3, 0
	;; [unrolled: 1-line block ×8, first 2 shown]
	s_and_saveexec_b64 s[0:1], s[2:3]
	s_cbranch_execz .LBB422_3
; %bb.2:
	s_load_dwordx2 s[14:15], s[4:5], 0x28
	s_load_dwordx2 s[20:21], s[4:5], 0x40
	s_and_b64 s[26:27], vcc, exec
	s_cselect_b32 s17, s17, s18
	v_lshlrev_b32_e32 v10, 4, v0
	s_waitcnt lgkmcnt(0)
	s_cselect_b32 s19, s15, s25
	s_cselect_b32 s23, s14, s24
	s_mul_hi_i32 s15, s17, s6
	s_mul_i32 s14, s17, s6
	s_lshl_b64 s[14:15], s[14:15], 1
	s_add_u32 s28, s23, s14
	s_addc_u32 s17, s19, s15
	s_and_b64 s[14:15], vcc, exec
	s_mov_b32 s23, 0x20000
	s_cselect_b32 s20, s20, s8
	s_cselect_b32 s14, s21, s9
	s_and_b32 s29, s17, 0xffff
	s_mov_b32 s30, s22
	s_mov_b32 s31, s23
	s_and_b32 s21, s14, 0xffff
	buffer_load_dwordx4 v[6:9], v10, s[28:31], 0 offen glc slc
	buffer_load_dwordx4 v[2:5], v10, s[20:23], 0 offen
.LBB422_3:
	s_or_b64 exec, exec, s[0:1]
	s_waitcnt vmcnt(1)
	v_cvt_f32_u32_sdwa v13, v6 dst_sel:DWORD dst_unused:UNUSED_PAD src0_sel:WORD_1
	v_cvt_f32_u32_sdwa v12, v6 dst_sel:DWORD dst_unused:UNUSED_PAD src0_sel:WORD_0
	v_cvt_f32_u32_sdwa v6, v9 dst_sel:DWORD dst_unused:UNUSED_PAD src0_sel:WORD_1
	v_cvt_f32_u32_sdwa v9, v9 dst_sel:DWORD dst_unused:UNUSED_PAD src0_sel:WORD_0
	;; [unrolled: 2-line block ×4, first 2 shown]
	v_cndmask_b32_e64 v13, 0, v13, s[2:3]
	v_cndmask_b32_e64 v7, 0, v6, s[2:3]
	;; [unrolled: 1-line block ×5, first 2 shown]
	v_mul_f32_e32 v14, v13, v13
	v_cndmask_b32_e64 v10, 0, v10, s[2:3]
	v_fmac_f32_e32 v14, v12, v12
	v_cndmask_b32_e64 v11, 0, v11, s[2:3]
	v_fmac_f32_e32 v14, v10, v10
	;; [unrolled: 2-line block ×3, first 2 shown]
	v_fmac_f32_e32 v14, v8, v8
	v_fmac_f32_e32 v14, v9, v9
	;; [unrolled: 1-line block ×4, first 2 shown]
	v_and_b32_e32 v16, 63, v0
	v_cmp_eq_u32_e64 s[0:1], 63, v16
	v_mov_b32_dpp v15, v14 quad_perm:[1,0,3,2] row_mask:0xf bank_mask:0xf
	v_add_f32_e32 v14, v14, v15
	s_nop 1
	v_mov_b32_dpp v15, v14 quad_perm:[2,3,0,1] row_mask:0xf bank_mask:0xf
	v_add_f32_e32 v14, v14, v15
	s_nop 1
	v_mov_b32_dpp v15, v14 row_half_mirror row_mask:0xf bank_mask:0xf
	v_add_f32_e32 v14, v14, v15
	s_nop 1
	v_mov_b32_dpp v15, v14 row_mirror row_mask:0xf bank_mask:0xf
	v_add_f32_e32 v14, v14, v15
	s_nop 1
	v_mov_b32_dpp v15, v14 row_bcast:15 row_mask:0xf bank_mask:0xf
	v_add_f32_e32 v14, v14, v15
	s_nop 1
	v_mov_b32_dpp v15, v14 row_bcast:31 row_mask:0xf bank_mask:0xf
	s_and_saveexec_b64 s[14:15], s[0:1]
	s_cbranch_execz .LBB422_5
; %bb.4:
	v_add_f32_e32 v14, v14, v15
	v_lshrrev_b32_e32 v15, 4, v0
	v_and_b32_e32 v15, 60, v15
	ds_write_b32 v15, v14 offset:8
.LBB422_5:
	s_or_b64 exec, exec, s[14:15]
	v_and_b32_e32 v14, 1, v0
	v_lshlrev_b32_e32 v14, 2, v14
	s_waitcnt lgkmcnt(0)
	s_barrier
	ds_read_b32 v15, v14 offset:8
	s_load_dwordx2 s[14:15], s[4:5], 0x18
	s_waitcnt lgkmcnt(0)
	v_mov_b32_dpp v16, v15 quad_perm:[1,0,3,2] row_mask:0xf bank_mask:0xf
	s_and_saveexec_b64 s[20:21], s[2:3]
	s_cbranch_execz .LBB422_7
; %bb.6:
	v_cvt_f32_u32_e32 v17, s7
	v_add_f32_e32 v15, v15, v16
	v_mov_b32_e32 v19, s13
	v_mov_b32_e32 v20, s12
	v_div_scale_f32 v16, s[26:27], v17, v17, v15
	v_rcp_f32_e32 v18, v16
	v_cndmask_b32_e32 v19, v19, v20, vcc
	s_mov_b32 s7, 0x800000
	v_fma_f32 v20, -v16, v18, 1.0
	v_fmac_f32_e32 v18, v20, v18
	v_div_scale_f32 v20, vcc, v15, v17, v15
	v_mul_f32_e32 v21, v20, v18
	v_fma_f32 v22, -v16, v21, v20
	v_fmac_f32_e32 v21, v22, v18
	v_fma_f32 v16, -v16, v21, v20
	v_div_fmas_f32 v16, v16, v18, v21
	v_div_fixup_f32 v15, v16, v17, v15
	v_add_f32_e32 v15, v19, v15
	v_mul_f32_e32 v16, 0x4b800000, v15
	v_cmp_gt_f32_e32 vcc, s7, v15
	v_cndmask_b32_e32 v15, v15, v16, vcc
	v_rsq_f32_e32 v15, v15
	s_waitcnt vmcnt(0)
	v_cvt_f32_u32_sdwa v19, v3 dst_sel:DWORD dst_unused:UNUSED_PAD src0_sel:WORD_1
	v_cvt_f32_u32_sdwa v18, v3 dst_sel:DWORD dst_unused:UNUSED_PAD src0_sel:WORD_0
	v_cvt_f32_u32_sdwa v3, v4 dst_sel:DWORD dst_unused:UNUSED_PAD src0_sel:WORD_1
	v_mul_f32_e32 v16, 0x45800000, v15
	v_cndmask_b32_e32 v16, v15, v16, vcc
	v_mov_b32_e32 v17, v16
	;;#ASMSTART
	v_pk_mul_f32 v[12:13], v[12:13], v[16:17]
	;;#ASMEND
	;;#ASMSTART
	v_pk_mul_f32 v[10:11], v[10:11], v[16:17]
	;;#ASMEND
	;;#ASMSTART
	v_pk_mul_f32 v[8:9], v[8:9], v[16:17]
	;;#ASMEND
	;;#ASMSTART
	v_pk_mul_f32 v[6:7], v[6:7], v[16:17]
	;;#ASMEND
	v_cvt_f32_u32_sdwa v17, v2 dst_sel:DWORD dst_unused:UNUSED_PAD src0_sel:WORD_1
	v_cvt_f32_u32_sdwa v16, v2 dst_sel:DWORD dst_unused:UNUSED_PAD src0_sel:WORD_0
	v_cvt_f32_u32_sdwa v2, v4 dst_sel:DWORD dst_unused:UNUSED_PAD src0_sel:WORD_0
	v_cvt_f32_u32_sdwa v21, v5 dst_sel:DWORD dst_unused:UNUSED_PAD src0_sel:WORD_1
	v_cvt_f32_u32_sdwa v20, v5 dst_sel:DWORD dst_unused:UNUSED_PAD src0_sel:WORD_0
	;;#ASMSTART
	v_pk_mul_f32 v[12:13], v[12:13], v[16:17]
	;;#ASMEND
	;;#ASMSTART
	v_pk_mul_f32 v[10:11], v[10:11], v[18:19]
	;;#ASMEND
	;; [unrolled: 3-line block ×4, first 2 shown]
.LBB422_7:
	s_or_b64 exec, exec, s[20:21]
	s_load_dwordx2 s[26:27], s[4:5], 0x7c
	s_mov_b64 s[20:21], -1
	s_and_b64 vcc, exec, s[10:11]
	s_cbranch_vccnz .LBB422_11
; %bb.8:
	s_andn2_b64 vcc, exec, s[20:21]
	s_cbranch_vccz .LBB422_14
.LBB422_9:
	s_cmp_lt_i32 s16, 1
	s_cbranch_scc0 .LBB422_17
.LBB422_10:
	s_endpgm
.LBB422_11:
	s_and_saveexec_b64 s[10:11], s[2:3]
	s_cbranch_execz .LBB422_13
; %bb.12:
	s_waitcnt lgkmcnt(0)
	s_mul_hi_i32 s21, s27, s6
	s_mul_i32 s20, s27, s6
	s_lshl_b64 s[20:21], s[20:21], 1
	s_add_u32 s20, s14, s20
	s_addc_u32 s7, s15, s21
	s_and_b32 s21, s7, 0xffff
	s_mov_b32 s7, 0x7060302
	s_mov_b32 s23, 0x20000
	s_waitcnt vmcnt(0)
	v_perm_b32 v2, v13, v12, s7
	v_perm_b32 v3, v11, v10, s7
	;; [unrolled: 1-line block ×4, first 2 shown]
	v_lshlrev_b32_e32 v15, 4, v0
	buffer_store_dwordx4 v[2:5], v15, s[20:23], 0 offen
	;;#ASMSTART
	s_nop 0
	;;#ASMEND
.LBB422_13:
	s_or_b64 exec, exec, s[10:11]
	s_cbranch_execnz .LBB422_9
.LBB422_14:
	s_and_saveexec_b64 s[10:11], s[2:3]
	s_cbranch_execz .LBB422_16
; %bb.15:
	s_load_dwordx2 s[2:3], s[4:5], 0x10
	s_waitcnt lgkmcnt(0)
	s_mul_hi_i32 s21, s26, s6
	s_mul_i32 s20, s26, s6
	s_lshl_b64 s[20:21], s[20:21], 1
	s_mov_b32 s23, 0x20000
	s_add_u32 s20, s2, s20
	s_addc_u32 s2, s3, s21
	s_and_b32 s21, s2, 0xffff
	s_mov_b32 s2, 0x7060302
	s_waitcnt vmcnt(0)
	v_perm_b32 v2, v13, v12, s2
	v_perm_b32 v3, v11, v10, s2
	;; [unrolled: 1-line block ×4, first 2 shown]
	v_lshlrev_b32_e32 v6, 4, v0
	buffer_store_dwordx4 v[2:5], v6, s[20:23], 0 offen
	;;#ASMSTART
	s_nop 0
	;;#ASMEND
.LBB422_16:
	s_or_b64 exec, exec, s[10:11]
	s_cmp_lt_i32 s16, 1
	s_cbranch_scc1 .LBB422_10
.LBB422_17:
	s_load_dword s2, s[4:5], 0x94
	s_waitcnt lgkmcnt(0)
	s_cmp_lg_u32 s2, 1
	s_cbranch_scc1 .LBB422_10
; %bb.18:
	s_lshl_b32 s2, s16, 1
	s_add_i32 s2, s2, 2
	v_cmp_gt_u32_e32 vcc, s16, v1
	s_and_b32 s10, s2, -4
	v_mov_b32_e32 v6, 0
	v_lshlrev_b32_e32 v1, 4, v0
	v_mov_b32_e32 v7, 0
	v_mov_b32_e32 v8, 0
	;; [unrolled: 1-line block ×3, first 2 shown]
	s_waitcnt vmcnt(0)
	v_mov_b32_e32 v2, 0
	v_mov_b32_e32 v3, 0
	;; [unrolled: 1-line block ×4, first 2 shown]
	s_barrier
	s_and_saveexec_b64 s[2:3], vcc
	s_cbranch_execz .LBB422_20
; %bb.19:
	s_mul_hi_i32 s5, s18, s6
	s_mul_i32 s4, s18, s6
	s_and_b32 s9, s9, 0xffff
	s_lshl_b64 s[4:5], s[4:5], 1
	s_add_u32 s20, s24, s4
	s_mov_b32 s11, 0x20000
	s_addc_u32 s4, s25, s5
	s_and_b32 s21, s4, 0xffff
	s_mov_b32 s22, s10
	s_mov_b32 s23, s11
	buffer_load_dwordx4 v[6:9], v1, s[20:23], 0 offen glc slc
	buffer_load_dwordx4 v[2:5], v1, s[8:11], 0 offen
.LBB422_20:
	s_or_b64 exec, exec, s[2:3]
	s_waitcnt vmcnt(1)
	v_cvt_f32_u32_sdwa v13, v6 dst_sel:DWORD dst_unused:UNUSED_PAD src0_sel:WORD_1
	v_cvt_f32_u32_sdwa v12, v6 dst_sel:DWORD dst_unused:UNUSED_PAD src0_sel:WORD_0
	v_cvt_f32_u32_sdwa v6, v9 dst_sel:DWORD dst_unused:UNUSED_PAD src0_sel:WORD_1
	v_cvt_f32_u32_sdwa v9, v9 dst_sel:DWORD dst_unused:UNUSED_PAD src0_sel:WORD_0
	;; [unrolled: 2-line block ×4, first 2 shown]
	v_cndmask_b32_e32 v13, 0, v13, vcc
	v_cndmask_b32_e32 v7, 0, v6, vcc
	;; [unrolled: 1-line block ×5, first 2 shown]
	v_mul_f32_e32 v15, v13, v13
	v_cndmask_b32_e32 v10, 0, v10, vcc
	v_fmac_f32_e32 v15, v12, v12
	v_cndmask_b32_e32 v11, 0, v11, vcc
	v_fmac_f32_e32 v15, v10, v10
	;; [unrolled: 2-line block ×3, first 2 shown]
	v_fmac_f32_e32 v15, v8, v8
	v_fmac_f32_e32 v15, v9, v9
	v_fmac_f32_e32 v15, v6, v6
	v_fmac_f32_e32 v15, v7, v7
	s_nop 1
	v_mov_b32_dpp v16, v15 quad_perm:[1,0,3,2] row_mask:0xf bank_mask:0xf
	v_add_f32_e32 v15, v15, v16
	s_nop 1
	v_mov_b32_dpp v16, v15 quad_perm:[2,3,0,1] row_mask:0xf bank_mask:0xf
	v_add_f32_e32 v15, v15, v16
	s_nop 1
	v_mov_b32_dpp v16, v15 row_half_mirror row_mask:0xf bank_mask:0xf
	v_add_f32_e32 v15, v15, v16
	s_nop 1
	v_mov_b32_dpp v16, v15 row_mirror row_mask:0xf bank_mask:0xf
	v_add_f32_e32 v15, v15, v16
	s_nop 1
	v_mov_b32_dpp v16, v15 row_bcast:15 row_mask:0xf bank_mask:0xf
	v_add_f32_e32 v15, v15, v16
	s_nop 1
	v_mov_b32_dpp v16, v15 row_bcast:31 row_mask:0xf bank_mask:0xf
	s_and_saveexec_b64 s[2:3], s[0:1]
	s_cbranch_execz .LBB422_22
; %bb.21:
	v_lshrrev_b32_e32 v0, 4, v0
	v_add_f32_e32 v15, v15, v16
	v_and_b32_e32 v0, 60, v0
	ds_write_b32 v0, v15
.LBB422_22:
	s_or_b64 exec, exec, s[2:3]
	s_waitcnt lgkmcnt(0)
	s_barrier
	ds_read_b32 v0, v14
	s_waitcnt lgkmcnt(0)
	s_nop 0
	v_mov_b32_dpp v14, v0 quad_perm:[1,0,3,2] row_mask:0xf bank_mask:0xf
	s_and_saveexec_b64 s[0:1], vcc
	s_cbranch_execz .LBB422_10
; %bb.23:
	v_cvt_f32_u32_e32 v15, s16
	v_add_f32_e32 v0, v0, v14
	s_mov_b32 s11, 0x20000
	v_div_scale_f32 v14, s[0:1], v15, v15, v0
	v_rcp_f32_e32 v16, v14
	v_div_scale_f32 v17, vcc, v0, v15, v0
	s_mov_b32 s0, 0x800000
	v_fma_f32 v18, -v14, v16, 1.0
	v_fmac_f32_e32 v16, v18, v16
	v_mul_f32_e32 v18, v17, v16
	v_fma_f32 v19, -v14, v18, v17
	v_fmac_f32_e32 v18, v19, v16
	v_fma_f32 v14, -v14, v18, v17
	v_div_fmas_f32 v14, v14, v16, v18
	v_div_fixup_f32 v0, v14, v15, v0
	v_add_f32_e32 v0, s13, v0
	v_mul_f32_e32 v14, 0x4b800000, v0
	v_cmp_gt_f32_e32 vcc, s0, v0
	v_cndmask_b32_e32 v0, v0, v14, vcc
	v_rsq_f32_e32 v0, v0
	s_mul_hi_i32 s1, s27, s6
	s_mul_i32 s0, s27, s6
	s_lshl_b64 s[0:1], s[0:1], 1
	v_mul_f32_e32 v14, 0x45800000, v0
	v_cndmask_b32_e32 v14, v0, v14, vcc
	s_add_u32 s8, s14, s0
	v_mov_b32_e32 v15, v14
	s_addc_u32 s0, s15, s1
	;;#ASMSTART
	v_pk_mul_f32 v[12:13], v[12:13], v[14:15]
	;;#ASMEND
	;;#ASMSTART
	v_pk_mul_f32 v[10:11], v[10:11], v[14:15]
	;;#ASMEND
	;; [unrolled: 3-line block ×4, first 2 shown]
	s_waitcnt vmcnt(0)
	v_cvt_f32_u32_sdwa v15, v2 dst_sel:DWORD dst_unused:UNUSED_PAD src0_sel:WORD_1
	v_cvt_f32_u32_sdwa v14, v2 dst_sel:DWORD dst_unused:UNUSED_PAD src0_sel:WORD_0
	v_cvt_f32_u32_sdwa v17, v3 dst_sel:DWORD dst_unused:UNUSED_PAD src0_sel:WORD_1
	v_cvt_f32_u32_sdwa v16, v3 dst_sel:DWORD dst_unused:UNUSED_PAD src0_sel:WORD_0
	;; [unrolled: 2-line block ×4, first 2 shown]
	;;#ASMSTART
	v_pk_mul_f32 v[4:5], v[12:13], v[14:15]
	;;#ASMEND
	s_and_b32 s9, s0, 0xffff
	s_mov_b32 s0, 0x7060302
	;;#ASMSTART
	v_pk_mul_f32 v[10:11], v[10:11], v[16:17]
	;;#ASMEND
	;;#ASMSTART
	v_pk_mul_f32 v[8:9], v[8:9], v[2:3]
	;;#ASMEND
	;;#ASMSTART
	v_pk_mul_f32 v[6:7], v[6:7], v[18:19]
	;;#ASMEND
	v_perm_b32 v2, v5, v4, s0
	v_perm_b32 v3, v11, v10, s0
	;; [unrolled: 1-line block ×4, first 2 shown]
	buffer_store_dwordx4 v[2:5], v1, s[8:11], 0 offen
	;;#ASMSTART
	s_nop 0
	;;#ASMEND
	s_endpgm
	.section	.rodata,"a",@progbits
	.p2align	6, 0x0
	.amdhsa_kernel _ZN5aiter35fused_qk_rmsnorm_group_quant_kernelItDB8_Li128ELi8ELi4ELb0ELb1ELb0ELb1ELb0ELb0EEEvPT0_PvPT_S6_S6_PKS5_S8_S8_S8_S8_ffiiiiiiiiiiiii
		.amdhsa_group_segment_fixed_size 16
		.amdhsa_private_segment_fixed_size 0
		.amdhsa_kernarg_size 400
		.amdhsa_user_sgpr_count 6
		.amdhsa_user_sgpr_private_segment_buffer 1
		.amdhsa_user_sgpr_dispatch_ptr 0
		.amdhsa_user_sgpr_queue_ptr 0
		.amdhsa_user_sgpr_kernarg_segment_ptr 1
		.amdhsa_user_sgpr_dispatch_id 0
		.amdhsa_user_sgpr_flat_scratch_init 0
		.amdhsa_user_sgpr_kernarg_preload_length 0
		.amdhsa_user_sgpr_kernarg_preload_offset 0
		.amdhsa_user_sgpr_private_segment_size 0
		.amdhsa_uses_dynamic_stack 0
		.amdhsa_system_sgpr_private_segment_wavefront_offset 0
		.amdhsa_system_sgpr_workgroup_id_x 1
		.amdhsa_system_sgpr_workgroup_id_y 1
		.amdhsa_system_sgpr_workgroup_id_z 0
		.amdhsa_system_sgpr_workgroup_info 0
		.amdhsa_system_vgpr_workitem_id 0
		.amdhsa_next_free_vgpr 23
		.amdhsa_next_free_sgpr 32
		.amdhsa_accum_offset 24
		.amdhsa_reserve_vcc 1
		.amdhsa_reserve_flat_scratch 0
		.amdhsa_float_round_mode_32 0
		.amdhsa_float_round_mode_16_64 0
		.amdhsa_float_denorm_mode_32 3
		.amdhsa_float_denorm_mode_16_64 3
		.amdhsa_dx10_clamp 1
		.amdhsa_ieee_mode 1
		.amdhsa_fp16_overflow 0
		.amdhsa_tg_split 0
		.amdhsa_exception_fp_ieee_invalid_op 0
		.amdhsa_exception_fp_denorm_src 0
		.amdhsa_exception_fp_ieee_div_zero 0
		.amdhsa_exception_fp_ieee_overflow 0
		.amdhsa_exception_fp_ieee_underflow 0
		.amdhsa_exception_fp_ieee_inexact 0
		.amdhsa_exception_int_div_zero 0
	.end_amdhsa_kernel
	.section	.text._ZN5aiter35fused_qk_rmsnorm_group_quant_kernelItDB8_Li128ELi8ELi4ELb0ELb1ELb0ELb1ELb0ELb0EEEvPT0_PvPT_S6_S6_PKS5_S8_S8_S8_S8_ffiiiiiiiiiiiii,"axG",@progbits,_ZN5aiter35fused_qk_rmsnorm_group_quant_kernelItDB8_Li128ELi8ELi4ELb0ELb1ELb0ELb1ELb0ELb0EEEvPT0_PvPT_S6_S6_PKS5_S8_S8_S8_S8_ffiiiiiiiiiiiii,comdat
.Lfunc_end422:
	.size	_ZN5aiter35fused_qk_rmsnorm_group_quant_kernelItDB8_Li128ELi8ELi4ELb0ELb1ELb0ELb1ELb0ELb0EEEvPT0_PvPT_S6_S6_PKS5_S8_S8_S8_S8_ffiiiiiiiiiiiii, .Lfunc_end422-_ZN5aiter35fused_qk_rmsnorm_group_quant_kernelItDB8_Li128ELi8ELi4ELb0ELb1ELb0ELb1ELb0ELb0EEEvPT0_PvPT_S6_S6_PKS5_S8_S8_S8_S8_ffiiiiiiiiiiiii
                                        ; -- End function
	.section	.AMDGPU.csdata,"",@progbits
; Kernel info:
; codeLenInByte = 1996
; NumSgprs: 36
; NumVgprs: 23
; NumAgprs: 0
; TotalNumVgprs: 23
; ScratchSize: 0
; MemoryBound: 0
; FloatMode: 240
; IeeeMode: 1
; LDSByteSize: 16 bytes/workgroup (compile time only)
; SGPRBlocks: 4
; VGPRBlocks: 2
; NumSGPRsForWavesPerEU: 36
; NumVGPRsForWavesPerEU: 23
; AccumOffset: 24
; Occupancy: 8
; WaveLimiterHint : 0
; COMPUTE_PGM_RSRC2:SCRATCH_EN: 0
; COMPUTE_PGM_RSRC2:USER_SGPR: 6
; COMPUTE_PGM_RSRC2:TRAP_HANDLER: 0
; COMPUTE_PGM_RSRC2:TGID_X_EN: 1
; COMPUTE_PGM_RSRC2:TGID_Y_EN: 1
; COMPUTE_PGM_RSRC2:TGID_Z_EN: 0
; COMPUTE_PGM_RSRC2:TIDIG_COMP_CNT: 0
; COMPUTE_PGM_RSRC3_GFX90A:ACCUM_OFFSET: 5
; COMPUTE_PGM_RSRC3_GFX90A:TG_SPLIT: 0
	.section	.text._ZN5aiter35fused_qk_rmsnorm_group_quant_kernelIDF16_N4opus5fp4_tELi128ELi8ELi4ELb0ELb1ELb0ELb1ELb0ELb0EEEvPT0_PvPT_S7_S7_PKS6_S9_S9_S9_S9_ffiiiiiiiiiiiii,"axG",@progbits,_ZN5aiter35fused_qk_rmsnorm_group_quant_kernelIDF16_N4opus5fp4_tELi128ELi8ELi4ELb0ELb1ELb0ELb1ELb0ELb0EEEvPT0_PvPT_S7_S7_PKS6_S9_S9_S9_S9_ffiiiiiiiiiiiii,comdat
	.protected	_ZN5aiter35fused_qk_rmsnorm_group_quant_kernelIDF16_N4opus5fp4_tELi128ELi8ELi4ELb0ELb1ELb0ELb1ELb0ELb0EEEvPT0_PvPT_S7_S7_PKS6_S9_S9_S9_S9_ffiiiiiiiiiiiii ; -- Begin function _ZN5aiter35fused_qk_rmsnorm_group_quant_kernelIDF16_N4opus5fp4_tELi128ELi8ELi4ELb0ELb1ELb0ELb1ELb0ELb0EEEvPT0_PvPT_S7_S7_PKS6_S9_S9_S9_S9_ffiiiiiiiiiiiii
	.globl	_ZN5aiter35fused_qk_rmsnorm_group_quant_kernelIDF16_N4opus5fp4_tELi128ELi8ELi4ELb0ELb1ELb0ELb1ELb0ELb0EEEvPT0_PvPT_S7_S7_PKS6_S9_S9_S9_S9_ffiiiiiiiiiiiii
	.p2align	8
	.type	_ZN5aiter35fused_qk_rmsnorm_group_quant_kernelIDF16_N4opus5fp4_tELi128ELi8ELi4ELb0ELb1ELb0ELb1ELb0ELb0EEEvPT0_PvPT_S7_S7_PKS6_S9_S9_S9_S9_ffiiiiiiiiiiiii,@function
_ZN5aiter35fused_qk_rmsnorm_group_quant_kernelIDF16_N4opus5fp4_tELi128ELi8ELi4ELb0ELb1ELb0ELb1ELb0ELb0EEEvPT0_PvPT_S7_S7_PKS6_S9_S9_S9_S9_ffiiiiiiiiiiiii: ; @_ZN5aiter35fused_qk_rmsnorm_group_quant_kernelIDF16_N4opus5fp4_tELi128ELi8ELi4ELb0ELb1ELb0ELb1ELb0ELb0EEEvPT0_PvPT_S7_S7_PKS6_S9_S9_S9_S9_ffiiiiiiiiiiiii
; %bb.0:
	s_load_dwordx4 s[12:15], s[4:5], 0x50
	s_waitcnt lgkmcnt(0)
	s_cmp_ge_i32 s6, s14
	s_cbranch_scc1 .LBB423_12
; %bb.1:
	s_load_dwordx2 s[24:25], s[4:5], 0x30
	s_load_dwordx2 s[8:9], s[4:5], 0x48
	s_load_dwordx4 s[16:19], s[4:5], 0x60
	s_cmp_lg_u32 s7, 0
	s_cselect_b64 s[10:11], -1, 0
	s_cmp_eq_u32 s7, 0
	s_cselect_b64 vcc, -1, 0
	s_and_b64 s[0:1], vcc, exec
	s_waitcnt lgkmcnt(0)
	s_cselect_b32 s7, s15, s16
	s_add_i32 s0, s7, 1
	s_lshr_b32 s1, s0, 31
	s_add_i32 s0, s0, s1
	s_lshl_b32 s0, s0, 1
	v_lshlrev_b32_e32 v1, 3, v0
	s_and_b32 s22, s0, -4
	v_cmp_gt_i32_e64 s[2:3], s7, v1
	v_mov_b32_e32 v10, 0
	v_mov_b32_e32 v2, 0
	;; [unrolled: 1-line block ×9, first 2 shown]
	s_and_saveexec_b64 s[0:1], s[2:3]
	s_cbranch_execz .LBB423_3
; %bb.2:
	s_load_dwordx2 s[14:15], s[4:5], 0x28
	s_load_dwordx2 s[20:21], s[4:5], 0x40
	s_and_b64 s[26:27], vcc, exec
	s_cselect_b32 s17, s17, s18
	v_lshlrev_b32_e32 v11, 4, v0
	s_waitcnt lgkmcnt(0)
	s_cselect_b32 s19, s15, s25
	s_cselect_b32 s23, s14, s24
	s_mul_hi_i32 s15, s17, s6
	s_mul_i32 s14, s17, s6
	s_lshl_b64 s[14:15], s[14:15], 1
	s_add_u32 s28, s23, s14
	s_addc_u32 s17, s19, s15
	s_and_b64 s[14:15], vcc, exec
	s_mov_b32 s23, 0x20000
	s_cselect_b32 s20, s20, s8
	s_cselect_b32 s14, s21, s9
	s_and_b32 s29, s17, 0xffff
	s_mov_b32 s30, s22
	s_mov_b32 s31, s23
	s_and_b32 s21, s14, 0xffff
	buffer_load_dwordx4 v[6:9], v11, s[28:31], 0 offen glc slc
	buffer_load_dwordx4 v[2:5], v11, s[20:23], 0 offen
.LBB423_3:
	s_or_b64 exec, exec, s[0:1]
	v_mov_b32_e32 v11, 0
	v_mov_b32_e32 v12, 0
	;; [unrolled: 1-line block ×7, first 2 shown]
	s_and_saveexec_b64 s[0:1], s[2:3]
	s_cbranch_execz .LBB423_5
; %bb.4:
	s_waitcnt vmcnt(1)
	v_cvt_f32_f16_sdwa v11, v6 dst_sel:DWORD dst_unused:UNUSED_PAD src0_sel:WORD_1
	v_cvt_f32_f16_e32 v10, v6
	v_cvt_f32_f16_sdwa v13, v7 dst_sel:DWORD dst_unused:UNUSED_PAD src0_sel:WORD_1
	v_cvt_f32_f16_e32 v12, v7
	;; [unrolled: 2-line block ×4, first 2 shown]
.LBB423_5:
	s_or_b64 exec, exec, s[0:1]
	s_waitcnt vmcnt(1)
	v_mul_f32_e32 v6, v11, v11
	v_fmac_f32_e32 v6, v10, v10
	v_fmac_f32_e32 v6, v12, v12
	;; [unrolled: 1-line block ×7, first 2 shown]
	v_and_b32_e32 v8, 63, v0
	v_cmp_eq_u32_e64 s[0:1], 63, v8
	v_mov_b32_dpp v7, v6 quad_perm:[1,0,3,2] row_mask:0xf bank_mask:0xf
	v_add_f32_e32 v6, v6, v7
	s_nop 1
	v_mov_b32_dpp v7, v6 quad_perm:[2,3,0,1] row_mask:0xf bank_mask:0xf
	v_add_f32_e32 v6, v6, v7
	s_nop 1
	v_mov_b32_dpp v7, v6 row_half_mirror row_mask:0xf bank_mask:0xf
	v_add_f32_e32 v6, v6, v7
	s_nop 1
	v_mov_b32_dpp v7, v6 row_mirror row_mask:0xf bank_mask:0xf
	v_add_f32_e32 v6, v6, v7
	s_nop 1
	v_mov_b32_dpp v7, v6 row_bcast:15 row_mask:0xf bank_mask:0xf
	v_add_f32_e32 v6, v6, v7
	s_nop 1
	v_mov_b32_dpp v7, v6 row_bcast:31 row_mask:0xf bank_mask:0xf
	s_and_saveexec_b64 s[14:15], s[0:1]
	s_cbranch_execz .LBB423_7
; %bb.6:
	v_add_f32_e32 v6, v6, v7
	v_lshrrev_b32_e32 v7, 4, v0
	v_and_b32_e32 v7, 60, v7
	ds_write_b32 v7, v6 offset:8
.LBB423_7:
	s_or_b64 exec, exec, s[14:15]
	v_and_b32_e32 v6, 1, v0
	v_lshlrev_b32_e32 v18, 2, v6
	s_waitcnt lgkmcnt(0)
	s_barrier
	ds_read_b32 v6, v18 offset:8
	s_load_dwordx2 s[14:15], s[4:5], 0x18
	s_waitcnt lgkmcnt(0)
	v_mov_b32_dpp v7, v6 quad_perm:[1,0,3,2] row_mask:0xf bank_mask:0xf
	s_and_saveexec_b64 s[20:21], s[2:3]
	s_cbranch_execz .LBB423_9
; %bb.8:
	v_cvt_f32_u32_e32 v8, s7
	v_add_f32_e32 v6, v6, v7
	v_mov_b32_e32 v19, s13
	v_mov_b32_e32 v20, s12
	v_div_scale_f32 v7, s[26:27], v8, v8, v6
	v_rcp_f32_e32 v9, v7
	v_cndmask_b32_e32 v19, v19, v20, vcc
	s_mov_b32 s7, 0x800000
	v_fma_f32 v20, -v7, v9, 1.0
	v_fmac_f32_e32 v9, v20, v9
	v_div_scale_f32 v20, vcc, v6, v8, v6
	v_mul_f32_e32 v21, v20, v9
	v_fma_f32 v22, -v7, v21, v20
	v_fmac_f32_e32 v21, v22, v9
	v_fma_f32 v7, -v7, v21, v20
	v_div_fmas_f32 v7, v7, v9, v21
	v_div_fixup_f32 v6, v7, v8, v6
	v_add_f32_e32 v6, v19, v6
	v_mul_f32_e32 v7, 0x4b800000, v6
	v_cmp_gt_f32_e32 vcc, s7, v6
	v_cndmask_b32_e32 v6, v6, v7, vcc
	v_rsq_f32_e32 v6, v6
	s_waitcnt vmcnt(0)
	v_cvt_f32_f16_sdwa v21, v5 dst_sel:DWORD dst_unused:UNUSED_PAD src0_sel:WORD_1
	v_cvt_f32_f16_e32 v20, v5
	v_mul_f32_e32 v7, 0x45800000, v6
	v_cndmask_b32_e32 v6, v6, v7, vcc
	v_mov_b32_e32 v7, v6
	;;#ASMSTART
	v_pk_mul_f32 v[8:9], v[10:11], v[6:7]
	;;#ASMEND
	;;#ASMSTART
	v_pk_mul_f32 v[12:13], v[12:13], v[6:7]
	;;#ASMEND
	;; [unrolled: 3-line block ×4, first 2 shown]
	v_cvt_f32_f16_sdwa v11, v2 dst_sel:DWORD dst_unused:UNUSED_PAD src0_sel:WORD_1
	v_cvt_f32_f16_e32 v10, v2
	v_cvt_f32_f16_sdwa v17, v3 dst_sel:DWORD dst_unused:UNUSED_PAD src0_sel:WORD_1
	v_cvt_f32_f16_e32 v16, v3
	;; [unrolled: 2-line block ×3, first 2 shown]
	;;#ASMSTART
	v_pk_mul_f32 v[10:11], v[8:9], v[10:11]
	;;#ASMEND
	;;#ASMSTART
	v_pk_mul_f32 v[12:13], v[12:13], v[16:17]
	;;#ASMEND
	;; [unrolled: 3-line block ×4, first 2 shown]
.LBB423_9:
	s_or_b64 exec, exec, s[20:21]
	s_load_dwordx2 s[26:27], s[4:5], 0x7c
	s_mov_b64 s[20:21], -1
	s_and_b64 vcc, exec, s[10:11]
	s_cbranch_vccnz .LBB423_13
; %bb.10:
	s_andn2_b64 vcc, exec, s[20:21]
	s_cbranch_vccz .LBB423_16
.LBB423_11:
	s_cmp_lt_i32 s16, 1
	s_cbranch_scc0 .LBB423_19
.LBB423_12:
	s_endpgm
.LBB423_13:
	s_and_saveexec_b64 s[10:11], s[2:3]
	s_cbranch_execz .LBB423_15
; %bb.14:
	s_waitcnt lgkmcnt(0)
	s_mul_hi_i32 s21, s27, s6
	s_mul_i32 s20, s27, s6
	s_waitcnt vmcnt(0)
	v_cvt_f16_f32_e32 v2, v10
	v_cvt_f16_f32_e32 v3, v12
	;; [unrolled: 1-line block ×8, first 2 shown]
	s_lshl_b64 s[20:21], s[20:21], 1
	s_add_u32 s20, s14, s20
	s_addc_u32 s7, s15, s21
	s_and_b32 s21, s7, 0xffff
	s_mov_b32 s23, 0x20000
	v_pack_b32_f16 v5, v5, v6
	v_pack_b32_f16 v4, v4, v7
	;; [unrolled: 1-line block ×4, first 2 shown]
	v_lshlrev_b32_e32 v6, 4, v0
	buffer_store_dwordx4 v[2:5], v6, s[20:23], 0 offen
	;;#ASMSTART
	s_nop 0
	;;#ASMEND
.LBB423_15:
	s_or_b64 exec, exec, s[10:11]
	s_cbranch_execnz .LBB423_11
.LBB423_16:
	s_and_saveexec_b64 s[10:11], s[2:3]
	s_cbranch_execz .LBB423_18
; %bb.17:
	s_load_dwordx2 s[2:3], s[4:5], 0x10
	s_waitcnt lgkmcnt(0)
	s_mul_hi_i32 s21, s26, s6
	s_mul_i32 s20, s26, s6
	s_waitcnt vmcnt(0)
	v_cvt_f16_f32_e32 v2, v10
	v_cvt_f16_f32_e32 v3, v12
	;; [unrolled: 1-line block ×8, first 2 shown]
	s_lshl_b64 s[20:21], s[20:21], 1
	s_add_u32 s20, s2, s20
	s_addc_u32 s2, s3, s21
	s_mov_b32 s23, 0x20000
	s_and_b32 s21, s2, 0xffff
	v_pack_b32_f16 v5, v5, v6
	v_pack_b32_f16 v4, v4, v7
	;; [unrolled: 1-line block ×4, first 2 shown]
	v_lshlrev_b32_e32 v6, 4, v0
	buffer_store_dwordx4 v[2:5], v6, s[20:23], 0 offen
	;;#ASMSTART
	s_nop 0
	;;#ASMEND
.LBB423_18:
	s_or_b64 exec, exec, s[10:11]
	s_cmp_lt_i32 s16, 1
	s_cbranch_scc1 .LBB423_12
.LBB423_19:
	s_load_dword s2, s[4:5], 0x94
	s_waitcnt lgkmcnt(0)
	s_cmp_lg_u32 s2, 1
	s_cbranch_scc1 .LBB423_12
; %bb.20:
	s_lshl_b32 s2, s16, 1
	s_add_i32 s2, s2, 2
	v_cmp_gt_u32_e32 vcc, s16, v1
	s_and_b32 s10, s2, -4
	v_mov_b32_e32 v10, 0
	v_lshlrev_b32_e32 v1, 4, v0
	v_mov_b32_e32 v6, 0
	v_mov_b32_e32 v7, 0
	;; [unrolled: 1-line block ×4, first 2 shown]
	s_waitcnt vmcnt(0)
	v_mov_b32_e32 v2, 0
	v_mov_b32_e32 v3, 0
	;; [unrolled: 1-line block ×4, first 2 shown]
	s_barrier
	s_and_saveexec_b64 s[2:3], vcc
	s_cbranch_execz .LBB423_22
; %bb.21:
	s_mul_hi_i32 s5, s18, s6
	s_mul_i32 s4, s18, s6
	s_and_b32 s9, s9, 0xffff
	s_lshl_b64 s[4:5], s[4:5], 1
	s_add_u32 s20, s24, s4
	s_mov_b32 s11, 0x20000
	s_addc_u32 s4, s25, s5
	s_and_b32 s21, s4, 0xffff
	s_mov_b32 s22, s10
	s_mov_b32 s23, s11
	buffer_load_dwordx4 v[6:9], v1, s[20:23], 0 offen glc slc
	buffer_load_dwordx4 v[2:5], v1, s[8:11], 0 offen
.LBB423_22:
	s_or_b64 exec, exec, s[2:3]
	v_mov_b32_e32 v11, 0
	v_mov_b32_e32 v16, 0
	;; [unrolled: 1-line block ×7, first 2 shown]
	s_and_saveexec_b64 s[2:3], vcc
	s_cbranch_execz .LBB423_24
; %bb.23:
	s_waitcnt vmcnt(1)
	v_cvt_f32_f16_sdwa v11, v6 dst_sel:DWORD dst_unused:UNUSED_PAD src0_sel:WORD_1
	v_cvt_f32_f16_e32 v10, v6
	v_cvt_f32_f16_sdwa v17, v7 dst_sel:DWORD dst_unused:UNUSED_PAD src0_sel:WORD_1
	v_cvt_f32_f16_e32 v16, v7
	;; [unrolled: 2-line block ×4, first 2 shown]
.LBB423_24:
	s_or_b64 exec, exec, s[2:3]
	s_waitcnt vmcnt(1)
	v_mul_f32_e32 v6, v11, v11
	v_fmac_f32_e32 v6, v10, v10
	v_fmac_f32_e32 v6, v16, v16
	;; [unrolled: 1-line block ×7, first 2 shown]
	s_nop 1
	v_mov_b32_dpp v7, v6 quad_perm:[1,0,3,2] row_mask:0xf bank_mask:0xf
	v_add_f32_e32 v6, v6, v7
	s_nop 1
	v_mov_b32_dpp v7, v6 quad_perm:[2,3,0,1] row_mask:0xf bank_mask:0xf
	v_add_f32_e32 v6, v6, v7
	s_nop 1
	v_mov_b32_dpp v7, v6 row_half_mirror row_mask:0xf bank_mask:0xf
	v_add_f32_e32 v6, v6, v7
	s_nop 1
	v_mov_b32_dpp v7, v6 row_mirror row_mask:0xf bank_mask:0xf
	v_add_f32_e32 v6, v6, v7
	s_nop 1
	v_mov_b32_dpp v7, v6 row_bcast:15 row_mask:0xf bank_mask:0xf
	v_add_f32_e32 v6, v6, v7
	s_nop 1
	v_mov_b32_dpp v7, v6 row_bcast:31 row_mask:0xf bank_mask:0xf
	s_and_saveexec_b64 s[2:3], s[0:1]
	s_cbranch_execz .LBB423_26
; %bb.25:
	v_lshrrev_b32_e32 v0, 4, v0
	v_add_f32_e32 v6, v6, v7
	v_and_b32_e32 v0, 60, v0
	ds_write_b32 v0, v6
.LBB423_26:
	s_or_b64 exec, exec, s[2:3]
	s_waitcnt lgkmcnt(0)
	s_barrier
	ds_read_b32 v0, v18
	s_waitcnt lgkmcnt(0)
	s_nop 0
	v_mov_b32_dpp v6, v0 quad_perm:[1,0,3,2] row_mask:0xf bank_mask:0xf
	s_and_saveexec_b64 s[0:1], vcc
	s_cbranch_execz .LBB423_12
; %bb.27:
	v_cvt_f32_u32_e32 v7, s16
	v_add_f32_e32 v0, v0, v6
	s_mov_b32 s11, 0x20000
	v_div_scale_f32 v6, s[0:1], v7, v7, v0
	v_rcp_f32_e32 v8, v6
	v_div_scale_f32 v9, vcc, v0, v7, v0
	s_mov_b32 s0, 0x800000
	v_fma_f32 v18, -v6, v8, 1.0
	v_fmac_f32_e32 v8, v18, v8
	v_mul_f32_e32 v18, v9, v8
	v_fma_f32 v19, -v6, v18, v9
	v_fmac_f32_e32 v18, v19, v8
	v_fma_f32 v6, -v6, v18, v9
	v_div_fmas_f32 v6, v6, v8, v18
	v_div_fixup_f32 v0, v6, v7, v0
	v_add_f32_e32 v0, s13, v0
	v_mul_f32_e32 v6, 0x4b800000, v0
	v_cmp_gt_f32_e32 vcc, s0, v0
	v_cndmask_b32_e32 v0, v0, v6, vcc
	v_rsq_f32_e32 v0, v0
	s_waitcnt vmcnt(0)
	v_cvt_f32_f16_sdwa v19, v5 dst_sel:DWORD dst_unused:UNUSED_PAD src0_sel:WORD_1
	v_cvt_f32_f16_e32 v18, v5
	s_mul_hi_i32 s1, s27, s6
	v_mul_f32_e32 v6, 0x45800000, v0
	v_cndmask_b32_e32 v6, v0, v6, vcc
	v_mov_b32_e32 v7, v6
	;;#ASMSTART
	v_pk_mul_f32 v[8:9], v[10:11], v[6:7]
	;;#ASMEND
	;;#ASMSTART
	v_pk_mul_f32 v[10:11], v[16:17], v[6:7]
	;;#ASMEND
	;; [unrolled: 3-line block ×4, first 2 shown]
	v_cvt_f32_f16_sdwa v13, v2 dst_sel:DWORD dst_unused:UNUSED_PAD src0_sel:WORD_1
	v_cvt_f32_f16_e32 v12, v2
	v_cvt_f32_f16_sdwa v17, v3 dst_sel:DWORD dst_unused:UNUSED_PAD src0_sel:WORD_1
	v_cvt_f32_f16_e32 v16, v3
	;; [unrolled: 2-line block ×3, first 2 shown]
	;;#ASMSTART
	v_pk_mul_f32 v[4:5], v[8:9], v[12:13]
	;;#ASMEND
	;;#ASMSTART
	v_pk_mul_f32 v[8:9], v[10:11], v[16:17]
	;;#ASMEND
	;;#ASMSTART
	v_pk_mul_f32 v[2:3], v[14:15], v[2:3]
	;;#ASMEND
	;;#ASMSTART
	v_pk_mul_f32 v[6:7], v[6:7], v[18:19]
	;;#ASMEND
	s_mul_i32 s0, s27, s6
	v_cvt_f16_f32_e32 v0, v4
	v_cvt_f16_f32_e32 v4, v5
	;; [unrolled: 1-line block ×8, first 2 shown]
	s_lshl_b64 s[0:1], s[0:1], 1
	s_add_u32 s8, s14, s0
	s_addc_u32 s0, s15, s1
	s_and_b32 s9, s0, 0xffff
	v_pack_b32_f16 v2, v0, v4
	v_pack_b32_f16 v3, v5, v8
	;; [unrolled: 1-line block ×4, first 2 shown]
	buffer_store_dwordx4 v[2:5], v1, s[8:11], 0 offen
	;;#ASMSTART
	s_nop 0
	;;#ASMEND
	s_endpgm
	.section	.rodata,"a",@progbits
	.p2align	6, 0x0
	.amdhsa_kernel _ZN5aiter35fused_qk_rmsnorm_group_quant_kernelIDF16_N4opus5fp4_tELi128ELi8ELi4ELb0ELb1ELb0ELb1ELb0ELb0EEEvPT0_PvPT_S7_S7_PKS6_S9_S9_S9_S9_ffiiiiiiiiiiiii
		.amdhsa_group_segment_fixed_size 16
		.amdhsa_private_segment_fixed_size 0
		.amdhsa_kernarg_size 400
		.amdhsa_user_sgpr_count 6
		.amdhsa_user_sgpr_private_segment_buffer 1
		.amdhsa_user_sgpr_dispatch_ptr 0
		.amdhsa_user_sgpr_queue_ptr 0
		.amdhsa_user_sgpr_kernarg_segment_ptr 1
		.amdhsa_user_sgpr_dispatch_id 0
		.amdhsa_user_sgpr_flat_scratch_init 0
		.amdhsa_user_sgpr_kernarg_preload_length 0
		.amdhsa_user_sgpr_kernarg_preload_offset 0
		.amdhsa_user_sgpr_private_segment_size 0
		.amdhsa_uses_dynamic_stack 0
		.amdhsa_system_sgpr_private_segment_wavefront_offset 0
		.amdhsa_system_sgpr_workgroup_id_x 1
		.amdhsa_system_sgpr_workgroup_id_y 1
		.amdhsa_system_sgpr_workgroup_id_z 0
		.amdhsa_system_sgpr_workgroup_info 0
		.amdhsa_system_vgpr_workitem_id 0
		.amdhsa_next_free_vgpr 23
		.amdhsa_next_free_sgpr 32
		.amdhsa_accum_offset 24
		.amdhsa_reserve_vcc 1
		.amdhsa_reserve_flat_scratch 0
		.amdhsa_float_round_mode_32 0
		.amdhsa_float_round_mode_16_64 0
		.amdhsa_float_denorm_mode_32 3
		.amdhsa_float_denorm_mode_16_64 3
		.amdhsa_dx10_clamp 1
		.amdhsa_ieee_mode 1
		.amdhsa_fp16_overflow 0
		.amdhsa_tg_split 0
		.amdhsa_exception_fp_ieee_invalid_op 0
		.amdhsa_exception_fp_denorm_src 0
		.amdhsa_exception_fp_ieee_div_zero 0
		.amdhsa_exception_fp_ieee_overflow 0
		.amdhsa_exception_fp_ieee_underflow 0
		.amdhsa_exception_fp_ieee_inexact 0
		.amdhsa_exception_int_div_zero 0
	.end_amdhsa_kernel
	.section	.text._ZN5aiter35fused_qk_rmsnorm_group_quant_kernelIDF16_N4opus5fp4_tELi128ELi8ELi4ELb0ELb1ELb0ELb1ELb0ELb0EEEvPT0_PvPT_S7_S7_PKS6_S9_S9_S9_S9_ffiiiiiiiiiiiii,"axG",@progbits,_ZN5aiter35fused_qk_rmsnorm_group_quant_kernelIDF16_N4opus5fp4_tELi128ELi8ELi4ELb0ELb1ELb0ELb1ELb0ELb0EEEvPT0_PvPT_S7_S7_PKS6_S9_S9_S9_S9_ffiiiiiiiiiiiii,comdat
.Lfunc_end423:
	.size	_ZN5aiter35fused_qk_rmsnorm_group_quant_kernelIDF16_N4opus5fp4_tELi128ELi8ELi4ELb0ELb1ELb0ELb1ELb0ELb0EEEvPT0_PvPT_S7_S7_PKS6_S9_S9_S9_S9_ffiiiiiiiiiiiii, .Lfunc_end423-_ZN5aiter35fused_qk_rmsnorm_group_quant_kernelIDF16_N4opus5fp4_tELi128ELi8ELi4ELb0ELb1ELb0ELb1ELb0ELb0EEEvPT0_PvPT_S7_S7_PKS6_S9_S9_S9_S9_ffiiiiiiiiiiiii
                                        ; -- End function
	.section	.AMDGPU.csdata,"",@progbits
; Kernel info:
; codeLenInByte = 2004
; NumSgprs: 36
; NumVgprs: 23
; NumAgprs: 0
; TotalNumVgprs: 23
; ScratchSize: 0
; MemoryBound: 0
; FloatMode: 240
; IeeeMode: 1
; LDSByteSize: 16 bytes/workgroup (compile time only)
; SGPRBlocks: 4
; VGPRBlocks: 2
; NumSGPRsForWavesPerEU: 36
; NumVGPRsForWavesPerEU: 23
; AccumOffset: 24
; Occupancy: 8
; WaveLimiterHint : 0
; COMPUTE_PGM_RSRC2:SCRATCH_EN: 0
; COMPUTE_PGM_RSRC2:USER_SGPR: 6
; COMPUTE_PGM_RSRC2:TRAP_HANDLER: 0
; COMPUTE_PGM_RSRC2:TGID_X_EN: 1
; COMPUTE_PGM_RSRC2:TGID_Y_EN: 1
; COMPUTE_PGM_RSRC2:TGID_Z_EN: 0
; COMPUTE_PGM_RSRC2:TIDIG_COMP_CNT: 0
; COMPUTE_PGM_RSRC3_GFX90A:ACCUM_OFFSET: 5
; COMPUTE_PGM_RSRC3_GFX90A:TG_SPLIT: 0
	.section	.text._ZN5aiter35fused_qk_rmsnorm_group_quant_kernelItN4opus5fp4_tELi128ELi8ELi4ELb0ELb1ELb0ELb1ELb0ELb0EEEvPT0_PvPT_S7_S7_PKS6_S9_S9_S9_S9_ffiiiiiiiiiiiii,"axG",@progbits,_ZN5aiter35fused_qk_rmsnorm_group_quant_kernelItN4opus5fp4_tELi128ELi8ELi4ELb0ELb1ELb0ELb1ELb0ELb0EEEvPT0_PvPT_S7_S7_PKS6_S9_S9_S9_S9_ffiiiiiiiiiiiii,comdat
	.protected	_ZN5aiter35fused_qk_rmsnorm_group_quant_kernelItN4opus5fp4_tELi128ELi8ELi4ELb0ELb1ELb0ELb1ELb0ELb0EEEvPT0_PvPT_S7_S7_PKS6_S9_S9_S9_S9_ffiiiiiiiiiiiii ; -- Begin function _ZN5aiter35fused_qk_rmsnorm_group_quant_kernelItN4opus5fp4_tELi128ELi8ELi4ELb0ELb1ELb0ELb1ELb0ELb0EEEvPT0_PvPT_S7_S7_PKS6_S9_S9_S9_S9_ffiiiiiiiiiiiii
	.globl	_ZN5aiter35fused_qk_rmsnorm_group_quant_kernelItN4opus5fp4_tELi128ELi8ELi4ELb0ELb1ELb0ELb1ELb0ELb0EEEvPT0_PvPT_S7_S7_PKS6_S9_S9_S9_S9_ffiiiiiiiiiiiii
	.p2align	8
	.type	_ZN5aiter35fused_qk_rmsnorm_group_quant_kernelItN4opus5fp4_tELi128ELi8ELi4ELb0ELb1ELb0ELb1ELb0ELb0EEEvPT0_PvPT_S7_S7_PKS6_S9_S9_S9_S9_ffiiiiiiiiiiiii,@function
_ZN5aiter35fused_qk_rmsnorm_group_quant_kernelItN4opus5fp4_tELi128ELi8ELi4ELb0ELb1ELb0ELb1ELb0ELb0EEEvPT0_PvPT_S7_S7_PKS6_S9_S9_S9_S9_ffiiiiiiiiiiiii: ; @_ZN5aiter35fused_qk_rmsnorm_group_quant_kernelItN4opus5fp4_tELi128ELi8ELi4ELb0ELb1ELb0ELb1ELb0ELb0EEEvPT0_PvPT_S7_S7_PKS6_S9_S9_S9_S9_ffiiiiiiiiiiiii
; %bb.0:
	s_load_dwordx4 s[12:15], s[4:5], 0x50
	s_waitcnt lgkmcnt(0)
	s_cmp_ge_i32 s6, s14
	s_cbranch_scc1 .LBB424_10
; %bb.1:
	s_load_dwordx2 s[24:25], s[4:5], 0x30
	s_load_dwordx2 s[8:9], s[4:5], 0x48
	s_load_dwordx4 s[16:19], s[4:5], 0x60
	s_cmp_lg_u32 s7, 0
	s_cselect_b64 s[10:11], -1, 0
	s_cmp_eq_u32 s7, 0
	s_cselect_b64 vcc, -1, 0
	s_and_b64 s[0:1], vcc, exec
	s_waitcnt lgkmcnt(0)
	s_cselect_b32 s7, s15, s16
	s_add_i32 s0, s7, 1
	s_lshr_b32 s1, s0, 31
	s_add_i32 s0, s0, s1
	s_lshl_b32 s0, s0, 1
	v_lshlrev_b32_e32 v1, 3, v0
	s_and_b32 s22, s0, -4
	v_cmp_gt_i32_e64 s[2:3], s7, v1
	v_mov_b32_e32 v2, 0
	v_mov_b32_e32 v3, 0
	;; [unrolled: 1-line block ×8, first 2 shown]
	s_and_saveexec_b64 s[0:1], s[2:3]
	s_cbranch_execz .LBB424_3
; %bb.2:
	s_load_dwordx2 s[14:15], s[4:5], 0x28
	s_load_dwordx2 s[20:21], s[4:5], 0x40
	s_and_b64 s[26:27], vcc, exec
	s_cselect_b32 s17, s17, s18
	v_lshlrev_b32_e32 v10, 4, v0
	s_waitcnt lgkmcnt(0)
	s_cselect_b32 s19, s15, s25
	s_cselect_b32 s23, s14, s24
	s_mul_hi_i32 s15, s17, s6
	s_mul_i32 s14, s17, s6
	s_lshl_b64 s[14:15], s[14:15], 1
	s_add_u32 s28, s23, s14
	s_addc_u32 s17, s19, s15
	s_and_b64 s[14:15], vcc, exec
	s_mov_b32 s23, 0x20000
	s_cselect_b32 s20, s20, s8
	s_cselect_b32 s14, s21, s9
	s_and_b32 s29, s17, 0xffff
	s_mov_b32 s30, s22
	s_mov_b32 s31, s23
	s_and_b32 s21, s14, 0xffff
	buffer_load_dwordx4 v[6:9], v10, s[28:31], 0 offen glc slc
	buffer_load_dwordx4 v[2:5], v10, s[20:23], 0 offen
.LBB424_3:
	s_or_b64 exec, exec, s[0:1]
	s_waitcnt vmcnt(1)
	v_cvt_f32_u32_sdwa v13, v6 dst_sel:DWORD dst_unused:UNUSED_PAD src0_sel:WORD_1
	v_cvt_f32_u32_sdwa v12, v6 dst_sel:DWORD dst_unused:UNUSED_PAD src0_sel:WORD_0
	v_cvt_f32_u32_sdwa v6, v9 dst_sel:DWORD dst_unused:UNUSED_PAD src0_sel:WORD_1
	v_cvt_f32_u32_sdwa v9, v9 dst_sel:DWORD dst_unused:UNUSED_PAD src0_sel:WORD_0
	;; [unrolled: 2-line block ×4, first 2 shown]
	v_cndmask_b32_e64 v13, 0, v13, s[2:3]
	v_cndmask_b32_e64 v7, 0, v6, s[2:3]
	;; [unrolled: 1-line block ×5, first 2 shown]
	v_mul_f32_e32 v14, v13, v13
	v_cndmask_b32_e64 v10, 0, v10, s[2:3]
	v_fmac_f32_e32 v14, v12, v12
	v_cndmask_b32_e64 v11, 0, v11, s[2:3]
	v_fmac_f32_e32 v14, v10, v10
	;; [unrolled: 2-line block ×3, first 2 shown]
	v_fmac_f32_e32 v14, v8, v8
	v_fmac_f32_e32 v14, v9, v9
	;; [unrolled: 1-line block ×4, first 2 shown]
	v_and_b32_e32 v16, 63, v0
	v_cmp_eq_u32_e64 s[0:1], 63, v16
	v_mov_b32_dpp v15, v14 quad_perm:[1,0,3,2] row_mask:0xf bank_mask:0xf
	v_add_f32_e32 v14, v14, v15
	s_nop 1
	v_mov_b32_dpp v15, v14 quad_perm:[2,3,0,1] row_mask:0xf bank_mask:0xf
	v_add_f32_e32 v14, v14, v15
	s_nop 1
	v_mov_b32_dpp v15, v14 row_half_mirror row_mask:0xf bank_mask:0xf
	v_add_f32_e32 v14, v14, v15
	s_nop 1
	v_mov_b32_dpp v15, v14 row_mirror row_mask:0xf bank_mask:0xf
	v_add_f32_e32 v14, v14, v15
	s_nop 1
	v_mov_b32_dpp v15, v14 row_bcast:15 row_mask:0xf bank_mask:0xf
	v_add_f32_e32 v14, v14, v15
	s_nop 1
	v_mov_b32_dpp v15, v14 row_bcast:31 row_mask:0xf bank_mask:0xf
	s_and_saveexec_b64 s[14:15], s[0:1]
	s_cbranch_execz .LBB424_5
; %bb.4:
	v_add_f32_e32 v14, v14, v15
	v_lshrrev_b32_e32 v15, 4, v0
	v_and_b32_e32 v15, 60, v15
	ds_write_b32 v15, v14 offset:8
.LBB424_5:
	s_or_b64 exec, exec, s[14:15]
	v_and_b32_e32 v14, 1, v0
	v_lshlrev_b32_e32 v14, 2, v14
	s_waitcnt lgkmcnt(0)
	s_barrier
	ds_read_b32 v15, v14 offset:8
	s_load_dwordx2 s[14:15], s[4:5], 0x18
	s_waitcnt lgkmcnt(0)
	v_mov_b32_dpp v16, v15 quad_perm:[1,0,3,2] row_mask:0xf bank_mask:0xf
	s_and_saveexec_b64 s[20:21], s[2:3]
	s_cbranch_execz .LBB424_7
; %bb.6:
	v_cvt_f32_u32_e32 v17, s7
	v_add_f32_e32 v15, v15, v16
	v_mov_b32_e32 v19, s13
	v_mov_b32_e32 v20, s12
	v_div_scale_f32 v16, s[26:27], v17, v17, v15
	v_rcp_f32_e32 v18, v16
	v_cndmask_b32_e32 v19, v19, v20, vcc
	s_mov_b32 s7, 0x800000
	v_fma_f32 v20, -v16, v18, 1.0
	v_fmac_f32_e32 v18, v20, v18
	v_div_scale_f32 v20, vcc, v15, v17, v15
	v_mul_f32_e32 v21, v20, v18
	v_fma_f32 v22, -v16, v21, v20
	v_fmac_f32_e32 v21, v22, v18
	v_fma_f32 v16, -v16, v21, v20
	v_div_fmas_f32 v16, v16, v18, v21
	v_div_fixup_f32 v15, v16, v17, v15
	v_add_f32_e32 v15, v19, v15
	v_mul_f32_e32 v16, 0x4b800000, v15
	v_cmp_gt_f32_e32 vcc, s7, v15
	v_cndmask_b32_e32 v15, v15, v16, vcc
	v_rsq_f32_e32 v15, v15
	s_waitcnt vmcnt(0)
	v_cvt_f32_u32_sdwa v19, v3 dst_sel:DWORD dst_unused:UNUSED_PAD src0_sel:WORD_1
	v_cvt_f32_u32_sdwa v18, v3 dst_sel:DWORD dst_unused:UNUSED_PAD src0_sel:WORD_0
	v_cvt_f32_u32_sdwa v3, v4 dst_sel:DWORD dst_unused:UNUSED_PAD src0_sel:WORD_1
	v_mul_f32_e32 v16, 0x45800000, v15
	v_cndmask_b32_e32 v16, v15, v16, vcc
	v_mov_b32_e32 v17, v16
	;;#ASMSTART
	v_pk_mul_f32 v[12:13], v[12:13], v[16:17]
	;;#ASMEND
	;;#ASMSTART
	v_pk_mul_f32 v[10:11], v[10:11], v[16:17]
	;;#ASMEND
	;; [unrolled: 3-line block ×4, first 2 shown]
	v_cvt_f32_u32_sdwa v17, v2 dst_sel:DWORD dst_unused:UNUSED_PAD src0_sel:WORD_1
	v_cvt_f32_u32_sdwa v16, v2 dst_sel:DWORD dst_unused:UNUSED_PAD src0_sel:WORD_0
	v_cvt_f32_u32_sdwa v2, v4 dst_sel:DWORD dst_unused:UNUSED_PAD src0_sel:WORD_0
	v_cvt_f32_u32_sdwa v21, v5 dst_sel:DWORD dst_unused:UNUSED_PAD src0_sel:WORD_1
	v_cvt_f32_u32_sdwa v20, v5 dst_sel:DWORD dst_unused:UNUSED_PAD src0_sel:WORD_0
	;;#ASMSTART
	v_pk_mul_f32 v[12:13], v[12:13], v[16:17]
	;;#ASMEND
	;;#ASMSTART
	v_pk_mul_f32 v[10:11], v[10:11], v[18:19]
	;;#ASMEND
	;; [unrolled: 3-line block ×4, first 2 shown]
.LBB424_7:
	s_or_b64 exec, exec, s[20:21]
	s_load_dwordx2 s[26:27], s[4:5], 0x7c
	s_mov_b64 s[20:21], -1
	s_and_b64 vcc, exec, s[10:11]
	s_cbranch_vccnz .LBB424_11
; %bb.8:
	s_andn2_b64 vcc, exec, s[20:21]
	s_cbranch_vccz .LBB424_14
.LBB424_9:
	s_cmp_lt_i32 s16, 1
	s_cbranch_scc0 .LBB424_17
.LBB424_10:
	s_endpgm
.LBB424_11:
	s_and_saveexec_b64 s[10:11], s[2:3]
	s_cbranch_execz .LBB424_13
; %bb.12:
	s_waitcnt lgkmcnt(0)
	s_mul_hi_i32 s21, s27, s6
	s_mul_i32 s20, s27, s6
	s_lshl_b64 s[20:21], s[20:21], 1
	s_add_u32 s20, s14, s20
	s_addc_u32 s7, s15, s21
	s_and_b32 s21, s7, 0xffff
	s_mov_b32 s7, 0x7060302
	s_mov_b32 s23, 0x20000
	s_waitcnt vmcnt(0)
	v_perm_b32 v2, v13, v12, s7
	v_perm_b32 v3, v11, v10, s7
	;; [unrolled: 1-line block ×4, first 2 shown]
	v_lshlrev_b32_e32 v15, 4, v0
	buffer_store_dwordx4 v[2:5], v15, s[20:23], 0 offen
	;;#ASMSTART
	s_nop 0
	;;#ASMEND
.LBB424_13:
	s_or_b64 exec, exec, s[10:11]
	s_cbranch_execnz .LBB424_9
.LBB424_14:
	s_and_saveexec_b64 s[10:11], s[2:3]
	s_cbranch_execz .LBB424_16
; %bb.15:
	s_load_dwordx2 s[2:3], s[4:5], 0x10
	s_waitcnt lgkmcnt(0)
	s_mul_hi_i32 s21, s26, s6
	s_mul_i32 s20, s26, s6
	s_lshl_b64 s[20:21], s[20:21], 1
	s_mov_b32 s23, 0x20000
	s_add_u32 s20, s2, s20
	s_addc_u32 s2, s3, s21
	s_and_b32 s21, s2, 0xffff
	s_mov_b32 s2, 0x7060302
	s_waitcnt vmcnt(0)
	v_perm_b32 v2, v13, v12, s2
	v_perm_b32 v3, v11, v10, s2
	;; [unrolled: 1-line block ×4, first 2 shown]
	v_lshlrev_b32_e32 v6, 4, v0
	buffer_store_dwordx4 v[2:5], v6, s[20:23], 0 offen
	;;#ASMSTART
	s_nop 0
	;;#ASMEND
.LBB424_16:
	s_or_b64 exec, exec, s[10:11]
	s_cmp_lt_i32 s16, 1
	s_cbranch_scc1 .LBB424_10
.LBB424_17:
	s_load_dword s2, s[4:5], 0x94
	s_waitcnt lgkmcnt(0)
	s_cmp_lg_u32 s2, 1
	s_cbranch_scc1 .LBB424_10
; %bb.18:
	s_lshl_b32 s2, s16, 1
	s_add_i32 s2, s2, 2
	v_cmp_gt_u32_e32 vcc, s16, v1
	s_and_b32 s10, s2, -4
	v_mov_b32_e32 v6, 0
	v_lshlrev_b32_e32 v1, 4, v0
	v_mov_b32_e32 v7, 0
	v_mov_b32_e32 v8, 0
	;; [unrolled: 1-line block ×3, first 2 shown]
	s_waitcnt vmcnt(0)
	v_mov_b32_e32 v2, 0
	v_mov_b32_e32 v3, 0
	;; [unrolled: 1-line block ×4, first 2 shown]
	s_barrier
	s_and_saveexec_b64 s[2:3], vcc
	s_cbranch_execz .LBB424_20
; %bb.19:
	s_mul_hi_i32 s5, s18, s6
	s_mul_i32 s4, s18, s6
	s_and_b32 s9, s9, 0xffff
	s_lshl_b64 s[4:5], s[4:5], 1
	s_add_u32 s20, s24, s4
	s_mov_b32 s11, 0x20000
	s_addc_u32 s4, s25, s5
	s_and_b32 s21, s4, 0xffff
	s_mov_b32 s22, s10
	s_mov_b32 s23, s11
	buffer_load_dwordx4 v[6:9], v1, s[20:23], 0 offen glc slc
	buffer_load_dwordx4 v[2:5], v1, s[8:11], 0 offen
.LBB424_20:
	s_or_b64 exec, exec, s[2:3]
	s_waitcnt vmcnt(1)
	v_cvt_f32_u32_sdwa v13, v6 dst_sel:DWORD dst_unused:UNUSED_PAD src0_sel:WORD_1
	v_cvt_f32_u32_sdwa v12, v6 dst_sel:DWORD dst_unused:UNUSED_PAD src0_sel:WORD_0
	v_cvt_f32_u32_sdwa v6, v9 dst_sel:DWORD dst_unused:UNUSED_PAD src0_sel:WORD_1
	v_cvt_f32_u32_sdwa v9, v9 dst_sel:DWORD dst_unused:UNUSED_PAD src0_sel:WORD_0
	;; [unrolled: 2-line block ×4, first 2 shown]
	v_cndmask_b32_e32 v13, 0, v13, vcc
	v_cndmask_b32_e32 v7, 0, v6, vcc
	;; [unrolled: 1-line block ×5, first 2 shown]
	v_mul_f32_e32 v15, v13, v13
	v_cndmask_b32_e32 v10, 0, v10, vcc
	v_fmac_f32_e32 v15, v12, v12
	v_cndmask_b32_e32 v11, 0, v11, vcc
	v_fmac_f32_e32 v15, v10, v10
	;; [unrolled: 2-line block ×3, first 2 shown]
	v_fmac_f32_e32 v15, v8, v8
	v_fmac_f32_e32 v15, v9, v9
	;; [unrolled: 1-line block ×4, first 2 shown]
	s_nop 1
	v_mov_b32_dpp v16, v15 quad_perm:[1,0,3,2] row_mask:0xf bank_mask:0xf
	v_add_f32_e32 v15, v15, v16
	s_nop 1
	v_mov_b32_dpp v16, v15 quad_perm:[2,3,0,1] row_mask:0xf bank_mask:0xf
	v_add_f32_e32 v15, v15, v16
	s_nop 1
	v_mov_b32_dpp v16, v15 row_half_mirror row_mask:0xf bank_mask:0xf
	v_add_f32_e32 v15, v15, v16
	s_nop 1
	v_mov_b32_dpp v16, v15 row_mirror row_mask:0xf bank_mask:0xf
	v_add_f32_e32 v15, v15, v16
	s_nop 1
	v_mov_b32_dpp v16, v15 row_bcast:15 row_mask:0xf bank_mask:0xf
	v_add_f32_e32 v15, v15, v16
	s_nop 1
	v_mov_b32_dpp v16, v15 row_bcast:31 row_mask:0xf bank_mask:0xf
	s_and_saveexec_b64 s[2:3], s[0:1]
	s_cbranch_execz .LBB424_22
; %bb.21:
	v_lshrrev_b32_e32 v0, 4, v0
	v_add_f32_e32 v15, v15, v16
	v_and_b32_e32 v0, 60, v0
	ds_write_b32 v0, v15
.LBB424_22:
	s_or_b64 exec, exec, s[2:3]
	s_waitcnt lgkmcnt(0)
	s_barrier
	ds_read_b32 v0, v14
	s_waitcnt lgkmcnt(0)
	s_nop 0
	v_mov_b32_dpp v14, v0 quad_perm:[1,0,3,2] row_mask:0xf bank_mask:0xf
	s_and_saveexec_b64 s[0:1], vcc
	s_cbranch_execz .LBB424_10
; %bb.23:
	v_cvt_f32_u32_e32 v15, s16
	v_add_f32_e32 v0, v0, v14
	s_mov_b32 s11, 0x20000
	v_div_scale_f32 v14, s[0:1], v15, v15, v0
	v_rcp_f32_e32 v16, v14
	v_div_scale_f32 v17, vcc, v0, v15, v0
	s_mov_b32 s0, 0x800000
	v_fma_f32 v18, -v14, v16, 1.0
	v_fmac_f32_e32 v16, v18, v16
	v_mul_f32_e32 v18, v17, v16
	v_fma_f32 v19, -v14, v18, v17
	v_fmac_f32_e32 v18, v19, v16
	v_fma_f32 v14, -v14, v18, v17
	v_div_fmas_f32 v14, v14, v16, v18
	v_div_fixup_f32 v0, v14, v15, v0
	v_add_f32_e32 v0, s13, v0
	v_mul_f32_e32 v14, 0x4b800000, v0
	v_cmp_gt_f32_e32 vcc, s0, v0
	v_cndmask_b32_e32 v0, v0, v14, vcc
	v_rsq_f32_e32 v0, v0
	s_mul_hi_i32 s1, s27, s6
	s_mul_i32 s0, s27, s6
	s_lshl_b64 s[0:1], s[0:1], 1
	v_mul_f32_e32 v14, 0x45800000, v0
	v_cndmask_b32_e32 v14, v0, v14, vcc
	s_add_u32 s8, s14, s0
	v_mov_b32_e32 v15, v14
	s_addc_u32 s0, s15, s1
	;;#ASMSTART
	v_pk_mul_f32 v[12:13], v[12:13], v[14:15]
	;;#ASMEND
	;;#ASMSTART
	v_pk_mul_f32 v[10:11], v[10:11], v[14:15]
	;;#ASMEND
	;; [unrolled: 3-line block ×4, first 2 shown]
	s_waitcnt vmcnt(0)
	v_cvt_f32_u32_sdwa v15, v2 dst_sel:DWORD dst_unused:UNUSED_PAD src0_sel:WORD_1
	v_cvt_f32_u32_sdwa v14, v2 dst_sel:DWORD dst_unused:UNUSED_PAD src0_sel:WORD_0
	v_cvt_f32_u32_sdwa v17, v3 dst_sel:DWORD dst_unused:UNUSED_PAD src0_sel:WORD_1
	v_cvt_f32_u32_sdwa v16, v3 dst_sel:DWORD dst_unused:UNUSED_PAD src0_sel:WORD_0
	;; [unrolled: 2-line block ×4, first 2 shown]
	;;#ASMSTART
	v_pk_mul_f32 v[4:5], v[12:13], v[14:15]
	;;#ASMEND
	s_and_b32 s9, s0, 0xffff
	s_mov_b32 s0, 0x7060302
	;;#ASMSTART
	v_pk_mul_f32 v[10:11], v[10:11], v[16:17]
	;;#ASMEND
	;;#ASMSTART
	v_pk_mul_f32 v[8:9], v[8:9], v[2:3]
	;;#ASMEND
	;; [unrolled: 3-line block ×3, first 2 shown]
	v_perm_b32 v2, v5, v4, s0
	v_perm_b32 v3, v11, v10, s0
	;; [unrolled: 1-line block ×4, first 2 shown]
	buffer_store_dwordx4 v[2:5], v1, s[8:11], 0 offen
	;;#ASMSTART
	s_nop 0
	;;#ASMEND
	s_endpgm
	.section	.rodata,"a",@progbits
	.p2align	6, 0x0
	.amdhsa_kernel _ZN5aiter35fused_qk_rmsnorm_group_quant_kernelItN4opus5fp4_tELi128ELi8ELi4ELb0ELb1ELb0ELb1ELb0ELb0EEEvPT0_PvPT_S7_S7_PKS6_S9_S9_S9_S9_ffiiiiiiiiiiiii
		.amdhsa_group_segment_fixed_size 16
		.amdhsa_private_segment_fixed_size 0
		.amdhsa_kernarg_size 400
		.amdhsa_user_sgpr_count 6
		.amdhsa_user_sgpr_private_segment_buffer 1
		.amdhsa_user_sgpr_dispatch_ptr 0
		.amdhsa_user_sgpr_queue_ptr 0
		.amdhsa_user_sgpr_kernarg_segment_ptr 1
		.amdhsa_user_sgpr_dispatch_id 0
		.amdhsa_user_sgpr_flat_scratch_init 0
		.amdhsa_user_sgpr_kernarg_preload_length 0
		.amdhsa_user_sgpr_kernarg_preload_offset 0
		.amdhsa_user_sgpr_private_segment_size 0
		.amdhsa_uses_dynamic_stack 0
		.amdhsa_system_sgpr_private_segment_wavefront_offset 0
		.amdhsa_system_sgpr_workgroup_id_x 1
		.amdhsa_system_sgpr_workgroup_id_y 1
		.amdhsa_system_sgpr_workgroup_id_z 0
		.amdhsa_system_sgpr_workgroup_info 0
		.amdhsa_system_vgpr_workitem_id 0
		.amdhsa_next_free_vgpr 23
		.amdhsa_next_free_sgpr 32
		.amdhsa_accum_offset 24
		.amdhsa_reserve_vcc 1
		.amdhsa_reserve_flat_scratch 0
		.amdhsa_float_round_mode_32 0
		.amdhsa_float_round_mode_16_64 0
		.amdhsa_float_denorm_mode_32 3
		.amdhsa_float_denorm_mode_16_64 3
		.amdhsa_dx10_clamp 1
		.amdhsa_ieee_mode 1
		.amdhsa_fp16_overflow 0
		.amdhsa_tg_split 0
		.amdhsa_exception_fp_ieee_invalid_op 0
		.amdhsa_exception_fp_denorm_src 0
		.amdhsa_exception_fp_ieee_div_zero 0
		.amdhsa_exception_fp_ieee_overflow 0
		.amdhsa_exception_fp_ieee_underflow 0
		.amdhsa_exception_fp_ieee_inexact 0
		.amdhsa_exception_int_div_zero 0
	.end_amdhsa_kernel
	.section	.text._ZN5aiter35fused_qk_rmsnorm_group_quant_kernelItN4opus5fp4_tELi128ELi8ELi4ELb0ELb1ELb0ELb1ELb0ELb0EEEvPT0_PvPT_S7_S7_PKS6_S9_S9_S9_S9_ffiiiiiiiiiiiii,"axG",@progbits,_ZN5aiter35fused_qk_rmsnorm_group_quant_kernelItN4opus5fp4_tELi128ELi8ELi4ELb0ELb1ELb0ELb1ELb0ELb0EEEvPT0_PvPT_S7_S7_PKS6_S9_S9_S9_S9_ffiiiiiiiiiiiii,comdat
.Lfunc_end424:
	.size	_ZN5aiter35fused_qk_rmsnorm_group_quant_kernelItN4opus5fp4_tELi128ELi8ELi4ELb0ELb1ELb0ELb1ELb0ELb0EEEvPT0_PvPT_S7_S7_PKS6_S9_S9_S9_S9_ffiiiiiiiiiiiii, .Lfunc_end424-_ZN5aiter35fused_qk_rmsnorm_group_quant_kernelItN4opus5fp4_tELi128ELi8ELi4ELb0ELb1ELb0ELb1ELb0ELb0EEEvPT0_PvPT_S7_S7_PKS6_S9_S9_S9_S9_ffiiiiiiiiiiiii
                                        ; -- End function
	.section	.AMDGPU.csdata,"",@progbits
; Kernel info:
; codeLenInByte = 1996
; NumSgprs: 36
; NumVgprs: 23
; NumAgprs: 0
; TotalNumVgprs: 23
; ScratchSize: 0
; MemoryBound: 0
; FloatMode: 240
; IeeeMode: 1
; LDSByteSize: 16 bytes/workgroup (compile time only)
; SGPRBlocks: 4
; VGPRBlocks: 2
; NumSGPRsForWavesPerEU: 36
; NumVGPRsForWavesPerEU: 23
; AccumOffset: 24
; Occupancy: 8
; WaveLimiterHint : 0
; COMPUTE_PGM_RSRC2:SCRATCH_EN: 0
; COMPUTE_PGM_RSRC2:USER_SGPR: 6
; COMPUTE_PGM_RSRC2:TRAP_HANDLER: 0
; COMPUTE_PGM_RSRC2:TGID_X_EN: 1
; COMPUTE_PGM_RSRC2:TGID_Y_EN: 1
; COMPUTE_PGM_RSRC2:TGID_Z_EN: 0
; COMPUTE_PGM_RSRC2:TIDIG_COMP_CNT: 0
; COMPUTE_PGM_RSRC3_GFX90A:ACCUM_OFFSET: 5
; COMPUTE_PGM_RSRC3_GFX90A:TG_SPLIT: 0
	.section	.text._ZN5aiter35fused_qk_rmsnorm_group_quant_kernelIDF16_DB8_Li128ELi8ELi4ELb1ELb1ELb1ELb0ELb0ELb0EEEvPT0_PvPT_S6_S6_PKS5_S8_S8_S8_S8_ffiiiiiiiiiiiii,"axG",@progbits,_ZN5aiter35fused_qk_rmsnorm_group_quant_kernelIDF16_DB8_Li128ELi8ELi4ELb1ELb1ELb1ELb0ELb0ELb0EEEvPT0_PvPT_S6_S6_PKS5_S8_S8_S8_S8_ffiiiiiiiiiiiii,comdat
	.protected	_ZN5aiter35fused_qk_rmsnorm_group_quant_kernelIDF16_DB8_Li128ELi8ELi4ELb1ELb1ELb1ELb0ELb0ELb0EEEvPT0_PvPT_S6_S6_PKS5_S8_S8_S8_S8_ffiiiiiiiiiiiii ; -- Begin function _ZN5aiter35fused_qk_rmsnorm_group_quant_kernelIDF16_DB8_Li128ELi8ELi4ELb1ELb1ELb1ELb0ELb0ELb0EEEvPT0_PvPT_S6_S6_PKS5_S8_S8_S8_S8_ffiiiiiiiiiiiii
	.globl	_ZN5aiter35fused_qk_rmsnorm_group_quant_kernelIDF16_DB8_Li128ELi8ELi4ELb1ELb1ELb1ELb0ELb0ELb0EEEvPT0_PvPT_S6_S6_PKS5_S8_S8_S8_S8_ffiiiiiiiiiiiii
	.p2align	8
	.type	_ZN5aiter35fused_qk_rmsnorm_group_quant_kernelIDF16_DB8_Li128ELi8ELi4ELb1ELb1ELb1ELb0ELb0ELb0EEEvPT0_PvPT_S6_S6_PKS5_S8_S8_S8_S8_ffiiiiiiiiiiiii,@function
_ZN5aiter35fused_qk_rmsnorm_group_quant_kernelIDF16_DB8_Li128ELi8ELi4ELb1ELb1ELb1ELb0ELb0ELb0EEEvPT0_PvPT_S6_S6_PKS5_S8_S8_S8_S8_ffiiiiiiiiiiiii: ; @_ZN5aiter35fused_qk_rmsnorm_group_quant_kernelIDF16_DB8_Li128ELi8ELi4ELb1ELb1ELb1ELb0ELb0ELb0EEEvPT0_PvPT_S6_S6_PKS5_S8_S8_S8_S8_ffiiiiiiiiiiiii
; %bb.0:
	s_load_dwordx8 s[20:27], s[4:5], 0x50
	s_waitcnt lgkmcnt(0)
	s_cmp_ge_i32 s6, s22
	s_cbranch_scc1 .LBB425_17
; %bb.1:
	s_cmp_lg_u32 s7, 0
	s_cselect_b64 s[10:11], -1, 0
	s_cmp_eq_u32 s7, 0
	s_cselect_b64 s[8:9], -1, 0
	s_and_b64 s[0:1], s[8:9], exec
	s_load_dwordx2 s[28:29], s[4:5], 0x48
	s_load_dwordx2 s[34:35], s[4:5], 0x30
	s_load_dwordx8 s[12:19], s[4:5], 0x70
	s_cselect_b32 s7, s23, s24
	s_add_i32 s0, s7, 1
	s_lshr_b32 s1, s0, 31
	s_add_i32 s0, s0, s1
	s_lshl_b32 s0, s0, 1
	v_lshlrev_b32_e32 v1, 3, v0
	s_and_b32 s38, s0, -4
	v_cmp_gt_i32_e64 s[0:1], s7, v1
	v_mov_b32_e32 v20, 0
	v_mov_b32_e32 v21, 0
	;; [unrolled: 1-line block ×8, first 2 shown]
	s_and_saveexec_b64 s[2:3], s[0:1]
	s_cbranch_execz .LBB425_3
; %bb.2:
	s_waitcnt lgkmcnt(0)
	s_load_dwordx2 s[18:19], s[4:5], 0x28
	s_load_dwordx2 s[30:31], s[4:5], 0x40
	s_and_b64 s[36:37], s[8:9], exec
	s_cselect_b32 s22, s25, s26
	s_mov_b32 s39, 0x20000
	s_waitcnt lgkmcnt(0)
	s_cselect_b32 s25, s19, s35
	s_cselect_b32 s33, s18, s34
	s_mul_hi_i32 s19, s22, s6
	s_mul_i32 s18, s22, s6
	s_lshl_b64 s[18:19], s[18:19], 1
	s_add_u32 s40, s33, s18
	s_addc_u32 s22, s25, s19
	s_and_b64 s[18:19], s[8:9], exec
	s_cselect_b32 s36, s30, s28
	s_cselect_b32 s18, s31, s29
	v_lshlrev_b32_e32 v2, 4, v0
	s_and_b32 s41, s22, 0xffff
	s_mov_b32 s42, s38
	s_mov_b32 s43, s39
	s_and_b32 s37, s18, 0xffff
	buffer_load_dwordx4 v[24:27], v2, s[40:43], 0 offen glc slc
	buffer_load_dwordx4 v[20:23], v2, s[36:39], 0 offen
.LBB425_3:
	s_or_b64 exec, exec, s[2:3]
	s_and_b64 vcc, exec, s[10:11]
	s_cbranch_vccz .LBB425_7
; %bb.4:
	v_mov_b32_e32 v29, 0
	v_mov_b32_e32 v28, 0
	;; [unrolled: 1-line block ×8, first 2 shown]
	s_and_saveexec_b64 s[2:3], s[0:1]
	s_cbranch_execz .LBB425_6
; %bb.5:
	s_waitcnt vmcnt(1)
	v_cvt_f32_f16_sdwa v11, v24 dst_sel:DWORD dst_unused:UNUSED_PAD src0_sel:WORD_1
	v_cvt_f32_f16_e32 v10, v24
	v_cvt_f32_f16_sdwa v15, v25 dst_sel:DWORD dst_unused:UNUSED_PAD src0_sel:WORD_1
	v_cvt_f32_f16_e32 v14, v25
	;; [unrolled: 2-line block ×4, first 2 shown]
.LBB425_6:
	s_or_b64 exec, exec, s[2:3]
	s_cbranch_execz .LBB425_8
	s_branch .LBB425_11
.LBB425_7:
                                        ; implicit-def: $vgpr10_vgpr11_vgpr12_vgpr13_vgpr14_vgpr15_vgpr16_vgpr17
                                        ; implicit-def: $vgpr29
                                        ; implicit-def: $vgpr12_vgpr13_vgpr14_vgpr15_vgpr16_vgpr17_vgpr18_vgpr19
                                        ; implicit-def: $vgpr2_vgpr3_vgpr4_vgpr5_vgpr6_vgpr7_vgpr8_vgpr9
.LBB425_8:
	v_mov_b32_e32 v29, 0
	v_mov_b32_e32 v28, 0
	;; [unrolled: 1-line block ×8, first 2 shown]
	s_and_saveexec_b64 s[2:3], s[0:1]
	s_cbranch_execz .LBB425_10
; %bb.9:
	s_waitcnt lgkmcnt(0)
	s_load_dwordx2 s[18:19], s[4:5], 0x38
	s_mul_hi_i32 s31, s27, s6
	s_mul_i32 s30, s27, s6
	s_lshl_b64 s[30:31], s[30:31], 1
	s_mov_b32 s39, 0x20000
	s_waitcnt lgkmcnt(0)
	s_add_u32 s36, s18, s30
	s_addc_u32 s18, s19, s31
	s_and_b32 s37, s18, 0xffff
	v_lshlrev_b32_e32 v30, 4, v0
	buffer_load_dwordx4 v[2:5], v30, s[36:39], 0 offen glc slc
	s_waitcnt vmcnt(2)
	v_cvt_f32_f16_sdwa v7, v24 dst_sel:DWORD dst_unused:UNUSED_PAD src0_sel:WORD_1
	v_cvt_f32_f16_e32 v6, v24
	v_cvt_f32_f16_sdwa v9, v25 dst_sel:DWORD dst_unused:UNUSED_PAD src0_sel:WORD_1
	v_cvt_f32_f16_e32 v8, v25
	;; [unrolled: 2-line block ×4, first 2 shown]
	s_load_dwordx2 s[18:19], s[4:5], 0x20
	s_mul_hi_i32 s31, s17, s6
	s_mul_i32 s30, s17, s6
	s_lshl_b64 s[30:31], s[30:31], 1
	s_waitcnt lgkmcnt(0)
	s_add_u32 s36, s18, s30
	s_addc_u32 s17, s19, s31
	s_and_b32 s37, s17, 0xffff
	s_waitcnt vmcnt(0)
	v_cvt_f32_f16_e32 v10, v2
	v_cvt_f32_f16_sdwa v11, v2 dst_sel:DWORD dst_unused:UNUSED_PAD src0_sel:WORD_1
	v_cvt_f32_f16_e32 v2, v3
	v_cvt_f32_f16_sdwa v3, v3 dst_sel:DWORD dst_unused:UNUSED_PAD src0_sel:WORD_1
	;; [unrolled: 2-line block ×4, first 2 shown]
	v_pk_add_f32 v[10:11], v[6:7], v[10:11]
	v_pk_add_f32 v[14:15], v[8:9], v[2:3]
	v_pk_add_f32 v[6:7], v[12:13], v[18:19]
	v_pk_add_f32 v[28:29], v[16:17], v[4:5]
	v_cvt_f16_f32_e32 v2, v11
	v_cvt_f16_f32_e32 v3, v15
	;; [unrolled: 1-line block ×8, first 2 shown]
	v_pack_b32_f16 v5, v8, v5
	v_pack_b32_f16 v4, v9, v4
	;; [unrolled: 1-line block ×4, first 2 shown]
	buffer_store_dwordx4 v[2:5], v30, s[36:39], 0 offen glc slc
	;;#ASMSTART
	s_nop 0
	;;#ASMEND
.LBB425_10:
	s_or_b64 exec, exec, s[2:3]
.LBB425_11:
	v_mul_f32_e32 v2, v11, v11
	v_fmac_f32_e32 v2, v10, v10
	v_fmac_f32_e32 v2, v14, v14
	;; [unrolled: 1-line block ×7, first 2 shown]
	v_and_b32_e32 v4, 63, v0
	v_cmp_eq_u32_e64 s[2:3], 63, v4
	v_mov_b32_dpp v3, v2 quad_perm:[1,0,3,2] row_mask:0xf bank_mask:0xf
	v_add_f32_e32 v2, v2, v3
	s_nop 1
	v_mov_b32_dpp v3, v2 quad_perm:[2,3,0,1] row_mask:0xf bank_mask:0xf
	v_add_f32_e32 v2, v2, v3
	s_nop 1
	v_mov_b32_dpp v3, v2 row_half_mirror row_mask:0xf bank_mask:0xf
	v_add_f32_e32 v2, v2, v3
	s_nop 1
	v_mov_b32_dpp v3, v2 row_mirror row_mask:0xf bank_mask:0xf
	v_add_f32_e32 v2, v2, v3
	s_nop 1
	v_mov_b32_dpp v3, v2 row_bcast:15 row_mask:0xf bank_mask:0xf
	v_add_f32_e32 v2, v2, v3
	s_nop 1
	v_mov_b32_dpp v3, v2 row_bcast:31 row_mask:0xf bank_mask:0xf
	s_waitcnt lgkmcnt(0)
	s_and_saveexec_b64 s[18:19], s[2:3]
	s_cbranch_execz .LBB425_13
; %bb.12:
	v_add_f32_e32 v2, v2, v3
	v_lshrrev_b32_e32 v3, 4, v0
	v_and_b32_e32 v3, 60, v3
	ds_write_b32 v3, v2 offset:8
.LBB425_13:
	s_or_b64 exec, exec, s[18:19]
	v_and_b32_e32 v2, 1, v0
	v_lshlrev_b32_e32 v18, 2, v2
	s_waitcnt lgkmcnt(0)
	s_barrier
	ds_read_b32 v2, v18 offset:8
	s_load_dwordx2 s[18:19], s[4:5], 0x18
	s_waitcnt lgkmcnt(0)
	v_mov_b32_dpp v3, v2 quad_perm:[1,0,3,2] row_mask:0xf bank_mask:0xf
	s_and_saveexec_b64 s[30:31], s[0:1]
	s_cbranch_execnz .LBB425_18
; %bb.14:
	s_or_b64 exec, exec, s[30:31]
	s_mov_b64 s[8:9], -1
	s_and_b64 vcc, exec, s[10:11]
	s_cbranch_vccnz .LBB425_19
.LBB425_15:
	s_andn2_b64 vcc, exec, s[8:9]
	s_cbranch_vccz .LBB425_22
.LBB425_16:
	s_cmp_lt_i32 s24, 1
	s_cbranch_scc0 .LBB425_31
.LBB425_17:
	s_endpgm
.LBB425_18:
	v_cvt_f32_u32_e32 v4, s7
	v_add_f32_e32 v2, v2, v3
	v_mov_b32_e32 v8, s21
	v_mov_b32_e32 v9, s20
	v_div_scale_f32 v3, s[36:37], v4, v4, v2
	v_rcp_f32_e32 v5, v3
	v_cndmask_b32_e64 v8, v8, v9, s[8:9]
	s_mov_b32 s7, 0x800000
	s_waitcnt vmcnt(0)
	v_cvt_f32_f16_sdwa v17, v23 dst_sel:DWORD dst_unused:UNUSED_PAD src0_sel:WORD_1
	v_fma_f32 v9, -v3, v5, 1.0
	v_fmac_f32_e32 v5, v9, v5
	v_div_scale_f32 v9, vcc, v2, v4, v2
	v_mul_f32_e32 v12, v9, v5
	v_fma_f32 v13, -v3, v12, v9
	v_fmac_f32_e32 v12, v13, v5
	v_fma_f32 v3, -v3, v12, v9
	v_div_fmas_f32 v3, v3, v5, v12
	v_div_fixup_f32 v2, v3, v4, v2
	v_add_f32_e32 v2, v8, v2
	v_mul_f32_e32 v3, 0x4b800000, v2
	v_cmp_gt_f32_e32 vcc, s7, v2
	v_cndmask_b32_e32 v2, v2, v3, vcc
	v_rsq_f32_e32 v2, v2
	v_cvt_f32_f16_sdwa v13, v21 dst_sel:DWORD dst_unused:UNUSED_PAD src0_sel:WORD_1
	v_cvt_f32_f16_e32 v12, v21
	v_cvt_f32_f16_e32 v16, v23
	v_mul_f32_e32 v3, 0x45800000, v2
	v_cndmask_b32_e32 v2, v2, v3, vcc
	v_mov_b32_e32 v3, v2
	;;#ASMSTART
	v_pk_mul_f32 v[4:5], v[10:11], v[2:3]
	;;#ASMEND
	v_cvt_f32_f16_sdwa v11, v20 dst_sel:DWORD dst_unused:UNUSED_PAD src0_sel:WORD_1
	v_cvt_f32_f16_e32 v10, v20
	;;#ASMSTART
	v_pk_mul_f32 v[8:9], v[14:15], v[2:3]
	;;#ASMEND
	;;#ASMSTART
	v_pk_mul_f32 v[6:7], v[6:7], v[2:3]
	;;#ASMEND
	;; [unrolled: 3-line block ×3, first 2 shown]
	v_pk_add_f32 v[10:11], v[10:11], 1.0 op_sel_hi:[1,0]
	;;#ASMSTART
	v_pk_mul_f32 v[10:11], v[4:5], v[10:11]
	;;#ASMEND
	v_pk_add_f32 v[4:5], v[12:13], 1.0 op_sel_hi:[1,0]
	v_cvt_f32_f16_sdwa v13, v22 dst_sel:DWORD dst_unused:UNUSED_PAD src0_sel:WORD_1
	v_cvt_f32_f16_e32 v12, v22
	;;#ASMSTART
	v_pk_mul_f32 v[14:15], v[8:9], v[4:5]
	;;#ASMEND
	v_pk_add_f32 v[4:5], v[12:13], 1.0 op_sel_hi:[1,0]
	;;#ASMSTART
	v_pk_mul_f32 v[6:7], v[6:7], v[4:5]
	;;#ASMEND
	v_pk_add_f32 v[4:5], v[16:17], 1.0 op_sel_hi:[1,0]
	;;#ASMSTART
	v_pk_mul_f32 v[28:29], v[2:3], v[4:5]
	;;#ASMEND
	s_or_b64 exec, exec, s[30:31]
	s_mov_b64 s[8:9], -1
	s_and_b64 vcc, exec, s[10:11]
	s_cbranch_vccz .LBB425_15
.LBB425_19:
	s_and_saveexec_b64 s[8:9], s[0:1]
	s_cbranch_execz .LBB425_21
; %bb.20:
	s_mul_hi_i32 s11, s16, s6
	s_mul_i32 s10, s16, s6
	v_cvt_f16_f32_e32 v2, v10
	v_cvt_f16_f32_e32 v3, v14
	;; [unrolled: 1-line block ×8, first 2 shown]
	s_lshl_b64 s[10:11], s[10:11], 1
	s_add_u32 s36, s18, s10
	s_addc_u32 s7, s19, s11
	s_and_b32 s37, s7, 0xffff
	s_mov_b32 s39, 0x20000
	v_pack_b32_f16 v5, v5, v8
	v_pack_b32_f16 v4, v4, v9
	;; [unrolled: 1-line block ×4, first 2 shown]
	v_lshlrev_b32_e32 v8, 4, v0
	buffer_store_dwordx4 v[2:5], v8, s[36:39], 0 offen
	;;#ASMSTART
	s_nop 0
	;;#ASMEND
.LBB425_21:
	s_or_b64 exec, exec, s[8:9]
	s_cbranch_execnz .LBB425_16
.LBB425_22:
	v_mov_b32_e32 v2, 0
	s_and_saveexec_b64 s[8:9], s[0:1]
	s_cbranch_execz .LBB425_24
; %bb.23:
	s_load_dwordx2 s[10:11], s[4:5], 0x10
	s_mul_hi_i32 s31, s15, s6
	s_mul_i32 s30, s15, s6
	v_cvt_f16_f32_e32 v2, v10
	v_cvt_f16_f32_e32 v3, v14
	;; [unrolled: 1-line block ×8, first 2 shown]
	s_lshl_b64 s[30:31], s[30:31], 1
	s_waitcnt lgkmcnt(0)
	s_add_u32 s36, s10, s30
	s_addc_u32 s7, s11, s31
	s_mov_b32 s39, 0x20000
	s_and_b32 s37, s7, 0xffff
	v_pack_b32_f16 v5, v5, v8
	v_pack_b32_f16 v4, v4, v9
	;; [unrolled: 1-line block ×4, first 2 shown]
	v_lshlrev_b32_e32 v8, 4, v0
	buffer_store_dwordx4 v[2:5], v8, s[36:39], 0 offen
	;;#ASMSTART
	s_nop 0
	;;#ASMEND
	s_nop 0
	v_mov_b32_e32 v2, 0x2edbe6ff
.LBB425_24:
	s_or_b64 exec, exec, s[8:9]
	s_and_saveexec_b64 s[8:9], s[0:1]
	s_cbranch_execz .LBB425_26
; %bb.25:
	v_and_b32_e32 v3, 0x7fffffff, v10
	v_and_b32_e32 v4, 0x7fffffff, v11
	;;#ASMSTART
	v_max3_f32 v2, v2, v3, v4

	;;#ASMEND
	v_and_b32_e32 v3, 0x7fffffff, v14
	v_and_b32_e32 v4, 0x7fffffff, v15
	;;#ASMSTART
	v_max3_f32 v2, v2, v3, v4

	;;#ASMEND
	;; [unrolled: 6-line block ×4, first 2 shown]
.LBB425_26:
	s_or_b64 exec, exec, s[8:9]
	;;#ASMSTART
	v_max_f32 v3, v2, v2 quad_perm:[1,0,3,2] row_mask:0xf bank_mask:0xf bound_ctrl:1
	;;#ASMEND
	;;#ASMSTART
	v_max_f32 v2, v3, v3 quad_perm:[2,3,0,1] row_mask:0xf bank_mask:0xf bound_ctrl:1
	;;#ASMEND
	v_and_b32_e32 v3, 3, v0
	v_cmp_eq_u32_e32 vcc, 0, v3
	v_cmp_gt_i32_e64 s[8:9], s23, v1
	v_mul_f32_e32 v2, 0x3b124925, v2
	s_and_b64 s[10:11], vcc, s[8:9]
	s_and_saveexec_b64 s[8:9], s[10:11]
	s_cbranch_execz .LBB425_28
; %bb.27:
	s_load_dwordx2 s[10:11], s[4:5], 0x8
	v_lshrrev_b32_e32 v3, 2, v0
	s_mul_hi_i32 s31, s13, s6
	s_mul_i32 s30, s13, s6
	v_mad_i64_i32 v[4:5], s[14:15], s14, v3, 0
	s_lshl_b64 s[14:15], s[30:31], 2
	s_waitcnt lgkmcnt(0)
	s_add_u32 s7, s10, s14
	s_addc_u32 s10, s11, s15
	v_lshlrev_b64 v[4:5], 2, v[4:5]
	v_mov_b32_e32 v3, s10
	v_add_co_u32_e32 v4, vcc, s7, v4
	v_addc_co_u32_e32 v5, vcc, v3, v5, vcc
	global_store_dword v[4:5], v2, off
.LBB425_28:
	s_or_b64 exec, exec, s[8:9]
	;;#ASMSTART
	v_rcp_f32 v2, v2
	;;#ASMEND
	s_and_saveexec_b64 s[14:15], s[0:1]
	s_cbranch_execz .LBB425_30
; %bb.29:
	s_load_dwordx2 s[0:1], s[4:5], 0x0
	s_mul_i32 s8, s12, s6
	v_mov_b32_e32 v3, v2
	;;#ASMSTART
	v_pk_mul_f32 v[4:5], v[10:11], v[2:3]
	;;#ASMEND
	s_mul_hi_i32 s7, s12, s6
	s_waitcnt lgkmcnt(0)
	s_add_u32 s8, s0, s8
	v_mov_b32_e32 v8, 0xc3e00000
	v_mov_b32_e32 v9, 0x43e00000
	;;#ASMSTART
	v_med3_f32 v4, v4, v8, v9
v_med3_f32 v5, v5, v8, v9
v_cvt_pk_fp8_f32 v10, v4, v5
	;;#ASMEND
	s_addc_u32 s0, s1, s7
	;;#ASMSTART
	v_pk_mul_f32 v[4:5], v[14:15], v[2:3]
	;;#ASMEND
	s_and_b32 s9, s0, 0xffff
	;;#ASMSTART
	v_med3_f32 v4, v4, v8, v9
v_med3_f32 v5, v5, v8, v9
v_cvt_pk_fp8_f32 v11, v4, v5
	;;#ASMEND
	s_mov_b32 s0, 0x5040100
	v_perm_b32 v5, v11, v10, s0
	s_movk_i32 s0, 0xff
	v_and_b32_e32 v4, 0xffffff00, v11
	v_and_b32_sdwa v10, v5, s0 dst_sel:DWORD dst_unused:UNUSED_PAD src0_sel:WORD_1 src1_sel:DWORD
	s_mov_b32 s12, 0xffff
	v_or_b32_sdwa v4, v10, v4 dst_sel:WORD_1 dst_unused:UNUSED_PAD src0_sel:DWORD src1_sel:DWORD
	s_add_i32 s1, s23, 3
	v_and_or_b32 v4, v5, s12, v4
	;;#ASMSTART
	v_pk_mul_f32 v[6:7], v[6:7], v[2:3]
	;;#ASMEND
	v_mov_b32_e32 v5, v7
	s_ashr_i32 s7, s1, 31
	;;#ASMSTART
	v_med3_f32 v6, v6, v8, v9
v_med3_f32 v5, v5, v8, v9
v_cvt_pk_fp8_f32 v7, v6, v5
	;;#ASMEND
	;;#ASMSTART
	v_pk_mul_f32 v[2:3], v[28:29], v[2:3]
	;;#ASMEND
	s_lshr_b32 s7, s7, 30
	;;#ASMSTART
	v_med3_f32 v2, v2, v8, v9
v_med3_f32 v3, v3, v8, v9
v_cvt_pk_fp8_f32 v5, v2, v3
	;;#ASMEND
	s_add_i32 s1, s1, s7
	v_lshlrev_b32_e32 v2, 16, v5
	s_and_b32 s10, s1, -4
	s_mov_b32 s11, 0x20000
	v_and_or_b32 v5, v7, s12, v2
	buffer_store_dwordx2 v[4:5], v1, s[8:11], 0 offen
	;;#ASMSTART
	s_nop 0
	;;#ASMEND
.LBB425_30:
	s_or_b64 exec, exec, s[14:15]
	s_cmp_lt_i32 s24, 1
	s_cbranch_scc1 .LBB425_17
.LBB425_31:
	s_load_dword s0, s[4:5], 0x94
	s_waitcnt lgkmcnt(0)
	s_cmp_lg_u32 s0, 1
	s_cbranch_scc1 .LBB425_17
; %bb.32:
	s_lshl_b32 s0, s24, 1
	s_add_i32 s0, s0, 2
	v_cmp_gt_u32_e32 vcc, s24, v1
	s_and_b32 s30, s0, -4
	v_mov_b32_e32 v10, 0
	v_lshlrev_b32_e32 v1, 4, v0
	v_mov_b32_e32 v6, 0
	v_mov_b32_e32 v7, 0
	;; [unrolled: 1-line block ×8, first 2 shown]
	s_barrier
	s_and_saveexec_b64 s[0:1], vcc
	s_cbranch_execz .LBB425_34
; %bb.33:
	s_mul_hi_i32 s5, s26, s6
	s_mul_i32 s4, s26, s6
	s_and_b32 s29, s29, 0xffff
	s_lshl_b64 s[4:5], s[4:5], 1
	s_add_u32 s8, s34, s4
	s_mov_b32 s31, 0x20000
	s_addc_u32 s4, s35, s5
	s_and_b32 s9, s4, 0xffff
	s_mov_b32 s10, s30
	s_mov_b32 s11, s31
	buffer_load_dwordx4 v[6:9], v1, s[8:11], 0 offen glc slc
	buffer_load_dwordx4 v[2:5], v1, s[28:31], 0 offen
.LBB425_34:
	s_or_b64 exec, exec, s[0:1]
	v_mov_b32_e32 v11, 0
	v_mov_b32_e32 v16, 0
	;; [unrolled: 1-line block ×7, first 2 shown]
	s_and_saveexec_b64 s[0:1], vcc
	s_cbranch_execz .LBB425_36
; %bb.35:
	s_waitcnt vmcnt(1)
	v_cvt_f32_f16_sdwa v11, v6 dst_sel:DWORD dst_unused:UNUSED_PAD src0_sel:WORD_1
	v_cvt_f32_f16_e32 v10, v6
	v_cvt_f32_f16_sdwa v17, v7 dst_sel:DWORD dst_unused:UNUSED_PAD src0_sel:WORD_1
	v_cvt_f32_f16_e32 v16, v7
	;; [unrolled: 2-line block ×4, first 2 shown]
.LBB425_36:
	s_or_b64 exec, exec, s[0:1]
	s_waitcnt vmcnt(1)
	v_mul_f32_e32 v6, v11, v11
	v_fmac_f32_e32 v6, v10, v10
	v_fmac_f32_e32 v6, v16, v16
	;; [unrolled: 1-line block ×7, first 2 shown]
	s_nop 1
	v_mov_b32_dpp v7, v6 quad_perm:[1,0,3,2] row_mask:0xf bank_mask:0xf
	v_add_f32_e32 v6, v6, v7
	s_nop 1
	v_mov_b32_dpp v7, v6 quad_perm:[2,3,0,1] row_mask:0xf bank_mask:0xf
	v_add_f32_e32 v6, v6, v7
	s_nop 1
	v_mov_b32_dpp v7, v6 row_half_mirror row_mask:0xf bank_mask:0xf
	v_add_f32_e32 v6, v6, v7
	s_nop 1
	v_mov_b32_dpp v7, v6 row_mirror row_mask:0xf bank_mask:0xf
	v_add_f32_e32 v6, v6, v7
	s_nop 1
	v_mov_b32_dpp v7, v6 row_bcast:15 row_mask:0xf bank_mask:0xf
	v_add_f32_e32 v6, v6, v7
	s_nop 1
	v_mov_b32_dpp v7, v6 row_bcast:31 row_mask:0xf bank_mask:0xf
	s_and_saveexec_b64 s[0:1], s[2:3]
	s_cbranch_execz .LBB425_38
; %bb.37:
	v_lshrrev_b32_e32 v0, 4, v0
	v_add_f32_e32 v6, v6, v7
	v_and_b32_e32 v0, 60, v0
	ds_write_b32 v0, v6
.LBB425_38:
	s_or_b64 exec, exec, s[0:1]
	s_waitcnt lgkmcnt(0)
	s_barrier
	ds_read_b32 v0, v18
	s_waitcnt lgkmcnt(0)
	s_nop 0
	v_mov_b32_dpp v6, v0 quad_perm:[1,0,3,2] row_mask:0xf bank_mask:0xf
	s_and_saveexec_b64 s[0:1], vcc
	s_cbranch_execz .LBB425_17
; %bb.39:
	v_cvt_f32_u32_e32 v7, s24
	v_add_f32_e32 v0, v0, v6
	s_mov_b32 s31, 0x20000
	v_div_scale_f32 v6, s[0:1], v7, v7, v0
	v_rcp_f32_e32 v8, v6
	v_div_scale_f32 v9, vcc, v0, v7, v0
	s_mov_b32 s0, 0x800000
	v_fma_f32 v18, -v6, v8, 1.0
	v_fmac_f32_e32 v8, v18, v8
	v_mul_f32_e32 v18, v9, v8
	v_fma_f32 v19, -v6, v18, v9
	v_fmac_f32_e32 v18, v19, v8
	v_fma_f32 v6, -v6, v18, v9
	v_div_fmas_f32 v6, v6, v8, v18
	v_div_fixup_f32 v0, v6, v7, v0
	v_add_f32_e32 v0, s21, v0
	v_mul_f32_e32 v6, 0x4b800000, v0
	v_cmp_gt_f32_e32 vcc, s0, v0
	v_cndmask_b32_e32 v0, v0, v6, vcc
	v_rsq_f32_e32 v0, v0
	s_waitcnt vmcnt(0)
	v_cvt_f32_f16_sdwa v19, v3 dst_sel:DWORD dst_unused:UNUSED_PAD src0_sel:WORD_1
	v_cvt_f32_f16_e32 v18, v3
	s_mul_hi_i32 s1, s16, s6
	v_mul_f32_e32 v6, 0x45800000, v0
	v_cndmask_b32_e32 v6, v0, v6, vcc
	v_mov_b32_e32 v7, v6
	;;#ASMSTART
	v_pk_mul_f32 v[8:9], v[10:11], v[6:7]
	;;#ASMEND
	;;#ASMSTART
	v_pk_mul_f32 v[10:11], v[16:17], v[6:7]
	;;#ASMEND
	v_cvt_f32_f16_sdwa v17, v2 dst_sel:DWORD dst_unused:UNUSED_PAD src0_sel:WORD_1
	v_cvt_f32_f16_e32 v16, v2
	;;#ASMSTART
	v_pk_mul_f32 v[14:15], v[14:15], v[6:7]
	;;#ASMEND
	;;#ASMSTART
	v_pk_mul_f32 v[2:3], v[12:13], v[6:7]
	;;#ASMEND
	v_cvt_f32_f16_sdwa v13, v4 dst_sel:DWORD dst_unused:UNUSED_PAD src0_sel:WORD_1
	v_cvt_f32_f16_e32 v12, v4
	v_pk_add_f32 v[6:7], v[16:17], 1.0 op_sel_hi:[1,0]
	v_cvt_f32_f16_sdwa v17, v5 dst_sel:DWORD dst_unused:UNUSED_PAD src0_sel:WORD_1
	v_cvt_f32_f16_e32 v16, v5
	;;#ASMSTART
	v_pk_mul_f32 v[6:7], v[8:9], v[6:7]
	;;#ASMEND
	v_pk_add_f32 v[8:9], v[18:19], 1.0 op_sel_hi:[1,0]
	;;#ASMSTART
	v_pk_mul_f32 v[4:5], v[10:11], v[8:9]
	;;#ASMEND
	v_pk_add_f32 v[8:9], v[12:13], 1.0 op_sel_hi:[1,0]
	;; [unrolled: 4-line block ×3, first 2 shown]
	;;#ASMSTART
	v_pk_mul_f32 v[2:3], v[2:3], v[10:11]
	;;#ASMEND
	s_mul_i32 s0, s16, s6
	v_cvt_f16_f32_e32 v0, v6
	v_cvt_f16_f32_e32 v6, v7
	;; [unrolled: 1-line block ×8, first 2 shown]
	s_lshl_b64 s[0:1], s[0:1], 1
	s_add_u32 s28, s18, s0
	s_addc_u32 s0, s19, s1
	s_and_b32 s29, s0, 0xffff
	v_pack_b32_f16 v2, v0, v6
	v_pack_b32_f16 v3, v4, v5
	;; [unrolled: 1-line block ×4, first 2 shown]
	buffer_store_dwordx4 v[2:5], v1, s[28:31], 0 offen
	;;#ASMSTART
	s_nop 0
	;;#ASMEND
	s_endpgm
	.section	.rodata,"a",@progbits
	.p2align	6, 0x0
	.amdhsa_kernel _ZN5aiter35fused_qk_rmsnorm_group_quant_kernelIDF16_DB8_Li128ELi8ELi4ELb1ELb1ELb1ELb0ELb0ELb0EEEvPT0_PvPT_S6_S6_PKS5_S8_S8_S8_S8_ffiiiiiiiiiiiii
		.amdhsa_group_segment_fixed_size 16
		.amdhsa_private_segment_fixed_size 0
		.amdhsa_kernarg_size 400
		.amdhsa_user_sgpr_count 6
		.amdhsa_user_sgpr_private_segment_buffer 1
		.amdhsa_user_sgpr_dispatch_ptr 0
		.amdhsa_user_sgpr_queue_ptr 0
		.amdhsa_user_sgpr_kernarg_segment_ptr 1
		.amdhsa_user_sgpr_dispatch_id 0
		.amdhsa_user_sgpr_flat_scratch_init 0
		.amdhsa_user_sgpr_kernarg_preload_length 0
		.amdhsa_user_sgpr_kernarg_preload_offset 0
		.amdhsa_user_sgpr_private_segment_size 0
		.amdhsa_uses_dynamic_stack 0
		.amdhsa_system_sgpr_private_segment_wavefront_offset 0
		.amdhsa_system_sgpr_workgroup_id_x 1
		.amdhsa_system_sgpr_workgroup_id_y 1
		.amdhsa_system_sgpr_workgroup_id_z 0
		.amdhsa_system_sgpr_workgroup_info 0
		.amdhsa_system_vgpr_workitem_id 0
		.amdhsa_next_free_vgpr 31
		.amdhsa_next_free_sgpr 44
		.amdhsa_accum_offset 32
		.amdhsa_reserve_vcc 1
		.amdhsa_reserve_flat_scratch 0
		.amdhsa_float_round_mode_32 0
		.amdhsa_float_round_mode_16_64 0
		.amdhsa_float_denorm_mode_32 3
		.amdhsa_float_denorm_mode_16_64 3
		.amdhsa_dx10_clamp 1
		.amdhsa_ieee_mode 1
		.amdhsa_fp16_overflow 0
		.amdhsa_tg_split 0
		.amdhsa_exception_fp_ieee_invalid_op 0
		.amdhsa_exception_fp_denorm_src 0
		.amdhsa_exception_fp_ieee_div_zero 0
		.amdhsa_exception_fp_ieee_overflow 0
		.amdhsa_exception_fp_ieee_underflow 0
		.amdhsa_exception_fp_ieee_inexact 0
		.amdhsa_exception_int_div_zero 0
	.end_amdhsa_kernel
	.section	.text._ZN5aiter35fused_qk_rmsnorm_group_quant_kernelIDF16_DB8_Li128ELi8ELi4ELb1ELb1ELb1ELb0ELb0ELb0EEEvPT0_PvPT_S6_S6_PKS5_S8_S8_S8_S8_ffiiiiiiiiiiiii,"axG",@progbits,_ZN5aiter35fused_qk_rmsnorm_group_quant_kernelIDF16_DB8_Li128ELi8ELi4ELb1ELb1ELb1ELb0ELb0ELb0EEEvPT0_PvPT_S6_S6_PKS5_S8_S8_S8_S8_ffiiiiiiiiiiiii,comdat
.Lfunc_end425:
	.size	_ZN5aiter35fused_qk_rmsnorm_group_quant_kernelIDF16_DB8_Li128ELi8ELi4ELb1ELb1ELb1ELb0ELb0ELb0EEEvPT0_PvPT_S6_S6_PKS5_S8_S8_S8_S8_ffiiiiiiiiiiiii, .Lfunc_end425-_ZN5aiter35fused_qk_rmsnorm_group_quant_kernelIDF16_DB8_Li128ELi8ELi4ELb1ELb1ELb1ELb0ELb0ELb0EEEvPT0_PvPT_S6_S6_PKS5_S8_S8_S8_S8_ffiiiiiiiiiiiii
                                        ; -- End function
	.section	.AMDGPU.csdata,"",@progbits
; Kernel info:
; codeLenInByte = 3020
; NumSgprs: 48
; NumVgprs: 31
; NumAgprs: 0
; TotalNumVgprs: 31
; ScratchSize: 0
; MemoryBound: 0
; FloatMode: 240
; IeeeMode: 1
; LDSByteSize: 16 bytes/workgroup (compile time only)
; SGPRBlocks: 5
; VGPRBlocks: 3
; NumSGPRsForWavesPerEU: 48
; NumVGPRsForWavesPerEU: 31
; AccumOffset: 32
; Occupancy: 8
; WaveLimiterHint : 0
; COMPUTE_PGM_RSRC2:SCRATCH_EN: 0
; COMPUTE_PGM_RSRC2:USER_SGPR: 6
; COMPUTE_PGM_RSRC2:TRAP_HANDLER: 0
; COMPUTE_PGM_RSRC2:TGID_X_EN: 1
; COMPUTE_PGM_RSRC2:TGID_Y_EN: 1
; COMPUTE_PGM_RSRC2:TGID_Z_EN: 0
; COMPUTE_PGM_RSRC2:TIDIG_COMP_CNT: 0
; COMPUTE_PGM_RSRC3_GFX90A:ACCUM_OFFSET: 7
; COMPUTE_PGM_RSRC3_GFX90A:TG_SPLIT: 0
	.section	.text._ZN5aiter35fused_qk_rmsnorm_group_quant_kernelItDB8_Li128ELi8ELi4ELb1ELb1ELb1ELb0ELb0ELb0EEEvPT0_PvPT_S6_S6_PKS5_S8_S8_S8_S8_ffiiiiiiiiiiiii,"axG",@progbits,_ZN5aiter35fused_qk_rmsnorm_group_quant_kernelItDB8_Li128ELi8ELi4ELb1ELb1ELb1ELb0ELb0ELb0EEEvPT0_PvPT_S6_S6_PKS5_S8_S8_S8_S8_ffiiiiiiiiiiiii,comdat
	.protected	_ZN5aiter35fused_qk_rmsnorm_group_quant_kernelItDB8_Li128ELi8ELi4ELb1ELb1ELb1ELb0ELb0ELb0EEEvPT0_PvPT_S6_S6_PKS5_S8_S8_S8_S8_ffiiiiiiiiiiiii ; -- Begin function _ZN5aiter35fused_qk_rmsnorm_group_quant_kernelItDB8_Li128ELi8ELi4ELb1ELb1ELb1ELb0ELb0ELb0EEEvPT0_PvPT_S6_S6_PKS5_S8_S8_S8_S8_ffiiiiiiiiiiiii
	.globl	_ZN5aiter35fused_qk_rmsnorm_group_quant_kernelItDB8_Li128ELi8ELi4ELb1ELb1ELb1ELb0ELb0ELb0EEEvPT0_PvPT_S6_S6_PKS5_S8_S8_S8_S8_ffiiiiiiiiiiiii
	.p2align	8
	.type	_ZN5aiter35fused_qk_rmsnorm_group_quant_kernelItDB8_Li128ELi8ELi4ELb1ELb1ELb1ELb0ELb0ELb0EEEvPT0_PvPT_S6_S6_PKS5_S8_S8_S8_S8_ffiiiiiiiiiiiii,@function
_ZN5aiter35fused_qk_rmsnorm_group_quant_kernelItDB8_Li128ELi8ELi4ELb1ELb1ELb1ELb0ELb0ELb0EEEvPT0_PvPT_S6_S6_PKS5_S8_S8_S8_S8_ffiiiiiiiiiiiii: ; @_ZN5aiter35fused_qk_rmsnorm_group_quant_kernelItDB8_Li128ELi8ELi4ELb1ELb1ELb1ELb0ELb0ELb0EEEvPT0_PvPT_S6_S6_PKS5_S8_S8_S8_S8_ffiiiiiiiiiiiii
; %bb.0:
	s_load_dwordx8 s[20:27], s[4:5], 0x50
	s_waitcnt lgkmcnt(0)
	s_cmp_ge_i32 s6, s22
	s_cbranch_scc1 .LBB426_17
; %bb.1:
	s_cmp_lg_u32 s7, 0
	s_cselect_b64 s[10:11], -1, 0
	s_cmp_eq_u32 s7, 0
	s_cselect_b64 s[8:9], -1, 0
	s_and_b64 s[0:1], s[8:9], exec
	s_load_dwordx2 s[28:29], s[4:5], 0x48
	s_load_dwordx2 s[34:35], s[4:5], 0x30
	s_load_dwordx8 s[12:19], s[4:5], 0x70
	s_cselect_b32 s7, s23, s24
	s_add_i32 s0, s7, 1
	s_lshr_b32 s1, s0, 31
	s_add_i32 s0, s0, s1
	s_lshl_b32 s0, s0, 1
	v_lshlrev_b32_e32 v1, 3, v0
	s_and_b32 s38, s0, -4
	v_cmp_gt_i32_e64 s[0:1], s7, v1
	v_mov_b32_e32 v10, 0
	v_mov_b32_e32 v11, 0
	;; [unrolled: 1-line block ×8, first 2 shown]
	s_and_saveexec_b64 s[2:3], s[0:1]
	s_cbranch_execz .LBB426_3
; %bb.2:
	s_waitcnt lgkmcnt(0)
	s_load_dwordx2 s[18:19], s[4:5], 0x28
	s_load_dwordx2 s[30:31], s[4:5], 0x40
	s_and_b64 s[36:37], s[8:9], exec
	s_cselect_b32 s22, s25, s26
	s_mov_b32 s39, 0x20000
	s_waitcnt lgkmcnt(0)
	s_cselect_b32 s25, s19, s35
	s_cselect_b32 s33, s18, s34
	s_mul_hi_i32 s19, s22, s6
	s_mul_i32 s18, s22, s6
	s_lshl_b64 s[18:19], s[18:19], 1
	s_add_u32 s40, s33, s18
	s_addc_u32 s22, s25, s19
	s_and_b64 s[18:19], s[8:9], exec
	s_cselect_b32 s36, s30, s28
	s_cselect_b32 s18, s31, s29
	v_lshlrev_b32_e32 v2, 4, v0
	s_and_b32 s41, s22, 0xffff
	s_mov_b32 s42, s38
	s_mov_b32 s43, s39
	s_and_b32 s37, s18, 0xffff
	buffer_load_dwordx4 v[14:17], v2, s[40:43], 0 offen glc slc
	buffer_load_dwordx4 v[10:13], v2, s[36:39], 0 offen
.LBB426_3:
	s_or_b64 exec, exec, s[2:3]
	s_and_b64 vcc, exec, s[10:11]
	s_cbranch_vccz .LBB426_7
; %bb.4:
	s_mov_b32 s40, 0
	s_mov_b32 s41, s40
	;; [unrolled: 1-line block ×8, first 2 shown]
	v_pk_mov_b32 v[2:3], s[40:41], s[40:41] op_sel:[0,1]
	v_pk_mov_b32 v[4:5], s[42:43], s[42:43] op_sel:[0,1]
	;; [unrolled: 1-line block ×4, first 2 shown]
	s_and_saveexec_b64 s[2:3], s[0:1]
	s_cbranch_execz .LBB426_6
; %bb.5:
	s_waitcnt vmcnt(1)
	v_cvt_f32_u32_sdwa v3, v14 dst_sel:DWORD dst_unused:UNUSED_PAD src0_sel:WORD_1
	v_cvt_f32_u32_sdwa v2, v14 dst_sel:DWORD dst_unused:UNUSED_PAD src0_sel:WORD_0
	v_cvt_f32_u32_sdwa v5, v15 dst_sel:DWORD dst_unused:UNUSED_PAD src0_sel:WORD_1
	v_cvt_f32_u32_sdwa v4, v15 dst_sel:DWORD dst_unused:UNUSED_PAD src0_sel:WORD_0
	;; [unrolled: 2-line block ×4, first 2 shown]
.LBB426_6:
	s_or_b64 exec, exec, s[2:3]
	s_cbranch_execz .LBB426_8
	s_branch .LBB426_11
.LBB426_7:
                                        ; implicit-def: $vgpr2_vgpr3_vgpr4_vgpr5_vgpr6_vgpr7_vgpr8_vgpr9
.LBB426_8:
	s_mov_b32 s40, 0
	s_mov_b32 s41, s40
	;; [unrolled: 1-line block ×8, first 2 shown]
	v_pk_mov_b32 v[2:3], s[40:41], s[40:41] op_sel:[0,1]
	v_pk_mov_b32 v[4:5], s[42:43], s[42:43] op_sel:[0,1]
	;; [unrolled: 1-line block ×4, first 2 shown]
	s_and_saveexec_b64 s[2:3], s[0:1]
	s_cbranch_execz .LBB426_10
; %bb.9:
	s_waitcnt lgkmcnt(0)
	s_load_dwordx2 s[18:19], s[4:5], 0x38
	s_mul_hi_i32 s31, s27, s6
	s_mul_i32 s30, s27, s6
	s_lshl_b64 s[30:31], s[30:31], 1
	s_mov_b32 s39, 0x20000
	s_waitcnt lgkmcnt(0)
	s_add_u32 s36, s18, s30
	s_addc_u32 s18, s19, s31
	s_and_b32 s37, s18, 0xffff
	v_lshlrev_b32_e32 v26, 4, v0
	buffer_load_dwordx4 v[2:5], v26, s[36:39], 0 offen glc slc
	s_load_dwordx2 s[18:19], s[4:5], 0x20
	s_waitcnt vmcnt(2)
	v_cvt_f32_u32_sdwa v7, v14 dst_sel:DWORD dst_unused:UNUSED_PAD src0_sel:WORD_1
	v_cvt_f32_u32_sdwa v6, v14 dst_sel:DWORD dst_unused:UNUSED_PAD src0_sel:WORD_0
	v_cvt_f32_u32_sdwa v9, v15 dst_sel:DWORD dst_unused:UNUSED_PAD src0_sel:WORD_1
	v_cvt_f32_u32_sdwa v8, v15 dst_sel:DWORD dst_unused:UNUSED_PAD src0_sel:WORD_0
	;; [unrolled: 2-line block ×4, first 2 shown]
	s_mul_hi_i32 s31, s17, s6
	s_mul_i32 s30, s17, s6
	s_lshl_b64 s[30:31], s[30:31], 1
	s_waitcnt lgkmcnt(0)
	s_add_u32 s36, s18, s30
	s_mov_b32 s17, 0x7060302
	s_addc_u32 s18, s19, s31
	s_and_b32 s37, s18, 0xffff
	s_waitcnt vmcnt(0)
	v_cvt_f32_u32_sdwa v17, v2 dst_sel:DWORD dst_unused:UNUSED_PAD src0_sel:WORD_1
	v_cvt_f32_u32_sdwa v16, v2 dst_sel:DWORD dst_unused:UNUSED_PAD src0_sel:WORD_0
	v_cvt_f32_u32_sdwa v21, v3 dst_sel:DWORD dst_unused:UNUSED_PAD src0_sel:WORD_1
	v_cvt_f32_u32_sdwa v20, v3 dst_sel:DWORD dst_unused:UNUSED_PAD src0_sel:WORD_0
	;; [unrolled: 2-line block ×4, first 2 shown]
	v_pk_add_f32 v[2:3], v[6:7], v[16:17]
	v_pk_add_f32 v[4:5], v[8:9], v[20:21]
	v_pk_add_f32 v[6:7], v[14:15], v[22:23]
	v_pk_add_f32 v[8:9], v[18:19], v[24:25]
	v_perm_b32 v17, v9, v8, s17
	v_perm_b32 v16, v7, v6, s17
	;; [unrolled: 1-line block ×4, first 2 shown]
	buffer_store_dwordx4 v[14:17], v26, s[36:39], 0 offen glc slc
	;;#ASMSTART
	s_nop 0
	;;#ASMEND
.LBB426_10:
	s_or_b64 exec, exec, s[2:3]
.LBB426_11:
	s_waitcnt vmcnt(1)
	v_mul_f32_e32 v14, v3, v3
	v_fmac_f32_e32 v14, v2, v2
	v_fmac_f32_e32 v14, v4, v4
	v_fmac_f32_e32 v14, v5, v5
	v_fmac_f32_e32 v14, v6, v6
	v_fmac_f32_e32 v14, v7, v7
	v_fmac_f32_e32 v14, v8, v8
	v_fmac_f32_e32 v14, v9, v9
	v_and_b32_e32 v16, 63, v0
	v_cmp_eq_u32_e64 s[2:3], 63, v16
	v_mov_b32_dpp v15, v14 quad_perm:[1,0,3,2] row_mask:0xf bank_mask:0xf
	v_add_f32_e32 v14, v14, v15
	s_nop 1
	v_mov_b32_dpp v15, v14 quad_perm:[2,3,0,1] row_mask:0xf bank_mask:0xf
	v_add_f32_e32 v14, v14, v15
	s_nop 1
	v_mov_b32_dpp v15, v14 row_half_mirror row_mask:0xf bank_mask:0xf
	v_add_f32_e32 v14, v14, v15
	s_nop 1
	v_mov_b32_dpp v15, v14 row_mirror row_mask:0xf bank_mask:0xf
	v_add_f32_e32 v14, v14, v15
	s_nop 1
	v_mov_b32_dpp v15, v14 row_bcast:15 row_mask:0xf bank_mask:0xf
	v_add_f32_e32 v14, v14, v15
	s_nop 1
	v_mov_b32_dpp v15, v14 row_bcast:31 row_mask:0xf bank_mask:0xf
	s_waitcnt lgkmcnt(0)
	s_and_saveexec_b64 s[18:19], s[2:3]
	s_cbranch_execz .LBB426_13
; %bb.12:
	v_add_f32_e32 v14, v14, v15
	v_lshrrev_b32_e32 v15, 4, v0
	v_and_b32_e32 v15, 60, v15
	ds_write_b32 v15, v14 offset:8
.LBB426_13:
	s_or_b64 exec, exec, s[18:19]
	v_and_b32_e32 v14, 1, v0
	v_lshlrev_b32_e32 v14, 2, v14
	s_waitcnt lgkmcnt(0)
	s_barrier
	ds_read_b32 v15, v14 offset:8
	s_load_dwordx2 s[18:19], s[4:5], 0x18
	s_waitcnt lgkmcnt(0)
	v_mov_b32_dpp v16, v15 quad_perm:[1,0,3,2] row_mask:0xf bank_mask:0xf
	s_and_saveexec_b64 s[30:31], s[0:1]
	s_cbranch_execnz .LBB426_18
; %bb.14:
	s_or_b64 exec, exec, s[30:31]
	s_mov_b64 s[8:9], -1
	s_and_b64 vcc, exec, s[10:11]
	s_cbranch_vccnz .LBB426_19
.LBB426_15:
	s_andn2_b64 vcc, exec, s[8:9]
	s_cbranch_vccz .LBB426_22
.LBB426_16:
	s_cmp_lt_i32 s24, 1
	s_cbranch_scc0 .LBB426_31
.LBB426_17:
	s_endpgm
.LBB426_18:
	v_cvt_f32_u32_e32 v17, s7
	v_add_f32_e32 v15, v15, v16
	v_mov_b32_e32 v19, s21
	v_mov_b32_e32 v20, s20
	v_div_scale_f32 v16, s[36:37], v17, v17, v15
	v_rcp_f32_e32 v18, v16
	v_cndmask_b32_e64 v19, v19, v20, s[8:9]
	s_mov_b32 s7, 0x800000
	v_fma_f32 v20, -v16, v18, 1.0
	v_fmac_f32_e32 v18, v20, v18
	v_div_scale_f32 v20, vcc, v15, v17, v15
	v_mul_f32_e32 v21, v20, v18
	v_fma_f32 v22, -v16, v21, v20
	v_fmac_f32_e32 v21, v22, v18
	v_fma_f32 v16, -v16, v21, v20
	v_div_fmas_f32 v16, v16, v18, v21
	v_div_fixup_f32 v15, v16, v17, v15
	v_add_f32_e32 v15, v19, v15
	v_mul_f32_e32 v16, 0x4b800000, v15
	v_cmp_gt_f32_e32 vcc, s7, v15
	v_cndmask_b32_e32 v15, v15, v16, vcc
	v_rsq_f32_e32 v15, v15
	s_waitcnt vmcnt(0)
	v_cvt_f32_u32_sdwa v19, v10 dst_sel:DWORD dst_unused:UNUSED_PAD src0_sel:WORD_1
	v_cvt_f32_u32_sdwa v18, v10 dst_sel:DWORD dst_unused:UNUSED_PAD src0_sel:WORD_0
	v_cvt_f32_u32_sdwa v21, v11 dst_sel:DWORD dst_unused:UNUSED_PAD src0_sel:WORD_1
	v_mul_f32_e32 v16, 0x45800000, v15
	v_cndmask_b32_e32 v16, v15, v16, vcc
	v_mov_b32_e32 v17, v16
	v_cvt_f32_u32_sdwa v20, v11 dst_sel:DWORD dst_unused:UNUSED_PAD src0_sel:WORD_0
	;;#ASMSTART
	v_pk_mul_f32 v[2:3], v[2:3], v[16:17]
	;;#ASMEND
	;;#ASMSTART
	v_pk_mul_f32 v[4:5], v[4:5], v[16:17]
	;;#ASMEND
	;;#ASMSTART
	v_pk_mul_f32 v[6:7], v[6:7], v[16:17]
	;;#ASMEND
	;;#ASMSTART
	v_pk_mul_f32 v[8:9], v[8:9], v[16:17]
	;;#ASMEND
	v_cvt_f32_u32_sdwa v17, v12 dst_sel:DWORD dst_unused:UNUSED_PAD src0_sel:WORD_1
	v_cvt_f32_u32_sdwa v16, v12 dst_sel:DWORD dst_unused:UNUSED_PAD src0_sel:WORD_0
	v_pk_add_f32 v[10:11], v[18:19], 1.0 op_sel_hi:[1,0]
	v_cvt_f32_u32_sdwa v19, v13 dst_sel:DWORD dst_unused:UNUSED_PAD src0_sel:WORD_1
	v_cvt_f32_u32_sdwa v18, v13 dst_sel:DWORD dst_unused:UNUSED_PAD src0_sel:WORD_0
	;;#ASMSTART
	v_pk_mul_f32 v[2:3], v[2:3], v[10:11]
	;;#ASMEND
	v_pk_add_f32 v[10:11], v[20:21], 1.0 op_sel_hi:[1,0]
	;;#ASMSTART
	v_pk_mul_f32 v[4:5], v[4:5], v[10:11]
	;;#ASMEND
	v_pk_add_f32 v[10:11], v[16:17], 1.0 op_sel_hi:[1,0]
	;; [unrolled: 4-line block ×3, first 2 shown]
	;;#ASMSTART
	v_pk_mul_f32 v[8:9], v[8:9], v[10:11]
	;;#ASMEND
	s_or_b64 exec, exec, s[30:31]
	s_mov_b64 s[8:9], -1
	s_and_b64 vcc, exec, s[10:11]
	s_cbranch_vccz .LBB426_15
.LBB426_19:
	s_and_saveexec_b64 s[8:9], s[0:1]
	s_cbranch_execz .LBB426_21
; %bb.20:
	s_mul_hi_i32 s11, s16, s6
	s_mul_i32 s10, s16, s6
	s_lshl_b64 s[10:11], s[10:11], 1
	s_add_u32 s36, s18, s10
	s_addc_u32 s7, s19, s11
	s_and_b32 s37, s7, 0xffff
	s_mov_b32 s7, 0x7060302
	s_mov_b32 s39, 0x20000
	s_waitcnt vmcnt(0)
	v_perm_b32 v10, v3, v2, s7
	v_perm_b32 v11, v5, v4, s7
	;; [unrolled: 1-line block ×4, first 2 shown]
	v_lshlrev_b32_e32 v15, 4, v0
	buffer_store_dwordx4 v[10:13], v15, s[36:39], 0 offen
	;;#ASMSTART
	s_nop 0
	;;#ASMEND
.LBB426_21:
	s_or_b64 exec, exec, s[8:9]
	s_cbranch_execnz .LBB426_16
.LBB426_22:
	s_waitcnt vmcnt(0)
	v_mov_b32_e32 v10, 0
	s_and_saveexec_b64 s[8:9], s[0:1]
	s_cbranch_execz .LBB426_24
; %bb.23:
	s_load_dwordx2 s[10:11], s[4:5], 0x10
	s_mul_hi_i32 s31, s15, s6
	s_mul_i32 s30, s15, s6
	s_lshl_b64 s[30:31], s[30:31], 1
	s_mov_b32 s39, 0x20000
	s_waitcnt lgkmcnt(0)
	s_add_u32 s36, s10, s30
	s_addc_u32 s7, s11, s31
	s_and_b32 s37, s7, 0xffff
	s_mov_b32 s7, 0x7060302
	v_perm_b32 v10, v3, v2, s7
	v_perm_b32 v11, v5, v4, s7
	;; [unrolled: 1-line block ×4, first 2 shown]
	v_lshlrev_b32_e32 v15, 4, v0
	buffer_store_dwordx4 v[10:13], v15, s[36:39], 0 offen
	;;#ASMSTART
	s_nop 0
	;;#ASMEND
	s_nop 0
	v_mov_b32_e32 v10, 0x2edbe6ff
.LBB426_24:
	s_or_b64 exec, exec, s[8:9]
	s_and_saveexec_b64 s[8:9], s[0:1]
	s_cbranch_execz .LBB426_26
; %bb.25:
	v_and_b32_e32 v11, 0x7fffffff, v2
	v_and_b32_e32 v12, 0x7fffffff, v3
	;;#ASMSTART
	v_max3_f32 v10, v10, v11, v12

	;;#ASMEND
	v_and_b32_e32 v11, 0x7fffffff, v4
	v_and_b32_e32 v12, 0x7fffffff, v5
	;;#ASMSTART
	v_max3_f32 v10, v10, v11, v12

	;;#ASMEND
	;; [unrolled: 6-line block ×4, first 2 shown]
.LBB426_26:
	s_or_b64 exec, exec, s[8:9]
	;;#ASMSTART
	v_max_f32 v11, v10, v10 quad_perm:[1,0,3,2] row_mask:0xf bank_mask:0xf bound_ctrl:1
	;;#ASMEND
	;;#ASMSTART
	v_max_f32 v10, v11, v11 quad_perm:[2,3,0,1] row_mask:0xf bank_mask:0xf bound_ctrl:1
	;;#ASMEND
	v_and_b32_e32 v11, 3, v0
	v_cmp_eq_u32_e32 vcc, 0, v11
	v_cmp_gt_i32_e64 s[8:9], s23, v1
	v_mul_f32_e32 v10, 0x3b124925, v10
	s_and_b64 s[10:11], vcc, s[8:9]
	s_and_saveexec_b64 s[8:9], s[10:11]
	s_cbranch_execz .LBB426_28
; %bb.27:
	s_load_dwordx2 s[10:11], s[4:5], 0x8
	v_lshrrev_b32_e32 v11, 2, v0
	s_mul_hi_i32 s31, s13, s6
	s_mul_i32 s30, s13, s6
	v_mad_i64_i32 v[12:13], s[14:15], s14, v11, 0
	s_lshl_b64 s[14:15], s[30:31], 2
	s_waitcnt lgkmcnt(0)
	s_add_u32 s7, s10, s14
	s_addc_u32 s10, s11, s15
	v_lshlrev_b64 v[12:13], 2, v[12:13]
	v_mov_b32_e32 v11, s10
	v_add_co_u32_e32 v12, vcc, s7, v12
	v_addc_co_u32_e32 v13, vcc, v11, v13, vcc
	global_store_dword v[12:13], v10, off
.LBB426_28:
	s_or_b64 exec, exec, s[8:9]
	;;#ASMSTART
	v_rcp_f32 v10, v10
	;;#ASMEND
	s_and_saveexec_b64 s[14:15], s[0:1]
	s_cbranch_execz .LBB426_30
; %bb.29:
	s_load_dwordx2 s[0:1], s[4:5], 0x0
	s_mul_i32 s8, s12, s6
	v_mov_b32_e32 v11, v10
	;;#ASMSTART
	v_pk_mul_f32 v[2:3], v[2:3], v[10:11]
	;;#ASMEND
	s_mul_hi_i32 s7, s12, s6
	s_waitcnt lgkmcnt(0)
	s_add_u32 s8, s0, s8
	v_mov_b32_e32 v12, 0xc3e00000
	v_mov_b32_e32 v13, 0x43e00000
	;;#ASMSTART
	v_med3_f32 v2, v2, v12, v13
v_med3_f32 v3, v3, v12, v13
v_cvt_pk_fp8_f32 v15, v2, v3
	;;#ASMEND
	s_addc_u32 s0, s1, s7
	;;#ASMSTART
	v_pk_mul_f32 v[2:3], v[4:5], v[10:11]
	;;#ASMEND
	s_and_b32 s9, s0, 0xffff
	;;#ASMSTART
	v_med3_f32 v2, v2, v12, v13
v_med3_f32 v3, v3, v12, v13
v_cvt_pk_fp8_f32 v4, v2, v3
	;;#ASMEND
	s_mov_b32 s0, 0x5040100
	v_perm_b32 v3, v4, v15, s0
	s_movk_i32 s0, 0xff
	v_and_b32_e32 v2, 0xffffff00, v4
	v_and_b32_sdwa v4, v3, s0 dst_sel:DWORD dst_unused:UNUSED_PAD src0_sel:WORD_1 src1_sel:DWORD
	s_mov_b32 s12, 0xffff
	v_or_b32_sdwa v2, v4, v2 dst_sel:WORD_1 dst_unused:UNUSED_PAD src0_sel:DWORD src1_sel:DWORD
	v_and_or_b32 v2, v3, s12, v2
	;;#ASMSTART
	v_pk_mul_f32 v[4:5], v[6:7], v[10:11]
	;;#ASMEND
	v_mov_b32_e32 v3, v5
	s_add_i32 s1, s23, 3
	;;#ASMSTART
	v_med3_f32 v4, v4, v12, v13
v_med3_f32 v3, v3, v12, v13
v_cvt_pk_fp8_f32 v6, v4, v3
	;;#ASMEND
	s_ashr_i32 s7, s1, 31
	;;#ASMSTART
	v_pk_mul_f32 v[4:5], v[8:9], v[10:11]
	;;#ASMEND
	v_mov_b32_e32 v3, v5
	s_lshr_b32 s7, s7, 30
	;;#ASMSTART
	v_med3_f32 v4, v4, v12, v13
v_med3_f32 v3, v3, v12, v13
v_cvt_pk_fp8_f32 v5, v4, v3
	;;#ASMEND
	s_add_i32 s1, s1, s7
	v_lshlrev_b32_e32 v3, 16, v5
	s_and_b32 s10, s1, -4
	s_mov_b32 s11, 0x20000
	v_and_or_b32 v3, v6, s12, v3
	buffer_store_dwordx2 v[2:3], v1, s[8:11], 0 offen
	;;#ASMSTART
	s_nop 0
	;;#ASMEND
.LBB426_30:
	s_or_b64 exec, exec, s[14:15]
	s_cmp_lt_i32 s24, 1
	s_cbranch_scc1 .LBB426_17
.LBB426_31:
	s_load_dword s0, s[4:5], 0x94
	s_waitcnt lgkmcnt(0)
	s_cmp_lg_u32 s0, 1
	s_cbranch_scc1 .LBB426_17
; %bb.32:
	s_lshl_b32 s0, s24, 1
	s_add_i32 s0, s0, 2
	v_cmp_gt_u32_e32 vcc, s24, v1
	s_and_b32 s30, s0, -4
	v_mov_b32_e32 v6, 0
	v_lshlrev_b32_e32 v1, 4, v0
	v_mov_b32_e32 v7, 0
	v_mov_b32_e32 v8, 0
	v_mov_b32_e32 v9, 0
	v_mov_b32_e32 v2, 0
	v_mov_b32_e32 v3, 0
	v_mov_b32_e32 v4, 0
	v_mov_b32_e32 v5, 0
	s_barrier
	s_and_saveexec_b64 s[0:1], vcc
	s_cbranch_execz .LBB426_34
; %bb.33:
	s_mul_hi_i32 s5, s26, s6
	s_mul_i32 s4, s26, s6
	s_and_b32 s29, s29, 0xffff
	s_lshl_b64 s[4:5], s[4:5], 1
	s_add_u32 s8, s34, s4
	s_mov_b32 s31, 0x20000
	s_addc_u32 s4, s35, s5
	s_and_b32 s9, s4, 0xffff
	s_mov_b32 s10, s30
	s_mov_b32 s11, s31
	buffer_load_dwordx4 v[6:9], v1, s[8:11], 0 offen glc slc
	buffer_load_dwordx4 v[2:5], v1, s[28:31], 0 offen
.LBB426_34:
	s_or_b64 exec, exec, s[0:1]
	s_waitcnt vmcnt(0)
	v_cvt_f32_u32_sdwa v13, v6 dst_sel:DWORD dst_unused:UNUSED_PAD src0_sel:WORD_1
	v_cvt_f32_u32_sdwa v12, v6 dst_sel:DWORD dst_unused:UNUSED_PAD src0_sel:WORD_0
	v_cvt_f32_u32_sdwa v6, v9 dst_sel:DWORD dst_unused:UNUSED_PAD src0_sel:WORD_1
	v_cvt_f32_u32_sdwa v9, v9 dst_sel:DWORD dst_unused:UNUSED_PAD src0_sel:WORD_0
	;; [unrolled: 2-line block ×4, first 2 shown]
	v_cndmask_b32_e32 v13, 0, v13, vcc
	v_cndmask_b32_e32 v7, 0, v6, vcc
	;; [unrolled: 1-line block ×5, first 2 shown]
	v_mul_f32_e32 v15, v13, v13
	v_cndmask_b32_e32 v10, 0, v10, vcc
	v_fmac_f32_e32 v15, v12, v12
	v_cndmask_b32_e32 v11, 0, v11, vcc
	v_fmac_f32_e32 v15, v10, v10
	;; [unrolled: 2-line block ×3, first 2 shown]
	v_fmac_f32_e32 v15, v8, v8
	v_fmac_f32_e32 v15, v9, v9
	;; [unrolled: 1-line block ×4, first 2 shown]
	s_nop 1
	v_mov_b32_dpp v16, v15 quad_perm:[1,0,3,2] row_mask:0xf bank_mask:0xf
	v_add_f32_e32 v15, v15, v16
	s_nop 1
	v_mov_b32_dpp v16, v15 quad_perm:[2,3,0,1] row_mask:0xf bank_mask:0xf
	v_add_f32_e32 v15, v15, v16
	s_nop 1
	v_mov_b32_dpp v16, v15 row_half_mirror row_mask:0xf bank_mask:0xf
	v_add_f32_e32 v15, v15, v16
	s_nop 1
	v_mov_b32_dpp v16, v15 row_mirror row_mask:0xf bank_mask:0xf
	v_add_f32_e32 v15, v15, v16
	s_nop 1
	v_mov_b32_dpp v16, v15 row_bcast:15 row_mask:0xf bank_mask:0xf
	v_add_f32_e32 v15, v15, v16
	s_nop 1
	v_mov_b32_dpp v16, v15 row_bcast:31 row_mask:0xf bank_mask:0xf
	s_and_saveexec_b64 s[0:1], s[2:3]
	s_cbranch_execz .LBB426_36
; %bb.35:
	v_lshrrev_b32_e32 v0, 4, v0
	v_add_f32_e32 v15, v15, v16
	v_and_b32_e32 v0, 60, v0
	ds_write_b32 v0, v15
.LBB426_36:
	s_or_b64 exec, exec, s[0:1]
	s_waitcnt lgkmcnt(0)
	s_barrier
	ds_read_b32 v0, v14
	s_waitcnt lgkmcnt(0)
	s_nop 0
	v_mov_b32_dpp v14, v0 quad_perm:[1,0,3,2] row_mask:0xf bank_mask:0xf
	s_and_saveexec_b64 s[0:1], vcc
	s_cbranch_execz .LBB426_17
; %bb.37:
	v_cvt_f32_u32_e32 v15, s24
	v_add_f32_e32 v0, v0, v14
	s_mov_b32 s31, 0x20000
	v_div_scale_f32 v14, s[0:1], v15, v15, v0
	v_rcp_f32_e32 v16, v14
	v_div_scale_f32 v17, vcc, v0, v15, v0
	s_mov_b32 s0, 0x800000
	v_fma_f32 v18, -v14, v16, 1.0
	v_fmac_f32_e32 v16, v18, v16
	v_mul_f32_e32 v18, v17, v16
	v_fma_f32 v19, -v14, v18, v17
	v_fmac_f32_e32 v18, v19, v16
	v_fma_f32 v14, -v14, v18, v17
	v_div_fmas_f32 v14, v14, v16, v18
	v_div_fixup_f32 v0, v14, v15, v0
	v_add_f32_e32 v0, s21, v0
	v_mul_f32_e32 v14, 0x4b800000, v0
	v_cmp_gt_f32_e32 vcc, s0, v0
	v_cndmask_b32_e32 v0, v0, v14, vcc
	v_rsq_f32_e32 v0, v0
	v_cvt_f32_u32_sdwa v17, v2 dst_sel:DWORD dst_unused:UNUSED_PAD src0_sel:WORD_1
	v_cvt_f32_u32_sdwa v16, v2 dst_sel:DWORD dst_unused:UNUSED_PAD src0_sel:WORD_0
	v_cvt_f32_u32_sdwa v19, v3 dst_sel:DWORD dst_unused:UNUSED_PAD src0_sel:WORD_1
	v_mul_f32_e32 v14, 0x45800000, v0
	v_cndmask_b32_e32 v14, v0, v14, vcc
	v_mov_b32_e32 v15, v14
	;;#ASMSTART
	v_pk_mul_f32 v[12:13], v[12:13], v[14:15]
	;;#ASMEND
	;;#ASMSTART
	v_pk_mul_f32 v[10:11], v[10:11], v[14:15]
	;;#ASMEND
	;; [unrolled: 3-line block ×3, first 2 shown]
	v_cvt_f32_u32_sdwa v18, v3 dst_sel:DWORD dst_unused:UNUSED_PAD src0_sel:WORD_0
	;;#ASMSTART
	v_pk_mul_f32 v[2:3], v[6:7], v[14:15]
	;;#ASMEND
	v_cvt_f32_u32_sdwa v15, v4 dst_sel:DWORD dst_unused:UNUSED_PAD src0_sel:WORD_1
	v_cvt_f32_u32_sdwa v14, v4 dst_sel:DWORD dst_unused:UNUSED_PAD src0_sel:WORD_0
	v_pk_add_f32 v[6:7], v[16:17], 1.0 op_sel_hi:[1,0]
	v_cvt_f32_u32_sdwa v17, v5 dst_sel:DWORD dst_unused:UNUSED_PAD src0_sel:WORD_1
	v_cvt_f32_u32_sdwa v16, v5 dst_sel:DWORD dst_unused:UNUSED_PAD src0_sel:WORD_0
	s_mul_hi_i32 s1, s16, s6
	s_mul_i32 s0, s16, s6
	s_lshl_b64 s[0:1], s[0:1], 1
	s_add_u32 s28, s18, s0
	;;#ASMSTART
	v_pk_mul_f32 v[6:7], v[12:13], v[6:7]
	;;#ASMEND
	v_pk_add_f32 v[12:13], v[18:19], 1.0 op_sel_hi:[1,0]
	;;#ASMSTART
	v_pk_mul_f32 v[4:5], v[10:11], v[12:13]
	;;#ASMEND
	v_pk_add_f32 v[10:11], v[14:15], 1.0 op_sel_hi:[1,0]
	s_addc_u32 s0, s19, s1
	;;#ASMSTART
	v_pk_mul_f32 v[8:9], v[8:9], v[10:11]
	;;#ASMEND
	v_pk_add_f32 v[10:11], v[16:17], 1.0 op_sel_hi:[1,0]
	s_and_b32 s29, s0, 0xffff
	s_mov_b32 s0, 0x7060302
	;;#ASMSTART
	v_pk_mul_f32 v[10:11], v[2:3], v[10:11]
	;;#ASMEND
	v_perm_b32 v2, v7, v6, s0
	v_perm_b32 v3, v5, v4, s0
	;; [unrolled: 1-line block ×4, first 2 shown]
	buffer_store_dwordx4 v[2:5], v1, s[28:31], 0 offen
	;;#ASMSTART
	s_nop 0
	;;#ASMEND
	s_endpgm
	.section	.rodata,"a",@progbits
	.p2align	6, 0x0
	.amdhsa_kernel _ZN5aiter35fused_qk_rmsnorm_group_quant_kernelItDB8_Li128ELi8ELi4ELb1ELb1ELb1ELb0ELb0ELb0EEEvPT0_PvPT_S6_S6_PKS5_S8_S8_S8_S8_ffiiiiiiiiiiiii
		.amdhsa_group_segment_fixed_size 16
		.amdhsa_private_segment_fixed_size 0
		.amdhsa_kernarg_size 400
		.amdhsa_user_sgpr_count 6
		.amdhsa_user_sgpr_private_segment_buffer 1
		.amdhsa_user_sgpr_dispatch_ptr 0
		.amdhsa_user_sgpr_queue_ptr 0
		.amdhsa_user_sgpr_kernarg_segment_ptr 1
		.amdhsa_user_sgpr_dispatch_id 0
		.amdhsa_user_sgpr_flat_scratch_init 0
		.amdhsa_user_sgpr_kernarg_preload_length 0
		.amdhsa_user_sgpr_kernarg_preload_offset 0
		.amdhsa_user_sgpr_private_segment_size 0
		.amdhsa_uses_dynamic_stack 0
		.amdhsa_system_sgpr_private_segment_wavefront_offset 0
		.amdhsa_system_sgpr_workgroup_id_x 1
		.amdhsa_system_sgpr_workgroup_id_y 1
		.amdhsa_system_sgpr_workgroup_id_z 0
		.amdhsa_system_sgpr_workgroup_info 0
		.amdhsa_system_vgpr_workitem_id 0
		.amdhsa_next_free_vgpr 27
		.amdhsa_next_free_sgpr 48
		.amdhsa_accum_offset 28
		.amdhsa_reserve_vcc 1
		.amdhsa_reserve_flat_scratch 0
		.amdhsa_float_round_mode_32 0
		.amdhsa_float_round_mode_16_64 0
		.amdhsa_float_denorm_mode_32 3
		.amdhsa_float_denorm_mode_16_64 3
		.amdhsa_dx10_clamp 1
		.amdhsa_ieee_mode 1
		.amdhsa_fp16_overflow 0
		.amdhsa_tg_split 0
		.amdhsa_exception_fp_ieee_invalid_op 0
		.amdhsa_exception_fp_denorm_src 0
		.amdhsa_exception_fp_ieee_div_zero 0
		.amdhsa_exception_fp_ieee_overflow 0
		.amdhsa_exception_fp_ieee_underflow 0
		.amdhsa_exception_fp_ieee_inexact 0
		.amdhsa_exception_int_div_zero 0
	.end_amdhsa_kernel
	.section	.text._ZN5aiter35fused_qk_rmsnorm_group_quant_kernelItDB8_Li128ELi8ELi4ELb1ELb1ELb1ELb0ELb0ELb0EEEvPT0_PvPT_S6_S6_PKS5_S8_S8_S8_S8_ffiiiiiiiiiiiii,"axG",@progbits,_ZN5aiter35fused_qk_rmsnorm_group_quant_kernelItDB8_Li128ELi8ELi4ELb1ELb1ELb1ELb0ELb0ELb0EEEvPT0_PvPT_S6_S6_PKS5_S8_S8_S8_S8_ffiiiiiiiiiiiii,comdat
.Lfunc_end426:
	.size	_ZN5aiter35fused_qk_rmsnorm_group_quant_kernelItDB8_Li128ELi8ELi4ELb1ELb1ELb1ELb0ELb0ELb0EEEvPT0_PvPT_S6_S6_PKS5_S8_S8_S8_S8_ffiiiiiiiiiiiii, .Lfunc_end426-_ZN5aiter35fused_qk_rmsnorm_group_quant_kernelItDB8_Li128ELi8ELi4ELb1ELb1ELb1ELb0ELb0ELb0EEEvPT0_PvPT_S6_S6_PKS5_S8_S8_S8_S8_ffiiiiiiiiiiiii
                                        ; -- End function
	.section	.AMDGPU.csdata,"",@progbits
; Kernel info:
; codeLenInByte = 3080
; NumSgprs: 52
; NumVgprs: 27
; NumAgprs: 0
; TotalNumVgprs: 27
; ScratchSize: 0
; MemoryBound: 0
; FloatMode: 240
; IeeeMode: 1
; LDSByteSize: 16 bytes/workgroup (compile time only)
; SGPRBlocks: 6
; VGPRBlocks: 3
; NumSGPRsForWavesPerEU: 52
; NumVGPRsForWavesPerEU: 27
; AccumOffset: 28
; Occupancy: 8
; WaveLimiterHint : 0
; COMPUTE_PGM_RSRC2:SCRATCH_EN: 0
; COMPUTE_PGM_RSRC2:USER_SGPR: 6
; COMPUTE_PGM_RSRC2:TRAP_HANDLER: 0
; COMPUTE_PGM_RSRC2:TGID_X_EN: 1
; COMPUTE_PGM_RSRC2:TGID_Y_EN: 1
; COMPUTE_PGM_RSRC2:TGID_Z_EN: 0
; COMPUTE_PGM_RSRC2:TIDIG_COMP_CNT: 0
; COMPUTE_PGM_RSRC3_GFX90A:ACCUM_OFFSET: 6
; COMPUTE_PGM_RSRC3_GFX90A:TG_SPLIT: 0
	.section	.text._ZN5aiter35fused_qk_rmsnorm_group_quant_kernelIDF16_N4opus5fp4_tELi128ELi8ELi4ELb1ELb1ELb1ELb0ELb0ELb0EEEvPT0_PvPT_S7_S7_PKS6_S9_S9_S9_S9_ffiiiiiiiiiiiii,"axG",@progbits,_ZN5aiter35fused_qk_rmsnorm_group_quant_kernelIDF16_N4opus5fp4_tELi128ELi8ELi4ELb1ELb1ELb1ELb0ELb0ELb0EEEvPT0_PvPT_S7_S7_PKS6_S9_S9_S9_S9_ffiiiiiiiiiiiii,comdat
	.protected	_ZN5aiter35fused_qk_rmsnorm_group_quant_kernelIDF16_N4opus5fp4_tELi128ELi8ELi4ELb1ELb1ELb1ELb0ELb0ELb0EEEvPT0_PvPT_S7_S7_PKS6_S9_S9_S9_S9_ffiiiiiiiiiiiii ; -- Begin function _ZN5aiter35fused_qk_rmsnorm_group_quant_kernelIDF16_N4opus5fp4_tELi128ELi8ELi4ELb1ELb1ELb1ELb0ELb0ELb0EEEvPT0_PvPT_S7_S7_PKS6_S9_S9_S9_S9_ffiiiiiiiiiiiii
	.globl	_ZN5aiter35fused_qk_rmsnorm_group_quant_kernelIDF16_N4opus5fp4_tELi128ELi8ELi4ELb1ELb1ELb1ELb0ELb0ELb0EEEvPT0_PvPT_S7_S7_PKS6_S9_S9_S9_S9_ffiiiiiiiiiiiii
	.p2align	8
	.type	_ZN5aiter35fused_qk_rmsnorm_group_quant_kernelIDF16_N4opus5fp4_tELi128ELi8ELi4ELb1ELb1ELb1ELb0ELb0ELb0EEEvPT0_PvPT_S7_S7_PKS6_S9_S9_S9_S9_ffiiiiiiiiiiiii,@function
_ZN5aiter35fused_qk_rmsnorm_group_quant_kernelIDF16_N4opus5fp4_tELi128ELi8ELi4ELb1ELb1ELb1ELb0ELb0ELb0EEEvPT0_PvPT_S7_S7_PKS6_S9_S9_S9_S9_ffiiiiiiiiiiiii: ; @_ZN5aiter35fused_qk_rmsnorm_group_quant_kernelIDF16_N4opus5fp4_tELi128ELi8ELi4ELb1ELb1ELb1ELb0ELb0ELb0EEEvPT0_PvPT_S7_S7_PKS6_S9_S9_S9_S9_ffiiiiiiiiiiiii
; %bb.0:
	s_load_dwordx8 s[20:27], s[4:5], 0x50
	s_waitcnt lgkmcnt(0)
	s_cmp_ge_i32 s6, s22
	s_cbranch_scc1 .LBB427_17
; %bb.1:
	s_cmp_lg_u32 s7, 0
	s_cselect_b64 s[30:31], -1, 0
	s_cmp_eq_u32 s7, 0
	s_cselect_b64 s[8:9], -1, 0
	s_and_b64 s[0:1], s[8:9], exec
	s_load_dwordx2 s[28:29], s[4:5], 0x48
	s_load_dwordx2 s[10:11], s[4:5], 0x30
	s_load_dwordx8 s[12:19], s[4:5], 0x70
	s_cselect_b32 s7, s23, s24
	s_add_i32 s0, s7, 1
	s_lshr_b32 s1, s0, 31
	s_add_i32 s0, s0, s1
	s_lshl_b32 s0, s0, 1
	v_lshlrev_b32_e32 v1, 3, v0
	s_and_b32 s38, s0, -4
	v_cmp_gt_i32_e64 s[0:1], s7, v1
	v_mov_b32_e32 v2, 0
	v_mov_b32_e32 v3, 0
	v_mov_b32_e32 v4, 0
	v_mov_b32_e32 v5, 0
	v_mov_b32_e32 v6, 0
	v_mov_b32_e32 v7, 0
	v_mov_b32_e32 v8, 0
	v_mov_b32_e32 v9, 0
	s_and_saveexec_b64 s[2:3], s[0:1]
	s_cbranch_execz .LBB427_3
; %bb.2:
	s_waitcnt lgkmcnt(0)
	s_load_dwordx2 s[18:19], s[4:5], 0x28
	s_load_dwordx2 s[34:35], s[4:5], 0x40
	s_and_b64 s[36:37], s[8:9], exec
	s_cselect_b32 s22, s25, s26
	s_mov_b32 s39, 0x20000
	s_waitcnt lgkmcnt(0)
	s_cselect_b32 s25, s19, s11
	s_cselect_b32 s33, s18, s10
	s_mul_hi_i32 s19, s22, s6
	s_mul_i32 s18, s22, s6
	s_lshl_b64 s[18:19], s[18:19], 1
	s_add_u32 s40, s33, s18
	s_addc_u32 s22, s25, s19
	s_and_b64 s[18:19], s[8:9], exec
	s_cselect_b32 s36, s34, s28
	s_cselect_b32 s18, s35, s29
	v_lshlrev_b32_e32 v10, 4, v0
	s_and_b32 s41, s22, 0xffff
	s_mov_b32 s42, s38
	s_mov_b32 s43, s39
	s_and_b32 s37, s18, 0xffff
	buffer_load_dwordx4 v[6:9], v10, s[40:43], 0 offen glc slc
	buffer_load_dwordx4 v[2:5], v10, s[36:39], 0 offen
.LBB427_3:
	s_or_b64 exec, exec, s[2:3]
	s_and_b64 vcc, exec, s[30:31]
	s_cbranch_vccz .LBB427_7
; %bb.4:
	v_mov_b32_e32 v11, 0
	v_mov_b32_e32 v10, 0
	;; [unrolled: 1-line block ×8, first 2 shown]
	s_and_saveexec_b64 s[2:3], s[0:1]
	s_cbranch_execz .LBB427_6
; %bb.5:
	s_waitcnt vmcnt(1)
	v_cvt_f32_f16_sdwa v15, v6 dst_sel:DWORD dst_unused:UNUSED_PAD src0_sel:WORD_1
	v_cvt_f32_f16_e32 v14, v6
	v_cvt_f32_f16_sdwa v17, v7 dst_sel:DWORD dst_unused:UNUSED_PAD src0_sel:WORD_1
	v_cvt_f32_f16_e32 v16, v7
	;; [unrolled: 2-line block ×4, first 2 shown]
.LBB427_6:
	s_or_b64 exec, exec, s[2:3]
	s_cbranch_execz .LBB427_8
	s_branch .LBB427_11
.LBB427_7:
                                        ; implicit-def: $vgpr11
                                        ; implicit-def: $vgpr13
                                        ; implicit-def: $vgpr17
                                        ; implicit-def: $vgpr15
.LBB427_8:
	v_mov_b32_e32 v11, 0
	v_mov_b32_e32 v10, 0
	;; [unrolled: 1-line block ×8, first 2 shown]
	s_and_saveexec_b64 s[2:3], s[0:1]
	s_cbranch_execz .LBB427_10
; %bb.9:
	s_waitcnt lgkmcnt(0)
	s_load_dwordx2 s[18:19], s[4:5], 0x38
	s_mul_hi_i32 s35, s27, s6
	s_mul_i32 s34, s27, s6
	s_lshl_b64 s[34:35], s[34:35], 1
	s_mov_b32 s39, 0x20000
	s_waitcnt lgkmcnt(0)
	s_add_u32 s36, s18, s34
	s_addc_u32 s18, s19, s35
	s_and_b32 s37, s18, 0xffff
	v_lshlrev_b32_e32 v24, 4, v0
	buffer_load_dwordx4 v[10:13], v24, s[36:39], 0 offen glc slc
	s_waitcnt vmcnt(2)
	v_cvt_f32_f16_sdwa v15, v6 dst_sel:DWORD dst_unused:UNUSED_PAD src0_sel:WORD_1
	v_cvt_f32_f16_e32 v14, v6
	v_cvt_f32_f16_sdwa v17, v7 dst_sel:DWORD dst_unused:UNUSED_PAD src0_sel:WORD_1
	v_cvt_f32_f16_e32 v16, v7
	;; [unrolled: 2-line block ×4, first 2 shown]
	s_load_dwordx2 s[18:19], s[4:5], 0x20
	s_mul_hi_i32 s35, s17, s6
	s_mul_i32 s34, s17, s6
	s_lshl_b64 s[34:35], s[34:35], 1
	s_waitcnt lgkmcnt(0)
	s_add_u32 s36, s18, s34
	s_addc_u32 s17, s19, s35
	s_and_b32 s37, s17, 0xffff
	s_waitcnt vmcnt(0)
	v_cvt_f32_f16_e32 v8, v10
	v_cvt_f32_f16_sdwa v9, v10 dst_sel:DWORD dst_unused:UNUSED_PAD src0_sel:WORD_1
	v_cvt_f32_f16_e32 v10, v11
	v_cvt_f32_f16_sdwa v11, v11 dst_sel:DWORD dst_unused:UNUSED_PAD src0_sel:WORD_1
	;; [unrolled: 2-line block ×4, first 2 shown]
	v_pk_add_f32 v[14:15], v[14:15], v[8:9]
	v_pk_add_f32 v[16:17], v[16:17], v[10:11]
	;; [unrolled: 1-line block ×4, first 2 shown]
	v_cvt_f16_f32_e32 v6, v15
	v_cvt_f16_f32_e32 v7, v17
	;; [unrolled: 1-line block ×8, first 2 shown]
	v_pack_b32_f16 v9, v18, v9
	v_pack_b32_f16 v8, v19, v8
	;; [unrolled: 1-line block ×4, first 2 shown]
	buffer_store_dwordx4 v[6:9], v24, s[36:39], 0 offen glc slc
	;;#ASMSTART
	s_nop 0
	;;#ASMEND
.LBB427_10:
	s_or_b64 exec, exec, s[2:3]
.LBB427_11:
	s_waitcnt vmcnt(1)
	v_mul_f32_e32 v6, v15, v15
	v_fmac_f32_e32 v6, v14, v14
	v_fmac_f32_e32 v6, v16, v16
	;; [unrolled: 1-line block ×7, first 2 shown]
	v_and_b32_e32 v8, 63, v0
	v_cmp_eq_u32_e64 s[2:3], 63, v8
	v_mov_b32_dpp v7, v6 quad_perm:[1,0,3,2] row_mask:0xf bank_mask:0xf
	v_add_f32_e32 v6, v6, v7
	s_nop 1
	v_mov_b32_dpp v7, v6 quad_perm:[2,3,0,1] row_mask:0xf bank_mask:0xf
	v_add_f32_e32 v6, v6, v7
	s_nop 1
	v_mov_b32_dpp v7, v6 row_half_mirror row_mask:0xf bank_mask:0xf
	v_add_f32_e32 v6, v6, v7
	s_nop 1
	v_mov_b32_dpp v7, v6 row_mirror row_mask:0xf bank_mask:0xf
	v_add_f32_e32 v6, v6, v7
	s_nop 1
	v_mov_b32_dpp v7, v6 row_bcast:15 row_mask:0xf bank_mask:0xf
	v_add_f32_e32 v6, v6, v7
	s_nop 1
	v_mov_b32_dpp v7, v6 row_bcast:31 row_mask:0xf bank_mask:0xf
	s_waitcnt lgkmcnt(0)
	s_and_saveexec_b64 s[18:19], s[2:3]
	s_cbranch_execz .LBB427_13
; %bb.12:
	v_add_f32_e32 v6, v6, v7
	v_lshrrev_b32_e32 v7, 4, v0
	v_and_b32_e32 v7, 60, v7
	ds_write_b32 v7, v6 offset:8
.LBB427_13:
	s_or_b64 exec, exec, s[18:19]
	v_and_b32_e32 v6, 1, v0
	v_lshlrev_b32_e32 v18, 2, v6
	s_waitcnt lgkmcnt(0)
	s_barrier
	ds_read_b32 v6, v18 offset:8
	s_load_dwordx2 s[18:19], s[4:5], 0x18
	s_waitcnt lgkmcnt(0)
	v_mov_b32_dpp v7, v6 quad_perm:[1,0,3,2] row_mask:0xf bank_mask:0xf
	s_and_saveexec_b64 s[34:35], s[0:1]
	s_cbranch_execnz .LBB427_18
; %bb.14:
	s_or_b64 exec, exec, s[34:35]
	s_mov_b64 s[8:9], -1
	s_and_b64 vcc, exec, s[30:31]
	s_cbranch_vccnz .LBB427_19
.LBB427_15:
	s_andn2_b64 vcc, exec, s[8:9]
	s_cbranch_vccz .LBB427_22
.LBB427_16:
	s_cmp_lt_i32 s24, 1
	s_cbranch_scc0 .LBB427_31
.LBB427_17:
	s_endpgm
.LBB427_18:
	v_cvt_f32_u32_e32 v8, s7
	v_add_f32_e32 v6, v6, v7
	v_mov_b32_e32 v19, s21
	v_mov_b32_e32 v20, s20
	v_div_scale_f32 v7, s[36:37], v8, v8, v6
	v_rcp_f32_e32 v9, v7
	v_cndmask_b32_e64 v19, v19, v20, s[8:9]
	s_mov_b32 s7, 0x800000
	v_fma_f32 v20, -v7, v9, 1.0
	v_fmac_f32_e32 v9, v20, v9
	v_div_scale_f32 v20, vcc, v6, v8, v6
	v_mul_f32_e32 v21, v20, v9
	v_fma_f32 v22, -v7, v21, v20
	v_fmac_f32_e32 v21, v22, v9
	v_fma_f32 v7, -v7, v21, v20
	v_div_fmas_f32 v7, v7, v9, v21
	v_div_fixup_f32 v6, v7, v8, v6
	v_add_f32_e32 v6, v19, v6
	v_mul_f32_e32 v7, 0x4b800000, v6
	v_cmp_gt_f32_e32 vcc, s7, v6
	v_cndmask_b32_e32 v6, v6, v7, vcc
	v_rsq_f32_e32 v6, v6
	s_waitcnt vmcnt(0)
	v_cvt_f32_f16_sdwa v21, v3 dst_sel:DWORD dst_unused:UNUSED_PAD src0_sel:WORD_1
	v_cvt_f32_f16_e32 v20, v3
	v_mul_f32_e32 v7, 0x45800000, v6
	v_cndmask_b32_e32 v6, v6, v7, vcc
	v_mov_b32_e32 v7, v6
	;;#ASMSTART
	v_pk_mul_f32 v[8:9], v[14:15], v[6:7]
	;;#ASMEND
	v_cvt_f32_f16_sdwa v15, v2 dst_sel:DWORD dst_unused:UNUSED_PAD src0_sel:WORD_1
	v_cvt_f32_f16_e32 v14, v2
	;;#ASMSTART
	v_pk_mul_f32 v[16:17], v[16:17], v[6:7]
	;;#ASMEND
	;;#ASMSTART
	v_pk_mul_f32 v[12:13], v[12:13], v[6:7]
	;;#ASMEND
	;; [unrolled: 3-line block ×3, first 2 shown]
	v_pk_add_f32 v[6:7], v[14:15], 1.0 op_sel_hi:[1,0]
	;;#ASMSTART
	v_pk_mul_f32 v[14:15], v[8:9], v[6:7]
	;;#ASMEND
	v_cvt_f32_f16_sdwa v9, v4 dst_sel:DWORD dst_unused:UNUSED_PAD src0_sel:WORD_1
	v_cvt_f32_f16_e32 v8, v4
	v_cvt_f32_f16_sdwa v11, v5 dst_sel:DWORD dst_unused:UNUSED_PAD src0_sel:WORD_1
	v_cvt_f32_f16_e32 v10, v5
	v_pk_add_f32 v[6:7], v[20:21], 1.0 op_sel_hi:[1,0]
	v_pk_add_f32 v[4:5], v[8:9], 1.0 op_sel_hi:[1,0]
	;;#ASMSTART
	v_pk_mul_f32 v[16:17], v[16:17], v[6:7]
	;;#ASMEND
	;;#ASMSTART
	v_pk_mul_f32 v[12:13], v[12:13], v[4:5]
	;;#ASMEND
	v_pk_add_f32 v[4:5], v[10:11], 1.0 op_sel_hi:[1,0]
	;;#ASMSTART
	v_pk_mul_f32 v[10:11], v[2:3], v[4:5]
	;;#ASMEND
	s_or_b64 exec, exec, s[34:35]
	s_mov_b64 s[8:9], -1
	s_and_b64 vcc, exec, s[30:31]
	s_cbranch_vccz .LBB427_15
.LBB427_19:
	s_and_saveexec_b64 s[8:9], s[0:1]
	s_cbranch_execz .LBB427_21
; %bb.20:
	s_mul_hi_i32 s31, s16, s6
	s_mul_i32 s30, s16, s6
	s_waitcnt vmcnt(0)
	v_cvt_f16_f32_e32 v2, v14
	v_cvt_f16_f32_e32 v3, v16
	;; [unrolled: 1-line block ×8, first 2 shown]
	s_lshl_b64 s[30:31], s[30:31], 1
	s_add_u32 s36, s18, s30
	s_addc_u32 s7, s19, s31
	s_and_b32 s37, s7, 0xffff
	s_mov_b32 s39, 0x20000
	v_pack_b32_f16 v5, v5, v6
	v_pack_b32_f16 v4, v4, v7
	;; [unrolled: 1-line block ×4, first 2 shown]
	v_lshlrev_b32_e32 v6, 4, v0
	buffer_store_dwordx4 v[2:5], v6, s[36:39], 0 offen
	;;#ASMSTART
	s_nop 0
	;;#ASMEND
.LBB427_21:
	s_or_b64 exec, exec, s[8:9]
	s_cbranch_execnz .LBB427_16
.LBB427_22:
	s_waitcnt vmcnt(0)
	v_mov_b32_e32 v2, 0
	s_and_saveexec_b64 s[8:9], s[0:1]
	s_cbranch_execz .LBB427_24
; %bb.23:
	s_load_dwordx2 s[30:31], s[4:5], 0x10
	s_mul_hi_i32 s35, s15, s6
	s_mul_i32 s34, s15, s6
	v_cvt_f16_f32_e32 v2, v14
	v_cvt_f16_f32_e32 v3, v16
	;; [unrolled: 1-line block ×8, first 2 shown]
	s_lshl_b64 s[34:35], s[34:35], 1
	s_waitcnt lgkmcnt(0)
	s_add_u32 s36, s30, s34
	s_addc_u32 s7, s31, s35
	s_mov_b32 s39, 0x20000
	s_and_b32 s37, s7, 0xffff
	v_pack_b32_f16 v5, v5, v6
	v_pack_b32_f16 v4, v4, v7
	;; [unrolled: 1-line block ×4, first 2 shown]
	v_lshlrev_b32_e32 v6, 4, v0
	buffer_store_dwordx4 v[2:5], v6, s[36:39], 0 offen
	;;#ASMSTART
	s_nop 0
	;;#ASMEND
	s_nop 0
	v_mov_b32_e32 v2, 0x2edbe6ff
.LBB427_24:
	s_or_b64 exec, exec, s[8:9]
	s_and_saveexec_b64 s[8:9], s[0:1]
	s_cbranch_execz .LBB427_26
; %bb.25:
	v_and_b32_e32 v3, 0x7fffffff, v14
	v_and_b32_e32 v4, 0x7fffffff, v15
	;;#ASMSTART
	v_max3_f32 v2, v2, v3, v4

	;;#ASMEND
	v_and_b32_e32 v3, 0x7fffffff, v16
	v_and_b32_e32 v4, 0x7fffffff, v17
	;;#ASMSTART
	v_max3_f32 v2, v2, v3, v4

	;;#ASMEND
	;; [unrolled: 6-line block ×4, first 2 shown]
.LBB427_26:
	s_or_b64 exec, exec, s[8:9]
	;;#ASMSTART
	v_max_f32 v3, v2, v2 quad_perm:[1,0,3,2] row_mask:0xf bank_mask:0xf bound_ctrl:1
	;;#ASMEND
	;;#ASMSTART
	v_max_f32 v2, v3, v3 quad_perm:[2,3,0,1] row_mask:0xf bank_mask:0xf bound_ctrl:1
	;;#ASMEND
	v_and_b32_e32 v3, 3, v0
	v_cmp_eq_u32_e32 vcc, 0, v3
	v_cmp_gt_i32_e64 s[8:9], s23, v1
	s_and_b64 s[30:31], vcc, s[8:9]
	s_and_saveexec_b64 s[8:9], s[30:31]
	s_cbranch_execz .LBB427_28
; %bb.27:
	s_load_dwordx2 s[30:31], s[4:5], 0x8
	v_mul_f32_e32 v2, 0x3e2aaaab, v2
	v_lshrrev_b32_e32 v3, 23, v2
	v_and_b32_e32 v4, 0x7f800000, v2
	v_and_b32_e32 v2, 0x7fffff, v2
	v_cmp_ne_u32_e32 vcc, 0, v2
	s_mul_hi_i32 s15, s13, s6
	s_mul_i32 s13, s13, s6
	s_mov_b32 s7, 0x7f800000
	v_addc_co_u32_e32 v2, vcc, 0, v3, vcc
	s_waitcnt lgkmcnt(0)
	s_add_u32 s30, s30, s13
	v_cmp_ne_u32_e32 vcc, s7, v4
	s_addc_u32 s31, s31, s15
	v_lshrrev_b32_e32 v5, 2, v0
	v_cndmask_b32_e32 v4, -1, v2, vcc
	v_pk_mov_b32 v[2:3], s[30:31], s[30:31] op_sel:[0,1]
	v_mad_i64_i32 v[2:3], s[14:15], s14, v5, v[2:3]
	global_store_byte v[2:3], v4, off
.LBB427_28:
	s_or_b64 exec, exec, s[8:9]
	s_and_saveexec_b64 s[8:9], s[0:1]
	s_cbranch_execz .LBB427_30
; %bb.29:
	s_load_dwordx2 s[0:1], s[4:5], 0x0
	s_mul_hi_i32 s7, s12, s6
	s_mul_i32 s12, s12, s6
	v_lshlrev_b32_e32 v2, 2, v0
	s_mov_b32 s15, 0x20000
	s_waitcnt lgkmcnt(0)
	s_add_u32 s12, s0, s12
	s_addc_u32 s0, s1, s7
	s_lshr_b32 s1, s23, 31
	s_add_i32 s1, s23, s1
	s_ashr_i32 s1, s1, 1
	s_add_i32 s1, s1, 3
	s_ashr_i32 s7, s1, 31
	s_lshr_b32 s7, s7, 30
	s_add_i32 s1, s1, s7
	s_and_b32 s14, s1, -4
	s_and_b32 s13, s0, 0xffff
	v_mov_b32_e32 v3, 0
	buffer_store_dword v3, v2, s[12:15], 0 offen
	;;#ASMSTART
	s_nop 0
	;;#ASMEND
.LBB427_30:
	s_or_b64 exec, exec, s[8:9]
	s_cmp_lt_i32 s24, 1
	s_cbranch_scc1 .LBB427_17
.LBB427_31:
	s_load_dword s0, s[4:5], 0x94
	s_waitcnt lgkmcnt(0)
	s_cmp_lg_u32 s0, 1
	s_cbranch_scc1 .LBB427_17
; %bb.32:
	s_lshl_b32 s0, s24, 1
	s_add_i32 s0, s0, 2
	v_cmp_gt_u32_e32 vcc, s24, v1
	s_and_b32 s30, s0, -4
	v_mov_b32_e32 v10, 0
	v_lshlrev_b32_e32 v1, 4, v0
	v_mov_b32_e32 v6, 0
	v_mov_b32_e32 v7, 0
	v_mov_b32_e32 v8, 0
	v_mov_b32_e32 v9, 0
	s_waitcnt vmcnt(0)
	v_mov_b32_e32 v2, 0
	v_mov_b32_e32 v3, 0
	;; [unrolled: 1-line block ×4, first 2 shown]
	s_barrier
	s_and_saveexec_b64 s[0:1], vcc
	s_cbranch_execz .LBB427_34
; %bb.33:
	s_mul_hi_i32 s5, s26, s6
	s_mul_i32 s4, s26, s6
	s_and_b32 s29, s29, 0xffff
	s_lshl_b64 s[4:5], s[4:5], 1
	s_add_u32 s8, s10, s4
	s_mov_b32 s31, 0x20000
	s_addc_u32 s4, s11, s5
	s_and_b32 s9, s4, 0xffff
	s_mov_b32 s10, s30
	s_mov_b32 s11, s31
	buffer_load_dwordx4 v[6:9], v1, s[8:11], 0 offen glc slc
	buffer_load_dwordx4 v[2:5], v1, s[28:31], 0 offen
.LBB427_34:
	s_or_b64 exec, exec, s[0:1]
	v_mov_b32_e32 v11, 0
	v_mov_b32_e32 v16, 0
	v_mov_b32_e32 v17, 0
	v_mov_b32_e32 v14, 0
	v_mov_b32_e32 v15, 0
	v_mov_b32_e32 v12, 0
	v_mov_b32_e32 v13, 0
	s_and_saveexec_b64 s[0:1], vcc
	s_cbranch_execz .LBB427_36
; %bb.35:
	s_waitcnt vmcnt(1)
	v_cvt_f32_f16_sdwa v11, v6 dst_sel:DWORD dst_unused:UNUSED_PAD src0_sel:WORD_1
	v_cvt_f32_f16_e32 v10, v6
	v_cvt_f32_f16_sdwa v17, v7 dst_sel:DWORD dst_unused:UNUSED_PAD src0_sel:WORD_1
	v_cvt_f32_f16_e32 v16, v7
	;; [unrolled: 2-line block ×4, first 2 shown]
.LBB427_36:
	s_or_b64 exec, exec, s[0:1]
	s_waitcnt vmcnt(1)
	v_mul_f32_e32 v6, v11, v11
	v_fmac_f32_e32 v6, v10, v10
	v_fmac_f32_e32 v6, v16, v16
	;; [unrolled: 1-line block ×7, first 2 shown]
	s_nop 1
	v_mov_b32_dpp v7, v6 quad_perm:[1,0,3,2] row_mask:0xf bank_mask:0xf
	v_add_f32_e32 v6, v6, v7
	s_nop 1
	v_mov_b32_dpp v7, v6 quad_perm:[2,3,0,1] row_mask:0xf bank_mask:0xf
	v_add_f32_e32 v6, v6, v7
	s_nop 1
	v_mov_b32_dpp v7, v6 row_half_mirror row_mask:0xf bank_mask:0xf
	v_add_f32_e32 v6, v6, v7
	s_nop 1
	v_mov_b32_dpp v7, v6 row_mirror row_mask:0xf bank_mask:0xf
	v_add_f32_e32 v6, v6, v7
	s_nop 1
	v_mov_b32_dpp v7, v6 row_bcast:15 row_mask:0xf bank_mask:0xf
	v_add_f32_e32 v6, v6, v7
	s_nop 1
	v_mov_b32_dpp v7, v6 row_bcast:31 row_mask:0xf bank_mask:0xf
	s_and_saveexec_b64 s[0:1], s[2:3]
	s_cbranch_execz .LBB427_38
; %bb.37:
	v_lshrrev_b32_e32 v0, 4, v0
	v_add_f32_e32 v6, v6, v7
	v_and_b32_e32 v0, 60, v0
	ds_write_b32 v0, v6
.LBB427_38:
	s_or_b64 exec, exec, s[0:1]
	s_waitcnt lgkmcnt(0)
	s_barrier
	ds_read_b32 v0, v18
	s_waitcnt lgkmcnt(0)
	s_nop 0
	v_mov_b32_dpp v6, v0 quad_perm:[1,0,3,2] row_mask:0xf bank_mask:0xf
	s_and_saveexec_b64 s[0:1], vcc
	s_cbranch_execz .LBB427_17
; %bb.39:
	v_cvt_f32_u32_e32 v7, s24
	v_add_f32_e32 v0, v0, v6
	s_mov_b32 s31, 0x20000
	v_div_scale_f32 v6, s[0:1], v7, v7, v0
	v_rcp_f32_e32 v8, v6
	v_div_scale_f32 v9, vcc, v0, v7, v0
	s_mov_b32 s0, 0x800000
	v_fma_f32 v18, -v6, v8, 1.0
	v_fmac_f32_e32 v8, v18, v8
	v_mul_f32_e32 v18, v9, v8
	v_fma_f32 v19, -v6, v18, v9
	v_fmac_f32_e32 v18, v19, v8
	v_fma_f32 v6, -v6, v18, v9
	v_div_fmas_f32 v6, v6, v8, v18
	v_div_fixup_f32 v0, v6, v7, v0
	v_add_f32_e32 v0, s21, v0
	v_mul_f32_e32 v6, 0x4b800000, v0
	v_cmp_gt_f32_e32 vcc, s0, v0
	v_cndmask_b32_e32 v0, v0, v6, vcc
	v_rsq_f32_e32 v0, v0
	s_waitcnt vmcnt(0)
	v_cvt_f32_f16_sdwa v19, v3 dst_sel:DWORD dst_unused:UNUSED_PAD src0_sel:WORD_1
	v_cvt_f32_f16_e32 v18, v3
	s_mul_hi_i32 s1, s16, s6
	v_mul_f32_e32 v6, 0x45800000, v0
	v_cndmask_b32_e32 v6, v0, v6, vcc
	v_mov_b32_e32 v7, v6
	;;#ASMSTART
	v_pk_mul_f32 v[8:9], v[10:11], v[6:7]
	;;#ASMEND
	;;#ASMSTART
	v_pk_mul_f32 v[10:11], v[16:17], v[6:7]
	;;#ASMEND
	v_cvt_f32_f16_sdwa v17, v2 dst_sel:DWORD dst_unused:UNUSED_PAD src0_sel:WORD_1
	v_cvt_f32_f16_e32 v16, v2
	;;#ASMSTART
	v_pk_mul_f32 v[14:15], v[14:15], v[6:7]
	;;#ASMEND
	;;#ASMSTART
	v_pk_mul_f32 v[2:3], v[12:13], v[6:7]
	;;#ASMEND
	v_cvt_f32_f16_sdwa v13, v4 dst_sel:DWORD dst_unused:UNUSED_PAD src0_sel:WORD_1
	v_cvt_f32_f16_e32 v12, v4
	v_pk_add_f32 v[6:7], v[16:17], 1.0 op_sel_hi:[1,0]
	v_cvt_f32_f16_sdwa v17, v5 dst_sel:DWORD dst_unused:UNUSED_PAD src0_sel:WORD_1
	v_cvt_f32_f16_e32 v16, v5
	;;#ASMSTART
	v_pk_mul_f32 v[6:7], v[8:9], v[6:7]
	;;#ASMEND
	v_pk_add_f32 v[8:9], v[18:19], 1.0 op_sel_hi:[1,0]
	;;#ASMSTART
	v_pk_mul_f32 v[4:5], v[10:11], v[8:9]
	;;#ASMEND
	v_pk_add_f32 v[8:9], v[12:13], 1.0 op_sel_hi:[1,0]
	;; [unrolled: 4-line block ×3, first 2 shown]
	;;#ASMSTART
	v_pk_mul_f32 v[2:3], v[2:3], v[10:11]
	;;#ASMEND
	s_mul_i32 s0, s16, s6
	v_cvt_f16_f32_e32 v0, v6
	v_cvt_f16_f32_e32 v6, v7
	;; [unrolled: 1-line block ×8, first 2 shown]
	s_lshl_b64 s[0:1], s[0:1], 1
	s_add_u32 s28, s18, s0
	s_addc_u32 s0, s19, s1
	s_and_b32 s29, s0, 0xffff
	v_pack_b32_f16 v2, v0, v6
	v_pack_b32_f16 v3, v4, v5
	;; [unrolled: 1-line block ×4, first 2 shown]
	buffer_store_dwordx4 v[2:5], v1, s[28:31], 0 offen
	;;#ASMSTART
	s_nop 0
	;;#ASMEND
	s_endpgm
	.section	.rodata,"a",@progbits
	.p2align	6, 0x0
	.amdhsa_kernel _ZN5aiter35fused_qk_rmsnorm_group_quant_kernelIDF16_N4opus5fp4_tELi128ELi8ELi4ELb1ELb1ELb1ELb0ELb0ELb0EEEvPT0_PvPT_S7_S7_PKS6_S9_S9_S9_S9_ffiiiiiiiiiiiii
		.amdhsa_group_segment_fixed_size 16
		.amdhsa_private_segment_fixed_size 0
		.amdhsa_kernarg_size 400
		.amdhsa_user_sgpr_count 6
		.amdhsa_user_sgpr_private_segment_buffer 1
		.amdhsa_user_sgpr_dispatch_ptr 0
		.amdhsa_user_sgpr_queue_ptr 0
		.amdhsa_user_sgpr_kernarg_segment_ptr 1
		.amdhsa_user_sgpr_dispatch_id 0
		.amdhsa_user_sgpr_flat_scratch_init 0
		.amdhsa_user_sgpr_kernarg_preload_length 0
		.amdhsa_user_sgpr_kernarg_preload_offset 0
		.amdhsa_user_sgpr_private_segment_size 0
		.amdhsa_uses_dynamic_stack 0
		.amdhsa_system_sgpr_private_segment_wavefront_offset 0
		.amdhsa_system_sgpr_workgroup_id_x 1
		.amdhsa_system_sgpr_workgroup_id_y 1
		.amdhsa_system_sgpr_workgroup_id_z 0
		.amdhsa_system_sgpr_workgroup_info 0
		.amdhsa_system_vgpr_workitem_id 0
		.amdhsa_next_free_vgpr 25
		.amdhsa_next_free_sgpr 44
		.amdhsa_accum_offset 28
		.amdhsa_reserve_vcc 1
		.amdhsa_reserve_flat_scratch 0
		.amdhsa_float_round_mode_32 0
		.amdhsa_float_round_mode_16_64 0
		.amdhsa_float_denorm_mode_32 3
		.amdhsa_float_denorm_mode_16_64 3
		.amdhsa_dx10_clamp 1
		.amdhsa_ieee_mode 1
		.amdhsa_fp16_overflow 0
		.amdhsa_tg_split 0
		.amdhsa_exception_fp_ieee_invalid_op 0
		.amdhsa_exception_fp_denorm_src 0
		.amdhsa_exception_fp_ieee_div_zero 0
		.amdhsa_exception_fp_ieee_overflow 0
		.amdhsa_exception_fp_ieee_underflow 0
		.amdhsa_exception_fp_ieee_inexact 0
		.amdhsa_exception_int_div_zero 0
	.end_amdhsa_kernel
	.section	.text._ZN5aiter35fused_qk_rmsnorm_group_quant_kernelIDF16_N4opus5fp4_tELi128ELi8ELi4ELb1ELb1ELb1ELb0ELb0ELb0EEEvPT0_PvPT_S7_S7_PKS6_S9_S9_S9_S9_ffiiiiiiiiiiiii,"axG",@progbits,_ZN5aiter35fused_qk_rmsnorm_group_quant_kernelIDF16_N4opus5fp4_tELi128ELi8ELi4ELb1ELb1ELb1ELb0ELb0ELb0EEEvPT0_PvPT_S7_S7_PKS6_S9_S9_S9_S9_ffiiiiiiiiiiiii,comdat
.Lfunc_end427:
	.size	_ZN5aiter35fused_qk_rmsnorm_group_quant_kernelIDF16_N4opus5fp4_tELi128ELi8ELi4ELb1ELb1ELb1ELb0ELb0ELb0EEEvPT0_PvPT_S7_S7_PKS6_S9_S9_S9_S9_ffiiiiiiiiiiiii, .Lfunc_end427-_ZN5aiter35fused_qk_rmsnorm_group_quant_kernelIDF16_N4opus5fp4_tELi128ELi8ELi4ELb1ELb1ELb1ELb0ELb0ELb0EEEvPT0_PvPT_S7_S7_PKS6_S9_S9_S9_S9_ffiiiiiiiiiiiii
                                        ; -- End function
	.section	.AMDGPU.csdata,"",@progbits
; Kernel info:
; codeLenInByte = 2852
; NumSgprs: 48
; NumVgprs: 25
; NumAgprs: 0
; TotalNumVgprs: 25
; ScratchSize: 0
; MemoryBound: 0
; FloatMode: 240
; IeeeMode: 1
; LDSByteSize: 16 bytes/workgroup (compile time only)
; SGPRBlocks: 5
; VGPRBlocks: 3
; NumSGPRsForWavesPerEU: 48
; NumVGPRsForWavesPerEU: 25
; AccumOffset: 28
; Occupancy: 8
; WaveLimiterHint : 0
; COMPUTE_PGM_RSRC2:SCRATCH_EN: 0
; COMPUTE_PGM_RSRC2:USER_SGPR: 6
; COMPUTE_PGM_RSRC2:TRAP_HANDLER: 0
; COMPUTE_PGM_RSRC2:TGID_X_EN: 1
; COMPUTE_PGM_RSRC2:TGID_Y_EN: 1
; COMPUTE_PGM_RSRC2:TGID_Z_EN: 0
; COMPUTE_PGM_RSRC2:TIDIG_COMP_CNT: 0
; COMPUTE_PGM_RSRC3_GFX90A:ACCUM_OFFSET: 6
; COMPUTE_PGM_RSRC3_GFX90A:TG_SPLIT: 0
	.section	.text._ZN5aiter35fused_qk_rmsnorm_group_quant_kernelItN4opus5fp4_tELi128ELi8ELi4ELb1ELb1ELb1ELb0ELb0ELb0EEEvPT0_PvPT_S7_S7_PKS6_S9_S9_S9_S9_ffiiiiiiiiiiiii,"axG",@progbits,_ZN5aiter35fused_qk_rmsnorm_group_quant_kernelItN4opus5fp4_tELi128ELi8ELi4ELb1ELb1ELb1ELb0ELb0ELb0EEEvPT0_PvPT_S7_S7_PKS6_S9_S9_S9_S9_ffiiiiiiiiiiiii,comdat
	.protected	_ZN5aiter35fused_qk_rmsnorm_group_quant_kernelItN4opus5fp4_tELi128ELi8ELi4ELb1ELb1ELb1ELb0ELb0ELb0EEEvPT0_PvPT_S7_S7_PKS6_S9_S9_S9_S9_ffiiiiiiiiiiiii ; -- Begin function _ZN5aiter35fused_qk_rmsnorm_group_quant_kernelItN4opus5fp4_tELi128ELi8ELi4ELb1ELb1ELb1ELb0ELb0ELb0EEEvPT0_PvPT_S7_S7_PKS6_S9_S9_S9_S9_ffiiiiiiiiiiiii
	.globl	_ZN5aiter35fused_qk_rmsnorm_group_quant_kernelItN4opus5fp4_tELi128ELi8ELi4ELb1ELb1ELb1ELb0ELb0ELb0EEEvPT0_PvPT_S7_S7_PKS6_S9_S9_S9_S9_ffiiiiiiiiiiiii
	.p2align	8
	.type	_ZN5aiter35fused_qk_rmsnorm_group_quant_kernelItN4opus5fp4_tELi128ELi8ELi4ELb1ELb1ELb1ELb0ELb0ELb0EEEvPT0_PvPT_S7_S7_PKS6_S9_S9_S9_S9_ffiiiiiiiiiiiii,@function
_ZN5aiter35fused_qk_rmsnorm_group_quant_kernelItN4opus5fp4_tELi128ELi8ELi4ELb1ELb1ELb1ELb0ELb0ELb0EEEvPT0_PvPT_S7_S7_PKS6_S9_S9_S9_S9_ffiiiiiiiiiiiii: ; @_ZN5aiter35fused_qk_rmsnorm_group_quant_kernelItN4opus5fp4_tELi128ELi8ELi4ELb1ELb1ELb1ELb0ELb0ELb0EEEvPT0_PvPT_S7_S7_PKS6_S9_S9_S9_S9_ffiiiiiiiiiiiii
; %bb.0:
	s_load_dwordx8 s[20:27], s[4:5], 0x50
	s_waitcnt lgkmcnt(0)
	s_cmp_ge_i32 s6, s22
	s_cbranch_scc1 .LBB428_17
; %bb.1:
	s_cmp_lg_u32 s7, 0
	s_cselect_b64 s[30:31], -1, 0
	s_cmp_eq_u32 s7, 0
	s_cselect_b64 s[8:9], -1, 0
	s_and_b64 s[0:1], s[8:9], exec
	s_load_dwordx2 s[28:29], s[4:5], 0x48
	s_load_dwordx2 s[10:11], s[4:5], 0x30
	s_load_dwordx8 s[12:19], s[4:5], 0x70
	s_cselect_b32 s7, s23, s24
	s_add_i32 s0, s7, 1
	s_lshr_b32 s1, s0, 31
	s_add_i32 s0, s0, s1
	s_lshl_b32 s0, s0, 1
	v_lshlrev_b32_e32 v1, 3, v0
	s_and_b32 s38, s0, -4
	v_cmp_gt_i32_e64 s[0:1], s7, v1
	v_mov_b32_e32 v10, 0
	v_mov_b32_e32 v11, 0
	;; [unrolled: 1-line block ×8, first 2 shown]
	s_and_saveexec_b64 s[2:3], s[0:1]
	s_cbranch_execz .LBB428_3
; %bb.2:
	s_waitcnt lgkmcnt(0)
	s_load_dwordx2 s[18:19], s[4:5], 0x28
	s_load_dwordx2 s[34:35], s[4:5], 0x40
	s_and_b64 s[36:37], s[8:9], exec
	s_cselect_b32 s22, s25, s26
	s_mov_b32 s39, 0x20000
	s_waitcnt lgkmcnt(0)
	s_cselect_b32 s25, s19, s11
	s_cselect_b32 s33, s18, s10
	s_mul_hi_i32 s19, s22, s6
	s_mul_i32 s18, s22, s6
	s_lshl_b64 s[18:19], s[18:19], 1
	s_add_u32 s40, s33, s18
	s_addc_u32 s22, s25, s19
	s_and_b64 s[18:19], s[8:9], exec
	s_cselect_b32 s36, s34, s28
	s_cselect_b32 s18, s35, s29
	v_lshlrev_b32_e32 v2, 4, v0
	s_and_b32 s41, s22, 0xffff
	s_mov_b32 s42, s38
	s_mov_b32 s43, s39
	s_and_b32 s37, s18, 0xffff
	buffer_load_dwordx4 v[14:17], v2, s[40:43], 0 offen glc slc
	buffer_load_dwordx4 v[10:13], v2, s[36:39], 0 offen
.LBB428_3:
	s_or_b64 exec, exec, s[2:3]
	s_and_b64 vcc, exec, s[30:31]
	s_cbranch_vccz .LBB428_7
; %bb.4:
	s_mov_b32 s40, 0
	s_mov_b32 s41, s40
	;; [unrolled: 1-line block ×8, first 2 shown]
	v_pk_mov_b32 v[2:3], s[40:41], s[40:41] op_sel:[0,1]
	v_pk_mov_b32 v[4:5], s[42:43], s[42:43] op_sel:[0,1]
	;; [unrolled: 1-line block ×4, first 2 shown]
	s_and_saveexec_b64 s[2:3], s[0:1]
	s_cbranch_execz .LBB428_6
; %bb.5:
	s_waitcnt vmcnt(1)
	v_cvt_f32_u32_sdwa v3, v14 dst_sel:DWORD dst_unused:UNUSED_PAD src0_sel:WORD_1
	v_cvt_f32_u32_sdwa v2, v14 dst_sel:DWORD dst_unused:UNUSED_PAD src0_sel:WORD_0
	v_cvt_f32_u32_sdwa v5, v15 dst_sel:DWORD dst_unused:UNUSED_PAD src0_sel:WORD_1
	v_cvt_f32_u32_sdwa v4, v15 dst_sel:DWORD dst_unused:UNUSED_PAD src0_sel:WORD_0
	v_cvt_f32_u32_sdwa v7, v16 dst_sel:DWORD dst_unused:UNUSED_PAD src0_sel:WORD_1
	v_cvt_f32_u32_sdwa v6, v16 dst_sel:DWORD dst_unused:UNUSED_PAD src0_sel:WORD_0
	v_cvt_f32_u32_sdwa v9, v17 dst_sel:DWORD dst_unused:UNUSED_PAD src0_sel:WORD_1
	v_cvt_f32_u32_sdwa v8, v17 dst_sel:DWORD dst_unused:UNUSED_PAD src0_sel:WORD_0
.LBB428_6:
	s_or_b64 exec, exec, s[2:3]
	s_cbranch_execz .LBB428_8
	s_branch .LBB428_11
.LBB428_7:
                                        ; implicit-def: $vgpr2_vgpr3_vgpr4_vgpr5_vgpr6_vgpr7_vgpr8_vgpr9
.LBB428_8:
	s_mov_b32 s40, 0
	s_mov_b32 s41, s40
	;; [unrolled: 1-line block ×8, first 2 shown]
	v_pk_mov_b32 v[2:3], s[40:41], s[40:41] op_sel:[0,1]
	v_pk_mov_b32 v[4:5], s[42:43], s[42:43] op_sel:[0,1]
	;; [unrolled: 1-line block ×4, first 2 shown]
	s_and_saveexec_b64 s[2:3], s[0:1]
	s_cbranch_execz .LBB428_10
; %bb.9:
	s_waitcnt lgkmcnt(0)
	s_load_dwordx2 s[18:19], s[4:5], 0x38
	s_mul_hi_i32 s35, s27, s6
	s_mul_i32 s34, s27, s6
	s_lshl_b64 s[34:35], s[34:35], 1
	s_mov_b32 s39, 0x20000
	s_waitcnt lgkmcnt(0)
	s_add_u32 s36, s18, s34
	s_addc_u32 s18, s19, s35
	s_and_b32 s37, s18, 0xffff
	v_lshlrev_b32_e32 v26, 4, v0
	buffer_load_dwordx4 v[2:5], v26, s[36:39], 0 offen glc slc
	s_load_dwordx2 s[18:19], s[4:5], 0x20
	s_waitcnt vmcnt(2)
	v_cvt_f32_u32_sdwa v7, v14 dst_sel:DWORD dst_unused:UNUSED_PAD src0_sel:WORD_1
	v_cvt_f32_u32_sdwa v6, v14 dst_sel:DWORD dst_unused:UNUSED_PAD src0_sel:WORD_0
	v_cvt_f32_u32_sdwa v9, v15 dst_sel:DWORD dst_unused:UNUSED_PAD src0_sel:WORD_1
	v_cvt_f32_u32_sdwa v8, v15 dst_sel:DWORD dst_unused:UNUSED_PAD src0_sel:WORD_0
	;; [unrolled: 2-line block ×4, first 2 shown]
	s_mul_hi_i32 s35, s17, s6
	s_mul_i32 s34, s17, s6
	s_lshl_b64 s[34:35], s[34:35], 1
	s_waitcnt lgkmcnt(0)
	s_add_u32 s36, s18, s34
	s_mov_b32 s17, 0x7060302
	s_addc_u32 s18, s19, s35
	s_and_b32 s37, s18, 0xffff
	s_waitcnt vmcnt(0)
	v_cvt_f32_u32_sdwa v17, v2 dst_sel:DWORD dst_unused:UNUSED_PAD src0_sel:WORD_1
	v_cvt_f32_u32_sdwa v16, v2 dst_sel:DWORD dst_unused:UNUSED_PAD src0_sel:WORD_0
	v_cvt_f32_u32_sdwa v21, v3 dst_sel:DWORD dst_unused:UNUSED_PAD src0_sel:WORD_1
	v_cvt_f32_u32_sdwa v20, v3 dst_sel:DWORD dst_unused:UNUSED_PAD src0_sel:WORD_0
	;; [unrolled: 2-line block ×4, first 2 shown]
	v_pk_add_f32 v[2:3], v[6:7], v[16:17]
	v_pk_add_f32 v[4:5], v[8:9], v[20:21]
	;; [unrolled: 1-line block ×4, first 2 shown]
	v_perm_b32 v17, v9, v8, s17
	v_perm_b32 v16, v7, v6, s17
	;; [unrolled: 1-line block ×4, first 2 shown]
	buffer_store_dwordx4 v[14:17], v26, s[36:39], 0 offen glc slc
	;;#ASMSTART
	s_nop 0
	;;#ASMEND
.LBB428_10:
	s_or_b64 exec, exec, s[2:3]
.LBB428_11:
	s_waitcnt vmcnt(1)
	v_mul_f32_e32 v14, v3, v3
	v_fmac_f32_e32 v14, v2, v2
	v_fmac_f32_e32 v14, v4, v4
	;; [unrolled: 1-line block ×7, first 2 shown]
	v_and_b32_e32 v16, 63, v0
	v_cmp_eq_u32_e64 s[2:3], 63, v16
	v_mov_b32_dpp v15, v14 quad_perm:[1,0,3,2] row_mask:0xf bank_mask:0xf
	v_add_f32_e32 v14, v14, v15
	s_nop 1
	v_mov_b32_dpp v15, v14 quad_perm:[2,3,0,1] row_mask:0xf bank_mask:0xf
	v_add_f32_e32 v14, v14, v15
	s_nop 1
	v_mov_b32_dpp v15, v14 row_half_mirror row_mask:0xf bank_mask:0xf
	v_add_f32_e32 v14, v14, v15
	s_nop 1
	v_mov_b32_dpp v15, v14 row_mirror row_mask:0xf bank_mask:0xf
	v_add_f32_e32 v14, v14, v15
	s_nop 1
	v_mov_b32_dpp v15, v14 row_bcast:15 row_mask:0xf bank_mask:0xf
	v_add_f32_e32 v14, v14, v15
	s_nop 1
	v_mov_b32_dpp v15, v14 row_bcast:31 row_mask:0xf bank_mask:0xf
	s_waitcnt lgkmcnt(0)
	s_and_saveexec_b64 s[18:19], s[2:3]
	s_cbranch_execz .LBB428_13
; %bb.12:
	v_add_f32_e32 v14, v14, v15
	v_lshrrev_b32_e32 v15, 4, v0
	v_and_b32_e32 v15, 60, v15
	ds_write_b32 v15, v14 offset:8
.LBB428_13:
	s_or_b64 exec, exec, s[18:19]
	v_and_b32_e32 v14, 1, v0
	v_lshlrev_b32_e32 v14, 2, v14
	s_waitcnt lgkmcnt(0)
	s_barrier
	ds_read_b32 v15, v14 offset:8
	s_load_dwordx2 s[18:19], s[4:5], 0x18
	s_waitcnt lgkmcnt(0)
	v_mov_b32_dpp v16, v15 quad_perm:[1,0,3,2] row_mask:0xf bank_mask:0xf
	s_and_saveexec_b64 s[34:35], s[0:1]
	s_cbranch_execnz .LBB428_18
; %bb.14:
	s_or_b64 exec, exec, s[34:35]
	s_mov_b64 s[8:9], -1
	s_and_b64 vcc, exec, s[30:31]
	s_cbranch_vccnz .LBB428_19
.LBB428_15:
	s_andn2_b64 vcc, exec, s[8:9]
	s_cbranch_vccz .LBB428_22
.LBB428_16:
	s_cmp_lt_i32 s24, 1
	s_cbranch_scc0 .LBB428_31
.LBB428_17:
	s_endpgm
.LBB428_18:
	v_cvt_f32_u32_e32 v17, s7
	v_add_f32_e32 v15, v15, v16
	v_mov_b32_e32 v19, s21
	v_mov_b32_e32 v20, s20
	v_div_scale_f32 v16, s[36:37], v17, v17, v15
	v_rcp_f32_e32 v18, v16
	v_cndmask_b32_e64 v19, v19, v20, s[8:9]
	s_mov_b32 s7, 0x800000
	v_fma_f32 v20, -v16, v18, 1.0
	v_fmac_f32_e32 v18, v20, v18
	v_div_scale_f32 v20, vcc, v15, v17, v15
	v_mul_f32_e32 v21, v20, v18
	v_fma_f32 v22, -v16, v21, v20
	v_fmac_f32_e32 v21, v22, v18
	v_fma_f32 v16, -v16, v21, v20
	v_div_fmas_f32 v16, v16, v18, v21
	v_div_fixup_f32 v15, v16, v17, v15
	v_add_f32_e32 v15, v19, v15
	v_mul_f32_e32 v16, 0x4b800000, v15
	v_cmp_gt_f32_e32 vcc, s7, v15
	v_cndmask_b32_e32 v15, v15, v16, vcc
	v_rsq_f32_e32 v15, v15
	s_waitcnt vmcnt(0)
	v_cvt_f32_u32_sdwa v19, v10 dst_sel:DWORD dst_unused:UNUSED_PAD src0_sel:WORD_1
	v_cvt_f32_u32_sdwa v18, v10 dst_sel:DWORD dst_unused:UNUSED_PAD src0_sel:WORD_0
	v_cvt_f32_u32_sdwa v21, v11 dst_sel:DWORD dst_unused:UNUSED_PAD src0_sel:WORD_1
	v_mul_f32_e32 v16, 0x45800000, v15
	v_cndmask_b32_e32 v16, v15, v16, vcc
	v_mov_b32_e32 v17, v16
	v_cvt_f32_u32_sdwa v20, v11 dst_sel:DWORD dst_unused:UNUSED_PAD src0_sel:WORD_0
	;;#ASMSTART
	v_pk_mul_f32 v[2:3], v[2:3], v[16:17]
	;;#ASMEND
	;;#ASMSTART
	v_pk_mul_f32 v[4:5], v[4:5], v[16:17]
	;;#ASMEND
	;; [unrolled: 3-line block ×4, first 2 shown]
	v_cvt_f32_u32_sdwa v17, v12 dst_sel:DWORD dst_unused:UNUSED_PAD src0_sel:WORD_1
	v_cvt_f32_u32_sdwa v16, v12 dst_sel:DWORD dst_unused:UNUSED_PAD src0_sel:WORD_0
	v_pk_add_f32 v[10:11], v[18:19], 1.0 op_sel_hi:[1,0]
	v_cvt_f32_u32_sdwa v19, v13 dst_sel:DWORD dst_unused:UNUSED_PAD src0_sel:WORD_1
	v_cvt_f32_u32_sdwa v18, v13 dst_sel:DWORD dst_unused:UNUSED_PAD src0_sel:WORD_0
	;;#ASMSTART
	v_pk_mul_f32 v[2:3], v[2:3], v[10:11]
	;;#ASMEND
	v_pk_add_f32 v[10:11], v[20:21], 1.0 op_sel_hi:[1,0]
	;;#ASMSTART
	v_pk_mul_f32 v[4:5], v[4:5], v[10:11]
	;;#ASMEND
	v_pk_add_f32 v[10:11], v[16:17], 1.0 op_sel_hi:[1,0]
	;; [unrolled: 4-line block ×3, first 2 shown]
	;;#ASMSTART
	v_pk_mul_f32 v[8:9], v[8:9], v[10:11]
	;;#ASMEND
	s_or_b64 exec, exec, s[34:35]
	s_mov_b64 s[8:9], -1
	s_and_b64 vcc, exec, s[30:31]
	s_cbranch_vccz .LBB428_15
.LBB428_19:
	s_and_saveexec_b64 s[8:9], s[0:1]
	s_cbranch_execz .LBB428_21
; %bb.20:
	s_mul_hi_i32 s31, s16, s6
	s_mul_i32 s30, s16, s6
	s_lshl_b64 s[30:31], s[30:31], 1
	s_add_u32 s36, s18, s30
	s_addc_u32 s7, s19, s31
	s_and_b32 s37, s7, 0xffff
	s_mov_b32 s7, 0x7060302
	s_mov_b32 s39, 0x20000
	s_waitcnt vmcnt(0)
	v_perm_b32 v10, v3, v2, s7
	v_perm_b32 v11, v5, v4, s7
	;; [unrolled: 1-line block ×4, first 2 shown]
	v_lshlrev_b32_e32 v15, 4, v0
	buffer_store_dwordx4 v[10:13], v15, s[36:39], 0 offen
	;;#ASMSTART
	s_nop 0
	;;#ASMEND
.LBB428_21:
	s_or_b64 exec, exec, s[8:9]
	s_cbranch_execnz .LBB428_16
.LBB428_22:
	s_waitcnt vmcnt(0)
	v_mov_b32_e32 v10, 0
	s_and_saveexec_b64 s[8:9], s[0:1]
	s_cbranch_execz .LBB428_24
; %bb.23:
	s_load_dwordx2 s[30:31], s[4:5], 0x10
	s_mul_hi_i32 s35, s15, s6
	s_mul_i32 s34, s15, s6
	s_lshl_b64 s[34:35], s[34:35], 1
	s_mov_b32 s39, 0x20000
	s_waitcnt lgkmcnt(0)
	s_add_u32 s36, s30, s34
	s_addc_u32 s7, s31, s35
	s_and_b32 s37, s7, 0xffff
	s_mov_b32 s7, 0x7060302
	v_perm_b32 v10, v3, v2, s7
	v_perm_b32 v11, v5, v4, s7
	;; [unrolled: 1-line block ×4, first 2 shown]
	v_lshlrev_b32_e32 v15, 4, v0
	buffer_store_dwordx4 v[10:13], v15, s[36:39], 0 offen
	;;#ASMSTART
	s_nop 0
	;;#ASMEND
	s_nop 0
	v_mov_b32_e32 v10, 0x2edbe6ff
.LBB428_24:
	s_or_b64 exec, exec, s[8:9]
	s_and_saveexec_b64 s[8:9], s[0:1]
	s_cbranch_execz .LBB428_26
; %bb.25:
	v_and_b32_e32 v2, 0x7fffffff, v2
	v_and_b32_e32 v3, 0x7fffffff, v3
	;;#ASMSTART
	v_max3_f32 v2, v10, v2, v3

	;;#ASMEND
	v_and_b32_e32 v3, 0x7fffffff, v4
	v_and_b32_e32 v4, 0x7fffffff, v5
	;;#ASMSTART
	v_max3_f32 v2, v2, v3, v4

	;;#ASMEND
	;; [unrolled: 6-line block ×4, first 2 shown]
.LBB428_26:
	s_or_b64 exec, exec, s[8:9]
	;;#ASMSTART
	v_max_f32 v3, v10, v10 quad_perm:[1,0,3,2] row_mask:0xf bank_mask:0xf bound_ctrl:1
	;;#ASMEND
	;;#ASMSTART
	v_max_f32 v2, v3, v3 quad_perm:[2,3,0,1] row_mask:0xf bank_mask:0xf bound_ctrl:1
	;;#ASMEND
	v_and_b32_e32 v3, 3, v0
	v_cmp_eq_u32_e32 vcc, 0, v3
	v_cmp_gt_i32_e64 s[8:9], s23, v1
	s_and_b64 s[30:31], vcc, s[8:9]
	s_and_saveexec_b64 s[8:9], s[30:31]
	s_cbranch_execz .LBB428_28
; %bb.27:
	s_load_dwordx2 s[30:31], s[4:5], 0x8
	v_mul_f32_e32 v2, 0x3e2aaaab, v2
	v_lshrrev_b32_e32 v3, 23, v2
	v_and_b32_e32 v4, 0x7f800000, v2
	v_and_b32_e32 v2, 0x7fffff, v2
	v_cmp_ne_u32_e32 vcc, 0, v2
	s_mul_hi_i32 s15, s13, s6
	s_mul_i32 s13, s13, s6
	s_mov_b32 s7, 0x7f800000
	v_addc_co_u32_e32 v2, vcc, 0, v3, vcc
	s_waitcnt lgkmcnt(0)
	s_add_u32 s30, s30, s13
	v_cmp_ne_u32_e32 vcc, s7, v4
	s_addc_u32 s31, s31, s15
	v_lshrrev_b32_e32 v5, 2, v0
	v_cndmask_b32_e32 v4, -1, v2, vcc
	v_pk_mov_b32 v[2:3], s[30:31], s[30:31] op_sel:[0,1]
	v_mad_i64_i32 v[2:3], s[14:15], s14, v5, v[2:3]
	global_store_byte v[2:3], v4, off
.LBB428_28:
	s_or_b64 exec, exec, s[8:9]
	s_and_saveexec_b64 s[8:9], s[0:1]
	s_cbranch_execz .LBB428_30
; %bb.29:
	s_load_dwordx2 s[0:1], s[4:5], 0x0
	s_mul_hi_i32 s7, s12, s6
	s_mul_i32 s12, s12, s6
	v_lshlrev_b32_e32 v2, 2, v0
	s_mov_b32 s15, 0x20000
	s_waitcnt lgkmcnt(0)
	s_add_u32 s12, s0, s12
	s_addc_u32 s0, s1, s7
	s_lshr_b32 s1, s23, 31
	s_add_i32 s1, s23, s1
	s_ashr_i32 s1, s1, 1
	s_add_i32 s1, s1, 3
	s_ashr_i32 s7, s1, 31
	s_lshr_b32 s7, s7, 30
	s_add_i32 s1, s1, s7
	s_and_b32 s14, s1, -4
	s_and_b32 s13, s0, 0xffff
	v_mov_b32_e32 v3, 0
	buffer_store_dword v3, v2, s[12:15], 0 offen
	;;#ASMSTART
	s_nop 0
	;;#ASMEND
.LBB428_30:
	s_or_b64 exec, exec, s[8:9]
	s_cmp_lt_i32 s24, 1
	s_cbranch_scc1 .LBB428_17
.LBB428_31:
	s_load_dword s0, s[4:5], 0x94
	s_waitcnt lgkmcnt(0)
	s_cmp_lg_u32 s0, 1
	s_cbranch_scc1 .LBB428_17
; %bb.32:
	s_lshl_b32 s0, s24, 1
	s_add_i32 s0, s0, 2
	v_cmp_gt_u32_e32 vcc, s24, v1
	s_and_b32 s30, s0, -4
	v_mov_b32_e32 v6, 0
	v_lshlrev_b32_e32 v1, 4, v0
	v_mov_b32_e32 v7, 0
	v_mov_b32_e32 v8, 0
	;; [unrolled: 1-line block ×7, first 2 shown]
	s_barrier
	s_and_saveexec_b64 s[0:1], vcc
	s_cbranch_execz .LBB428_34
; %bb.33:
	s_mul_hi_i32 s5, s26, s6
	s_mul_i32 s4, s26, s6
	s_and_b32 s29, s29, 0xffff
	s_lshl_b64 s[4:5], s[4:5], 1
	s_add_u32 s8, s10, s4
	s_mov_b32 s31, 0x20000
	s_addc_u32 s4, s11, s5
	s_and_b32 s9, s4, 0xffff
	s_mov_b32 s10, s30
	s_mov_b32 s11, s31
	buffer_load_dwordx4 v[6:9], v1, s[8:11], 0 offen glc slc
	buffer_load_dwordx4 v[2:5], v1, s[28:31], 0 offen
.LBB428_34:
	s_or_b64 exec, exec, s[0:1]
	s_waitcnt vmcnt(0)
	v_cvt_f32_u32_sdwa v13, v6 dst_sel:DWORD dst_unused:UNUSED_PAD src0_sel:WORD_1
	v_cvt_f32_u32_sdwa v12, v6 dst_sel:DWORD dst_unused:UNUSED_PAD src0_sel:WORD_0
	v_cvt_f32_u32_sdwa v6, v9 dst_sel:DWORD dst_unused:UNUSED_PAD src0_sel:WORD_1
	v_cvt_f32_u32_sdwa v9, v9 dst_sel:DWORD dst_unused:UNUSED_PAD src0_sel:WORD_0
	;; [unrolled: 2-line block ×4, first 2 shown]
	v_cndmask_b32_e32 v13, 0, v13, vcc
	v_cndmask_b32_e32 v7, 0, v6, vcc
	v_cndmask_b32_e32 v6, 0, v9, vcc
	v_cndmask_b32_e32 v9, 0, v15, vcc
	v_cndmask_b32_e32 v12, 0, v12, vcc
	v_mul_f32_e32 v15, v13, v13
	v_cndmask_b32_e32 v10, 0, v10, vcc
	v_fmac_f32_e32 v15, v12, v12
	v_cndmask_b32_e32 v11, 0, v11, vcc
	v_fmac_f32_e32 v15, v10, v10
	;; [unrolled: 2-line block ×3, first 2 shown]
	v_fmac_f32_e32 v15, v8, v8
	v_fmac_f32_e32 v15, v9, v9
	;; [unrolled: 1-line block ×4, first 2 shown]
	s_nop 1
	v_mov_b32_dpp v16, v15 quad_perm:[1,0,3,2] row_mask:0xf bank_mask:0xf
	v_add_f32_e32 v15, v15, v16
	s_nop 1
	v_mov_b32_dpp v16, v15 quad_perm:[2,3,0,1] row_mask:0xf bank_mask:0xf
	v_add_f32_e32 v15, v15, v16
	s_nop 1
	v_mov_b32_dpp v16, v15 row_half_mirror row_mask:0xf bank_mask:0xf
	v_add_f32_e32 v15, v15, v16
	s_nop 1
	v_mov_b32_dpp v16, v15 row_mirror row_mask:0xf bank_mask:0xf
	v_add_f32_e32 v15, v15, v16
	s_nop 1
	v_mov_b32_dpp v16, v15 row_bcast:15 row_mask:0xf bank_mask:0xf
	v_add_f32_e32 v15, v15, v16
	s_nop 1
	v_mov_b32_dpp v16, v15 row_bcast:31 row_mask:0xf bank_mask:0xf
	s_and_saveexec_b64 s[0:1], s[2:3]
	s_cbranch_execz .LBB428_36
; %bb.35:
	v_lshrrev_b32_e32 v0, 4, v0
	v_add_f32_e32 v15, v15, v16
	v_and_b32_e32 v0, 60, v0
	ds_write_b32 v0, v15
.LBB428_36:
	s_or_b64 exec, exec, s[0:1]
	s_waitcnt lgkmcnt(0)
	s_barrier
	ds_read_b32 v0, v14
	s_waitcnt lgkmcnt(0)
	s_nop 0
	v_mov_b32_dpp v14, v0 quad_perm:[1,0,3,2] row_mask:0xf bank_mask:0xf
	s_and_saveexec_b64 s[0:1], vcc
	s_cbranch_execz .LBB428_17
; %bb.37:
	v_cvt_f32_u32_e32 v15, s24
	v_add_f32_e32 v0, v0, v14
	s_mov_b32 s31, 0x20000
	v_div_scale_f32 v14, s[0:1], v15, v15, v0
	v_rcp_f32_e32 v16, v14
	v_div_scale_f32 v17, vcc, v0, v15, v0
	s_mov_b32 s0, 0x800000
	v_fma_f32 v18, -v14, v16, 1.0
	v_fmac_f32_e32 v16, v18, v16
	v_mul_f32_e32 v18, v17, v16
	v_fma_f32 v19, -v14, v18, v17
	v_fmac_f32_e32 v18, v19, v16
	v_fma_f32 v14, -v14, v18, v17
	v_div_fmas_f32 v14, v14, v16, v18
	v_div_fixup_f32 v0, v14, v15, v0
	v_add_f32_e32 v0, s21, v0
	v_mul_f32_e32 v14, 0x4b800000, v0
	v_cmp_gt_f32_e32 vcc, s0, v0
	v_cndmask_b32_e32 v0, v0, v14, vcc
	v_rsq_f32_e32 v0, v0
	v_cvt_f32_u32_sdwa v17, v2 dst_sel:DWORD dst_unused:UNUSED_PAD src0_sel:WORD_1
	v_cvt_f32_u32_sdwa v16, v2 dst_sel:DWORD dst_unused:UNUSED_PAD src0_sel:WORD_0
	v_cvt_f32_u32_sdwa v19, v3 dst_sel:DWORD dst_unused:UNUSED_PAD src0_sel:WORD_1
	v_mul_f32_e32 v14, 0x45800000, v0
	v_cndmask_b32_e32 v14, v0, v14, vcc
	v_mov_b32_e32 v15, v14
	;;#ASMSTART
	v_pk_mul_f32 v[12:13], v[12:13], v[14:15]
	;;#ASMEND
	;;#ASMSTART
	v_pk_mul_f32 v[10:11], v[10:11], v[14:15]
	;;#ASMEND
	;;#ASMSTART
	v_pk_mul_f32 v[8:9], v[8:9], v[14:15]
	;;#ASMEND
	v_cvt_f32_u32_sdwa v18, v3 dst_sel:DWORD dst_unused:UNUSED_PAD src0_sel:WORD_0
	;;#ASMSTART
	v_pk_mul_f32 v[2:3], v[6:7], v[14:15]
	;;#ASMEND
	v_cvt_f32_u32_sdwa v15, v4 dst_sel:DWORD dst_unused:UNUSED_PAD src0_sel:WORD_1
	v_cvt_f32_u32_sdwa v14, v4 dst_sel:DWORD dst_unused:UNUSED_PAD src0_sel:WORD_0
	v_pk_add_f32 v[6:7], v[16:17], 1.0 op_sel_hi:[1,0]
	v_cvt_f32_u32_sdwa v17, v5 dst_sel:DWORD dst_unused:UNUSED_PAD src0_sel:WORD_1
	v_cvt_f32_u32_sdwa v16, v5 dst_sel:DWORD dst_unused:UNUSED_PAD src0_sel:WORD_0
	s_mul_hi_i32 s1, s16, s6
	s_mul_i32 s0, s16, s6
	s_lshl_b64 s[0:1], s[0:1], 1
	s_add_u32 s28, s18, s0
	;;#ASMSTART
	v_pk_mul_f32 v[6:7], v[12:13], v[6:7]
	;;#ASMEND
	v_pk_add_f32 v[12:13], v[18:19], 1.0 op_sel_hi:[1,0]
	;;#ASMSTART
	v_pk_mul_f32 v[4:5], v[10:11], v[12:13]
	;;#ASMEND
	v_pk_add_f32 v[10:11], v[14:15], 1.0 op_sel_hi:[1,0]
	s_addc_u32 s0, s19, s1
	;;#ASMSTART
	v_pk_mul_f32 v[8:9], v[8:9], v[10:11]
	;;#ASMEND
	v_pk_add_f32 v[10:11], v[16:17], 1.0 op_sel_hi:[1,0]
	s_and_b32 s29, s0, 0xffff
	s_mov_b32 s0, 0x7060302
	;;#ASMSTART
	v_pk_mul_f32 v[10:11], v[2:3], v[10:11]
	;;#ASMEND
	v_perm_b32 v2, v7, v6, s0
	v_perm_b32 v3, v5, v4, s0
	;; [unrolled: 1-line block ×4, first 2 shown]
	buffer_store_dwordx4 v[2:5], v1, s[28:31], 0 offen
	;;#ASMSTART
	s_nop 0
	;;#ASMEND
	s_endpgm
	.section	.rodata,"a",@progbits
	.p2align	6, 0x0
	.amdhsa_kernel _ZN5aiter35fused_qk_rmsnorm_group_quant_kernelItN4opus5fp4_tELi128ELi8ELi4ELb1ELb1ELb1ELb0ELb0ELb0EEEvPT0_PvPT_S7_S7_PKS6_S9_S9_S9_S9_ffiiiiiiiiiiiii
		.amdhsa_group_segment_fixed_size 16
		.amdhsa_private_segment_fixed_size 0
		.amdhsa_kernarg_size 400
		.amdhsa_user_sgpr_count 6
		.amdhsa_user_sgpr_private_segment_buffer 1
		.amdhsa_user_sgpr_dispatch_ptr 0
		.amdhsa_user_sgpr_queue_ptr 0
		.amdhsa_user_sgpr_kernarg_segment_ptr 1
		.amdhsa_user_sgpr_dispatch_id 0
		.amdhsa_user_sgpr_flat_scratch_init 0
		.amdhsa_user_sgpr_kernarg_preload_length 0
		.amdhsa_user_sgpr_kernarg_preload_offset 0
		.amdhsa_user_sgpr_private_segment_size 0
		.amdhsa_uses_dynamic_stack 0
		.amdhsa_system_sgpr_private_segment_wavefront_offset 0
		.amdhsa_system_sgpr_workgroup_id_x 1
		.amdhsa_system_sgpr_workgroup_id_y 1
		.amdhsa_system_sgpr_workgroup_id_z 0
		.amdhsa_system_sgpr_workgroup_info 0
		.amdhsa_system_vgpr_workitem_id 0
		.amdhsa_next_free_vgpr 27
		.amdhsa_next_free_sgpr 48
		.amdhsa_accum_offset 28
		.amdhsa_reserve_vcc 1
		.amdhsa_reserve_flat_scratch 0
		.amdhsa_float_round_mode_32 0
		.amdhsa_float_round_mode_16_64 0
		.amdhsa_float_denorm_mode_32 3
		.amdhsa_float_denorm_mode_16_64 3
		.amdhsa_dx10_clamp 1
		.amdhsa_ieee_mode 1
		.amdhsa_fp16_overflow 0
		.amdhsa_tg_split 0
		.amdhsa_exception_fp_ieee_invalid_op 0
		.amdhsa_exception_fp_denorm_src 0
		.amdhsa_exception_fp_ieee_div_zero 0
		.amdhsa_exception_fp_ieee_overflow 0
		.amdhsa_exception_fp_ieee_underflow 0
		.amdhsa_exception_fp_ieee_inexact 0
		.amdhsa_exception_int_div_zero 0
	.end_amdhsa_kernel
	.section	.text._ZN5aiter35fused_qk_rmsnorm_group_quant_kernelItN4opus5fp4_tELi128ELi8ELi4ELb1ELb1ELb1ELb0ELb0ELb0EEEvPT0_PvPT_S7_S7_PKS6_S9_S9_S9_S9_ffiiiiiiiiiiiii,"axG",@progbits,_ZN5aiter35fused_qk_rmsnorm_group_quant_kernelItN4opus5fp4_tELi128ELi8ELi4ELb1ELb1ELb1ELb0ELb0ELb0EEEvPT0_PvPT_S7_S7_PKS6_S9_S9_S9_S9_ffiiiiiiiiiiiii,comdat
.Lfunc_end428:
	.size	_ZN5aiter35fused_qk_rmsnorm_group_quant_kernelItN4opus5fp4_tELi128ELi8ELi4ELb1ELb1ELb1ELb0ELb0ELb0EEEvPT0_PvPT_S7_S7_PKS6_S9_S9_S9_S9_ffiiiiiiiiiiiii, .Lfunc_end428-_ZN5aiter35fused_qk_rmsnorm_group_quant_kernelItN4opus5fp4_tELi128ELi8ELi4ELb1ELb1ELb1ELb0ELb0ELb0EEEvPT0_PvPT_S7_S7_PKS6_S9_S9_S9_S9_ffiiiiiiiiiiiii
                                        ; -- End function
	.section	.AMDGPU.csdata,"",@progbits
; Kernel info:
; codeLenInByte = 2892
; NumSgprs: 52
; NumVgprs: 27
; NumAgprs: 0
; TotalNumVgprs: 27
; ScratchSize: 0
; MemoryBound: 0
; FloatMode: 240
; IeeeMode: 1
; LDSByteSize: 16 bytes/workgroup (compile time only)
; SGPRBlocks: 6
; VGPRBlocks: 3
; NumSGPRsForWavesPerEU: 52
; NumVGPRsForWavesPerEU: 27
; AccumOffset: 28
; Occupancy: 8
; WaveLimiterHint : 0
; COMPUTE_PGM_RSRC2:SCRATCH_EN: 0
; COMPUTE_PGM_RSRC2:USER_SGPR: 6
; COMPUTE_PGM_RSRC2:TRAP_HANDLER: 0
; COMPUTE_PGM_RSRC2:TGID_X_EN: 1
; COMPUTE_PGM_RSRC2:TGID_Y_EN: 1
; COMPUTE_PGM_RSRC2:TGID_Z_EN: 0
; COMPUTE_PGM_RSRC2:TIDIG_COMP_CNT: 0
; COMPUTE_PGM_RSRC3_GFX90A:ACCUM_OFFSET: 6
; COMPUTE_PGM_RSRC3_GFX90A:TG_SPLIT: 0
	.section	.text._ZN5aiter35fused_qk_rmsnorm_group_quant_kernelIDF16_DB8_Li128ELi8ELi4ELb1ELb1ELb0ELb0ELb0ELb0EEEvPT0_PvPT_S6_S6_PKS5_S8_S8_S8_S8_ffiiiiiiiiiiiii,"axG",@progbits,_ZN5aiter35fused_qk_rmsnorm_group_quant_kernelIDF16_DB8_Li128ELi8ELi4ELb1ELb1ELb0ELb0ELb0ELb0EEEvPT0_PvPT_S6_S6_PKS5_S8_S8_S8_S8_ffiiiiiiiiiiiii,comdat
	.protected	_ZN5aiter35fused_qk_rmsnorm_group_quant_kernelIDF16_DB8_Li128ELi8ELi4ELb1ELb1ELb0ELb0ELb0ELb0EEEvPT0_PvPT_S6_S6_PKS5_S8_S8_S8_S8_ffiiiiiiiiiiiii ; -- Begin function _ZN5aiter35fused_qk_rmsnorm_group_quant_kernelIDF16_DB8_Li128ELi8ELi4ELb1ELb1ELb0ELb0ELb0ELb0EEEvPT0_PvPT_S6_S6_PKS5_S8_S8_S8_S8_ffiiiiiiiiiiiii
	.globl	_ZN5aiter35fused_qk_rmsnorm_group_quant_kernelIDF16_DB8_Li128ELi8ELi4ELb1ELb1ELb0ELb0ELb0ELb0EEEvPT0_PvPT_S6_S6_PKS5_S8_S8_S8_S8_ffiiiiiiiiiiiii
	.p2align	8
	.type	_ZN5aiter35fused_qk_rmsnorm_group_quant_kernelIDF16_DB8_Li128ELi8ELi4ELb1ELb1ELb0ELb0ELb0ELb0EEEvPT0_PvPT_S6_S6_PKS5_S8_S8_S8_S8_ffiiiiiiiiiiiii,@function
_ZN5aiter35fused_qk_rmsnorm_group_quant_kernelIDF16_DB8_Li128ELi8ELi4ELb1ELb1ELb0ELb0ELb0ELb0EEEvPT0_PvPT_S6_S6_PKS5_S8_S8_S8_S8_ffiiiiiiiiiiiii: ; @_ZN5aiter35fused_qk_rmsnorm_group_quant_kernelIDF16_DB8_Li128ELi8ELi4ELb1ELb1ELb0ELb0ELb0ELb0EEEvPT0_PvPT_S6_S6_PKS5_S8_S8_S8_S8_ffiiiiiiiiiiiii
; %bb.0:
	s_load_dwordx8 s[20:27], s[4:5], 0x50
	s_waitcnt lgkmcnt(0)
	s_cmp_ge_i32 s6, s22
	s_cbranch_scc1 .LBB429_17
; %bb.1:
	s_cmp_lg_u32 s7, 0
	s_cselect_b64 s[10:11], -1, 0
	s_cmp_eq_u32 s7, 0
	s_cselect_b64 s[8:9], -1, 0
	s_and_b64 s[0:1], s[8:9], exec
	s_load_dwordx2 s[28:29], s[4:5], 0x48
	s_load_dwordx2 s[34:35], s[4:5], 0x30
	s_load_dwordx8 s[12:19], s[4:5], 0x70
	s_cselect_b32 s7, s23, s24
	s_add_i32 s0, s7, 1
	s_lshr_b32 s1, s0, 31
	s_add_i32 s0, s0, s1
	s_lshl_b32 s0, s0, 1
	v_lshlrev_b32_e32 v1, 3, v0
	s_and_b32 s38, s0, -4
	v_cmp_gt_i32_e64 s[0:1], s7, v1
	v_mov_b32_e32 v24, 0
	v_mov_b32_e32 v25, 0
	;; [unrolled: 1-line block ×8, first 2 shown]
	s_and_saveexec_b64 s[2:3], s[0:1]
	s_cbranch_execz .LBB429_3
; %bb.2:
	s_waitcnt lgkmcnt(0)
	s_load_dwordx2 s[18:19], s[4:5], 0x28
	s_load_dwordx2 s[30:31], s[4:5], 0x40
	s_and_b64 s[36:37], s[8:9], exec
	s_cselect_b32 s22, s25, s26
	s_mov_b32 s39, 0x20000
	s_waitcnt lgkmcnt(0)
	s_cselect_b32 s25, s19, s35
	s_cselect_b32 s33, s18, s34
	s_mul_hi_i32 s19, s22, s6
	s_mul_i32 s18, s22, s6
	s_lshl_b64 s[18:19], s[18:19], 1
	s_add_u32 s40, s33, s18
	s_addc_u32 s22, s25, s19
	s_and_b64 s[18:19], s[8:9], exec
	s_cselect_b32 s36, s30, s28
	s_cselect_b32 s18, s31, s29
	v_lshlrev_b32_e32 v2, 4, v0
	s_and_b32 s41, s22, 0xffff
	s_mov_b32 s42, s38
	s_mov_b32 s43, s39
	s_and_b32 s37, s18, 0xffff
	buffer_load_dwordx4 v[28:31], v2, s[40:43], 0 offen glc slc
	buffer_load_dwordx4 v[24:27], v2, s[36:39], 0 offen
.LBB429_3:
	s_or_b64 exec, exec, s[2:3]
	s_and_b64 vcc, exec, s[10:11]
	s_cbranch_vccz .LBB429_7
; %bb.4:
	v_mov_b32_e32 v33, 0
	v_mov_b32_e32 v32, 0
	;; [unrolled: 1-line block ×8, first 2 shown]
	s_and_saveexec_b64 s[2:3], s[0:1]
	s_cbranch_execz .LBB429_6
; %bb.5:
	s_waitcnt vmcnt(1)
	v_cvt_f32_f16_sdwa v17, v28 dst_sel:DWORD dst_unused:UNUSED_PAD src0_sel:WORD_1
	v_cvt_f32_f16_e32 v16, v28
	v_cvt_f32_f16_sdwa v11, v29 dst_sel:DWORD dst_unused:UNUSED_PAD src0_sel:WORD_1
	v_cvt_f32_f16_e32 v10, v29
	;; [unrolled: 2-line block ×4, first 2 shown]
.LBB429_6:
	s_or_b64 exec, exec, s[2:3]
	s_cbranch_execz .LBB429_8
	s_branch .LBB429_11
.LBB429_7:
                                        ; implicit-def: $vgpr8_vgpr9_vgpr10_vgpr11_vgpr12_vgpr13_vgpr14_vgpr15
                                        ; implicit-def: $vgpr33
                                        ; implicit-def: $vgpr16_vgpr17_vgpr18_vgpr19_vgpr20_vgpr21_vgpr22_vgpr23
                                        ; implicit-def: $vgpr2_vgpr3_vgpr4_vgpr5_vgpr6_vgpr7_vgpr8_vgpr9
.LBB429_8:
	v_mov_b32_e32 v33, 0
	v_mov_b32_e32 v32, 0
	;; [unrolled: 1-line block ×8, first 2 shown]
	s_and_saveexec_b64 s[2:3], s[0:1]
	s_cbranch_execz .LBB429_10
; %bb.9:
	s_waitcnt lgkmcnt(0)
	s_load_dwordx2 s[18:19], s[4:5], 0x38
	s_mul_hi_i32 s31, s27, s6
	s_mul_i32 s30, s27, s6
	s_lshl_b64 s[30:31], s[30:31], 1
	s_mov_b32 s39, 0x20000
	s_waitcnt lgkmcnt(0)
	s_add_u32 s36, s18, s30
	s_addc_u32 s18, s19, s31
	s_and_b32 s37, s18, 0xffff
	v_lshlrev_b32_e32 v20, 4, v0
	buffer_load_dwordx4 v[2:5], v20, s[36:39], 0 offen glc slc
	s_waitcnt vmcnt(2)
	v_cvt_f32_f16_sdwa v7, v28 dst_sel:DWORD dst_unused:UNUSED_PAD src0_sel:WORD_1
	v_cvt_f32_f16_e32 v6, v28
	v_cvt_f32_f16_sdwa v9, v29 dst_sel:DWORD dst_unused:UNUSED_PAD src0_sel:WORD_1
	v_cvt_f32_f16_e32 v8, v29
	;; [unrolled: 2-line block ×4, first 2 shown]
	s_load_dwordx2 s[18:19], s[4:5], 0x20
	s_mul_hi_i32 s31, s17, s6
	s_mul_i32 s30, s17, s6
	s_lshl_b64 s[30:31], s[30:31], 1
	s_waitcnt lgkmcnt(0)
	s_add_u32 s36, s18, s30
	s_addc_u32 s17, s19, s31
	s_and_b32 s37, s17, 0xffff
	s_waitcnt vmcnt(0)
	v_cvt_f32_f16_e32 v10, v2
	v_cvt_f32_f16_sdwa v11, v2 dst_sel:DWORD dst_unused:UNUSED_PAD src0_sel:WORD_1
	v_cvt_f32_f16_e32 v2, v3
	v_cvt_f32_f16_sdwa v3, v3 dst_sel:DWORD dst_unused:UNUSED_PAD src0_sel:WORD_1
	v_cvt_f32_f16_e32 v18, v4
	v_cvt_f32_f16_sdwa v19, v4 dst_sel:DWORD dst_unused:UNUSED_PAD src0_sel:WORD_1
	v_cvt_f32_f16_e32 v4, v5
	v_cvt_f32_f16_sdwa v5, v5 dst_sel:DWORD dst_unused:UNUSED_PAD src0_sel:WORD_1
	v_pk_add_f32 v[16:17], v[6:7], v[10:11]
	v_pk_add_f32 v[10:11], v[8:9], v[2:3]
	;; [unrolled: 1-line block ×4, first 2 shown]
	v_cvt_f16_f32_e32 v2, v17
	v_cvt_f16_f32_e32 v3, v11
	;; [unrolled: 1-line block ×8, first 2 shown]
	v_pack_b32_f16 v5, v8, v5
	v_pack_b32_f16 v4, v9, v4
	;; [unrolled: 1-line block ×4, first 2 shown]
	buffer_store_dwordx4 v[2:5], v20, s[36:39], 0 offen glc slc
	;;#ASMSTART
	s_nop 0
	;;#ASMEND
.LBB429_10:
	s_or_b64 exec, exec, s[2:3]
.LBB429_11:
	v_mul_f32_e32 v2, v17, v17
	v_fmac_f32_e32 v2, v16, v16
	v_fmac_f32_e32 v2, v10, v10
	;; [unrolled: 1-line block ×7, first 2 shown]
	v_and_b32_e32 v4, 63, v0
	v_cmp_eq_u32_e64 s[2:3], 63, v4
	v_mov_b32_dpp v3, v2 quad_perm:[1,0,3,2] row_mask:0xf bank_mask:0xf
	v_add_f32_e32 v2, v2, v3
	s_nop 1
	v_mov_b32_dpp v3, v2 quad_perm:[2,3,0,1] row_mask:0xf bank_mask:0xf
	v_add_f32_e32 v2, v2, v3
	s_nop 1
	v_mov_b32_dpp v3, v2 row_half_mirror row_mask:0xf bank_mask:0xf
	v_add_f32_e32 v2, v2, v3
	s_nop 1
	v_mov_b32_dpp v3, v2 row_mirror row_mask:0xf bank_mask:0xf
	v_add_f32_e32 v2, v2, v3
	s_nop 1
	v_mov_b32_dpp v3, v2 row_bcast:15 row_mask:0xf bank_mask:0xf
	v_add_f32_e32 v2, v2, v3
	s_nop 1
	v_mov_b32_dpp v3, v2 row_bcast:31 row_mask:0xf bank_mask:0xf
	s_waitcnt lgkmcnt(0)
	s_and_saveexec_b64 s[18:19], s[2:3]
	s_cbranch_execz .LBB429_13
; %bb.12:
	v_add_f32_e32 v2, v2, v3
	v_lshrrev_b32_e32 v3, 4, v0
	v_and_b32_e32 v3, 60, v3
	ds_write_b32 v3, v2 offset:8
.LBB429_13:
	s_or_b64 exec, exec, s[18:19]
	v_and_b32_e32 v2, 1, v0
	v_lshlrev_b32_e32 v18, 2, v2
	s_waitcnt lgkmcnt(0)
	s_barrier
	ds_read_b32 v2, v18 offset:8
	s_load_dwordx2 s[18:19], s[4:5], 0x18
	s_waitcnt lgkmcnt(0)
	v_mov_b32_dpp v3, v2 quad_perm:[1,0,3,2] row_mask:0xf bank_mask:0xf
	s_and_saveexec_b64 s[30:31], s[0:1]
	s_cbranch_execnz .LBB429_18
; %bb.14:
	s_or_b64 exec, exec, s[30:31]
	s_mov_b64 s[8:9], -1
	s_and_b64 vcc, exec, s[10:11]
	s_cbranch_vccnz .LBB429_19
.LBB429_15:
	s_andn2_b64 vcc, exec, s[8:9]
	s_cbranch_vccz .LBB429_22
.LBB429_16:
	s_cmp_lt_i32 s24, 1
	s_cbranch_scc0 .LBB429_31
.LBB429_17:
	s_endpgm
.LBB429_18:
	v_cvt_f32_u32_e32 v4, s7
	v_add_f32_e32 v2, v2, v3
	v_mov_b32_e32 v8, s21
	v_mov_b32_e32 v9, s20
	v_div_scale_f32 v3, s[36:37], v4, v4, v2
	v_rcp_f32_e32 v5, v3
	v_cndmask_b32_e64 v8, v8, v9, s[8:9]
	s_mov_b32 s7, 0x800000
	s_waitcnt vmcnt(0)
	v_cvt_f32_f16_sdwa v15, v26 dst_sel:DWORD dst_unused:UNUSED_PAD src0_sel:WORD_1
	v_fma_f32 v9, -v3, v5, 1.0
	v_fmac_f32_e32 v5, v9, v5
	v_div_scale_f32 v9, vcc, v2, v4, v2
	v_mul_f32_e32 v12, v9, v5
	v_fma_f32 v13, -v3, v12, v9
	v_fmac_f32_e32 v12, v13, v5
	v_fma_f32 v3, -v3, v12, v9
	v_div_fmas_f32 v3, v3, v5, v12
	v_div_fixup_f32 v2, v3, v4, v2
	v_add_f32_e32 v2, v8, v2
	v_mul_f32_e32 v3, 0x4b800000, v2
	v_cmp_gt_f32_e32 vcc, s7, v2
	v_cndmask_b32_e32 v2, v2, v3, vcc
	v_rsq_f32_e32 v2, v2
	v_cvt_f32_f16_sdwa v13, v25 dst_sel:DWORD dst_unused:UNUSED_PAD src0_sel:WORD_1
	v_cvt_f32_f16_e32 v12, v25
	v_cvt_f32_f16_e32 v14, v26
	v_mul_f32_e32 v3, 0x45800000, v2
	v_cndmask_b32_e32 v2, v2, v3, vcc
	v_mov_b32_e32 v3, v2
	;;#ASMSTART
	v_pk_mul_f32 v[4:5], v[16:17], v[2:3]
	;;#ASMEND
	;;#ASMSTART
	v_pk_mul_f32 v[8:9], v[10:11], v[2:3]
	;;#ASMEND
	;; [unrolled: 3-line block ×3, first 2 shown]
	v_cvt_f32_f16_sdwa v11, v24 dst_sel:DWORD dst_unused:UNUSED_PAD src0_sel:WORD_1
	v_cvt_f32_f16_e32 v10, v24
	;;#ASMSTART
	v_pk_mul_f32 v[2:3], v[32:33], v[2:3]
	;;#ASMEND
	v_cvt_f32_f16_sdwa v21, v27 dst_sel:DWORD dst_unused:UNUSED_PAD src0_sel:WORD_1
	v_cvt_f32_f16_e32 v20, v27
	;;#ASMSTART
	v_pk_mul_f32 v[16:17], v[4:5], v[10:11]
	;;#ASMEND
	;;#ASMSTART
	v_pk_mul_f32 v[10:11], v[8:9], v[12:13]
	;;#ASMEND
	;; [unrolled: 3-line block ×4, first 2 shown]
	s_or_b64 exec, exec, s[30:31]
	s_mov_b64 s[8:9], -1
	s_and_b64 vcc, exec, s[10:11]
	s_cbranch_vccz .LBB429_15
.LBB429_19:
	s_and_saveexec_b64 s[8:9], s[0:1]
	s_cbranch_execz .LBB429_21
; %bb.20:
	s_mul_hi_i32 s11, s16, s6
	s_mul_i32 s10, s16, s6
	v_cvt_f16_f32_e32 v2, v16
	v_cvt_f16_f32_e32 v3, v10
	;; [unrolled: 1-line block ×8, first 2 shown]
	s_lshl_b64 s[10:11], s[10:11], 1
	s_add_u32 s36, s18, s10
	s_addc_u32 s7, s19, s11
	s_and_b32 s37, s7, 0xffff
	s_mov_b32 s39, 0x20000
	v_pack_b32_f16 v5, v5, v8
	v_pack_b32_f16 v4, v4, v9
	v_pack_b32_f16 v3, v3, v12
	v_pack_b32_f16 v2, v2, v13
	v_lshlrev_b32_e32 v8, 4, v0
	buffer_store_dwordx4 v[2:5], v8, s[36:39], 0 offen
	;;#ASMSTART
	s_nop 0
	;;#ASMEND
.LBB429_21:
	s_or_b64 exec, exec, s[8:9]
	s_cbranch_execnz .LBB429_16
.LBB429_22:
	v_mov_b32_e32 v2, 0
	s_and_saveexec_b64 s[8:9], s[0:1]
	s_cbranch_execz .LBB429_24
; %bb.23:
	s_load_dwordx2 s[10:11], s[4:5], 0x10
	s_mul_hi_i32 s31, s15, s6
	s_mul_i32 s30, s15, s6
	v_cvt_f16_f32_e32 v2, v16
	v_cvt_f16_f32_e32 v3, v10
	;; [unrolled: 1-line block ×8, first 2 shown]
	s_lshl_b64 s[30:31], s[30:31], 1
	s_waitcnt lgkmcnt(0)
	s_add_u32 s36, s10, s30
	s_addc_u32 s7, s11, s31
	s_mov_b32 s39, 0x20000
	s_and_b32 s37, s7, 0xffff
	v_pack_b32_f16 v5, v5, v8
	v_pack_b32_f16 v4, v4, v9
	;; [unrolled: 1-line block ×4, first 2 shown]
	v_lshlrev_b32_e32 v8, 4, v0
	buffer_store_dwordx4 v[2:5], v8, s[36:39], 0 offen
	;;#ASMSTART
	s_nop 0
	;;#ASMEND
	s_nop 0
	v_mov_b32_e32 v2, 0x2edbe6ff
.LBB429_24:
	s_or_b64 exec, exec, s[8:9]
	s_and_saveexec_b64 s[8:9], s[0:1]
	s_cbranch_execz .LBB429_26
; %bb.25:
	v_and_b32_e32 v3, 0x7fffffff, v16
	v_and_b32_e32 v4, 0x7fffffff, v17
	;;#ASMSTART
	v_max3_f32 v2, v2, v3, v4

	;;#ASMEND
	v_and_b32_e32 v3, 0x7fffffff, v10
	v_and_b32_e32 v4, 0x7fffffff, v11
	;;#ASMSTART
	v_max3_f32 v2, v2, v3, v4

	;;#ASMEND
	v_and_b32_e32 v3, 0x7fffffff, v6
	v_and_b32_e32 v4, 0x7fffffff, v7
	;;#ASMSTART
	v_max3_f32 v2, v2, v3, v4

	;;#ASMEND
	v_and_b32_e32 v3, 0x7fffffff, v32
	v_and_b32_e32 v4, 0x7fffffff, v33
	;;#ASMSTART
	v_max3_f32 v2, v2, v3, v4

	;;#ASMEND
.LBB429_26:
	s_or_b64 exec, exec, s[8:9]
	;;#ASMSTART
	v_max_f32 v3, v2, v2 quad_perm:[1,0,3,2] row_mask:0xf bank_mask:0xf bound_ctrl:1
	;;#ASMEND
	;;#ASMSTART
	v_max_f32 v2, v3, v3 quad_perm:[2,3,0,1] row_mask:0xf bank_mask:0xf bound_ctrl:1
	;;#ASMEND
	v_and_b32_e32 v3, 3, v0
	v_cmp_eq_u32_e32 vcc, 0, v3
	v_cmp_gt_i32_e64 s[8:9], s23, v1
	v_mul_f32_e32 v2, 0x3b124925, v2
	s_and_b64 s[10:11], vcc, s[8:9]
	s_and_saveexec_b64 s[8:9], s[10:11]
	s_cbranch_execz .LBB429_28
; %bb.27:
	s_load_dwordx2 s[10:11], s[4:5], 0x8
	v_lshrrev_b32_e32 v3, 2, v0
	s_mul_hi_i32 s31, s13, s6
	s_mul_i32 s30, s13, s6
	v_mad_i64_i32 v[4:5], s[14:15], s14, v3, 0
	s_lshl_b64 s[14:15], s[30:31], 2
	s_waitcnt lgkmcnt(0)
	s_add_u32 s7, s10, s14
	s_addc_u32 s10, s11, s15
	v_lshlrev_b64 v[4:5], 2, v[4:5]
	v_mov_b32_e32 v3, s10
	v_add_co_u32_e32 v4, vcc, s7, v4
	v_addc_co_u32_e32 v5, vcc, v3, v5, vcc
	global_store_dword v[4:5], v2, off
.LBB429_28:
	s_or_b64 exec, exec, s[8:9]
	;;#ASMSTART
	v_rcp_f32 v2, v2
	;;#ASMEND
	s_and_saveexec_b64 s[14:15], s[0:1]
	s_cbranch_execz .LBB429_30
; %bb.29:
	s_load_dwordx2 s[0:1], s[4:5], 0x0
	s_mul_i32 s8, s12, s6
	v_mov_b32_e32 v3, v2
	;;#ASMSTART
	v_pk_mul_f32 v[4:5], v[16:17], v[2:3]
	;;#ASMEND
	s_mul_hi_i32 s7, s12, s6
	s_waitcnt lgkmcnt(0)
	s_add_u32 s8, s0, s8
	v_mov_b32_e32 v8, 0xc3e00000
	v_mov_b32_e32 v9, 0x43e00000
	;;#ASMSTART
	v_med3_f32 v4, v4, v8, v9
v_med3_f32 v5, v5, v8, v9
v_cvt_pk_fp8_f32 v12, v4, v5
	;;#ASMEND
	s_addc_u32 s0, s1, s7
	;;#ASMSTART
	v_pk_mul_f32 v[4:5], v[10:11], v[2:3]
	;;#ASMEND
	s_and_b32 s9, s0, 0xffff
	;;#ASMSTART
	v_med3_f32 v4, v4, v8, v9
v_med3_f32 v5, v5, v8, v9
v_cvt_pk_fp8_f32 v10, v4, v5
	;;#ASMEND
	s_mov_b32 s0, 0x5040100
	v_perm_b32 v5, v10, v12, s0
	s_movk_i32 s0, 0xff
	v_and_b32_e32 v4, 0xffffff00, v10
	v_and_b32_sdwa v10, v5, s0 dst_sel:DWORD dst_unused:UNUSED_PAD src0_sel:WORD_1 src1_sel:DWORD
	s_mov_b32 s12, 0xffff
	v_or_b32_sdwa v4, v10, v4 dst_sel:WORD_1 dst_unused:UNUSED_PAD src0_sel:DWORD src1_sel:DWORD
	s_add_i32 s1, s23, 3
	v_and_or_b32 v4, v5, s12, v4
	;;#ASMSTART
	v_pk_mul_f32 v[6:7], v[6:7], v[2:3]
	;;#ASMEND
	v_mov_b32_e32 v5, v7
	s_ashr_i32 s7, s1, 31
	;;#ASMSTART
	v_med3_f32 v6, v6, v8, v9
v_med3_f32 v5, v5, v8, v9
v_cvt_pk_fp8_f32 v7, v6, v5
	;;#ASMEND
	;;#ASMSTART
	v_pk_mul_f32 v[2:3], v[32:33], v[2:3]
	;;#ASMEND
	s_lshr_b32 s7, s7, 30
	;;#ASMSTART
	v_med3_f32 v2, v2, v8, v9
v_med3_f32 v3, v3, v8, v9
v_cvt_pk_fp8_f32 v5, v2, v3
	;;#ASMEND
	s_add_i32 s1, s1, s7
	v_lshlrev_b32_e32 v2, 16, v5
	s_and_b32 s10, s1, -4
	s_mov_b32 s11, 0x20000
	v_and_or_b32 v5, v7, s12, v2
	buffer_store_dwordx2 v[4:5], v1, s[8:11], 0 offen
	;;#ASMSTART
	s_nop 0
	;;#ASMEND
.LBB429_30:
	s_or_b64 exec, exec, s[14:15]
	s_cmp_lt_i32 s24, 1
	s_cbranch_scc1 .LBB429_17
.LBB429_31:
	s_load_dword s0, s[4:5], 0x94
	s_waitcnt lgkmcnt(0)
	s_cmp_lg_u32 s0, 1
	s_cbranch_scc1 .LBB429_17
; %bb.32:
	s_lshl_b32 s0, s24, 1
	s_add_i32 s0, s0, 2
	v_cmp_gt_u32_e32 vcc, s24, v1
	s_and_b32 s30, s0, -4
	v_mov_b32_e32 v10, 0
	v_lshlrev_b32_e32 v1, 4, v0
	v_mov_b32_e32 v6, 0
	v_mov_b32_e32 v7, 0
	;; [unrolled: 1-line block ×8, first 2 shown]
	s_barrier
	s_and_saveexec_b64 s[0:1], vcc
	s_cbranch_execz .LBB429_34
; %bb.33:
	s_mul_hi_i32 s5, s26, s6
	s_mul_i32 s4, s26, s6
	s_and_b32 s29, s29, 0xffff
	s_lshl_b64 s[4:5], s[4:5], 1
	s_add_u32 s8, s34, s4
	s_mov_b32 s31, 0x20000
	s_addc_u32 s4, s35, s5
	s_and_b32 s9, s4, 0xffff
	s_mov_b32 s10, s30
	s_mov_b32 s11, s31
	buffer_load_dwordx4 v[6:9], v1, s[8:11], 0 offen glc slc
	buffer_load_dwordx4 v[2:5], v1, s[28:31], 0 offen
.LBB429_34:
	s_or_b64 exec, exec, s[0:1]
	v_mov_b32_e32 v11, 0
	v_mov_b32_e32 v16, 0
	;; [unrolled: 1-line block ×7, first 2 shown]
	s_and_saveexec_b64 s[0:1], vcc
	s_cbranch_execz .LBB429_36
; %bb.35:
	s_waitcnt vmcnt(1)
	v_cvt_f32_f16_sdwa v11, v6 dst_sel:DWORD dst_unused:UNUSED_PAD src0_sel:WORD_1
	v_cvt_f32_f16_e32 v10, v6
	v_cvt_f32_f16_sdwa v17, v7 dst_sel:DWORD dst_unused:UNUSED_PAD src0_sel:WORD_1
	v_cvt_f32_f16_e32 v16, v7
	;; [unrolled: 2-line block ×4, first 2 shown]
.LBB429_36:
	s_or_b64 exec, exec, s[0:1]
	s_waitcnt vmcnt(1)
	v_mul_f32_e32 v6, v11, v11
	v_fmac_f32_e32 v6, v10, v10
	v_fmac_f32_e32 v6, v16, v16
	;; [unrolled: 1-line block ×7, first 2 shown]
	s_nop 1
	v_mov_b32_dpp v7, v6 quad_perm:[1,0,3,2] row_mask:0xf bank_mask:0xf
	v_add_f32_e32 v6, v6, v7
	s_nop 1
	v_mov_b32_dpp v7, v6 quad_perm:[2,3,0,1] row_mask:0xf bank_mask:0xf
	v_add_f32_e32 v6, v6, v7
	s_nop 1
	v_mov_b32_dpp v7, v6 row_half_mirror row_mask:0xf bank_mask:0xf
	v_add_f32_e32 v6, v6, v7
	s_nop 1
	v_mov_b32_dpp v7, v6 row_mirror row_mask:0xf bank_mask:0xf
	v_add_f32_e32 v6, v6, v7
	s_nop 1
	v_mov_b32_dpp v7, v6 row_bcast:15 row_mask:0xf bank_mask:0xf
	v_add_f32_e32 v6, v6, v7
	s_nop 1
	v_mov_b32_dpp v7, v6 row_bcast:31 row_mask:0xf bank_mask:0xf
	s_and_saveexec_b64 s[0:1], s[2:3]
	s_cbranch_execz .LBB429_38
; %bb.37:
	v_lshrrev_b32_e32 v0, 4, v0
	v_add_f32_e32 v6, v6, v7
	v_and_b32_e32 v0, 60, v0
	ds_write_b32 v0, v6
.LBB429_38:
	s_or_b64 exec, exec, s[0:1]
	s_waitcnt lgkmcnt(0)
	s_barrier
	ds_read_b32 v0, v18
	s_waitcnt lgkmcnt(0)
	s_nop 0
	v_mov_b32_dpp v6, v0 quad_perm:[1,0,3,2] row_mask:0xf bank_mask:0xf
	s_and_saveexec_b64 s[0:1], vcc
	s_cbranch_execz .LBB429_17
; %bb.39:
	v_cvt_f32_u32_e32 v7, s24
	v_add_f32_e32 v0, v0, v6
	s_mov_b32 s31, 0x20000
	v_div_scale_f32 v6, s[0:1], v7, v7, v0
	v_rcp_f32_e32 v8, v6
	v_div_scale_f32 v9, vcc, v0, v7, v0
	s_mov_b32 s0, 0x800000
	v_fma_f32 v18, -v6, v8, 1.0
	v_fmac_f32_e32 v8, v18, v8
	v_mul_f32_e32 v18, v9, v8
	v_fma_f32 v19, -v6, v18, v9
	v_fmac_f32_e32 v18, v19, v8
	v_fma_f32 v6, -v6, v18, v9
	v_div_fmas_f32 v6, v6, v8, v18
	v_div_fixup_f32 v0, v6, v7, v0
	v_add_f32_e32 v0, s21, v0
	v_mul_f32_e32 v6, 0x4b800000, v0
	v_cmp_gt_f32_e32 vcc, s0, v0
	v_cndmask_b32_e32 v0, v0, v6, vcc
	v_rsq_f32_e32 v0, v0
	s_waitcnt vmcnt(0)
	v_cvt_f32_f16_sdwa v19, v5 dst_sel:DWORD dst_unused:UNUSED_PAD src0_sel:WORD_1
	v_cvt_f32_f16_e32 v18, v5
	s_mul_hi_i32 s1, s16, s6
	v_mul_f32_e32 v6, 0x45800000, v0
	v_cndmask_b32_e32 v6, v0, v6, vcc
	v_mov_b32_e32 v7, v6
	;;#ASMSTART
	v_pk_mul_f32 v[8:9], v[10:11], v[6:7]
	;;#ASMEND
	;;#ASMSTART
	v_pk_mul_f32 v[10:11], v[16:17], v[6:7]
	;;#ASMEND
	;; [unrolled: 3-line block ×4, first 2 shown]
	v_cvt_f32_f16_sdwa v13, v2 dst_sel:DWORD dst_unused:UNUSED_PAD src0_sel:WORD_1
	v_cvt_f32_f16_e32 v12, v2
	v_cvt_f32_f16_sdwa v17, v3 dst_sel:DWORD dst_unused:UNUSED_PAD src0_sel:WORD_1
	v_cvt_f32_f16_e32 v16, v3
	v_cvt_f32_f16_sdwa v3, v4 dst_sel:DWORD dst_unused:UNUSED_PAD src0_sel:WORD_1
	v_cvt_f32_f16_e32 v2, v4
	;;#ASMSTART
	v_pk_mul_f32 v[4:5], v[8:9], v[12:13]
	;;#ASMEND
	;;#ASMSTART
	v_pk_mul_f32 v[8:9], v[10:11], v[16:17]
	;;#ASMEND
	;; [unrolled: 3-line block ×4, first 2 shown]
	s_mul_i32 s0, s16, s6
	v_cvt_f16_f32_e32 v0, v4
	v_cvt_f16_f32_e32 v4, v5
	;; [unrolled: 1-line block ×8, first 2 shown]
	s_lshl_b64 s[0:1], s[0:1], 1
	s_add_u32 s28, s18, s0
	s_addc_u32 s0, s19, s1
	s_and_b32 s29, s0, 0xffff
	v_pack_b32_f16 v2, v0, v4
	v_pack_b32_f16 v3, v5, v8
	;; [unrolled: 1-line block ×4, first 2 shown]
	buffer_store_dwordx4 v[2:5], v1, s[28:31], 0 offen
	;;#ASMSTART
	s_nop 0
	;;#ASMEND
	s_endpgm
	.section	.rodata,"a",@progbits
	.p2align	6, 0x0
	.amdhsa_kernel _ZN5aiter35fused_qk_rmsnorm_group_quant_kernelIDF16_DB8_Li128ELi8ELi4ELb1ELb1ELb0ELb0ELb0ELb0EEEvPT0_PvPT_S6_S6_PKS5_S8_S8_S8_S8_ffiiiiiiiiiiiii
		.amdhsa_group_segment_fixed_size 16
		.amdhsa_private_segment_fixed_size 0
		.amdhsa_kernarg_size 400
		.amdhsa_user_sgpr_count 6
		.amdhsa_user_sgpr_private_segment_buffer 1
		.amdhsa_user_sgpr_dispatch_ptr 0
		.amdhsa_user_sgpr_queue_ptr 0
		.amdhsa_user_sgpr_kernarg_segment_ptr 1
		.amdhsa_user_sgpr_dispatch_id 0
		.amdhsa_user_sgpr_flat_scratch_init 0
		.amdhsa_user_sgpr_kernarg_preload_length 0
		.amdhsa_user_sgpr_kernarg_preload_offset 0
		.amdhsa_user_sgpr_private_segment_size 0
		.amdhsa_uses_dynamic_stack 0
		.amdhsa_system_sgpr_private_segment_wavefront_offset 0
		.amdhsa_system_sgpr_workgroup_id_x 1
		.amdhsa_system_sgpr_workgroup_id_y 1
		.amdhsa_system_sgpr_workgroup_id_z 0
		.amdhsa_system_sgpr_workgroup_info 0
		.amdhsa_system_vgpr_workitem_id 0
		.amdhsa_next_free_vgpr 34
		.amdhsa_next_free_sgpr 44
		.amdhsa_accum_offset 36
		.amdhsa_reserve_vcc 1
		.amdhsa_reserve_flat_scratch 0
		.amdhsa_float_round_mode_32 0
		.amdhsa_float_round_mode_16_64 0
		.amdhsa_float_denorm_mode_32 3
		.amdhsa_float_denorm_mode_16_64 3
		.amdhsa_dx10_clamp 1
		.amdhsa_ieee_mode 1
		.amdhsa_fp16_overflow 0
		.amdhsa_tg_split 0
		.amdhsa_exception_fp_ieee_invalid_op 0
		.amdhsa_exception_fp_denorm_src 0
		.amdhsa_exception_fp_ieee_div_zero 0
		.amdhsa_exception_fp_ieee_overflow 0
		.amdhsa_exception_fp_ieee_underflow 0
		.amdhsa_exception_fp_ieee_inexact 0
		.amdhsa_exception_int_div_zero 0
	.end_amdhsa_kernel
	.section	.text._ZN5aiter35fused_qk_rmsnorm_group_quant_kernelIDF16_DB8_Li128ELi8ELi4ELb1ELb1ELb0ELb0ELb0ELb0EEEvPT0_PvPT_S6_S6_PKS5_S8_S8_S8_S8_ffiiiiiiiiiiiii,"axG",@progbits,_ZN5aiter35fused_qk_rmsnorm_group_quant_kernelIDF16_DB8_Li128ELi8ELi4ELb1ELb1ELb0ELb0ELb0ELb0EEEvPT0_PvPT_S6_S6_PKS5_S8_S8_S8_S8_ffiiiiiiiiiiiii,comdat
.Lfunc_end429:
	.size	_ZN5aiter35fused_qk_rmsnorm_group_quant_kernelIDF16_DB8_Li128ELi8ELi4ELb1ELb1ELb0ELb0ELb0ELb0EEEvPT0_PvPT_S6_S6_PKS5_S8_S8_S8_S8_ffiiiiiiiiiiiii, .Lfunc_end429-_ZN5aiter35fused_qk_rmsnorm_group_quant_kernelIDF16_DB8_Li128ELi8ELi4ELb1ELb1ELb0ELb0ELb0ELb0EEEvPT0_PvPT_S6_S6_PKS5_S8_S8_S8_S8_ffiiiiiiiiiiiii
                                        ; -- End function
	.section	.AMDGPU.csdata,"",@progbits
; Kernel info:
; codeLenInByte = 2956
; NumSgprs: 48
; NumVgprs: 34
; NumAgprs: 0
; TotalNumVgprs: 34
; ScratchSize: 0
; MemoryBound: 0
; FloatMode: 240
; IeeeMode: 1
; LDSByteSize: 16 bytes/workgroup (compile time only)
; SGPRBlocks: 5
; VGPRBlocks: 4
; NumSGPRsForWavesPerEU: 48
; NumVGPRsForWavesPerEU: 34
; AccumOffset: 36
; Occupancy: 8
; WaveLimiterHint : 0
; COMPUTE_PGM_RSRC2:SCRATCH_EN: 0
; COMPUTE_PGM_RSRC2:USER_SGPR: 6
; COMPUTE_PGM_RSRC2:TRAP_HANDLER: 0
; COMPUTE_PGM_RSRC2:TGID_X_EN: 1
; COMPUTE_PGM_RSRC2:TGID_Y_EN: 1
; COMPUTE_PGM_RSRC2:TGID_Z_EN: 0
; COMPUTE_PGM_RSRC2:TIDIG_COMP_CNT: 0
; COMPUTE_PGM_RSRC3_GFX90A:ACCUM_OFFSET: 8
; COMPUTE_PGM_RSRC3_GFX90A:TG_SPLIT: 0
	.section	.text._ZN5aiter35fused_qk_rmsnorm_group_quant_kernelItDB8_Li128ELi8ELi4ELb1ELb1ELb0ELb0ELb0ELb0EEEvPT0_PvPT_S6_S6_PKS5_S8_S8_S8_S8_ffiiiiiiiiiiiii,"axG",@progbits,_ZN5aiter35fused_qk_rmsnorm_group_quant_kernelItDB8_Li128ELi8ELi4ELb1ELb1ELb0ELb0ELb0ELb0EEEvPT0_PvPT_S6_S6_PKS5_S8_S8_S8_S8_ffiiiiiiiiiiiii,comdat
	.protected	_ZN5aiter35fused_qk_rmsnorm_group_quant_kernelItDB8_Li128ELi8ELi4ELb1ELb1ELb0ELb0ELb0ELb0EEEvPT0_PvPT_S6_S6_PKS5_S8_S8_S8_S8_ffiiiiiiiiiiiii ; -- Begin function _ZN5aiter35fused_qk_rmsnorm_group_quant_kernelItDB8_Li128ELi8ELi4ELb1ELb1ELb0ELb0ELb0ELb0EEEvPT0_PvPT_S6_S6_PKS5_S8_S8_S8_S8_ffiiiiiiiiiiiii
	.globl	_ZN5aiter35fused_qk_rmsnorm_group_quant_kernelItDB8_Li128ELi8ELi4ELb1ELb1ELb0ELb0ELb0ELb0EEEvPT0_PvPT_S6_S6_PKS5_S8_S8_S8_S8_ffiiiiiiiiiiiii
	.p2align	8
	.type	_ZN5aiter35fused_qk_rmsnorm_group_quant_kernelItDB8_Li128ELi8ELi4ELb1ELb1ELb0ELb0ELb0ELb0EEEvPT0_PvPT_S6_S6_PKS5_S8_S8_S8_S8_ffiiiiiiiiiiiii,@function
_ZN5aiter35fused_qk_rmsnorm_group_quant_kernelItDB8_Li128ELi8ELi4ELb1ELb1ELb0ELb0ELb0ELb0EEEvPT0_PvPT_S6_S6_PKS5_S8_S8_S8_S8_ffiiiiiiiiiiiii: ; @_ZN5aiter35fused_qk_rmsnorm_group_quant_kernelItDB8_Li128ELi8ELi4ELb1ELb1ELb0ELb0ELb0ELb0EEEvPT0_PvPT_S6_S6_PKS5_S8_S8_S8_S8_ffiiiiiiiiiiiii
; %bb.0:
	s_load_dwordx8 s[20:27], s[4:5], 0x50
	s_waitcnt lgkmcnt(0)
	s_cmp_ge_i32 s6, s22
	s_cbranch_scc1 .LBB430_17
; %bb.1:
	s_cmp_lg_u32 s7, 0
	s_cselect_b64 s[10:11], -1, 0
	s_cmp_eq_u32 s7, 0
	s_cselect_b64 s[8:9], -1, 0
	s_and_b64 s[0:1], s[8:9], exec
	s_load_dwordx2 s[28:29], s[4:5], 0x48
	s_load_dwordx2 s[34:35], s[4:5], 0x30
	s_load_dwordx8 s[12:19], s[4:5], 0x70
	s_cselect_b32 s7, s23, s24
	s_add_i32 s0, s7, 1
	s_lshr_b32 s1, s0, 31
	s_add_i32 s0, s0, s1
	s_lshl_b32 s0, s0, 1
	v_lshlrev_b32_e32 v1, 3, v0
	s_and_b32 s38, s0, -4
	v_cmp_gt_i32_e64 s[0:1], s7, v1
	v_mov_b32_e32 v10, 0
	v_mov_b32_e32 v11, 0
	;; [unrolled: 1-line block ×8, first 2 shown]
	s_and_saveexec_b64 s[2:3], s[0:1]
	s_cbranch_execz .LBB430_3
; %bb.2:
	s_waitcnt lgkmcnt(0)
	s_load_dwordx2 s[18:19], s[4:5], 0x28
	s_load_dwordx2 s[30:31], s[4:5], 0x40
	s_and_b64 s[36:37], s[8:9], exec
	s_cselect_b32 s22, s25, s26
	s_mov_b32 s39, 0x20000
	s_waitcnt lgkmcnt(0)
	s_cselect_b32 s25, s19, s35
	s_cselect_b32 s33, s18, s34
	s_mul_hi_i32 s19, s22, s6
	s_mul_i32 s18, s22, s6
	s_lshl_b64 s[18:19], s[18:19], 1
	s_add_u32 s40, s33, s18
	s_addc_u32 s22, s25, s19
	s_and_b64 s[18:19], s[8:9], exec
	s_cselect_b32 s36, s30, s28
	s_cselect_b32 s18, s31, s29
	v_lshlrev_b32_e32 v2, 4, v0
	s_and_b32 s41, s22, 0xffff
	s_mov_b32 s42, s38
	s_mov_b32 s43, s39
	s_and_b32 s37, s18, 0xffff
	buffer_load_dwordx4 v[14:17], v2, s[40:43], 0 offen glc slc
	buffer_load_dwordx4 v[10:13], v2, s[36:39], 0 offen
.LBB430_3:
	s_or_b64 exec, exec, s[2:3]
	s_and_b64 vcc, exec, s[10:11]
	s_cbranch_vccz .LBB430_7
; %bb.4:
	s_mov_b32 s40, 0
	s_mov_b32 s41, s40
	;; [unrolled: 1-line block ×8, first 2 shown]
	v_pk_mov_b32 v[2:3], s[40:41], s[40:41] op_sel:[0,1]
	v_pk_mov_b32 v[4:5], s[42:43], s[42:43] op_sel:[0,1]
	;; [unrolled: 1-line block ×4, first 2 shown]
	s_and_saveexec_b64 s[2:3], s[0:1]
	s_cbranch_execz .LBB430_6
; %bb.5:
	s_waitcnt vmcnt(1)
	v_cvt_f32_u32_sdwa v3, v14 dst_sel:DWORD dst_unused:UNUSED_PAD src0_sel:WORD_1
	v_cvt_f32_u32_sdwa v2, v14 dst_sel:DWORD dst_unused:UNUSED_PAD src0_sel:WORD_0
	v_cvt_f32_u32_sdwa v5, v15 dst_sel:DWORD dst_unused:UNUSED_PAD src0_sel:WORD_1
	v_cvt_f32_u32_sdwa v4, v15 dst_sel:DWORD dst_unused:UNUSED_PAD src0_sel:WORD_0
	;; [unrolled: 2-line block ×4, first 2 shown]
.LBB430_6:
	s_or_b64 exec, exec, s[2:3]
	s_cbranch_execz .LBB430_8
	s_branch .LBB430_11
.LBB430_7:
                                        ; implicit-def: $vgpr2_vgpr3_vgpr4_vgpr5_vgpr6_vgpr7_vgpr8_vgpr9
.LBB430_8:
	s_mov_b32 s40, 0
	s_mov_b32 s41, s40
	;; [unrolled: 1-line block ×8, first 2 shown]
	v_pk_mov_b32 v[2:3], s[40:41], s[40:41] op_sel:[0,1]
	v_pk_mov_b32 v[4:5], s[42:43], s[42:43] op_sel:[0,1]
	;; [unrolled: 1-line block ×4, first 2 shown]
	s_and_saveexec_b64 s[2:3], s[0:1]
	s_cbranch_execz .LBB430_10
; %bb.9:
	s_waitcnt lgkmcnt(0)
	s_load_dwordx2 s[18:19], s[4:5], 0x38
	s_mul_hi_i32 s31, s27, s6
	s_mul_i32 s30, s27, s6
	s_lshl_b64 s[30:31], s[30:31], 1
	s_mov_b32 s39, 0x20000
	s_waitcnt lgkmcnt(0)
	s_add_u32 s36, s18, s30
	s_addc_u32 s18, s19, s31
	s_and_b32 s37, s18, 0xffff
	v_lshlrev_b32_e32 v26, 4, v0
	buffer_load_dwordx4 v[2:5], v26, s[36:39], 0 offen glc slc
	s_load_dwordx2 s[18:19], s[4:5], 0x20
	s_waitcnt vmcnt(2)
	v_cvt_f32_u32_sdwa v7, v14 dst_sel:DWORD dst_unused:UNUSED_PAD src0_sel:WORD_1
	v_cvt_f32_u32_sdwa v6, v14 dst_sel:DWORD dst_unused:UNUSED_PAD src0_sel:WORD_0
	v_cvt_f32_u32_sdwa v9, v15 dst_sel:DWORD dst_unused:UNUSED_PAD src0_sel:WORD_1
	v_cvt_f32_u32_sdwa v8, v15 dst_sel:DWORD dst_unused:UNUSED_PAD src0_sel:WORD_0
	;; [unrolled: 2-line block ×4, first 2 shown]
	s_mul_hi_i32 s31, s17, s6
	s_mul_i32 s30, s17, s6
	s_lshl_b64 s[30:31], s[30:31], 1
	s_waitcnt lgkmcnt(0)
	s_add_u32 s36, s18, s30
	s_mov_b32 s17, 0x7060302
	s_addc_u32 s18, s19, s31
	s_and_b32 s37, s18, 0xffff
	s_waitcnt vmcnt(0)
	v_cvt_f32_u32_sdwa v17, v2 dst_sel:DWORD dst_unused:UNUSED_PAD src0_sel:WORD_1
	v_cvt_f32_u32_sdwa v16, v2 dst_sel:DWORD dst_unused:UNUSED_PAD src0_sel:WORD_0
	v_cvt_f32_u32_sdwa v21, v3 dst_sel:DWORD dst_unused:UNUSED_PAD src0_sel:WORD_1
	v_cvt_f32_u32_sdwa v20, v3 dst_sel:DWORD dst_unused:UNUSED_PAD src0_sel:WORD_0
	;; [unrolled: 2-line block ×4, first 2 shown]
	v_pk_add_f32 v[2:3], v[6:7], v[16:17]
	v_pk_add_f32 v[4:5], v[8:9], v[20:21]
	;; [unrolled: 1-line block ×4, first 2 shown]
	v_perm_b32 v17, v9, v8, s17
	v_perm_b32 v16, v7, v6, s17
	;; [unrolled: 1-line block ×4, first 2 shown]
	buffer_store_dwordx4 v[14:17], v26, s[36:39], 0 offen glc slc
	;;#ASMSTART
	s_nop 0
	;;#ASMEND
.LBB430_10:
	s_or_b64 exec, exec, s[2:3]
.LBB430_11:
	s_waitcnt vmcnt(1)
	v_mul_f32_e32 v14, v3, v3
	v_fmac_f32_e32 v14, v2, v2
	v_fmac_f32_e32 v14, v4, v4
	;; [unrolled: 1-line block ×7, first 2 shown]
	v_and_b32_e32 v16, 63, v0
	v_cmp_eq_u32_e64 s[2:3], 63, v16
	v_mov_b32_dpp v15, v14 quad_perm:[1,0,3,2] row_mask:0xf bank_mask:0xf
	v_add_f32_e32 v14, v14, v15
	s_nop 1
	v_mov_b32_dpp v15, v14 quad_perm:[2,3,0,1] row_mask:0xf bank_mask:0xf
	v_add_f32_e32 v14, v14, v15
	s_nop 1
	v_mov_b32_dpp v15, v14 row_half_mirror row_mask:0xf bank_mask:0xf
	v_add_f32_e32 v14, v14, v15
	s_nop 1
	v_mov_b32_dpp v15, v14 row_mirror row_mask:0xf bank_mask:0xf
	v_add_f32_e32 v14, v14, v15
	s_nop 1
	v_mov_b32_dpp v15, v14 row_bcast:15 row_mask:0xf bank_mask:0xf
	v_add_f32_e32 v14, v14, v15
	s_nop 1
	v_mov_b32_dpp v15, v14 row_bcast:31 row_mask:0xf bank_mask:0xf
	s_waitcnt lgkmcnt(0)
	s_and_saveexec_b64 s[18:19], s[2:3]
	s_cbranch_execz .LBB430_13
; %bb.12:
	v_add_f32_e32 v14, v14, v15
	v_lshrrev_b32_e32 v15, 4, v0
	v_and_b32_e32 v15, 60, v15
	ds_write_b32 v15, v14 offset:8
.LBB430_13:
	s_or_b64 exec, exec, s[18:19]
	v_and_b32_e32 v14, 1, v0
	v_lshlrev_b32_e32 v14, 2, v14
	s_waitcnt lgkmcnt(0)
	s_barrier
	ds_read_b32 v15, v14 offset:8
	s_load_dwordx2 s[18:19], s[4:5], 0x18
	s_waitcnt lgkmcnt(0)
	v_mov_b32_dpp v16, v15 quad_perm:[1,0,3,2] row_mask:0xf bank_mask:0xf
	s_and_saveexec_b64 s[30:31], s[0:1]
	s_cbranch_execnz .LBB430_18
; %bb.14:
	s_or_b64 exec, exec, s[30:31]
	s_mov_b64 s[8:9], -1
	s_and_b64 vcc, exec, s[10:11]
	s_cbranch_vccnz .LBB430_19
.LBB430_15:
	s_andn2_b64 vcc, exec, s[8:9]
	s_cbranch_vccz .LBB430_22
.LBB430_16:
	s_cmp_lt_i32 s24, 1
	s_cbranch_scc0 .LBB430_31
.LBB430_17:
	s_endpgm
.LBB430_18:
	v_cvt_f32_u32_e32 v17, s7
	v_add_f32_e32 v15, v15, v16
	v_mov_b32_e32 v19, s21
	v_mov_b32_e32 v20, s20
	v_div_scale_f32 v16, s[36:37], v17, v17, v15
	v_rcp_f32_e32 v18, v16
	v_cndmask_b32_e64 v19, v19, v20, s[8:9]
	s_mov_b32 s7, 0x800000
	v_fma_f32 v20, -v16, v18, 1.0
	v_fmac_f32_e32 v18, v20, v18
	v_div_scale_f32 v20, vcc, v15, v17, v15
	v_mul_f32_e32 v21, v20, v18
	v_fma_f32 v22, -v16, v21, v20
	v_fmac_f32_e32 v21, v22, v18
	v_fma_f32 v16, -v16, v21, v20
	v_div_fmas_f32 v16, v16, v18, v21
	v_div_fixup_f32 v15, v16, v17, v15
	v_add_f32_e32 v15, v19, v15
	v_mul_f32_e32 v16, 0x4b800000, v15
	v_cmp_gt_f32_e32 vcc, s7, v15
	v_cndmask_b32_e32 v15, v15, v16, vcc
	v_rsq_f32_e32 v15, v15
	s_waitcnt vmcnt(0)
	v_cvt_f32_u32_sdwa v19, v11 dst_sel:DWORD dst_unused:UNUSED_PAD src0_sel:WORD_1
	v_cvt_f32_u32_sdwa v18, v11 dst_sel:DWORD dst_unused:UNUSED_PAD src0_sel:WORD_0
	v_cvt_f32_u32_sdwa v11, v12 dst_sel:DWORD dst_unused:UNUSED_PAD src0_sel:WORD_1
	v_mul_f32_e32 v16, 0x45800000, v15
	v_cndmask_b32_e32 v16, v15, v16, vcc
	v_mov_b32_e32 v17, v16
	;;#ASMSTART
	v_pk_mul_f32 v[2:3], v[2:3], v[16:17]
	;;#ASMEND
	;;#ASMSTART
	v_pk_mul_f32 v[4:5], v[4:5], v[16:17]
	;;#ASMEND
	;;#ASMSTART
	v_pk_mul_f32 v[6:7], v[6:7], v[16:17]
	;;#ASMEND
	;;#ASMSTART
	v_pk_mul_f32 v[8:9], v[8:9], v[16:17]
	;;#ASMEND
	v_cvt_f32_u32_sdwa v17, v10 dst_sel:DWORD dst_unused:UNUSED_PAD src0_sel:WORD_1
	v_cvt_f32_u32_sdwa v16, v10 dst_sel:DWORD dst_unused:UNUSED_PAD src0_sel:WORD_0
	v_cvt_f32_u32_sdwa v10, v12 dst_sel:DWORD dst_unused:UNUSED_PAD src0_sel:WORD_0
	v_cvt_f32_u32_sdwa v21, v13 dst_sel:DWORD dst_unused:UNUSED_PAD src0_sel:WORD_1
	v_cvt_f32_u32_sdwa v20, v13 dst_sel:DWORD dst_unused:UNUSED_PAD src0_sel:WORD_0
	;;#ASMSTART
	v_pk_mul_f32 v[2:3], v[2:3], v[16:17]
	;;#ASMEND
	;;#ASMSTART
	v_pk_mul_f32 v[4:5], v[4:5], v[18:19]
	;;#ASMEND
	;; [unrolled: 3-line block ×4, first 2 shown]
	s_or_b64 exec, exec, s[30:31]
	s_mov_b64 s[8:9], -1
	s_and_b64 vcc, exec, s[10:11]
	s_cbranch_vccz .LBB430_15
.LBB430_19:
	s_and_saveexec_b64 s[8:9], s[0:1]
	s_cbranch_execz .LBB430_21
; %bb.20:
	s_mul_hi_i32 s11, s16, s6
	s_mul_i32 s10, s16, s6
	s_lshl_b64 s[10:11], s[10:11], 1
	s_add_u32 s36, s18, s10
	s_addc_u32 s7, s19, s11
	s_and_b32 s37, s7, 0xffff
	s_mov_b32 s7, 0x7060302
	s_mov_b32 s39, 0x20000
	s_waitcnt vmcnt(0)
	v_perm_b32 v10, v3, v2, s7
	v_perm_b32 v11, v5, v4, s7
	;; [unrolled: 1-line block ×4, first 2 shown]
	v_lshlrev_b32_e32 v15, 4, v0
	buffer_store_dwordx4 v[10:13], v15, s[36:39], 0 offen
	;;#ASMSTART
	s_nop 0
	;;#ASMEND
.LBB430_21:
	s_or_b64 exec, exec, s[8:9]
	s_cbranch_execnz .LBB430_16
.LBB430_22:
	s_waitcnt vmcnt(0)
	v_mov_b32_e32 v10, 0
	s_and_saveexec_b64 s[8:9], s[0:1]
	s_cbranch_execz .LBB430_24
; %bb.23:
	s_load_dwordx2 s[10:11], s[4:5], 0x10
	s_mul_hi_i32 s31, s15, s6
	s_mul_i32 s30, s15, s6
	s_lshl_b64 s[30:31], s[30:31], 1
	s_mov_b32 s39, 0x20000
	s_waitcnt lgkmcnt(0)
	s_add_u32 s36, s10, s30
	s_addc_u32 s7, s11, s31
	s_and_b32 s37, s7, 0xffff
	s_mov_b32 s7, 0x7060302
	v_perm_b32 v10, v3, v2, s7
	v_perm_b32 v11, v5, v4, s7
	;; [unrolled: 1-line block ×4, first 2 shown]
	v_lshlrev_b32_e32 v15, 4, v0
	buffer_store_dwordx4 v[10:13], v15, s[36:39], 0 offen
	;;#ASMSTART
	s_nop 0
	;;#ASMEND
	s_nop 0
	v_mov_b32_e32 v10, 0x2edbe6ff
.LBB430_24:
	s_or_b64 exec, exec, s[8:9]
	s_and_saveexec_b64 s[8:9], s[0:1]
	s_cbranch_execz .LBB430_26
; %bb.25:
	v_and_b32_e32 v11, 0x7fffffff, v2
	v_and_b32_e32 v12, 0x7fffffff, v3
	;;#ASMSTART
	v_max3_f32 v10, v10, v11, v12

	;;#ASMEND
	v_and_b32_e32 v11, 0x7fffffff, v4
	v_and_b32_e32 v12, 0x7fffffff, v5
	;;#ASMSTART
	v_max3_f32 v10, v10, v11, v12

	;;#ASMEND
	;; [unrolled: 6-line block ×4, first 2 shown]
.LBB430_26:
	s_or_b64 exec, exec, s[8:9]
	;;#ASMSTART
	v_max_f32 v11, v10, v10 quad_perm:[1,0,3,2] row_mask:0xf bank_mask:0xf bound_ctrl:1
	;;#ASMEND
	;;#ASMSTART
	v_max_f32 v10, v11, v11 quad_perm:[2,3,0,1] row_mask:0xf bank_mask:0xf bound_ctrl:1
	;;#ASMEND
	v_and_b32_e32 v11, 3, v0
	v_cmp_eq_u32_e32 vcc, 0, v11
	v_cmp_gt_i32_e64 s[8:9], s23, v1
	v_mul_f32_e32 v10, 0x3b124925, v10
	s_and_b64 s[10:11], vcc, s[8:9]
	s_and_saveexec_b64 s[8:9], s[10:11]
	s_cbranch_execz .LBB430_28
; %bb.27:
	s_load_dwordx2 s[10:11], s[4:5], 0x8
	v_lshrrev_b32_e32 v11, 2, v0
	s_mul_hi_i32 s31, s13, s6
	s_mul_i32 s30, s13, s6
	v_mad_i64_i32 v[12:13], s[14:15], s14, v11, 0
	s_lshl_b64 s[14:15], s[30:31], 2
	s_waitcnt lgkmcnt(0)
	s_add_u32 s7, s10, s14
	s_addc_u32 s10, s11, s15
	v_lshlrev_b64 v[12:13], 2, v[12:13]
	v_mov_b32_e32 v11, s10
	v_add_co_u32_e32 v12, vcc, s7, v12
	v_addc_co_u32_e32 v13, vcc, v11, v13, vcc
	global_store_dword v[12:13], v10, off
.LBB430_28:
	s_or_b64 exec, exec, s[8:9]
	;;#ASMSTART
	v_rcp_f32 v10, v10
	;;#ASMEND
	s_and_saveexec_b64 s[14:15], s[0:1]
	s_cbranch_execz .LBB430_30
; %bb.29:
	s_load_dwordx2 s[0:1], s[4:5], 0x0
	s_mul_i32 s8, s12, s6
	v_mov_b32_e32 v11, v10
	;;#ASMSTART
	v_pk_mul_f32 v[2:3], v[2:3], v[10:11]
	;;#ASMEND
	s_mul_hi_i32 s7, s12, s6
	s_waitcnt lgkmcnt(0)
	s_add_u32 s8, s0, s8
	v_mov_b32_e32 v12, 0xc3e00000
	v_mov_b32_e32 v13, 0x43e00000
	;;#ASMSTART
	v_med3_f32 v2, v2, v12, v13
v_med3_f32 v3, v3, v12, v13
v_cvt_pk_fp8_f32 v15, v2, v3
	;;#ASMEND
	s_addc_u32 s0, s1, s7
	;;#ASMSTART
	v_pk_mul_f32 v[2:3], v[4:5], v[10:11]
	;;#ASMEND
	s_and_b32 s9, s0, 0xffff
	;;#ASMSTART
	v_med3_f32 v2, v2, v12, v13
v_med3_f32 v3, v3, v12, v13
v_cvt_pk_fp8_f32 v4, v2, v3
	;;#ASMEND
	s_mov_b32 s0, 0x5040100
	v_perm_b32 v3, v4, v15, s0
	s_movk_i32 s0, 0xff
	v_and_b32_e32 v2, 0xffffff00, v4
	v_and_b32_sdwa v4, v3, s0 dst_sel:DWORD dst_unused:UNUSED_PAD src0_sel:WORD_1 src1_sel:DWORD
	s_mov_b32 s12, 0xffff
	v_or_b32_sdwa v2, v4, v2 dst_sel:WORD_1 dst_unused:UNUSED_PAD src0_sel:DWORD src1_sel:DWORD
	v_and_or_b32 v2, v3, s12, v2
	;;#ASMSTART
	v_pk_mul_f32 v[4:5], v[6:7], v[10:11]
	;;#ASMEND
	v_mov_b32_e32 v3, v5
	s_add_i32 s1, s23, 3
	;;#ASMSTART
	v_med3_f32 v4, v4, v12, v13
v_med3_f32 v3, v3, v12, v13
v_cvt_pk_fp8_f32 v6, v4, v3
	;;#ASMEND
	s_ashr_i32 s7, s1, 31
	;;#ASMSTART
	v_pk_mul_f32 v[4:5], v[8:9], v[10:11]
	;;#ASMEND
	v_mov_b32_e32 v3, v5
	s_lshr_b32 s7, s7, 30
	;;#ASMSTART
	v_med3_f32 v4, v4, v12, v13
v_med3_f32 v3, v3, v12, v13
v_cvt_pk_fp8_f32 v5, v4, v3
	;;#ASMEND
	s_add_i32 s1, s1, s7
	v_lshlrev_b32_e32 v3, 16, v5
	s_and_b32 s10, s1, -4
	s_mov_b32 s11, 0x20000
	v_and_or_b32 v3, v6, s12, v3
	buffer_store_dwordx2 v[2:3], v1, s[8:11], 0 offen
	;;#ASMSTART
	s_nop 0
	;;#ASMEND
.LBB430_30:
	s_or_b64 exec, exec, s[14:15]
	s_cmp_lt_i32 s24, 1
	s_cbranch_scc1 .LBB430_17
.LBB430_31:
	s_load_dword s0, s[4:5], 0x94
	s_waitcnt lgkmcnt(0)
	s_cmp_lg_u32 s0, 1
	s_cbranch_scc1 .LBB430_17
; %bb.32:
	s_lshl_b32 s0, s24, 1
	s_add_i32 s0, s0, 2
	v_cmp_gt_u32_e32 vcc, s24, v1
	s_and_b32 s30, s0, -4
	v_mov_b32_e32 v6, 0
	v_lshlrev_b32_e32 v1, 4, v0
	v_mov_b32_e32 v7, 0
	v_mov_b32_e32 v8, 0
	;; [unrolled: 1-line block ×7, first 2 shown]
	s_barrier
	s_and_saveexec_b64 s[0:1], vcc
	s_cbranch_execz .LBB430_34
; %bb.33:
	s_mul_hi_i32 s5, s26, s6
	s_mul_i32 s4, s26, s6
	s_and_b32 s29, s29, 0xffff
	s_lshl_b64 s[4:5], s[4:5], 1
	s_add_u32 s8, s34, s4
	s_mov_b32 s31, 0x20000
	s_addc_u32 s4, s35, s5
	s_and_b32 s9, s4, 0xffff
	s_mov_b32 s10, s30
	s_mov_b32 s11, s31
	buffer_load_dwordx4 v[6:9], v1, s[8:11], 0 offen glc slc
	buffer_load_dwordx4 v[2:5], v1, s[28:31], 0 offen
.LBB430_34:
	s_or_b64 exec, exec, s[0:1]
	s_waitcnt vmcnt(0)
	v_cvt_f32_u32_sdwa v13, v6 dst_sel:DWORD dst_unused:UNUSED_PAD src0_sel:WORD_1
	v_cvt_f32_u32_sdwa v12, v6 dst_sel:DWORD dst_unused:UNUSED_PAD src0_sel:WORD_0
	v_cvt_f32_u32_sdwa v6, v9 dst_sel:DWORD dst_unused:UNUSED_PAD src0_sel:WORD_1
	v_cvt_f32_u32_sdwa v9, v9 dst_sel:DWORD dst_unused:UNUSED_PAD src0_sel:WORD_0
	;; [unrolled: 2-line block ×4, first 2 shown]
	v_cndmask_b32_e32 v13, 0, v13, vcc
	v_cndmask_b32_e32 v7, 0, v6, vcc
	;; [unrolled: 1-line block ×5, first 2 shown]
	v_mul_f32_e32 v15, v13, v13
	v_cndmask_b32_e32 v10, 0, v10, vcc
	v_fmac_f32_e32 v15, v12, v12
	v_cndmask_b32_e32 v11, 0, v11, vcc
	v_fmac_f32_e32 v15, v10, v10
	;; [unrolled: 2-line block ×3, first 2 shown]
	v_fmac_f32_e32 v15, v8, v8
	v_fmac_f32_e32 v15, v9, v9
	;; [unrolled: 1-line block ×4, first 2 shown]
	s_nop 1
	v_mov_b32_dpp v16, v15 quad_perm:[1,0,3,2] row_mask:0xf bank_mask:0xf
	v_add_f32_e32 v15, v15, v16
	s_nop 1
	v_mov_b32_dpp v16, v15 quad_perm:[2,3,0,1] row_mask:0xf bank_mask:0xf
	v_add_f32_e32 v15, v15, v16
	s_nop 1
	v_mov_b32_dpp v16, v15 row_half_mirror row_mask:0xf bank_mask:0xf
	v_add_f32_e32 v15, v15, v16
	s_nop 1
	v_mov_b32_dpp v16, v15 row_mirror row_mask:0xf bank_mask:0xf
	v_add_f32_e32 v15, v15, v16
	s_nop 1
	v_mov_b32_dpp v16, v15 row_bcast:15 row_mask:0xf bank_mask:0xf
	v_add_f32_e32 v15, v15, v16
	s_nop 1
	v_mov_b32_dpp v16, v15 row_bcast:31 row_mask:0xf bank_mask:0xf
	s_and_saveexec_b64 s[0:1], s[2:3]
	s_cbranch_execz .LBB430_36
; %bb.35:
	v_lshrrev_b32_e32 v0, 4, v0
	v_add_f32_e32 v15, v15, v16
	v_and_b32_e32 v0, 60, v0
	ds_write_b32 v0, v15
.LBB430_36:
	s_or_b64 exec, exec, s[0:1]
	s_waitcnt lgkmcnt(0)
	s_barrier
	ds_read_b32 v0, v14
	s_waitcnt lgkmcnt(0)
	s_nop 0
	v_mov_b32_dpp v14, v0 quad_perm:[1,0,3,2] row_mask:0xf bank_mask:0xf
	s_and_saveexec_b64 s[0:1], vcc
	s_cbranch_execz .LBB430_17
; %bb.37:
	v_cvt_f32_u32_e32 v15, s24
	v_add_f32_e32 v0, v0, v14
	s_mov_b32 s31, 0x20000
	v_div_scale_f32 v14, s[0:1], v15, v15, v0
	v_rcp_f32_e32 v16, v14
	v_div_scale_f32 v17, vcc, v0, v15, v0
	s_mov_b32 s0, 0x800000
	v_fma_f32 v18, -v14, v16, 1.0
	v_fmac_f32_e32 v16, v18, v16
	v_mul_f32_e32 v18, v17, v16
	v_fma_f32 v19, -v14, v18, v17
	v_fmac_f32_e32 v18, v19, v16
	v_fma_f32 v14, -v14, v18, v17
	v_div_fmas_f32 v14, v14, v16, v18
	v_div_fixup_f32 v0, v14, v15, v0
	v_add_f32_e32 v0, s21, v0
	v_mul_f32_e32 v14, 0x4b800000, v0
	v_cmp_gt_f32_e32 vcc, s0, v0
	v_cndmask_b32_e32 v0, v0, v14, vcc
	v_rsq_f32_e32 v0, v0
	s_mul_hi_i32 s1, s16, s6
	s_mul_i32 s0, s16, s6
	s_lshl_b64 s[0:1], s[0:1], 1
	v_mul_f32_e32 v14, 0x45800000, v0
	v_cndmask_b32_e32 v14, v0, v14, vcc
	s_add_u32 s28, s18, s0
	v_mov_b32_e32 v15, v14
	s_addc_u32 s0, s19, s1
	;;#ASMSTART
	v_pk_mul_f32 v[12:13], v[12:13], v[14:15]
	;;#ASMEND
	;;#ASMSTART
	v_pk_mul_f32 v[10:11], v[10:11], v[14:15]
	;;#ASMEND
	;; [unrolled: 3-line block ×4, first 2 shown]
	v_cvt_f32_u32_sdwa v15, v2 dst_sel:DWORD dst_unused:UNUSED_PAD src0_sel:WORD_1
	v_cvt_f32_u32_sdwa v14, v2 dst_sel:DWORD dst_unused:UNUSED_PAD src0_sel:WORD_0
	v_cvt_f32_u32_sdwa v17, v3 dst_sel:DWORD dst_unused:UNUSED_PAD src0_sel:WORD_1
	v_cvt_f32_u32_sdwa v16, v3 dst_sel:DWORD dst_unused:UNUSED_PAD src0_sel:WORD_0
	v_cvt_f32_u32_sdwa v3, v4 dst_sel:DWORD dst_unused:UNUSED_PAD src0_sel:WORD_1
	v_cvt_f32_u32_sdwa v2, v4 dst_sel:DWORD dst_unused:UNUSED_PAD src0_sel:WORD_0
	v_cvt_f32_u32_sdwa v19, v5 dst_sel:DWORD dst_unused:UNUSED_PAD src0_sel:WORD_1
	v_cvt_f32_u32_sdwa v18, v5 dst_sel:DWORD dst_unused:UNUSED_PAD src0_sel:WORD_0
	;;#ASMSTART
	v_pk_mul_f32 v[4:5], v[12:13], v[14:15]
	;;#ASMEND
	s_and_b32 s29, s0, 0xffff
	s_mov_b32 s0, 0x7060302
	;;#ASMSTART
	v_pk_mul_f32 v[10:11], v[10:11], v[16:17]
	;;#ASMEND
	;;#ASMSTART
	v_pk_mul_f32 v[8:9], v[8:9], v[2:3]
	;;#ASMEND
	;; [unrolled: 3-line block ×3, first 2 shown]
	v_perm_b32 v2, v5, v4, s0
	v_perm_b32 v3, v11, v10, s0
	;; [unrolled: 1-line block ×4, first 2 shown]
	buffer_store_dwordx4 v[2:5], v1, s[28:31], 0 offen
	;;#ASMSTART
	s_nop 0
	;;#ASMEND
	s_endpgm
	.section	.rodata,"a",@progbits
	.p2align	6, 0x0
	.amdhsa_kernel _ZN5aiter35fused_qk_rmsnorm_group_quant_kernelItDB8_Li128ELi8ELi4ELb1ELb1ELb0ELb0ELb0ELb0EEEvPT0_PvPT_S6_S6_PKS5_S8_S8_S8_S8_ffiiiiiiiiiiiii
		.amdhsa_group_segment_fixed_size 16
		.amdhsa_private_segment_fixed_size 0
		.amdhsa_kernarg_size 400
		.amdhsa_user_sgpr_count 6
		.amdhsa_user_sgpr_private_segment_buffer 1
		.amdhsa_user_sgpr_dispatch_ptr 0
		.amdhsa_user_sgpr_queue_ptr 0
		.amdhsa_user_sgpr_kernarg_segment_ptr 1
		.amdhsa_user_sgpr_dispatch_id 0
		.amdhsa_user_sgpr_flat_scratch_init 0
		.amdhsa_user_sgpr_kernarg_preload_length 0
		.amdhsa_user_sgpr_kernarg_preload_offset 0
		.amdhsa_user_sgpr_private_segment_size 0
		.amdhsa_uses_dynamic_stack 0
		.amdhsa_system_sgpr_private_segment_wavefront_offset 0
		.amdhsa_system_sgpr_workgroup_id_x 1
		.amdhsa_system_sgpr_workgroup_id_y 1
		.amdhsa_system_sgpr_workgroup_id_z 0
		.amdhsa_system_sgpr_workgroup_info 0
		.amdhsa_system_vgpr_workitem_id 0
		.amdhsa_next_free_vgpr 27
		.amdhsa_next_free_sgpr 48
		.amdhsa_accum_offset 28
		.amdhsa_reserve_vcc 1
		.amdhsa_reserve_flat_scratch 0
		.amdhsa_float_round_mode_32 0
		.amdhsa_float_round_mode_16_64 0
		.amdhsa_float_denorm_mode_32 3
		.amdhsa_float_denorm_mode_16_64 3
		.amdhsa_dx10_clamp 1
		.amdhsa_ieee_mode 1
		.amdhsa_fp16_overflow 0
		.amdhsa_tg_split 0
		.amdhsa_exception_fp_ieee_invalid_op 0
		.amdhsa_exception_fp_denorm_src 0
		.amdhsa_exception_fp_ieee_div_zero 0
		.amdhsa_exception_fp_ieee_overflow 0
		.amdhsa_exception_fp_ieee_underflow 0
		.amdhsa_exception_fp_ieee_inexact 0
		.amdhsa_exception_int_div_zero 0
	.end_amdhsa_kernel
	.section	.text._ZN5aiter35fused_qk_rmsnorm_group_quant_kernelItDB8_Li128ELi8ELi4ELb1ELb1ELb0ELb0ELb0ELb0EEEvPT0_PvPT_S6_S6_PKS5_S8_S8_S8_S8_ffiiiiiiiiiiiii,"axG",@progbits,_ZN5aiter35fused_qk_rmsnorm_group_quant_kernelItDB8_Li128ELi8ELi4ELb1ELb1ELb0ELb0ELb0ELb0EEEvPT0_PvPT_S6_S6_PKS5_S8_S8_S8_S8_ffiiiiiiiiiiiii,comdat
.Lfunc_end430:
	.size	_ZN5aiter35fused_qk_rmsnorm_group_quant_kernelItDB8_Li128ELi8ELi4ELb1ELb1ELb0ELb0ELb0ELb0EEEvPT0_PvPT_S6_S6_PKS5_S8_S8_S8_S8_ffiiiiiiiiiiiii, .Lfunc_end430-_ZN5aiter35fused_qk_rmsnorm_group_quant_kernelItDB8_Li128ELi8ELi4ELb1ELb1ELb0ELb0ELb0ELb0EEEvPT0_PvPT_S6_S6_PKS5_S8_S8_S8_S8_ffiiiiiiiiiiiii
                                        ; -- End function
	.section	.AMDGPU.csdata,"",@progbits
; Kernel info:
; codeLenInByte = 3016
; NumSgprs: 52
; NumVgprs: 27
; NumAgprs: 0
; TotalNumVgprs: 27
; ScratchSize: 0
; MemoryBound: 0
; FloatMode: 240
; IeeeMode: 1
; LDSByteSize: 16 bytes/workgroup (compile time only)
; SGPRBlocks: 6
; VGPRBlocks: 3
; NumSGPRsForWavesPerEU: 52
; NumVGPRsForWavesPerEU: 27
; AccumOffset: 28
; Occupancy: 8
; WaveLimiterHint : 0
; COMPUTE_PGM_RSRC2:SCRATCH_EN: 0
; COMPUTE_PGM_RSRC2:USER_SGPR: 6
; COMPUTE_PGM_RSRC2:TRAP_HANDLER: 0
; COMPUTE_PGM_RSRC2:TGID_X_EN: 1
; COMPUTE_PGM_RSRC2:TGID_Y_EN: 1
; COMPUTE_PGM_RSRC2:TGID_Z_EN: 0
; COMPUTE_PGM_RSRC2:TIDIG_COMP_CNT: 0
; COMPUTE_PGM_RSRC3_GFX90A:ACCUM_OFFSET: 6
; COMPUTE_PGM_RSRC3_GFX90A:TG_SPLIT: 0
	.section	.text._ZN5aiter35fused_qk_rmsnorm_group_quant_kernelIDF16_N4opus5fp4_tELi128ELi8ELi4ELb1ELb1ELb0ELb0ELb0ELb0EEEvPT0_PvPT_S7_S7_PKS6_S9_S9_S9_S9_ffiiiiiiiiiiiii,"axG",@progbits,_ZN5aiter35fused_qk_rmsnorm_group_quant_kernelIDF16_N4opus5fp4_tELi128ELi8ELi4ELb1ELb1ELb0ELb0ELb0ELb0EEEvPT0_PvPT_S7_S7_PKS6_S9_S9_S9_S9_ffiiiiiiiiiiiii,comdat
	.protected	_ZN5aiter35fused_qk_rmsnorm_group_quant_kernelIDF16_N4opus5fp4_tELi128ELi8ELi4ELb1ELb1ELb0ELb0ELb0ELb0EEEvPT0_PvPT_S7_S7_PKS6_S9_S9_S9_S9_ffiiiiiiiiiiiii ; -- Begin function _ZN5aiter35fused_qk_rmsnorm_group_quant_kernelIDF16_N4opus5fp4_tELi128ELi8ELi4ELb1ELb1ELb0ELb0ELb0ELb0EEEvPT0_PvPT_S7_S7_PKS6_S9_S9_S9_S9_ffiiiiiiiiiiiii
	.globl	_ZN5aiter35fused_qk_rmsnorm_group_quant_kernelIDF16_N4opus5fp4_tELi128ELi8ELi4ELb1ELb1ELb0ELb0ELb0ELb0EEEvPT0_PvPT_S7_S7_PKS6_S9_S9_S9_S9_ffiiiiiiiiiiiii
	.p2align	8
	.type	_ZN5aiter35fused_qk_rmsnorm_group_quant_kernelIDF16_N4opus5fp4_tELi128ELi8ELi4ELb1ELb1ELb0ELb0ELb0ELb0EEEvPT0_PvPT_S7_S7_PKS6_S9_S9_S9_S9_ffiiiiiiiiiiiii,@function
_ZN5aiter35fused_qk_rmsnorm_group_quant_kernelIDF16_N4opus5fp4_tELi128ELi8ELi4ELb1ELb1ELb0ELb0ELb0ELb0EEEvPT0_PvPT_S7_S7_PKS6_S9_S9_S9_S9_ffiiiiiiiiiiiii: ; @_ZN5aiter35fused_qk_rmsnorm_group_quant_kernelIDF16_N4opus5fp4_tELi128ELi8ELi4ELb1ELb1ELb0ELb0ELb0ELb0EEEvPT0_PvPT_S7_S7_PKS6_S9_S9_S9_S9_ffiiiiiiiiiiiii
; %bb.0:
	s_load_dwordx8 s[20:27], s[4:5], 0x50
	s_waitcnt lgkmcnt(0)
	s_cmp_ge_i32 s6, s22
	s_cbranch_scc1 .LBB431_17
; %bb.1:
	s_cmp_lg_u32 s7, 0
	s_cselect_b64 s[30:31], -1, 0
	s_cmp_eq_u32 s7, 0
	s_cselect_b64 s[8:9], -1, 0
	s_and_b64 s[0:1], s[8:9], exec
	s_load_dwordx2 s[28:29], s[4:5], 0x48
	s_load_dwordx2 s[10:11], s[4:5], 0x30
	s_load_dwordx8 s[12:19], s[4:5], 0x70
	s_cselect_b32 s7, s23, s24
	s_add_i32 s0, s7, 1
	s_lshr_b32 s1, s0, 31
	s_add_i32 s0, s0, s1
	s_lshl_b32 s0, s0, 1
	v_lshlrev_b32_e32 v1, 3, v0
	s_and_b32 s38, s0, -4
	v_cmp_gt_i32_e64 s[0:1], s7, v1
	v_mov_b32_e32 v2, 0
	v_mov_b32_e32 v3, 0
	;; [unrolled: 1-line block ×8, first 2 shown]
	s_and_saveexec_b64 s[2:3], s[0:1]
	s_cbranch_execz .LBB431_3
; %bb.2:
	s_waitcnt lgkmcnt(0)
	s_load_dwordx2 s[18:19], s[4:5], 0x28
	s_load_dwordx2 s[34:35], s[4:5], 0x40
	s_and_b64 s[36:37], s[8:9], exec
	s_cselect_b32 s22, s25, s26
	s_mov_b32 s39, 0x20000
	s_waitcnt lgkmcnt(0)
	s_cselect_b32 s25, s19, s11
	s_cselect_b32 s33, s18, s10
	s_mul_hi_i32 s19, s22, s6
	s_mul_i32 s18, s22, s6
	s_lshl_b64 s[18:19], s[18:19], 1
	s_add_u32 s40, s33, s18
	s_addc_u32 s22, s25, s19
	s_and_b64 s[18:19], s[8:9], exec
	s_cselect_b32 s36, s34, s28
	s_cselect_b32 s18, s35, s29
	v_lshlrev_b32_e32 v10, 4, v0
	s_and_b32 s41, s22, 0xffff
	s_mov_b32 s42, s38
	s_mov_b32 s43, s39
	s_and_b32 s37, s18, 0xffff
	buffer_load_dwordx4 v[6:9], v10, s[40:43], 0 offen glc slc
	buffer_load_dwordx4 v[2:5], v10, s[36:39], 0 offen
.LBB431_3:
	s_or_b64 exec, exec, s[2:3]
	s_and_b64 vcc, exec, s[30:31]
	s_cbranch_vccz .LBB431_7
; %bb.4:
	v_mov_b32_e32 v11, 0
	v_mov_b32_e32 v10, 0
	;; [unrolled: 1-line block ×8, first 2 shown]
	s_and_saveexec_b64 s[2:3], s[0:1]
	s_cbranch_execz .LBB431_6
; %bb.5:
	s_waitcnt vmcnt(1)
	v_cvt_f32_f16_sdwa v17, v6 dst_sel:DWORD dst_unused:UNUSED_PAD src0_sel:WORD_1
	v_cvt_f32_f16_e32 v16, v6
	v_cvt_f32_f16_sdwa v15, v7 dst_sel:DWORD dst_unused:UNUSED_PAD src0_sel:WORD_1
	v_cvt_f32_f16_e32 v14, v7
	;; [unrolled: 2-line block ×4, first 2 shown]
.LBB431_6:
	s_or_b64 exec, exec, s[2:3]
	s_cbranch_execz .LBB431_8
	s_branch .LBB431_11
.LBB431_7:
                                        ; implicit-def: $vgpr11
                                        ; implicit-def: $vgpr13
                                        ; implicit-def: $vgpr15
                                        ; implicit-def: $vgpr17
.LBB431_8:
	v_mov_b32_e32 v11, 0
	v_mov_b32_e32 v10, 0
	;; [unrolled: 1-line block ×8, first 2 shown]
	s_and_saveexec_b64 s[2:3], s[0:1]
	s_cbranch_execz .LBB431_10
; %bb.9:
	s_waitcnt lgkmcnt(0)
	s_load_dwordx2 s[18:19], s[4:5], 0x38
	s_mul_hi_i32 s35, s27, s6
	s_mul_i32 s34, s27, s6
	s_lshl_b64 s[34:35], s[34:35], 1
	s_mov_b32 s39, 0x20000
	s_waitcnt lgkmcnt(0)
	s_add_u32 s36, s18, s34
	s_addc_u32 s18, s19, s35
	s_and_b32 s37, s18, 0xffff
	v_lshlrev_b32_e32 v26, 4, v0
	buffer_load_dwordx4 v[10:13], v26, s[36:39], 0 offen glc slc
	s_waitcnt vmcnt(2)
	v_cvt_f32_f16_sdwa v15, v6 dst_sel:DWORD dst_unused:UNUSED_PAD src0_sel:WORD_1
	v_cvt_f32_f16_e32 v14, v6
	v_cvt_f32_f16_sdwa v19, v7 dst_sel:DWORD dst_unused:UNUSED_PAD src0_sel:WORD_1
	v_cvt_f32_f16_e32 v18, v7
	;; [unrolled: 2-line block ×4, first 2 shown]
	s_load_dwordx2 s[18:19], s[4:5], 0x20
	s_mul_hi_i32 s35, s17, s6
	s_mul_i32 s34, s17, s6
	s_lshl_b64 s[34:35], s[34:35], 1
	s_waitcnt lgkmcnt(0)
	s_add_u32 s36, s18, s34
	s_addc_u32 s17, s19, s35
	s_and_b32 s37, s17, 0xffff
	s_waitcnt vmcnt(0)
	v_cvt_f32_f16_e32 v8, v10
	v_cvt_f32_f16_sdwa v9, v10 dst_sel:DWORD dst_unused:UNUSED_PAD src0_sel:WORD_1
	v_cvt_f32_f16_e32 v10, v11
	v_cvt_f32_f16_sdwa v11, v11 dst_sel:DWORD dst_unused:UNUSED_PAD src0_sel:WORD_1
	;; [unrolled: 2-line block ×4, first 2 shown]
	v_pk_add_f32 v[16:17], v[14:15], v[8:9]
	v_pk_add_f32 v[14:15], v[18:19], v[10:11]
	;; [unrolled: 1-line block ×4, first 2 shown]
	v_cvt_f16_f32_e32 v6, v17
	v_cvt_f16_f32_e32 v7, v15
	;; [unrolled: 1-line block ×8, first 2 shown]
	v_pack_b32_f16 v9, v18, v9
	v_pack_b32_f16 v8, v19, v8
	;; [unrolled: 1-line block ×4, first 2 shown]
	buffer_store_dwordx4 v[6:9], v26, s[36:39], 0 offen glc slc
	;;#ASMSTART
	s_nop 0
	;;#ASMEND
.LBB431_10:
	s_or_b64 exec, exec, s[2:3]
.LBB431_11:
	s_waitcnt vmcnt(1)
	v_mul_f32_e32 v6, v17, v17
	v_fmac_f32_e32 v6, v16, v16
	v_fmac_f32_e32 v6, v14, v14
	;; [unrolled: 1-line block ×7, first 2 shown]
	v_and_b32_e32 v8, 63, v0
	v_cmp_eq_u32_e64 s[2:3], 63, v8
	v_mov_b32_dpp v7, v6 quad_perm:[1,0,3,2] row_mask:0xf bank_mask:0xf
	v_add_f32_e32 v6, v6, v7
	s_nop 1
	v_mov_b32_dpp v7, v6 quad_perm:[2,3,0,1] row_mask:0xf bank_mask:0xf
	v_add_f32_e32 v6, v6, v7
	s_nop 1
	v_mov_b32_dpp v7, v6 row_half_mirror row_mask:0xf bank_mask:0xf
	v_add_f32_e32 v6, v6, v7
	s_nop 1
	v_mov_b32_dpp v7, v6 row_mirror row_mask:0xf bank_mask:0xf
	v_add_f32_e32 v6, v6, v7
	s_nop 1
	v_mov_b32_dpp v7, v6 row_bcast:15 row_mask:0xf bank_mask:0xf
	v_add_f32_e32 v6, v6, v7
	s_nop 1
	v_mov_b32_dpp v7, v6 row_bcast:31 row_mask:0xf bank_mask:0xf
	s_waitcnt lgkmcnt(0)
	s_and_saveexec_b64 s[18:19], s[2:3]
	s_cbranch_execz .LBB431_13
; %bb.12:
	v_add_f32_e32 v6, v6, v7
	v_lshrrev_b32_e32 v7, 4, v0
	v_and_b32_e32 v7, 60, v7
	ds_write_b32 v7, v6 offset:8
.LBB431_13:
	s_or_b64 exec, exec, s[18:19]
	v_and_b32_e32 v6, 1, v0
	v_lshlrev_b32_e32 v18, 2, v6
	s_waitcnt lgkmcnt(0)
	s_barrier
	ds_read_b32 v6, v18 offset:8
	s_load_dwordx2 s[18:19], s[4:5], 0x18
	s_waitcnt lgkmcnt(0)
	v_mov_b32_dpp v7, v6 quad_perm:[1,0,3,2] row_mask:0xf bank_mask:0xf
	s_and_saveexec_b64 s[34:35], s[0:1]
	s_cbranch_execnz .LBB431_18
; %bb.14:
	s_or_b64 exec, exec, s[34:35]
	s_mov_b64 s[8:9], -1
	s_and_b64 vcc, exec, s[30:31]
	s_cbranch_vccnz .LBB431_19
.LBB431_15:
	s_andn2_b64 vcc, exec, s[8:9]
	s_cbranch_vccz .LBB431_22
.LBB431_16:
	s_cmp_lt_i32 s24, 1
	s_cbranch_scc0 .LBB431_31
.LBB431_17:
	s_endpgm
.LBB431_18:
	v_cvt_f32_u32_e32 v8, s7
	v_add_f32_e32 v6, v6, v7
	v_mov_b32_e32 v19, s21
	v_mov_b32_e32 v20, s20
	v_div_scale_f32 v7, s[36:37], v8, v8, v6
	v_rcp_f32_e32 v9, v7
	v_cndmask_b32_e64 v19, v19, v20, s[8:9]
	s_mov_b32 s7, 0x800000
	s_waitcnt vmcnt(0)
	v_cvt_f32_f16_sdwa v23, v5 dst_sel:DWORD dst_unused:UNUSED_PAD src0_sel:WORD_1
	v_fma_f32 v20, -v7, v9, 1.0
	v_fmac_f32_e32 v9, v20, v9
	v_div_scale_f32 v20, vcc, v6, v8, v6
	v_mul_f32_e32 v21, v20, v9
	v_fma_f32 v22, -v7, v21, v20
	v_fmac_f32_e32 v21, v22, v9
	v_fma_f32 v7, -v7, v21, v20
	v_div_fmas_f32 v7, v7, v9, v21
	v_div_fixup_f32 v6, v7, v8, v6
	v_add_f32_e32 v6, v19, v6
	v_mul_f32_e32 v7, 0x4b800000, v6
	v_cmp_gt_f32_e32 vcc, s7, v6
	v_cndmask_b32_e32 v6, v6, v7, vcc
	v_rsq_f32_e32 v6, v6
	v_cvt_f32_f16_sdwa v21, v3 dst_sel:DWORD dst_unused:UNUSED_PAD src0_sel:WORD_1
	v_cvt_f32_f16_e32 v20, v3
	v_cvt_f32_f16_sdwa v3, v4 dst_sel:DWORD dst_unused:UNUSED_PAD src0_sel:WORD_1
	v_mul_f32_e32 v7, 0x45800000, v6
	v_cndmask_b32_e32 v6, v6, v7, vcc
	v_mov_b32_e32 v7, v6
	;;#ASMSTART
	v_pk_mul_f32 v[8:9], v[16:17], v[6:7]
	;;#ASMEND
	;;#ASMSTART
	v_pk_mul_f32 v[14:15], v[14:15], v[6:7]
	;;#ASMEND
	;; [unrolled: 3-line block ×4, first 2 shown]
	v_cvt_f32_f16_sdwa v11, v2 dst_sel:DWORD dst_unused:UNUSED_PAD src0_sel:WORD_1
	v_cvt_f32_f16_e32 v10, v2
	v_cvt_f32_f16_e32 v2, v4
	;; [unrolled: 1-line block ×3, first 2 shown]
	;;#ASMSTART
	v_pk_mul_f32 v[16:17], v[8:9], v[10:11]
	;;#ASMEND
	;;#ASMSTART
	v_pk_mul_f32 v[14:15], v[14:15], v[20:21]
	;;#ASMEND
	;; [unrolled: 3-line block ×4, first 2 shown]
	s_or_b64 exec, exec, s[34:35]
	s_mov_b64 s[8:9], -1
	s_and_b64 vcc, exec, s[30:31]
	s_cbranch_vccz .LBB431_15
.LBB431_19:
	s_and_saveexec_b64 s[8:9], s[0:1]
	s_cbranch_execz .LBB431_21
; %bb.20:
	s_mul_hi_i32 s31, s16, s6
	s_mul_i32 s30, s16, s6
	s_waitcnt vmcnt(0)
	v_cvt_f16_f32_e32 v2, v16
	v_cvt_f16_f32_e32 v3, v14
	;; [unrolled: 1-line block ×8, first 2 shown]
	s_lshl_b64 s[30:31], s[30:31], 1
	s_add_u32 s36, s18, s30
	s_addc_u32 s7, s19, s31
	s_and_b32 s37, s7, 0xffff
	s_mov_b32 s39, 0x20000
	v_pack_b32_f16 v5, v5, v6
	v_pack_b32_f16 v4, v4, v7
	;; [unrolled: 1-line block ×4, first 2 shown]
	v_lshlrev_b32_e32 v6, 4, v0
	buffer_store_dwordx4 v[2:5], v6, s[36:39], 0 offen
	;;#ASMSTART
	s_nop 0
	;;#ASMEND
.LBB431_21:
	s_or_b64 exec, exec, s[8:9]
	s_cbranch_execnz .LBB431_16
.LBB431_22:
	s_waitcnt vmcnt(0)
	v_mov_b32_e32 v2, 0
	s_and_saveexec_b64 s[8:9], s[0:1]
	s_cbranch_execz .LBB431_24
; %bb.23:
	s_load_dwordx2 s[30:31], s[4:5], 0x10
	s_mul_hi_i32 s35, s15, s6
	s_mul_i32 s34, s15, s6
	v_cvt_f16_f32_e32 v2, v16
	v_cvt_f16_f32_e32 v3, v14
	;; [unrolled: 1-line block ×8, first 2 shown]
	s_lshl_b64 s[34:35], s[34:35], 1
	s_waitcnt lgkmcnt(0)
	s_add_u32 s36, s30, s34
	s_addc_u32 s7, s31, s35
	s_mov_b32 s39, 0x20000
	s_and_b32 s37, s7, 0xffff
	v_pack_b32_f16 v5, v5, v6
	v_pack_b32_f16 v4, v4, v7
	;; [unrolled: 1-line block ×4, first 2 shown]
	v_lshlrev_b32_e32 v6, 4, v0
	buffer_store_dwordx4 v[2:5], v6, s[36:39], 0 offen
	;;#ASMSTART
	s_nop 0
	;;#ASMEND
	s_nop 0
	v_mov_b32_e32 v2, 0x2edbe6ff
.LBB431_24:
	s_or_b64 exec, exec, s[8:9]
	s_and_saveexec_b64 s[8:9], s[0:1]
	s_cbranch_execz .LBB431_26
; %bb.25:
	v_and_b32_e32 v3, 0x7fffffff, v16
	v_and_b32_e32 v4, 0x7fffffff, v17
	;;#ASMSTART
	v_max3_f32 v2, v2, v3, v4

	;;#ASMEND
	v_and_b32_e32 v3, 0x7fffffff, v14
	v_and_b32_e32 v4, 0x7fffffff, v15
	;;#ASMSTART
	v_max3_f32 v2, v2, v3, v4

	;;#ASMEND
	;; [unrolled: 6-line block ×4, first 2 shown]
.LBB431_26:
	s_or_b64 exec, exec, s[8:9]
	;;#ASMSTART
	v_max_f32 v3, v2, v2 quad_perm:[1,0,3,2] row_mask:0xf bank_mask:0xf bound_ctrl:1
	;;#ASMEND
	;;#ASMSTART
	v_max_f32 v2, v3, v3 quad_perm:[2,3,0,1] row_mask:0xf bank_mask:0xf bound_ctrl:1
	;;#ASMEND
	v_and_b32_e32 v3, 3, v0
	v_cmp_eq_u32_e32 vcc, 0, v3
	v_cmp_gt_i32_e64 s[8:9], s23, v1
	s_and_b64 s[30:31], vcc, s[8:9]
	s_and_saveexec_b64 s[8:9], s[30:31]
	s_cbranch_execz .LBB431_28
; %bb.27:
	s_load_dwordx2 s[30:31], s[4:5], 0x8
	v_mul_f32_e32 v2, 0x3e2aaaab, v2
	v_lshrrev_b32_e32 v3, 23, v2
	v_and_b32_e32 v4, 0x7f800000, v2
	v_and_b32_e32 v2, 0x7fffff, v2
	v_cmp_ne_u32_e32 vcc, 0, v2
	s_mul_hi_i32 s15, s13, s6
	s_mul_i32 s13, s13, s6
	s_mov_b32 s7, 0x7f800000
	v_addc_co_u32_e32 v2, vcc, 0, v3, vcc
	s_waitcnt lgkmcnt(0)
	s_add_u32 s30, s30, s13
	v_cmp_ne_u32_e32 vcc, s7, v4
	s_addc_u32 s31, s31, s15
	v_lshrrev_b32_e32 v5, 2, v0
	v_cndmask_b32_e32 v4, -1, v2, vcc
	v_pk_mov_b32 v[2:3], s[30:31], s[30:31] op_sel:[0,1]
	v_mad_i64_i32 v[2:3], s[14:15], s14, v5, v[2:3]
	global_store_byte v[2:3], v4, off
.LBB431_28:
	s_or_b64 exec, exec, s[8:9]
	s_and_saveexec_b64 s[8:9], s[0:1]
	s_cbranch_execz .LBB431_30
; %bb.29:
	s_load_dwordx2 s[0:1], s[4:5], 0x0
	s_mul_hi_i32 s7, s12, s6
	s_mul_i32 s12, s12, s6
	v_lshlrev_b32_e32 v2, 2, v0
	s_mov_b32 s15, 0x20000
	s_waitcnt lgkmcnt(0)
	s_add_u32 s12, s0, s12
	s_addc_u32 s0, s1, s7
	s_lshr_b32 s1, s23, 31
	s_add_i32 s1, s23, s1
	s_ashr_i32 s1, s1, 1
	s_add_i32 s1, s1, 3
	s_ashr_i32 s7, s1, 31
	s_lshr_b32 s7, s7, 30
	s_add_i32 s1, s1, s7
	s_and_b32 s14, s1, -4
	s_and_b32 s13, s0, 0xffff
	v_mov_b32_e32 v3, 0
	buffer_store_dword v3, v2, s[12:15], 0 offen
	;;#ASMSTART
	s_nop 0
	;;#ASMEND
.LBB431_30:
	s_or_b64 exec, exec, s[8:9]
	s_cmp_lt_i32 s24, 1
	s_cbranch_scc1 .LBB431_17
.LBB431_31:
	s_load_dword s0, s[4:5], 0x94
	s_waitcnt lgkmcnt(0)
	s_cmp_lg_u32 s0, 1
	s_cbranch_scc1 .LBB431_17
; %bb.32:
	s_lshl_b32 s0, s24, 1
	s_add_i32 s0, s0, 2
	v_cmp_gt_u32_e32 vcc, s24, v1
	s_and_b32 s30, s0, -4
	v_mov_b32_e32 v10, 0
	v_lshlrev_b32_e32 v1, 4, v0
	v_mov_b32_e32 v6, 0
	v_mov_b32_e32 v7, 0
	;; [unrolled: 1-line block ×4, first 2 shown]
	s_waitcnt vmcnt(0)
	v_mov_b32_e32 v2, 0
	v_mov_b32_e32 v3, 0
	;; [unrolled: 1-line block ×4, first 2 shown]
	s_barrier
	s_and_saveexec_b64 s[0:1], vcc
	s_cbranch_execz .LBB431_34
; %bb.33:
	s_mul_hi_i32 s5, s26, s6
	s_mul_i32 s4, s26, s6
	s_and_b32 s29, s29, 0xffff
	s_lshl_b64 s[4:5], s[4:5], 1
	s_add_u32 s8, s10, s4
	s_mov_b32 s31, 0x20000
	s_addc_u32 s4, s11, s5
	s_and_b32 s9, s4, 0xffff
	s_mov_b32 s10, s30
	s_mov_b32 s11, s31
	buffer_load_dwordx4 v[6:9], v1, s[8:11], 0 offen glc slc
	buffer_load_dwordx4 v[2:5], v1, s[28:31], 0 offen
.LBB431_34:
	s_or_b64 exec, exec, s[0:1]
	v_mov_b32_e32 v11, 0
	v_mov_b32_e32 v16, 0
	;; [unrolled: 1-line block ×7, first 2 shown]
	s_and_saveexec_b64 s[0:1], vcc
	s_cbranch_execz .LBB431_36
; %bb.35:
	s_waitcnt vmcnt(1)
	v_cvt_f32_f16_sdwa v11, v6 dst_sel:DWORD dst_unused:UNUSED_PAD src0_sel:WORD_1
	v_cvt_f32_f16_e32 v10, v6
	v_cvt_f32_f16_sdwa v17, v7 dst_sel:DWORD dst_unused:UNUSED_PAD src0_sel:WORD_1
	v_cvt_f32_f16_e32 v16, v7
	;; [unrolled: 2-line block ×4, first 2 shown]
.LBB431_36:
	s_or_b64 exec, exec, s[0:1]
	s_waitcnt vmcnt(1)
	v_mul_f32_e32 v6, v11, v11
	v_fmac_f32_e32 v6, v10, v10
	v_fmac_f32_e32 v6, v16, v16
	;; [unrolled: 1-line block ×7, first 2 shown]
	s_nop 1
	v_mov_b32_dpp v7, v6 quad_perm:[1,0,3,2] row_mask:0xf bank_mask:0xf
	v_add_f32_e32 v6, v6, v7
	s_nop 1
	v_mov_b32_dpp v7, v6 quad_perm:[2,3,0,1] row_mask:0xf bank_mask:0xf
	v_add_f32_e32 v6, v6, v7
	s_nop 1
	v_mov_b32_dpp v7, v6 row_half_mirror row_mask:0xf bank_mask:0xf
	v_add_f32_e32 v6, v6, v7
	s_nop 1
	v_mov_b32_dpp v7, v6 row_mirror row_mask:0xf bank_mask:0xf
	v_add_f32_e32 v6, v6, v7
	s_nop 1
	v_mov_b32_dpp v7, v6 row_bcast:15 row_mask:0xf bank_mask:0xf
	v_add_f32_e32 v6, v6, v7
	s_nop 1
	v_mov_b32_dpp v7, v6 row_bcast:31 row_mask:0xf bank_mask:0xf
	s_and_saveexec_b64 s[0:1], s[2:3]
	s_cbranch_execz .LBB431_38
; %bb.37:
	v_lshrrev_b32_e32 v0, 4, v0
	v_add_f32_e32 v6, v6, v7
	v_and_b32_e32 v0, 60, v0
	ds_write_b32 v0, v6
.LBB431_38:
	s_or_b64 exec, exec, s[0:1]
	s_waitcnt lgkmcnt(0)
	s_barrier
	ds_read_b32 v0, v18
	s_waitcnt lgkmcnt(0)
	s_nop 0
	v_mov_b32_dpp v6, v0 quad_perm:[1,0,3,2] row_mask:0xf bank_mask:0xf
	s_and_saveexec_b64 s[0:1], vcc
	s_cbranch_execz .LBB431_17
; %bb.39:
	v_cvt_f32_u32_e32 v7, s24
	v_add_f32_e32 v0, v0, v6
	s_mov_b32 s31, 0x20000
	v_div_scale_f32 v6, s[0:1], v7, v7, v0
	v_rcp_f32_e32 v8, v6
	v_div_scale_f32 v9, vcc, v0, v7, v0
	s_mov_b32 s0, 0x800000
	v_fma_f32 v18, -v6, v8, 1.0
	v_fmac_f32_e32 v8, v18, v8
	v_mul_f32_e32 v18, v9, v8
	v_fma_f32 v19, -v6, v18, v9
	v_fmac_f32_e32 v18, v19, v8
	v_fma_f32 v6, -v6, v18, v9
	v_div_fmas_f32 v6, v6, v8, v18
	v_div_fixup_f32 v0, v6, v7, v0
	v_add_f32_e32 v0, s21, v0
	v_mul_f32_e32 v6, 0x4b800000, v0
	v_cmp_gt_f32_e32 vcc, s0, v0
	v_cndmask_b32_e32 v0, v0, v6, vcc
	v_rsq_f32_e32 v0, v0
	s_waitcnt vmcnt(0)
	v_cvt_f32_f16_sdwa v19, v5 dst_sel:DWORD dst_unused:UNUSED_PAD src0_sel:WORD_1
	v_cvt_f32_f16_e32 v18, v5
	s_mul_hi_i32 s1, s16, s6
	v_mul_f32_e32 v6, 0x45800000, v0
	v_cndmask_b32_e32 v6, v0, v6, vcc
	v_mov_b32_e32 v7, v6
	;;#ASMSTART
	v_pk_mul_f32 v[8:9], v[10:11], v[6:7]
	;;#ASMEND
	;;#ASMSTART
	v_pk_mul_f32 v[10:11], v[16:17], v[6:7]
	;;#ASMEND
	;; [unrolled: 3-line block ×4, first 2 shown]
	v_cvt_f32_f16_sdwa v13, v2 dst_sel:DWORD dst_unused:UNUSED_PAD src0_sel:WORD_1
	v_cvt_f32_f16_e32 v12, v2
	v_cvt_f32_f16_sdwa v17, v3 dst_sel:DWORD dst_unused:UNUSED_PAD src0_sel:WORD_1
	v_cvt_f32_f16_e32 v16, v3
	;; [unrolled: 2-line block ×3, first 2 shown]
	;;#ASMSTART
	v_pk_mul_f32 v[4:5], v[8:9], v[12:13]
	;;#ASMEND
	;;#ASMSTART
	v_pk_mul_f32 v[8:9], v[10:11], v[16:17]
	;;#ASMEND
	;; [unrolled: 3-line block ×4, first 2 shown]
	s_mul_i32 s0, s16, s6
	v_cvt_f16_f32_e32 v0, v4
	v_cvt_f16_f32_e32 v4, v5
	v_cvt_f16_f32_e32 v5, v8
	v_cvt_f16_f32_e32 v8, v9
	v_cvt_f16_f32_e32 v9, v2
	v_cvt_f16_f32_e32 v10, v3
	v_cvt_f16_f32_e32 v6, v6
	v_cvt_f16_f32_e32 v7, v7
	s_lshl_b64 s[0:1], s[0:1], 1
	s_add_u32 s28, s18, s0
	s_addc_u32 s0, s19, s1
	s_and_b32 s29, s0, 0xffff
	v_pack_b32_f16 v2, v0, v4
	v_pack_b32_f16 v3, v5, v8
	;; [unrolled: 1-line block ×4, first 2 shown]
	buffer_store_dwordx4 v[2:5], v1, s[28:31], 0 offen
	;;#ASMSTART
	s_nop 0
	;;#ASMEND
	s_endpgm
	.section	.rodata,"a",@progbits
	.p2align	6, 0x0
	.amdhsa_kernel _ZN5aiter35fused_qk_rmsnorm_group_quant_kernelIDF16_N4opus5fp4_tELi128ELi8ELi4ELb1ELb1ELb0ELb0ELb0ELb0EEEvPT0_PvPT_S7_S7_PKS6_S9_S9_S9_S9_ffiiiiiiiiiiiii
		.amdhsa_group_segment_fixed_size 16
		.amdhsa_private_segment_fixed_size 0
		.amdhsa_kernarg_size 400
		.amdhsa_user_sgpr_count 6
		.amdhsa_user_sgpr_private_segment_buffer 1
		.amdhsa_user_sgpr_dispatch_ptr 0
		.amdhsa_user_sgpr_queue_ptr 0
		.amdhsa_user_sgpr_kernarg_segment_ptr 1
		.amdhsa_user_sgpr_dispatch_id 0
		.amdhsa_user_sgpr_flat_scratch_init 0
		.amdhsa_user_sgpr_kernarg_preload_length 0
		.amdhsa_user_sgpr_kernarg_preload_offset 0
		.amdhsa_user_sgpr_private_segment_size 0
		.amdhsa_uses_dynamic_stack 0
		.amdhsa_system_sgpr_private_segment_wavefront_offset 0
		.amdhsa_system_sgpr_workgroup_id_x 1
		.amdhsa_system_sgpr_workgroup_id_y 1
		.amdhsa_system_sgpr_workgroup_id_z 0
		.amdhsa_system_sgpr_workgroup_info 0
		.amdhsa_system_vgpr_workitem_id 0
		.amdhsa_next_free_vgpr 27
		.amdhsa_next_free_sgpr 44
		.amdhsa_accum_offset 28
		.amdhsa_reserve_vcc 1
		.amdhsa_reserve_flat_scratch 0
		.amdhsa_float_round_mode_32 0
		.amdhsa_float_round_mode_16_64 0
		.amdhsa_float_denorm_mode_32 3
		.amdhsa_float_denorm_mode_16_64 3
		.amdhsa_dx10_clamp 1
		.amdhsa_ieee_mode 1
		.amdhsa_fp16_overflow 0
		.amdhsa_tg_split 0
		.amdhsa_exception_fp_ieee_invalid_op 0
		.amdhsa_exception_fp_denorm_src 0
		.amdhsa_exception_fp_ieee_div_zero 0
		.amdhsa_exception_fp_ieee_overflow 0
		.amdhsa_exception_fp_ieee_underflow 0
		.amdhsa_exception_fp_ieee_inexact 0
		.amdhsa_exception_int_div_zero 0
	.end_amdhsa_kernel
	.section	.text._ZN5aiter35fused_qk_rmsnorm_group_quant_kernelIDF16_N4opus5fp4_tELi128ELi8ELi4ELb1ELb1ELb0ELb0ELb0ELb0EEEvPT0_PvPT_S7_S7_PKS6_S9_S9_S9_S9_ffiiiiiiiiiiiii,"axG",@progbits,_ZN5aiter35fused_qk_rmsnorm_group_quant_kernelIDF16_N4opus5fp4_tELi128ELi8ELi4ELb1ELb1ELb0ELb0ELb0ELb0EEEvPT0_PvPT_S7_S7_PKS6_S9_S9_S9_S9_ffiiiiiiiiiiiii,comdat
.Lfunc_end431:
	.size	_ZN5aiter35fused_qk_rmsnorm_group_quant_kernelIDF16_N4opus5fp4_tELi128ELi8ELi4ELb1ELb1ELb0ELb0ELb0ELb0EEEvPT0_PvPT_S7_S7_PKS6_S9_S9_S9_S9_ffiiiiiiiiiiiii, .Lfunc_end431-_ZN5aiter35fused_qk_rmsnorm_group_quant_kernelIDF16_N4opus5fp4_tELi128ELi8ELi4ELb1ELb1ELb0ELb0ELb0ELb0EEEvPT0_PvPT_S7_S7_PKS6_S9_S9_S9_S9_ffiiiiiiiiiiiii
                                        ; -- End function
	.section	.AMDGPU.csdata,"",@progbits
; Kernel info:
; codeLenInByte = 2788
; NumSgprs: 48
; NumVgprs: 27
; NumAgprs: 0
; TotalNumVgprs: 27
; ScratchSize: 0
; MemoryBound: 0
; FloatMode: 240
; IeeeMode: 1
; LDSByteSize: 16 bytes/workgroup (compile time only)
; SGPRBlocks: 5
; VGPRBlocks: 3
; NumSGPRsForWavesPerEU: 48
; NumVGPRsForWavesPerEU: 27
; AccumOffset: 28
; Occupancy: 8
; WaveLimiterHint : 0
; COMPUTE_PGM_RSRC2:SCRATCH_EN: 0
; COMPUTE_PGM_RSRC2:USER_SGPR: 6
; COMPUTE_PGM_RSRC2:TRAP_HANDLER: 0
; COMPUTE_PGM_RSRC2:TGID_X_EN: 1
; COMPUTE_PGM_RSRC2:TGID_Y_EN: 1
; COMPUTE_PGM_RSRC2:TGID_Z_EN: 0
; COMPUTE_PGM_RSRC2:TIDIG_COMP_CNT: 0
; COMPUTE_PGM_RSRC3_GFX90A:ACCUM_OFFSET: 6
; COMPUTE_PGM_RSRC3_GFX90A:TG_SPLIT: 0
	.section	.text._ZN5aiter35fused_qk_rmsnorm_group_quant_kernelItN4opus5fp4_tELi128ELi8ELi4ELb1ELb1ELb0ELb0ELb0ELb0EEEvPT0_PvPT_S7_S7_PKS6_S9_S9_S9_S9_ffiiiiiiiiiiiii,"axG",@progbits,_ZN5aiter35fused_qk_rmsnorm_group_quant_kernelItN4opus5fp4_tELi128ELi8ELi4ELb1ELb1ELb0ELb0ELb0ELb0EEEvPT0_PvPT_S7_S7_PKS6_S9_S9_S9_S9_ffiiiiiiiiiiiii,comdat
	.protected	_ZN5aiter35fused_qk_rmsnorm_group_quant_kernelItN4opus5fp4_tELi128ELi8ELi4ELb1ELb1ELb0ELb0ELb0ELb0EEEvPT0_PvPT_S7_S7_PKS6_S9_S9_S9_S9_ffiiiiiiiiiiiii ; -- Begin function _ZN5aiter35fused_qk_rmsnorm_group_quant_kernelItN4opus5fp4_tELi128ELi8ELi4ELb1ELb1ELb0ELb0ELb0ELb0EEEvPT0_PvPT_S7_S7_PKS6_S9_S9_S9_S9_ffiiiiiiiiiiiii
	.globl	_ZN5aiter35fused_qk_rmsnorm_group_quant_kernelItN4opus5fp4_tELi128ELi8ELi4ELb1ELb1ELb0ELb0ELb0ELb0EEEvPT0_PvPT_S7_S7_PKS6_S9_S9_S9_S9_ffiiiiiiiiiiiii
	.p2align	8
	.type	_ZN5aiter35fused_qk_rmsnorm_group_quant_kernelItN4opus5fp4_tELi128ELi8ELi4ELb1ELb1ELb0ELb0ELb0ELb0EEEvPT0_PvPT_S7_S7_PKS6_S9_S9_S9_S9_ffiiiiiiiiiiiii,@function
_ZN5aiter35fused_qk_rmsnorm_group_quant_kernelItN4opus5fp4_tELi128ELi8ELi4ELb1ELb1ELb0ELb0ELb0ELb0EEEvPT0_PvPT_S7_S7_PKS6_S9_S9_S9_S9_ffiiiiiiiiiiiii: ; @_ZN5aiter35fused_qk_rmsnorm_group_quant_kernelItN4opus5fp4_tELi128ELi8ELi4ELb1ELb1ELb0ELb0ELb0ELb0EEEvPT0_PvPT_S7_S7_PKS6_S9_S9_S9_S9_ffiiiiiiiiiiiii
; %bb.0:
	s_load_dwordx8 s[20:27], s[4:5], 0x50
	s_waitcnt lgkmcnt(0)
	s_cmp_ge_i32 s6, s22
	s_cbranch_scc1 .LBB432_17
; %bb.1:
	s_cmp_lg_u32 s7, 0
	s_cselect_b64 s[30:31], -1, 0
	s_cmp_eq_u32 s7, 0
	s_cselect_b64 s[8:9], -1, 0
	s_and_b64 s[0:1], s[8:9], exec
	s_load_dwordx2 s[28:29], s[4:5], 0x48
	s_load_dwordx2 s[10:11], s[4:5], 0x30
	s_load_dwordx8 s[12:19], s[4:5], 0x70
	s_cselect_b32 s7, s23, s24
	s_add_i32 s0, s7, 1
	s_lshr_b32 s1, s0, 31
	s_add_i32 s0, s0, s1
	s_lshl_b32 s0, s0, 1
	v_lshlrev_b32_e32 v1, 3, v0
	s_and_b32 s38, s0, -4
	v_cmp_gt_i32_e64 s[0:1], s7, v1
	v_mov_b32_e32 v10, 0
	v_mov_b32_e32 v11, 0
	;; [unrolled: 1-line block ×8, first 2 shown]
	s_and_saveexec_b64 s[2:3], s[0:1]
	s_cbranch_execz .LBB432_3
; %bb.2:
	s_waitcnt lgkmcnt(0)
	s_load_dwordx2 s[18:19], s[4:5], 0x28
	s_load_dwordx2 s[34:35], s[4:5], 0x40
	s_and_b64 s[36:37], s[8:9], exec
	s_cselect_b32 s22, s25, s26
	s_mov_b32 s39, 0x20000
	s_waitcnt lgkmcnt(0)
	s_cselect_b32 s25, s19, s11
	s_cselect_b32 s33, s18, s10
	s_mul_hi_i32 s19, s22, s6
	s_mul_i32 s18, s22, s6
	s_lshl_b64 s[18:19], s[18:19], 1
	s_add_u32 s40, s33, s18
	s_addc_u32 s22, s25, s19
	s_and_b64 s[18:19], s[8:9], exec
	s_cselect_b32 s36, s34, s28
	s_cselect_b32 s18, s35, s29
	v_lshlrev_b32_e32 v2, 4, v0
	s_and_b32 s41, s22, 0xffff
	s_mov_b32 s42, s38
	s_mov_b32 s43, s39
	s_and_b32 s37, s18, 0xffff
	buffer_load_dwordx4 v[14:17], v2, s[40:43], 0 offen glc slc
	buffer_load_dwordx4 v[10:13], v2, s[36:39], 0 offen
.LBB432_3:
	s_or_b64 exec, exec, s[2:3]
	s_and_b64 vcc, exec, s[30:31]
	s_cbranch_vccz .LBB432_7
; %bb.4:
	s_mov_b32 s40, 0
	s_mov_b32 s41, s40
	;; [unrolled: 1-line block ×8, first 2 shown]
	v_pk_mov_b32 v[2:3], s[40:41], s[40:41] op_sel:[0,1]
	v_pk_mov_b32 v[4:5], s[42:43], s[42:43] op_sel:[0,1]
	;; [unrolled: 1-line block ×4, first 2 shown]
	s_and_saveexec_b64 s[2:3], s[0:1]
	s_cbranch_execz .LBB432_6
; %bb.5:
	s_waitcnt vmcnt(1)
	v_cvt_f32_u32_sdwa v3, v14 dst_sel:DWORD dst_unused:UNUSED_PAD src0_sel:WORD_1
	v_cvt_f32_u32_sdwa v2, v14 dst_sel:DWORD dst_unused:UNUSED_PAD src0_sel:WORD_0
	v_cvt_f32_u32_sdwa v5, v15 dst_sel:DWORD dst_unused:UNUSED_PAD src0_sel:WORD_1
	v_cvt_f32_u32_sdwa v4, v15 dst_sel:DWORD dst_unused:UNUSED_PAD src0_sel:WORD_0
	;; [unrolled: 2-line block ×4, first 2 shown]
.LBB432_6:
	s_or_b64 exec, exec, s[2:3]
	s_cbranch_execz .LBB432_8
	s_branch .LBB432_11
.LBB432_7:
                                        ; implicit-def: $vgpr2_vgpr3_vgpr4_vgpr5_vgpr6_vgpr7_vgpr8_vgpr9
.LBB432_8:
	s_mov_b32 s40, 0
	s_mov_b32 s41, s40
	;; [unrolled: 1-line block ×8, first 2 shown]
	v_pk_mov_b32 v[2:3], s[40:41], s[40:41] op_sel:[0,1]
	v_pk_mov_b32 v[4:5], s[42:43], s[42:43] op_sel:[0,1]
	;; [unrolled: 1-line block ×4, first 2 shown]
	s_and_saveexec_b64 s[2:3], s[0:1]
	s_cbranch_execz .LBB432_10
; %bb.9:
	s_waitcnt lgkmcnt(0)
	s_load_dwordx2 s[18:19], s[4:5], 0x38
	s_mul_hi_i32 s35, s27, s6
	s_mul_i32 s34, s27, s6
	s_lshl_b64 s[34:35], s[34:35], 1
	s_mov_b32 s39, 0x20000
	s_waitcnt lgkmcnt(0)
	s_add_u32 s36, s18, s34
	s_addc_u32 s18, s19, s35
	s_and_b32 s37, s18, 0xffff
	v_lshlrev_b32_e32 v26, 4, v0
	buffer_load_dwordx4 v[2:5], v26, s[36:39], 0 offen glc slc
	s_load_dwordx2 s[18:19], s[4:5], 0x20
	s_waitcnt vmcnt(2)
	v_cvt_f32_u32_sdwa v7, v14 dst_sel:DWORD dst_unused:UNUSED_PAD src0_sel:WORD_1
	v_cvt_f32_u32_sdwa v6, v14 dst_sel:DWORD dst_unused:UNUSED_PAD src0_sel:WORD_0
	v_cvt_f32_u32_sdwa v9, v15 dst_sel:DWORD dst_unused:UNUSED_PAD src0_sel:WORD_1
	v_cvt_f32_u32_sdwa v8, v15 dst_sel:DWORD dst_unused:UNUSED_PAD src0_sel:WORD_0
	;; [unrolled: 2-line block ×4, first 2 shown]
	s_mul_hi_i32 s35, s17, s6
	s_mul_i32 s34, s17, s6
	s_lshl_b64 s[34:35], s[34:35], 1
	s_waitcnt lgkmcnt(0)
	s_add_u32 s36, s18, s34
	s_mov_b32 s17, 0x7060302
	s_addc_u32 s18, s19, s35
	s_and_b32 s37, s18, 0xffff
	s_waitcnt vmcnt(0)
	v_cvt_f32_u32_sdwa v17, v2 dst_sel:DWORD dst_unused:UNUSED_PAD src0_sel:WORD_1
	v_cvt_f32_u32_sdwa v16, v2 dst_sel:DWORD dst_unused:UNUSED_PAD src0_sel:WORD_0
	v_cvt_f32_u32_sdwa v21, v3 dst_sel:DWORD dst_unused:UNUSED_PAD src0_sel:WORD_1
	v_cvt_f32_u32_sdwa v20, v3 dst_sel:DWORD dst_unused:UNUSED_PAD src0_sel:WORD_0
	;; [unrolled: 2-line block ×4, first 2 shown]
	v_pk_add_f32 v[2:3], v[6:7], v[16:17]
	v_pk_add_f32 v[4:5], v[8:9], v[20:21]
	;; [unrolled: 1-line block ×4, first 2 shown]
	v_perm_b32 v17, v9, v8, s17
	v_perm_b32 v16, v7, v6, s17
	;; [unrolled: 1-line block ×4, first 2 shown]
	buffer_store_dwordx4 v[14:17], v26, s[36:39], 0 offen glc slc
	;;#ASMSTART
	s_nop 0
	;;#ASMEND
.LBB432_10:
	s_or_b64 exec, exec, s[2:3]
.LBB432_11:
	s_waitcnt vmcnt(1)
	v_mul_f32_e32 v14, v3, v3
	v_fmac_f32_e32 v14, v2, v2
	v_fmac_f32_e32 v14, v4, v4
	;; [unrolled: 1-line block ×7, first 2 shown]
	v_and_b32_e32 v16, 63, v0
	v_cmp_eq_u32_e64 s[2:3], 63, v16
	v_mov_b32_dpp v15, v14 quad_perm:[1,0,3,2] row_mask:0xf bank_mask:0xf
	v_add_f32_e32 v14, v14, v15
	s_nop 1
	v_mov_b32_dpp v15, v14 quad_perm:[2,3,0,1] row_mask:0xf bank_mask:0xf
	v_add_f32_e32 v14, v14, v15
	s_nop 1
	v_mov_b32_dpp v15, v14 row_half_mirror row_mask:0xf bank_mask:0xf
	v_add_f32_e32 v14, v14, v15
	s_nop 1
	v_mov_b32_dpp v15, v14 row_mirror row_mask:0xf bank_mask:0xf
	v_add_f32_e32 v14, v14, v15
	s_nop 1
	v_mov_b32_dpp v15, v14 row_bcast:15 row_mask:0xf bank_mask:0xf
	v_add_f32_e32 v14, v14, v15
	s_nop 1
	v_mov_b32_dpp v15, v14 row_bcast:31 row_mask:0xf bank_mask:0xf
	s_waitcnt lgkmcnt(0)
	s_and_saveexec_b64 s[18:19], s[2:3]
	s_cbranch_execz .LBB432_13
; %bb.12:
	v_add_f32_e32 v14, v14, v15
	v_lshrrev_b32_e32 v15, 4, v0
	v_and_b32_e32 v15, 60, v15
	ds_write_b32 v15, v14 offset:8
.LBB432_13:
	s_or_b64 exec, exec, s[18:19]
	v_and_b32_e32 v14, 1, v0
	v_lshlrev_b32_e32 v14, 2, v14
	s_waitcnt lgkmcnt(0)
	s_barrier
	ds_read_b32 v15, v14 offset:8
	s_load_dwordx2 s[18:19], s[4:5], 0x18
	s_waitcnt lgkmcnt(0)
	v_mov_b32_dpp v16, v15 quad_perm:[1,0,3,2] row_mask:0xf bank_mask:0xf
	s_and_saveexec_b64 s[34:35], s[0:1]
	s_cbranch_execnz .LBB432_18
; %bb.14:
	s_or_b64 exec, exec, s[34:35]
	s_mov_b64 s[8:9], -1
	s_and_b64 vcc, exec, s[30:31]
	s_cbranch_vccnz .LBB432_19
.LBB432_15:
	s_andn2_b64 vcc, exec, s[8:9]
	s_cbranch_vccz .LBB432_22
.LBB432_16:
	s_cmp_lt_i32 s24, 1
	s_cbranch_scc0 .LBB432_31
.LBB432_17:
	s_endpgm
.LBB432_18:
	v_cvt_f32_u32_e32 v17, s7
	v_add_f32_e32 v15, v15, v16
	v_mov_b32_e32 v19, s21
	v_mov_b32_e32 v20, s20
	v_div_scale_f32 v16, s[36:37], v17, v17, v15
	v_rcp_f32_e32 v18, v16
	v_cndmask_b32_e64 v19, v19, v20, s[8:9]
	s_mov_b32 s7, 0x800000
	v_fma_f32 v20, -v16, v18, 1.0
	v_fmac_f32_e32 v18, v20, v18
	v_div_scale_f32 v20, vcc, v15, v17, v15
	v_mul_f32_e32 v21, v20, v18
	v_fma_f32 v22, -v16, v21, v20
	v_fmac_f32_e32 v21, v22, v18
	v_fma_f32 v16, -v16, v21, v20
	v_div_fmas_f32 v16, v16, v18, v21
	v_div_fixup_f32 v15, v16, v17, v15
	v_add_f32_e32 v15, v19, v15
	v_mul_f32_e32 v16, 0x4b800000, v15
	v_cmp_gt_f32_e32 vcc, s7, v15
	v_cndmask_b32_e32 v15, v15, v16, vcc
	v_rsq_f32_e32 v15, v15
	s_waitcnt vmcnt(0)
	v_cvt_f32_u32_sdwa v19, v11 dst_sel:DWORD dst_unused:UNUSED_PAD src0_sel:WORD_1
	v_cvt_f32_u32_sdwa v18, v11 dst_sel:DWORD dst_unused:UNUSED_PAD src0_sel:WORD_0
	v_cvt_f32_u32_sdwa v11, v12 dst_sel:DWORD dst_unused:UNUSED_PAD src0_sel:WORD_1
	v_mul_f32_e32 v16, 0x45800000, v15
	v_cndmask_b32_e32 v16, v15, v16, vcc
	v_mov_b32_e32 v17, v16
	;;#ASMSTART
	v_pk_mul_f32 v[2:3], v[2:3], v[16:17]
	;;#ASMEND
	;;#ASMSTART
	v_pk_mul_f32 v[4:5], v[4:5], v[16:17]
	;;#ASMEND
	;; [unrolled: 3-line block ×4, first 2 shown]
	v_cvt_f32_u32_sdwa v17, v10 dst_sel:DWORD dst_unused:UNUSED_PAD src0_sel:WORD_1
	v_cvt_f32_u32_sdwa v16, v10 dst_sel:DWORD dst_unused:UNUSED_PAD src0_sel:WORD_0
	v_cvt_f32_u32_sdwa v10, v12 dst_sel:DWORD dst_unused:UNUSED_PAD src0_sel:WORD_0
	v_cvt_f32_u32_sdwa v21, v13 dst_sel:DWORD dst_unused:UNUSED_PAD src0_sel:WORD_1
	v_cvt_f32_u32_sdwa v20, v13 dst_sel:DWORD dst_unused:UNUSED_PAD src0_sel:WORD_0
	;;#ASMSTART
	v_pk_mul_f32 v[2:3], v[2:3], v[16:17]
	;;#ASMEND
	;;#ASMSTART
	v_pk_mul_f32 v[4:5], v[4:5], v[18:19]
	;;#ASMEND
	;; [unrolled: 3-line block ×4, first 2 shown]
	s_or_b64 exec, exec, s[34:35]
	s_mov_b64 s[8:9], -1
	s_and_b64 vcc, exec, s[30:31]
	s_cbranch_vccz .LBB432_15
.LBB432_19:
	s_and_saveexec_b64 s[8:9], s[0:1]
	s_cbranch_execz .LBB432_21
; %bb.20:
	s_mul_hi_i32 s31, s16, s6
	s_mul_i32 s30, s16, s6
	s_lshl_b64 s[30:31], s[30:31], 1
	s_add_u32 s36, s18, s30
	s_addc_u32 s7, s19, s31
	s_and_b32 s37, s7, 0xffff
	s_mov_b32 s7, 0x7060302
	s_mov_b32 s39, 0x20000
	s_waitcnt vmcnt(0)
	v_perm_b32 v10, v3, v2, s7
	v_perm_b32 v11, v5, v4, s7
	;; [unrolled: 1-line block ×4, first 2 shown]
	v_lshlrev_b32_e32 v15, 4, v0
	buffer_store_dwordx4 v[10:13], v15, s[36:39], 0 offen
	;;#ASMSTART
	s_nop 0
	;;#ASMEND
.LBB432_21:
	s_or_b64 exec, exec, s[8:9]
	s_cbranch_execnz .LBB432_16
.LBB432_22:
	s_waitcnt vmcnt(0)
	v_mov_b32_e32 v10, 0
	s_and_saveexec_b64 s[8:9], s[0:1]
	s_cbranch_execz .LBB432_24
; %bb.23:
	s_load_dwordx2 s[30:31], s[4:5], 0x10
	s_mul_hi_i32 s35, s15, s6
	s_mul_i32 s34, s15, s6
	s_lshl_b64 s[34:35], s[34:35], 1
	s_mov_b32 s39, 0x20000
	s_waitcnt lgkmcnt(0)
	s_add_u32 s36, s30, s34
	s_addc_u32 s7, s31, s35
	s_and_b32 s37, s7, 0xffff
	s_mov_b32 s7, 0x7060302
	v_perm_b32 v10, v3, v2, s7
	v_perm_b32 v11, v5, v4, s7
	;; [unrolled: 1-line block ×4, first 2 shown]
	v_lshlrev_b32_e32 v15, 4, v0
	buffer_store_dwordx4 v[10:13], v15, s[36:39], 0 offen
	;;#ASMSTART
	s_nop 0
	;;#ASMEND
	s_nop 0
	v_mov_b32_e32 v10, 0x2edbe6ff
.LBB432_24:
	s_or_b64 exec, exec, s[8:9]
	s_and_saveexec_b64 s[8:9], s[0:1]
	s_cbranch_execz .LBB432_26
; %bb.25:
	v_and_b32_e32 v2, 0x7fffffff, v2
	v_and_b32_e32 v3, 0x7fffffff, v3
	;;#ASMSTART
	v_max3_f32 v2, v10, v2, v3

	;;#ASMEND
	v_and_b32_e32 v3, 0x7fffffff, v4
	v_and_b32_e32 v4, 0x7fffffff, v5
	;;#ASMSTART
	v_max3_f32 v2, v2, v3, v4

	;;#ASMEND
	;; [unrolled: 6-line block ×4, first 2 shown]
.LBB432_26:
	s_or_b64 exec, exec, s[8:9]
	;;#ASMSTART
	v_max_f32 v3, v10, v10 quad_perm:[1,0,3,2] row_mask:0xf bank_mask:0xf bound_ctrl:1
	;;#ASMEND
	;;#ASMSTART
	v_max_f32 v2, v3, v3 quad_perm:[2,3,0,1] row_mask:0xf bank_mask:0xf bound_ctrl:1
	;;#ASMEND
	v_and_b32_e32 v3, 3, v0
	v_cmp_eq_u32_e32 vcc, 0, v3
	v_cmp_gt_i32_e64 s[8:9], s23, v1
	s_and_b64 s[30:31], vcc, s[8:9]
	s_and_saveexec_b64 s[8:9], s[30:31]
	s_cbranch_execz .LBB432_28
; %bb.27:
	s_load_dwordx2 s[30:31], s[4:5], 0x8
	v_mul_f32_e32 v2, 0x3e2aaaab, v2
	v_lshrrev_b32_e32 v3, 23, v2
	v_and_b32_e32 v4, 0x7f800000, v2
	v_and_b32_e32 v2, 0x7fffff, v2
	v_cmp_ne_u32_e32 vcc, 0, v2
	s_mul_hi_i32 s15, s13, s6
	s_mul_i32 s13, s13, s6
	s_mov_b32 s7, 0x7f800000
	v_addc_co_u32_e32 v2, vcc, 0, v3, vcc
	s_waitcnt lgkmcnt(0)
	s_add_u32 s30, s30, s13
	v_cmp_ne_u32_e32 vcc, s7, v4
	s_addc_u32 s31, s31, s15
	v_lshrrev_b32_e32 v5, 2, v0
	v_cndmask_b32_e32 v4, -1, v2, vcc
	v_pk_mov_b32 v[2:3], s[30:31], s[30:31] op_sel:[0,1]
	v_mad_i64_i32 v[2:3], s[14:15], s14, v5, v[2:3]
	global_store_byte v[2:3], v4, off
.LBB432_28:
	s_or_b64 exec, exec, s[8:9]
	s_and_saveexec_b64 s[8:9], s[0:1]
	s_cbranch_execz .LBB432_30
; %bb.29:
	s_load_dwordx2 s[0:1], s[4:5], 0x0
	s_mul_hi_i32 s7, s12, s6
	s_mul_i32 s12, s12, s6
	v_lshlrev_b32_e32 v2, 2, v0
	s_mov_b32 s15, 0x20000
	s_waitcnt lgkmcnt(0)
	s_add_u32 s12, s0, s12
	s_addc_u32 s0, s1, s7
	s_lshr_b32 s1, s23, 31
	s_add_i32 s1, s23, s1
	s_ashr_i32 s1, s1, 1
	s_add_i32 s1, s1, 3
	s_ashr_i32 s7, s1, 31
	s_lshr_b32 s7, s7, 30
	s_add_i32 s1, s1, s7
	s_and_b32 s14, s1, -4
	s_and_b32 s13, s0, 0xffff
	v_mov_b32_e32 v3, 0
	buffer_store_dword v3, v2, s[12:15], 0 offen
	;;#ASMSTART
	s_nop 0
	;;#ASMEND
.LBB432_30:
	s_or_b64 exec, exec, s[8:9]
	s_cmp_lt_i32 s24, 1
	s_cbranch_scc1 .LBB432_17
.LBB432_31:
	s_load_dword s0, s[4:5], 0x94
	s_waitcnt lgkmcnt(0)
	s_cmp_lg_u32 s0, 1
	s_cbranch_scc1 .LBB432_17
; %bb.32:
	s_lshl_b32 s0, s24, 1
	s_add_i32 s0, s0, 2
	v_cmp_gt_u32_e32 vcc, s24, v1
	s_and_b32 s30, s0, -4
	v_mov_b32_e32 v6, 0
	v_lshlrev_b32_e32 v1, 4, v0
	v_mov_b32_e32 v7, 0
	v_mov_b32_e32 v8, 0
	;; [unrolled: 1-line block ×7, first 2 shown]
	s_barrier
	s_and_saveexec_b64 s[0:1], vcc
	s_cbranch_execz .LBB432_34
; %bb.33:
	s_mul_hi_i32 s5, s26, s6
	s_mul_i32 s4, s26, s6
	s_and_b32 s29, s29, 0xffff
	s_lshl_b64 s[4:5], s[4:5], 1
	s_add_u32 s8, s10, s4
	s_mov_b32 s31, 0x20000
	s_addc_u32 s4, s11, s5
	s_and_b32 s9, s4, 0xffff
	s_mov_b32 s10, s30
	s_mov_b32 s11, s31
	buffer_load_dwordx4 v[6:9], v1, s[8:11], 0 offen glc slc
	buffer_load_dwordx4 v[2:5], v1, s[28:31], 0 offen
.LBB432_34:
	s_or_b64 exec, exec, s[0:1]
	s_waitcnt vmcnt(0)
	v_cvt_f32_u32_sdwa v13, v6 dst_sel:DWORD dst_unused:UNUSED_PAD src0_sel:WORD_1
	v_cvt_f32_u32_sdwa v12, v6 dst_sel:DWORD dst_unused:UNUSED_PAD src0_sel:WORD_0
	v_cvt_f32_u32_sdwa v6, v9 dst_sel:DWORD dst_unused:UNUSED_PAD src0_sel:WORD_1
	v_cvt_f32_u32_sdwa v9, v9 dst_sel:DWORD dst_unused:UNUSED_PAD src0_sel:WORD_0
	v_cvt_f32_u32_sdwa v15, v8 dst_sel:DWORD dst_unused:UNUSED_PAD src0_sel:WORD_1
	v_cvt_f32_u32_sdwa v10, v7 dst_sel:DWORD dst_unused:UNUSED_PAD src0_sel:WORD_0
	v_cvt_f32_u32_sdwa v11, v7 dst_sel:DWORD dst_unused:UNUSED_PAD src0_sel:WORD_1
	v_cvt_f32_u32_sdwa v8, v8 dst_sel:DWORD dst_unused:UNUSED_PAD src0_sel:WORD_0
	v_cndmask_b32_e32 v13, 0, v13, vcc
	v_cndmask_b32_e32 v7, 0, v6, vcc
	;; [unrolled: 1-line block ×5, first 2 shown]
	v_mul_f32_e32 v15, v13, v13
	v_cndmask_b32_e32 v10, 0, v10, vcc
	v_fmac_f32_e32 v15, v12, v12
	v_cndmask_b32_e32 v11, 0, v11, vcc
	v_fmac_f32_e32 v15, v10, v10
	;; [unrolled: 2-line block ×3, first 2 shown]
	v_fmac_f32_e32 v15, v8, v8
	v_fmac_f32_e32 v15, v9, v9
	;; [unrolled: 1-line block ×4, first 2 shown]
	s_nop 1
	v_mov_b32_dpp v16, v15 quad_perm:[1,0,3,2] row_mask:0xf bank_mask:0xf
	v_add_f32_e32 v15, v15, v16
	s_nop 1
	v_mov_b32_dpp v16, v15 quad_perm:[2,3,0,1] row_mask:0xf bank_mask:0xf
	v_add_f32_e32 v15, v15, v16
	s_nop 1
	v_mov_b32_dpp v16, v15 row_half_mirror row_mask:0xf bank_mask:0xf
	v_add_f32_e32 v15, v15, v16
	s_nop 1
	v_mov_b32_dpp v16, v15 row_mirror row_mask:0xf bank_mask:0xf
	v_add_f32_e32 v15, v15, v16
	s_nop 1
	v_mov_b32_dpp v16, v15 row_bcast:15 row_mask:0xf bank_mask:0xf
	v_add_f32_e32 v15, v15, v16
	s_nop 1
	v_mov_b32_dpp v16, v15 row_bcast:31 row_mask:0xf bank_mask:0xf
	s_and_saveexec_b64 s[0:1], s[2:3]
	s_cbranch_execz .LBB432_36
; %bb.35:
	v_lshrrev_b32_e32 v0, 4, v0
	v_add_f32_e32 v15, v15, v16
	v_and_b32_e32 v0, 60, v0
	ds_write_b32 v0, v15
.LBB432_36:
	s_or_b64 exec, exec, s[0:1]
	s_waitcnt lgkmcnt(0)
	s_barrier
	ds_read_b32 v0, v14
	s_waitcnt lgkmcnt(0)
	s_nop 0
	v_mov_b32_dpp v14, v0 quad_perm:[1,0,3,2] row_mask:0xf bank_mask:0xf
	s_and_saveexec_b64 s[0:1], vcc
	s_cbranch_execz .LBB432_17
; %bb.37:
	v_cvt_f32_u32_e32 v15, s24
	v_add_f32_e32 v0, v0, v14
	s_mov_b32 s31, 0x20000
	v_div_scale_f32 v14, s[0:1], v15, v15, v0
	v_rcp_f32_e32 v16, v14
	v_div_scale_f32 v17, vcc, v0, v15, v0
	s_mov_b32 s0, 0x800000
	v_fma_f32 v18, -v14, v16, 1.0
	v_fmac_f32_e32 v16, v18, v16
	v_mul_f32_e32 v18, v17, v16
	v_fma_f32 v19, -v14, v18, v17
	v_fmac_f32_e32 v18, v19, v16
	v_fma_f32 v14, -v14, v18, v17
	v_div_fmas_f32 v14, v14, v16, v18
	v_div_fixup_f32 v0, v14, v15, v0
	v_add_f32_e32 v0, s21, v0
	v_mul_f32_e32 v14, 0x4b800000, v0
	v_cmp_gt_f32_e32 vcc, s0, v0
	v_cndmask_b32_e32 v0, v0, v14, vcc
	v_rsq_f32_e32 v0, v0
	s_mul_hi_i32 s1, s16, s6
	s_mul_i32 s0, s16, s6
	s_lshl_b64 s[0:1], s[0:1], 1
	v_mul_f32_e32 v14, 0x45800000, v0
	v_cndmask_b32_e32 v14, v0, v14, vcc
	s_add_u32 s28, s18, s0
	v_mov_b32_e32 v15, v14
	s_addc_u32 s0, s19, s1
	;;#ASMSTART
	v_pk_mul_f32 v[12:13], v[12:13], v[14:15]
	;;#ASMEND
	;;#ASMSTART
	v_pk_mul_f32 v[10:11], v[10:11], v[14:15]
	;;#ASMEND
	;; [unrolled: 3-line block ×4, first 2 shown]
	v_cvt_f32_u32_sdwa v15, v2 dst_sel:DWORD dst_unused:UNUSED_PAD src0_sel:WORD_1
	v_cvt_f32_u32_sdwa v14, v2 dst_sel:DWORD dst_unused:UNUSED_PAD src0_sel:WORD_0
	v_cvt_f32_u32_sdwa v17, v3 dst_sel:DWORD dst_unused:UNUSED_PAD src0_sel:WORD_1
	v_cvt_f32_u32_sdwa v16, v3 dst_sel:DWORD dst_unused:UNUSED_PAD src0_sel:WORD_0
	;; [unrolled: 2-line block ×4, first 2 shown]
	;;#ASMSTART
	v_pk_mul_f32 v[4:5], v[12:13], v[14:15]
	;;#ASMEND
	s_and_b32 s29, s0, 0xffff
	s_mov_b32 s0, 0x7060302
	;;#ASMSTART
	v_pk_mul_f32 v[10:11], v[10:11], v[16:17]
	;;#ASMEND
	;;#ASMSTART
	v_pk_mul_f32 v[8:9], v[8:9], v[2:3]
	;;#ASMEND
	;; [unrolled: 3-line block ×3, first 2 shown]
	v_perm_b32 v2, v5, v4, s0
	v_perm_b32 v3, v11, v10, s0
	;; [unrolled: 1-line block ×4, first 2 shown]
	buffer_store_dwordx4 v[2:5], v1, s[28:31], 0 offen
	;;#ASMSTART
	s_nop 0
	;;#ASMEND
	s_endpgm
	.section	.rodata,"a",@progbits
	.p2align	6, 0x0
	.amdhsa_kernel _ZN5aiter35fused_qk_rmsnorm_group_quant_kernelItN4opus5fp4_tELi128ELi8ELi4ELb1ELb1ELb0ELb0ELb0ELb0EEEvPT0_PvPT_S7_S7_PKS6_S9_S9_S9_S9_ffiiiiiiiiiiiii
		.amdhsa_group_segment_fixed_size 16
		.amdhsa_private_segment_fixed_size 0
		.amdhsa_kernarg_size 400
		.amdhsa_user_sgpr_count 6
		.amdhsa_user_sgpr_private_segment_buffer 1
		.amdhsa_user_sgpr_dispatch_ptr 0
		.amdhsa_user_sgpr_queue_ptr 0
		.amdhsa_user_sgpr_kernarg_segment_ptr 1
		.amdhsa_user_sgpr_dispatch_id 0
		.amdhsa_user_sgpr_flat_scratch_init 0
		.amdhsa_user_sgpr_kernarg_preload_length 0
		.amdhsa_user_sgpr_kernarg_preload_offset 0
		.amdhsa_user_sgpr_private_segment_size 0
		.amdhsa_uses_dynamic_stack 0
		.amdhsa_system_sgpr_private_segment_wavefront_offset 0
		.amdhsa_system_sgpr_workgroup_id_x 1
		.amdhsa_system_sgpr_workgroup_id_y 1
		.amdhsa_system_sgpr_workgroup_id_z 0
		.amdhsa_system_sgpr_workgroup_info 0
		.amdhsa_system_vgpr_workitem_id 0
		.amdhsa_next_free_vgpr 27
		.amdhsa_next_free_sgpr 48
		.amdhsa_accum_offset 28
		.amdhsa_reserve_vcc 1
		.amdhsa_reserve_flat_scratch 0
		.amdhsa_float_round_mode_32 0
		.amdhsa_float_round_mode_16_64 0
		.amdhsa_float_denorm_mode_32 3
		.amdhsa_float_denorm_mode_16_64 3
		.amdhsa_dx10_clamp 1
		.amdhsa_ieee_mode 1
		.amdhsa_fp16_overflow 0
		.amdhsa_tg_split 0
		.amdhsa_exception_fp_ieee_invalid_op 0
		.amdhsa_exception_fp_denorm_src 0
		.amdhsa_exception_fp_ieee_div_zero 0
		.amdhsa_exception_fp_ieee_overflow 0
		.amdhsa_exception_fp_ieee_underflow 0
		.amdhsa_exception_fp_ieee_inexact 0
		.amdhsa_exception_int_div_zero 0
	.end_amdhsa_kernel
	.section	.text._ZN5aiter35fused_qk_rmsnorm_group_quant_kernelItN4opus5fp4_tELi128ELi8ELi4ELb1ELb1ELb0ELb0ELb0ELb0EEEvPT0_PvPT_S7_S7_PKS6_S9_S9_S9_S9_ffiiiiiiiiiiiii,"axG",@progbits,_ZN5aiter35fused_qk_rmsnorm_group_quant_kernelItN4opus5fp4_tELi128ELi8ELi4ELb1ELb1ELb0ELb0ELb0ELb0EEEvPT0_PvPT_S7_S7_PKS6_S9_S9_S9_S9_ffiiiiiiiiiiiii,comdat
.Lfunc_end432:
	.size	_ZN5aiter35fused_qk_rmsnorm_group_quant_kernelItN4opus5fp4_tELi128ELi8ELi4ELb1ELb1ELb0ELb0ELb0ELb0EEEvPT0_PvPT_S7_S7_PKS6_S9_S9_S9_S9_ffiiiiiiiiiiiii, .Lfunc_end432-_ZN5aiter35fused_qk_rmsnorm_group_quant_kernelItN4opus5fp4_tELi128ELi8ELi4ELb1ELb1ELb0ELb0ELb0ELb0EEEvPT0_PvPT_S7_S7_PKS6_S9_S9_S9_S9_ffiiiiiiiiiiiii
                                        ; -- End function
	.section	.AMDGPU.csdata,"",@progbits
; Kernel info:
; codeLenInByte = 2828
; NumSgprs: 52
; NumVgprs: 27
; NumAgprs: 0
; TotalNumVgprs: 27
; ScratchSize: 0
; MemoryBound: 0
; FloatMode: 240
; IeeeMode: 1
; LDSByteSize: 16 bytes/workgroup (compile time only)
; SGPRBlocks: 6
; VGPRBlocks: 3
; NumSGPRsForWavesPerEU: 52
; NumVGPRsForWavesPerEU: 27
; AccumOffset: 28
; Occupancy: 8
; WaveLimiterHint : 0
; COMPUTE_PGM_RSRC2:SCRATCH_EN: 0
; COMPUTE_PGM_RSRC2:USER_SGPR: 6
; COMPUTE_PGM_RSRC2:TRAP_HANDLER: 0
; COMPUTE_PGM_RSRC2:TGID_X_EN: 1
; COMPUTE_PGM_RSRC2:TGID_Y_EN: 1
; COMPUTE_PGM_RSRC2:TGID_Z_EN: 0
; COMPUTE_PGM_RSRC2:TIDIG_COMP_CNT: 0
; COMPUTE_PGM_RSRC3_GFX90A:ACCUM_OFFSET: 6
; COMPUTE_PGM_RSRC3_GFX90A:TG_SPLIT: 0
	.section	.text._ZN5aiter35fused_qk_rmsnorm_group_quant_kernelIDF16_DB8_Li128ELi8ELi4ELb1ELb0ELb1ELb0ELb0ELb0EEEvPT0_PvPT_S6_S6_PKS5_S8_S8_S8_S8_ffiiiiiiiiiiiii,"axG",@progbits,_ZN5aiter35fused_qk_rmsnorm_group_quant_kernelIDF16_DB8_Li128ELi8ELi4ELb1ELb0ELb1ELb0ELb0ELb0EEEvPT0_PvPT_S6_S6_PKS5_S8_S8_S8_S8_ffiiiiiiiiiiiii,comdat
	.protected	_ZN5aiter35fused_qk_rmsnorm_group_quant_kernelIDF16_DB8_Li128ELi8ELi4ELb1ELb0ELb1ELb0ELb0ELb0EEEvPT0_PvPT_S6_S6_PKS5_S8_S8_S8_S8_ffiiiiiiiiiiiii ; -- Begin function _ZN5aiter35fused_qk_rmsnorm_group_quant_kernelIDF16_DB8_Li128ELi8ELi4ELb1ELb0ELb1ELb0ELb0ELb0EEEvPT0_PvPT_S6_S6_PKS5_S8_S8_S8_S8_ffiiiiiiiiiiiii
	.globl	_ZN5aiter35fused_qk_rmsnorm_group_quant_kernelIDF16_DB8_Li128ELi8ELi4ELb1ELb0ELb1ELb0ELb0ELb0EEEvPT0_PvPT_S6_S6_PKS5_S8_S8_S8_S8_ffiiiiiiiiiiiii
	.p2align	8
	.type	_ZN5aiter35fused_qk_rmsnorm_group_quant_kernelIDF16_DB8_Li128ELi8ELi4ELb1ELb0ELb1ELb0ELb0ELb0EEEvPT0_PvPT_S6_S6_PKS5_S8_S8_S8_S8_ffiiiiiiiiiiiii,@function
_ZN5aiter35fused_qk_rmsnorm_group_quant_kernelIDF16_DB8_Li128ELi8ELi4ELb1ELb0ELb1ELb0ELb0ELb0EEEvPT0_PvPT_S6_S6_PKS5_S8_S8_S8_S8_ffiiiiiiiiiiiii: ; @_ZN5aiter35fused_qk_rmsnorm_group_quant_kernelIDF16_DB8_Li128ELi8ELi4ELb1ELb0ELb1ELb0ELb0ELb0EEEvPT0_PvPT_S6_S6_PKS5_S8_S8_S8_S8_ffiiiiiiiiiiiii
; %bb.0:
	s_load_dwordx8 s[12:19], s[4:5], 0x50
	s_waitcnt lgkmcnt(0)
	s_cmp_ge_i32 s6, s14
	s_cbranch_scc1 .LBB433_17
; %bb.1:
	s_cmp_lg_u32 s7, 0
	s_cselect_b64 s[10:11], -1, 0
	s_cmp_eq_u32 s7, 0
	s_cselect_b64 s[8:9], -1, 0
	s_and_b64 s[0:1], s[8:9], exec
	s_load_dwordx2 s[20:21], s[4:5], 0x48
	s_load_dwordx2 s[36:37], s[4:5], 0x30
	s_load_dwordx4 s[24:27], s[4:5], 0x70
	s_cselect_b32 s7, s15, s16
	s_add_i32 s0, s7, 1
	s_lshr_b32 s1, s0, 31
	s_add_i32 s0, s0, s1
	s_lshl_b32 s0, s0, 1
	v_lshlrev_b32_e32 v1, 3, v0
	s_and_b32 s30, s0, -4
	v_cmp_gt_i32_e64 s[0:1], s7, v1
	v_mov_b32_e32 v20, 0
	v_mov_b32_e32 v21, 0
	;; [unrolled: 1-line block ×8, first 2 shown]
	s_and_saveexec_b64 s[2:3], s[0:1]
	s_cbranch_execz .LBB433_3
; %bb.2:
	s_load_dwordx2 s[22:23], s[4:5], 0x28
	s_load_dwordx2 s[28:29], s[4:5], 0x40
	s_and_b64 s[34:35], s[8:9], exec
	s_cselect_b32 s14, s17, s18
	s_mov_b32 s31, 0x20000
	s_waitcnt lgkmcnt(0)
	s_cselect_b32 s17, s23, s37
	s_cselect_b32 s27, s22, s36
	s_mul_hi_i32 s23, s14, s6
	s_mul_i32 s22, s14, s6
	s_lshl_b64 s[22:23], s[22:23], 1
	s_add_u32 s40, s27, s22
	s_addc_u32 s14, s17, s23
	s_and_b64 s[22:23], s[8:9], exec
	s_cselect_b32 s28, s28, s20
	s_cselect_b32 s17, s29, s21
	v_lshlrev_b32_e32 v2, 4, v0
	s_and_b32 s41, s14, 0xffff
	s_mov_b32 s42, s30
	s_mov_b32 s43, s31
	s_and_b32 s29, s17, 0xffff
	buffer_load_dwordx4 v[24:27], v2, s[40:43], 0 offen glc slc
	buffer_load_dwordx4 v[20:23], v2, s[28:31], 0 offen
.LBB433_3:
	s_or_b64 exec, exec, s[2:3]
	s_load_dwordx2 s[34:35], s[4:5], 0x80
	s_and_b64 vcc, exec, s[10:11]
	s_cbranch_vccz .LBB433_7
; %bb.4:
	v_mov_b32_e32 v29, 0
	v_mov_b32_e32 v28, 0
	v_mov_b32_e32 v7, 0
	v_mov_b32_e32 v6, 0
	v_mov_b32_e32 v15, 0
	v_mov_b32_e32 v14, 0
	v_mov_b32_e32 v11, 0
	v_mov_b32_e32 v10, 0
	s_and_saveexec_b64 s[2:3], s[0:1]
	s_cbranch_execz .LBB433_6
; %bb.5:
	s_waitcnt vmcnt(1)
	v_cvt_f32_f16_sdwa v11, v24 dst_sel:DWORD dst_unused:UNUSED_PAD src0_sel:WORD_1
	v_cvt_f32_f16_e32 v10, v24
	v_cvt_f32_f16_sdwa v15, v25 dst_sel:DWORD dst_unused:UNUSED_PAD src0_sel:WORD_1
	v_cvt_f32_f16_e32 v14, v25
	;; [unrolled: 2-line block ×4, first 2 shown]
.LBB433_6:
	s_or_b64 exec, exec, s[2:3]
	s_cbranch_execz .LBB433_8
	s_branch .LBB433_11
.LBB433_7:
                                        ; implicit-def: $vgpr10_vgpr11_vgpr12_vgpr13_vgpr14_vgpr15_vgpr16_vgpr17
                                        ; implicit-def: $vgpr29
                                        ; implicit-def: $vgpr12_vgpr13_vgpr14_vgpr15_vgpr16_vgpr17_vgpr18_vgpr19
                                        ; implicit-def: $vgpr2_vgpr3_vgpr4_vgpr5_vgpr6_vgpr7_vgpr8_vgpr9
.LBB433_8:
	v_mov_b32_e32 v29, 0
	v_mov_b32_e32 v28, 0
	;; [unrolled: 1-line block ×8, first 2 shown]
	s_and_saveexec_b64 s[2:3], s[0:1]
	s_cbranch_execz .LBB433_10
; %bb.9:
	s_load_dwordx2 s[22:23], s[4:5], 0x38
	s_mul_hi_i32 s29, s19, s6
	s_mul_i32 s28, s19, s6
	s_lshl_b64 s[28:29], s[28:29], 1
	s_mov_b32 s31, 0x20000
	s_waitcnt lgkmcnt(0)
	s_add_u32 s28, s22, s28
	s_addc_u32 s14, s23, s29
	s_and_b32 s29, s14, 0xffff
	v_lshlrev_b32_e32 v30, 4, v0
	buffer_load_dwordx4 v[2:5], v30, s[28:31], 0 offen glc slc
	s_waitcnt vmcnt(2)
	v_cvt_f32_f16_sdwa v7, v24 dst_sel:DWORD dst_unused:UNUSED_PAD src0_sel:WORD_1
	v_cvt_f32_f16_e32 v6, v24
	v_cvt_f32_f16_sdwa v9, v25 dst_sel:DWORD dst_unused:UNUSED_PAD src0_sel:WORD_1
	v_cvt_f32_f16_e32 v8, v25
	;; [unrolled: 2-line block ×4, first 2 shown]
	s_load_dwordx2 s[22:23], s[4:5], 0x20
	s_mul_hi_i32 s29, s35, s6
	s_mul_i32 s28, s35, s6
	s_lshl_b64 s[28:29], s[28:29], 1
	s_waitcnt lgkmcnt(0)
	s_add_u32 s28, s22, s28
	s_addc_u32 s14, s23, s29
	s_and_b32 s29, s14, 0xffff
	s_waitcnt vmcnt(0)
	v_cvt_f32_f16_e32 v10, v2
	v_cvt_f32_f16_sdwa v11, v2 dst_sel:DWORD dst_unused:UNUSED_PAD src0_sel:WORD_1
	v_cvt_f32_f16_e32 v2, v3
	v_cvt_f32_f16_sdwa v3, v3 dst_sel:DWORD dst_unused:UNUSED_PAD src0_sel:WORD_1
	;; [unrolled: 2-line block ×4, first 2 shown]
	v_pk_add_f32 v[10:11], v[6:7], v[10:11]
	v_pk_add_f32 v[14:15], v[8:9], v[2:3]
	;; [unrolled: 1-line block ×4, first 2 shown]
	v_cvt_f16_f32_e32 v2, v11
	v_cvt_f16_f32_e32 v3, v15
	;; [unrolled: 1-line block ×8, first 2 shown]
	v_pack_b32_f16 v5, v8, v5
	v_pack_b32_f16 v4, v9, v4
	;; [unrolled: 1-line block ×4, first 2 shown]
	buffer_store_dwordx4 v[2:5], v30, s[28:31], 0 offen glc slc
	;;#ASMSTART
	s_nop 0
	;;#ASMEND
.LBB433_10:
	s_or_b64 exec, exec, s[2:3]
.LBB433_11:
	v_mul_f32_e32 v2, v11, v11
	v_fmac_f32_e32 v2, v10, v10
	v_fmac_f32_e32 v2, v14, v14
	;; [unrolled: 1-line block ×7, first 2 shown]
	v_and_b32_e32 v4, 63, v0
	v_cmp_eq_u32_e64 s[2:3], 63, v4
	v_mov_b32_dpp v3, v2 quad_perm:[1,0,3,2] row_mask:0xf bank_mask:0xf
	v_add_f32_e32 v2, v2, v3
	s_nop 1
	v_mov_b32_dpp v3, v2 quad_perm:[2,3,0,1] row_mask:0xf bank_mask:0xf
	v_add_f32_e32 v2, v2, v3
	s_nop 1
	v_mov_b32_dpp v3, v2 row_half_mirror row_mask:0xf bank_mask:0xf
	v_add_f32_e32 v2, v2, v3
	s_nop 1
	v_mov_b32_dpp v3, v2 row_mirror row_mask:0xf bank_mask:0xf
	v_add_f32_e32 v2, v2, v3
	s_nop 1
	v_mov_b32_dpp v3, v2 row_bcast:15 row_mask:0xf bank_mask:0xf
	v_add_f32_e32 v2, v2, v3
	s_nop 1
	v_mov_b32_dpp v3, v2 row_bcast:31 row_mask:0xf bank_mask:0xf
	s_and_saveexec_b64 s[22:23], s[2:3]
	s_cbranch_execz .LBB433_13
; %bb.12:
	v_add_f32_e32 v2, v2, v3
	v_lshrrev_b32_e32 v3, 4, v0
	v_and_b32_e32 v3, 60, v3
	ds_write_b32 v3, v2 offset:8
.LBB433_13:
	s_or_b64 exec, exec, s[22:23]
	v_and_b32_e32 v2, 1, v0
	v_lshlrev_b32_e32 v18, 2, v2
	s_waitcnt lgkmcnt(0)
	s_barrier
	ds_read_b32 v2, v18 offset:8
	s_load_dwordx2 s[38:39], s[4:5], 0x18
	s_waitcnt lgkmcnt(0)
	v_mov_b32_dpp v3, v2 quad_perm:[1,0,3,2] row_mask:0xf bank_mask:0xf
	s_and_saveexec_b64 s[22:23], s[0:1]
	s_cbranch_execnz .LBB433_18
; %bb.14:
	s_or_b64 exec, exec, s[22:23]
	s_mov_b64 s[8:9], -1
	s_and_b64 vcc, exec, s[10:11]
	s_cbranch_vccnz .LBB433_19
.LBB433_15:
	s_andn2_b64 vcc, exec, s[8:9]
	s_cbranch_vccz .LBB433_22
.LBB433_16:
	s_cmp_lt_i32 s16, 1
	s_cbranch_scc0 .LBB433_29
.LBB433_17:
	s_endpgm
.LBB433_18:
	v_cvt_f32_u32_e32 v4, s7
	v_add_f32_e32 v2, v2, v3
	v_mov_b32_e32 v8, s13
	v_mov_b32_e32 v9, s12
	v_div_scale_f32 v3, s[28:29], v4, v4, v2
	v_rcp_f32_e32 v5, v3
	v_cndmask_b32_e64 v8, v8, v9, s[8:9]
	s_mov_b32 s7, 0x800000
	s_waitcnt vmcnt(0)
	v_cvt_f32_f16_sdwa v17, v23 dst_sel:DWORD dst_unused:UNUSED_PAD src0_sel:WORD_1
	v_fma_f32 v9, -v3, v5, 1.0
	v_fmac_f32_e32 v5, v9, v5
	v_div_scale_f32 v9, vcc, v2, v4, v2
	v_mul_f32_e32 v12, v9, v5
	v_fma_f32 v13, -v3, v12, v9
	v_fmac_f32_e32 v12, v13, v5
	v_fma_f32 v3, -v3, v12, v9
	v_div_fmas_f32 v3, v3, v5, v12
	v_div_fixup_f32 v2, v3, v4, v2
	v_add_f32_e32 v2, v8, v2
	v_mul_f32_e32 v3, 0x4b800000, v2
	v_cmp_gt_f32_e32 vcc, s7, v2
	v_cndmask_b32_e32 v2, v2, v3, vcc
	v_rsq_f32_e32 v2, v2
	v_cvt_f32_f16_sdwa v13, v21 dst_sel:DWORD dst_unused:UNUSED_PAD src0_sel:WORD_1
	v_cvt_f32_f16_e32 v12, v21
	v_cvt_f32_f16_e32 v16, v23
	v_mul_f32_e32 v3, 0x45800000, v2
	v_cndmask_b32_e32 v2, v2, v3, vcc
	v_mov_b32_e32 v3, v2
	;;#ASMSTART
	v_pk_mul_f32 v[4:5], v[10:11], v[2:3]
	;;#ASMEND
	v_cvt_f32_f16_sdwa v11, v20 dst_sel:DWORD dst_unused:UNUSED_PAD src0_sel:WORD_1
	v_cvt_f32_f16_e32 v10, v20
	;;#ASMSTART
	v_pk_mul_f32 v[8:9], v[14:15], v[2:3]
	;;#ASMEND
	;;#ASMSTART
	v_pk_mul_f32 v[6:7], v[6:7], v[2:3]
	;;#ASMEND
	;; [unrolled: 3-line block ×3, first 2 shown]
	v_pk_add_f32 v[10:11], v[10:11], 1.0 op_sel_hi:[1,0]
	;;#ASMSTART
	v_pk_mul_f32 v[10:11], v[4:5], v[10:11]
	;;#ASMEND
	v_pk_add_f32 v[4:5], v[12:13], 1.0 op_sel_hi:[1,0]
	v_cvt_f32_f16_sdwa v13, v22 dst_sel:DWORD dst_unused:UNUSED_PAD src0_sel:WORD_1
	v_cvt_f32_f16_e32 v12, v22
	;;#ASMSTART
	v_pk_mul_f32 v[14:15], v[8:9], v[4:5]
	;;#ASMEND
	v_pk_add_f32 v[4:5], v[12:13], 1.0 op_sel_hi:[1,0]
	;;#ASMSTART
	v_pk_mul_f32 v[6:7], v[6:7], v[4:5]
	;;#ASMEND
	v_pk_add_f32 v[4:5], v[16:17], 1.0 op_sel_hi:[1,0]
	;;#ASMSTART
	v_pk_mul_f32 v[28:29], v[2:3], v[4:5]
	;;#ASMEND
	s_or_b64 exec, exec, s[22:23]
	s_mov_b64 s[8:9], -1
	s_and_b64 vcc, exec, s[10:11]
	s_cbranch_vccz .LBB433_15
.LBB433_19:
	s_and_saveexec_b64 s[8:9], s[0:1]
	s_cbranch_execz .LBB433_21
; %bb.20:
	s_mul_hi_i32 s11, s34, s6
	s_mul_i32 s10, s34, s6
	v_cvt_f16_f32_e32 v2, v10
	v_cvt_f16_f32_e32 v3, v14
	;; [unrolled: 1-line block ×8, first 2 shown]
	s_lshl_b64 s[10:11], s[10:11], 1
	s_add_u32 s28, s38, s10
	s_addc_u32 s7, s39, s11
	s_and_b32 s29, s7, 0xffff
	s_mov_b32 s31, 0x20000
	v_pack_b32_f16 v5, v5, v8
	v_pack_b32_f16 v4, v4, v9
	;; [unrolled: 1-line block ×4, first 2 shown]
	v_lshlrev_b32_e32 v8, 4, v0
	buffer_store_dwordx4 v[2:5], v8, s[28:31], 0 offen
	;;#ASMSTART
	s_nop 0
	;;#ASMEND
.LBB433_21:
	s_or_b64 exec, exec, s[8:9]
	s_cbranch_execnz .LBB433_16
.LBB433_22:
	v_mov_b32_e32 v2, 0
	s_and_saveexec_b64 s[8:9], s[0:1]
	s_cbranch_execz .LBB433_24
; %bb.23:
	v_and_b32_e32 v2, 0x7fffffff, v10
	v_and_b32_e32 v3, 0x7fffffff, v11
	v_mov_b32_e32 v4, 0x2edbe6ff
	;;#ASMSTART
	v_max3_f32 v2, v4, v2, v3

	;;#ASMEND
	v_and_b32_e32 v3, 0x7fffffff, v14
	v_and_b32_e32 v4, 0x7fffffff, v15
	;;#ASMSTART
	v_max3_f32 v2, v2, v3, v4

	;;#ASMEND
	v_and_b32_e32 v3, 0x7fffffff, v6
	v_and_b32_e32 v4, 0x7fffffff, v7
	;; [unrolled: 6-line block ×3, first 2 shown]
	;;#ASMSTART
	v_max3_f32 v2, v2, v3, v4

	;;#ASMEND
.LBB433_24:
	s_or_b64 exec, exec, s[8:9]
	;;#ASMSTART
	v_max_f32 v3, v2, v2 quad_perm:[1,0,3,2] row_mask:0xf bank_mask:0xf bound_ctrl:1
	;;#ASMEND
	;;#ASMSTART
	v_max_f32 v2, v3, v3 quad_perm:[2,3,0,1] row_mask:0xf bank_mask:0xf bound_ctrl:1
	;;#ASMEND
	v_and_b32_e32 v3, 3, v0
	v_cmp_eq_u32_e32 vcc, 0, v3
	v_cmp_gt_i32_e64 s[8:9], s15, v1
	v_mul_f32_e32 v2, 0x3b124925, v2
	s_and_b64 s[10:11], vcc, s[8:9]
	s_and_saveexec_b64 s[8:9], s[10:11]
	s_cbranch_execz .LBB433_26
; %bb.25:
	s_load_dwordx2 s[10:11], s[4:5], 0x8
	s_mul_hi_i32 s23, s25, s6
	s_mul_i32 s22, s25, s6
	v_lshrrev_b32_e32 v3, 2, v0
	s_lshl_b64 s[22:23], s[22:23], 2
	v_mad_i64_i32 v[4:5], s[26:27], s26, v3, 0
	s_waitcnt lgkmcnt(0)
	s_add_u32 s7, s10, s22
	s_addc_u32 s10, s11, s23
	v_lshlrev_b64 v[4:5], 2, v[4:5]
	v_mov_b32_e32 v3, s10
	v_add_co_u32_e32 v4, vcc, s7, v4
	v_addc_co_u32_e32 v5, vcc, v3, v5, vcc
	global_store_dword v[4:5], v2, off
.LBB433_26:
	s_or_b64 exec, exec, s[8:9]
	;;#ASMSTART
	v_rcp_f32 v2, v2
	;;#ASMEND
	s_and_saveexec_b64 s[22:23], s[0:1]
	s_cbranch_execz .LBB433_28
; %bb.27:
	s_load_dwordx2 s[0:1], s[4:5], 0x0
	s_mul_i32 s8, s24, s6
	v_mov_b32_e32 v3, v2
	;;#ASMSTART
	v_pk_mul_f32 v[4:5], v[10:11], v[2:3]
	;;#ASMEND
	s_mul_hi_i32 s7, s24, s6
	s_waitcnt lgkmcnt(0)
	s_add_u32 s8, s0, s8
	v_mov_b32_e32 v8, 0xc3e00000
	v_mov_b32_e32 v9, 0x43e00000
	;;#ASMSTART
	v_med3_f32 v4, v4, v8, v9
v_med3_f32 v5, v5, v8, v9
v_cvt_pk_fp8_f32 v10, v4, v5
	;;#ASMEND
	s_addc_u32 s0, s1, s7
	;;#ASMSTART
	v_pk_mul_f32 v[4:5], v[14:15], v[2:3]
	;;#ASMEND
	s_and_b32 s9, s0, 0xffff
	;;#ASMSTART
	v_med3_f32 v4, v4, v8, v9
v_med3_f32 v5, v5, v8, v9
v_cvt_pk_fp8_f32 v11, v4, v5
	;;#ASMEND
	s_mov_b32 s0, 0x5040100
	v_perm_b32 v5, v11, v10, s0
	s_movk_i32 s0, 0xff
	v_and_b32_e32 v4, 0xffffff00, v11
	v_and_b32_sdwa v10, v5, s0 dst_sel:DWORD dst_unused:UNUSED_PAD src0_sel:WORD_1 src1_sel:DWORD
	s_mov_b32 s12, 0xffff
	v_or_b32_sdwa v4, v10, v4 dst_sel:WORD_1 dst_unused:UNUSED_PAD src0_sel:DWORD src1_sel:DWORD
	s_add_i32 s1, s15, 3
	v_and_or_b32 v4, v5, s12, v4
	;;#ASMSTART
	v_pk_mul_f32 v[6:7], v[6:7], v[2:3]
	;;#ASMEND
	v_mov_b32_e32 v5, v7
	s_ashr_i32 s7, s1, 31
	;;#ASMSTART
	v_med3_f32 v6, v6, v8, v9
v_med3_f32 v5, v5, v8, v9
v_cvt_pk_fp8_f32 v7, v6, v5
	;;#ASMEND
	;;#ASMSTART
	v_pk_mul_f32 v[2:3], v[28:29], v[2:3]
	;;#ASMEND
	s_lshr_b32 s7, s7, 30
	;;#ASMSTART
	v_med3_f32 v2, v2, v8, v9
v_med3_f32 v3, v3, v8, v9
v_cvt_pk_fp8_f32 v5, v2, v3
	;;#ASMEND
	s_add_i32 s1, s1, s7
	v_lshlrev_b32_e32 v2, 16, v5
	s_and_b32 s10, s1, -4
	s_mov_b32 s11, 0x20000
	v_and_or_b32 v5, v7, s12, v2
	buffer_store_dwordx2 v[4:5], v1, s[8:11], 0 offen
	;;#ASMSTART
	s_nop 0
	;;#ASMEND
.LBB433_28:
	s_or_b64 exec, exec, s[22:23]
	s_cmp_lt_i32 s16, 1
	s_cbranch_scc1 .LBB433_17
.LBB433_29:
	s_load_dword s0, s[4:5], 0x94
	s_waitcnt lgkmcnt(0)
	s_cmp_lg_u32 s0, 1
	s_cbranch_scc1 .LBB433_17
; %bb.30:
	s_lshl_b32 s0, s16, 1
	s_add_i32 s0, s0, 2
	v_cmp_gt_u32_e32 vcc, s16, v1
	s_and_b32 s22, s0, -4
	v_mov_b32_e32 v10, 0
	v_lshlrev_b32_e32 v1, 4, v0
	v_mov_b32_e32 v6, 0
	v_mov_b32_e32 v7, 0
	v_mov_b32_e32 v8, 0
	v_mov_b32_e32 v9, 0
	v_mov_b32_e32 v2, 0
	v_mov_b32_e32 v3, 0
	v_mov_b32_e32 v4, 0
	v_mov_b32_e32 v5, 0
	s_barrier
	s_and_saveexec_b64 s[0:1], vcc
	s_cbranch_execz .LBB433_32
; %bb.31:
	s_mul_hi_i32 s5, s18, s6
	s_mul_i32 s4, s18, s6
	s_and_b32 s21, s21, 0xffff
	s_lshl_b64 s[4:5], s[4:5], 1
	s_add_u32 s8, s36, s4
	s_mov_b32 s23, 0x20000
	s_addc_u32 s4, s37, s5
	s_and_b32 s9, s4, 0xffff
	s_mov_b32 s10, s22
	s_mov_b32 s11, s23
	buffer_load_dwordx4 v[6:9], v1, s[8:11], 0 offen glc slc
	buffer_load_dwordx4 v[2:5], v1, s[20:23], 0 offen
.LBB433_32:
	s_or_b64 exec, exec, s[0:1]
	v_mov_b32_e32 v11, 0
	v_mov_b32_e32 v16, 0
	;; [unrolled: 1-line block ×7, first 2 shown]
	s_and_saveexec_b64 s[0:1], vcc
	s_cbranch_execz .LBB433_34
; %bb.33:
	s_waitcnt vmcnt(1)
	v_cvt_f32_f16_sdwa v11, v6 dst_sel:DWORD dst_unused:UNUSED_PAD src0_sel:WORD_1
	v_cvt_f32_f16_e32 v10, v6
	v_cvt_f32_f16_sdwa v17, v7 dst_sel:DWORD dst_unused:UNUSED_PAD src0_sel:WORD_1
	v_cvt_f32_f16_e32 v16, v7
	v_cvt_f32_f16_sdwa v15, v8 dst_sel:DWORD dst_unused:UNUSED_PAD src0_sel:WORD_1
	v_cvt_f32_f16_e32 v14, v8
	v_cvt_f32_f16_sdwa v13, v9 dst_sel:DWORD dst_unused:UNUSED_PAD src0_sel:WORD_1
	v_cvt_f32_f16_e32 v12, v9
.LBB433_34:
	s_or_b64 exec, exec, s[0:1]
	s_waitcnt vmcnt(1)
	v_mul_f32_e32 v6, v11, v11
	v_fmac_f32_e32 v6, v10, v10
	v_fmac_f32_e32 v6, v16, v16
	;; [unrolled: 1-line block ×7, first 2 shown]
	s_nop 1
	v_mov_b32_dpp v7, v6 quad_perm:[1,0,3,2] row_mask:0xf bank_mask:0xf
	v_add_f32_e32 v6, v6, v7
	s_nop 1
	v_mov_b32_dpp v7, v6 quad_perm:[2,3,0,1] row_mask:0xf bank_mask:0xf
	v_add_f32_e32 v6, v6, v7
	s_nop 1
	v_mov_b32_dpp v7, v6 row_half_mirror row_mask:0xf bank_mask:0xf
	v_add_f32_e32 v6, v6, v7
	s_nop 1
	v_mov_b32_dpp v7, v6 row_mirror row_mask:0xf bank_mask:0xf
	v_add_f32_e32 v6, v6, v7
	s_nop 1
	v_mov_b32_dpp v7, v6 row_bcast:15 row_mask:0xf bank_mask:0xf
	v_add_f32_e32 v6, v6, v7
	s_nop 1
	v_mov_b32_dpp v7, v6 row_bcast:31 row_mask:0xf bank_mask:0xf
	s_and_saveexec_b64 s[0:1], s[2:3]
	s_cbranch_execz .LBB433_36
; %bb.35:
	v_lshrrev_b32_e32 v0, 4, v0
	v_add_f32_e32 v6, v6, v7
	v_and_b32_e32 v0, 60, v0
	ds_write_b32 v0, v6
.LBB433_36:
	s_or_b64 exec, exec, s[0:1]
	s_waitcnt lgkmcnt(0)
	s_barrier
	ds_read_b32 v0, v18
	s_waitcnt lgkmcnt(0)
	s_nop 0
	v_mov_b32_dpp v6, v0 quad_perm:[1,0,3,2] row_mask:0xf bank_mask:0xf
	s_and_saveexec_b64 s[0:1], vcc
	s_cbranch_execz .LBB433_17
; %bb.37:
	v_cvt_f32_u32_e32 v7, s16
	v_add_f32_e32 v0, v0, v6
	s_mov_b32 s23, 0x20000
	v_div_scale_f32 v6, s[0:1], v7, v7, v0
	v_rcp_f32_e32 v8, v6
	v_div_scale_f32 v9, vcc, v0, v7, v0
	s_mov_b32 s0, 0x800000
	v_fma_f32 v18, -v6, v8, 1.0
	v_fmac_f32_e32 v8, v18, v8
	v_mul_f32_e32 v18, v9, v8
	v_fma_f32 v19, -v6, v18, v9
	v_fmac_f32_e32 v18, v19, v8
	v_fma_f32 v6, -v6, v18, v9
	v_div_fmas_f32 v6, v6, v8, v18
	v_div_fixup_f32 v0, v6, v7, v0
	v_add_f32_e32 v0, s13, v0
	v_mul_f32_e32 v6, 0x4b800000, v0
	v_cmp_gt_f32_e32 vcc, s0, v0
	v_cndmask_b32_e32 v0, v0, v6, vcc
	v_rsq_f32_e32 v0, v0
	s_waitcnt vmcnt(0)
	v_cvt_f32_f16_sdwa v19, v3 dst_sel:DWORD dst_unused:UNUSED_PAD src0_sel:WORD_1
	v_cvt_f32_f16_e32 v18, v3
	s_mul_hi_i32 s1, s34, s6
	v_mul_f32_e32 v6, 0x45800000, v0
	v_cndmask_b32_e32 v6, v0, v6, vcc
	v_mov_b32_e32 v7, v6
	;;#ASMSTART
	v_pk_mul_f32 v[8:9], v[10:11], v[6:7]
	;;#ASMEND
	;;#ASMSTART
	v_pk_mul_f32 v[10:11], v[16:17], v[6:7]
	;;#ASMEND
	v_cvt_f32_f16_sdwa v17, v2 dst_sel:DWORD dst_unused:UNUSED_PAD src0_sel:WORD_1
	v_cvt_f32_f16_e32 v16, v2
	;;#ASMSTART
	v_pk_mul_f32 v[14:15], v[14:15], v[6:7]
	;;#ASMEND
	;;#ASMSTART
	v_pk_mul_f32 v[2:3], v[12:13], v[6:7]
	;;#ASMEND
	v_cvt_f32_f16_sdwa v13, v4 dst_sel:DWORD dst_unused:UNUSED_PAD src0_sel:WORD_1
	v_cvt_f32_f16_e32 v12, v4
	v_pk_add_f32 v[6:7], v[16:17], 1.0 op_sel_hi:[1,0]
	v_cvt_f32_f16_sdwa v17, v5 dst_sel:DWORD dst_unused:UNUSED_PAD src0_sel:WORD_1
	v_cvt_f32_f16_e32 v16, v5
	;;#ASMSTART
	v_pk_mul_f32 v[6:7], v[8:9], v[6:7]
	;;#ASMEND
	v_pk_add_f32 v[8:9], v[18:19], 1.0 op_sel_hi:[1,0]
	;;#ASMSTART
	v_pk_mul_f32 v[4:5], v[10:11], v[8:9]
	;;#ASMEND
	v_pk_add_f32 v[8:9], v[12:13], 1.0 op_sel_hi:[1,0]
	;; [unrolled: 4-line block ×3, first 2 shown]
	;;#ASMSTART
	v_pk_mul_f32 v[2:3], v[2:3], v[10:11]
	;;#ASMEND
	s_mul_i32 s0, s34, s6
	v_cvt_f16_f32_e32 v0, v6
	v_cvt_f16_f32_e32 v6, v7
	;; [unrolled: 1-line block ×8, first 2 shown]
	s_lshl_b64 s[0:1], s[0:1], 1
	s_add_u32 s20, s38, s0
	s_addc_u32 s0, s39, s1
	s_and_b32 s21, s0, 0xffff
	v_pack_b32_f16 v2, v0, v6
	v_pack_b32_f16 v3, v4, v5
	;; [unrolled: 1-line block ×4, first 2 shown]
	buffer_store_dwordx4 v[2:5], v1, s[20:23], 0 offen
	;;#ASMSTART
	s_nop 0
	;;#ASMEND
	s_endpgm
	.section	.rodata,"a",@progbits
	.p2align	6, 0x0
	.amdhsa_kernel _ZN5aiter35fused_qk_rmsnorm_group_quant_kernelIDF16_DB8_Li128ELi8ELi4ELb1ELb0ELb1ELb0ELb0ELb0EEEvPT0_PvPT_S6_S6_PKS5_S8_S8_S8_S8_ffiiiiiiiiiiiii
		.amdhsa_group_segment_fixed_size 16
		.amdhsa_private_segment_fixed_size 0
		.amdhsa_kernarg_size 400
		.amdhsa_user_sgpr_count 6
		.amdhsa_user_sgpr_private_segment_buffer 1
		.amdhsa_user_sgpr_dispatch_ptr 0
		.amdhsa_user_sgpr_queue_ptr 0
		.amdhsa_user_sgpr_kernarg_segment_ptr 1
		.amdhsa_user_sgpr_dispatch_id 0
		.amdhsa_user_sgpr_flat_scratch_init 0
		.amdhsa_user_sgpr_kernarg_preload_length 0
		.amdhsa_user_sgpr_kernarg_preload_offset 0
		.amdhsa_user_sgpr_private_segment_size 0
		.amdhsa_uses_dynamic_stack 0
		.amdhsa_system_sgpr_private_segment_wavefront_offset 0
		.amdhsa_system_sgpr_workgroup_id_x 1
		.amdhsa_system_sgpr_workgroup_id_y 1
		.amdhsa_system_sgpr_workgroup_id_z 0
		.amdhsa_system_sgpr_workgroup_info 0
		.amdhsa_system_vgpr_workitem_id 0
		.amdhsa_next_free_vgpr 31
		.amdhsa_next_free_sgpr 44
		.amdhsa_accum_offset 32
		.amdhsa_reserve_vcc 1
		.amdhsa_reserve_flat_scratch 0
		.amdhsa_float_round_mode_32 0
		.amdhsa_float_round_mode_16_64 0
		.amdhsa_float_denorm_mode_32 3
		.amdhsa_float_denorm_mode_16_64 3
		.amdhsa_dx10_clamp 1
		.amdhsa_ieee_mode 1
		.amdhsa_fp16_overflow 0
		.amdhsa_tg_split 0
		.amdhsa_exception_fp_ieee_invalid_op 0
		.amdhsa_exception_fp_denorm_src 0
		.amdhsa_exception_fp_ieee_div_zero 0
		.amdhsa_exception_fp_ieee_overflow 0
		.amdhsa_exception_fp_ieee_underflow 0
		.amdhsa_exception_fp_ieee_inexact 0
		.amdhsa_exception_int_div_zero 0
	.end_amdhsa_kernel
	.section	.text._ZN5aiter35fused_qk_rmsnorm_group_quant_kernelIDF16_DB8_Li128ELi8ELi4ELb1ELb0ELb1ELb0ELb0ELb0EEEvPT0_PvPT_S6_S6_PKS5_S8_S8_S8_S8_ffiiiiiiiiiiiii,"axG",@progbits,_ZN5aiter35fused_qk_rmsnorm_group_quant_kernelIDF16_DB8_Li128ELi8ELi4ELb1ELb0ELb1ELb0ELb0ELb0EEEvPT0_PvPT_S6_S6_PKS5_S8_S8_S8_S8_ffiiiiiiiiiiiii,comdat
.Lfunc_end433:
	.size	_ZN5aiter35fused_qk_rmsnorm_group_quant_kernelIDF16_DB8_Li128ELi8ELi4ELb1ELb0ELb1ELb0ELb0ELb0EEEvPT0_PvPT_S6_S6_PKS5_S8_S8_S8_S8_ffiiiiiiiiiiiii, .Lfunc_end433-_ZN5aiter35fused_qk_rmsnorm_group_quant_kernelIDF16_DB8_Li128ELi8ELi4ELb1ELb0ELb1ELb0ELb0ELb0EEEvPT0_PvPT_S6_S6_PKS5_S8_S8_S8_S8_ffiiiiiiiiiiiii
                                        ; -- End function
	.section	.AMDGPU.csdata,"",@progbits
; Kernel info:
; codeLenInByte = 2868
; NumSgprs: 48
; NumVgprs: 31
; NumAgprs: 0
; TotalNumVgprs: 31
; ScratchSize: 0
; MemoryBound: 0
; FloatMode: 240
; IeeeMode: 1
; LDSByteSize: 16 bytes/workgroup (compile time only)
; SGPRBlocks: 5
; VGPRBlocks: 3
; NumSGPRsForWavesPerEU: 48
; NumVGPRsForWavesPerEU: 31
; AccumOffset: 32
; Occupancy: 8
; WaveLimiterHint : 0
; COMPUTE_PGM_RSRC2:SCRATCH_EN: 0
; COMPUTE_PGM_RSRC2:USER_SGPR: 6
; COMPUTE_PGM_RSRC2:TRAP_HANDLER: 0
; COMPUTE_PGM_RSRC2:TGID_X_EN: 1
; COMPUTE_PGM_RSRC2:TGID_Y_EN: 1
; COMPUTE_PGM_RSRC2:TGID_Z_EN: 0
; COMPUTE_PGM_RSRC2:TIDIG_COMP_CNT: 0
; COMPUTE_PGM_RSRC3_GFX90A:ACCUM_OFFSET: 7
; COMPUTE_PGM_RSRC3_GFX90A:TG_SPLIT: 0
	.section	.text._ZN5aiter35fused_qk_rmsnorm_group_quant_kernelItDB8_Li128ELi8ELi4ELb1ELb0ELb1ELb0ELb0ELb0EEEvPT0_PvPT_S6_S6_PKS5_S8_S8_S8_S8_ffiiiiiiiiiiiii,"axG",@progbits,_ZN5aiter35fused_qk_rmsnorm_group_quant_kernelItDB8_Li128ELi8ELi4ELb1ELb0ELb1ELb0ELb0ELb0EEEvPT0_PvPT_S6_S6_PKS5_S8_S8_S8_S8_ffiiiiiiiiiiiii,comdat
	.protected	_ZN5aiter35fused_qk_rmsnorm_group_quant_kernelItDB8_Li128ELi8ELi4ELb1ELb0ELb1ELb0ELb0ELb0EEEvPT0_PvPT_S6_S6_PKS5_S8_S8_S8_S8_ffiiiiiiiiiiiii ; -- Begin function _ZN5aiter35fused_qk_rmsnorm_group_quant_kernelItDB8_Li128ELi8ELi4ELb1ELb0ELb1ELb0ELb0ELb0EEEvPT0_PvPT_S6_S6_PKS5_S8_S8_S8_S8_ffiiiiiiiiiiiii
	.globl	_ZN5aiter35fused_qk_rmsnorm_group_quant_kernelItDB8_Li128ELi8ELi4ELb1ELb0ELb1ELb0ELb0ELb0EEEvPT0_PvPT_S6_S6_PKS5_S8_S8_S8_S8_ffiiiiiiiiiiiii
	.p2align	8
	.type	_ZN5aiter35fused_qk_rmsnorm_group_quant_kernelItDB8_Li128ELi8ELi4ELb1ELb0ELb1ELb0ELb0ELb0EEEvPT0_PvPT_S6_S6_PKS5_S8_S8_S8_S8_ffiiiiiiiiiiiii,@function
_ZN5aiter35fused_qk_rmsnorm_group_quant_kernelItDB8_Li128ELi8ELi4ELb1ELb0ELb1ELb0ELb0ELb0EEEvPT0_PvPT_S6_S6_PKS5_S8_S8_S8_S8_ffiiiiiiiiiiiii: ; @_ZN5aiter35fused_qk_rmsnorm_group_quant_kernelItDB8_Li128ELi8ELi4ELb1ELb0ELb1ELb0ELb0ELb0EEEvPT0_PvPT_S6_S6_PKS5_S8_S8_S8_S8_ffiiiiiiiiiiiii
; %bb.0:
	s_load_dwordx8 s[12:19], s[4:5], 0x50
	s_waitcnt lgkmcnt(0)
	s_cmp_ge_i32 s6, s14
	s_cbranch_scc1 .LBB434_17
; %bb.1:
	s_cmp_lg_u32 s7, 0
	s_cselect_b64 s[10:11], -1, 0
	s_cmp_eq_u32 s7, 0
	s_cselect_b64 s[8:9], -1, 0
	s_and_b64 s[0:1], s[8:9], exec
	s_load_dwordx2 s[20:21], s[4:5], 0x48
	s_load_dwordx2 s[36:37], s[4:5], 0x30
	s_load_dwordx4 s[24:27], s[4:5], 0x70
	s_cselect_b32 s7, s15, s16
	s_add_i32 s0, s7, 1
	s_lshr_b32 s1, s0, 31
	s_add_i32 s0, s0, s1
	s_lshl_b32 s0, s0, 1
	v_lshlrev_b32_e32 v1, 3, v0
	s_and_b32 s30, s0, -4
	v_cmp_gt_i32_e64 s[0:1], s7, v1
	v_mov_b32_e32 v10, 0
	v_mov_b32_e32 v11, 0
	;; [unrolled: 1-line block ×8, first 2 shown]
	s_and_saveexec_b64 s[2:3], s[0:1]
	s_cbranch_execz .LBB434_3
; %bb.2:
	s_load_dwordx2 s[22:23], s[4:5], 0x28
	s_load_dwordx2 s[28:29], s[4:5], 0x40
	s_and_b64 s[34:35], s[8:9], exec
	s_cselect_b32 s14, s17, s18
	s_mov_b32 s31, 0x20000
	s_waitcnt lgkmcnt(0)
	s_cselect_b32 s17, s23, s37
	s_cselect_b32 s27, s22, s36
	s_mul_hi_i32 s23, s14, s6
	s_mul_i32 s22, s14, s6
	s_lshl_b64 s[22:23], s[22:23], 1
	s_add_u32 s40, s27, s22
	s_addc_u32 s14, s17, s23
	s_and_b64 s[22:23], s[8:9], exec
	s_cselect_b32 s28, s28, s20
	s_cselect_b32 s17, s29, s21
	v_lshlrev_b32_e32 v2, 4, v0
	s_and_b32 s41, s14, 0xffff
	s_mov_b32 s42, s30
	s_mov_b32 s43, s31
	s_and_b32 s29, s17, 0xffff
	buffer_load_dwordx4 v[14:17], v2, s[40:43], 0 offen glc slc
	buffer_load_dwordx4 v[10:13], v2, s[28:31], 0 offen
.LBB434_3:
	s_or_b64 exec, exec, s[2:3]
	s_load_dwordx2 s[34:35], s[4:5], 0x80
	s_and_b64 vcc, exec, s[10:11]
	s_cbranch_vccz .LBB434_7
; %bb.4:
	s_mov_b32 s40, 0
	s_mov_b32 s41, s40
	;; [unrolled: 1-line block ×8, first 2 shown]
	v_pk_mov_b32 v[2:3], s[40:41], s[40:41] op_sel:[0,1]
	v_pk_mov_b32 v[4:5], s[42:43], s[42:43] op_sel:[0,1]
	;; [unrolled: 1-line block ×4, first 2 shown]
	s_and_saveexec_b64 s[2:3], s[0:1]
	s_cbranch_execz .LBB434_6
; %bb.5:
	s_waitcnt vmcnt(1)
	v_cvt_f32_u32_sdwa v3, v14 dst_sel:DWORD dst_unused:UNUSED_PAD src0_sel:WORD_1
	v_cvt_f32_u32_sdwa v2, v14 dst_sel:DWORD dst_unused:UNUSED_PAD src0_sel:WORD_0
	v_cvt_f32_u32_sdwa v5, v15 dst_sel:DWORD dst_unused:UNUSED_PAD src0_sel:WORD_1
	v_cvt_f32_u32_sdwa v4, v15 dst_sel:DWORD dst_unused:UNUSED_PAD src0_sel:WORD_0
	;; [unrolled: 2-line block ×4, first 2 shown]
.LBB434_6:
	s_or_b64 exec, exec, s[2:3]
	s_cbranch_execz .LBB434_8
	s_branch .LBB434_11
.LBB434_7:
                                        ; implicit-def: $vgpr2_vgpr3_vgpr4_vgpr5_vgpr6_vgpr7_vgpr8_vgpr9
.LBB434_8:
	s_mov_b32 s40, 0
	s_mov_b32 s41, s40
	;; [unrolled: 1-line block ×8, first 2 shown]
	v_pk_mov_b32 v[2:3], s[40:41], s[40:41] op_sel:[0,1]
	v_pk_mov_b32 v[4:5], s[42:43], s[42:43] op_sel:[0,1]
	;; [unrolled: 1-line block ×4, first 2 shown]
	s_and_saveexec_b64 s[2:3], s[0:1]
	s_cbranch_execz .LBB434_10
; %bb.9:
	s_load_dwordx2 s[22:23], s[4:5], 0x38
	s_mul_hi_i32 s29, s19, s6
	s_mul_i32 s28, s19, s6
	s_lshl_b64 s[28:29], s[28:29], 1
	s_mov_b32 s31, 0x20000
	s_waitcnt lgkmcnt(0)
	s_add_u32 s28, s22, s28
	s_addc_u32 s14, s23, s29
	s_and_b32 s29, s14, 0xffff
	v_lshlrev_b32_e32 v26, 4, v0
	buffer_load_dwordx4 v[2:5], v26, s[28:31], 0 offen glc slc
	s_load_dwordx2 s[22:23], s[4:5], 0x20
	s_waitcnt vmcnt(2)
	v_cvt_f32_u32_sdwa v7, v14 dst_sel:DWORD dst_unused:UNUSED_PAD src0_sel:WORD_1
	v_cvt_f32_u32_sdwa v6, v14 dst_sel:DWORD dst_unused:UNUSED_PAD src0_sel:WORD_0
	v_cvt_f32_u32_sdwa v9, v15 dst_sel:DWORD dst_unused:UNUSED_PAD src0_sel:WORD_1
	v_cvt_f32_u32_sdwa v8, v15 dst_sel:DWORD dst_unused:UNUSED_PAD src0_sel:WORD_0
	;; [unrolled: 2-line block ×4, first 2 shown]
	s_mul_hi_i32 s29, s35, s6
	s_mul_i32 s28, s35, s6
	s_lshl_b64 s[28:29], s[28:29], 1
	s_waitcnt lgkmcnt(0)
	s_add_u32 s28, s22, s28
	s_mov_b32 s14, 0x7060302
	s_addc_u32 s17, s23, s29
	s_and_b32 s29, s17, 0xffff
	s_waitcnt vmcnt(0)
	v_cvt_f32_u32_sdwa v17, v2 dst_sel:DWORD dst_unused:UNUSED_PAD src0_sel:WORD_1
	v_cvt_f32_u32_sdwa v16, v2 dst_sel:DWORD dst_unused:UNUSED_PAD src0_sel:WORD_0
	v_cvt_f32_u32_sdwa v21, v3 dst_sel:DWORD dst_unused:UNUSED_PAD src0_sel:WORD_1
	v_cvt_f32_u32_sdwa v20, v3 dst_sel:DWORD dst_unused:UNUSED_PAD src0_sel:WORD_0
	v_cvt_f32_u32_sdwa v23, v4 dst_sel:DWORD dst_unused:UNUSED_PAD src0_sel:WORD_1
	v_cvt_f32_u32_sdwa v22, v4 dst_sel:DWORD dst_unused:UNUSED_PAD src0_sel:WORD_0
	v_cvt_f32_u32_sdwa v25, v5 dst_sel:DWORD dst_unused:UNUSED_PAD src0_sel:WORD_1
	v_cvt_f32_u32_sdwa v24, v5 dst_sel:DWORD dst_unused:UNUSED_PAD src0_sel:WORD_0
	v_pk_add_f32 v[2:3], v[6:7], v[16:17]
	v_pk_add_f32 v[4:5], v[8:9], v[20:21]
	;; [unrolled: 1-line block ×4, first 2 shown]
	v_perm_b32 v17, v9, v8, s14
	v_perm_b32 v16, v7, v6, s14
	;; [unrolled: 1-line block ×4, first 2 shown]
	buffer_store_dwordx4 v[14:17], v26, s[28:31], 0 offen glc slc
	;;#ASMSTART
	s_nop 0
	;;#ASMEND
.LBB434_10:
	s_or_b64 exec, exec, s[2:3]
.LBB434_11:
	s_waitcnt vmcnt(1)
	v_mul_f32_e32 v14, v3, v3
	v_fmac_f32_e32 v14, v2, v2
	v_fmac_f32_e32 v14, v4, v4
	;; [unrolled: 1-line block ×7, first 2 shown]
	v_and_b32_e32 v16, 63, v0
	v_cmp_eq_u32_e64 s[2:3], 63, v16
	v_mov_b32_dpp v15, v14 quad_perm:[1,0,3,2] row_mask:0xf bank_mask:0xf
	v_add_f32_e32 v14, v14, v15
	s_nop 1
	v_mov_b32_dpp v15, v14 quad_perm:[2,3,0,1] row_mask:0xf bank_mask:0xf
	v_add_f32_e32 v14, v14, v15
	s_nop 1
	v_mov_b32_dpp v15, v14 row_half_mirror row_mask:0xf bank_mask:0xf
	v_add_f32_e32 v14, v14, v15
	s_nop 1
	v_mov_b32_dpp v15, v14 row_mirror row_mask:0xf bank_mask:0xf
	v_add_f32_e32 v14, v14, v15
	s_nop 1
	v_mov_b32_dpp v15, v14 row_bcast:15 row_mask:0xf bank_mask:0xf
	v_add_f32_e32 v14, v14, v15
	s_nop 1
	v_mov_b32_dpp v15, v14 row_bcast:31 row_mask:0xf bank_mask:0xf
	s_and_saveexec_b64 s[22:23], s[2:3]
	s_cbranch_execz .LBB434_13
; %bb.12:
	v_add_f32_e32 v14, v14, v15
	v_lshrrev_b32_e32 v15, 4, v0
	v_and_b32_e32 v15, 60, v15
	ds_write_b32 v15, v14 offset:8
.LBB434_13:
	s_or_b64 exec, exec, s[22:23]
	v_and_b32_e32 v14, 1, v0
	v_lshlrev_b32_e32 v14, 2, v14
	s_waitcnt lgkmcnt(0)
	s_barrier
	ds_read_b32 v15, v14 offset:8
	s_load_dwordx2 s[38:39], s[4:5], 0x18
	s_waitcnt lgkmcnt(0)
	v_mov_b32_dpp v16, v15 quad_perm:[1,0,3,2] row_mask:0xf bank_mask:0xf
	s_and_saveexec_b64 s[22:23], s[0:1]
	s_cbranch_execnz .LBB434_18
; %bb.14:
	s_or_b64 exec, exec, s[22:23]
	s_mov_b64 s[8:9], -1
	s_and_b64 vcc, exec, s[10:11]
	s_cbranch_vccnz .LBB434_19
.LBB434_15:
	s_andn2_b64 vcc, exec, s[8:9]
	s_cbranch_vccz .LBB434_22
.LBB434_16:
	s_cmp_lt_i32 s16, 1
	s_cbranch_scc0 .LBB434_29
.LBB434_17:
	s_endpgm
.LBB434_18:
	v_cvt_f32_u32_e32 v17, s7
	v_add_f32_e32 v15, v15, v16
	v_mov_b32_e32 v19, s13
	v_mov_b32_e32 v20, s12
	v_div_scale_f32 v16, s[28:29], v17, v17, v15
	v_rcp_f32_e32 v18, v16
	v_cndmask_b32_e64 v19, v19, v20, s[8:9]
	s_mov_b32 s7, 0x800000
	v_fma_f32 v20, -v16, v18, 1.0
	v_fmac_f32_e32 v18, v20, v18
	v_div_scale_f32 v20, vcc, v15, v17, v15
	v_mul_f32_e32 v21, v20, v18
	v_fma_f32 v22, -v16, v21, v20
	v_fmac_f32_e32 v21, v22, v18
	v_fma_f32 v16, -v16, v21, v20
	v_div_fmas_f32 v16, v16, v18, v21
	v_div_fixup_f32 v15, v16, v17, v15
	v_add_f32_e32 v15, v19, v15
	v_mul_f32_e32 v16, 0x4b800000, v15
	v_cmp_gt_f32_e32 vcc, s7, v15
	v_cndmask_b32_e32 v15, v15, v16, vcc
	v_rsq_f32_e32 v15, v15
	s_waitcnt vmcnt(0)
	v_cvt_f32_u32_sdwa v19, v10 dst_sel:DWORD dst_unused:UNUSED_PAD src0_sel:WORD_1
	v_cvt_f32_u32_sdwa v18, v10 dst_sel:DWORD dst_unused:UNUSED_PAD src0_sel:WORD_0
	v_cvt_f32_u32_sdwa v21, v11 dst_sel:DWORD dst_unused:UNUSED_PAD src0_sel:WORD_1
	v_mul_f32_e32 v16, 0x45800000, v15
	v_cndmask_b32_e32 v16, v15, v16, vcc
	v_mov_b32_e32 v17, v16
	v_cvt_f32_u32_sdwa v20, v11 dst_sel:DWORD dst_unused:UNUSED_PAD src0_sel:WORD_0
	;;#ASMSTART
	v_pk_mul_f32 v[2:3], v[2:3], v[16:17]
	;;#ASMEND
	;;#ASMSTART
	v_pk_mul_f32 v[4:5], v[4:5], v[16:17]
	;;#ASMEND
	;; [unrolled: 3-line block ×4, first 2 shown]
	v_cvt_f32_u32_sdwa v17, v12 dst_sel:DWORD dst_unused:UNUSED_PAD src0_sel:WORD_1
	v_cvt_f32_u32_sdwa v16, v12 dst_sel:DWORD dst_unused:UNUSED_PAD src0_sel:WORD_0
	v_pk_add_f32 v[10:11], v[18:19], 1.0 op_sel_hi:[1,0]
	v_cvt_f32_u32_sdwa v19, v13 dst_sel:DWORD dst_unused:UNUSED_PAD src0_sel:WORD_1
	v_cvt_f32_u32_sdwa v18, v13 dst_sel:DWORD dst_unused:UNUSED_PAD src0_sel:WORD_0
	;;#ASMSTART
	v_pk_mul_f32 v[2:3], v[2:3], v[10:11]
	;;#ASMEND
	v_pk_add_f32 v[10:11], v[20:21], 1.0 op_sel_hi:[1,0]
	;;#ASMSTART
	v_pk_mul_f32 v[4:5], v[4:5], v[10:11]
	;;#ASMEND
	v_pk_add_f32 v[10:11], v[16:17], 1.0 op_sel_hi:[1,0]
	;; [unrolled: 4-line block ×3, first 2 shown]
	;;#ASMSTART
	v_pk_mul_f32 v[8:9], v[8:9], v[10:11]
	;;#ASMEND
	s_or_b64 exec, exec, s[22:23]
	s_mov_b64 s[8:9], -1
	s_and_b64 vcc, exec, s[10:11]
	s_cbranch_vccz .LBB434_15
.LBB434_19:
	s_and_saveexec_b64 s[8:9], s[0:1]
	s_cbranch_execz .LBB434_21
; %bb.20:
	s_mul_hi_i32 s11, s34, s6
	s_mul_i32 s10, s34, s6
	s_lshl_b64 s[10:11], s[10:11], 1
	s_add_u32 s28, s38, s10
	s_addc_u32 s7, s39, s11
	s_and_b32 s29, s7, 0xffff
	s_mov_b32 s7, 0x7060302
	s_mov_b32 s31, 0x20000
	s_waitcnt vmcnt(0)
	v_perm_b32 v10, v3, v2, s7
	v_perm_b32 v11, v5, v4, s7
	;; [unrolled: 1-line block ×4, first 2 shown]
	v_lshlrev_b32_e32 v15, 4, v0
	buffer_store_dwordx4 v[10:13], v15, s[28:31], 0 offen
	;;#ASMSTART
	s_nop 0
	;;#ASMEND
.LBB434_21:
	s_or_b64 exec, exec, s[8:9]
	s_cbranch_execnz .LBB434_16
.LBB434_22:
	s_waitcnt vmcnt(0)
	v_mov_b32_e32 v10, 0
	s_and_saveexec_b64 s[8:9], s[0:1]
	s_cbranch_execz .LBB434_24
; %bb.23:
	v_and_b32_e32 v10, 0x7fffffff, v2
	v_and_b32_e32 v11, 0x7fffffff, v3
	v_mov_b32_e32 v12, 0x2edbe6ff
	;;#ASMSTART
	v_max3_f32 v10, v12, v10, v11

	;;#ASMEND
	v_and_b32_e32 v11, 0x7fffffff, v4
	v_and_b32_e32 v12, 0x7fffffff, v5
	;;#ASMSTART
	v_max3_f32 v10, v10, v11, v12

	;;#ASMEND
	v_and_b32_e32 v11, 0x7fffffff, v6
	v_and_b32_e32 v12, 0x7fffffff, v7
	;; [unrolled: 6-line block ×3, first 2 shown]
	;;#ASMSTART
	v_max3_f32 v10, v10, v11, v12

	;;#ASMEND
.LBB434_24:
	s_or_b64 exec, exec, s[8:9]
	;;#ASMSTART
	v_max_f32 v11, v10, v10 quad_perm:[1,0,3,2] row_mask:0xf bank_mask:0xf bound_ctrl:1
	;;#ASMEND
	;;#ASMSTART
	v_max_f32 v10, v11, v11 quad_perm:[2,3,0,1] row_mask:0xf bank_mask:0xf bound_ctrl:1
	;;#ASMEND
	v_and_b32_e32 v11, 3, v0
	v_cmp_eq_u32_e32 vcc, 0, v11
	v_cmp_gt_i32_e64 s[8:9], s15, v1
	v_mul_f32_e32 v10, 0x3b124925, v10
	s_and_b64 s[10:11], vcc, s[8:9]
	s_and_saveexec_b64 s[8:9], s[10:11]
	s_cbranch_execz .LBB434_26
; %bb.25:
	s_load_dwordx2 s[10:11], s[4:5], 0x8
	s_mul_hi_i32 s23, s25, s6
	s_mul_i32 s22, s25, s6
	v_lshrrev_b32_e32 v11, 2, v0
	s_lshl_b64 s[22:23], s[22:23], 2
	v_mad_i64_i32 v[12:13], s[26:27], s26, v11, 0
	s_waitcnt lgkmcnt(0)
	s_add_u32 s7, s10, s22
	s_addc_u32 s10, s11, s23
	v_lshlrev_b64 v[12:13], 2, v[12:13]
	v_mov_b32_e32 v11, s10
	v_add_co_u32_e32 v12, vcc, s7, v12
	v_addc_co_u32_e32 v13, vcc, v11, v13, vcc
	global_store_dword v[12:13], v10, off
.LBB434_26:
	s_or_b64 exec, exec, s[8:9]
	;;#ASMSTART
	v_rcp_f32 v10, v10
	;;#ASMEND
	s_and_saveexec_b64 s[22:23], s[0:1]
	s_cbranch_execz .LBB434_28
; %bb.27:
	s_load_dwordx2 s[0:1], s[4:5], 0x0
	s_mul_i32 s8, s24, s6
	v_mov_b32_e32 v11, v10
	;;#ASMSTART
	v_pk_mul_f32 v[2:3], v[2:3], v[10:11]
	;;#ASMEND
	s_mul_hi_i32 s7, s24, s6
	s_waitcnt lgkmcnt(0)
	s_add_u32 s8, s0, s8
	v_mov_b32_e32 v12, 0xc3e00000
	v_mov_b32_e32 v13, 0x43e00000
	;;#ASMSTART
	v_med3_f32 v2, v2, v12, v13
v_med3_f32 v3, v3, v12, v13
v_cvt_pk_fp8_f32 v15, v2, v3
	;;#ASMEND
	s_addc_u32 s0, s1, s7
	;;#ASMSTART
	v_pk_mul_f32 v[2:3], v[4:5], v[10:11]
	;;#ASMEND
	s_and_b32 s9, s0, 0xffff
	;;#ASMSTART
	v_med3_f32 v2, v2, v12, v13
v_med3_f32 v3, v3, v12, v13
v_cvt_pk_fp8_f32 v4, v2, v3
	;;#ASMEND
	s_mov_b32 s0, 0x5040100
	v_perm_b32 v3, v4, v15, s0
	s_movk_i32 s0, 0xff
	v_and_b32_e32 v2, 0xffffff00, v4
	v_and_b32_sdwa v4, v3, s0 dst_sel:DWORD dst_unused:UNUSED_PAD src0_sel:WORD_1 src1_sel:DWORD
	s_mov_b32 s12, 0xffff
	v_or_b32_sdwa v2, v4, v2 dst_sel:WORD_1 dst_unused:UNUSED_PAD src0_sel:DWORD src1_sel:DWORD
	v_and_or_b32 v2, v3, s12, v2
	;;#ASMSTART
	v_pk_mul_f32 v[4:5], v[6:7], v[10:11]
	;;#ASMEND
	v_mov_b32_e32 v3, v5
	s_add_i32 s1, s15, 3
	;;#ASMSTART
	v_med3_f32 v4, v4, v12, v13
v_med3_f32 v3, v3, v12, v13
v_cvt_pk_fp8_f32 v6, v4, v3
	;;#ASMEND
	s_ashr_i32 s7, s1, 31
	;;#ASMSTART
	v_pk_mul_f32 v[4:5], v[8:9], v[10:11]
	;;#ASMEND
	v_mov_b32_e32 v3, v5
	s_lshr_b32 s7, s7, 30
	;;#ASMSTART
	v_med3_f32 v4, v4, v12, v13
v_med3_f32 v3, v3, v12, v13
v_cvt_pk_fp8_f32 v5, v4, v3
	;;#ASMEND
	s_add_i32 s1, s1, s7
	v_lshlrev_b32_e32 v3, 16, v5
	s_and_b32 s10, s1, -4
	s_mov_b32 s11, 0x20000
	v_and_or_b32 v3, v6, s12, v3
	buffer_store_dwordx2 v[2:3], v1, s[8:11], 0 offen
	;;#ASMSTART
	s_nop 0
	;;#ASMEND
.LBB434_28:
	s_or_b64 exec, exec, s[22:23]
	s_cmp_lt_i32 s16, 1
	s_cbranch_scc1 .LBB434_17
.LBB434_29:
	s_load_dword s0, s[4:5], 0x94
	s_waitcnt lgkmcnt(0)
	s_cmp_lg_u32 s0, 1
	s_cbranch_scc1 .LBB434_17
; %bb.30:
	s_lshl_b32 s0, s16, 1
	s_add_i32 s0, s0, 2
	v_cmp_gt_u32_e32 vcc, s16, v1
	s_and_b32 s22, s0, -4
	v_mov_b32_e32 v6, 0
	v_lshlrev_b32_e32 v1, 4, v0
	v_mov_b32_e32 v7, 0
	v_mov_b32_e32 v8, 0
	;; [unrolled: 1-line block ×7, first 2 shown]
	s_barrier
	s_and_saveexec_b64 s[0:1], vcc
	s_cbranch_execz .LBB434_32
; %bb.31:
	s_mul_hi_i32 s5, s18, s6
	s_mul_i32 s4, s18, s6
	s_and_b32 s21, s21, 0xffff
	s_lshl_b64 s[4:5], s[4:5], 1
	s_add_u32 s8, s36, s4
	s_mov_b32 s23, 0x20000
	s_addc_u32 s4, s37, s5
	s_and_b32 s9, s4, 0xffff
	s_mov_b32 s10, s22
	s_mov_b32 s11, s23
	buffer_load_dwordx4 v[6:9], v1, s[8:11], 0 offen glc slc
	buffer_load_dwordx4 v[2:5], v1, s[20:23], 0 offen
.LBB434_32:
	s_or_b64 exec, exec, s[0:1]
	s_waitcnt vmcnt(0)
	v_cvt_f32_u32_sdwa v13, v6 dst_sel:DWORD dst_unused:UNUSED_PAD src0_sel:WORD_1
	v_cvt_f32_u32_sdwa v12, v6 dst_sel:DWORD dst_unused:UNUSED_PAD src0_sel:WORD_0
	v_cvt_f32_u32_sdwa v6, v9 dst_sel:DWORD dst_unused:UNUSED_PAD src0_sel:WORD_1
	v_cvt_f32_u32_sdwa v9, v9 dst_sel:DWORD dst_unused:UNUSED_PAD src0_sel:WORD_0
	;; [unrolled: 2-line block ×4, first 2 shown]
	v_cndmask_b32_e32 v13, 0, v13, vcc
	v_cndmask_b32_e32 v7, 0, v6, vcc
	;; [unrolled: 1-line block ×5, first 2 shown]
	v_mul_f32_e32 v15, v13, v13
	v_cndmask_b32_e32 v10, 0, v10, vcc
	v_fmac_f32_e32 v15, v12, v12
	v_cndmask_b32_e32 v11, 0, v11, vcc
	v_fmac_f32_e32 v15, v10, v10
	;; [unrolled: 2-line block ×3, first 2 shown]
	v_fmac_f32_e32 v15, v8, v8
	v_fmac_f32_e32 v15, v9, v9
	;; [unrolled: 1-line block ×4, first 2 shown]
	s_nop 1
	v_mov_b32_dpp v16, v15 quad_perm:[1,0,3,2] row_mask:0xf bank_mask:0xf
	v_add_f32_e32 v15, v15, v16
	s_nop 1
	v_mov_b32_dpp v16, v15 quad_perm:[2,3,0,1] row_mask:0xf bank_mask:0xf
	v_add_f32_e32 v15, v15, v16
	s_nop 1
	v_mov_b32_dpp v16, v15 row_half_mirror row_mask:0xf bank_mask:0xf
	v_add_f32_e32 v15, v15, v16
	s_nop 1
	v_mov_b32_dpp v16, v15 row_mirror row_mask:0xf bank_mask:0xf
	v_add_f32_e32 v15, v15, v16
	s_nop 1
	v_mov_b32_dpp v16, v15 row_bcast:15 row_mask:0xf bank_mask:0xf
	v_add_f32_e32 v15, v15, v16
	s_nop 1
	v_mov_b32_dpp v16, v15 row_bcast:31 row_mask:0xf bank_mask:0xf
	s_and_saveexec_b64 s[0:1], s[2:3]
	s_cbranch_execz .LBB434_34
; %bb.33:
	v_lshrrev_b32_e32 v0, 4, v0
	v_add_f32_e32 v15, v15, v16
	v_and_b32_e32 v0, 60, v0
	ds_write_b32 v0, v15
.LBB434_34:
	s_or_b64 exec, exec, s[0:1]
	s_waitcnt lgkmcnt(0)
	s_barrier
	ds_read_b32 v0, v14
	s_waitcnt lgkmcnt(0)
	s_nop 0
	v_mov_b32_dpp v14, v0 quad_perm:[1,0,3,2] row_mask:0xf bank_mask:0xf
	s_and_saveexec_b64 s[0:1], vcc
	s_cbranch_execz .LBB434_17
; %bb.35:
	v_cvt_f32_u32_e32 v15, s16
	v_add_f32_e32 v0, v0, v14
	s_mov_b32 s23, 0x20000
	v_div_scale_f32 v14, s[0:1], v15, v15, v0
	v_rcp_f32_e32 v16, v14
	v_div_scale_f32 v17, vcc, v0, v15, v0
	s_mov_b32 s0, 0x800000
	v_fma_f32 v18, -v14, v16, 1.0
	v_fmac_f32_e32 v16, v18, v16
	v_mul_f32_e32 v18, v17, v16
	v_fma_f32 v19, -v14, v18, v17
	v_fmac_f32_e32 v18, v19, v16
	v_fma_f32 v14, -v14, v18, v17
	v_div_fmas_f32 v14, v14, v16, v18
	v_div_fixup_f32 v0, v14, v15, v0
	v_add_f32_e32 v0, s13, v0
	v_mul_f32_e32 v14, 0x4b800000, v0
	v_cmp_gt_f32_e32 vcc, s0, v0
	v_cndmask_b32_e32 v0, v0, v14, vcc
	v_rsq_f32_e32 v0, v0
	v_cvt_f32_u32_sdwa v17, v2 dst_sel:DWORD dst_unused:UNUSED_PAD src0_sel:WORD_1
	v_cvt_f32_u32_sdwa v16, v2 dst_sel:DWORD dst_unused:UNUSED_PAD src0_sel:WORD_0
	v_cvt_f32_u32_sdwa v19, v3 dst_sel:DWORD dst_unused:UNUSED_PAD src0_sel:WORD_1
	v_mul_f32_e32 v14, 0x45800000, v0
	v_cndmask_b32_e32 v14, v0, v14, vcc
	v_mov_b32_e32 v15, v14
	;;#ASMSTART
	v_pk_mul_f32 v[12:13], v[12:13], v[14:15]
	;;#ASMEND
	;;#ASMSTART
	v_pk_mul_f32 v[10:11], v[10:11], v[14:15]
	;;#ASMEND
	;; [unrolled: 3-line block ×3, first 2 shown]
	v_cvt_f32_u32_sdwa v18, v3 dst_sel:DWORD dst_unused:UNUSED_PAD src0_sel:WORD_0
	;;#ASMSTART
	v_pk_mul_f32 v[2:3], v[6:7], v[14:15]
	;;#ASMEND
	v_cvt_f32_u32_sdwa v15, v4 dst_sel:DWORD dst_unused:UNUSED_PAD src0_sel:WORD_1
	v_cvt_f32_u32_sdwa v14, v4 dst_sel:DWORD dst_unused:UNUSED_PAD src0_sel:WORD_0
	v_pk_add_f32 v[6:7], v[16:17], 1.0 op_sel_hi:[1,0]
	v_cvt_f32_u32_sdwa v17, v5 dst_sel:DWORD dst_unused:UNUSED_PAD src0_sel:WORD_1
	v_cvt_f32_u32_sdwa v16, v5 dst_sel:DWORD dst_unused:UNUSED_PAD src0_sel:WORD_0
	s_mul_hi_i32 s1, s34, s6
	s_mul_i32 s0, s34, s6
	s_lshl_b64 s[0:1], s[0:1], 1
	s_add_u32 s20, s38, s0
	;;#ASMSTART
	v_pk_mul_f32 v[6:7], v[12:13], v[6:7]
	;;#ASMEND
	v_pk_add_f32 v[12:13], v[18:19], 1.0 op_sel_hi:[1,0]
	;;#ASMSTART
	v_pk_mul_f32 v[4:5], v[10:11], v[12:13]
	;;#ASMEND
	v_pk_add_f32 v[10:11], v[14:15], 1.0 op_sel_hi:[1,0]
	s_addc_u32 s0, s39, s1
	;;#ASMSTART
	v_pk_mul_f32 v[8:9], v[8:9], v[10:11]
	;;#ASMEND
	v_pk_add_f32 v[10:11], v[16:17], 1.0 op_sel_hi:[1,0]
	s_and_b32 s21, s0, 0xffff
	s_mov_b32 s0, 0x7060302
	;;#ASMSTART
	v_pk_mul_f32 v[10:11], v[2:3], v[10:11]
	;;#ASMEND
	v_perm_b32 v2, v7, v6, s0
	v_perm_b32 v3, v5, v4, s0
	;; [unrolled: 1-line block ×4, first 2 shown]
	buffer_store_dwordx4 v[2:5], v1, s[20:23], 0 offen
	;;#ASMSTART
	s_nop 0
	;;#ASMEND
	s_endpgm
	.section	.rodata,"a",@progbits
	.p2align	6, 0x0
	.amdhsa_kernel _ZN5aiter35fused_qk_rmsnorm_group_quant_kernelItDB8_Li128ELi8ELi4ELb1ELb0ELb1ELb0ELb0ELb0EEEvPT0_PvPT_S6_S6_PKS5_S8_S8_S8_S8_ffiiiiiiiiiiiii
		.amdhsa_group_segment_fixed_size 16
		.amdhsa_private_segment_fixed_size 0
		.amdhsa_kernarg_size 400
		.amdhsa_user_sgpr_count 6
		.amdhsa_user_sgpr_private_segment_buffer 1
		.amdhsa_user_sgpr_dispatch_ptr 0
		.amdhsa_user_sgpr_queue_ptr 0
		.amdhsa_user_sgpr_kernarg_segment_ptr 1
		.amdhsa_user_sgpr_dispatch_id 0
		.amdhsa_user_sgpr_flat_scratch_init 0
		.amdhsa_user_sgpr_kernarg_preload_length 0
		.amdhsa_user_sgpr_kernarg_preload_offset 0
		.amdhsa_user_sgpr_private_segment_size 0
		.amdhsa_uses_dynamic_stack 0
		.amdhsa_system_sgpr_private_segment_wavefront_offset 0
		.amdhsa_system_sgpr_workgroup_id_x 1
		.amdhsa_system_sgpr_workgroup_id_y 1
		.amdhsa_system_sgpr_workgroup_id_z 0
		.amdhsa_system_sgpr_workgroup_info 0
		.amdhsa_system_vgpr_workitem_id 0
		.amdhsa_next_free_vgpr 27
		.amdhsa_next_free_sgpr 48
		.amdhsa_accum_offset 28
		.amdhsa_reserve_vcc 1
		.amdhsa_reserve_flat_scratch 0
		.amdhsa_float_round_mode_32 0
		.amdhsa_float_round_mode_16_64 0
		.amdhsa_float_denorm_mode_32 3
		.amdhsa_float_denorm_mode_16_64 3
		.amdhsa_dx10_clamp 1
		.amdhsa_ieee_mode 1
		.amdhsa_fp16_overflow 0
		.amdhsa_tg_split 0
		.amdhsa_exception_fp_ieee_invalid_op 0
		.amdhsa_exception_fp_denorm_src 0
		.amdhsa_exception_fp_ieee_div_zero 0
		.amdhsa_exception_fp_ieee_overflow 0
		.amdhsa_exception_fp_ieee_underflow 0
		.amdhsa_exception_fp_ieee_inexact 0
		.amdhsa_exception_int_div_zero 0
	.end_amdhsa_kernel
	.section	.text._ZN5aiter35fused_qk_rmsnorm_group_quant_kernelItDB8_Li128ELi8ELi4ELb1ELb0ELb1ELb0ELb0ELb0EEEvPT0_PvPT_S6_S6_PKS5_S8_S8_S8_S8_ffiiiiiiiiiiiii,"axG",@progbits,_ZN5aiter35fused_qk_rmsnorm_group_quant_kernelItDB8_Li128ELi8ELi4ELb1ELb0ELb1ELb0ELb0ELb0EEEvPT0_PvPT_S6_S6_PKS5_S8_S8_S8_S8_ffiiiiiiiiiiiii,comdat
.Lfunc_end434:
	.size	_ZN5aiter35fused_qk_rmsnorm_group_quant_kernelItDB8_Li128ELi8ELi4ELb1ELb0ELb1ELb0ELb0ELb0EEEvPT0_PvPT_S6_S6_PKS5_S8_S8_S8_S8_ffiiiiiiiiiiiii, .Lfunc_end434-_ZN5aiter35fused_qk_rmsnorm_group_quant_kernelItDB8_Li128ELi8ELi4ELb1ELb0ELb1ELb0ELb0ELb0EEEvPT0_PvPT_S6_S6_PKS5_S8_S8_S8_S8_ffiiiiiiiiiiiii
                                        ; -- End function
	.section	.AMDGPU.csdata,"",@progbits
; Kernel info:
; codeLenInByte = 2952
; NumSgprs: 52
; NumVgprs: 27
; NumAgprs: 0
; TotalNumVgprs: 27
; ScratchSize: 0
; MemoryBound: 0
; FloatMode: 240
; IeeeMode: 1
; LDSByteSize: 16 bytes/workgroup (compile time only)
; SGPRBlocks: 6
; VGPRBlocks: 3
; NumSGPRsForWavesPerEU: 52
; NumVGPRsForWavesPerEU: 27
; AccumOffset: 28
; Occupancy: 8
; WaveLimiterHint : 0
; COMPUTE_PGM_RSRC2:SCRATCH_EN: 0
; COMPUTE_PGM_RSRC2:USER_SGPR: 6
; COMPUTE_PGM_RSRC2:TRAP_HANDLER: 0
; COMPUTE_PGM_RSRC2:TGID_X_EN: 1
; COMPUTE_PGM_RSRC2:TGID_Y_EN: 1
; COMPUTE_PGM_RSRC2:TGID_Z_EN: 0
; COMPUTE_PGM_RSRC2:TIDIG_COMP_CNT: 0
; COMPUTE_PGM_RSRC3_GFX90A:ACCUM_OFFSET: 6
; COMPUTE_PGM_RSRC3_GFX90A:TG_SPLIT: 0
	.section	.text._ZN5aiter35fused_qk_rmsnorm_group_quant_kernelIDF16_N4opus5fp4_tELi128ELi8ELi4ELb1ELb0ELb1ELb0ELb0ELb0EEEvPT0_PvPT_S7_S7_PKS6_S9_S9_S9_S9_ffiiiiiiiiiiiii,"axG",@progbits,_ZN5aiter35fused_qk_rmsnorm_group_quant_kernelIDF16_N4opus5fp4_tELi128ELi8ELi4ELb1ELb0ELb1ELb0ELb0ELb0EEEvPT0_PvPT_S7_S7_PKS6_S9_S9_S9_S9_ffiiiiiiiiiiiii,comdat
	.protected	_ZN5aiter35fused_qk_rmsnorm_group_quant_kernelIDF16_N4opus5fp4_tELi128ELi8ELi4ELb1ELb0ELb1ELb0ELb0ELb0EEEvPT0_PvPT_S7_S7_PKS6_S9_S9_S9_S9_ffiiiiiiiiiiiii ; -- Begin function _ZN5aiter35fused_qk_rmsnorm_group_quant_kernelIDF16_N4opus5fp4_tELi128ELi8ELi4ELb1ELb0ELb1ELb0ELb0ELb0EEEvPT0_PvPT_S7_S7_PKS6_S9_S9_S9_S9_ffiiiiiiiiiiiii
	.globl	_ZN5aiter35fused_qk_rmsnorm_group_quant_kernelIDF16_N4opus5fp4_tELi128ELi8ELi4ELb1ELb0ELb1ELb0ELb0ELb0EEEvPT0_PvPT_S7_S7_PKS6_S9_S9_S9_S9_ffiiiiiiiiiiiii
	.p2align	8
	.type	_ZN5aiter35fused_qk_rmsnorm_group_quant_kernelIDF16_N4opus5fp4_tELi128ELi8ELi4ELb1ELb0ELb1ELb0ELb0ELb0EEEvPT0_PvPT_S7_S7_PKS6_S9_S9_S9_S9_ffiiiiiiiiiiiii,@function
_ZN5aiter35fused_qk_rmsnorm_group_quant_kernelIDF16_N4opus5fp4_tELi128ELi8ELi4ELb1ELb0ELb1ELb0ELb0ELb0EEEvPT0_PvPT_S7_S7_PKS6_S9_S9_S9_S9_ffiiiiiiiiiiiii: ; @_ZN5aiter35fused_qk_rmsnorm_group_quant_kernelIDF16_N4opus5fp4_tELi128ELi8ELi4ELb1ELb0ELb1ELb0ELb0ELb0EEEvPT0_PvPT_S7_S7_PKS6_S9_S9_S9_S9_ffiiiiiiiiiiiii
; %bb.0:
	s_load_dwordx8 s[12:19], s[4:5], 0x50
	s_waitcnt lgkmcnt(0)
	s_cmp_ge_i32 s6, s14
	s_cbranch_scc1 .LBB435_17
; %bb.1:
	s_cmp_lg_u32 s7, 0
	s_cselect_b64 s[22:23], -1, 0
	s_cmp_eq_u32 s7, 0
	s_cselect_b64 s[8:9], -1, 0
	s_and_b64 s[0:1], s[8:9], exec
	s_load_dwordx2 s[20:21], s[4:5], 0x48
	s_load_dwordx2 s[34:35], s[4:5], 0x30
	s_load_dwordx4 s[24:27], s[4:5], 0x70
	s_cselect_b32 s7, s15, s16
	s_add_i32 s0, s7, 1
	s_lshr_b32 s1, s0, 31
	s_add_i32 s0, s0, s1
	s_lshl_b32 s0, s0, 1
	v_lshlrev_b32_e32 v1, 3, v0
	s_and_b32 s30, s0, -4
	v_cmp_gt_i32_e64 s[0:1], s7, v1
	v_mov_b32_e32 v2, 0
	v_mov_b32_e32 v3, 0
	;; [unrolled: 1-line block ×8, first 2 shown]
	s_and_saveexec_b64 s[2:3], s[0:1]
	s_cbranch_execz .LBB435_3
; %bb.2:
	s_load_dwordx2 s[10:11], s[4:5], 0x28
	s_load_dwordx2 s[28:29], s[4:5], 0x40
	s_and_b64 s[36:37], s[8:9], exec
	s_cselect_b32 s14, s17, s18
	s_mov_b32 s31, 0x20000
	s_waitcnt lgkmcnt(0)
	s_cselect_b32 s17, s11, s35
	s_cselect_b32 s27, s10, s34
	s_mul_hi_i32 s11, s14, s6
	s_mul_i32 s10, s14, s6
	s_lshl_b64 s[10:11], s[10:11], 1
	s_add_u32 s36, s27, s10
	s_addc_u32 s14, s17, s11
	s_and_b64 s[10:11], s[8:9], exec
	s_cselect_b32 s28, s28, s20
	s_cselect_b32 s10, s29, s21
	v_lshlrev_b32_e32 v10, 4, v0
	s_and_b32 s37, s14, 0xffff
	s_mov_b32 s38, s30
	s_mov_b32 s39, s31
	s_and_b32 s29, s10, 0xffff
	buffer_load_dwordx4 v[6:9], v10, s[36:39], 0 offen glc slc
	buffer_load_dwordx4 v[2:5], v10, s[28:31], 0 offen
.LBB435_3:
	s_or_b64 exec, exec, s[2:3]
	s_load_dwordx2 s[10:11], s[4:5], 0x80
	s_and_b64 vcc, exec, s[22:23]
	s_cbranch_vccz .LBB435_7
; %bb.4:
	v_mov_b32_e32 v11, 0
	v_mov_b32_e32 v10, 0
	;; [unrolled: 1-line block ×8, first 2 shown]
	s_and_saveexec_b64 s[2:3], s[0:1]
	s_cbranch_execz .LBB435_6
; %bb.5:
	s_waitcnt vmcnt(1)
	v_cvt_f32_f16_sdwa v15, v6 dst_sel:DWORD dst_unused:UNUSED_PAD src0_sel:WORD_1
	v_cvt_f32_f16_e32 v14, v6
	v_cvt_f32_f16_sdwa v17, v7 dst_sel:DWORD dst_unused:UNUSED_PAD src0_sel:WORD_1
	v_cvt_f32_f16_e32 v16, v7
	;; [unrolled: 2-line block ×4, first 2 shown]
.LBB435_6:
	s_or_b64 exec, exec, s[2:3]
	s_cbranch_execz .LBB435_8
	s_branch .LBB435_11
.LBB435_7:
                                        ; implicit-def: $vgpr11
                                        ; implicit-def: $vgpr13
                                        ; implicit-def: $vgpr17
                                        ; implicit-def: $vgpr15
.LBB435_8:
	v_mov_b32_e32 v11, 0
	v_mov_b32_e32 v10, 0
	;; [unrolled: 1-line block ×8, first 2 shown]
	s_and_saveexec_b64 s[2:3], s[0:1]
	s_cbranch_execz .LBB435_10
; %bb.9:
	s_load_dwordx2 s[28:29], s[4:5], 0x38
	s_mul_hi_i32 s37, s19, s6
	s_mul_i32 s36, s19, s6
	s_lshl_b64 s[36:37], s[36:37], 1
	s_mov_b32 s31, 0x20000
	s_waitcnt lgkmcnt(0)
	s_add_u32 s28, s28, s36
	s_addc_u32 s14, s29, s37
	s_and_b32 s29, s14, 0xffff
	v_lshlrev_b32_e32 v24, 4, v0
	buffer_load_dwordx4 v[10:13], v24, s[28:31], 0 offen glc slc
	s_waitcnt vmcnt(2)
	v_cvt_f32_f16_sdwa v15, v6 dst_sel:DWORD dst_unused:UNUSED_PAD src0_sel:WORD_1
	v_cvt_f32_f16_e32 v14, v6
	v_cvt_f32_f16_sdwa v17, v7 dst_sel:DWORD dst_unused:UNUSED_PAD src0_sel:WORD_1
	v_cvt_f32_f16_e32 v16, v7
	;; [unrolled: 2-line block ×4, first 2 shown]
	s_load_dwordx2 s[28:29], s[4:5], 0x20
	s_mul_hi_i32 s37, s11, s6
	s_mul_i32 s36, s11, s6
	s_lshl_b64 s[36:37], s[36:37], 1
	s_waitcnt lgkmcnt(0)
	s_add_u32 s28, s28, s36
	s_addc_u32 s11, s29, s37
	s_and_b32 s29, s11, 0xffff
	s_waitcnt vmcnt(0)
	v_cvt_f32_f16_e32 v8, v10
	v_cvt_f32_f16_sdwa v9, v10 dst_sel:DWORD dst_unused:UNUSED_PAD src0_sel:WORD_1
	v_cvt_f32_f16_e32 v10, v11
	v_cvt_f32_f16_sdwa v11, v11 dst_sel:DWORD dst_unused:UNUSED_PAD src0_sel:WORD_1
	;; [unrolled: 2-line block ×4, first 2 shown]
	v_pk_add_f32 v[14:15], v[14:15], v[8:9]
	v_pk_add_f32 v[16:17], v[16:17], v[10:11]
	;; [unrolled: 1-line block ×4, first 2 shown]
	v_cvt_f16_f32_e32 v6, v15
	v_cvt_f16_f32_e32 v7, v17
	;; [unrolled: 1-line block ×8, first 2 shown]
	v_pack_b32_f16 v9, v18, v9
	v_pack_b32_f16 v8, v19, v8
	;; [unrolled: 1-line block ×4, first 2 shown]
	buffer_store_dwordx4 v[6:9], v24, s[28:31], 0 offen glc slc
	;;#ASMSTART
	s_nop 0
	;;#ASMEND
.LBB435_10:
	s_or_b64 exec, exec, s[2:3]
.LBB435_11:
	s_waitcnt vmcnt(1)
	v_mul_f32_e32 v6, v15, v15
	v_fmac_f32_e32 v6, v14, v14
	v_fmac_f32_e32 v6, v16, v16
	;; [unrolled: 1-line block ×7, first 2 shown]
	v_and_b32_e32 v8, 63, v0
	v_cmp_eq_u32_e64 s[2:3], 63, v8
	v_mov_b32_dpp v7, v6 quad_perm:[1,0,3,2] row_mask:0xf bank_mask:0xf
	v_add_f32_e32 v6, v6, v7
	s_nop 1
	v_mov_b32_dpp v7, v6 quad_perm:[2,3,0,1] row_mask:0xf bank_mask:0xf
	v_add_f32_e32 v6, v6, v7
	s_nop 1
	v_mov_b32_dpp v7, v6 row_half_mirror row_mask:0xf bank_mask:0xf
	v_add_f32_e32 v6, v6, v7
	s_nop 1
	v_mov_b32_dpp v7, v6 row_mirror row_mask:0xf bank_mask:0xf
	v_add_f32_e32 v6, v6, v7
	s_nop 1
	v_mov_b32_dpp v7, v6 row_bcast:15 row_mask:0xf bank_mask:0xf
	v_add_f32_e32 v6, v6, v7
	s_nop 1
	v_mov_b32_dpp v7, v6 row_bcast:31 row_mask:0xf bank_mask:0xf
	s_and_saveexec_b64 s[28:29], s[2:3]
	s_cbranch_execz .LBB435_13
; %bb.12:
	v_add_f32_e32 v6, v6, v7
	v_lshrrev_b32_e32 v7, 4, v0
	v_and_b32_e32 v7, 60, v7
	ds_write_b32 v7, v6 offset:8
.LBB435_13:
	s_or_b64 exec, exec, s[28:29]
	v_and_b32_e32 v6, 1, v0
	v_lshlrev_b32_e32 v18, 2, v6
	s_waitcnt lgkmcnt(0)
	s_barrier
	ds_read_b32 v6, v18 offset:8
	s_load_dwordx2 s[36:37], s[4:5], 0x18
	s_waitcnt lgkmcnt(0)
	v_mov_b32_dpp v7, v6 quad_perm:[1,0,3,2] row_mask:0xf bank_mask:0xf
	s_and_saveexec_b64 s[28:29], s[0:1]
	s_cbranch_execnz .LBB435_18
; %bb.14:
	s_or_b64 exec, exec, s[28:29]
	s_mov_b64 s[8:9], -1
	s_and_b64 vcc, exec, s[22:23]
	s_cbranch_vccnz .LBB435_19
.LBB435_15:
	s_andn2_b64 vcc, exec, s[8:9]
	s_cbranch_vccz .LBB435_22
.LBB435_16:
	s_cmp_lt_i32 s16, 1
	s_cbranch_scc0 .LBB435_29
.LBB435_17:
	s_endpgm
.LBB435_18:
	v_cvt_f32_u32_e32 v8, s7
	v_add_f32_e32 v6, v6, v7
	v_mov_b32_e32 v19, s13
	v_mov_b32_e32 v20, s12
	v_div_scale_f32 v7, s[38:39], v8, v8, v6
	v_rcp_f32_e32 v9, v7
	v_cndmask_b32_e64 v19, v19, v20, s[8:9]
	s_mov_b32 s7, 0x800000
	v_fma_f32 v20, -v7, v9, 1.0
	v_fmac_f32_e32 v9, v20, v9
	v_div_scale_f32 v20, vcc, v6, v8, v6
	v_mul_f32_e32 v21, v20, v9
	v_fma_f32 v22, -v7, v21, v20
	v_fmac_f32_e32 v21, v22, v9
	v_fma_f32 v7, -v7, v21, v20
	v_div_fmas_f32 v7, v7, v9, v21
	v_div_fixup_f32 v6, v7, v8, v6
	v_add_f32_e32 v6, v19, v6
	v_mul_f32_e32 v7, 0x4b800000, v6
	v_cmp_gt_f32_e32 vcc, s7, v6
	v_cndmask_b32_e32 v6, v6, v7, vcc
	v_rsq_f32_e32 v6, v6
	s_waitcnt vmcnt(0)
	v_cvt_f32_f16_sdwa v21, v3 dst_sel:DWORD dst_unused:UNUSED_PAD src0_sel:WORD_1
	v_cvt_f32_f16_e32 v20, v3
	v_mul_f32_e32 v7, 0x45800000, v6
	v_cndmask_b32_e32 v6, v6, v7, vcc
	v_mov_b32_e32 v7, v6
	;;#ASMSTART
	v_pk_mul_f32 v[8:9], v[14:15], v[6:7]
	;;#ASMEND
	v_cvt_f32_f16_sdwa v15, v2 dst_sel:DWORD dst_unused:UNUSED_PAD src0_sel:WORD_1
	v_cvt_f32_f16_e32 v14, v2
	;;#ASMSTART
	v_pk_mul_f32 v[16:17], v[16:17], v[6:7]
	;;#ASMEND
	;;#ASMSTART
	v_pk_mul_f32 v[12:13], v[12:13], v[6:7]
	;;#ASMEND
	;; [unrolled: 3-line block ×3, first 2 shown]
	v_pk_add_f32 v[6:7], v[14:15], 1.0 op_sel_hi:[1,0]
	;;#ASMSTART
	v_pk_mul_f32 v[14:15], v[8:9], v[6:7]
	;;#ASMEND
	v_cvt_f32_f16_sdwa v9, v4 dst_sel:DWORD dst_unused:UNUSED_PAD src0_sel:WORD_1
	v_cvt_f32_f16_e32 v8, v4
	v_cvt_f32_f16_sdwa v11, v5 dst_sel:DWORD dst_unused:UNUSED_PAD src0_sel:WORD_1
	v_cvt_f32_f16_e32 v10, v5
	v_pk_add_f32 v[6:7], v[20:21], 1.0 op_sel_hi:[1,0]
	v_pk_add_f32 v[4:5], v[8:9], 1.0 op_sel_hi:[1,0]
	;;#ASMSTART
	v_pk_mul_f32 v[16:17], v[16:17], v[6:7]
	;;#ASMEND
	;;#ASMSTART
	v_pk_mul_f32 v[12:13], v[12:13], v[4:5]
	;;#ASMEND
	v_pk_add_f32 v[4:5], v[10:11], 1.0 op_sel_hi:[1,0]
	;;#ASMSTART
	v_pk_mul_f32 v[10:11], v[2:3], v[4:5]
	;;#ASMEND
	s_or_b64 exec, exec, s[28:29]
	s_mov_b64 s[8:9], -1
	s_and_b64 vcc, exec, s[22:23]
	s_cbranch_vccz .LBB435_15
.LBB435_19:
	s_and_saveexec_b64 s[8:9], s[0:1]
	s_cbranch_execz .LBB435_21
; %bb.20:
	s_mul_hi_i32 s23, s10, s6
	s_mul_i32 s22, s10, s6
	s_waitcnt vmcnt(0)
	v_cvt_f16_f32_e32 v2, v14
	v_cvt_f16_f32_e32 v3, v16
	;; [unrolled: 1-line block ×8, first 2 shown]
	s_lshl_b64 s[22:23], s[22:23], 1
	s_add_u32 s28, s36, s22
	s_addc_u32 s7, s37, s23
	s_and_b32 s29, s7, 0xffff
	s_mov_b32 s31, 0x20000
	v_pack_b32_f16 v5, v5, v6
	v_pack_b32_f16 v4, v4, v7
	;; [unrolled: 1-line block ×4, first 2 shown]
	v_lshlrev_b32_e32 v6, 4, v0
	buffer_store_dwordx4 v[2:5], v6, s[28:31], 0 offen
	;;#ASMSTART
	s_nop 0
	;;#ASMEND
.LBB435_21:
	s_or_b64 exec, exec, s[8:9]
	s_cbranch_execnz .LBB435_16
.LBB435_22:
	s_waitcnt vmcnt(0)
	v_mov_b32_e32 v2, 0
	s_and_saveexec_b64 s[8:9], s[0:1]
	s_cbranch_execz .LBB435_24
; %bb.23:
	v_and_b32_e32 v2, 0x7fffffff, v14
	v_and_b32_e32 v3, 0x7fffffff, v15
	v_mov_b32_e32 v4, 0x2edbe6ff
	;;#ASMSTART
	v_max3_f32 v2, v4, v2, v3

	;;#ASMEND
	v_and_b32_e32 v3, 0x7fffffff, v16
	v_and_b32_e32 v4, 0x7fffffff, v17
	;;#ASMSTART
	v_max3_f32 v2, v2, v3, v4

	;;#ASMEND
	v_and_b32_e32 v3, 0x7fffffff, v12
	v_and_b32_e32 v4, 0x7fffffff, v13
	;; [unrolled: 6-line block ×3, first 2 shown]
	;;#ASMSTART
	v_max3_f32 v2, v2, v3, v4

	;;#ASMEND
.LBB435_24:
	s_or_b64 exec, exec, s[8:9]
	;;#ASMSTART
	v_max_f32 v3, v2, v2 quad_perm:[1,0,3,2] row_mask:0xf bank_mask:0xf bound_ctrl:1
	;;#ASMEND
	;;#ASMSTART
	v_max_f32 v2, v3, v3 quad_perm:[2,3,0,1] row_mask:0xf bank_mask:0xf bound_ctrl:1
	;;#ASMEND
	v_and_b32_e32 v3, 3, v0
	v_cmp_eq_u32_e32 vcc, 0, v3
	v_cmp_gt_i32_e64 s[8:9], s15, v1
	s_and_b64 s[22:23], vcc, s[8:9]
	s_and_saveexec_b64 s[8:9], s[22:23]
	s_cbranch_execz .LBB435_26
; %bb.25:
	s_load_dwordx2 s[22:23], s[4:5], 0x8
	v_mul_f32_e32 v2, 0x3e2aaaab, v2
	v_lshrrev_b32_e32 v3, 23, v2
	v_and_b32_e32 v4, 0x7f800000, v2
	v_and_b32_e32 v2, 0x7fffff, v2
	v_cmp_ne_u32_e32 vcc, 0, v2
	s_mul_i32 s12, s25, s6
	s_mov_b32 s7, 0x7f800000
	v_addc_co_u32_e32 v2, vcc, 0, v3, vcc
	s_mul_hi_i32 s11, s25, s6
	s_waitcnt lgkmcnt(0)
	s_add_u32 s22, s22, s12
	v_cmp_ne_u32_e32 vcc, s7, v4
	s_addc_u32 s23, s23, s11
	v_lshrrev_b32_e32 v5, 2, v0
	v_cndmask_b32_e32 v4, -1, v2, vcc
	v_pk_mov_b32 v[2:3], s[22:23], s[22:23] op_sel:[0,1]
	v_mad_i64_i32 v[2:3], s[22:23], s26, v5, v[2:3]
	global_store_byte v[2:3], v4, off
.LBB435_26:
	s_or_b64 exec, exec, s[8:9]
	s_and_saveexec_b64 s[8:9], s[0:1]
	s_cbranch_execz .LBB435_28
; %bb.27:
	s_load_dwordx2 s[0:1], s[4:5], 0x0
	s_mul_i32 s11, s24, s6
	s_mul_hi_i32 s7, s24, s6
	v_lshlrev_b32_e32 v2, 2, v0
	s_mov_b32 s27, 0x20000
	s_waitcnt lgkmcnt(0)
	s_add_u32 s24, s0, s11
	s_addc_u32 s0, s1, s7
	s_lshr_b32 s1, s15, 31
	s_add_i32 s1, s15, s1
	s_ashr_i32 s1, s1, 1
	s_add_i32 s1, s1, 3
	s_ashr_i32 s7, s1, 31
	s_lshr_b32 s7, s7, 30
	s_add_i32 s1, s1, s7
	s_and_b32 s26, s1, -4
	s_and_b32 s25, s0, 0xffff
	v_mov_b32_e32 v3, 0
	buffer_store_dword v3, v2, s[24:27], 0 offen
	;;#ASMSTART
	s_nop 0
	;;#ASMEND
.LBB435_28:
	s_or_b64 exec, exec, s[8:9]
	s_cmp_lt_i32 s16, 1
	s_cbranch_scc1 .LBB435_17
.LBB435_29:
	s_load_dword s0, s[4:5], 0x94
	s_waitcnt lgkmcnt(0)
	s_cmp_lg_u32 s0, 1
	s_cbranch_scc1 .LBB435_17
; %bb.30:
	s_lshl_b32 s0, s16, 1
	s_add_i32 s0, s0, 2
	v_cmp_gt_u32_e32 vcc, s16, v1
	s_and_b32 s22, s0, -4
	v_mov_b32_e32 v10, 0
	v_lshlrev_b32_e32 v1, 4, v0
	v_mov_b32_e32 v6, 0
	v_mov_b32_e32 v7, 0
	;; [unrolled: 1-line block ×4, first 2 shown]
	s_waitcnt vmcnt(0)
	v_mov_b32_e32 v2, 0
	v_mov_b32_e32 v3, 0
	;; [unrolled: 1-line block ×4, first 2 shown]
	s_barrier
	s_and_saveexec_b64 s[0:1], vcc
	s_cbranch_execz .LBB435_32
; %bb.31:
	s_mul_hi_i32 s5, s18, s6
	s_mul_i32 s4, s18, s6
	s_and_b32 s21, s21, 0xffff
	s_lshl_b64 s[4:5], s[4:5], 1
	s_add_u32 s24, s34, s4
	s_mov_b32 s23, 0x20000
	s_addc_u32 s4, s35, s5
	s_and_b32 s25, s4, 0xffff
	s_mov_b32 s26, s22
	s_mov_b32 s27, s23
	buffer_load_dwordx4 v[6:9], v1, s[24:27], 0 offen glc slc
	buffer_load_dwordx4 v[2:5], v1, s[20:23], 0 offen
.LBB435_32:
	s_or_b64 exec, exec, s[0:1]
	v_mov_b32_e32 v11, 0
	v_mov_b32_e32 v16, 0
	;; [unrolled: 1-line block ×7, first 2 shown]
	s_and_saveexec_b64 s[0:1], vcc
	s_cbranch_execz .LBB435_34
; %bb.33:
	s_waitcnt vmcnt(1)
	v_cvt_f32_f16_sdwa v11, v6 dst_sel:DWORD dst_unused:UNUSED_PAD src0_sel:WORD_1
	v_cvt_f32_f16_e32 v10, v6
	v_cvt_f32_f16_sdwa v17, v7 dst_sel:DWORD dst_unused:UNUSED_PAD src0_sel:WORD_1
	v_cvt_f32_f16_e32 v16, v7
	;; [unrolled: 2-line block ×4, first 2 shown]
.LBB435_34:
	s_or_b64 exec, exec, s[0:1]
	s_waitcnt vmcnt(1)
	v_mul_f32_e32 v6, v11, v11
	v_fmac_f32_e32 v6, v10, v10
	v_fmac_f32_e32 v6, v16, v16
	;; [unrolled: 1-line block ×7, first 2 shown]
	s_nop 1
	v_mov_b32_dpp v7, v6 quad_perm:[1,0,3,2] row_mask:0xf bank_mask:0xf
	v_add_f32_e32 v6, v6, v7
	s_nop 1
	v_mov_b32_dpp v7, v6 quad_perm:[2,3,0,1] row_mask:0xf bank_mask:0xf
	v_add_f32_e32 v6, v6, v7
	s_nop 1
	v_mov_b32_dpp v7, v6 row_half_mirror row_mask:0xf bank_mask:0xf
	v_add_f32_e32 v6, v6, v7
	s_nop 1
	v_mov_b32_dpp v7, v6 row_mirror row_mask:0xf bank_mask:0xf
	v_add_f32_e32 v6, v6, v7
	s_nop 1
	v_mov_b32_dpp v7, v6 row_bcast:15 row_mask:0xf bank_mask:0xf
	v_add_f32_e32 v6, v6, v7
	s_nop 1
	v_mov_b32_dpp v7, v6 row_bcast:31 row_mask:0xf bank_mask:0xf
	s_and_saveexec_b64 s[0:1], s[2:3]
	s_cbranch_execz .LBB435_36
; %bb.35:
	v_lshrrev_b32_e32 v0, 4, v0
	v_add_f32_e32 v6, v6, v7
	v_and_b32_e32 v0, 60, v0
	ds_write_b32 v0, v6
.LBB435_36:
	s_or_b64 exec, exec, s[0:1]
	s_waitcnt lgkmcnt(0)
	s_barrier
	ds_read_b32 v0, v18
	s_waitcnt lgkmcnt(0)
	s_nop 0
	v_mov_b32_dpp v6, v0 quad_perm:[1,0,3,2] row_mask:0xf bank_mask:0xf
	s_and_saveexec_b64 s[0:1], vcc
	s_cbranch_execz .LBB435_17
; %bb.37:
	v_cvt_f32_u32_e32 v7, s16
	v_add_f32_e32 v0, v0, v6
	s_mov_b32 s23, 0x20000
	v_div_scale_f32 v6, s[0:1], v7, v7, v0
	v_rcp_f32_e32 v8, v6
	v_div_scale_f32 v9, vcc, v0, v7, v0
	s_mov_b32 s0, 0x800000
	v_fma_f32 v18, -v6, v8, 1.0
	v_fmac_f32_e32 v8, v18, v8
	v_mul_f32_e32 v18, v9, v8
	v_fma_f32 v19, -v6, v18, v9
	v_fmac_f32_e32 v18, v19, v8
	v_fma_f32 v6, -v6, v18, v9
	v_div_fmas_f32 v6, v6, v8, v18
	v_div_fixup_f32 v0, v6, v7, v0
	v_add_f32_e32 v0, s13, v0
	v_mul_f32_e32 v6, 0x4b800000, v0
	v_cmp_gt_f32_e32 vcc, s0, v0
	v_cndmask_b32_e32 v0, v0, v6, vcc
	v_rsq_f32_e32 v0, v0
	s_waitcnt vmcnt(0)
	v_cvt_f32_f16_sdwa v19, v3 dst_sel:DWORD dst_unused:UNUSED_PAD src0_sel:WORD_1
	v_cvt_f32_f16_e32 v18, v3
	s_mul_hi_i32 s1, s10, s6
	v_mul_f32_e32 v6, 0x45800000, v0
	v_cndmask_b32_e32 v6, v0, v6, vcc
	v_mov_b32_e32 v7, v6
	;;#ASMSTART
	v_pk_mul_f32 v[8:9], v[10:11], v[6:7]
	;;#ASMEND
	;;#ASMSTART
	v_pk_mul_f32 v[10:11], v[16:17], v[6:7]
	;;#ASMEND
	v_cvt_f32_f16_sdwa v17, v2 dst_sel:DWORD dst_unused:UNUSED_PAD src0_sel:WORD_1
	v_cvt_f32_f16_e32 v16, v2
	;;#ASMSTART
	v_pk_mul_f32 v[14:15], v[14:15], v[6:7]
	;;#ASMEND
	;;#ASMSTART
	v_pk_mul_f32 v[2:3], v[12:13], v[6:7]
	;;#ASMEND
	v_cvt_f32_f16_sdwa v13, v4 dst_sel:DWORD dst_unused:UNUSED_PAD src0_sel:WORD_1
	v_cvt_f32_f16_e32 v12, v4
	v_pk_add_f32 v[6:7], v[16:17], 1.0 op_sel_hi:[1,0]
	v_cvt_f32_f16_sdwa v17, v5 dst_sel:DWORD dst_unused:UNUSED_PAD src0_sel:WORD_1
	v_cvt_f32_f16_e32 v16, v5
	;;#ASMSTART
	v_pk_mul_f32 v[6:7], v[8:9], v[6:7]
	;;#ASMEND
	v_pk_add_f32 v[8:9], v[18:19], 1.0 op_sel_hi:[1,0]
	;;#ASMSTART
	v_pk_mul_f32 v[4:5], v[10:11], v[8:9]
	;;#ASMEND
	v_pk_add_f32 v[8:9], v[12:13], 1.0 op_sel_hi:[1,0]
	;; [unrolled: 4-line block ×3, first 2 shown]
	;;#ASMSTART
	v_pk_mul_f32 v[2:3], v[2:3], v[10:11]
	;;#ASMEND
	s_mul_i32 s0, s10, s6
	v_cvt_f16_f32_e32 v0, v6
	v_cvt_f16_f32_e32 v6, v7
	;; [unrolled: 1-line block ×8, first 2 shown]
	s_lshl_b64 s[0:1], s[0:1], 1
	s_add_u32 s20, s36, s0
	s_addc_u32 s0, s37, s1
	s_and_b32 s21, s0, 0xffff
	v_pack_b32_f16 v2, v0, v6
	v_pack_b32_f16 v3, v4, v5
	;; [unrolled: 1-line block ×4, first 2 shown]
	buffer_store_dwordx4 v[2:5], v1, s[20:23], 0 offen
	;;#ASMSTART
	s_nop 0
	;;#ASMEND
	s_endpgm
	.section	.rodata,"a",@progbits
	.p2align	6, 0x0
	.amdhsa_kernel _ZN5aiter35fused_qk_rmsnorm_group_quant_kernelIDF16_N4opus5fp4_tELi128ELi8ELi4ELb1ELb0ELb1ELb0ELb0ELb0EEEvPT0_PvPT_S7_S7_PKS6_S9_S9_S9_S9_ffiiiiiiiiiiiii
		.amdhsa_group_segment_fixed_size 16
		.amdhsa_private_segment_fixed_size 0
		.amdhsa_kernarg_size 400
		.amdhsa_user_sgpr_count 6
		.amdhsa_user_sgpr_private_segment_buffer 1
		.amdhsa_user_sgpr_dispatch_ptr 0
		.amdhsa_user_sgpr_queue_ptr 0
		.amdhsa_user_sgpr_kernarg_segment_ptr 1
		.amdhsa_user_sgpr_dispatch_id 0
		.amdhsa_user_sgpr_flat_scratch_init 0
		.amdhsa_user_sgpr_kernarg_preload_length 0
		.amdhsa_user_sgpr_kernarg_preload_offset 0
		.amdhsa_user_sgpr_private_segment_size 0
		.amdhsa_uses_dynamic_stack 0
		.amdhsa_system_sgpr_private_segment_wavefront_offset 0
		.amdhsa_system_sgpr_workgroup_id_x 1
		.amdhsa_system_sgpr_workgroup_id_y 1
		.amdhsa_system_sgpr_workgroup_id_z 0
		.amdhsa_system_sgpr_workgroup_info 0
		.amdhsa_system_vgpr_workitem_id 0
		.amdhsa_next_free_vgpr 25
		.amdhsa_next_free_sgpr 40
		.amdhsa_accum_offset 28
		.amdhsa_reserve_vcc 1
		.amdhsa_reserve_flat_scratch 0
		.amdhsa_float_round_mode_32 0
		.amdhsa_float_round_mode_16_64 0
		.amdhsa_float_denorm_mode_32 3
		.amdhsa_float_denorm_mode_16_64 3
		.amdhsa_dx10_clamp 1
		.amdhsa_ieee_mode 1
		.amdhsa_fp16_overflow 0
		.amdhsa_tg_split 0
		.amdhsa_exception_fp_ieee_invalid_op 0
		.amdhsa_exception_fp_denorm_src 0
		.amdhsa_exception_fp_ieee_div_zero 0
		.amdhsa_exception_fp_ieee_overflow 0
		.amdhsa_exception_fp_ieee_underflow 0
		.amdhsa_exception_fp_ieee_inexact 0
		.amdhsa_exception_int_div_zero 0
	.end_amdhsa_kernel
	.section	.text._ZN5aiter35fused_qk_rmsnorm_group_quant_kernelIDF16_N4opus5fp4_tELi128ELi8ELi4ELb1ELb0ELb1ELb0ELb0ELb0EEEvPT0_PvPT_S7_S7_PKS6_S9_S9_S9_S9_ffiiiiiiiiiiiii,"axG",@progbits,_ZN5aiter35fused_qk_rmsnorm_group_quant_kernelIDF16_N4opus5fp4_tELi128ELi8ELi4ELb1ELb0ELb1ELb0ELb0ELb0EEEvPT0_PvPT_S7_S7_PKS6_S9_S9_S9_S9_ffiiiiiiiiiiiii,comdat
.Lfunc_end435:
	.size	_ZN5aiter35fused_qk_rmsnorm_group_quant_kernelIDF16_N4opus5fp4_tELi128ELi8ELi4ELb1ELb0ELb1ELb0ELb0ELb0EEEvPT0_PvPT_S7_S7_PKS6_S9_S9_S9_S9_ffiiiiiiiiiiiii, .Lfunc_end435-_ZN5aiter35fused_qk_rmsnorm_group_quant_kernelIDF16_N4opus5fp4_tELi128ELi8ELi4ELb1ELb0ELb1ELb0ELb0ELb0EEEvPT0_PvPT_S7_S7_PKS6_S9_S9_S9_S9_ffiiiiiiiiiiiii
                                        ; -- End function
	.section	.AMDGPU.csdata,"",@progbits
; Kernel info:
; codeLenInByte = 2700
; NumSgprs: 44
; NumVgprs: 25
; NumAgprs: 0
; TotalNumVgprs: 25
; ScratchSize: 0
; MemoryBound: 0
; FloatMode: 240
; IeeeMode: 1
; LDSByteSize: 16 bytes/workgroup (compile time only)
; SGPRBlocks: 5
; VGPRBlocks: 3
; NumSGPRsForWavesPerEU: 44
; NumVGPRsForWavesPerEU: 25
; AccumOffset: 28
; Occupancy: 8
; WaveLimiterHint : 0
; COMPUTE_PGM_RSRC2:SCRATCH_EN: 0
; COMPUTE_PGM_RSRC2:USER_SGPR: 6
; COMPUTE_PGM_RSRC2:TRAP_HANDLER: 0
; COMPUTE_PGM_RSRC2:TGID_X_EN: 1
; COMPUTE_PGM_RSRC2:TGID_Y_EN: 1
; COMPUTE_PGM_RSRC2:TGID_Z_EN: 0
; COMPUTE_PGM_RSRC2:TIDIG_COMP_CNT: 0
; COMPUTE_PGM_RSRC3_GFX90A:ACCUM_OFFSET: 6
; COMPUTE_PGM_RSRC3_GFX90A:TG_SPLIT: 0
	.section	.text._ZN5aiter35fused_qk_rmsnorm_group_quant_kernelItN4opus5fp4_tELi128ELi8ELi4ELb1ELb0ELb1ELb0ELb0ELb0EEEvPT0_PvPT_S7_S7_PKS6_S9_S9_S9_S9_ffiiiiiiiiiiiii,"axG",@progbits,_ZN5aiter35fused_qk_rmsnorm_group_quant_kernelItN4opus5fp4_tELi128ELi8ELi4ELb1ELb0ELb1ELb0ELb0ELb0EEEvPT0_PvPT_S7_S7_PKS6_S9_S9_S9_S9_ffiiiiiiiiiiiii,comdat
	.protected	_ZN5aiter35fused_qk_rmsnorm_group_quant_kernelItN4opus5fp4_tELi128ELi8ELi4ELb1ELb0ELb1ELb0ELb0ELb0EEEvPT0_PvPT_S7_S7_PKS6_S9_S9_S9_S9_ffiiiiiiiiiiiii ; -- Begin function _ZN5aiter35fused_qk_rmsnorm_group_quant_kernelItN4opus5fp4_tELi128ELi8ELi4ELb1ELb0ELb1ELb0ELb0ELb0EEEvPT0_PvPT_S7_S7_PKS6_S9_S9_S9_S9_ffiiiiiiiiiiiii
	.globl	_ZN5aiter35fused_qk_rmsnorm_group_quant_kernelItN4opus5fp4_tELi128ELi8ELi4ELb1ELb0ELb1ELb0ELb0ELb0EEEvPT0_PvPT_S7_S7_PKS6_S9_S9_S9_S9_ffiiiiiiiiiiiii
	.p2align	8
	.type	_ZN5aiter35fused_qk_rmsnorm_group_quant_kernelItN4opus5fp4_tELi128ELi8ELi4ELb1ELb0ELb1ELb0ELb0ELb0EEEvPT0_PvPT_S7_S7_PKS6_S9_S9_S9_S9_ffiiiiiiiiiiiii,@function
_ZN5aiter35fused_qk_rmsnorm_group_quant_kernelItN4opus5fp4_tELi128ELi8ELi4ELb1ELb0ELb1ELb0ELb0ELb0EEEvPT0_PvPT_S7_S7_PKS6_S9_S9_S9_S9_ffiiiiiiiiiiiii: ; @_ZN5aiter35fused_qk_rmsnorm_group_quant_kernelItN4opus5fp4_tELi128ELi8ELi4ELb1ELb0ELb1ELb0ELb0ELb0EEEvPT0_PvPT_S7_S7_PKS6_S9_S9_S9_S9_ffiiiiiiiiiiiii
; %bb.0:
	s_load_dwordx8 s[12:19], s[4:5], 0x50
	s_waitcnt lgkmcnt(0)
	s_cmp_ge_i32 s6, s14
	s_cbranch_scc1 .LBB436_17
; %bb.1:
	s_cmp_lg_u32 s7, 0
	s_cselect_b64 s[22:23], -1, 0
	s_cmp_eq_u32 s7, 0
	s_cselect_b64 s[8:9], -1, 0
	s_and_b64 s[0:1], s[8:9], exec
	s_load_dwordx2 s[20:21], s[4:5], 0x48
	s_load_dwordx2 s[34:35], s[4:5], 0x30
	s_load_dwordx4 s[24:27], s[4:5], 0x70
	s_cselect_b32 s7, s15, s16
	s_add_i32 s0, s7, 1
	s_lshr_b32 s1, s0, 31
	s_add_i32 s0, s0, s1
	s_lshl_b32 s0, s0, 1
	v_lshlrev_b32_e32 v1, 3, v0
	s_and_b32 s30, s0, -4
	v_cmp_gt_i32_e64 s[0:1], s7, v1
	v_mov_b32_e32 v10, 0
	v_mov_b32_e32 v11, 0
	;; [unrolled: 1-line block ×8, first 2 shown]
	s_and_saveexec_b64 s[2:3], s[0:1]
	s_cbranch_execz .LBB436_3
; %bb.2:
	s_load_dwordx2 s[10:11], s[4:5], 0x28
	s_load_dwordx2 s[28:29], s[4:5], 0x40
	s_and_b64 s[36:37], s[8:9], exec
	s_cselect_b32 s14, s17, s18
	s_mov_b32 s31, 0x20000
	s_waitcnt lgkmcnt(0)
	s_cselect_b32 s17, s11, s35
	s_cselect_b32 s27, s10, s34
	s_mul_hi_i32 s11, s14, s6
	s_mul_i32 s10, s14, s6
	s_lshl_b64 s[10:11], s[10:11], 1
	s_add_u32 s36, s27, s10
	s_addc_u32 s14, s17, s11
	s_and_b64 s[10:11], s[8:9], exec
	s_cselect_b32 s28, s28, s20
	s_cselect_b32 s10, s29, s21
	v_lshlrev_b32_e32 v2, 4, v0
	s_and_b32 s37, s14, 0xffff
	s_mov_b32 s38, s30
	s_mov_b32 s39, s31
	s_and_b32 s29, s10, 0xffff
	buffer_load_dwordx4 v[14:17], v2, s[36:39], 0 offen glc slc
	buffer_load_dwordx4 v[10:13], v2, s[28:31], 0 offen
.LBB436_3:
	s_or_b64 exec, exec, s[2:3]
	s_load_dwordx2 s[10:11], s[4:5], 0x80
	s_and_b64 vcc, exec, s[22:23]
	s_cbranch_vccz .LBB436_7
; %bb.4:
	s_mov_b32 s36, 0
	s_mov_b32 s37, s36
	;; [unrolled: 1-line block ×8, first 2 shown]
	v_pk_mov_b32 v[2:3], s[36:37], s[36:37] op_sel:[0,1]
	v_pk_mov_b32 v[4:5], s[38:39], s[38:39] op_sel:[0,1]
	;; [unrolled: 1-line block ×4, first 2 shown]
	s_and_saveexec_b64 s[2:3], s[0:1]
	s_cbranch_execz .LBB436_6
; %bb.5:
	s_waitcnt vmcnt(1)
	v_cvt_f32_u32_sdwa v3, v14 dst_sel:DWORD dst_unused:UNUSED_PAD src0_sel:WORD_1
	v_cvt_f32_u32_sdwa v2, v14 dst_sel:DWORD dst_unused:UNUSED_PAD src0_sel:WORD_0
	v_cvt_f32_u32_sdwa v5, v15 dst_sel:DWORD dst_unused:UNUSED_PAD src0_sel:WORD_1
	v_cvt_f32_u32_sdwa v4, v15 dst_sel:DWORD dst_unused:UNUSED_PAD src0_sel:WORD_0
	;; [unrolled: 2-line block ×4, first 2 shown]
.LBB436_6:
	s_or_b64 exec, exec, s[2:3]
	s_cbranch_execz .LBB436_8
	s_branch .LBB436_11
.LBB436_7:
                                        ; implicit-def: $vgpr2_vgpr3_vgpr4_vgpr5_vgpr6_vgpr7_vgpr8_vgpr9
.LBB436_8:
	s_mov_b32 s36, 0
	s_mov_b32 s37, s36
	;; [unrolled: 1-line block ×8, first 2 shown]
	v_pk_mov_b32 v[2:3], s[36:37], s[36:37] op_sel:[0,1]
	v_pk_mov_b32 v[4:5], s[38:39], s[38:39] op_sel:[0,1]
	;; [unrolled: 1-line block ×4, first 2 shown]
	s_and_saveexec_b64 s[2:3], s[0:1]
	s_cbranch_execz .LBB436_10
; %bb.9:
	s_load_dwordx2 s[28:29], s[4:5], 0x38
	s_mul_hi_i32 s37, s19, s6
	s_mul_i32 s36, s19, s6
	s_lshl_b64 s[36:37], s[36:37], 1
	s_mov_b32 s31, 0x20000
	s_waitcnt lgkmcnt(0)
	s_add_u32 s28, s28, s36
	s_addc_u32 s14, s29, s37
	s_and_b32 s29, s14, 0xffff
	v_lshlrev_b32_e32 v26, 4, v0
	buffer_load_dwordx4 v[2:5], v26, s[28:31], 0 offen glc slc
	s_load_dwordx2 s[28:29], s[4:5], 0x20
	s_waitcnt vmcnt(2)
	v_cvt_f32_u32_sdwa v7, v14 dst_sel:DWORD dst_unused:UNUSED_PAD src0_sel:WORD_1
	v_cvt_f32_u32_sdwa v6, v14 dst_sel:DWORD dst_unused:UNUSED_PAD src0_sel:WORD_0
	v_cvt_f32_u32_sdwa v9, v15 dst_sel:DWORD dst_unused:UNUSED_PAD src0_sel:WORD_1
	v_cvt_f32_u32_sdwa v8, v15 dst_sel:DWORD dst_unused:UNUSED_PAD src0_sel:WORD_0
	;; [unrolled: 2-line block ×4, first 2 shown]
	s_mul_hi_i32 s37, s11, s6
	s_mul_i32 s36, s11, s6
	s_lshl_b64 s[36:37], s[36:37], 1
	s_waitcnt lgkmcnt(0)
	s_add_u32 s28, s28, s36
	s_mov_b32 s11, 0x7060302
	s_addc_u32 s14, s29, s37
	s_and_b32 s29, s14, 0xffff
	s_waitcnt vmcnt(0)
	v_cvt_f32_u32_sdwa v17, v2 dst_sel:DWORD dst_unused:UNUSED_PAD src0_sel:WORD_1
	v_cvt_f32_u32_sdwa v16, v2 dst_sel:DWORD dst_unused:UNUSED_PAD src0_sel:WORD_0
	v_cvt_f32_u32_sdwa v21, v3 dst_sel:DWORD dst_unused:UNUSED_PAD src0_sel:WORD_1
	v_cvt_f32_u32_sdwa v20, v3 dst_sel:DWORD dst_unused:UNUSED_PAD src0_sel:WORD_0
	;; [unrolled: 2-line block ×4, first 2 shown]
	v_pk_add_f32 v[2:3], v[6:7], v[16:17]
	v_pk_add_f32 v[4:5], v[8:9], v[20:21]
	v_pk_add_f32 v[6:7], v[14:15], v[22:23]
	v_pk_add_f32 v[8:9], v[18:19], v[24:25]
	v_perm_b32 v17, v9, v8, s11
	v_perm_b32 v16, v7, v6, s11
	;; [unrolled: 1-line block ×4, first 2 shown]
	buffer_store_dwordx4 v[14:17], v26, s[28:31], 0 offen glc slc
	;;#ASMSTART
	s_nop 0
	;;#ASMEND
.LBB436_10:
	s_or_b64 exec, exec, s[2:3]
.LBB436_11:
	s_waitcnt vmcnt(1)
	v_mul_f32_e32 v14, v3, v3
	v_fmac_f32_e32 v14, v2, v2
	v_fmac_f32_e32 v14, v4, v4
	;; [unrolled: 1-line block ×7, first 2 shown]
	v_and_b32_e32 v16, 63, v0
	v_cmp_eq_u32_e64 s[2:3], 63, v16
	v_mov_b32_dpp v15, v14 quad_perm:[1,0,3,2] row_mask:0xf bank_mask:0xf
	v_add_f32_e32 v14, v14, v15
	s_nop 1
	v_mov_b32_dpp v15, v14 quad_perm:[2,3,0,1] row_mask:0xf bank_mask:0xf
	v_add_f32_e32 v14, v14, v15
	s_nop 1
	v_mov_b32_dpp v15, v14 row_half_mirror row_mask:0xf bank_mask:0xf
	v_add_f32_e32 v14, v14, v15
	s_nop 1
	v_mov_b32_dpp v15, v14 row_mirror row_mask:0xf bank_mask:0xf
	v_add_f32_e32 v14, v14, v15
	s_nop 1
	v_mov_b32_dpp v15, v14 row_bcast:15 row_mask:0xf bank_mask:0xf
	v_add_f32_e32 v14, v14, v15
	s_nop 1
	v_mov_b32_dpp v15, v14 row_bcast:31 row_mask:0xf bank_mask:0xf
	s_and_saveexec_b64 s[28:29], s[2:3]
	s_cbranch_execz .LBB436_13
; %bb.12:
	v_add_f32_e32 v14, v14, v15
	v_lshrrev_b32_e32 v15, 4, v0
	v_and_b32_e32 v15, 60, v15
	ds_write_b32 v15, v14 offset:8
.LBB436_13:
	s_or_b64 exec, exec, s[28:29]
	v_and_b32_e32 v14, 1, v0
	v_lshlrev_b32_e32 v14, 2, v14
	s_waitcnt lgkmcnt(0)
	s_barrier
	ds_read_b32 v15, v14 offset:8
	s_load_dwordx2 s[36:37], s[4:5], 0x18
	s_waitcnt lgkmcnt(0)
	v_mov_b32_dpp v16, v15 quad_perm:[1,0,3,2] row_mask:0xf bank_mask:0xf
	s_and_saveexec_b64 s[28:29], s[0:1]
	s_cbranch_execnz .LBB436_18
; %bb.14:
	s_or_b64 exec, exec, s[28:29]
	s_mov_b64 s[8:9], -1
	s_and_b64 vcc, exec, s[22:23]
	s_cbranch_vccnz .LBB436_19
.LBB436_15:
	s_andn2_b64 vcc, exec, s[8:9]
	s_cbranch_vccz .LBB436_22
.LBB436_16:
	s_cmp_lt_i32 s16, 1
	s_cbranch_scc0 .LBB436_29
.LBB436_17:
	s_endpgm
.LBB436_18:
	v_cvt_f32_u32_e32 v17, s7
	v_add_f32_e32 v15, v15, v16
	v_mov_b32_e32 v19, s13
	v_mov_b32_e32 v20, s12
	v_div_scale_f32 v16, s[38:39], v17, v17, v15
	v_rcp_f32_e32 v18, v16
	v_cndmask_b32_e64 v19, v19, v20, s[8:9]
	s_mov_b32 s7, 0x800000
	v_fma_f32 v20, -v16, v18, 1.0
	v_fmac_f32_e32 v18, v20, v18
	v_div_scale_f32 v20, vcc, v15, v17, v15
	v_mul_f32_e32 v21, v20, v18
	v_fma_f32 v22, -v16, v21, v20
	v_fmac_f32_e32 v21, v22, v18
	v_fma_f32 v16, -v16, v21, v20
	v_div_fmas_f32 v16, v16, v18, v21
	v_div_fixup_f32 v15, v16, v17, v15
	v_add_f32_e32 v15, v19, v15
	v_mul_f32_e32 v16, 0x4b800000, v15
	v_cmp_gt_f32_e32 vcc, s7, v15
	v_cndmask_b32_e32 v15, v15, v16, vcc
	v_rsq_f32_e32 v15, v15
	s_waitcnt vmcnt(0)
	v_cvt_f32_u32_sdwa v19, v10 dst_sel:DWORD dst_unused:UNUSED_PAD src0_sel:WORD_1
	v_cvt_f32_u32_sdwa v18, v10 dst_sel:DWORD dst_unused:UNUSED_PAD src0_sel:WORD_0
	v_cvt_f32_u32_sdwa v21, v11 dst_sel:DWORD dst_unused:UNUSED_PAD src0_sel:WORD_1
	v_mul_f32_e32 v16, 0x45800000, v15
	v_cndmask_b32_e32 v16, v15, v16, vcc
	v_mov_b32_e32 v17, v16
	v_cvt_f32_u32_sdwa v20, v11 dst_sel:DWORD dst_unused:UNUSED_PAD src0_sel:WORD_0
	;;#ASMSTART
	v_pk_mul_f32 v[2:3], v[2:3], v[16:17]
	;;#ASMEND
	;;#ASMSTART
	v_pk_mul_f32 v[4:5], v[4:5], v[16:17]
	;;#ASMEND
	;; [unrolled: 3-line block ×4, first 2 shown]
	v_cvt_f32_u32_sdwa v17, v12 dst_sel:DWORD dst_unused:UNUSED_PAD src0_sel:WORD_1
	v_cvt_f32_u32_sdwa v16, v12 dst_sel:DWORD dst_unused:UNUSED_PAD src0_sel:WORD_0
	v_pk_add_f32 v[10:11], v[18:19], 1.0 op_sel_hi:[1,0]
	v_cvt_f32_u32_sdwa v19, v13 dst_sel:DWORD dst_unused:UNUSED_PAD src0_sel:WORD_1
	v_cvt_f32_u32_sdwa v18, v13 dst_sel:DWORD dst_unused:UNUSED_PAD src0_sel:WORD_0
	;;#ASMSTART
	v_pk_mul_f32 v[2:3], v[2:3], v[10:11]
	;;#ASMEND
	v_pk_add_f32 v[10:11], v[20:21], 1.0 op_sel_hi:[1,0]
	;;#ASMSTART
	v_pk_mul_f32 v[4:5], v[4:5], v[10:11]
	;;#ASMEND
	v_pk_add_f32 v[10:11], v[16:17], 1.0 op_sel_hi:[1,0]
	;; [unrolled: 4-line block ×3, first 2 shown]
	;;#ASMSTART
	v_pk_mul_f32 v[8:9], v[8:9], v[10:11]
	;;#ASMEND
	s_or_b64 exec, exec, s[28:29]
	s_mov_b64 s[8:9], -1
	s_and_b64 vcc, exec, s[22:23]
	s_cbranch_vccz .LBB436_15
.LBB436_19:
	s_and_saveexec_b64 s[8:9], s[0:1]
	s_cbranch_execz .LBB436_21
; %bb.20:
	s_mul_hi_i32 s23, s10, s6
	s_mul_i32 s22, s10, s6
	s_lshl_b64 s[22:23], s[22:23], 1
	s_add_u32 s28, s36, s22
	s_addc_u32 s7, s37, s23
	s_and_b32 s29, s7, 0xffff
	s_mov_b32 s7, 0x7060302
	s_mov_b32 s31, 0x20000
	s_waitcnt vmcnt(0)
	v_perm_b32 v10, v3, v2, s7
	v_perm_b32 v11, v5, v4, s7
	;; [unrolled: 1-line block ×4, first 2 shown]
	v_lshlrev_b32_e32 v15, 4, v0
	buffer_store_dwordx4 v[10:13], v15, s[28:31], 0 offen
	;;#ASMSTART
	s_nop 0
	;;#ASMEND
.LBB436_21:
	s_or_b64 exec, exec, s[8:9]
	s_cbranch_execnz .LBB436_16
.LBB436_22:
	s_waitcnt vmcnt(0)
	v_mov_b32_e32 v10, 0
	s_and_saveexec_b64 s[8:9], s[0:1]
	s_cbranch_execz .LBB436_24
; %bb.23:
	v_and_b32_e32 v2, 0x7fffffff, v2
	v_and_b32_e32 v3, 0x7fffffff, v3
	v_mov_b32_e32 v10, 0x2edbe6ff
	;;#ASMSTART
	v_max3_f32 v2, v10, v2, v3

	;;#ASMEND
	v_and_b32_e32 v3, 0x7fffffff, v4
	v_and_b32_e32 v4, 0x7fffffff, v5
	;;#ASMSTART
	v_max3_f32 v2, v2, v3, v4

	;;#ASMEND
	v_and_b32_e32 v3, 0x7fffffff, v6
	v_and_b32_e32 v4, 0x7fffffff, v7
	;; [unrolled: 6-line block ×3, first 2 shown]
	;;#ASMSTART
	v_max3_f32 v10, v2, v3, v4

	;;#ASMEND
.LBB436_24:
	s_or_b64 exec, exec, s[8:9]
	;;#ASMSTART
	v_max_f32 v3, v10, v10 quad_perm:[1,0,3,2] row_mask:0xf bank_mask:0xf bound_ctrl:1
	;;#ASMEND
	;;#ASMSTART
	v_max_f32 v2, v3, v3 quad_perm:[2,3,0,1] row_mask:0xf bank_mask:0xf bound_ctrl:1
	;;#ASMEND
	v_and_b32_e32 v3, 3, v0
	v_cmp_eq_u32_e32 vcc, 0, v3
	v_cmp_gt_i32_e64 s[8:9], s15, v1
	s_and_b64 s[22:23], vcc, s[8:9]
	s_and_saveexec_b64 s[8:9], s[22:23]
	s_cbranch_execz .LBB436_26
; %bb.25:
	s_load_dwordx2 s[22:23], s[4:5], 0x8
	v_mul_f32_e32 v2, 0x3e2aaaab, v2
	v_lshrrev_b32_e32 v3, 23, v2
	v_and_b32_e32 v4, 0x7f800000, v2
	v_and_b32_e32 v2, 0x7fffff, v2
	v_cmp_ne_u32_e32 vcc, 0, v2
	s_mul_i32 s12, s25, s6
	s_mov_b32 s7, 0x7f800000
	v_addc_co_u32_e32 v2, vcc, 0, v3, vcc
	s_mul_hi_i32 s11, s25, s6
	s_waitcnt lgkmcnt(0)
	s_add_u32 s22, s22, s12
	v_cmp_ne_u32_e32 vcc, s7, v4
	s_addc_u32 s23, s23, s11
	v_lshrrev_b32_e32 v5, 2, v0
	v_cndmask_b32_e32 v4, -1, v2, vcc
	v_pk_mov_b32 v[2:3], s[22:23], s[22:23] op_sel:[0,1]
	v_mad_i64_i32 v[2:3], s[22:23], s26, v5, v[2:3]
	global_store_byte v[2:3], v4, off
.LBB436_26:
	s_or_b64 exec, exec, s[8:9]
	s_and_saveexec_b64 s[8:9], s[0:1]
	s_cbranch_execz .LBB436_28
; %bb.27:
	s_load_dwordx2 s[0:1], s[4:5], 0x0
	s_mul_i32 s11, s24, s6
	s_mul_hi_i32 s7, s24, s6
	v_lshlrev_b32_e32 v2, 2, v0
	s_mov_b32 s27, 0x20000
	s_waitcnt lgkmcnt(0)
	s_add_u32 s24, s0, s11
	s_addc_u32 s0, s1, s7
	s_lshr_b32 s1, s15, 31
	s_add_i32 s1, s15, s1
	s_ashr_i32 s1, s1, 1
	s_add_i32 s1, s1, 3
	s_ashr_i32 s7, s1, 31
	s_lshr_b32 s7, s7, 30
	s_add_i32 s1, s1, s7
	s_and_b32 s26, s1, -4
	s_and_b32 s25, s0, 0xffff
	v_mov_b32_e32 v3, 0
	buffer_store_dword v3, v2, s[24:27], 0 offen
	;;#ASMSTART
	s_nop 0
	;;#ASMEND
.LBB436_28:
	s_or_b64 exec, exec, s[8:9]
	s_cmp_lt_i32 s16, 1
	s_cbranch_scc1 .LBB436_17
.LBB436_29:
	s_load_dword s0, s[4:5], 0x94
	s_waitcnt lgkmcnt(0)
	s_cmp_lg_u32 s0, 1
	s_cbranch_scc1 .LBB436_17
; %bb.30:
	s_lshl_b32 s0, s16, 1
	s_add_i32 s0, s0, 2
	v_cmp_gt_u32_e32 vcc, s16, v1
	s_and_b32 s22, s0, -4
	v_mov_b32_e32 v6, 0
	v_lshlrev_b32_e32 v1, 4, v0
	v_mov_b32_e32 v7, 0
	v_mov_b32_e32 v8, 0
	;; [unrolled: 1-line block ×7, first 2 shown]
	s_barrier
	s_and_saveexec_b64 s[0:1], vcc
	s_cbranch_execz .LBB436_32
; %bb.31:
	s_mul_hi_i32 s5, s18, s6
	s_mul_i32 s4, s18, s6
	s_and_b32 s21, s21, 0xffff
	s_lshl_b64 s[4:5], s[4:5], 1
	s_add_u32 s24, s34, s4
	s_mov_b32 s23, 0x20000
	s_addc_u32 s4, s35, s5
	s_and_b32 s25, s4, 0xffff
	s_mov_b32 s26, s22
	s_mov_b32 s27, s23
	buffer_load_dwordx4 v[6:9], v1, s[24:27], 0 offen glc slc
	buffer_load_dwordx4 v[2:5], v1, s[20:23], 0 offen
.LBB436_32:
	s_or_b64 exec, exec, s[0:1]
	s_waitcnt vmcnt(0)
	v_cvt_f32_u32_sdwa v13, v6 dst_sel:DWORD dst_unused:UNUSED_PAD src0_sel:WORD_1
	v_cvt_f32_u32_sdwa v12, v6 dst_sel:DWORD dst_unused:UNUSED_PAD src0_sel:WORD_0
	v_cvt_f32_u32_sdwa v6, v9 dst_sel:DWORD dst_unused:UNUSED_PAD src0_sel:WORD_1
	v_cvt_f32_u32_sdwa v9, v9 dst_sel:DWORD dst_unused:UNUSED_PAD src0_sel:WORD_0
	;; [unrolled: 2-line block ×4, first 2 shown]
	v_cndmask_b32_e32 v13, 0, v13, vcc
	v_cndmask_b32_e32 v7, 0, v6, vcc
	v_cndmask_b32_e32 v6, 0, v9, vcc
	v_cndmask_b32_e32 v9, 0, v15, vcc
	v_cndmask_b32_e32 v12, 0, v12, vcc
	v_mul_f32_e32 v15, v13, v13
	v_cndmask_b32_e32 v10, 0, v10, vcc
	v_fmac_f32_e32 v15, v12, v12
	v_cndmask_b32_e32 v11, 0, v11, vcc
	v_fmac_f32_e32 v15, v10, v10
	;; [unrolled: 2-line block ×3, first 2 shown]
	v_fmac_f32_e32 v15, v8, v8
	v_fmac_f32_e32 v15, v9, v9
	;; [unrolled: 1-line block ×4, first 2 shown]
	s_nop 1
	v_mov_b32_dpp v16, v15 quad_perm:[1,0,3,2] row_mask:0xf bank_mask:0xf
	v_add_f32_e32 v15, v15, v16
	s_nop 1
	v_mov_b32_dpp v16, v15 quad_perm:[2,3,0,1] row_mask:0xf bank_mask:0xf
	v_add_f32_e32 v15, v15, v16
	s_nop 1
	v_mov_b32_dpp v16, v15 row_half_mirror row_mask:0xf bank_mask:0xf
	v_add_f32_e32 v15, v15, v16
	s_nop 1
	v_mov_b32_dpp v16, v15 row_mirror row_mask:0xf bank_mask:0xf
	v_add_f32_e32 v15, v15, v16
	s_nop 1
	v_mov_b32_dpp v16, v15 row_bcast:15 row_mask:0xf bank_mask:0xf
	v_add_f32_e32 v15, v15, v16
	s_nop 1
	v_mov_b32_dpp v16, v15 row_bcast:31 row_mask:0xf bank_mask:0xf
	s_and_saveexec_b64 s[0:1], s[2:3]
	s_cbranch_execz .LBB436_34
; %bb.33:
	v_lshrrev_b32_e32 v0, 4, v0
	v_add_f32_e32 v15, v15, v16
	v_and_b32_e32 v0, 60, v0
	ds_write_b32 v0, v15
.LBB436_34:
	s_or_b64 exec, exec, s[0:1]
	s_waitcnt lgkmcnt(0)
	s_barrier
	ds_read_b32 v0, v14
	s_waitcnt lgkmcnt(0)
	s_nop 0
	v_mov_b32_dpp v14, v0 quad_perm:[1,0,3,2] row_mask:0xf bank_mask:0xf
	s_and_saveexec_b64 s[0:1], vcc
	s_cbranch_execz .LBB436_17
; %bb.35:
	v_cvt_f32_u32_e32 v15, s16
	v_add_f32_e32 v0, v0, v14
	s_mov_b32 s23, 0x20000
	v_div_scale_f32 v14, s[0:1], v15, v15, v0
	v_rcp_f32_e32 v16, v14
	v_div_scale_f32 v17, vcc, v0, v15, v0
	s_mov_b32 s0, 0x800000
	v_fma_f32 v18, -v14, v16, 1.0
	v_fmac_f32_e32 v16, v18, v16
	v_mul_f32_e32 v18, v17, v16
	v_fma_f32 v19, -v14, v18, v17
	v_fmac_f32_e32 v18, v19, v16
	v_fma_f32 v14, -v14, v18, v17
	v_div_fmas_f32 v14, v14, v16, v18
	v_div_fixup_f32 v0, v14, v15, v0
	v_add_f32_e32 v0, s13, v0
	v_mul_f32_e32 v14, 0x4b800000, v0
	v_cmp_gt_f32_e32 vcc, s0, v0
	v_cndmask_b32_e32 v0, v0, v14, vcc
	v_rsq_f32_e32 v0, v0
	v_cvt_f32_u32_sdwa v17, v2 dst_sel:DWORD dst_unused:UNUSED_PAD src0_sel:WORD_1
	v_cvt_f32_u32_sdwa v16, v2 dst_sel:DWORD dst_unused:UNUSED_PAD src0_sel:WORD_0
	v_cvt_f32_u32_sdwa v19, v3 dst_sel:DWORD dst_unused:UNUSED_PAD src0_sel:WORD_1
	v_mul_f32_e32 v14, 0x45800000, v0
	v_cndmask_b32_e32 v14, v0, v14, vcc
	v_mov_b32_e32 v15, v14
	;;#ASMSTART
	v_pk_mul_f32 v[12:13], v[12:13], v[14:15]
	;;#ASMEND
	;;#ASMSTART
	v_pk_mul_f32 v[10:11], v[10:11], v[14:15]
	;;#ASMEND
	;; [unrolled: 3-line block ×3, first 2 shown]
	v_cvt_f32_u32_sdwa v18, v3 dst_sel:DWORD dst_unused:UNUSED_PAD src0_sel:WORD_0
	;;#ASMSTART
	v_pk_mul_f32 v[2:3], v[6:7], v[14:15]
	;;#ASMEND
	v_cvt_f32_u32_sdwa v15, v4 dst_sel:DWORD dst_unused:UNUSED_PAD src0_sel:WORD_1
	v_cvt_f32_u32_sdwa v14, v4 dst_sel:DWORD dst_unused:UNUSED_PAD src0_sel:WORD_0
	v_pk_add_f32 v[6:7], v[16:17], 1.0 op_sel_hi:[1,0]
	v_cvt_f32_u32_sdwa v17, v5 dst_sel:DWORD dst_unused:UNUSED_PAD src0_sel:WORD_1
	v_cvt_f32_u32_sdwa v16, v5 dst_sel:DWORD dst_unused:UNUSED_PAD src0_sel:WORD_0
	s_mul_hi_i32 s1, s10, s6
	s_mul_i32 s0, s10, s6
	s_lshl_b64 s[0:1], s[0:1], 1
	s_add_u32 s20, s36, s0
	;;#ASMSTART
	v_pk_mul_f32 v[6:7], v[12:13], v[6:7]
	;;#ASMEND
	v_pk_add_f32 v[12:13], v[18:19], 1.0 op_sel_hi:[1,0]
	;;#ASMSTART
	v_pk_mul_f32 v[4:5], v[10:11], v[12:13]
	;;#ASMEND
	v_pk_add_f32 v[10:11], v[14:15], 1.0 op_sel_hi:[1,0]
	s_addc_u32 s0, s37, s1
	;;#ASMSTART
	v_pk_mul_f32 v[8:9], v[8:9], v[10:11]
	;;#ASMEND
	v_pk_add_f32 v[10:11], v[16:17], 1.0 op_sel_hi:[1,0]
	s_and_b32 s21, s0, 0xffff
	s_mov_b32 s0, 0x7060302
	;;#ASMSTART
	v_pk_mul_f32 v[10:11], v[2:3], v[10:11]
	;;#ASMEND
	v_perm_b32 v2, v7, v6, s0
	v_perm_b32 v3, v5, v4, s0
	;; [unrolled: 1-line block ×4, first 2 shown]
	buffer_store_dwordx4 v[2:5], v1, s[20:23], 0 offen
	;;#ASMSTART
	s_nop 0
	;;#ASMEND
	s_endpgm
	.section	.rodata,"a",@progbits
	.p2align	6, 0x0
	.amdhsa_kernel _ZN5aiter35fused_qk_rmsnorm_group_quant_kernelItN4opus5fp4_tELi128ELi8ELi4ELb1ELb0ELb1ELb0ELb0ELb0EEEvPT0_PvPT_S7_S7_PKS6_S9_S9_S9_S9_ffiiiiiiiiiiiii
		.amdhsa_group_segment_fixed_size 16
		.amdhsa_private_segment_fixed_size 0
		.amdhsa_kernarg_size 400
		.amdhsa_user_sgpr_count 6
		.amdhsa_user_sgpr_private_segment_buffer 1
		.amdhsa_user_sgpr_dispatch_ptr 0
		.amdhsa_user_sgpr_queue_ptr 0
		.amdhsa_user_sgpr_kernarg_segment_ptr 1
		.amdhsa_user_sgpr_dispatch_id 0
		.amdhsa_user_sgpr_flat_scratch_init 0
		.amdhsa_user_sgpr_kernarg_preload_length 0
		.amdhsa_user_sgpr_kernarg_preload_offset 0
		.amdhsa_user_sgpr_private_segment_size 0
		.amdhsa_uses_dynamic_stack 0
		.amdhsa_system_sgpr_private_segment_wavefront_offset 0
		.amdhsa_system_sgpr_workgroup_id_x 1
		.amdhsa_system_sgpr_workgroup_id_y 1
		.amdhsa_system_sgpr_workgroup_id_z 0
		.amdhsa_system_sgpr_workgroup_info 0
		.amdhsa_system_vgpr_workitem_id 0
		.amdhsa_next_free_vgpr 27
		.amdhsa_next_free_sgpr 44
		.amdhsa_accum_offset 28
		.amdhsa_reserve_vcc 1
		.amdhsa_reserve_flat_scratch 0
		.amdhsa_float_round_mode_32 0
		.amdhsa_float_round_mode_16_64 0
		.amdhsa_float_denorm_mode_32 3
		.amdhsa_float_denorm_mode_16_64 3
		.amdhsa_dx10_clamp 1
		.amdhsa_ieee_mode 1
		.amdhsa_fp16_overflow 0
		.amdhsa_tg_split 0
		.amdhsa_exception_fp_ieee_invalid_op 0
		.amdhsa_exception_fp_denorm_src 0
		.amdhsa_exception_fp_ieee_div_zero 0
		.amdhsa_exception_fp_ieee_overflow 0
		.amdhsa_exception_fp_ieee_underflow 0
		.amdhsa_exception_fp_ieee_inexact 0
		.amdhsa_exception_int_div_zero 0
	.end_amdhsa_kernel
	.section	.text._ZN5aiter35fused_qk_rmsnorm_group_quant_kernelItN4opus5fp4_tELi128ELi8ELi4ELb1ELb0ELb1ELb0ELb0ELb0EEEvPT0_PvPT_S7_S7_PKS6_S9_S9_S9_S9_ffiiiiiiiiiiiii,"axG",@progbits,_ZN5aiter35fused_qk_rmsnorm_group_quant_kernelItN4opus5fp4_tELi128ELi8ELi4ELb1ELb0ELb1ELb0ELb0ELb0EEEvPT0_PvPT_S7_S7_PKS6_S9_S9_S9_S9_ffiiiiiiiiiiiii,comdat
.Lfunc_end436:
	.size	_ZN5aiter35fused_qk_rmsnorm_group_quant_kernelItN4opus5fp4_tELi128ELi8ELi4ELb1ELb0ELb1ELb0ELb0ELb0EEEvPT0_PvPT_S7_S7_PKS6_S9_S9_S9_S9_ffiiiiiiiiiiiii, .Lfunc_end436-_ZN5aiter35fused_qk_rmsnorm_group_quant_kernelItN4opus5fp4_tELi128ELi8ELi4ELb1ELb0ELb1ELb0ELb0ELb0EEEvPT0_PvPT_S7_S7_PKS6_S9_S9_S9_S9_ffiiiiiiiiiiiii
                                        ; -- End function
	.section	.AMDGPU.csdata,"",@progbits
; Kernel info:
; codeLenInByte = 2764
; NumSgprs: 48
; NumVgprs: 27
; NumAgprs: 0
; TotalNumVgprs: 27
; ScratchSize: 0
; MemoryBound: 0
; FloatMode: 240
; IeeeMode: 1
; LDSByteSize: 16 bytes/workgroup (compile time only)
; SGPRBlocks: 5
; VGPRBlocks: 3
; NumSGPRsForWavesPerEU: 48
; NumVGPRsForWavesPerEU: 27
; AccumOffset: 28
; Occupancy: 8
; WaveLimiterHint : 0
; COMPUTE_PGM_RSRC2:SCRATCH_EN: 0
; COMPUTE_PGM_RSRC2:USER_SGPR: 6
; COMPUTE_PGM_RSRC2:TRAP_HANDLER: 0
; COMPUTE_PGM_RSRC2:TGID_X_EN: 1
; COMPUTE_PGM_RSRC2:TGID_Y_EN: 1
; COMPUTE_PGM_RSRC2:TGID_Z_EN: 0
; COMPUTE_PGM_RSRC2:TIDIG_COMP_CNT: 0
; COMPUTE_PGM_RSRC3_GFX90A:ACCUM_OFFSET: 6
; COMPUTE_PGM_RSRC3_GFX90A:TG_SPLIT: 0
	.section	.text._ZN5aiter35fused_qk_rmsnorm_group_quant_kernelIDF16_DB8_Li128ELi8ELi4ELb1ELb0ELb0ELb0ELb0ELb0EEEvPT0_PvPT_S6_S6_PKS5_S8_S8_S8_S8_ffiiiiiiiiiiiii,"axG",@progbits,_ZN5aiter35fused_qk_rmsnorm_group_quant_kernelIDF16_DB8_Li128ELi8ELi4ELb1ELb0ELb0ELb0ELb0ELb0EEEvPT0_PvPT_S6_S6_PKS5_S8_S8_S8_S8_ffiiiiiiiiiiiii,comdat
	.protected	_ZN5aiter35fused_qk_rmsnorm_group_quant_kernelIDF16_DB8_Li128ELi8ELi4ELb1ELb0ELb0ELb0ELb0ELb0EEEvPT0_PvPT_S6_S6_PKS5_S8_S8_S8_S8_ffiiiiiiiiiiiii ; -- Begin function _ZN5aiter35fused_qk_rmsnorm_group_quant_kernelIDF16_DB8_Li128ELi8ELi4ELb1ELb0ELb0ELb0ELb0ELb0EEEvPT0_PvPT_S6_S6_PKS5_S8_S8_S8_S8_ffiiiiiiiiiiiii
	.globl	_ZN5aiter35fused_qk_rmsnorm_group_quant_kernelIDF16_DB8_Li128ELi8ELi4ELb1ELb0ELb0ELb0ELb0ELb0EEEvPT0_PvPT_S6_S6_PKS5_S8_S8_S8_S8_ffiiiiiiiiiiiii
	.p2align	8
	.type	_ZN5aiter35fused_qk_rmsnorm_group_quant_kernelIDF16_DB8_Li128ELi8ELi4ELb1ELb0ELb0ELb0ELb0ELb0EEEvPT0_PvPT_S6_S6_PKS5_S8_S8_S8_S8_ffiiiiiiiiiiiii,@function
_ZN5aiter35fused_qk_rmsnorm_group_quant_kernelIDF16_DB8_Li128ELi8ELi4ELb1ELb0ELb0ELb0ELb0ELb0EEEvPT0_PvPT_S6_S6_PKS5_S8_S8_S8_S8_ffiiiiiiiiiiiii: ; @_ZN5aiter35fused_qk_rmsnorm_group_quant_kernelIDF16_DB8_Li128ELi8ELi4ELb1ELb0ELb0ELb0ELb0ELb0EEEvPT0_PvPT_S6_S6_PKS5_S8_S8_S8_S8_ffiiiiiiiiiiiii
; %bb.0:
	s_load_dwordx8 s[12:19], s[4:5], 0x50
	s_waitcnt lgkmcnt(0)
	s_cmp_ge_i32 s6, s14
	s_cbranch_scc1 .LBB437_17
; %bb.1:
	s_cmp_lg_u32 s7, 0
	s_cselect_b64 s[10:11], -1, 0
	s_cmp_eq_u32 s7, 0
	s_cselect_b64 s[8:9], -1, 0
	s_and_b64 s[0:1], s[8:9], exec
	s_load_dwordx2 s[20:21], s[4:5], 0x48
	s_load_dwordx2 s[36:37], s[4:5], 0x30
	s_load_dwordx4 s[24:27], s[4:5], 0x70
	s_cselect_b32 s7, s15, s16
	s_add_i32 s0, s7, 1
	s_lshr_b32 s1, s0, 31
	s_add_i32 s0, s0, s1
	s_lshl_b32 s0, s0, 1
	v_lshlrev_b32_e32 v1, 3, v0
	s_and_b32 s30, s0, -4
	v_cmp_gt_i32_e64 s[0:1], s7, v1
	v_mov_b32_e32 v24, 0
	v_mov_b32_e32 v25, 0
	;; [unrolled: 1-line block ×8, first 2 shown]
	s_and_saveexec_b64 s[2:3], s[0:1]
	s_cbranch_execz .LBB437_3
; %bb.2:
	s_load_dwordx2 s[22:23], s[4:5], 0x28
	s_load_dwordx2 s[28:29], s[4:5], 0x40
	s_and_b64 s[34:35], s[8:9], exec
	s_cselect_b32 s14, s17, s18
	s_mov_b32 s31, 0x20000
	s_waitcnt lgkmcnt(0)
	s_cselect_b32 s17, s23, s37
	s_cselect_b32 s27, s22, s36
	s_mul_hi_i32 s23, s14, s6
	s_mul_i32 s22, s14, s6
	s_lshl_b64 s[22:23], s[22:23], 1
	s_add_u32 s40, s27, s22
	s_addc_u32 s14, s17, s23
	s_and_b64 s[22:23], s[8:9], exec
	s_cselect_b32 s28, s28, s20
	s_cselect_b32 s17, s29, s21
	v_lshlrev_b32_e32 v2, 4, v0
	s_and_b32 s41, s14, 0xffff
	s_mov_b32 s42, s30
	s_mov_b32 s43, s31
	s_and_b32 s29, s17, 0xffff
	buffer_load_dwordx4 v[28:31], v2, s[40:43], 0 offen glc slc
	buffer_load_dwordx4 v[24:27], v2, s[28:31], 0 offen
.LBB437_3:
	s_or_b64 exec, exec, s[2:3]
	s_load_dwordx2 s[34:35], s[4:5], 0x80
	s_and_b64 vcc, exec, s[10:11]
	s_cbranch_vccz .LBB437_7
; %bb.4:
	v_mov_b32_e32 v33, 0
	v_mov_b32_e32 v32, 0
	;; [unrolled: 1-line block ×8, first 2 shown]
	s_and_saveexec_b64 s[2:3], s[0:1]
	s_cbranch_execz .LBB437_6
; %bb.5:
	s_waitcnt vmcnt(1)
	v_cvt_f32_f16_sdwa v17, v28 dst_sel:DWORD dst_unused:UNUSED_PAD src0_sel:WORD_1
	v_cvt_f32_f16_e32 v16, v28
	v_cvt_f32_f16_sdwa v11, v29 dst_sel:DWORD dst_unused:UNUSED_PAD src0_sel:WORD_1
	v_cvt_f32_f16_e32 v10, v29
	;; [unrolled: 2-line block ×4, first 2 shown]
.LBB437_6:
	s_or_b64 exec, exec, s[2:3]
	s_cbranch_execz .LBB437_8
	s_branch .LBB437_11
.LBB437_7:
                                        ; implicit-def: $vgpr8_vgpr9_vgpr10_vgpr11_vgpr12_vgpr13_vgpr14_vgpr15
                                        ; implicit-def: $vgpr33
                                        ; implicit-def: $vgpr16_vgpr17_vgpr18_vgpr19_vgpr20_vgpr21_vgpr22_vgpr23
                                        ; implicit-def: $vgpr2_vgpr3_vgpr4_vgpr5_vgpr6_vgpr7_vgpr8_vgpr9
.LBB437_8:
	v_mov_b32_e32 v33, 0
	v_mov_b32_e32 v32, 0
	v_mov_b32_e32 v7, 0
	v_mov_b32_e32 v6, 0
	v_mov_b32_e32 v11, 0
	v_mov_b32_e32 v10, 0
	v_mov_b32_e32 v17, 0
	v_mov_b32_e32 v16, 0
	s_and_saveexec_b64 s[2:3], s[0:1]
	s_cbranch_execz .LBB437_10
; %bb.9:
	s_load_dwordx2 s[22:23], s[4:5], 0x38
	s_mul_hi_i32 s29, s19, s6
	s_mul_i32 s28, s19, s6
	s_lshl_b64 s[28:29], s[28:29], 1
	s_mov_b32 s31, 0x20000
	s_waitcnt lgkmcnt(0)
	s_add_u32 s28, s22, s28
	s_addc_u32 s14, s23, s29
	s_and_b32 s29, s14, 0xffff
	v_lshlrev_b32_e32 v20, 4, v0
	buffer_load_dwordx4 v[2:5], v20, s[28:31], 0 offen glc slc
	s_waitcnt vmcnt(2)
	v_cvt_f32_f16_sdwa v7, v28 dst_sel:DWORD dst_unused:UNUSED_PAD src0_sel:WORD_1
	v_cvt_f32_f16_e32 v6, v28
	v_cvt_f32_f16_sdwa v9, v29 dst_sel:DWORD dst_unused:UNUSED_PAD src0_sel:WORD_1
	v_cvt_f32_f16_e32 v8, v29
	;; [unrolled: 2-line block ×4, first 2 shown]
	s_load_dwordx2 s[22:23], s[4:5], 0x20
	s_mul_hi_i32 s29, s35, s6
	s_mul_i32 s28, s35, s6
	s_lshl_b64 s[28:29], s[28:29], 1
	s_waitcnt lgkmcnt(0)
	s_add_u32 s28, s22, s28
	s_addc_u32 s14, s23, s29
	s_and_b32 s29, s14, 0xffff
	s_waitcnt vmcnt(0)
	v_cvt_f32_f16_e32 v10, v2
	v_cvt_f32_f16_sdwa v11, v2 dst_sel:DWORD dst_unused:UNUSED_PAD src0_sel:WORD_1
	v_cvt_f32_f16_e32 v2, v3
	v_cvt_f32_f16_sdwa v3, v3 dst_sel:DWORD dst_unused:UNUSED_PAD src0_sel:WORD_1
	;; [unrolled: 2-line block ×4, first 2 shown]
	v_pk_add_f32 v[16:17], v[6:7], v[10:11]
	v_pk_add_f32 v[10:11], v[8:9], v[2:3]
	;; [unrolled: 1-line block ×4, first 2 shown]
	v_cvt_f16_f32_e32 v2, v17
	v_cvt_f16_f32_e32 v3, v11
	;; [unrolled: 1-line block ×8, first 2 shown]
	v_pack_b32_f16 v5, v8, v5
	v_pack_b32_f16 v4, v9, v4
	;; [unrolled: 1-line block ×4, first 2 shown]
	buffer_store_dwordx4 v[2:5], v20, s[28:31], 0 offen glc slc
	;;#ASMSTART
	s_nop 0
	;;#ASMEND
.LBB437_10:
	s_or_b64 exec, exec, s[2:3]
.LBB437_11:
	v_mul_f32_e32 v2, v17, v17
	v_fmac_f32_e32 v2, v16, v16
	v_fmac_f32_e32 v2, v10, v10
	;; [unrolled: 1-line block ×7, first 2 shown]
	v_and_b32_e32 v4, 63, v0
	v_cmp_eq_u32_e64 s[2:3], 63, v4
	v_mov_b32_dpp v3, v2 quad_perm:[1,0,3,2] row_mask:0xf bank_mask:0xf
	v_add_f32_e32 v2, v2, v3
	s_nop 1
	v_mov_b32_dpp v3, v2 quad_perm:[2,3,0,1] row_mask:0xf bank_mask:0xf
	v_add_f32_e32 v2, v2, v3
	s_nop 1
	v_mov_b32_dpp v3, v2 row_half_mirror row_mask:0xf bank_mask:0xf
	v_add_f32_e32 v2, v2, v3
	s_nop 1
	v_mov_b32_dpp v3, v2 row_mirror row_mask:0xf bank_mask:0xf
	v_add_f32_e32 v2, v2, v3
	s_nop 1
	v_mov_b32_dpp v3, v2 row_bcast:15 row_mask:0xf bank_mask:0xf
	v_add_f32_e32 v2, v2, v3
	s_nop 1
	v_mov_b32_dpp v3, v2 row_bcast:31 row_mask:0xf bank_mask:0xf
	s_and_saveexec_b64 s[22:23], s[2:3]
	s_cbranch_execz .LBB437_13
; %bb.12:
	v_add_f32_e32 v2, v2, v3
	v_lshrrev_b32_e32 v3, 4, v0
	v_and_b32_e32 v3, 60, v3
	ds_write_b32 v3, v2 offset:8
.LBB437_13:
	s_or_b64 exec, exec, s[22:23]
	v_and_b32_e32 v2, 1, v0
	v_lshlrev_b32_e32 v18, 2, v2
	s_waitcnt lgkmcnt(0)
	s_barrier
	ds_read_b32 v2, v18 offset:8
	s_load_dwordx2 s[38:39], s[4:5], 0x18
	s_waitcnt lgkmcnt(0)
	v_mov_b32_dpp v3, v2 quad_perm:[1,0,3,2] row_mask:0xf bank_mask:0xf
	s_and_saveexec_b64 s[22:23], s[0:1]
	s_cbranch_execnz .LBB437_18
; %bb.14:
	s_or_b64 exec, exec, s[22:23]
	s_mov_b64 s[8:9], -1
	s_and_b64 vcc, exec, s[10:11]
	s_cbranch_vccnz .LBB437_19
.LBB437_15:
	s_andn2_b64 vcc, exec, s[8:9]
	s_cbranch_vccz .LBB437_22
.LBB437_16:
	s_cmp_lt_i32 s16, 1
	s_cbranch_scc0 .LBB437_29
.LBB437_17:
	s_endpgm
.LBB437_18:
	v_cvt_f32_u32_e32 v4, s7
	v_add_f32_e32 v2, v2, v3
	v_mov_b32_e32 v8, s13
	v_mov_b32_e32 v9, s12
	v_div_scale_f32 v3, s[28:29], v4, v4, v2
	v_rcp_f32_e32 v5, v3
	v_cndmask_b32_e64 v8, v8, v9, s[8:9]
	s_mov_b32 s7, 0x800000
	s_waitcnt vmcnt(0)
	v_cvt_f32_f16_sdwa v15, v26 dst_sel:DWORD dst_unused:UNUSED_PAD src0_sel:WORD_1
	v_fma_f32 v9, -v3, v5, 1.0
	v_fmac_f32_e32 v5, v9, v5
	v_div_scale_f32 v9, vcc, v2, v4, v2
	v_mul_f32_e32 v12, v9, v5
	v_fma_f32 v13, -v3, v12, v9
	v_fmac_f32_e32 v12, v13, v5
	v_fma_f32 v3, -v3, v12, v9
	v_div_fmas_f32 v3, v3, v5, v12
	v_div_fixup_f32 v2, v3, v4, v2
	v_add_f32_e32 v2, v8, v2
	v_mul_f32_e32 v3, 0x4b800000, v2
	v_cmp_gt_f32_e32 vcc, s7, v2
	v_cndmask_b32_e32 v2, v2, v3, vcc
	v_rsq_f32_e32 v2, v2
	v_cvt_f32_f16_sdwa v13, v25 dst_sel:DWORD dst_unused:UNUSED_PAD src0_sel:WORD_1
	v_cvt_f32_f16_e32 v12, v25
	v_cvt_f32_f16_e32 v14, v26
	v_mul_f32_e32 v3, 0x45800000, v2
	v_cndmask_b32_e32 v2, v2, v3, vcc
	v_mov_b32_e32 v3, v2
	;;#ASMSTART
	v_pk_mul_f32 v[4:5], v[16:17], v[2:3]
	;;#ASMEND
	;;#ASMSTART
	v_pk_mul_f32 v[8:9], v[10:11], v[2:3]
	;;#ASMEND
	;; [unrolled: 3-line block ×3, first 2 shown]
	v_cvt_f32_f16_sdwa v11, v24 dst_sel:DWORD dst_unused:UNUSED_PAD src0_sel:WORD_1
	v_cvt_f32_f16_e32 v10, v24
	;;#ASMSTART
	v_pk_mul_f32 v[2:3], v[32:33], v[2:3]
	;;#ASMEND
	v_cvt_f32_f16_sdwa v21, v27 dst_sel:DWORD dst_unused:UNUSED_PAD src0_sel:WORD_1
	v_cvt_f32_f16_e32 v20, v27
	;;#ASMSTART
	v_pk_mul_f32 v[16:17], v[4:5], v[10:11]
	;;#ASMEND
	;;#ASMSTART
	v_pk_mul_f32 v[10:11], v[8:9], v[12:13]
	;;#ASMEND
	;; [unrolled: 3-line block ×4, first 2 shown]
	s_or_b64 exec, exec, s[22:23]
	s_mov_b64 s[8:9], -1
	s_and_b64 vcc, exec, s[10:11]
	s_cbranch_vccz .LBB437_15
.LBB437_19:
	s_and_saveexec_b64 s[8:9], s[0:1]
	s_cbranch_execz .LBB437_21
; %bb.20:
	s_mul_hi_i32 s11, s34, s6
	s_mul_i32 s10, s34, s6
	v_cvt_f16_f32_e32 v2, v16
	v_cvt_f16_f32_e32 v3, v10
	;; [unrolled: 1-line block ×8, first 2 shown]
	s_lshl_b64 s[10:11], s[10:11], 1
	s_add_u32 s28, s38, s10
	s_addc_u32 s7, s39, s11
	s_and_b32 s29, s7, 0xffff
	s_mov_b32 s31, 0x20000
	v_pack_b32_f16 v5, v5, v8
	v_pack_b32_f16 v4, v4, v9
	;; [unrolled: 1-line block ×4, first 2 shown]
	v_lshlrev_b32_e32 v8, 4, v0
	buffer_store_dwordx4 v[2:5], v8, s[28:31], 0 offen
	;;#ASMSTART
	s_nop 0
	;;#ASMEND
.LBB437_21:
	s_or_b64 exec, exec, s[8:9]
	s_cbranch_execnz .LBB437_16
.LBB437_22:
	v_mov_b32_e32 v2, 0
	s_and_saveexec_b64 s[8:9], s[0:1]
	s_cbranch_execz .LBB437_24
; %bb.23:
	v_and_b32_e32 v2, 0x7fffffff, v16
	v_and_b32_e32 v3, 0x7fffffff, v17
	v_mov_b32_e32 v4, 0x2edbe6ff
	;;#ASMSTART
	v_max3_f32 v2, v4, v2, v3

	;;#ASMEND
	v_and_b32_e32 v3, 0x7fffffff, v10
	v_and_b32_e32 v4, 0x7fffffff, v11
	;;#ASMSTART
	v_max3_f32 v2, v2, v3, v4

	;;#ASMEND
	v_and_b32_e32 v3, 0x7fffffff, v6
	v_and_b32_e32 v4, 0x7fffffff, v7
	;; [unrolled: 6-line block ×3, first 2 shown]
	;;#ASMSTART
	v_max3_f32 v2, v2, v3, v4

	;;#ASMEND
.LBB437_24:
	s_or_b64 exec, exec, s[8:9]
	;;#ASMSTART
	v_max_f32 v3, v2, v2 quad_perm:[1,0,3,2] row_mask:0xf bank_mask:0xf bound_ctrl:1
	;;#ASMEND
	;;#ASMSTART
	v_max_f32 v2, v3, v3 quad_perm:[2,3,0,1] row_mask:0xf bank_mask:0xf bound_ctrl:1
	;;#ASMEND
	v_and_b32_e32 v3, 3, v0
	v_cmp_eq_u32_e32 vcc, 0, v3
	v_cmp_gt_i32_e64 s[8:9], s15, v1
	v_mul_f32_e32 v2, 0x3b124925, v2
	s_and_b64 s[10:11], vcc, s[8:9]
	s_and_saveexec_b64 s[8:9], s[10:11]
	s_cbranch_execz .LBB437_26
; %bb.25:
	s_load_dwordx2 s[10:11], s[4:5], 0x8
	s_mul_hi_i32 s23, s25, s6
	s_mul_i32 s22, s25, s6
	v_lshrrev_b32_e32 v3, 2, v0
	s_lshl_b64 s[22:23], s[22:23], 2
	v_mad_i64_i32 v[4:5], s[26:27], s26, v3, 0
	s_waitcnt lgkmcnt(0)
	s_add_u32 s7, s10, s22
	s_addc_u32 s10, s11, s23
	v_lshlrev_b64 v[4:5], 2, v[4:5]
	v_mov_b32_e32 v3, s10
	v_add_co_u32_e32 v4, vcc, s7, v4
	v_addc_co_u32_e32 v5, vcc, v3, v5, vcc
	global_store_dword v[4:5], v2, off
.LBB437_26:
	s_or_b64 exec, exec, s[8:9]
	;;#ASMSTART
	v_rcp_f32 v2, v2
	;;#ASMEND
	s_and_saveexec_b64 s[22:23], s[0:1]
	s_cbranch_execz .LBB437_28
; %bb.27:
	s_load_dwordx2 s[0:1], s[4:5], 0x0
	s_mul_i32 s8, s24, s6
	v_mov_b32_e32 v3, v2
	;;#ASMSTART
	v_pk_mul_f32 v[4:5], v[16:17], v[2:3]
	;;#ASMEND
	s_mul_hi_i32 s7, s24, s6
	s_waitcnt lgkmcnt(0)
	s_add_u32 s8, s0, s8
	v_mov_b32_e32 v8, 0xc3e00000
	v_mov_b32_e32 v9, 0x43e00000
	;;#ASMSTART
	v_med3_f32 v4, v4, v8, v9
v_med3_f32 v5, v5, v8, v9
v_cvt_pk_fp8_f32 v12, v4, v5
	;;#ASMEND
	s_addc_u32 s0, s1, s7
	;;#ASMSTART
	v_pk_mul_f32 v[4:5], v[10:11], v[2:3]
	;;#ASMEND
	s_and_b32 s9, s0, 0xffff
	;;#ASMSTART
	v_med3_f32 v4, v4, v8, v9
v_med3_f32 v5, v5, v8, v9
v_cvt_pk_fp8_f32 v10, v4, v5
	;;#ASMEND
	s_mov_b32 s0, 0x5040100
	v_perm_b32 v5, v10, v12, s0
	s_movk_i32 s0, 0xff
	v_and_b32_e32 v4, 0xffffff00, v10
	v_and_b32_sdwa v10, v5, s0 dst_sel:DWORD dst_unused:UNUSED_PAD src0_sel:WORD_1 src1_sel:DWORD
	s_mov_b32 s12, 0xffff
	v_or_b32_sdwa v4, v10, v4 dst_sel:WORD_1 dst_unused:UNUSED_PAD src0_sel:DWORD src1_sel:DWORD
	s_add_i32 s1, s15, 3
	v_and_or_b32 v4, v5, s12, v4
	;;#ASMSTART
	v_pk_mul_f32 v[6:7], v[6:7], v[2:3]
	;;#ASMEND
	v_mov_b32_e32 v5, v7
	s_ashr_i32 s7, s1, 31
	;;#ASMSTART
	v_med3_f32 v6, v6, v8, v9
v_med3_f32 v5, v5, v8, v9
v_cvt_pk_fp8_f32 v7, v6, v5
	;;#ASMEND
	;;#ASMSTART
	v_pk_mul_f32 v[2:3], v[32:33], v[2:3]
	;;#ASMEND
	s_lshr_b32 s7, s7, 30
	;;#ASMSTART
	v_med3_f32 v2, v2, v8, v9
v_med3_f32 v3, v3, v8, v9
v_cvt_pk_fp8_f32 v5, v2, v3
	;;#ASMEND
	s_add_i32 s1, s1, s7
	v_lshlrev_b32_e32 v2, 16, v5
	s_and_b32 s10, s1, -4
	s_mov_b32 s11, 0x20000
	v_and_or_b32 v5, v7, s12, v2
	buffer_store_dwordx2 v[4:5], v1, s[8:11], 0 offen
	;;#ASMSTART
	s_nop 0
	;;#ASMEND
.LBB437_28:
	s_or_b64 exec, exec, s[22:23]
	s_cmp_lt_i32 s16, 1
	s_cbranch_scc1 .LBB437_17
.LBB437_29:
	s_load_dword s0, s[4:5], 0x94
	s_waitcnt lgkmcnt(0)
	s_cmp_lg_u32 s0, 1
	s_cbranch_scc1 .LBB437_17
; %bb.30:
	s_lshl_b32 s0, s16, 1
	s_add_i32 s0, s0, 2
	v_cmp_gt_u32_e32 vcc, s16, v1
	s_and_b32 s22, s0, -4
	v_mov_b32_e32 v10, 0
	v_lshlrev_b32_e32 v1, 4, v0
	v_mov_b32_e32 v6, 0
	v_mov_b32_e32 v7, 0
	;; [unrolled: 1-line block ×8, first 2 shown]
	s_barrier
	s_and_saveexec_b64 s[0:1], vcc
	s_cbranch_execz .LBB437_32
; %bb.31:
	s_mul_hi_i32 s5, s18, s6
	s_mul_i32 s4, s18, s6
	s_and_b32 s21, s21, 0xffff
	s_lshl_b64 s[4:5], s[4:5], 1
	s_add_u32 s8, s36, s4
	s_mov_b32 s23, 0x20000
	s_addc_u32 s4, s37, s5
	s_and_b32 s9, s4, 0xffff
	s_mov_b32 s10, s22
	s_mov_b32 s11, s23
	buffer_load_dwordx4 v[6:9], v1, s[8:11], 0 offen glc slc
	buffer_load_dwordx4 v[2:5], v1, s[20:23], 0 offen
.LBB437_32:
	s_or_b64 exec, exec, s[0:1]
	v_mov_b32_e32 v11, 0
	v_mov_b32_e32 v16, 0
	;; [unrolled: 1-line block ×7, first 2 shown]
	s_and_saveexec_b64 s[0:1], vcc
	s_cbranch_execz .LBB437_34
; %bb.33:
	s_waitcnt vmcnt(1)
	v_cvt_f32_f16_sdwa v11, v6 dst_sel:DWORD dst_unused:UNUSED_PAD src0_sel:WORD_1
	v_cvt_f32_f16_e32 v10, v6
	v_cvt_f32_f16_sdwa v17, v7 dst_sel:DWORD dst_unused:UNUSED_PAD src0_sel:WORD_1
	v_cvt_f32_f16_e32 v16, v7
	;; [unrolled: 2-line block ×4, first 2 shown]
.LBB437_34:
	s_or_b64 exec, exec, s[0:1]
	s_waitcnt vmcnt(1)
	v_mul_f32_e32 v6, v11, v11
	v_fmac_f32_e32 v6, v10, v10
	v_fmac_f32_e32 v6, v16, v16
	;; [unrolled: 1-line block ×7, first 2 shown]
	s_nop 1
	v_mov_b32_dpp v7, v6 quad_perm:[1,0,3,2] row_mask:0xf bank_mask:0xf
	v_add_f32_e32 v6, v6, v7
	s_nop 1
	v_mov_b32_dpp v7, v6 quad_perm:[2,3,0,1] row_mask:0xf bank_mask:0xf
	v_add_f32_e32 v6, v6, v7
	s_nop 1
	v_mov_b32_dpp v7, v6 row_half_mirror row_mask:0xf bank_mask:0xf
	v_add_f32_e32 v6, v6, v7
	s_nop 1
	v_mov_b32_dpp v7, v6 row_mirror row_mask:0xf bank_mask:0xf
	v_add_f32_e32 v6, v6, v7
	s_nop 1
	v_mov_b32_dpp v7, v6 row_bcast:15 row_mask:0xf bank_mask:0xf
	v_add_f32_e32 v6, v6, v7
	s_nop 1
	v_mov_b32_dpp v7, v6 row_bcast:31 row_mask:0xf bank_mask:0xf
	s_and_saveexec_b64 s[0:1], s[2:3]
	s_cbranch_execz .LBB437_36
; %bb.35:
	v_lshrrev_b32_e32 v0, 4, v0
	v_add_f32_e32 v6, v6, v7
	v_and_b32_e32 v0, 60, v0
	ds_write_b32 v0, v6
.LBB437_36:
	s_or_b64 exec, exec, s[0:1]
	s_waitcnt lgkmcnt(0)
	s_barrier
	ds_read_b32 v0, v18
	s_waitcnt lgkmcnt(0)
	s_nop 0
	v_mov_b32_dpp v6, v0 quad_perm:[1,0,3,2] row_mask:0xf bank_mask:0xf
	s_and_saveexec_b64 s[0:1], vcc
	s_cbranch_execz .LBB437_17
; %bb.37:
	v_cvt_f32_u32_e32 v7, s16
	v_add_f32_e32 v0, v0, v6
	s_mov_b32 s23, 0x20000
	v_div_scale_f32 v6, s[0:1], v7, v7, v0
	v_rcp_f32_e32 v8, v6
	v_div_scale_f32 v9, vcc, v0, v7, v0
	s_mov_b32 s0, 0x800000
	v_fma_f32 v18, -v6, v8, 1.0
	v_fmac_f32_e32 v8, v18, v8
	v_mul_f32_e32 v18, v9, v8
	v_fma_f32 v19, -v6, v18, v9
	v_fmac_f32_e32 v18, v19, v8
	v_fma_f32 v6, -v6, v18, v9
	v_div_fmas_f32 v6, v6, v8, v18
	v_div_fixup_f32 v0, v6, v7, v0
	v_add_f32_e32 v0, s13, v0
	v_mul_f32_e32 v6, 0x4b800000, v0
	v_cmp_gt_f32_e32 vcc, s0, v0
	v_cndmask_b32_e32 v0, v0, v6, vcc
	v_rsq_f32_e32 v0, v0
	s_waitcnt vmcnt(0)
	v_cvt_f32_f16_sdwa v19, v5 dst_sel:DWORD dst_unused:UNUSED_PAD src0_sel:WORD_1
	v_cvt_f32_f16_e32 v18, v5
	s_mul_hi_i32 s1, s34, s6
	v_mul_f32_e32 v6, 0x45800000, v0
	v_cndmask_b32_e32 v6, v0, v6, vcc
	v_mov_b32_e32 v7, v6
	;;#ASMSTART
	v_pk_mul_f32 v[8:9], v[10:11], v[6:7]
	;;#ASMEND
	;;#ASMSTART
	v_pk_mul_f32 v[10:11], v[16:17], v[6:7]
	;;#ASMEND
	;; [unrolled: 3-line block ×4, first 2 shown]
	v_cvt_f32_f16_sdwa v13, v2 dst_sel:DWORD dst_unused:UNUSED_PAD src0_sel:WORD_1
	v_cvt_f32_f16_e32 v12, v2
	v_cvt_f32_f16_sdwa v17, v3 dst_sel:DWORD dst_unused:UNUSED_PAD src0_sel:WORD_1
	v_cvt_f32_f16_e32 v16, v3
	;; [unrolled: 2-line block ×3, first 2 shown]
	;;#ASMSTART
	v_pk_mul_f32 v[4:5], v[8:9], v[12:13]
	;;#ASMEND
	;;#ASMSTART
	v_pk_mul_f32 v[8:9], v[10:11], v[16:17]
	;;#ASMEND
	;; [unrolled: 3-line block ×4, first 2 shown]
	s_mul_i32 s0, s34, s6
	v_cvt_f16_f32_e32 v0, v4
	v_cvt_f16_f32_e32 v4, v5
	v_cvt_f16_f32_e32 v5, v8
	v_cvt_f16_f32_e32 v8, v9
	v_cvt_f16_f32_e32 v9, v2
	v_cvt_f16_f32_e32 v10, v3
	v_cvt_f16_f32_e32 v6, v6
	v_cvt_f16_f32_e32 v7, v7
	s_lshl_b64 s[0:1], s[0:1], 1
	s_add_u32 s20, s38, s0
	s_addc_u32 s0, s39, s1
	s_and_b32 s21, s0, 0xffff
	v_pack_b32_f16 v2, v0, v4
	v_pack_b32_f16 v3, v5, v8
	;; [unrolled: 1-line block ×4, first 2 shown]
	buffer_store_dwordx4 v[2:5], v1, s[20:23], 0 offen
	;;#ASMSTART
	s_nop 0
	;;#ASMEND
	s_endpgm
	.section	.rodata,"a",@progbits
	.p2align	6, 0x0
	.amdhsa_kernel _ZN5aiter35fused_qk_rmsnorm_group_quant_kernelIDF16_DB8_Li128ELi8ELi4ELb1ELb0ELb0ELb0ELb0ELb0EEEvPT0_PvPT_S6_S6_PKS5_S8_S8_S8_S8_ffiiiiiiiiiiiii
		.amdhsa_group_segment_fixed_size 16
		.amdhsa_private_segment_fixed_size 0
		.amdhsa_kernarg_size 400
		.amdhsa_user_sgpr_count 6
		.amdhsa_user_sgpr_private_segment_buffer 1
		.amdhsa_user_sgpr_dispatch_ptr 0
		.amdhsa_user_sgpr_queue_ptr 0
		.amdhsa_user_sgpr_kernarg_segment_ptr 1
		.amdhsa_user_sgpr_dispatch_id 0
		.amdhsa_user_sgpr_flat_scratch_init 0
		.amdhsa_user_sgpr_kernarg_preload_length 0
		.amdhsa_user_sgpr_kernarg_preload_offset 0
		.amdhsa_user_sgpr_private_segment_size 0
		.amdhsa_uses_dynamic_stack 0
		.amdhsa_system_sgpr_private_segment_wavefront_offset 0
		.amdhsa_system_sgpr_workgroup_id_x 1
		.amdhsa_system_sgpr_workgroup_id_y 1
		.amdhsa_system_sgpr_workgroup_id_z 0
		.amdhsa_system_sgpr_workgroup_info 0
		.amdhsa_system_vgpr_workitem_id 0
		.amdhsa_next_free_vgpr 34
		.amdhsa_next_free_sgpr 44
		.amdhsa_accum_offset 36
		.amdhsa_reserve_vcc 1
		.amdhsa_reserve_flat_scratch 0
		.amdhsa_float_round_mode_32 0
		.amdhsa_float_round_mode_16_64 0
		.amdhsa_float_denorm_mode_32 3
		.amdhsa_float_denorm_mode_16_64 3
		.amdhsa_dx10_clamp 1
		.amdhsa_ieee_mode 1
		.amdhsa_fp16_overflow 0
		.amdhsa_tg_split 0
		.amdhsa_exception_fp_ieee_invalid_op 0
		.amdhsa_exception_fp_denorm_src 0
		.amdhsa_exception_fp_ieee_div_zero 0
		.amdhsa_exception_fp_ieee_overflow 0
		.amdhsa_exception_fp_ieee_underflow 0
		.amdhsa_exception_fp_ieee_inexact 0
		.amdhsa_exception_int_div_zero 0
	.end_amdhsa_kernel
	.section	.text._ZN5aiter35fused_qk_rmsnorm_group_quant_kernelIDF16_DB8_Li128ELi8ELi4ELb1ELb0ELb0ELb0ELb0ELb0EEEvPT0_PvPT_S6_S6_PKS5_S8_S8_S8_S8_ffiiiiiiiiiiiii,"axG",@progbits,_ZN5aiter35fused_qk_rmsnorm_group_quant_kernelIDF16_DB8_Li128ELi8ELi4ELb1ELb0ELb0ELb0ELb0ELb0EEEvPT0_PvPT_S6_S6_PKS5_S8_S8_S8_S8_ffiiiiiiiiiiiii,comdat
.Lfunc_end437:
	.size	_ZN5aiter35fused_qk_rmsnorm_group_quant_kernelIDF16_DB8_Li128ELi8ELi4ELb1ELb0ELb0ELb0ELb0ELb0EEEvPT0_PvPT_S6_S6_PKS5_S8_S8_S8_S8_ffiiiiiiiiiiiii, .Lfunc_end437-_ZN5aiter35fused_qk_rmsnorm_group_quant_kernelIDF16_DB8_Li128ELi8ELi4ELb1ELb0ELb0ELb0ELb0ELb0EEEvPT0_PvPT_S6_S6_PKS5_S8_S8_S8_S8_ffiiiiiiiiiiiii
                                        ; -- End function
	.section	.AMDGPU.csdata,"",@progbits
; Kernel info:
; codeLenInByte = 2804
; NumSgprs: 48
; NumVgprs: 34
; NumAgprs: 0
; TotalNumVgprs: 34
; ScratchSize: 0
; MemoryBound: 0
; FloatMode: 240
; IeeeMode: 1
; LDSByteSize: 16 bytes/workgroup (compile time only)
; SGPRBlocks: 5
; VGPRBlocks: 4
; NumSGPRsForWavesPerEU: 48
; NumVGPRsForWavesPerEU: 34
; AccumOffset: 36
; Occupancy: 8
; WaveLimiterHint : 0
; COMPUTE_PGM_RSRC2:SCRATCH_EN: 0
; COMPUTE_PGM_RSRC2:USER_SGPR: 6
; COMPUTE_PGM_RSRC2:TRAP_HANDLER: 0
; COMPUTE_PGM_RSRC2:TGID_X_EN: 1
; COMPUTE_PGM_RSRC2:TGID_Y_EN: 1
; COMPUTE_PGM_RSRC2:TGID_Z_EN: 0
; COMPUTE_PGM_RSRC2:TIDIG_COMP_CNT: 0
; COMPUTE_PGM_RSRC3_GFX90A:ACCUM_OFFSET: 8
; COMPUTE_PGM_RSRC3_GFX90A:TG_SPLIT: 0
	.section	.text._ZN5aiter35fused_qk_rmsnorm_group_quant_kernelItDB8_Li128ELi8ELi4ELb1ELb0ELb0ELb0ELb0ELb0EEEvPT0_PvPT_S6_S6_PKS5_S8_S8_S8_S8_ffiiiiiiiiiiiii,"axG",@progbits,_ZN5aiter35fused_qk_rmsnorm_group_quant_kernelItDB8_Li128ELi8ELi4ELb1ELb0ELb0ELb0ELb0ELb0EEEvPT0_PvPT_S6_S6_PKS5_S8_S8_S8_S8_ffiiiiiiiiiiiii,comdat
	.protected	_ZN5aiter35fused_qk_rmsnorm_group_quant_kernelItDB8_Li128ELi8ELi4ELb1ELb0ELb0ELb0ELb0ELb0EEEvPT0_PvPT_S6_S6_PKS5_S8_S8_S8_S8_ffiiiiiiiiiiiii ; -- Begin function _ZN5aiter35fused_qk_rmsnorm_group_quant_kernelItDB8_Li128ELi8ELi4ELb1ELb0ELb0ELb0ELb0ELb0EEEvPT0_PvPT_S6_S6_PKS5_S8_S8_S8_S8_ffiiiiiiiiiiiii
	.globl	_ZN5aiter35fused_qk_rmsnorm_group_quant_kernelItDB8_Li128ELi8ELi4ELb1ELb0ELb0ELb0ELb0ELb0EEEvPT0_PvPT_S6_S6_PKS5_S8_S8_S8_S8_ffiiiiiiiiiiiii
	.p2align	8
	.type	_ZN5aiter35fused_qk_rmsnorm_group_quant_kernelItDB8_Li128ELi8ELi4ELb1ELb0ELb0ELb0ELb0ELb0EEEvPT0_PvPT_S6_S6_PKS5_S8_S8_S8_S8_ffiiiiiiiiiiiii,@function
_ZN5aiter35fused_qk_rmsnorm_group_quant_kernelItDB8_Li128ELi8ELi4ELb1ELb0ELb0ELb0ELb0ELb0EEEvPT0_PvPT_S6_S6_PKS5_S8_S8_S8_S8_ffiiiiiiiiiiiii: ; @_ZN5aiter35fused_qk_rmsnorm_group_quant_kernelItDB8_Li128ELi8ELi4ELb1ELb0ELb0ELb0ELb0ELb0EEEvPT0_PvPT_S6_S6_PKS5_S8_S8_S8_S8_ffiiiiiiiiiiiii
; %bb.0:
	s_load_dwordx8 s[12:19], s[4:5], 0x50
	s_waitcnt lgkmcnt(0)
	s_cmp_ge_i32 s6, s14
	s_cbranch_scc1 .LBB438_17
; %bb.1:
	s_cmp_lg_u32 s7, 0
	s_cselect_b64 s[10:11], -1, 0
	s_cmp_eq_u32 s7, 0
	s_cselect_b64 s[8:9], -1, 0
	s_and_b64 s[0:1], s[8:9], exec
	s_load_dwordx2 s[20:21], s[4:5], 0x48
	s_load_dwordx2 s[36:37], s[4:5], 0x30
	s_load_dwordx4 s[24:27], s[4:5], 0x70
	s_cselect_b32 s7, s15, s16
	s_add_i32 s0, s7, 1
	s_lshr_b32 s1, s0, 31
	s_add_i32 s0, s0, s1
	s_lshl_b32 s0, s0, 1
	v_lshlrev_b32_e32 v1, 3, v0
	s_and_b32 s30, s0, -4
	v_cmp_gt_i32_e64 s[0:1], s7, v1
	v_mov_b32_e32 v10, 0
	v_mov_b32_e32 v11, 0
	;; [unrolled: 1-line block ×8, first 2 shown]
	s_and_saveexec_b64 s[2:3], s[0:1]
	s_cbranch_execz .LBB438_3
; %bb.2:
	s_load_dwordx2 s[22:23], s[4:5], 0x28
	s_load_dwordx2 s[28:29], s[4:5], 0x40
	s_and_b64 s[34:35], s[8:9], exec
	s_cselect_b32 s14, s17, s18
	s_mov_b32 s31, 0x20000
	s_waitcnt lgkmcnt(0)
	s_cselect_b32 s17, s23, s37
	s_cselect_b32 s27, s22, s36
	s_mul_hi_i32 s23, s14, s6
	s_mul_i32 s22, s14, s6
	s_lshl_b64 s[22:23], s[22:23], 1
	s_add_u32 s40, s27, s22
	s_addc_u32 s14, s17, s23
	s_and_b64 s[22:23], s[8:9], exec
	s_cselect_b32 s28, s28, s20
	s_cselect_b32 s17, s29, s21
	v_lshlrev_b32_e32 v2, 4, v0
	s_and_b32 s41, s14, 0xffff
	s_mov_b32 s42, s30
	s_mov_b32 s43, s31
	s_and_b32 s29, s17, 0xffff
	buffer_load_dwordx4 v[14:17], v2, s[40:43], 0 offen glc slc
	buffer_load_dwordx4 v[10:13], v2, s[28:31], 0 offen
.LBB438_3:
	s_or_b64 exec, exec, s[2:3]
	s_load_dwordx2 s[34:35], s[4:5], 0x80
	s_and_b64 vcc, exec, s[10:11]
	s_cbranch_vccz .LBB438_7
; %bb.4:
	s_mov_b32 s40, 0
	s_mov_b32 s41, s40
	s_mov_b32 s42, s40
	s_mov_b32 s43, s40
	s_mov_b32 s44, s40
	s_mov_b32 s45, s40
	s_mov_b32 s46, s40
	s_mov_b32 s47, s40
	v_pk_mov_b32 v[2:3], s[40:41], s[40:41] op_sel:[0,1]
	v_pk_mov_b32 v[4:5], s[42:43], s[42:43] op_sel:[0,1]
	;; [unrolled: 1-line block ×4, first 2 shown]
	s_and_saveexec_b64 s[2:3], s[0:1]
	s_cbranch_execz .LBB438_6
; %bb.5:
	s_waitcnt vmcnt(1)
	v_cvt_f32_u32_sdwa v3, v14 dst_sel:DWORD dst_unused:UNUSED_PAD src0_sel:WORD_1
	v_cvt_f32_u32_sdwa v2, v14 dst_sel:DWORD dst_unused:UNUSED_PAD src0_sel:WORD_0
	v_cvt_f32_u32_sdwa v5, v15 dst_sel:DWORD dst_unused:UNUSED_PAD src0_sel:WORD_1
	v_cvt_f32_u32_sdwa v4, v15 dst_sel:DWORD dst_unused:UNUSED_PAD src0_sel:WORD_0
	;; [unrolled: 2-line block ×4, first 2 shown]
.LBB438_6:
	s_or_b64 exec, exec, s[2:3]
	s_cbranch_execz .LBB438_8
	s_branch .LBB438_11
.LBB438_7:
                                        ; implicit-def: $vgpr2_vgpr3_vgpr4_vgpr5_vgpr6_vgpr7_vgpr8_vgpr9
.LBB438_8:
	s_mov_b32 s40, 0
	s_mov_b32 s41, s40
	;; [unrolled: 1-line block ×8, first 2 shown]
	v_pk_mov_b32 v[2:3], s[40:41], s[40:41] op_sel:[0,1]
	v_pk_mov_b32 v[4:5], s[42:43], s[42:43] op_sel:[0,1]
	;; [unrolled: 1-line block ×4, first 2 shown]
	s_and_saveexec_b64 s[2:3], s[0:1]
	s_cbranch_execz .LBB438_10
; %bb.9:
	s_load_dwordx2 s[22:23], s[4:5], 0x38
	s_mul_hi_i32 s29, s19, s6
	s_mul_i32 s28, s19, s6
	s_lshl_b64 s[28:29], s[28:29], 1
	s_mov_b32 s31, 0x20000
	s_waitcnt lgkmcnt(0)
	s_add_u32 s28, s22, s28
	s_addc_u32 s14, s23, s29
	s_and_b32 s29, s14, 0xffff
	v_lshlrev_b32_e32 v26, 4, v0
	buffer_load_dwordx4 v[2:5], v26, s[28:31], 0 offen glc slc
	s_load_dwordx2 s[22:23], s[4:5], 0x20
	s_waitcnt vmcnt(2)
	v_cvt_f32_u32_sdwa v7, v14 dst_sel:DWORD dst_unused:UNUSED_PAD src0_sel:WORD_1
	v_cvt_f32_u32_sdwa v6, v14 dst_sel:DWORD dst_unused:UNUSED_PAD src0_sel:WORD_0
	v_cvt_f32_u32_sdwa v9, v15 dst_sel:DWORD dst_unused:UNUSED_PAD src0_sel:WORD_1
	v_cvt_f32_u32_sdwa v8, v15 dst_sel:DWORD dst_unused:UNUSED_PAD src0_sel:WORD_0
	v_cvt_f32_u32_sdwa v15, v16 dst_sel:DWORD dst_unused:UNUSED_PAD src0_sel:WORD_1
	v_cvt_f32_u32_sdwa v14, v16 dst_sel:DWORD dst_unused:UNUSED_PAD src0_sel:WORD_0
	v_cvt_f32_u32_sdwa v19, v17 dst_sel:DWORD dst_unused:UNUSED_PAD src0_sel:WORD_1
	v_cvt_f32_u32_sdwa v18, v17 dst_sel:DWORD dst_unused:UNUSED_PAD src0_sel:WORD_0
	s_mul_hi_i32 s29, s35, s6
	s_mul_i32 s28, s35, s6
	s_lshl_b64 s[28:29], s[28:29], 1
	s_waitcnt lgkmcnt(0)
	s_add_u32 s28, s22, s28
	s_mov_b32 s14, 0x7060302
	s_addc_u32 s17, s23, s29
	s_and_b32 s29, s17, 0xffff
	s_waitcnt vmcnt(0)
	v_cvt_f32_u32_sdwa v17, v2 dst_sel:DWORD dst_unused:UNUSED_PAD src0_sel:WORD_1
	v_cvt_f32_u32_sdwa v16, v2 dst_sel:DWORD dst_unused:UNUSED_PAD src0_sel:WORD_0
	v_cvt_f32_u32_sdwa v21, v3 dst_sel:DWORD dst_unused:UNUSED_PAD src0_sel:WORD_1
	v_cvt_f32_u32_sdwa v20, v3 dst_sel:DWORD dst_unused:UNUSED_PAD src0_sel:WORD_0
	;; [unrolled: 2-line block ×4, first 2 shown]
	v_pk_add_f32 v[2:3], v[6:7], v[16:17]
	v_pk_add_f32 v[4:5], v[8:9], v[20:21]
	v_pk_add_f32 v[6:7], v[14:15], v[22:23]
	v_pk_add_f32 v[8:9], v[18:19], v[24:25]
	v_perm_b32 v17, v9, v8, s14
	v_perm_b32 v16, v7, v6, s14
	;; [unrolled: 1-line block ×4, first 2 shown]
	buffer_store_dwordx4 v[14:17], v26, s[28:31], 0 offen glc slc
	;;#ASMSTART
	s_nop 0
	;;#ASMEND
.LBB438_10:
	s_or_b64 exec, exec, s[2:3]
.LBB438_11:
	s_waitcnt vmcnt(1)
	v_mul_f32_e32 v14, v3, v3
	v_fmac_f32_e32 v14, v2, v2
	v_fmac_f32_e32 v14, v4, v4
	;; [unrolled: 1-line block ×7, first 2 shown]
	v_and_b32_e32 v16, 63, v0
	v_cmp_eq_u32_e64 s[2:3], 63, v16
	v_mov_b32_dpp v15, v14 quad_perm:[1,0,3,2] row_mask:0xf bank_mask:0xf
	v_add_f32_e32 v14, v14, v15
	s_nop 1
	v_mov_b32_dpp v15, v14 quad_perm:[2,3,0,1] row_mask:0xf bank_mask:0xf
	v_add_f32_e32 v14, v14, v15
	s_nop 1
	v_mov_b32_dpp v15, v14 row_half_mirror row_mask:0xf bank_mask:0xf
	v_add_f32_e32 v14, v14, v15
	s_nop 1
	v_mov_b32_dpp v15, v14 row_mirror row_mask:0xf bank_mask:0xf
	v_add_f32_e32 v14, v14, v15
	s_nop 1
	v_mov_b32_dpp v15, v14 row_bcast:15 row_mask:0xf bank_mask:0xf
	v_add_f32_e32 v14, v14, v15
	s_nop 1
	v_mov_b32_dpp v15, v14 row_bcast:31 row_mask:0xf bank_mask:0xf
	s_and_saveexec_b64 s[22:23], s[2:3]
	s_cbranch_execz .LBB438_13
; %bb.12:
	v_add_f32_e32 v14, v14, v15
	v_lshrrev_b32_e32 v15, 4, v0
	v_and_b32_e32 v15, 60, v15
	ds_write_b32 v15, v14 offset:8
.LBB438_13:
	s_or_b64 exec, exec, s[22:23]
	v_and_b32_e32 v14, 1, v0
	v_lshlrev_b32_e32 v14, 2, v14
	s_waitcnt lgkmcnt(0)
	s_barrier
	ds_read_b32 v15, v14 offset:8
	s_load_dwordx2 s[38:39], s[4:5], 0x18
	s_waitcnt lgkmcnt(0)
	v_mov_b32_dpp v16, v15 quad_perm:[1,0,3,2] row_mask:0xf bank_mask:0xf
	s_and_saveexec_b64 s[22:23], s[0:1]
	s_cbranch_execnz .LBB438_18
; %bb.14:
	s_or_b64 exec, exec, s[22:23]
	s_mov_b64 s[8:9], -1
	s_and_b64 vcc, exec, s[10:11]
	s_cbranch_vccnz .LBB438_19
.LBB438_15:
	s_andn2_b64 vcc, exec, s[8:9]
	s_cbranch_vccz .LBB438_22
.LBB438_16:
	s_cmp_lt_i32 s16, 1
	s_cbranch_scc0 .LBB438_29
.LBB438_17:
	s_endpgm
.LBB438_18:
	v_cvt_f32_u32_e32 v17, s7
	v_add_f32_e32 v15, v15, v16
	v_mov_b32_e32 v19, s13
	v_mov_b32_e32 v20, s12
	v_div_scale_f32 v16, s[28:29], v17, v17, v15
	v_rcp_f32_e32 v18, v16
	v_cndmask_b32_e64 v19, v19, v20, s[8:9]
	s_mov_b32 s7, 0x800000
	v_fma_f32 v20, -v16, v18, 1.0
	v_fmac_f32_e32 v18, v20, v18
	v_div_scale_f32 v20, vcc, v15, v17, v15
	v_mul_f32_e32 v21, v20, v18
	v_fma_f32 v22, -v16, v21, v20
	v_fmac_f32_e32 v21, v22, v18
	v_fma_f32 v16, -v16, v21, v20
	v_div_fmas_f32 v16, v16, v18, v21
	v_div_fixup_f32 v15, v16, v17, v15
	v_add_f32_e32 v15, v19, v15
	v_mul_f32_e32 v16, 0x4b800000, v15
	v_cmp_gt_f32_e32 vcc, s7, v15
	v_cndmask_b32_e32 v15, v15, v16, vcc
	v_rsq_f32_e32 v15, v15
	s_waitcnt vmcnt(0)
	v_cvt_f32_u32_sdwa v19, v11 dst_sel:DWORD dst_unused:UNUSED_PAD src0_sel:WORD_1
	v_cvt_f32_u32_sdwa v18, v11 dst_sel:DWORD dst_unused:UNUSED_PAD src0_sel:WORD_0
	v_cvt_f32_u32_sdwa v11, v12 dst_sel:DWORD dst_unused:UNUSED_PAD src0_sel:WORD_1
	v_mul_f32_e32 v16, 0x45800000, v15
	v_cndmask_b32_e32 v16, v15, v16, vcc
	v_mov_b32_e32 v17, v16
	;;#ASMSTART
	v_pk_mul_f32 v[2:3], v[2:3], v[16:17]
	;;#ASMEND
	;;#ASMSTART
	v_pk_mul_f32 v[4:5], v[4:5], v[16:17]
	;;#ASMEND
	;; [unrolled: 3-line block ×4, first 2 shown]
	v_cvt_f32_u32_sdwa v17, v10 dst_sel:DWORD dst_unused:UNUSED_PAD src0_sel:WORD_1
	v_cvt_f32_u32_sdwa v16, v10 dst_sel:DWORD dst_unused:UNUSED_PAD src0_sel:WORD_0
	v_cvt_f32_u32_sdwa v10, v12 dst_sel:DWORD dst_unused:UNUSED_PAD src0_sel:WORD_0
	v_cvt_f32_u32_sdwa v21, v13 dst_sel:DWORD dst_unused:UNUSED_PAD src0_sel:WORD_1
	v_cvt_f32_u32_sdwa v20, v13 dst_sel:DWORD dst_unused:UNUSED_PAD src0_sel:WORD_0
	;;#ASMSTART
	v_pk_mul_f32 v[2:3], v[2:3], v[16:17]
	;;#ASMEND
	;;#ASMSTART
	v_pk_mul_f32 v[4:5], v[4:5], v[18:19]
	;;#ASMEND
	;; [unrolled: 3-line block ×4, first 2 shown]
	s_or_b64 exec, exec, s[22:23]
	s_mov_b64 s[8:9], -1
	s_and_b64 vcc, exec, s[10:11]
	s_cbranch_vccz .LBB438_15
.LBB438_19:
	s_and_saveexec_b64 s[8:9], s[0:1]
	s_cbranch_execz .LBB438_21
; %bb.20:
	s_mul_hi_i32 s11, s34, s6
	s_mul_i32 s10, s34, s6
	s_lshl_b64 s[10:11], s[10:11], 1
	s_add_u32 s28, s38, s10
	s_addc_u32 s7, s39, s11
	s_and_b32 s29, s7, 0xffff
	s_mov_b32 s7, 0x7060302
	s_mov_b32 s31, 0x20000
	s_waitcnt vmcnt(0)
	v_perm_b32 v10, v3, v2, s7
	v_perm_b32 v11, v5, v4, s7
	;; [unrolled: 1-line block ×4, first 2 shown]
	v_lshlrev_b32_e32 v15, 4, v0
	buffer_store_dwordx4 v[10:13], v15, s[28:31], 0 offen
	;;#ASMSTART
	s_nop 0
	;;#ASMEND
.LBB438_21:
	s_or_b64 exec, exec, s[8:9]
	s_cbranch_execnz .LBB438_16
.LBB438_22:
	s_waitcnt vmcnt(0)
	v_mov_b32_e32 v10, 0
	s_and_saveexec_b64 s[8:9], s[0:1]
	s_cbranch_execz .LBB438_24
; %bb.23:
	v_and_b32_e32 v10, 0x7fffffff, v2
	v_and_b32_e32 v11, 0x7fffffff, v3
	v_mov_b32_e32 v12, 0x2edbe6ff
	;;#ASMSTART
	v_max3_f32 v10, v12, v10, v11

	;;#ASMEND
	v_and_b32_e32 v11, 0x7fffffff, v4
	v_and_b32_e32 v12, 0x7fffffff, v5
	;;#ASMSTART
	v_max3_f32 v10, v10, v11, v12

	;;#ASMEND
	v_and_b32_e32 v11, 0x7fffffff, v6
	v_and_b32_e32 v12, 0x7fffffff, v7
	;; [unrolled: 6-line block ×3, first 2 shown]
	;;#ASMSTART
	v_max3_f32 v10, v10, v11, v12

	;;#ASMEND
.LBB438_24:
	s_or_b64 exec, exec, s[8:9]
	;;#ASMSTART
	v_max_f32 v11, v10, v10 quad_perm:[1,0,3,2] row_mask:0xf bank_mask:0xf bound_ctrl:1
	;;#ASMEND
	;;#ASMSTART
	v_max_f32 v10, v11, v11 quad_perm:[2,3,0,1] row_mask:0xf bank_mask:0xf bound_ctrl:1
	;;#ASMEND
	v_and_b32_e32 v11, 3, v0
	v_cmp_eq_u32_e32 vcc, 0, v11
	v_cmp_gt_i32_e64 s[8:9], s15, v1
	v_mul_f32_e32 v10, 0x3b124925, v10
	s_and_b64 s[10:11], vcc, s[8:9]
	s_and_saveexec_b64 s[8:9], s[10:11]
	s_cbranch_execz .LBB438_26
; %bb.25:
	s_load_dwordx2 s[10:11], s[4:5], 0x8
	s_mul_hi_i32 s23, s25, s6
	s_mul_i32 s22, s25, s6
	v_lshrrev_b32_e32 v11, 2, v0
	s_lshl_b64 s[22:23], s[22:23], 2
	v_mad_i64_i32 v[12:13], s[26:27], s26, v11, 0
	s_waitcnt lgkmcnt(0)
	s_add_u32 s7, s10, s22
	s_addc_u32 s10, s11, s23
	v_lshlrev_b64 v[12:13], 2, v[12:13]
	v_mov_b32_e32 v11, s10
	v_add_co_u32_e32 v12, vcc, s7, v12
	v_addc_co_u32_e32 v13, vcc, v11, v13, vcc
	global_store_dword v[12:13], v10, off
.LBB438_26:
	s_or_b64 exec, exec, s[8:9]
	;;#ASMSTART
	v_rcp_f32 v10, v10
	;;#ASMEND
	s_and_saveexec_b64 s[22:23], s[0:1]
	s_cbranch_execz .LBB438_28
; %bb.27:
	s_load_dwordx2 s[0:1], s[4:5], 0x0
	s_mul_i32 s8, s24, s6
	v_mov_b32_e32 v11, v10
	;;#ASMSTART
	v_pk_mul_f32 v[2:3], v[2:3], v[10:11]
	;;#ASMEND
	s_mul_hi_i32 s7, s24, s6
	s_waitcnt lgkmcnt(0)
	s_add_u32 s8, s0, s8
	v_mov_b32_e32 v12, 0xc3e00000
	v_mov_b32_e32 v13, 0x43e00000
	;;#ASMSTART
	v_med3_f32 v2, v2, v12, v13
v_med3_f32 v3, v3, v12, v13
v_cvt_pk_fp8_f32 v15, v2, v3
	;;#ASMEND
	s_addc_u32 s0, s1, s7
	;;#ASMSTART
	v_pk_mul_f32 v[2:3], v[4:5], v[10:11]
	;;#ASMEND
	s_and_b32 s9, s0, 0xffff
	;;#ASMSTART
	v_med3_f32 v2, v2, v12, v13
v_med3_f32 v3, v3, v12, v13
v_cvt_pk_fp8_f32 v4, v2, v3
	;;#ASMEND
	s_mov_b32 s0, 0x5040100
	v_perm_b32 v3, v4, v15, s0
	s_movk_i32 s0, 0xff
	v_and_b32_e32 v2, 0xffffff00, v4
	v_and_b32_sdwa v4, v3, s0 dst_sel:DWORD dst_unused:UNUSED_PAD src0_sel:WORD_1 src1_sel:DWORD
	s_mov_b32 s12, 0xffff
	v_or_b32_sdwa v2, v4, v2 dst_sel:WORD_1 dst_unused:UNUSED_PAD src0_sel:DWORD src1_sel:DWORD
	v_and_or_b32 v2, v3, s12, v2
	;;#ASMSTART
	v_pk_mul_f32 v[4:5], v[6:7], v[10:11]
	;;#ASMEND
	v_mov_b32_e32 v3, v5
	s_add_i32 s1, s15, 3
	;;#ASMSTART
	v_med3_f32 v4, v4, v12, v13
v_med3_f32 v3, v3, v12, v13
v_cvt_pk_fp8_f32 v6, v4, v3
	;;#ASMEND
	s_ashr_i32 s7, s1, 31
	;;#ASMSTART
	v_pk_mul_f32 v[4:5], v[8:9], v[10:11]
	;;#ASMEND
	v_mov_b32_e32 v3, v5
	s_lshr_b32 s7, s7, 30
	;;#ASMSTART
	v_med3_f32 v4, v4, v12, v13
v_med3_f32 v3, v3, v12, v13
v_cvt_pk_fp8_f32 v5, v4, v3
	;;#ASMEND
	s_add_i32 s1, s1, s7
	v_lshlrev_b32_e32 v3, 16, v5
	s_and_b32 s10, s1, -4
	s_mov_b32 s11, 0x20000
	v_and_or_b32 v3, v6, s12, v3
	buffer_store_dwordx2 v[2:3], v1, s[8:11], 0 offen
	;;#ASMSTART
	s_nop 0
	;;#ASMEND
.LBB438_28:
	s_or_b64 exec, exec, s[22:23]
	s_cmp_lt_i32 s16, 1
	s_cbranch_scc1 .LBB438_17
.LBB438_29:
	s_load_dword s0, s[4:5], 0x94
	s_waitcnt lgkmcnt(0)
	s_cmp_lg_u32 s0, 1
	s_cbranch_scc1 .LBB438_17
; %bb.30:
	s_lshl_b32 s0, s16, 1
	s_add_i32 s0, s0, 2
	v_cmp_gt_u32_e32 vcc, s16, v1
	s_and_b32 s22, s0, -4
	v_mov_b32_e32 v6, 0
	v_lshlrev_b32_e32 v1, 4, v0
	v_mov_b32_e32 v7, 0
	v_mov_b32_e32 v8, 0
	;; [unrolled: 1-line block ×7, first 2 shown]
	s_barrier
	s_and_saveexec_b64 s[0:1], vcc
	s_cbranch_execz .LBB438_32
; %bb.31:
	s_mul_hi_i32 s5, s18, s6
	s_mul_i32 s4, s18, s6
	s_and_b32 s21, s21, 0xffff
	s_lshl_b64 s[4:5], s[4:5], 1
	s_add_u32 s8, s36, s4
	s_mov_b32 s23, 0x20000
	s_addc_u32 s4, s37, s5
	s_and_b32 s9, s4, 0xffff
	s_mov_b32 s10, s22
	s_mov_b32 s11, s23
	buffer_load_dwordx4 v[6:9], v1, s[8:11], 0 offen glc slc
	buffer_load_dwordx4 v[2:5], v1, s[20:23], 0 offen
.LBB438_32:
	s_or_b64 exec, exec, s[0:1]
	s_waitcnt vmcnt(0)
	v_cvt_f32_u32_sdwa v13, v6 dst_sel:DWORD dst_unused:UNUSED_PAD src0_sel:WORD_1
	v_cvt_f32_u32_sdwa v12, v6 dst_sel:DWORD dst_unused:UNUSED_PAD src0_sel:WORD_0
	v_cvt_f32_u32_sdwa v6, v9 dst_sel:DWORD dst_unused:UNUSED_PAD src0_sel:WORD_1
	v_cvt_f32_u32_sdwa v9, v9 dst_sel:DWORD dst_unused:UNUSED_PAD src0_sel:WORD_0
	;; [unrolled: 2-line block ×4, first 2 shown]
	v_cndmask_b32_e32 v13, 0, v13, vcc
	v_cndmask_b32_e32 v7, 0, v6, vcc
	;; [unrolled: 1-line block ×5, first 2 shown]
	v_mul_f32_e32 v15, v13, v13
	v_cndmask_b32_e32 v10, 0, v10, vcc
	v_fmac_f32_e32 v15, v12, v12
	v_cndmask_b32_e32 v11, 0, v11, vcc
	v_fmac_f32_e32 v15, v10, v10
	;; [unrolled: 2-line block ×3, first 2 shown]
	v_fmac_f32_e32 v15, v8, v8
	v_fmac_f32_e32 v15, v9, v9
	;; [unrolled: 1-line block ×4, first 2 shown]
	s_nop 1
	v_mov_b32_dpp v16, v15 quad_perm:[1,0,3,2] row_mask:0xf bank_mask:0xf
	v_add_f32_e32 v15, v15, v16
	s_nop 1
	v_mov_b32_dpp v16, v15 quad_perm:[2,3,0,1] row_mask:0xf bank_mask:0xf
	v_add_f32_e32 v15, v15, v16
	s_nop 1
	v_mov_b32_dpp v16, v15 row_half_mirror row_mask:0xf bank_mask:0xf
	v_add_f32_e32 v15, v15, v16
	s_nop 1
	v_mov_b32_dpp v16, v15 row_mirror row_mask:0xf bank_mask:0xf
	v_add_f32_e32 v15, v15, v16
	s_nop 1
	v_mov_b32_dpp v16, v15 row_bcast:15 row_mask:0xf bank_mask:0xf
	v_add_f32_e32 v15, v15, v16
	s_nop 1
	v_mov_b32_dpp v16, v15 row_bcast:31 row_mask:0xf bank_mask:0xf
	s_and_saveexec_b64 s[0:1], s[2:3]
	s_cbranch_execz .LBB438_34
; %bb.33:
	v_lshrrev_b32_e32 v0, 4, v0
	v_add_f32_e32 v15, v15, v16
	v_and_b32_e32 v0, 60, v0
	ds_write_b32 v0, v15
.LBB438_34:
	s_or_b64 exec, exec, s[0:1]
	s_waitcnt lgkmcnt(0)
	s_barrier
	ds_read_b32 v0, v14
	s_waitcnt lgkmcnt(0)
	s_nop 0
	v_mov_b32_dpp v14, v0 quad_perm:[1,0,3,2] row_mask:0xf bank_mask:0xf
	s_and_saveexec_b64 s[0:1], vcc
	s_cbranch_execz .LBB438_17
; %bb.35:
	v_cvt_f32_u32_e32 v15, s16
	v_add_f32_e32 v0, v0, v14
	s_mov_b32 s23, 0x20000
	v_div_scale_f32 v14, s[0:1], v15, v15, v0
	v_rcp_f32_e32 v16, v14
	v_div_scale_f32 v17, vcc, v0, v15, v0
	s_mov_b32 s0, 0x800000
	v_fma_f32 v18, -v14, v16, 1.0
	v_fmac_f32_e32 v16, v18, v16
	v_mul_f32_e32 v18, v17, v16
	v_fma_f32 v19, -v14, v18, v17
	v_fmac_f32_e32 v18, v19, v16
	v_fma_f32 v14, -v14, v18, v17
	v_div_fmas_f32 v14, v14, v16, v18
	v_div_fixup_f32 v0, v14, v15, v0
	v_add_f32_e32 v0, s13, v0
	v_mul_f32_e32 v14, 0x4b800000, v0
	v_cmp_gt_f32_e32 vcc, s0, v0
	v_cndmask_b32_e32 v0, v0, v14, vcc
	v_rsq_f32_e32 v0, v0
	s_mul_hi_i32 s1, s34, s6
	s_mul_i32 s0, s34, s6
	s_lshl_b64 s[0:1], s[0:1], 1
	v_mul_f32_e32 v14, 0x45800000, v0
	v_cndmask_b32_e32 v14, v0, v14, vcc
	s_add_u32 s20, s38, s0
	v_mov_b32_e32 v15, v14
	s_addc_u32 s0, s39, s1
	;;#ASMSTART
	v_pk_mul_f32 v[12:13], v[12:13], v[14:15]
	;;#ASMEND
	;;#ASMSTART
	v_pk_mul_f32 v[10:11], v[10:11], v[14:15]
	;;#ASMEND
	;; [unrolled: 3-line block ×4, first 2 shown]
	v_cvt_f32_u32_sdwa v15, v2 dst_sel:DWORD dst_unused:UNUSED_PAD src0_sel:WORD_1
	v_cvt_f32_u32_sdwa v14, v2 dst_sel:DWORD dst_unused:UNUSED_PAD src0_sel:WORD_0
	v_cvt_f32_u32_sdwa v17, v3 dst_sel:DWORD dst_unused:UNUSED_PAD src0_sel:WORD_1
	v_cvt_f32_u32_sdwa v16, v3 dst_sel:DWORD dst_unused:UNUSED_PAD src0_sel:WORD_0
	;; [unrolled: 2-line block ×4, first 2 shown]
	;;#ASMSTART
	v_pk_mul_f32 v[4:5], v[12:13], v[14:15]
	;;#ASMEND
	s_and_b32 s21, s0, 0xffff
	s_mov_b32 s0, 0x7060302
	;;#ASMSTART
	v_pk_mul_f32 v[10:11], v[10:11], v[16:17]
	;;#ASMEND
	;;#ASMSTART
	v_pk_mul_f32 v[8:9], v[8:9], v[2:3]
	;;#ASMEND
	;; [unrolled: 3-line block ×3, first 2 shown]
	v_perm_b32 v2, v5, v4, s0
	v_perm_b32 v3, v11, v10, s0
	;; [unrolled: 1-line block ×4, first 2 shown]
	buffer_store_dwordx4 v[2:5], v1, s[20:23], 0 offen
	;;#ASMSTART
	s_nop 0
	;;#ASMEND
	s_endpgm
	.section	.rodata,"a",@progbits
	.p2align	6, 0x0
	.amdhsa_kernel _ZN5aiter35fused_qk_rmsnorm_group_quant_kernelItDB8_Li128ELi8ELi4ELb1ELb0ELb0ELb0ELb0ELb0EEEvPT0_PvPT_S6_S6_PKS5_S8_S8_S8_S8_ffiiiiiiiiiiiii
		.amdhsa_group_segment_fixed_size 16
		.amdhsa_private_segment_fixed_size 0
		.amdhsa_kernarg_size 400
		.amdhsa_user_sgpr_count 6
		.amdhsa_user_sgpr_private_segment_buffer 1
		.amdhsa_user_sgpr_dispatch_ptr 0
		.amdhsa_user_sgpr_queue_ptr 0
		.amdhsa_user_sgpr_kernarg_segment_ptr 1
		.amdhsa_user_sgpr_dispatch_id 0
		.amdhsa_user_sgpr_flat_scratch_init 0
		.amdhsa_user_sgpr_kernarg_preload_length 0
		.amdhsa_user_sgpr_kernarg_preload_offset 0
		.amdhsa_user_sgpr_private_segment_size 0
		.amdhsa_uses_dynamic_stack 0
		.amdhsa_system_sgpr_private_segment_wavefront_offset 0
		.amdhsa_system_sgpr_workgroup_id_x 1
		.amdhsa_system_sgpr_workgroup_id_y 1
		.amdhsa_system_sgpr_workgroup_id_z 0
		.amdhsa_system_sgpr_workgroup_info 0
		.amdhsa_system_vgpr_workitem_id 0
		.amdhsa_next_free_vgpr 27
		.amdhsa_next_free_sgpr 48
		.amdhsa_accum_offset 28
		.amdhsa_reserve_vcc 1
		.amdhsa_reserve_flat_scratch 0
		.amdhsa_float_round_mode_32 0
		.amdhsa_float_round_mode_16_64 0
		.amdhsa_float_denorm_mode_32 3
		.amdhsa_float_denorm_mode_16_64 3
		.amdhsa_dx10_clamp 1
		.amdhsa_ieee_mode 1
		.amdhsa_fp16_overflow 0
		.amdhsa_tg_split 0
		.amdhsa_exception_fp_ieee_invalid_op 0
		.amdhsa_exception_fp_denorm_src 0
		.amdhsa_exception_fp_ieee_div_zero 0
		.amdhsa_exception_fp_ieee_overflow 0
		.amdhsa_exception_fp_ieee_underflow 0
		.amdhsa_exception_fp_ieee_inexact 0
		.amdhsa_exception_int_div_zero 0
	.end_amdhsa_kernel
	.section	.text._ZN5aiter35fused_qk_rmsnorm_group_quant_kernelItDB8_Li128ELi8ELi4ELb1ELb0ELb0ELb0ELb0ELb0EEEvPT0_PvPT_S6_S6_PKS5_S8_S8_S8_S8_ffiiiiiiiiiiiii,"axG",@progbits,_ZN5aiter35fused_qk_rmsnorm_group_quant_kernelItDB8_Li128ELi8ELi4ELb1ELb0ELb0ELb0ELb0ELb0EEEvPT0_PvPT_S6_S6_PKS5_S8_S8_S8_S8_ffiiiiiiiiiiiii,comdat
.Lfunc_end438:
	.size	_ZN5aiter35fused_qk_rmsnorm_group_quant_kernelItDB8_Li128ELi8ELi4ELb1ELb0ELb0ELb0ELb0ELb0EEEvPT0_PvPT_S6_S6_PKS5_S8_S8_S8_S8_ffiiiiiiiiiiiii, .Lfunc_end438-_ZN5aiter35fused_qk_rmsnorm_group_quant_kernelItDB8_Li128ELi8ELi4ELb1ELb0ELb0ELb0ELb0ELb0EEEvPT0_PvPT_S6_S6_PKS5_S8_S8_S8_S8_ffiiiiiiiiiiiii
                                        ; -- End function
	.section	.AMDGPU.csdata,"",@progbits
; Kernel info:
; codeLenInByte = 2888
; NumSgprs: 52
; NumVgprs: 27
; NumAgprs: 0
; TotalNumVgprs: 27
; ScratchSize: 0
; MemoryBound: 0
; FloatMode: 240
; IeeeMode: 1
; LDSByteSize: 16 bytes/workgroup (compile time only)
; SGPRBlocks: 6
; VGPRBlocks: 3
; NumSGPRsForWavesPerEU: 52
; NumVGPRsForWavesPerEU: 27
; AccumOffset: 28
; Occupancy: 8
; WaveLimiterHint : 0
; COMPUTE_PGM_RSRC2:SCRATCH_EN: 0
; COMPUTE_PGM_RSRC2:USER_SGPR: 6
; COMPUTE_PGM_RSRC2:TRAP_HANDLER: 0
; COMPUTE_PGM_RSRC2:TGID_X_EN: 1
; COMPUTE_PGM_RSRC2:TGID_Y_EN: 1
; COMPUTE_PGM_RSRC2:TGID_Z_EN: 0
; COMPUTE_PGM_RSRC2:TIDIG_COMP_CNT: 0
; COMPUTE_PGM_RSRC3_GFX90A:ACCUM_OFFSET: 6
; COMPUTE_PGM_RSRC3_GFX90A:TG_SPLIT: 0
	.section	.text._ZN5aiter35fused_qk_rmsnorm_group_quant_kernelIDF16_N4opus5fp4_tELi128ELi8ELi4ELb1ELb0ELb0ELb0ELb0ELb0EEEvPT0_PvPT_S7_S7_PKS6_S9_S9_S9_S9_ffiiiiiiiiiiiii,"axG",@progbits,_ZN5aiter35fused_qk_rmsnorm_group_quant_kernelIDF16_N4opus5fp4_tELi128ELi8ELi4ELb1ELb0ELb0ELb0ELb0ELb0EEEvPT0_PvPT_S7_S7_PKS6_S9_S9_S9_S9_ffiiiiiiiiiiiii,comdat
	.protected	_ZN5aiter35fused_qk_rmsnorm_group_quant_kernelIDF16_N4opus5fp4_tELi128ELi8ELi4ELb1ELb0ELb0ELb0ELb0ELb0EEEvPT0_PvPT_S7_S7_PKS6_S9_S9_S9_S9_ffiiiiiiiiiiiii ; -- Begin function _ZN5aiter35fused_qk_rmsnorm_group_quant_kernelIDF16_N4opus5fp4_tELi128ELi8ELi4ELb1ELb0ELb0ELb0ELb0ELb0EEEvPT0_PvPT_S7_S7_PKS6_S9_S9_S9_S9_ffiiiiiiiiiiiii
	.globl	_ZN5aiter35fused_qk_rmsnorm_group_quant_kernelIDF16_N4opus5fp4_tELi128ELi8ELi4ELb1ELb0ELb0ELb0ELb0ELb0EEEvPT0_PvPT_S7_S7_PKS6_S9_S9_S9_S9_ffiiiiiiiiiiiii
	.p2align	8
	.type	_ZN5aiter35fused_qk_rmsnorm_group_quant_kernelIDF16_N4opus5fp4_tELi128ELi8ELi4ELb1ELb0ELb0ELb0ELb0ELb0EEEvPT0_PvPT_S7_S7_PKS6_S9_S9_S9_S9_ffiiiiiiiiiiiii,@function
_ZN5aiter35fused_qk_rmsnorm_group_quant_kernelIDF16_N4opus5fp4_tELi128ELi8ELi4ELb1ELb0ELb0ELb0ELb0ELb0EEEvPT0_PvPT_S7_S7_PKS6_S9_S9_S9_S9_ffiiiiiiiiiiiii: ; @_ZN5aiter35fused_qk_rmsnorm_group_quant_kernelIDF16_N4opus5fp4_tELi128ELi8ELi4ELb1ELb0ELb0ELb0ELb0ELb0EEEvPT0_PvPT_S7_S7_PKS6_S9_S9_S9_S9_ffiiiiiiiiiiiii
; %bb.0:
	s_load_dwordx8 s[12:19], s[4:5], 0x50
	s_waitcnt lgkmcnt(0)
	s_cmp_ge_i32 s6, s14
	s_cbranch_scc1 .LBB439_17
; %bb.1:
	s_cmp_lg_u32 s7, 0
	s_cselect_b64 s[22:23], -1, 0
	s_cmp_eq_u32 s7, 0
	s_cselect_b64 s[8:9], -1, 0
	s_and_b64 s[0:1], s[8:9], exec
	s_load_dwordx2 s[20:21], s[4:5], 0x48
	s_load_dwordx2 s[34:35], s[4:5], 0x30
	s_load_dwordx4 s[24:27], s[4:5], 0x70
	s_cselect_b32 s7, s15, s16
	s_add_i32 s0, s7, 1
	s_lshr_b32 s1, s0, 31
	s_add_i32 s0, s0, s1
	s_lshl_b32 s0, s0, 1
	v_lshlrev_b32_e32 v1, 3, v0
	s_and_b32 s30, s0, -4
	v_cmp_gt_i32_e64 s[0:1], s7, v1
	v_mov_b32_e32 v2, 0
	v_mov_b32_e32 v3, 0
	;; [unrolled: 1-line block ×8, first 2 shown]
	s_and_saveexec_b64 s[2:3], s[0:1]
	s_cbranch_execz .LBB439_3
; %bb.2:
	s_load_dwordx2 s[10:11], s[4:5], 0x28
	s_load_dwordx2 s[28:29], s[4:5], 0x40
	s_and_b64 s[36:37], s[8:9], exec
	s_cselect_b32 s14, s17, s18
	s_mov_b32 s31, 0x20000
	s_waitcnt lgkmcnt(0)
	s_cselect_b32 s17, s11, s35
	s_cselect_b32 s27, s10, s34
	s_mul_hi_i32 s11, s14, s6
	s_mul_i32 s10, s14, s6
	s_lshl_b64 s[10:11], s[10:11], 1
	s_add_u32 s36, s27, s10
	s_addc_u32 s14, s17, s11
	s_and_b64 s[10:11], s[8:9], exec
	s_cselect_b32 s28, s28, s20
	s_cselect_b32 s10, s29, s21
	v_lshlrev_b32_e32 v10, 4, v0
	s_and_b32 s37, s14, 0xffff
	s_mov_b32 s38, s30
	s_mov_b32 s39, s31
	s_and_b32 s29, s10, 0xffff
	buffer_load_dwordx4 v[6:9], v10, s[36:39], 0 offen glc slc
	buffer_load_dwordx4 v[2:5], v10, s[28:31], 0 offen
.LBB439_3:
	s_or_b64 exec, exec, s[2:3]
	s_load_dwordx2 s[10:11], s[4:5], 0x80
	s_and_b64 vcc, exec, s[22:23]
	s_cbranch_vccz .LBB439_7
; %bb.4:
	v_mov_b32_e32 v11, 0
	v_mov_b32_e32 v10, 0
	;; [unrolled: 1-line block ×8, first 2 shown]
	s_and_saveexec_b64 s[2:3], s[0:1]
	s_cbranch_execz .LBB439_6
; %bb.5:
	s_waitcnt vmcnt(1)
	v_cvt_f32_f16_sdwa v17, v6 dst_sel:DWORD dst_unused:UNUSED_PAD src0_sel:WORD_1
	v_cvt_f32_f16_e32 v16, v6
	v_cvt_f32_f16_sdwa v15, v7 dst_sel:DWORD dst_unused:UNUSED_PAD src0_sel:WORD_1
	v_cvt_f32_f16_e32 v14, v7
	;; [unrolled: 2-line block ×4, first 2 shown]
.LBB439_6:
	s_or_b64 exec, exec, s[2:3]
	s_cbranch_execz .LBB439_8
	s_branch .LBB439_11
.LBB439_7:
                                        ; implicit-def: $vgpr11
                                        ; implicit-def: $vgpr13
                                        ; implicit-def: $vgpr15
                                        ; implicit-def: $vgpr17
.LBB439_8:
	v_mov_b32_e32 v11, 0
	v_mov_b32_e32 v10, 0
	;; [unrolled: 1-line block ×8, first 2 shown]
	s_and_saveexec_b64 s[2:3], s[0:1]
	s_cbranch_execz .LBB439_10
; %bb.9:
	s_load_dwordx2 s[28:29], s[4:5], 0x38
	s_mul_hi_i32 s37, s19, s6
	s_mul_i32 s36, s19, s6
	s_lshl_b64 s[36:37], s[36:37], 1
	s_mov_b32 s31, 0x20000
	s_waitcnt lgkmcnt(0)
	s_add_u32 s28, s28, s36
	s_addc_u32 s14, s29, s37
	s_and_b32 s29, s14, 0xffff
	v_lshlrev_b32_e32 v26, 4, v0
	buffer_load_dwordx4 v[10:13], v26, s[28:31], 0 offen glc slc
	s_waitcnt vmcnt(2)
	v_cvt_f32_f16_sdwa v15, v6 dst_sel:DWORD dst_unused:UNUSED_PAD src0_sel:WORD_1
	v_cvt_f32_f16_e32 v14, v6
	v_cvt_f32_f16_sdwa v19, v7 dst_sel:DWORD dst_unused:UNUSED_PAD src0_sel:WORD_1
	v_cvt_f32_f16_e32 v18, v7
	;; [unrolled: 2-line block ×4, first 2 shown]
	s_load_dwordx2 s[28:29], s[4:5], 0x20
	s_mul_hi_i32 s37, s11, s6
	s_mul_i32 s36, s11, s6
	s_lshl_b64 s[36:37], s[36:37], 1
	s_waitcnt lgkmcnt(0)
	s_add_u32 s28, s28, s36
	s_addc_u32 s11, s29, s37
	s_and_b32 s29, s11, 0xffff
	s_waitcnt vmcnt(0)
	v_cvt_f32_f16_e32 v8, v10
	v_cvt_f32_f16_sdwa v9, v10 dst_sel:DWORD dst_unused:UNUSED_PAD src0_sel:WORD_1
	v_cvt_f32_f16_e32 v10, v11
	v_cvt_f32_f16_sdwa v11, v11 dst_sel:DWORD dst_unused:UNUSED_PAD src0_sel:WORD_1
	;; [unrolled: 2-line block ×4, first 2 shown]
	v_pk_add_f32 v[16:17], v[14:15], v[8:9]
	v_pk_add_f32 v[14:15], v[18:19], v[10:11]
	v_pk_add_f32 v[12:13], v[6:7], v[22:23]
	v_pk_add_f32 v[10:11], v[20:21], v[24:25]
	v_cvt_f16_f32_e32 v6, v17
	v_cvt_f16_f32_e32 v7, v15
	;; [unrolled: 1-line block ×8, first 2 shown]
	v_pack_b32_f16 v9, v18, v9
	v_pack_b32_f16 v8, v19, v8
	v_pack_b32_f16 v7, v20, v7
	v_pack_b32_f16 v6, v21, v6
	buffer_store_dwordx4 v[6:9], v26, s[28:31], 0 offen glc slc
	;;#ASMSTART
	s_nop 0
	;;#ASMEND
.LBB439_10:
	s_or_b64 exec, exec, s[2:3]
.LBB439_11:
	s_waitcnt vmcnt(1)
	v_mul_f32_e32 v6, v17, v17
	v_fmac_f32_e32 v6, v16, v16
	v_fmac_f32_e32 v6, v14, v14
	v_fmac_f32_e32 v6, v15, v15
	v_fmac_f32_e32 v6, v12, v12
	v_fmac_f32_e32 v6, v13, v13
	v_fmac_f32_e32 v6, v10, v10
	v_fmac_f32_e32 v6, v11, v11
	v_and_b32_e32 v8, 63, v0
	v_cmp_eq_u32_e64 s[2:3], 63, v8
	v_mov_b32_dpp v7, v6 quad_perm:[1,0,3,2] row_mask:0xf bank_mask:0xf
	v_add_f32_e32 v6, v6, v7
	s_nop 1
	v_mov_b32_dpp v7, v6 quad_perm:[2,3,0,1] row_mask:0xf bank_mask:0xf
	v_add_f32_e32 v6, v6, v7
	s_nop 1
	v_mov_b32_dpp v7, v6 row_half_mirror row_mask:0xf bank_mask:0xf
	v_add_f32_e32 v6, v6, v7
	s_nop 1
	v_mov_b32_dpp v7, v6 row_mirror row_mask:0xf bank_mask:0xf
	v_add_f32_e32 v6, v6, v7
	s_nop 1
	v_mov_b32_dpp v7, v6 row_bcast:15 row_mask:0xf bank_mask:0xf
	v_add_f32_e32 v6, v6, v7
	s_nop 1
	v_mov_b32_dpp v7, v6 row_bcast:31 row_mask:0xf bank_mask:0xf
	s_and_saveexec_b64 s[28:29], s[2:3]
	s_cbranch_execz .LBB439_13
; %bb.12:
	v_add_f32_e32 v6, v6, v7
	v_lshrrev_b32_e32 v7, 4, v0
	v_and_b32_e32 v7, 60, v7
	ds_write_b32 v7, v6 offset:8
.LBB439_13:
	s_or_b64 exec, exec, s[28:29]
	v_and_b32_e32 v6, 1, v0
	v_lshlrev_b32_e32 v18, 2, v6
	s_waitcnt lgkmcnt(0)
	s_barrier
	ds_read_b32 v6, v18 offset:8
	s_load_dwordx2 s[36:37], s[4:5], 0x18
	s_waitcnt lgkmcnt(0)
	v_mov_b32_dpp v7, v6 quad_perm:[1,0,3,2] row_mask:0xf bank_mask:0xf
	s_and_saveexec_b64 s[28:29], s[0:1]
	s_cbranch_execnz .LBB439_18
; %bb.14:
	s_or_b64 exec, exec, s[28:29]
	s_mov_b64 s[8:9], -1
	s_and_b64 vcc, exec, s[22:23]
	s_cbranch_vccnz .LBB439_19
.LBB439_15:
	s_andn2_b64 vcc, exec, s[8:9]
	s_cbranch_vccz .LBB439_22
.LBB439_16:
	s_cmp_lt_i32 s16, 1
	s_cbranch_scc0 .LBB439_29
.LBB439_17:
	s_endpgm
.LBB439_18:
	v_cvt_f32_u32_e32 v8, s7
	v_add_f32_e32 v6, v6, v7
	v_mov_b32_e32 v19, s13
	v_mov_b32_e32 v20, s12
	v_div_scale_f32 v7, s[38:39], v8, v8, v6
	v_rcp_f32_e32 v9, v7
	v_cndmask_b32_e64 v19, v19, v20, s[8:9]
	s_mov_b32 s7, 0x800000
	s_waitcnt vmcnt(0)
	v_cvt_f32_f16_sdwa v23, v5 dst_sel:DWORD dst_unused:UNUSED_PAD src0_sel:WORD_1
	v_fma_f32 v20, -v7, v9, 1.0
	v_fmac_f32_e32 v9, v20, v9
	v_div_scale_f32 v20, vcc, v6, v8, v6
	v_mul_f32_e32 v21, v20, v9
	v_fma_f32 v22, -v7, v21, v20
	v_fmac_f32_e32 v21, v22, v9
	v_fma_f32 v7, -v7, v21, v20
	v_div_fmas_f32 v7, v7, v9, v21
	v_div_fixup_f32 v6, v7, v8, v6
	v_add_f32_e32 v6, v19, v6
	v_mul_f32_e32 v7, 0x4b800000, v6
	v_cmp_gt_f32_e32 vcc, s7, v6
	v_cndmask_b32_e32 v6, v6, v7, vcc
	v_rsq_f32_e32 v6, v6
	v_cvt_f32_f16_sdwa v21, v3 dst_sel:DWORD dst_unused:UNUSED_PAD src0_sel:WORD_1
	v_cvt_f32_f16_e32 v20, v3
	v_cvt_f32_f16_sdwa v3, v4 dst_sel:DWORD dst_unused:UNUSED_PAD src0_sel:WORD_1
	v_mul_f32_e32 v7, 0x45800000, v6
	v_cndmask_b32_e32 v6, v6, v7, vcc
	v_mov_b32_e32 v7, v6
	;;#ASMSTART
	v_pk_mul_f32 v[8:9], v[16:17], v[6:7]
	;;#ASMEND
	;;#ASMSTART
	v_pk_mul_f32 v[14:15], v[14:15], v[6:7]
	;;#ASMEND
	;; [unrolled: 3-line block ×4, first 2 shown]
	v_cvt_f32_f16_sdwa v11, v2 dst_sel:DWORD dst_unused:UNUSED_PAD src0_sel:WORD_1
	v_cvt_f32_f16_e32 v10, v2
	v_cvt_f32_f16_e32 v2, v4
	;; [unrolled: 1-line block ×3, first 2 shown]
	;;#ASMSTART
	v_pk_mul_f32 v[16:17], v[8:9], v[10:11]
	;;#ASMEND
	;;#ASMSTART
	v_pk_mul_f32 v[14:15], v[14:15], v[20:21]
	;;#ASMEND
	;; [unrolled: 3-line block ×4, first 2 shown]
	s_or_b64 exec, exec, s[28:29]
	s_mov_b64 s[8:9], -1
	s_and_b64 vcc, exec, s[22:23]
	s_cbranch_vccz .LBB439_15
.LBB439_19:
	s_and_saveexec_b64 s[8:9], s[0:1]
	s_cbranch_execz .LBB439_21
; %bb.20:
	s_mul_hi_i32 s23, s10, s6
	s_mul_i32 s22, s10, s6
	s_waitcnt vmcnt(0)
	v_cvt_f16_f32_e32 v2, v16
	v_cvt_f16_f32_e32 v3, v14
	;; [unrolled: 1-line block ×8, first 2 shown]
	s_lshl_b64 s[22:23], s[22:23], 1
	s_add_u32 s28, s36, s22
	s_addc_u32 s7, s37, s23
	s_and_b32 s29, s7, 0xffff
	s_mov_b32 s31, 0x20000
	v_pack_b32_f16 v5, v5, v6
	v_pack_b32_f16 v4, v4, v7
	;; [unrolled: 1-line block ×4, first 2 shown]
	v_lshlrev_b32_e32 v6, 4, v0
	buffer_store_dwordx4 v[2:5], v6, s[28:31], 0 offen
	;;#ASMSTART
	s_nop 0
	;;#ASMEND
.LBB439_21:
	s_or_b64 exec, exec, s[8:9]
	s_cbranch_execnz .LBB439_16
.LBB439_22:
	s_waitcnt vmcnt(0)
	v_mov_b32_e32 v2, 0
	s_and_saveexec_b64 s[8:9], s[0:1]
	s_cbranch_execz .LBB439_24
; %bb.23:
	v_and_b32_e32 v2, 0x7fffffff, v16
	v_and_b32_e32 v3, 0x7fffffff, v17
	v_mov_b32_e32 v4, 0x2edbe6ff
	;;#ASMSTART
	v_max3_f32 v2, v4, v2, v3

	;;#ASMEND
	v_and_b32_e32 v3, 0x7fffffff, v14
	v_and_b32_e32 v4, 0x7fffffff, v15
	;;#ASMSTART
	v_max3_f32 v2, v2, v3, v4

	;;#ASMEND
	v_and_b32_e32 v3, 0x7fffffff, v12
	v_and_b32_e32 v4, 0x7fffffff, v13
	;; [unrolled: 6-line block ×3, first 2 shown]
	;;#ASMSTART
	v_max3_f32 v2, v2, v3, v4

	;;#ASMEND
.LBB439_24:
	s_or_b64 exec, exec, s[8:9]
	;;#ASMSTART
	v_max_f32 v3, v2, v2 quad_perm:[1,0,3,2] row_mask:0xf bank_mask:0xf bound_ctrl:1
	;;#ASMEND
	;;#ASMSTART
	v_max_f32 v2, v3, v3 quad_perm:[2,3,0,1] row_mask:0xf bank_mask:0xf bound_ctrl:1
	;;#ASMEND
	v_and_b32_e32 v3, 3, v0
	v_cmp_eq_u32_e32 vcc, 0, v3
	v_cmp_gt_i32_e64 s[8:9], s15, v1
	s_and_b64 s[22:23], vcc, s[8:9]
	s_and_saveexec_b64 s[8:9], s[22:23]
	s_cbranch_execz .LBB439_26
; %bb.25:
	s_load_dwordx2 s[22:23], s[4:5], 0x8
	v_mul_f32_e32 v2, 0x3e2aaaab, v2
	v_lshrrev_b32_e32 v3, 23, v2
	v_and_b32_e32 v4, 0x7f800000, v2
	v_and_b32_e32 v2, 0x7fffff, v2
	v_cmp_ne_u32_e32 vcc, 0, v2
	s_mul_i32 s12, s25, s6
	s_mov_b32 s7, 0x7f800000
	v_addc_co_u32_e32 v2, vcc, 0, v3, vcc
	s_mul_hi_i32 s11, s25, s6
	s_waitcnt lgkmcnt(0)
	s_add_u32 s22, s22, s12
	v_cmp_ne_u32_e32 vcc, s7, v4
	s_addc_u32 s23, s23, s11
	v_lshrrev_b32_e32 v5, 2, v0
	v_cndmask_b32_e32 v4, -1, v2, vcc
	v_pk_mov_b32 v[2:3], s[22:23], s[22:23] op_sel:[0,1]
	v_mad_i64_i32 v[2:3], s[22:23], s26, v5, v[2:3]
	global_store_byte v[2:3], v4, off
.LBB439_26:
	s_or_b64 exec, exec, s[8:9]
	s_and_saveexec_b64 s[8:9], s[0:1]
	s_cbranch_execz .LBB439_28
; %bb.27:
	s_load_dwordx2 s[0:1], s[4:5], 0x0
	s_mul_i32 s11, s24, s6
	s_mul_hi_i32 s7, s24, s6
	v_lshlrev_b32_e32 v2, 2, v0
	s_mov_b32 s27, 0x20000
	s_waitcnt lgkmcnt(0)
	s_add_u32 s24, s0, s11
	s_addc_u32 s0, s1, s7
	s_lshr_b32 s1, s15, 31
	s_add_i32 s1, s15, s1
	s_ashr_i32 s1, s1, 1
	s_add_i32 s1, s1, 3
	s_ashr_i32 s7, s1, 31
	s_lshr_b32 s7, s7, 30
	s_add_i32 s1, s1, s7
	s_and_b32 s26, s1, -4
	s_and_b32 s25, s0, 0xffff
	v_mov_b32_e32 v3, 0
	buffer_store_dword v3, v2, s[24:27], 0 offen
	;;#ASMSTART
	s_nop 0
	;;#ASMEND
.LBB439_28:
	s_or_b64 exec, exec, s[8:9]
	s_cmp_lt_i32 s16, 1
	s_cbranch_scc1 .LBB439_17
.LBB439_29:
	s_load_dword s0, s[4:5], 0x94
	s_waitcnt lgkmcnt(0)
	s_cmp_lg_u32 s0, 1
	s_cbranch_scc1 .LBB439_17
; %bb.30:
	s_lshl_b32 s0, s16, 1
	s_add_i32 s0, s0, 2
	v_cmp_gt_u32_e32 vcc, s16, v1
	s_and_b32 s22, s0, -4
	v_mov_b32_e32 v10, 0
	v_lshlrev_b32_e32 v1, 4, v0
	v_mov_b32_e32 v6, 0
	v_mov_b32_e32 v7, 0
	;; [unrolled: 1-line block ×4, first 2 shown]
	s_waitcnt vmcnt(0)
	v_mov_b32_e32 v2, 0
	v_mov_b32_e32 v3, 0
	;; [unrolled: 1-line block ×4, first 2 shown]
	s_barrier
	s_and_saveexec_b64 s[0:1], vcc
	s_cbranch_execz .LBB439_32
; %bb.31:
	s_mul_hi_i32 s5, s18, s6
	s_mul_i32 s4, s18, s6
	s_and_b32 s21, s21, 0xffff
	s_lshl_b64 s[4:5], s[4:5], 1
	s_add_u32 s24, s34, s4
	s_mov_b32 s23, 0x20000
	s_addc_u32 s4, s35, s5
	s_and_b32 s25, s4, 0xffff
	s_mov_b32 s26, s22
	s_mov_b32 s27, s23
	buffer_load_dwordx4 v[6:9], v1, s[24:27], 0 offen glc slc
	buffer_load_dwordx4 v[2:5], v1, s[20:23], 0 offen
.LBB439_32:
	s_or_b64 exec, exec, s[0:1]
	v_mov_b32_e32 v11, 0
	v_mov_b32_e32 v16, 0
	;; [unrolled: 1-line block ×7, first 2 shown]
	s_and_saveexec_b64 s[0:1], vcc
	s_cbranch_execz .LBB439_34
; %bb.33:
	s_waitcnt vmcnt(1)
	v_cvt_f32_f16_sdwa v11, v6 dst_sel:DWORD dst_unused:UNUSED_PAD src0_sel:WORD_1
	v_cvt_f32_f16_e32 v10, v6
	v_cvt_f32_f16_sdwa v17, v7 dst_sel:DWORD dst_unused:UNUSED_PAD src0_sel:WORD_1
	v_cvt_f32_f16_e32 v16, v7
	;; [unrolled: 2-line block ×4, first 2 shown]
.LBB439_34:
	s_or_b64 exec, exec, s[0:1]
	s_waitcnt vmcnt(1)
	v_mul_f32_e32 v6, v11, v11
	v_fmac_f32_e32 v6, v10, v10
	v_fmac_f32_e32 v6, v16, v16
	;; [unrolled: 1-line block ×7, first 2 shown]
	s_nop 1
	v_mov_b32_dpp v7, v6 quad_perm:[1,0,3,2] row_mask:0xf bank_mask:0xf
	v_add_f32_e32 v6, v6, v7
	s_nop 1
	v_mov_b32_dpp v7, v6 quad_perm:[2,3,0,1] row_mask:0xf bank_mask:0xf
	v_add_f32_e32 v6, v6, v7
	s_nop 1
	v_mov_b32_dpp v7, v6 row_half_mirror row_mask:0xf bank_mask:0xf
	v_add_f32_e32 v6, v6, v7
	s_nop 1
	v_mov_b32_dpp v7, v6 row_mirror row_mask:0xf bank_mask:0xf
	v_add_f32_e32 v6, v6, v7
	s_nop 1
	v_mov_b32_dpp v7, v6 row_bcast:15 row_mask:0xf bank_mask:0xf
	v_add_f32_e32 v6, v6, v7
	s_nop 1
	v_mov_b32_dpp v7, v6 row_bcast:31 row_mask:0xf bank_mask:0xf
	s_and_saveexec_b64 s[0:1], s[2:3]
	s_cbranch_execz .LBB439_36
; %bb.35:
	v_lshrrev_b32_e32 v0, 4, v0
	v_add_f32_e32 v6, v6, v7
	v_and_b32_e32 v0, 60, v0
	ds_write_b32 v0, v6
.LBB439_36:
	s_or_b64 exec, exec, s[0:1]
	s_waitcnt lgkmcnt(0)
	s_barrier
	ds_read_b32 v0, v18
	s_waitcnt lgkmcnt(0)
	s_nop 0
	v_mov_b32_dpp v6, v0 quad_perm:[1,0,3,2] row_mask:0xf bank_mask:0xf
	s_and_saveexec_b64 s[0:1], vcc
	s_cbranch_execz .LBB439_17
; %bb.37:
	v_cvt_f32_u32_e32 v7, s16
	v_add_f32_e32 v0, v0, v6
	s_mov_b32 s23, 0x20000
	v_div_scale_f32 v6, s[0:1], v7, v7, v0
	v_rcp_f32_e32 v8, v6
	v_div_scale_f32 v9, vcc, v0, v7, v0
	s_mov_b32 s0, 0x800000
	v_fma_f32 v18, -v6, v8, 1.0
	v_fmac_f32_e32 v8, v18, v8
	v_mul_f32_e32 v18, v9, v8
	v_fma_f32 v19, -v6, v18, v9
	v_fmac_f32_e32 v18, v19, v8
	v_fma_f32 v6, -v6, v18, v9
	v_div_fmas_f32 v6, v6, v8, v18
	v_div_fixup_f32 v0, v6, v7, v0
	v_add_f32_e32 v0, s13, v0
	v_mul_f32_e32 v6, 0x4b800000, v0
	v_cmp_gt_f32_e32 vcc, s0, v0
	v_cndmask_b32_e32 v0, v0, v6, vcc
	v_rsq_f32_e32 v0, v0
	s_waitcnt vmcnt(0)
	v_cvt_f32_f16_sdwa v19, v5 dst_sel:DWORD dst_unused:UNUSED_PAD src0_sel:WORD_1
	v_cvt_f32_f16_e32 v18, v5
	s_mul_hi_i32 s1, s10, s6
	v_mul_f32_e32 v6, 0x45800000, v0
	v_cndmask_b32_e32 v6, v0, v6, vcc
	v_mov_b32_e32 v7, v6
	;;#ASMSTART
	v_pk_mul_f32 v[8:9], v[10:11], v[6:7]
	;;#ASMEND
	;;#ASMSTART
	v_pk_mul_f32 v[10:11], v[16:17], v[6:7]
	;;#ASMEND
	;; [unrolled: 3-line block ×4, first 2 shown]
	v_cvt_f32_f16_sdwa v13, v2 dst_sel:DWORD dst_unused:UNUSED_PAD src0_sel:WORD_1
	v_cvt_f32_f16_e32 v12, v2
	v_cvt_f32_f16_sdwa v17, v3 dst_sel:DWORD dst_unused:UNUSED_PAD src0_sel:WORD_1
	v_cvt_f32_f16_e32 v16, v3
	;; [unrolled: 2-line block ×3, first 2 shown]
	;;#ASMSTART
	v_pk_mul_f32 v[4:5], v[8:9], v[12:13]
	;;#ASMEND
	;;#ASMSTART
	v_pk_mul_f32 v[8:9], v[10:11], v[16:17]
	;;#ASMEND
	;; [unrolled: 3-line block ×4, first 2 shown]
	s_mul_i32 s0, s10, s6
	v_cvt_f16_f32_e32 v0, v4
	v_cvt_f16_f32_e32 v4, v5
	v_cvt_f16_f32_e32 v5, v8
	v_cvt_f16_f32_e32 v8, v9
	v_cvt_f16_f32_e32 v9, v2
	v_cvt_f16_f32_e32 v10, v3
	v_cvt_f16_f32_e32 v6, v6
	v_cvt_f16_f32_e32 v7, v7
	s_lshl_b64 s[0:1], s[0:1], 1
	s_add_u32 s20, s36, s0
	s_addc_u32 s0, s37, s1
	s_and_b32 s21, s0, 0xffff
	v_pack_b32_f16 v2, v0, v4
	v_pack_b32_f16 v3, v5, v8
	v_pack_b32_f16 v4, v9, v10
	v_pack_b32_f16 v5, v6, v7
	buffer_store_dwordx4 v[2:5], v1, s[20:23], 0 offen
	;;#ASMSTART
	s_nop 0
	;;#ASMEND
	s_endpgm
	.section	.rodata,"a",@progbits
	.p2align	6, 0x0
	.amdhsa_kernel _ZN5aiter35fused_qk_rmsnorm_group_quant_kernelIDF16_N4opus5fp4_tELi128ELi8ELi4ELb1ELb0ELb0ELb0ELb0ELb0EEEvPT0_PvPT_S7_S7_PKS6_S9_S9_S9_S9_ffiiiiiiiiiiiii
		.amdhsa_group_segment_fixed_size 16
		.amdhsa_private_segment_fixed_size 0
		.amdhsa_kernarg_size 400
		.amdhsa_user_sgpr_count 6
		.amdhsa_user_sgpr_private_segment_buffer 1
		.amdhsa_user_sgpr_dispatch_ptr 0
		.amdhsa_user_sgpr_queue_ptr 0
		.amdhsa_user_sgpr_kernarg_segment_ptr 1
		.amdhsa_user_sgpr_dispatch_id 0
		.amdhsa_user_sgpr_flat_scratch_init 0
		.amdhsa_user_sgpr_kernarg_preload_length 0
		.amdhsa_user_sgpr_kernarg_preload_offset 0
		.amdhsa_user_sgpr_private_segment_size 0
		.amdhsa_uses_dynamic_stack 0
		.amdhsa_system_sgpr_private_segment_wavefront_offset 0
		.amdhsa_system_sgpr_workgroup_id_x 1
		.amdhsa_system_sgpr_workgroup_id_y 1
		.amdhsa_system_sgpr_workgroup_id_z 0
		.amdhsa_system_sgpr_workgroup_info 0
		.amdhsa_system_vgpr_workitem_id 0
		.amdhsa_next_free_vgpr 27
		.amdhsa_next_free_sgpr 40
		.amdhsa_accum_offset 28
		.amdhsa_reserve_vcc 1
		.amdhsa_reserve_flat_scratch 0
		.amdhsa_float_round_mode_32 0
		.amdhsa_float_round_mode_16_64 0
		.amdhsa_float_denorm_mode_32 3
		.amdhsa_float_denorm_mode_16_64 3
		.amdhsa_dx10_clamp 1
		.amdhsa_ieee_mode 1
		.amdhsa_fp16_overflow 0
		.amdhsa_tg_split 0
		.amdhsa_exception_fp_ieee_invalid_op 0
		.amdhsa_exception_fp_denorm_src 0
		.amdhsa_exception_fp_ieee_div_zero 0
		.amdhsa_exception_fp_ieee_overflow 0
		.amdhsa_exception_fp_ieee_underflow 0
		.amdhsa_exception_fp_ieee_inexact 0
		.amdhsa_exception_int_div_zero 0
	.end_amdhsa_kernel
	.section	.text._ZN5aiter35fused_qk_rmsnorm_group_quant_kernelIDF16_N4opus5fp4_tELi128ELi8ELi4ELb1ELb0ELb0ELb0ELb0ELb0EEEvPT0_PvPT_S7_S7_PKS6_S9_S9_S9_S9_ffiiiiiiiiiiiii,"axG",@progbits,_ZN5aiter35fused_qk_rmsnorm_group_quant_kernelIDF16_N4opus5fp4_tELi128ELi8ELi4ELb1ELb0ELb0ELb0ELb0ELb0EEEvPT0_PvPT_S7_S7_PKS6_S9_S9_S9_S9_ffiiiiiiiiiiiii,comdat
.Lfunc_end439:
	.size	_ZN5aiter35fused_qk_rmsnorm_group_quant_kernelIDF16_N4opus5fp4_tELi128ELi8ELi4ELb1ELb0ELb0ELb0ELb0ELb0EEEvPT0_PvPT_S7_S7_PKS6_S9_S9_S9_S9_ffiiiiiiiiiiiii, .Lfunc_end439-_ZN5aiter35fused_qk_rmsnorm_group_quant_kernelIDF16_N4opus5fp4_tELi128ELi8ELi4ELb1ELb0ELb0ELb0ELb0ELb0EEEvPT0_PvPT_S7_S7_PKS6_S9_S9_S9_S9_ffiiiiiiiiiiiii
                                        ; -- End function
	.section	.AMDGPU.csdata,"",@progbits
; Kernel info:
; codeLenInByte = 2636
; NumSgprs: 44
; NumVgprs: 27
; NumAgprs: 0
; TotalNumVgprs: 27
; ScratchSize: 0
; MemoryBound: 0
; FloatMode: 240
; IeeeMode: 1
; LDSByteSize: 16 bytes/workgroup (compile time only)
; SGPRBlocks: 5
; VGPRBlocks: 3
; NumSGPRsForWavesPerEU: 44
; NumVGPRsForWavesPerEU: 27
; AccumOffset: 28
; Occupancy: 8
; WaveLimiterHint : 0
; COMPUTE_PGM_RSRC2:SCRATCH_EN: 0
; COMPUTE_PGM_RSRC2:USER_SGPR: 6
; COMPUTE_PGM_RSRC2:TRAP_HANDLER: 0
; COMPUTE_PGM_RSRC2:TGID_X_EN: 1
; COMPUTE_PGM_RSRC2:TGID_Y_EN: 1
; COMPUTE_PGM_RSRC2:TGID_Z_EN: 0
; COMPUTE_PGM_RSRC2:TIDIG_COMP_CNT: 0
; COMPUTE_PGM_RSRC3_GFX90A:ACCUM_OFFSET: 6
; COMPUTE_PGM_RSRC3_GFX90A:TG_SPLIT: 0
	.section	.text._ZN5aiter35fused_qk_rmsnorm_group_quant_kernelItN4opus5fp4_tELi128ELi8ELi4ELb1ELb0ELb0ELb0ELb0ELb0EEEvPT0_PvPT_S7_S7_PKS6_S9_S9_S9_S9_ffiiiiiiiiiiiii,"axG",@progbits,_ZN5aiter35fused_qk_rmsnorm_group_quant_kernelItN4opus5fp4_tELi128ELi8ELi4ELb1ELb0ELb0ELb0ELb0ELb0EEEvPT0_PvPT_S7_S7_PKS6_S9_S9_S9_S9_ffiiiiiiiiiiiii,comdat
	.protected	_ZN5aiter35fused_qk_rmsnorm_group_quant_kernelItN4opus5fp4_tELi128ELi8ELi4ELb1ELb0ELb0ELb0ELb0ELb0EEEvPT0_PvPT_S7_S7_PKS6_S9_S9_S9_S9_ffiiiiiiiiiiiii ; -- Begin function _ZN5aiter35fused_qk_rmsnorm_group_quant_kernelItN4opus5fp4_tELi128ELi8ELi4ELb1ELb0ELb0ELb0ELb0ELb0EEEvPT0_PvPT_S7_S7_PKS6_S9_S9_S9_S9_ffiiiiiiiiiiiii
	.globl	_ZN5aiter35fused_qk_rmsnorm_group_quant_kernelItN4opus5fp4_tELi128ELi8ELi4ELb1ELb0ELb0ELb0ELb0ELb0EEEvPT0_PvPT_S7_S7_PKS6_S9_S9_S9_S9_ffiiiiiiiiiiiii
	.p2align	8
	.type	_ZN5aiter35fused_qk_rmsnorm_group_quant_kernelItN4opus5fp4_tELi128ELi8ELi4ELb1ELb0ELb0ELb0ELb0ELb0EEEvPT0_PvPT_S7_S7_PKS6_S9_S9_S9_S9_ffiiiiiiiiiiiii,@function
_ZN5aiter35fused_qk_rmsnorm_group_quant_kernelItN4opus5fp4_tELi128ELi8ELi4ELb1ELb0ELb0ELb0ELb0ELb0EEEvPT0_PvPT_S7_S7_PKS6_S9_S9_S9_S9_ffiiiiiiiiiiiii: ; @_ZN5aiter35fused_qk_rmsnorm_group_quant_kernelItN4opus5fp4_tELi128ELi8ELi4ELb1ELb0ELb0ELb0ELb0ELb0EEEvPT0_PvPT_S7_S7_PKS6_S9_S9_S9_S9_ffiiiiiiiiiiiii
; %bb.0:
	s_load_dwordx8 s[12:19], s[4:5], 0x50
	s_waitcnt lgkmcnt(0)
	s_cmp_ge_i32 s6, s14
	s_cbranch_scc1 .LBB440_17
; %bb.1:
	s_cmp_lg_u32 s7, 0
	s_cselect_b64 s[22:23], -1, 0
	s_cmp_eq_u32 s7, 0
	s_cselect_b64 s[8:9], -1, 0
	s_and_b64 s[0:1], s[8:9], exec
	s_load_dwordx2 s[20:21], s[4:5], 0x48
	s_load_dwordx2 s[34:35], s[4:5], 0x30
	s_load_dwordx4 s[24:27], s[4:5], 0x70
	s_cselect_b32 s7, s15, s16
	s_add_i32 s0, s7, 1
	s_lshr_b32 s1, s0, 31
	s_add_i32 s0, s0, s1
	s_lshl_b32 s0, s0, 1
	v_lshlrev_b32_e32 v1, 3, v0
	s_and_b32 s30, s0, -4
	v_cmp_gt_i32_e64 s[0:1], s7, v1
	v_mov_b32_e32 v10, 0
	v_mov_b32_e32 v11, 0
	;; [unrolled: 1-line block ×8, first 2 shown]
	s_and_saveexec_b64 s[2:3], s[0:1]
	s_cbranch_execz .LBB440_3
; %bb.2:
	s_load_dwordx2 s[10:11], s[4:5], 0x28
	s_load_dwordx2 s[28:29], s[4:5], 0x40
	s_and_b64 s[36:37], s[8:9], exec
	s_cselect_b32 s14, s17, s18
	s_mov_b32 s31, 0x20000
	s_waitcnt lgkmcnt(0)
	s_cselect_b32 s17, s11, s35
	s_cselect_b32 s27, s10, s34
	s_mul_hi_i32 s11, s14, s6
	s_mul_i32 s10, s14, s6
	s_lshl_b64 s[10:11], s[10:11], 1
	s_add_u32 s36, s27, s10
	s_addc_u32 s14, s17, s11
	s_and_b64 s[10:11], s[8:9], exec
	s_cselect_b32 s28, s28, s20
	s_cselect_b32 s10, s29, s21
	v_lshlrev_b32_e32 v2, 4, v0
	s_and_b32 s37, s14, 0xffff
	s_mov_b32 s38, s30
	s_mov_b32 s39, s31
	s_and_b32 s29, s10, 0xffff
	buffer_load_dwordx4 v[14:17], v2, s[36:39], 0 offen glc slc
	buffer_load_dwordx4 v[10:13], v2, s[28:31], 0 offen
.LBB440_3:
	s_or_b64 exec, exec, s[2:3]
	s_load_dwordx2 s[10:11], s[4:5], 0x80
	s_and_b64 vcc, exec, s[22:23]
	s_cbranch_vccz .LBB440_7
; %bb.4:
	s_mov_b32 s36, 0
	s_mov_b32 s37, s36
	;; [unrolled: 1-line block ×8, first 2 shown]
	v_pk_mov_b32 v[2:3], s[36:37], s[36:37] op_sel:[0,1]
	v_pk_mov_b32 v[4:5], s[38:39], s[38:39] op_sel:[0,1]
	;; [unrolled: 1-line block ×4, first 2 shown]
	s_and_saveexec_b64 s[2:3], s[0:1]
	s_cbranch_execz .LBB440_6
; %bb.5:
	s_waitcnt vmcnt(1)
	v_cvt_f32_u32_sdwa v3, v14 dst_sel:DWORD dst_unused:UNUSED_PAD src0_sel:WORD_1
	v_cvt_f32_u32_sdwa v2, v14 dst_sel:DWORD dst_unused:UNUSED_PAD src0_sel:WORD_0
	v_cvt_f32_u32_sdwa v5, v15 dst_sel:DWORD dst_unused:UNUSED_PAD src0_sel:WORD_1
	v_cvt_f32_u32_sdwa v4, v15 dst_sel:DWORD dst_unused:UNUSED_PAD src0_sel:WORD_0
	;; [unrolled: 2-line block ×4, first 2 shown]
.LBB440_6:
	s_or_b64 exec, exec, s[2:3]
	s_cbranch_execz .LBB440_8
	s_branch .LBB440_11
.LBB440_7:
                                        ; implicit-def: $vgpr2_vgpr3_vgpr4_vgpr5_vgpr6_vgpr7_vgpr8_vgpr9
.LBB440_8:
	s_mov_b32 s36, 0
	s_mov_b32 s37, s36
	;; [unrolled: 1-line block ×8, first 2 shown]
	v_pk_mov_b32 v[2:3], s[36:37], s[36:37] op_sel:[0,1]
	v_pk_mov_b32 v[4:5], s[38:39], s[38:39] op_sel:[0,1]
	;; [unrolled: 1-line block ×4, first 2 shown]
	s_and_saveexec_b64 s[2:3], s[0:1]
	s_cbranch_execz .LBB440_10
; %bb.9:
	s_load_dwordx2 s[28:29], s[4:5], 0x38
	s_mul_hi_i32 s37, s19, s6
	s_mul_i32 s36, s19, s6
	s_lshl_b64 s[36:37], s[36:37], 1
	s_mov_b32 s31, 0x20000
	s_waitcnt lgkmcnt(0)
	s_add_u32 s28, s28, s36
	s_addc_u32 s14, s29, s37
	s_and_b32 s29, s14, 0xffff
	v_lshlrev_b32_e32 v26, 4, v0
	buffer_load_dwordx4 v[2:5], v26, s[28:31], 0 offen glc slc
	s_load_dwordx2 s[28:29], s[4:5], 0x20
	s_waitcnt vmcnt(2)
	v_cvt_f32_u32_sdwa v7, v14 dst_sel:DWORD dst_unused:UNUSED_PAD src0_sel:WORD_1
	v_cvt_f32_u32_sdwa v6, v14 dst_sel:DWORD dst_unused:UNUSED_PAD src0_sel:WORD_0
	v_cvt_f32_u32_sdwa v9, v15 dst_sel:DWORD dst_unused:UNUSED_PAD src0_sel:WORD_1
	v_cvt_f32_u32_sdwa v8, v15 dst_sel:DWORD dst_unused:UNUSED_PAD src0_sel:WORD_0
	;; [unrolled: 2-line block ×4, first 2 shown]
	s_mul_hi_i32 s37, s11, s6
	s_mul_i32 s36, s11, s6
	s_lshl_b64 s[36:37], s[36:37], 1
	s_waitcnt lgkmcnt(0)
	s_add_u32 s28, s28, s36
	s_mov_b32 s11, 0x7060302
	s_addc_u32 s14, s29, s37
	s_and_b32 s29, s14, 0xffff
	s_waitcnt vmcnt(0)
	v_cvt_f32_u32_sdwa v17, v2 dst_sel:DWORD dst_unused:UNUSED_PAD src0_sel:WORD_1
	v_cvt_f32_u32_sdwa v16, v2 dst_sel:DWORD dst_unused:UNUSED_PAD src0_sel:WORD_0
	v_cvt_f32_u32_sdwa v21, v3 dst_sel:DWORD dst_unused:UNUSED_PAD src0_sel:WORD_1
	v_cvt_f32_u32_sdwa v20, v3 dst_sel:DWORD dst_unused:UNUSED_PAD src0_sel:WORD_0
	;; [unrolled: 2-line block ×4, first 2 shown]
	v_pk_add_f32 v[2:3], v[6:7], v[16:17]
	v_pk_add_f32 v[4:5], v[8:9], v[20:21]
	;; [unrolled: 1-line block ×4, first 2 shown]
	v_perm_b32 v17, v9, v8, s11
	v_perm_b32 v16, v7, v6, s11
	;; [unrolled: 1-line block ×4, first 2 shown]
	buffer_store_dwordx4 v[14:17], v26, s[28:31], 0 offen glc slc
	;;#ASMSTART
	s_nop 0
	;;#ASMEND
.LBB440_10:
	s_or_b64 exec, exec, s[2:3]
.LBB440_11:
	s_waitcnt vmcnt(1)
	v_mul_f32_e32 v14, v3, v3
	v_fmac_f32_e32 v14, v2, v2
	v_fmac_f32_e32 v14, v4, v4
	;; [unrolled: 1-line block ×7, first 2 shown]
	v_and_b32_e32 v16, 63, v0
	v_cmp_eq_u32_e64 s[2:3], 63, v16
	v_mov_b32_dpp v15, v14 quad_perm:[1,0,3,2] row_mask:0xf bank_mask:0xf
	v_add_f32_e32 v14, v14, v15
	s_nop 1
	v_mov_b32_dpp v15, v14 quad_perm:[2,3,0,1] row_mask:0xf bank_mask:0xf
	v_add_f32_e32 v14, v14, v15
	s_nop 1
	v_mov_b32_dpp v15, v14 row_half_mirror row_mask:0xf bank_mask:0xf
	v_add_f32_e32 v14, v14, v15
	s_nop 1
	v_mov_b32_dpp v15, v14 row_mirror row_mask:0xf bank_mask:0xf
	v_add_f32_e32 v14, v14, v15
	s_nop 1
	v_mov_b32_dpp v15, v14 row_bcast:15 row_mask:0xf bank_mask:0xf
	v_add_f32_e32 v14, v14, v15
	s_nop 1
	v_mov_b32_dpp v15, v14 row_bcast:31 row_mask:0xf bank_mask:0xf
	s_and_saveexec_b64 s[28:29], s[2:3]
	s_cbranch_execz .LBB440_13
; %bb.12:
	v_add_f32_e32 v14, v14, v15
	v_lshrrev_b32_e32 v15, 4, v0
	v_and_b32_e32 v15, 60, v15
	ds_write_b32 v15, v14 offset:8
.LBB440_13:
	s_or_b64 exec, exec, s[28:29]
	v_and_b32_e32 v14, 1, v0
	v_lshlrev_b32_e32 v14, 2, v14
	s_waitcnt lgkmcnt(0)
	s_barrier
	ds_read_b32 v15, v14 offset:8
	s_load_dwordx2 s[36:37], s[4:5], 0x18
	s_waitcnt lgkmcnt(0)
	v_mov_b32_dpp v16, v15 quad_perm:[1,0,3,2] row_mask:0xf bank_mask:0xf
	s_and_saveexec_b64 s[28:29], s[0:1]
	s_cbranch_execnz .LBB440_18
; %bb.14:
	s_or_b64 exec, exec, s[28:29]
	s_mov_b64 s[8:9], -1
	s_and_b64 vcc, exec, s[22:23]
	s_cbranch_vccnz .LBB440_19
.LBB440_15:
	s_andn2_b64 vcc, exec, s[8:9]
	s_cbranch_vccz .LBB440_22
.LBB440_16:
	s_cmp_lt_i32 s16, 1
	s_cbranch_scc0 .LBB440_29
.LBB440_17:
	s_endpgm
.LBB440_18:
	v_cvt_f32_u32_e32 v17, s7
	v_add_f32_e32 v15, v15, v16
	v_mov_b32_e32 v19, s13
	v_mov_b32_e32 v20, s12
	v_div_scale_f32 v16, s[38:39], v17, v17, v15
	v_rcp_f32_e32 v18, v16
	v_cndmask_b32_e64 v19, v19, v20, s[8:9]
	s_mov_b32 s7, 0x800000
	v_fma_f32 v20, -v16, v18, 1.0
	v_fmac_f32_e32 v18, v20, v18
	v_div_scale_f32 v20, vcc, v15, v17, v15
	v_mul_f32_e32 v21, v20, v18
	v_fma_f32 v22, -v16, v21, v20
	v_fmac_f32_e32 v21, v22, v18
	v_fma_f32 v16, -v16, v21, v20
	v_div_fmas_f32 v16, v16, v18, v21
	v_div_fixup_f32 v15, v16, v17, v15
	v_add_f32_e32 v15, v19, v15
	v_mul_f32_e32 v16, 0x4b800000, v15
	v_cmp_gt_f32_e32 vcc, s7, v15
	v_cndmask_b32_e32 v15, v15, v16, vcc
	v_rsq_f32_e32 v15, v15
	s_waitcnt vmcnt(0)
	v_cvt_f32_u32_sdwa v19, v11 dst_sel:DWORD dst_unused:UNUSED_PAD src0_sel:WORD_1
	v_cvt_f32_u32_sdwa v18, v11 dst_sel:DWORD dst_unused:UNUSED_PAD src0_sel:WORD_0
	v_cvt_f32_u32_sdwa v11, v12 dst_sel:DWORD dst_unused:UNUSED_PAD src0_sel:WORD_1
	v_mul_f32_e32 v16, 0x45800000, v15
	v_cndmask_b32_e32 v16, v15, v16, vcc
	v_mov_b32_e32 v17, v16
	;;#ASMSTART
	v_pk_mul_f32 v[2:3], v[2:3], v[16:17]
	;;#ASMEND
	;;#ASMSTART
	v_pk_mul_f32 v[4:5], v[4:5], v[16:17]
	;;#ASMEND
	;;#ASMSTART
	v_pk_mul_f32 v[6:7], v[6:7], v[16:17]
	;;#ASMEND
	;;#ASMSTART
	v_pk_mul_f32 v[8:9], v[8:9], v[16:17]
	;;#ASMEND
	v_cvt_f32_u32_sdwa v17, v10 dst_sel:DWORD dst_unused:UNUSED_PAD src0_sel:WORD_1
	v_cvt_f32_u32_sdwa v16, v10 dst_sel:DWORD dst_unused:UNUSED_PAD src0_sel:WORD_0
	v_cvt_f32_u32_sdwa v10, v12 dst_sel:DWORD dst_unused:UNUSED_PAD src0_sel:WORD_0
	v_cvt_f32_u32_sdwa v21, v13 dst_sel:DWORD dst_unused:UNUSED_PAD src0_sel:WORD_1
	v_cvt_f32_u32_sdwa v20, v13 dst_sel:DWORD dst_unused:UNUSED_PAD src0_sel:WORD_0
	;;#ASMSTART
	v_pk_mul_f32 v[2:3], v[2:3], v[16:17]
	;;#ASMEND
	;;#ASMSTART
	v_pk_mul_f32 v[4:5], v[4:5], v[18:19]
	;;#ASMEND
	;; [unrolled: 3-line block ×4, first 2 shown]
	s_or_b64 exec, exec, s[28:29]
	s_mov_b64 s[8:9], -1
	s_and_b64 vcc, exec, s[22:23]
	s_cbranch_vccz .LBB440_15
.LBB440_19:
	s_and_saveexec_b64 s[8:9], s[0:1]
	s_cbranch_execz .LBB440_21
; %bb.20:
	s_mul_hi_i32 s23, s10, s6
	s_mul_i32 s22, s10, s6
	s_lshl_b64 s[22:23], s[22:23], 1
	s_add_u32 s28, s36, s22
	s_addc_u32 s7, s37, s23
	s_and_b32 s29, s7, 0xffff
	s_mov_b32 s7, 0x7060302
	s_mov_b32 s31, 0x20000
	s_waitcnt vmcnt(0)
	v_perm_b32 v10, v3, v2, s7
	v_perm_b32 v11, v5, v4, s7
	;; [unrolled: 1-line block ×4, first 2 shown]
	v_lshlrev_b32_e32 v15, 4, v0
	buffer_store_dwordx4 v[10:13], v15, s[28:31], 0 offen
	;;#ASMSTART
	s_nop 0
	;;#ASMEND
.LBB440_21:
	s_or_b64 exec, exec, s[8:9]
	s_cbranch_execnz .LBB440_16
.LBB440_22:
	s_waitcnt vmcnt(0)
	v_mov_b32_e32 v10, 0
	s_and_saveexec_b64 s[8:9], s[0:1]
	s_cbranch_execz .LBB440_24
; %bb.23:
	v_and_b32_e32 v2, 0x7fffffff, v2
	v_and_b32_e32 v3, 0x7fffffff, v3
	v_mov_b32_e32 v10, 0x2edbe6ff
	;;#ASMSTART
	v_max3_f32 v2, v10, v2, v3

	;;#ASMEND
	v_and_b32_e32 v3, 0x7fffffff, v4
	v_and_b32_e32 v4, 0x7fffffff, v5
	;;#ASMSTART
	v_max3_f32 v2, v2, v3, v4

	;;#ASMEND
	v_and_b32_e32 v3, 0x7fffffff, v6
	v_and_b32_e32 v4, 0x7fffffff, v7
	;; [unrolled: 6-line block ×3, first 2 shown]
	;;#ASMSTART
	v_max3_f32 v10, v2, v3, v4

	;;#ASMEND
.LBB440_24:
	s_or_b64 exec, exec, s[8:9]
	;;#ASMSTART
	v_max_f32 v3, v10, v10 quad_perm:[1,0,3,2] row_mask:0xf bank_mask:0xf bound_ctrl:1
	;;#ASMEND
	;;#ASMSTART
	v_max_f32 v2, v3, v3 quad_perm:[2,3,0,1] row_mask:0xf bank_mask:0xf bound_ctrl:1
	;;#ASMEND
	v_and_b32_e32 v3, 3, v0
	v_cmp_eq_u32_e32 vcc, 0, v3
	v_cmp_gt_i32_e64 s[8:9], s15, v1
	s_and_b64 s[22:23], vcc, s[8:9]
	s_and_saveexec_b64 s[8:9], s[22:23]
	s_cbranch_execz .LBB440_26
; %bb.25:
	s_load_dwordx2 s[22:23], s[4:5], 0x8
	v_mul_f32_e32 v2, 0x3e2aaaab, v2
	v_lshrrev_b32_e32 v3, 23, v2
	v_and_b32_e32 v4, 0x7f800000, v2
	v_and_b32_e32 v2, 0x7fffff, v2
	v_cmp_ne_u32_e32 vcc, 0, v2
	s_mul_i32 s12, s25, s6
	s_mov_b32 s7, 0x7f800000
	v_addc_co_u32_e32 v2, vcc, 0, v3, vcc
	s_mul_hi_i32 s11, s25, s6
	s_waitcnt lgkmcnt(0)
	s_add_u32 s22, s22, s12
	v_cmp_ne_u32_e32 vcc, s7, v4
	s_addc_u32 s23, s23, s11
	v_lshrrev_b32_e32 v5, 2, v0
	v_cndmask_b32_e32 v4, -1, v2, vcc
	v_pk_mov_b32 v[2:3], s[22:23], s[22:23] op_sel:[0,1]
	v_mad_i64_i32 v[2:3], s[22:23], s26, v5, v[2:3]
	global_store_byte v[2:3], v4, off
.LBB440_26:
	s_or_b64 exec, exec, s[8:9]
	s_and_saveexec_b64 s[8:9], s[0:1]
	s_cbranch_execz .LBB440_28
; %bb.27:
	s_load_dwordx2 s[0:1], s[4:5], 0x0
	s_mul_i32 s11, s24, s6
	s_mul_hi_i32 s7, s24, s6
	v_lshlrev_b32_e32 v2, 2, v0
	s_mov_b32 s27, 0x20000
	s_waitcnt lgkmcnt(0)
	s_add_u32 s24, s0, s11
	s_addc_u32 s0, s1, s7
	s_lshr_b32 s1, s15, 31
	s_add_i32 s1, s15, s1
	s_ashr_i32 s1, s1, 1
	s_add_i32 s1, s1, 3
	s_ashr_i32 s7, s1, 31
	s_lshr_b32 s7, s7, 30
	s_add_i32 s1, s1, s7
	s_and_b32 s26, s1, -4
	s_and_b32 s25, s0, 0xffff
	v_mov_b32_e32 v3, 0
	buffer_store_dword v3, v2, s[24:27], 0 offen
	;;#ASMSTART
	s_nop 0
	;;#ASMEND
.LBB440_28:
	s_or_b64 exec, exec, s[8:9]
	s_cmp_lt_i32 s16, 1
	s_cbranch_scc1 .LBB440_17
.LBB440_29:
	s_load_dword s0, s[4:5], 0x94
	s_waitcnt lgkmcnt(0)
	s_cmp_lg_u32 s0, 1
	s_cbranch_scc1 .LBB440_17
; %bb.30:
	s_lshl_b32 s0, s16, 1
	s_add_i32 s0, s0, 2
	v_cmp_gt_u32_e32 vcc, s16, v1
	s_and_b32 s22, s0, -4
	v_mov_b32_e32 v6, 0
	v_lshlrev_b32_e32 v1, 4, v0
	v_mov_b32_e32 v7, 0
	v_mov_b32_e32 v8, 0
	;; [unrolled: 1-line block ×7, first 2 shown]
	s_barrier
	s_and_saveexec_b64 s[0:1], vcc
	s_cbranch_execz .LBB440_32
; %bb.31:
	s_mul_hi_i32 s5, s18, s6
	s_mul_i32 s4, s18, s6
	s_and_b32 s21, s21, 0xffff
	s_lshl_b64 s[4:5], s[4:5], 1
	s_add_u32 s24, s34, s4
	s_mov_b32 s23, 0x20000
	s_addc_u32 s4, s35, s5
	s_and_b32 s25, s4, 0xffff
	s_mov_b32 s26, s22
	s_mov_b32 s27, s23
	buffer_load_dwordx4 v[6:9], v1, s[24:27], 0 offen glc slc
	buffer_load_dwordx4 v[2:5], v1, s[20:23], 0 offen
.LBB440_32:
	s_or_b64 exec, exec, s[0:1]
	s_waitcnt vmcnt(0)
	v_cvt_f32_u32_sdwa v13, v6 dst_sel:DWORD dst_unused:UNUSED_PAD src0_sel:WORD_1
	v_cvt_f32_u32_sdwa v12, v6 dst_sel:DWORD dst_unused:UNUSED_PAD src0_sel:WORD_0
	v_cvt_f32_u32_sdwa v6, v9 dst_sel:DWORD dst_unused:UNUSED_PAD src0_sel:WORD_1
	v_cvt_f32_u32_sdwa v9, v9 dst_sel:DWORD dst_unused:UNUSED_PAD src0_sel:WORD_0
	;; [unrolled: 2-line block ×4, first 2 shown]
	v_cndmask_b32_e32 v13, 0, v13, vcc
	v_cndmask_b32_e32 v7, 0, v6, vcc
	;; [unrolled: 1-line block ×5, first 2 shown]
	v_mul_f32_e32 v15, v13, v13
	v_cndmask_b32_e32 v10, 0, v10, vcc
	v_fmac_f32_e32 v15, v12, v12
	v_cndmask_b32_e32 v11, 0, v11, vcc
	v_fmac_f32_e32 v15, v10, v10
	v_cndmask_b32_e32 v8, 0, v8, vcc
	v_fmac_f32_e32 v15, v11, v11
	v_fmac_f32_e32 v15, v8, v8
	v_fmac_f32_e32 v15, v9, v9
	;; [unrolled: 1-line block ×4, first 2 shown]
	s_nop 1
	v_mov_b32_dpp v16, v15 quad_perm:[1,0,3,2] row_mask:0xf bank_mask:0xf
	v_add_f32_e32 v15, v15, v16
	s_nop 1
	v_mov_b32_dpp v16, v15 quad_perm:[2,3,0,1] row_mask:0xf bank_mask:0xf
	v_add_f32_e32 v15, v15, v16
	s_nop 1
	v_mov_b32_dpp v16, v15 row_half_mirror row_mask:0xf bank_mask:0xf
	v_add_f32_e32 v15, v15, v16
	s_nop 1
	v_mov_b32_dpp v16, v15 row_mirror row_mask:0xf bank_mask:0xf
	v_add_f32_e32 v15, v15, v16
	s_nop 1
	v_mov_b32_dpp v16, v15 row_bcast:15 row_mask:0xf bank_mask:0xf
	v_add_f32_e32 v15, v15, v16
	s_nop 1
	v_mov_b32_dpp v16, v15 row_bcast:31 row_mask:0xf bank_mask:0xf
	s_and_saveexec_b64 s[0:1], s[2:3]
	s_cbranch_execz .LBB440_34
; %bb.33:
	v_lshrrev_b32_e32 v0, 4, v0
	v_add_f32_e32 v15, v15, v16
	v_and_b32_e32 v0, 60, v0
	ds_write_b32 v0, v15
.LBB440_34:
	s_or_b64 exec, exec, s[0:1]
	s_waitcnt lgkmcnt(0)
	s_barrier
	ds_read_b32 v0, v14
	s_waitcnt lgkmcnt(0)
	s_nop 0
	v_mov_b32_dpp v14, v0 quad_perm:[1,0,3,2] row_mask:0xf bank_mask:0xf
	s_and_saveexec_b64 s[0:1], vcc
	s_cbranch_execz .LBB440_17
; %bb.35:
	v_cvt_f32_u32_e32 v15, s16
	v_add_f32_e32 v0, v0, v14
	s_mov_b32 s23, 0x20000
	v_div_scale_f32 v14, s[0:1], v15, v15, v0
	v_rcp_f32_e32 v16, v14
	v_div_scale_f32 v17, vcc, v0, v15, v0
	s_mov_b32 s0, 0x800000
	v_fma_f32 v18, -v14, v16, 1.0
	v_fmac_f32_e32 v16, v18, v16
	v_mul_f32_e32 v18, v17, v16
	v_fma_f32 v19, -v14, v18, v17
	v_fmac_f32_e32 v18, v19, v16
	v_fma_f32 v14, -v14, v18, v17
	v_div_fmas_f32 v14, v14, v16, v18
	v_div_fixup_f32 v0, v14, v15, v0
	v_add_f32_e32 v0, s13, v0
	v_mul_f32_e32 v14, 0x4b800000, v0
	v_cmp_gt_f32_e32 vcc, s0, v0
	v_cndmask_b32_e32 v0, v0, v14, vcc
	v_rsq_f32_e32 v0, v0
	s_mul_hi_i32 s1, s10, s6
	s_mul_i32 s0, s10, s6
	s_lshl_b64 s[0:1], s[0:1], 1
	v_mul_f32_e32 v14, 0x45800000, v0
	v_cndmask_b32_e32 v14, v0, v14, vcc
	s_add_u32 s20, s36, s0
	v_mov_b32_e32 v15, v14
	s_addc_u32 s0, s37, s1
	;;#ASMSTART
	v_pk_mul_f32 v[12:13], v[12:13], v[14:15]
	;;#ASMEND
	;;#ASMSTART
	v_pk_mul_f32 v[10:11], v[10:11], v[14:15]
	;;#ASMEND
	;; [unrolled: 3-line block ×4, first 2 shown]
	v_cvt_f32_u32_sdwa v15, v2 dst_sel:DWORD dst_unused:UNUSED_PAD src0_sel:WORD_1
	v_cvt_f32_u32_sdwa v14, v2 dst_sel:DWORD dst_unused:UNUSED_PAD src0_sel:WORD_0
	v_cvt_f32_u32_sdwa v17, v3 dst_sel:DWORD dst_unused:UNUSED_PAD src0_sel:WORD_1
	v_cvt_f32_u32_sdwa v16, v3 dst_sel:DWORD dst_unused:UNUSED_PAD src0_sel:WORD_0
	;; [unrolled: 2-line block ×4, first 2 shown]
	;;#ASMSTART
	v_pk_mul_f32 v[4:5], v[12:13], v[14:15]
	;;#ASMEND
	s_and_b32 s21, s0, 0xffff
	s_mov_b32 s0, 0x7060302
	;;#ASMSTART
	v_pk_mul_f32 v[10:11], v[10:11], v[16:17]
	;;#ASMEND
	;;#ASMSTART
	v_pk_mul_f32 v[8:9], v[8:9], v[2:3]
	;;#ASMEND
	;;#ASMSTART
	v_pk_mul_f32 v[6:7], v[6:7], v[18:19]
	;;#ASMEND
	v_perm_b32 v2, v5, v4, s0
	v_perm_b32 v3, v11, v10, s0
	;; [unrolled: 1-line block ×4, first 2 shown]
	buffer_store_dwordx4 v[2:5], v1, s[20:23], 0 offen
	;;#ASMSTART
	s_nop 0
	;;#ASMEND
	s_endpgm
	.section	.rodata,"a",@progbits
	.p2align	6, 0x0
	.amdhsa_kernel _ZN5aiter35fused_qk_rmsnorm_group_quant_kernelItN4opus5fp4_tELi128ELi8ELi4ELb1ELb0ELb0ELb0ELb0ELb0EEEvPT0_PvPT_S7_S7_PKS6_S9_S9_S9_S9_ffiiiiiiiiiiiii
		.amdhsa_group_segment_fixed_size 16
		.amdhsa_private_segment_fixed_size 0
		.amdhsa_kernarg_size 400
		.amdhsa_user_sgpr_count 6
		.amdhsa_user_sgpr_private_segment_buffer 1
		.amdhsa_user_sgpr_dispatch_ptr 0
		.amdhsa_user_sgpr_queue_ptr 0
		.amdhsa_user_sgpr_kernarg_segment_ptr 1
		.amdhsa_user_sgpr_dispatch_id 0
		.amdhsa_user_sgpr_flat_scratch_init 0
		.amdhsa_user_sgpr_kernarg_preload_length 0
		.amdhsa_user_sgpr_kernarg_preload_offset 0
		.amdhsa_user_sgpr_private_segment_size 0
		.amdhsa_uses_dynamic_stack 0
		.amdhsa_system_sgpr_private_segment_wavefront_offset 0
		.amdhsa_system_sgpr_workgroup_id_x 1
		.amdhsa_system_sgpr_workgroup_id_y 1
		.amdhsa_system_sgpr_workgroup_id_z 0
		.amdhsa_system_sgpr_workgroup_info 0
		.amdhsa_system_vgpr_workitem_id 0
		.amdhsa_next_free_vgpr 27
		.amdhsa_next_free_sgpr 44
		.amdhsa_accum_offset 28
		.amdhsa_reserve_vcc 1
		.amdhsa_reserve_flat_scratch 0
		.amdhsa_float_round_mode_32 0
		.amdhsa_float_round_mode_16_64 0
		.amdhsa_float_denorm_mode_32 3
		.amdhsa_float_denorm_mode_16_64 3
		.amdhsa_dx10_clamp 1
		.amdhsa_ieee_mode 1
		.amdhsa_fp16_overflow 0
		.amdhsa_tg_split 0
		.amdhsa_exception_fp_ieee_invalid_op 0
		.amdhsa_exception_fp_denorm_src 0
		.amdhsa_exception_fp_ieee_div_zero 0
		.amdhsa_exception_fp_ieee_overflow 0
		.amdhsa_exception_fp_ieee_underflow 0
		.amdhsa_exception_fp_ieee_inexact 0
		.amdhsa_exception_int_div_zero 0
	.end_amdhsa_kernel
	.section	.text._ZN5aiter35fused_qk_rmsnorm_group_quant_kernelItN4opus5fp4_tELi128ELi8ELi4ELb1ELb0ELb0ELb0ELb0ELb0EEEvPT0_PvPT_S7_S7_PKS6_S9_S9_S9_S9_ffiiiiiiiiiiiii,"axG",@progbits,_ZN5aiter35fused_qk_rmsnorm_group_quant_kernelItN4opus5fp4_tELi128ELi8ELi4ELb1ELb0ELb0ELb0ELb0ELb0EEEvPT0_PvPT_S7_S7_PKS6_S9_S9_S9_S9_ffiiiiiiiiiiiii,comdat
.Lfunc_end440:
	.size	_ZN5aiter35fused_qk_rmsnorm_group_quant_kernelItN4opus5fp4_tELi128ELi8ELi4ELb1ELb0ELb0ELb0ELb0ELb0EEEvPT0_PvPT_S7_S7_PKS6_S9_S9_S9_S9_ffiiiiiiiiiiiii, .Lfunc_end440-_ZN5aiter35fused_qk_rmsnorm_group_quant_kernelItN4opus5fp4_tELi128ELi8ELi4ELb1ELb0ELb0ELb0ELb0ELb0EEEvPT0_PvPT_S7_S7_PKS6_S9_S9_S9_S9_ffiiiiiiiiiiiii
                                        ; -- End function
	.section	.AMDGPU.csdata,"",@progbits
; Kernel info:
; codeLenInByte = 2700
; NumSgprs: 48
; NumVgprs: 27
; NumAgprs: 0
; TotalNumVgprs: 27
; ScratchSize: 0
; MemoryBound: 0
; FloatMode: 240
; IeeeMode: 1
; LDSByteSize: 16 bytes/workgroup (compile time only)
; SGPRBlocks: 5
; VGPRBlocks: 3
; NumSGPRsForWavesPerEU: 48
; NumVGPRsForWavesPerEU: 27
; AccumOffset: 28
; Occupancy: 8
; WaveLimiterHint : 0
; COMPUTE_PGM_RSRC2:SCRATCH_EN: 0
; COMPUTE_PGM_RSRC2:USER_SGPR: 6
; COMPUTE_PGM_RSRC2:TRAP_HANDLER: 0
; COMPUTE_PGM_RSRC2:TGID_X_EN: 1
; COMPUTE_PGM_RSRC2:TGID_Y_EN: 1
; COMPUTE_PGM_RSRC2:TGID_Z_EN: 0
; COMPUTE_PGM_RSRC2:TIDIG_COMP_CNT: 0
; COMPUTE_PGM_RSRC3_GFX90A:ACCUM_OFFSET: 6
; COMPUTE_PGM_RSRC3_GFX90A:TG_SPLIT: 0
	.section	.text._ZN5aiter35fused_qk_rmsnorm_group_quant_kernelIDF16_DB8_Li128ELi8ELi4ELb0ELb1ELb1ELb0ELb0ELb0EEEvPT0_PvPT_S6_S6_PKS5_S8_S8_S8_S8_ffiiiiiiiiiiiii,"axG",@progbits,_ZN5aiter35fused_qk_rmsnorm_group_quant_kernelIDF16_DB8_Li128ELi8ELi4ELb0ELb1ELb1ELb0ELb0ELb0EEEvPT0_PvPT_S6_S6_PKS5_S8_S8_S8_S8_ffiiiiiiiiiiiii,comdat
	.protected	_ZN5aiter35fused_qk_rmsnorm_group_quant_kernelIDF16_DB8_Li128ELi8ELi4ELb0ELb1ELb1ELb0ELb0ELb0EEEvPT0_PvPT_S6_S6_PKS5_S8_S8_S8_S8_ffiiiiiiiiiiiii ; -- Begin function _ZN5aiter35fused_qk_rmsnorm_group_quant_kernelIDF16_DB8_Li128ELi8ELi4ELb0ELb1ELb1ELb0ELb0ELb0EEEvPT0_PvPT_S6_S6_PKS5_S8_S8_S8_S8_ffiiiiiiiiiiiii
	.globl	_ZN5aiter35fused_qk_rmsnorm_group_quant_kernelIDF16_DB8_Li128ELi8ELi4ELb0ELb1ELb1ELb0ELb0ELb0EEEvPT0_PvPT_S6_S6_PKS5_S8_S8_S8_S8_ffiiiiiiiiiiiii
	.p2align	8
	.type	_ZN5aiter35fused_qk_rmsnorm_group_quant_kernelIDF16_DB8_Li128ELi8ELi4ELb0ELb1ELb1ELb0ELb0ELb0EEEvPT0_PvPT_S6_S6_PKS5_S8_S8_S8_S8_ffiiiiiiiiiiiii,@function
_ZN5aiter35fused_qk_rmsnorm_group_quant_kernelIDF16_DB8_Li128ELi8ELi4ELb0ELb1ELb1ELb0ELb0ELb0EEEvPT0_PvPT_S6_S6_PKS5_S8_S8_S8_S8_ffiiiiiiiiiiiii: ; @_ZN5aiter35fused_qk_rmsnorm_group_quant_kernelIDF16_DB8_Li128ELi8ELi4ELb0ELb1ELb1ELb0ELb0ELb0EEEvPT0_PvPT_S6_S6_PKS5_S8_S8_S8_S8_ffiiiiiiiiiiiii
; %bb.0:
	s_load_dwordx4 s[16:19], s[4:5], 0x50
	s_waitcnt lgkmcnt(0)
	s_cmp_ge_i32 s6, s18
	s_cbranch_scc1 .LBB441_12
; %bb.1:
	s_load_dwordx2 s[12:13], s[4:5], 0x48
	s_load_dwordx2 s[30:31], s[4:5], 0x30
	s_load_dwordx4 s[20:23], s[4:5], 0x60
	s_cmp_lg_u32 s7, 0
	s_cselect_b64 s[14:15], -1, 0
	s_cmp_eq_u32 s7, 0
	s_cselect_b64 vcc, -1, 0
	s_and_b64 s[0:1], vcc, exec
	s_waitcnt lgkmcnt(0)
	s_cselect_b32 s7, s19, s20
	s_add_i32 s0, s7, 1
	s_lshr_b32 s1, s0, 31
	s_add_i32 s0, s0, s1
	s_lshl_b32 s0, s0, 1
	v_lshlrev_b32_e32 v1, 3, v0
	s_and_b32 s10, s0, -4
	v_cmp_gt_i32_e64 s[2:3], s7, v1
	v_mov_b32_e32 v10, 0
	v_mov_b32_e32 v2, 0
	;; [unrolled: 1-line block ×9, first 2 shown]
	s_and_saveexec_b64 s[0:1], s[2:3]
	s_cbranch_execz .LBB441_3
; %bb.2:
	s_load_dwordx2 s[8:9], s[4:5], 0x28
	s_load_dwordx2 s[26:27], s[4:5], 0x40
	s_and_b64 s[24:25], vcc, exec
	s_cselect_b32 s11, s21, s22
	v_lshlrev_b32_e32 v11, 4, v0
	s_waitcnt lgkmcnt(0)
	s_cselect_b32 s18, s9, s31
	s_cselect_b32 s21, s8, s30
	s_mul_hi_i32 s9, s11, s6
	s_mul_i32 s8, s11, s6
	s_lshl_b64 s[8:9], s[8:9], 1
	s_add_u32 s24, s21, s8
	s_addc_u32 s18, s18, s9
	s_and_b64 s[8:9], vcc, exec
	s_mov_b32 s11, 0x20000
	s_cselect_b32 s8, s26, s12
	s_cselect_b32 s9, s27, s13
	s_and_b32 s25, s18, 0xffff
	s_mov_b32 s26, s10
	s_mov_b32 s27, s11
	s_and_b32 s9, s9, 0xffff
	buffer_load_dwordx4 v[6:9], v11, s[24:27], 0 offen glc slc
	buffer_load_dwordx4 v[2:5], v11, s[8:11], 0 offen
.LBB441_3:
	s_or_b64 exec, exec, s[0:1]
	v_mov_b32_e32 v11, 0
	v_mov_b32_e32 v16, 0
	;; [unrolled: 1-line block ×7, first 2 shown]
	s_and_saveexec_b64 s[0:1], s[2:3]
	s_cbranch_execz .LBB441_5
; %bb.4:
	s_waitcnt vmcnt(1)
	v_cvt_f32_f16_sdwa v11, v6 dst_sel:DWORD dst_unused:UNUSED_PAD src0_sel:WORD_1
	v_cvt_f32_f16_e32 v10, v6
	v_cvt_f32_f16_sdwa v17, v7 dst_sel:DWORD dst_unused:UNUSED_PAD src0_sel:WORD_1
	v_cvt_f32_f16_e32 v16, v7
	;; [unrolled: 2-line block ×4, first 2 shown]
.LBB441_5:
	s_or_b64 exec, exec, s[0:1]
	s_waitcnt vmcnt(1)
	v_mul_f32_e32 v6, v11, v11
	v_fmac_f32_e32 v6, v10, v10
	v_fmac_f32_e32 v6, v16, v16
	;; [unrolled: 1-line block ×7, first 2 shown]
	v_and_b32_e32 v8, 63, v0
	v_cmp_eq_u32_e64 s[0:1], 63, v8
	v_mov_b32_dpp v7, v6 quad_perm:[1,0,3,2] row_mask:0xf bank_mask:0xf
	v_add_f32_e32 v6, v6, v7
	s_nop 1
	v_mov_b32_dpp v7, v6 quad_perm:[2,3,0,1] row_mask:0xf bank_mask:0xf
	v_add_f32_e32 v6, v6, v7
	s_nop 1
	v_mov_b32_dpp v7, v6 row_half_mirror row_mask:0xf bank_mask:0xf
	v_add_f32_e32 v6, v6, v7
	s_nop 1
	v_mov_b32_dpp v7, v6 row_mirror row_mask:0xf bank_mask:0xf
	v_add_f32_e32 v6, v6, v7
	s_nop 1
	v_mov_b32_dpp v7, v6 row_bcast:15 row_mask:0xf bank_mask:0xf
	v_add_f32_e32 v6, v6, v7
	s_nop 1
	v_mov_b32_dpp v7, v6 row_bcast:31 row_mask:0xf bank_mask:0xf
	s_and_saveexec_b64 s[8:9], s[0:1]
	s_cbranch_execz .LBB441_7
; %bb.6:
	v_add_f32_e32 v6, v6, v7
	v_lshrrev_b32_e32 v7, 4, v0
	v_and_b32_e32 v7, 60, v7
	ds_write_b32 v7, v6 offset:8
.LBB441_7:
	s_or_b64 exec, exec, s[8:9]
	v_and_b32_e32 v6, 1, v0
	v_lshlrev_b32_e32 v18, 2, v6
	s_waitcnt lgkmcnt(0)
	s_barrier
	ds_read_b32 v6, v18 offset:8
	s_load_dwordx2 s[28:29], s[4:5], 0x18
	s_waitcnt lgkmcnt(0)
	v_mov_b32_dpp v7, v6 quad_perm:[1,0,3,2] row_mask:0xf bank_mask:0xf
	s_and_saveexec_b64 s[8:9], s[2:3]
	s_cbranch_execz .LBB441_9
; %bb.8:
	v_cvt_f32_u32_e32 v8, s7
	v_add_f32_e32 v6, v6, v7
	v_mov_b32_e32 v19, s17
	v_mov_b32_e32 v20, s16
	v_div_scale_f32 v7, s[24:25], v8, v8, v6
	v_rcp_f32_e32 v9, v7
	v_cndmask_b32_e32 v19, v19, v20, vcc
	s_mov_b32 s7, 0x800000
	v_fma_f32 v20, -v7, v9, 1.0
	v_fmac_f32_e32 v9, v20, v9
	v_div_scale_f32 v20, vcc, v6, v8, v6
	v_mul_f32_e32 v21, v20, v9
	v_fma_f32 v22, -v7, v21, v20
	v_fmac_f32_e32 v21, v22, v9
	v_fma_f32 v7, -v7, v21, v20
	v_div_fmas_f32 v7, v7, v9, v21
	v_div_fixup_f32 v6, v7, v8, v6
	v_add_f32_e32 v6, v19, v6
	v_mul_f32_e32 v7, 0x4b800000, v6
	v_cmp_gt_f32_e32 vcc, s7, v6
	v_cndmask_b32_e32 v6, v6, v7, vcc
	v_rsq_f32_e32 v6, v6
	s_waitcnt vmcnt(0)
	v_cvt_f32_f16_sdwa v21, v3 dst_sel:DWORD dst_unused:UNUSED_PAD src0_sel:WORD_1
	v_cvt_f32_f16_e32 v20, v3
	v_mul_f32_e32 v7, 0x45800000, v6
	v_cndmask_b32_e32 v6, v6, v7, vcc
	v_mov_b32_e32 v7, v6
	;;#ASMSTART
	v_pk_mul_f32 v[8:9], v[10:11], v[6:7]
	;;#ASMEND
	v_cvt_f32_f16_sdwa v11, v2 dst_sel:DWORD dst_unused:UNUSED_PAD src0_sel:WORD_1
	v_cvt_f32_f16_e32 v10, v2
	;;#ASMSTART
	v_pk_mul_f32 v[16:17], v[16:17], v[6:7]
	;;#ASMEND
	;;#ASMSTART
	v_pk_mul_f32 v[14:15], v[14:15], v[6:7]
	;;#ASMEND
	;; [unrolled: 3-line block ×3, first 2 shown]
	v_pk_add_f32 v[6:7], v[10:11], 1.0 op_sel_hi:[1,0]
	;;#ASMSTART
	v_pk_mul_f32 v[10:11], v[8:9], v[6:7]
	;;#ASMEND
	v_cvt_f32_f16_sdwa v9, v4 dst_sel:DWORD dst_unused:UNUSED_PAD src0_sel:WORD_1
	v_cvt_f32_f16_e32 v8, v4
	v_cvt_f32_f16_sdwa v13, v5 dst_sel:DWORD dst_unused:UNUSED_PAD src0_sel:WORD_1
	v_cvt_f32_f16_e32 v12, v5
	v_pk_add_f32 v[6:7], v[20:21], 1.0 op_sel_hi:[1,0]
	v_pk_add_f32 v[4:5], v[8:9], 1.0 op_sel_hi:[1,0]
	;;#ASMSTART
	v_pk_mul_f32 v[16:17], v[16:17], v[6:7]
	;;#ASMEND
	;;#ASMSTART
	v_pk_mul_f32 v[14:15], v[14:15], v[4:5]
	;;#ASMEND
	v_pk_add_f32 v[4:5], v[12:13], 1.0 op_sel_hi:[1,0]
	;;#ASMSTART
	v_pk_mul_f32 v[12:13], v[2:3], v[4:5]
	;;#ASMEND
.LBB441_9:
	s_or_b64 exec, exec, s[8:9]
	s_load_dword s7, s[4:5], 0x80
	s_mov_b64 s[8:9], -1
	s_and_b64 vcc, exec, s[14:15]
	s_cbranch_vccnz .LBB441_13
; %bb.10:
	s_andn2_b64 vcc, exec, s[8:9]
	s_cbranch_vccz .LBB441_16
.LBB441_11:
	s_cmp_lt_i32 s20, 1
	s_cbranch_scc0 .LBB441_25
.LBB441_12:
	s_endpgm
.LBB441_13:
	s_and_saveexec_b64 s[14:15], s[2:3]
	s_cbranch_execz .LBB441_15
; %bb.14:
	s_waitcnt lgkmcnt(0)
	s_mul_hi_i32 s9, s7, s6
	s_mul_i32 s8, s7, s6
	s_waitcnt vmcnt(0)
	v_cvt_f16_f32_e32 v2, v10
	v_cvt_f16_f32_e32 v3, v16
	v_cvt_f16_f32_e32 v4, v14
	v_cvt_f16_f32_e32 v5, v12
	v_cvt_f16_f32_e32 v6, v13
	v_cvt_f16_f32_e32 v7, v15
	v_cvt_f16_f32_e32 v8, v17
	v_cvt_f16_f32_e32 v9, v11
	s_lshl_b64 s[8:9], s[8:9], 1
	s_add_u32 s8, s28, s8
	s_addc_u32 s9, s29, s9
	s_and_b32 s9, s9, 0xffff
	s_mov_b32 s11, 0x20000
	v_pack_b32_f16 v5, v5, v6
	v_pack_b32_f16 v4, v4, v7
	;; [unrolled: 1-line block ×4, first 2 shown]
	v_lshlrev_b32_e32 v6, 4, v0
	buffer_store_dwordx4 v[2:5], v6, s[8:11], 0 offen
	;;#ASMSTART
	s_nop 0
	;;#ASMEND
.LBB441_15:
	s_or_b64 exec, exec, s[14:15]
	s_cbranch_execnz .LBB441_11
.LBB441_16:
	s_load_dwordx4 s[24:27], s[4:5], 0x70
	s_waitcnt vmcnt(0)
	v_mov_b32_e32 v2, 0
	s_and_saveexec_b64 s[14:15], s[2:3]
	s_cbranch_execz .LBB441_18
; %bb.17:
	s_load_dwordx2 s[8:9], s[4:5], 0x10
	s_waitcnt lgkmcnt(0)
	s_mul_hi_i32 s35, s27, s6
	s_mul_i32 s34, s27, s6
	v_cvt_f16_f32_e32 v2, v10
	v_cvt_f16_f32_e32 v3, v16
	;; [unrolled: 1-line block ×8, first 2 shown]
	s_lshl_b64 s[34:35], s[34:35], 1
	s_add_u32 s8, s8, s34
	s_addc_u32 s9, s9, s35
	s_mov_b32 s11, 0x20000
	s_and_b32 s9, s9, 0xffff
	v_pack_b32_f16 v5, v5, v6
	v_pack_b32_f16 v4, v4, v7
	;; [unrolled: 1-line block ×4, first 2 shown]
	v_lshlrev_b32_e32 v6, 4, v0
	buffer_store_dwordx4 v[2:5], v6, s[8:11], 0 offen
	;;#ASMSTART
	s_nop 0
	;;#ASMEND
	s_nop 0
	v_mov_b32_e32 v2, 0x2edbe6ff
.LBB441_18:
	s_or_b64 exec, exec, s[14:15]
	s_and_saveexec_b64 s[8:9], s[2:3]
	s_cbranch_execz .LBB441_20
; %bb.19:
	v_and_b32_e32 v3, 0x7fffffff, v10
	v_and_b32_e32 v4, 0x7fffffff, v11
	;;#ASMSTART
	v_max3_f32 v2, v2, v3, v4

	;;#ASMEND
	v_and_b32_e32 v3, 0x7fffffff, v16
	v_and_b32_e32 v4, 0x7fffffff, v17
	;;#ASMSTART
	v_max3_f32 v2, v2, v3, v4

	;;#ASMEND
	;; [unrolled: 6-line block ×4, first 2 shown]
.LBB441_20:
	s_or_b64 exec, exec, s[8:9]
	;;#ASMSTART
	v_max_f32 v3, v2, v2 quad_perm:[1,0,3,2] row_mask:0xf bank_mask:0xf bound_ctrl:1
	;;#ASMEND
	;;#ASMSTART
	v_max_f32 v2, v3, v3 quad_perm:[2,3,0,1] row_mask:0xf bank_mask:0xf bound_ctrl:1
	;;#ASMEND
	v_and_b32_e32 v3, 3, v0
	v_cmp_eq_u32_e32 vcc, 0, v3
	v_cmp_gt_i32_e64 s[8:9], s19, v1
	v_mul_f32_e32 v2, 0x3b124925, v2
	s_and_b64 s[10:11], vcc, s[8:9]
	s_and_saveexec_b64 s[8:9], s[10:11]
	s_cbranch_execz .LBB441_22
; %bb.21:
	s_load_dwordx2 s[10:11], s[4:5], 0x8
	s_waitcnt lgkmcnt(0)
	s_mul_hi_i32 s15, s25, s6
	s_mul_i32 s14, s25, s6
	v_lshrrev_b32_e32 v3, 2, v0
	s_lshl_b64 s[14:15], s[14:15], 2
	v_mad_i64_i32 v[4:5], s[26:27], s26, v3, 0
	s_add_u32 s10, s10, s14
	s_addc_u32 s11, s11, s15
	v_lshlrev_b64 v[4:5], 2, v[4:5]
	v_mov_b32_e32 v3, s11
	v_add_co_u32_e32 v4, vcc, s10, v4
	v_addc_co_u32_e32 v5, vcc, v3, v5, vcc
	global_store_dword v[4:5], v2, off
.LBB441_22:
	s_or_b64 exec, exec, s[8:9]
	;;#ASMSTART
	v_rcp_f32 v2, v2
	;;#ASMEND
	s_and_saveexec_b64 s[14:15], s[2:3]
	s_cbranch_execz .LBB441_24
; %bb.23:
	s_load_dwordx2 s[2:3], s[4:5], 0x0
	s_waitcnt lgkmcnt(0)
	s_mul_i32 s8, s24, s6
	s_mul_hi_i32 s9, s24, s6
	v_mov_b32_e32 v3, v2
	;;#ASMSTART
	v_pk_mul_f32 v[4:5], v[10:11], v[2:3]
	;;#ASMEND
	s_add_u32 s8, s2, s8
	s_addc_u32 s2, s3, s9
	s_add_i32 s3, s19, 3
	s_ashr_i32 s9, s3, 31
	v_mov_b32_e32 v8, 0xc3e00000
	v_mov_b32_e32 v9, 0x43e00000
	;;#ASMSTART
	v_med3_f32 v4, v4, v8, v9
v_med3_f32 v5, v5, v8, v9
v_cvt_pk_fp8_f32 v6, v4, v5
	;;#ASMEND
	s_lshr_b32 s9, s9, 30
	;;#ASMSTART
	v_pk_mul_f32 v[4:5], v[16:17], v[2:3]
	;;#ASMEND
	s_add_i32 s3, s3, s9
	s_and_b32 s9, s2, 0xffff
	;;#ASMSTART
	v_med3_f32 v4, v4, v8, v9
v_med3_f32 v5, v5, v8, v9
v_cvt_pk_fp8_f32 v7, v4, v5
	;;#ASMEND
	s_mov_b32 s2, 0x5040100
	v_perm_b32 v5, v7, v6, s2
	s_movk_i32 s2, 0xff
	v_and_b32_e32 v4, 0xffffff00, v7
	v_and_b32_sdwa v6, v5, s2 dst_sel:DWORD dst_unused:UNUSED_PAD src0_sel:WORD_1 src1_sel:DWORD
	s_mov_b32 s16, 0xffff
	v_or_b32_sdwa v4, v6, v4 dst_sel:WORD_1 dst_unused:UNUSED_PAD src0_sel:DWORD src1_sel:DWORD
	v_and_or_b32 v4, v5, s16, v4
	;;#ASMSTART
	v_pk_mul_f32 v[6:7], v[14:15], v[2:3]
	;;#ASMEND
	v_mov_b32_e32 v5, v6
	;;#ASMSTART
	v_med3_f32 v5, v5, v8, v9
v_med3_f32 v7, v7, v8, v9
v_cvt_pk_fp8_f32 v6, v5, v7
	;;#ASMEND
	;;#ASMSTART
	v_pk_mul_f32 v[2:3], v[12:13], v[2:3]
	;;#ASMEND
	;;#ASMSTART
	v_med3_f32 v2, v2, v8, v9
v_med3_f32 v3, v3, v8, v9
v_cvt_pk_fp8_f32 v5, v2, v3
	;;#ASMEND
	v_lshlrev_b32_e32 v2, 16, v5
	s_and_b32 s10, s3, -4
	s_mov_b32 s11, 0x20000
	v_and_or_b32 v5, v6, s16, v2
	buffer_store_dwordx2 v[4:5], v1, s[8:11], 0 offen
	;;#ASMSTART
	s_nop 0
	;;#ASMEND
.LBB441_24:
	s_or_b64 exec, exec, s[14:15]
	s_cmp_lt_i32 s20, 1
	s_cbranch_scc1 .LBB441_12
.LBB441_25:
	s_load_dword s2, s[4:5], 0x94
	s_waitcnt lgkmcnt(0)
	s_cmp_lg_u32 s2, 1
	s_cbranch_scc1 .LBB441_12
; %bb.26:
	s_lshl_b32 s2, s20, 1
	s_add_i32 s2, s2, 2
	v_cmp_gt_u32_e32 vcc, s20, v1
	s_and_b32 s14, s2, -4
	v_mov_b32_e32 v10, 0
	v_lshlrev_b32_e32 v1, 4, v0
	v_mov_b32_e32 v6, 0
	v_mov_b32_e32 v7, 0
	;; [unrolled: 1-line block ×4, first 2 shown]
	s_waitcnt vmcnt(0)
	v_mov_b32_e32 v2, 0
	v_mov_b32_e32 v3, 0
	;; [unrolled: 1-line block ×4, first 2 shown]
	s_barrier
	s_and_saveexec_b64 s[2:3], vcc
	s_cbranch_execz .LBB441_28
; %bb.27:
	s_mul_hi_i32 s5, s22, s6
	s_mul_i32 s4, s22, s6
	s_and_b32 s13, s13, 0xffff
	s_lshl_b64 s[4:5], s[4:5], 1
	s_add_u32 s8, s30, s4
	s_mov_b32 s15, 0x20000
	s_addc_u32 s4, s31, s5
	s_and_b32 s9, s4, 0xffff
	s_mov_b32 s10, s14
	s_mov_b32 s11, s15
	buffer_load_dwordx4 v[6:9], v1, s[8:11], 0 offen glc slc
	buffer_load_dwordx4 v[2:5], v1, s[12:15], 0 offen
.LBB441_28:
	s_or_b64 exec, exec, s[2:3]
	v_mov_b32_e32 v11, 0
	v_mov_b32_e32 v16, 0
	;; [unrolled: 1-line block ×7, first 2 shown]
	s_and_saveexec_b64 s[2:3], vcc
	s_cbranch_execz .LBB441_30
; %bb.29:
	s_waitcnt vmcnt(1)
	v_cvt_f32_f16_sdwa v11, v6 dst_sel:DWORD dst_unused:UNUSED_PAD src0_sel:WORD_1
	v_cvt_f32_f16_e32 v10, v6
	v_cvt_f32_f16_sdwa v17, v7 dst_sel:DWORD dst_unused:UNUSED_PAD src0_sel:WORD_1
	v_cvt_f32_f16_e32 v16, v7
	;; [unrolled: 2-line block ×4, first 2 shown]
.LBB441_30:
	s_or_b64 exec, exec, s[2:3]
	s_waitcnt vmcnt(1)
	v_mul_f32_e32 v6, v11, v11
	v_fmac_f32_e32 v6, v10, v10
	v_fmac_f32_e32 v6, v16, v16
	;; [unrolled: 1-line block ×7, first 2 shown]
	s_nop 1
	v_mov_b32_dpp v7, v6 quad_perm:[1,0,3,2] row_mask:0xf bank_mask:0xf
	v_add_f32_e32 v6, v6, v7
	s_nop 1
	v_mov_b32_dpp v7, v6 quad_perm:[2,3,0,1] row_mask:0xf bank_mask:0xf
	v_add_f32_e32 v6, v6, v7
	s_nop 1
	v_mov_b32_dpp v7, v6 row_half_mirror row_mask:0xf bank_mask:0xf
	v_add_f32_e32 v6, v6, v7
	s_nop 1
	v_mov_b32_dpp v7, v6 row_mirror row_mask:0xf bank_mask:0xf
	v_add_f32_e32 v6, v6, v7
	s_nop 1
	v_mov_b32_dpp v7, v6 row_bcast:15 row_mask:0xf bank_mask:0xf
	v_add_f32_e32 v6, v6, v7
	s_nop 1
	v_mov_b32_dpp v7, v6 row_bcast:31 row_mask:0xf bank_mask:0xf
	s_and_saveexec_b64 s[2:3], s[0:1]
	s_cbranch_execz .LBB441_32
; %bb.31:
	v_lshrrev_b32_e32 v0, 4, v0
	v_add_f32_e32 v6, v6, v7
	v_and_b32_e32 v0, 60, v0
	ds_write_b32 v0, v6
.LBB441_32:
	s_or_b64 exec, exec, s[2:3]
	s_waitcnt lgkmcnt(0)
	s_barrier
	ds_read_b32 v0, v18
	s_waitcnt lgkmcnt(0)
	s_nop 0
	v_mov_b32_dpp v6, v0 quad_perm:[1,0,3,2] row_mask:0xf bank_mask:0xf
	s_and_saveexec_b64 s[0:1], vcc
	s_cbranch_execz .LBB441_12
; %bb.33:
	v_cvt_f32_u32_e32 v7, s20
	v_add_f32_e32 v0, v0, v6
	s_mov_b32 s15, 0x20000
	v_div_scale_f32 v6, s[0:1], v7, v7, v0
	v_rcp_f32_e32 v8, v6
	v_div_scale_f32 v9, vcc, v0, v7, v0
	s_mov_b32 s0, 0x800000
	v_fma_f32 v18, -v6, v8, 1.0
	v_fmac_f32_e32 v8, v18, v8
	v_mul_f32_e32 v18, v9, v8
	v_fma_f32 v19, -v6, v18, v9
	v_fmac_f32_e32 v18, v19, v8
	v_fma_f32 v6, -v6, v18, v9
	v_div_fmas_f32 v6, v6, v8, v18
	v_div_fixup_f32 v0, v6, v7, v0
	v_add_f32_e32 v0, s17, v0
	v_mul_f32_e32 v6, 0x4b800000, v0
	v_cmp_gt_f32_e32 vcc, s0, v0
	v_cndmask_b32_e32 v0, v0, v6, vcc
	v_rsq_f32_e32 v0, v0
	s_waitcnt vmcnt(0)
	v_cvt_f32_f16_sdwa v19, v3 dst_sel:DWORD dst_unused:UNUSED_PAD src0_sel:WORD_1
	v_cvt_f32_f16_e32 v18, v3
	s_mul_hi_i32 s1, s7, s6
	v_mul_f32_e32 v6, 0x45800000, v0
	v_cndmask_b32_e32 v6, v0, v6, vcc
	v_mov_b32_e32 v7, v6
	;;#ASMSTART
	v_pk_mul_f32 v[8:9], v[10:11], v[6:7]
	;;#ASMEND
	;;#ASMSTART
	v_pk_mul_f32 v[10:11], v[16:17], v[6:7]
	;;#ASMEND
	v_cvt_f32_f16_sdwa v17, v2 dst_sel:DWORD dst_unused:UNUSED_PAD src0_sel:WORD_1
	v_cvt_f32_f16_e32 v16, v2
	;;#ASMSTART
	v_pk_mul_f32 v[14:15], v[14:15], v[6:7]
	;;#ASMEND
	;;#ASMSTART
	v_pk_mul_f32 v[2:3], v[12:13], v[6:7]
	;;#ASMEND
	v_cvt_f32_f16_sdwa v13, v4 dst_sel:DWORD dst_unused:UNUSED_PAD src0_sel:WORD_1
	v_cvt_f32_f16_e32 v12, v4
	v_pk_add_f32 v[6:7], v[16:17], 1.0 op_sel_hi:[1,0]
	v_cvt_f32_f16_sdwa v17, v5 dst_sel:DWORD dst_unused:UNUSED_PAD src0_sel:WORD_1
	v_cvt_f32_f16_e32 v16, v5
	;;#ASMSTART
	v_pk_mul_f32 v[6:7], v[8:9], v[6:7]
	;;#ASMEND
	v_pk_add_f32 v[8:9], v[18:19], 1.0 op_sel_hi:[1,0]
	;;#ASMSTART
	v_pk_mul_f32 v[4:5], v[10:11], v[8:9]
	;;#ASMEND
	v_pk_add_f32 v[8:9], v[12:13], 1.0 op_sel_hi:[1,0]
	;; [unrolled: 4-line block ×3, first 2 shown]
	;;#ASMSTART
	v_pk_mul_f32 v[2:3], v[2:3], v[10:11]
	;;#ASMEND
	s_mul_i32 s0, s7, s6
	v_cvt_f16_f32_e32 v0, v6
	v_cvt_f16_f32_e32 v6, v7
	;; [unrolled: 1-line block ×8, first 2 shown]
	s_lshl_b64 s[0:1], s[0:1], 1
	s_add_u32 s12, s28, s0
	s_addc_u32 s0, s29, s1
	s_and_b32 s13, s0, 0xffff
	v_pack_b32_f16 v2, v0, v6
	v_pack_b32_f16 v3, v4, v5
	;; [unrolled: 1-line block ×4, first 2 shown]
	buffer_store_dwordx4 v[2:5], v1, s[12:15], 0 offen
	;;#ASMSTART
	s_nop 0
	;;#ASMEND
	s_endpgm
	.section	.rodata,"a",@progbits
	.p2align	6, 0x0
	.amdhsa_kernel _ZN5aiter35fused_qk_rmsnorm_group_quant_kernelIDF16_DB8_Li128ELi8ELi4ELb0ELb1ELb1ELb0ELb0ELb0EEEvPT0_PvPT_S6_S6_PKS5_S8_S8_S8_S8_ffiiiiiiiiiiiii
		.amdhsa_group_segment_fixed_size 16
		.amdhsa_private_segment_fixed_size 0
		.amdhsa_kernarg_size 400
		.amdhsa_user_sgpr_count 6
		.amdhsa_user_sgpr_private_segment_buffer 1
		.amdhsa_user_sgpr_dispatch_ptr 0
		.amdhsa_user_sgpr_queue_ptr 0
		.amdhsa_user_sgpr_kernarg_segment_ptr 1
		.amdhsa_user_sgpr_dispatch_id 0
		.amdhsa_user_sgpr_flat_scratch_init 0
		.amdhsa_user_sgpr_kernarg_preload_length 0
		.amdhsa_user_sgpr_kernarg_preload_offset 0
		.amdhsa_user_sgpr_private_segment_size 0
		.amdhsa_uses_dynamic_stack 0
		.amdhsa_system_sgpr_private_segment_wavefront_offset 0
		.amdhsa_system_sgpr_workgroup_id_x 1
		.amdhsa_system_sgpr_workgroup_id_y 1
		.amdhsa_system_sgpr_workgroup_id_z 0
		.amdhsa_system_sgpr_workgroup_info 0
		.amdhsa_system_vgpr_workitem_id 0
		.amdhsa_next_free_vgpr 23
		.amdhsa_next_free_sgpr 36
		.amdhsa_accum_offset 24
		.amdhsa_reserve_vcc 1
		.amdhsa_reserve_flat_scratch 0
		.amdhsa_float_round_mode_32 0
		.amdhsa_float_round_mode_16_64 0
		.amdhsa_float_denorm_mode_32 3
		.amdhsa_float_denorm_mode_16_64 3
		.amdhsa_dx10_clamp 1
		.amdhsa_ieee_mode 1
		.amdhsa_fp16_overflow 0
		.amdhsa_tg_split 0
		.amdhsa_exception_fp_ieee_invalid_op 0
		.amdhsa_exception_fp_denorm_src 0
		.amdhsa_exception_fp_ieee_div_zero 0
		.amdhsa_exception_fp_ieee_overflow 0
		.amdhsa_exception_fp_ieee_underflow 0
		.amdhsa_exception_fp_ieee_inexact 0
		.amdhsa_exception_int_div_zero 0
	.end_amdhsa_kernel
	.section	.text._ZN5aiter35fused_qk_rmsnorm_group_quant_kernelIDF16_DB8_Li128ELi8ELi4ELb0ELb1ELb1ELb0ELb0ELb0EEEvPT0_PvPT_S6_S6_PKS5_S8_S8_S8_S8_ffiiiiiiiiiiiii,"axG",@progbits,_ZN5aiter35fused_qk_rmsnorm_group_quant_kernelIDF16_DB8_Li128ELi8ELi4ELb0ELb1ELb1ELb0ELb0ELb0EEEvPT0_PvPT_S6_S6_PKS5_S8_S8_S8_S8_ffiiiiiiiiiiiii,comdat
.Lfunc_end441:
	.size	_ZN5aiter35fused_qk_rmsnorm_group_quant_kernelIDF16_DB8_Li128ELi8ELi4ELb0ELb1ELb1ELb0ELb0ELb0EEEvPT0_PvPT_S6_S6_PKS5_S8_S8_S8_S8_ffiiiiiiiiiiiii, .Lfunc_end441-_ZN5aiter35fused_qk_rmsnorm_group_quant_kernelIDF16_DB8_Li128ELi8ELi4ELb0ELb1ELb1ELb0ELb0ELb0EEEvPT0_PvPT_S6_S6_PKS5_S8_S8_S8_S8_ffiiiiiiiiiiiii
                                        ; -- End function
	.section	.AMDGPU.csdata,"",@progbits
; Kernel info:
; codeLenInByte = 2652
; NumSgprs: 40
; NumVgprs: 23
; NumAgprs: 0
; TotalNumVgprs: 23
; ScratchSize: 0
; MemoryBound: 0
; FloatMode: 240
; IeeeMode: 1
; LDSByteSize: 16 bytes/workgroup (compile time only)
; SGPRBlocks: 4
; VGPRBlocks: 2
; NumSGPRsForWavesPerEU: 40
; NumVGPRsForWavesPerEU: 23
; AccumOffset: 24
; Occupancy: 8
; WaveLimiterHint : 0
; COMPUTE_PGM_RSRC2:SCRATCH_EN: 0
; COMPUTE_PGM_RSRC2:USER_SGPR: 6
; COMPUTE_PGM_RSRC2:TRAP_HANDLER: 0
; COMPUTE_PGM_RSRC2:TGID_X_EN: 1
; COMPUTE_PGM_RSRC2:TGID_Y_EN: 1
; COMPUTE_PGM_RSRC2:TGID_Z_EN: 0
; COMPUTE_PGM_RSRC2:TIDIG_COMP_CNT: 0
; COMPUTE_PGM_RSRC3_GFX90A:ACCUM_OFFSET: 5
; COMPUTE_PGM_RSRC3_GFX90A:TG_SPLIT: 0
	.section	.text._ZN5aiter35fused_qk_rmsnorm_group_quant_kernelItDB8_Li128ELi8ELi4ELb0ELb1ELb1ELb0ELb0ELb0EEEvPT0_PvPT_S6_S6_PKS5_S8_S8_S8_S8_ffiiiiiiiiiiiii,"axG",@progbits,_ZN5aiter35fused_qk_rmsnorm_group_quant_kernelItDB8_Li128ELi8ELi4ELb0ELb1ELb1ELb0ELb0ELb0EEEvPT0_PvPT_S6_S6_PKS5_S8_S8_S8_S8_ffiiiiiiiiiiiii,comdat
	.protected	_ZN5aiter35fused_qk_rmsnorm_group_quant_kernelItDB8_Li128ELi8ELi4ELb0ELb1ELb1ELb0ELb0ELb0EEEvPT0_PvPT_S6_S6_PKS5_S8_S8_S8_S8_ffiiiiiiiiiiiii ; -- Begin function _ZN5aiter35fused_qk_rmsnorm_group_quant_kernelItDB8_Li128ELi8ELi4ELb0ELb1ELb1ELb0ELb0ELb0EEEvPT0_PvPT_S6_S6_PKS5_S8_S8_S8_S8_ffiiiiiiiiiiiii
	.globl	_ZN5aiter35fused_qk_rmsnorm_group_quant_kernelItDB8_Li128ELi8ELi4ELb0ELb1ELb1ELb0ELb0ELb0EEEvPT0_PvPT_S6_S6_PKS5_S8_S8_S8_S8_ffiiiiiiiiiiiii
	.p2align	8
	.type	_ZN5aiter35fused_qk_rmsnorm_group_quant_kernelItDB8_Li128ELi8ELi4ELb0ELb1ELb1ELb0ELb0ELb0EEEvPT0_PvPT_S6_S6_PKS5_S8_S8_S8_S8_ffiiiiiiiiiiiii,@function
_ZN5aiter35fused_qk_rmsnorm_group_quant_kernelItDB8_Li128ELi8ELi4ELb0ELb1ELb1ELb0ELb0ELb0EEEvPT0_PvPT_S6_S6_PKS5_S8_S8_S8_S8_ffiiiiiiiiiiiii: ; @_ZN5aiter35fused_qk_rmsnorm_group_quant_kernelItDB8_Li128ELi8ELi4ELb0ELb1ELb1ELb0ELb0ELb0EEEvPT0_PvPT_S6_S6_PKS5_S8_S8_S8_S8_ffiiiiiiiiiiiii
; %bb.0:
	s_load_dwordx4 s[16:19], s[4:5], 0x50
	s_waitcnt lgkmcnt(0)
	s_cmp_ge_i32 s6, s18
	s_cbranch_scc1 .LBB442_10
; %bb.1:
	s_load_dwordx2 s[12:13], s[4:5], 0x48
	s_load_dwordx2 s[30:31], s[4:5], 0x30
	s_load_dwordx4 s[20:23], s[4:5], 0x60
	s_cmp_lg_u32 s7, 0
	s_cselect_b64 s[14:15], -1, 0
	s_cmp_eq_u32 s7, 0
	s_cselect_b64 vcc, -1, 0
	s_and_b64 s[0:1], vcc, exec
	s_waitcnt lgkmcnt(0)
	s_cselect_b32 s7, s19, s20
	s_add_i32 s0, s7, 1
	s_lshr_b32 s1, s0, 31
	s_add_i32 s0, s0, s1
	s_lshl_b32 s0, s0, 1
	v_lshlrev_b32_e32 v1, 3, v0
	s_and_b32 s10, s0, -4
	v_cmp_gt_i32_e64 s[2:3], s7, v1
	v_mov_b32_e32 v2, 0
	v_mov_b32_e32 v3, 0
	;; [unrolled: 1-line block ×8, first 2 shown]
	s_and_saveexec_b64 s[0:1], s[2:3]
	s_cbranch_execz .LBB442_3
; %bb.2:
	s_load_dwordx2 s[8:9], s[4:5], 0x28
	s_load_dwordx2 s[26:27], s[4:5], 0x40
	s_and_b64 s[24:25], vcc, exec
	s_cselect_b32 s11, s21, s22
	v_lshlrev_b32_e32 v10, 4, v0
	s_waitcnt lgkmcnt(0)
	s_cselect_b32 s18, s9, s31
	s_cselect_b32 s21, s8, s30
	s_mul_hi_i32 s9, s11, s6
	s_mul_i32 s8, s11, s6
	s_lshl_b64 s[8:9], s[8:9], 1
	s_add_u32 s24, s21, s8
	s_addc_u32 s18, s18, s9
	s_and_b64 s[8:9], vcc, exec
	s_mov_b32 s11, 0x20000
	s_cselect_b32 s8, s26, s12
	s_cselect_b32 s9, s27, s13
	s_and_b32 s25, s18, 0xffff
	s_mov_b32 s26, s10
	s_mov_b32 s27, s11
	s_and_b32 s9, s9, 0xffff
	buffer_load_dwordx4 v[6:9], v10, s[24:27], 0 offen glc slc
	buffer_load_dwordx4 v[2:5], v10, s[8:11], 0 offen
.LBB442_3:
	s_or_b64 exec, exec, s[0:1]
	s_waitcnt vmcnt(1)
	v_cvt_f32_u32_sdwa v13, v6 dst_sel:DWORD dst_unused:UNUSED_PAD src0_sel:WORD_1
	v_cvt_f32_u32_sdwa v12, v6 dst_sel:DWORD dst_unused:UNUSED_PAD src0_sel:WORD_0
	v_cvt_f32_u32_sdwa v6, v9 dst_sel:DWORD dst_unused:UNUSED_PAD src0_sel:WORD_1
	v_cvt_f32_u32_sdwa v9, v9 dst_sel:DWORD dst_unused:UNUSED_PAD src0_sel:WORD_0
	;; [unrolled: 2-line block ×4, first 2 shown]
	v_cndmask_b32_e64 v13, 0, v13, s[2:3]
	v_cndmask_b32_e64 v7, 0, v6, s[2:3]
	;; [unrolled: 1-line block ×5, first 2 shown]
	v_mul_f32_e32 v14, v13, v13
	v_cndmask_b32_e64 v10, 0, v10, s[2:3]
	v_fmac_f32_e32 v14, v12, v12
	v_cndmask_b32_e64 v11, 0, v11, s[2:3]
	v_fmac_f32_e32 v14, v10, v10
	;; [unrolled: 2-line block ×3, first 2 shown]
	v_fmac_f32_e32 v14, v8, v8
	v_fmac_f32_e32 v14, v9, v9
	v_fmac_f32_e32 v14, v6, v6
	v_fmac_f32_e32 v14, v7, v7
	v_and_b32_e32 v16, 63, v0
	v_cmp_eq_u32_e64 s[0:1], 63, v16
	v_mov_b32_dpp v15, v14 quad_perm:[1,0,3,2] row_mask:0xf bank_mask:0xf
	v_add_f32_e32 v14, v14, v15
	s_nop 1
	v_mov_b32_dpp v15, v14 quad_perm:[2,3,0,1] row_mask:0xf bank_mask:0xf
	v_add_f32_e32 v14, v14, v15
	s_nop 1
	v_mov_b32_dpp v15, v14 row_half_mirror row_mask:0xf bank_mask:0xf
	v_add_f32_e32 v14, v14, v15
	s_nop 1
	v_mov_b32_dpp v15, v14 row_mirror row_mask:0xf bank_mask:0xf
	v_add_f32_e32 v14, v14, v15
	s_nop 1
	v_mov_b32_dpp v15, v14 row_bcast:15 row_mask:0xf bank_mask:0xf
	v_add_f32_e32 v14, v14, v15
	s_nop 1
	v_mov_b32_dpp v15, v14 row_bcast:31 row_mask:0xf bank_mask:0xf
	s_and_saveexec_b64 s[8:9], s[0:1]
	s_cbranch_execz .LBB442_5
; %bb.4:
	v_add_f32_e32 v14, v14, v15
	v_lshrrev_b32_e32 v15, 4, v0
	v_and_b32_e32 v15, 60, v15
	ds_write_b32 v15, v14 offset:8
.LBB442_5:
	s_or_b64 exec, exec, s[8:9]
	v_and_b32_e32 v14, 1, v0
	v_lshlrev_b32_e32 v14, 2, v14
	s_waitcnt lgkmcnt(0)
	s_barrier
	ds_read_b32 v15, v14 offset:8
	s_load_dwordx2 s[28:29], s[4:5], 0x18
	s_waitcnt lgkmcnt(0)
	v_mov_b32_dpp v16, v15 quad_perm:[1,0,3,2] row_mask:0xf bank_mask:0xf
	s_and_saveexec_b64 s[8:9], s[2:3]
	s_cbranch_execz .LBB442_7
; %bb.6:
	v_cvt_f32_u32_e32 v17, s7
	v_add_f32_e32 v15, v15, v16
	v_mov_b32_e32 v19, s17
	v_mov_b32_e32 v20, s16
	v_div_scale_f32 v16, s[24:25], v17, v17, v15
	v_rcp_f32_e32 v18, v16
	v_cndmask_b32_e32 v19, v19, v20, vcc
	s_mov_b32 s7, 0x800000
	v_fma_f32 v20, -v16, v18, 1.0
	v_fmac_f32_e32 v18, v20, v18
	v_div_scale_f32 v20, vcc, v15, v17, v15
	v_mul_f32_e32 v21, v20, v18
	v_fma_f32 v22, -v16, v21, v20
	v_fmac_f32_e32 v21, v22, v18
	v_fma_f32 v16, -v16, v21, v20
	v_div_fmas_f32 v16, v16, v18, v21
	v_div_fixup_f32 v15, v16, v17, v15
	v_add_f32_e32 v15, v19, v15
	v_mul_f32_e32 v16, 0x4b800000, v15
	v_cmp_gt_f32_e32 vcc, s7, v15
	v_cndmask_b32_e32 v15, v15, v16, vcc
	v_rsq_f32_e32 v15, v15
	s_waitcnt vmcnt(0)
	v_cvt_f32_u32_sdwa v19, v2 dst_sel:DWORD dst_unused:UNUSED_PAD src0_sel:WORD_1
	v_cvt_f32_u32_sdwa v18, v2 dst_sel:DWORD dst_unused:UNUSED_PAD src0_sel:WORD_0
	v_cvt_f32_u32_sdwa v21, v3 dst_sel:DWORD dst_unused:UNUSED_PAD src0_sel:WORD_1
	v_mul_f32_e32 v16, 0x45800000, v15
	v_cndmask_b32_e32 v16, v15, v16, vcc
	v_mov_b32_e32 v17, v16
	;;#ASMSTART
	v_pk_mul_f32 v[12:13], v[12:13], v[16:17]
	;;#ASMEND
	;;#ASMSTART
	v_pk_mul_f32 v[10:11], v[10:11], v[16:17]
	;;#ASMEND
	;; [unrolled: 3-line block ×3, first 2 shown]
	v_cvt_f32_u32_sdwa v20, v3 dst_sel:DWORD dst_unused:UNUSED_PAD src0_sel:WORD_0
	;;#ASMSTART
	v_pk_mul_f32 v[2:3], v[6:7], v[16:17]
	;;#ASMEND
	v_cvt_f32_u32_sdwa v17, v4 dst_sel:DWORD dst_unused:UNUSED_PAD src0_sel:WORD_1
	v_cvt_f32_u32_sdwa v16, v4 dst_sel:DWORD dst_unused:UNUSED_PAD src0_sel:WORD_0
	v_pk_add_f32 v[6:7], v[18:19], 1.0 op_sel_hi:[1,0]
	v_cvt_f32_u32_sdwa v19, v5 dst_sel:DWORD dst_unused:UNUSED_PAD src0_sel:WORD_1
	v_cvt_f32_u32_sdwa v18, v5 dst_sel:DWORD dst_unused:UNUSED_PAD src0_sel:WORD_0
	;;#ASMSTART
	v_pk_mul_f32 v[12:13], v[12:13], v[6:7]
	;;#ASMEND
	v_pk_add_f32 v[6:7], v[20:21], 1.0 op_sel_hi:[1,0]
	v_pk_add_f32 v[4:5], v[16:17], 1.0 op_sel_hi:[1,0]
	;;#ASMSTART
	v_pk_mul_f32 v[10:11], v[10:11], v[6:7]
	;;#ASMEND
	;;#ASMSTART
	v_pk_mul_f32 v[8:9], v[8:9], v[4:5]
	;;#ASMEND
	v_pk_add_f32 v[4:5], v[18:19], 1.0 op_sel_hi:[1,0]
	;;#ASMSTART
	v_pk_mul_f32 v[6:7], v[2:3], v[4:5]
	;;#ASMEND
.LBB442_7:
	s_or_b64 exec, exec, s[8:9]
	s_load_dword s7, s[4:5], 0x80
	s_mov_b64 s[8:9], -1
	s_and_b64 vcc, exec, s[14:15]
	s_cbranch_vccnz .LBB442_11
; %bb.8:
	s_andn2_b64 vcc, exec, s[8:9]
	s_cbranch_vccz .LBB442_14
.LBB442_9:
	s_cmp_lt_i32 s20, 1
	s_cbranch_scc0 .LBB442_23
.LBB442_10:
	s_endpgm
.LBB442_11:
	s_and_saveexec_b64 s[14:15], s[2:3]
	s_cbranch_execz .LBB442_13
; %bb.12:
	s_waitcnt lgkmcnt(0)
	s_mul_hi_i32 s9, s7, s6
	s_mul_i32 s8, s7, s6
	s_lshl_b64 s[8:9], s[8:9], 1
	s_add_u32 s8, s28, s8
	s_addc_u32 s9, s29, s9
	s_mov_b32 s16, 0x7060302
	s_and_b32 s9, s9, 0xffff
	s_mov_b32 s11, 0x20000
	s_waitcnt vmcnt(0)
	v_perm_b32 v2, v13, v12, s16
	v_perm_b32 v3, v11, v10, s16
	;; [unrolled: 1-line block ×4, first 2 shown]
	v_lshlrev_b32_e32 v15, 4, v0
	buffer_store_dwordx4 v[2:5], v15, s[8:11], 0 offen
	;;#ASMSTART
	s_nop 0
	;;#ASMEND
.LBB442_13:
	s_or_b64 exec, exec, s[14:15]
	s_cbranch_execnz .LBB442_9
.LBB442_14:
	s_load_dwordx4 s[24:27], s[4:5], 0x70
	s_waitcnt vmcnt(0)
	v_mov_b32_e32 v2, 0
	s_and_saveexec_b64 s[14:15], s[2:3]
	s_cbranch_execz .LBB442_16
; %bb.15:
	s_load_dwordx2 s[8:9], s[4:5], 0x10
	s_waitcnt lgkmcnt(0)
	s_mul_hi_i32 s35, s27, s6
	s_mul_i32 s34, s27, s6
	s_lshl_b64 s[34:35], s[34:35], 1
	s_mov_b32 s16, 0x7060302
	s_add_u32 s8, s8, s34
	s_addc_u32 s9, s9, s35
	s_mov_b32 s11, 0x20000
	s_and_b32 s9, s9, 0xffff
	v_perm_b32 v2, v13, v12, s16
	v_perm_b32 v3, v11, v10, s16
	;; [unrolled: 1-line block ×4, first 2 shown]
	v_lshlrev_b32_e32 v15, 4, v0
	buffer_store_dwordx4 v[2:5], v15, s[8:11], 0 offen
	;;#ASMSTART
	s_nop 0
	;;#ASMEND
	s_nop 0
	v_mov_b32_e32 v2, 0x2edbe6ff
.LBB442_16:
	s_or_b64 exec, exec, s[14:15]
	s_and_saveexec_b64 s[8:9], s[2:3]
	s_cbranch_execz .LBB442_18
; %bb.17:
	v_and_b32_e32 v3, 0x7fffffff, v12
	v_and_b32_e32 v4, 0x7fffffff, v13
	;;#ASMSTART
	v_max3_f32 v2, v2, v3, v4

	;;#ASMEND
	v_and_b32_e32 v3, 0x7fffffff, v10
	v_and_b32_e32 v4, 0x7fffffff, v11
	;;#ASMSTART
	v_max3_f32 v2, v2, v3, v4

	;;#ASMEND
	;; [unrolled: 6-line block ×4, first 2 shown]
.LBB442_18:
	s_or_b64 exec, exec, s[8:9]
	;;#ASMSTART
	v_max_f32 v3, v2, v2 quad_perm:[1,0,3,2] row_mask:0xf bank_mask:0xf bound_ctrl:1
	;;#ASMEND
	;;#ASMSTART
	v_max_f32 v2, v3, v3 quad_perm:[2,3,0,1] row_mask:0xf bank_mask:0xf bound_ctrl:1
	;;#ASMEND
	v_and_b32_e32 v3, 3, v0
	v_cmp_eq_u32_e32 vcc, 0, v3
	v_cmp_gt_i32_e64 s[8:9], s19, v1
	v_mul_f32_e32 v2, 0x3b124925, v2
	s_and_b64 s[10:11], vcc, s[8:9]
	s_and_saveexec_b64 s[8:9], s[10:11]
	s_cbranch_execz .LBB442_20
; %bb.19:
	s_load_dwordx2 s[10:11], s[4:5], 0x8
	s_waitcnt lgkmcnt(0)
	s_mul_hi_i32 s15, s25, s6
	s_mul_i32 s14, s25, s6
	v_lshrrev_b32_e32 v3, 2, v0
	s_lshl_b64 s[14:15], s[14:15], 2
	v_mad_i64_i32 v[4:5], s[26:27], s26, v3, 0
	s_add_u32 s10, s10, s14
	s_addc_u32 s11, s11, s15
	v_lshlrev_b64 v[4:5], 2, v[4:5]
	v_mov_b32_e32 v3, s11
	v_add_co_u32_e32 v4, vcc, s10, v4
	v_addc_co_u32_e32 v5, vcc, v3, v5, vcc
	global_store_dword v[4:5], v2, off
.LBB442_20:
	s_or_b64 exec, exec, s[8:9]
	;;#ASMSTART
	v_rcp_f32 v2, v2
	;;#ASMEND
	s_and_saveexec_b64 s[14:15], s[2:3]
	s_cbranch_execz .LBB442_22
; %bb.21:
	s_load_dwordx2 s[2:3], s[4:5], 0x0
	s_waitcnt lgkmcnt(0)
	s_mul_i32 s8, s24, s6
	s_mul_hi_i32 s9, s24, s6
	v_mov_b32_e32 v3, v2
	;;#ASMSTART
	v_pk_mul_f32 v[4:5], v[12:13], v[2:3]
	;;#ASMEND
	s_add_u32 s8, s2, s8
	s_addc_u32 s2, s3, s9
	s_add_i32 s3, s19, 3
	s_ashr_i32 s9, s3, 31
	v_mov_b32_e32 v12, 0xc3e00000
	v_mov_b32_e32 v13, 0x43e00000
	;;#ASMSTART
	v_med3_f32 v4, v4, v12, v13
v_med3_f32 v5, v5, v12, v13
v_cvt_pk_fp8_f32 v15, v4, v5
	;;#ASMEND
	s_lshr_b32 s9, s9, 30
	;;#ASMSTART
	v_pk_mul_f32 v[4:5], v[10:11], v[2:3]
	;;#ASMEND
	s_add_i32 s3, s3, s9
	s_and_b32 s9, s2, 0xffff
	;;#ASMSTART
	v_med3_f32 v4, v4, v12, v13
v_med3_f32 v5, v5, v12, v13
v_cvt_pk_fp8_f32 v10, v4, v5
	;;#ASMEND
	s_mov_b32 s2, 0x5040100
	v_perm_b32 v5, v10, v15, s2
	s_movk_i32 s2, 0xff
	v_and_b32_e32 v4, 0xffffff00, v10
	v_and_b32_sdwa v10, v5, s2 dst_sel:DWORD dst_unused:UNUSED_PAD src0_sel:WORD_1 src1_sel:DWORD
	s_mov_b32 s16, 0xffff
	v_or_b32_sdwa v4, v10, v4 dst_sel:WORD_1 dst_unused:UNUSED_PAD src0_sel:DWORD src1_sel:DWORD
	v_and_or_b32 v4, v5, s16, v4
	;;#ASMSTART
	v_pk_mul_f32 v[8:9], v[8:9], v[2:3]
	;;#ASMEND
	v_mov_b32_e32 v5, v9
	;;#ASMSTART
	v_med3_f32 v8, v8, v12, v13
v_med3_f32 v5, v5, v12, v13
v_cvt_pk_fp8_f32 v9, v8, v5
	;;#ASMEND
	;;#ASMSTART
	v_pk_mul_f32 v[2:3], v[6:7], v[2:3]
	;;#ASMEND
	;;#ASMSTART
	v_med3_f32 v2, v2, v12, v13
v_med3_f32 v3, v3, v12, v13
v_cvt_pk_fp8_f32 v5, v2, v3
	;;#ASMEND
	v_lshlrev_b32_e32 v2, 16, v5
	s_and_b32 s10, s3, -4
	s_mov_b32 s11, 0x20000
	v_and_or_b32 v5, v9, s16, v2
	buffer_store_dwordx2 v[4:5], v1, s[8:11], 0 offen
	;;#ASMSTART
	s_nop 0
	;;#ASMEND
.LBB442_22:
	s_or_b64 exec, exec, s[14:15]
	s_cmp_lt_i32 s20, 1
	s_cbranch_scc1 .LBB442_10
.LBB442_23:
	s_load_dword s2, s[4:5], 0x94
	s_waitcnt lgkmcnt(0)
	s_cmp_lg_u32 s2, 1
	s_cbranch_scc1 .LBB442_10
; %bb.24:
	s_lshl_b32 s2, s20, 1
	s_add_i32 s2, s2, 2
	v_cmp_gt_u32_e32 vcc, s20, v1
	s_and_b32 s14, s2, -4
	v_mov_b32_e32 v6, 0
	v_lshlrev_b32_e32 v1, 4, v0
	v_mov_b32_e32 v7, 0
	v_mov_b32_e32 v8, 0
	;; [unrolled: 1-line block ×3, first 2 shown]
	s_waitcnt vmcnt(0)
	v_mov_b32_e32 v2, 0
	v_mov_b32_e32 v3, 0
	;; [unrolled: 1-line block ×4, first 2 shown]
	s_barrier
	s_and_saveexec_b64 s[2:3], vcc
	s_cbranch_execz .LBB442_26
; %bb.25:
	s_mul_hi_i32 s5, s22, s6
	s_mul_i32 s4, s22, s6
	s_and_b32 s13, s13, 0xffff
	s_lshl_b64 s[4:5], s[4:5], 1
	s_add_u32 s8, s30, s4
	s_mov_b32 s15, 0x20000
	s_addc_u32 s4, s31, s5
	s_and_b32 s9, s4, 0xffff
	s_mov_b32 s10, s14
	s_mov_b32 s11, s15
	buffer_load_dwordx4 v[6:9], v1, s[8:11], 0 offen glc slc
	buffer_load_dwordx4 v[2:5], v1, s[12:15], 0 offen
.LBB442_26:
	s_or_b64 exec, exec, s[2:3]
	s_waitcnt vmcnt(1)
	v_cvt_f32_u32_sdwa v13, v6 dst_sel:DWORD dst_unused:UNUSED_PAD src0_sel:WORD_1
	v_cvt_f32_u32_sdwa v12, v6 dst_sel:DWORD dst_unused:UNUSED_PAD src0_sel:WORD_0
	v_cvt_f32_u32_sdwa v6, v9 dst_sel:DWORD dst_unused:UNUSED_PAD src0_sel:WORD_1
	v_cvt_f32_u32_sdwa v9, v9 dst_sel:DWORD dst_unused:UNUSED_PAD src0_sel:WORD_0
	;; [unrolled: 2-line block ×4, first 2 shown]
	v_cndmask_b32_e32 v13, 0, v13, vcc
	v_cndmask_b32_e32 v7, 0, v6, vcc
	;; [unrolled: 1-line block ×5, first 2 shown]
	v_mul_f32_e32 v15, v13, v13
	v_cndmask_b32_e32 v10, 0, v10, vcc
	v_fmac_f32_e32 v15, v12, v12
	v_cndmask_b32_e32 v11, 0, v11, vcc
	v_fmac_f32_e32 v15, v10, v10
	;; [unrolled: 2-line block ×3, first 2 shown]
	v_fmac_f32_e32 v15, v8, v8
	v_fmac_f32_e32 v15, v9, v9
	;; [unrolled: 1-line block ×4, first 2 shown]
	s_nop 1
	v_mov_b32_dpp v16, v15 quad_perm:[1,0,3,2] row_mask:0xf bank_mask:0xf
	v_add_f32_e32 v15, v15, v16
	s_nop 1
	v_mov_b32_dpp v16, v15 quad_perm:[2,3,0,1] row_mask:0xf bank_mask:0xf
	v_add_f32_e32 v15, v15, v16
	s_nop 1
	v_mov_b32_dpp v16, v15 row_half_mirror row_mask:0xf bank_mask:0xf
	v_add_f32_e32 v15, v15, v16
	s_nop 1
	v_mov_b32_dpp v16, v15 row_mirror row_mask:0xf bank_mask:0xf
	v_add_f32_e32 v15, v15, v16
	s_nop 1
	v_mov_b32_dpp v16, v15 row_bcast:15 row_mask:0xf bank_mask:0xf
	v_add_f32_e32 v15, v15, v16
	s_nop 1
	v_mov_b32_dpp v16, v15 row_bcast:31 row_mask:0xf bank_mask:0xf
	s_and_saveexec_b64 s[2:3], s[0:1]
	s_cbranch_execz .LBB442_28
; %bb.27:
	v_lshrrev_b32_e32 v0, 4, v0
	v_add_f32_e32 v15, v15, v16
	v_and_b32_e32 v0, 60, v0
	ds_write_b32 v0, v15
.LBB442_28:
	s_or_b64 exec, exec, s[2:3]
	s_waitcnt lgkmcnt(0)
	s_barrier
	ds_read_b32 v0, v14
	s_waitcnt lgkmcnt(0)
	s_nop 0
	v_mov_b32_dpp v14, v0 quad_perm:[1,0,3,2] row_mask:0xf bank_mask:0xf
	s_and_saveexec_b64 s[0:1], vcc
	s_cbranch_execz .LBB442_10
; %bb.29:
	v_cvt_f32_u32_e32 v15, s20
	v_add_f32_e32 v0, v0, v14
	s_mov_b32 s15, 0x20000
	v_div_scale_f32 v14, s[0:1], v15, v15, v0
	v_rcp_f32_e32 v16, v14
	v_div_scale_f32 v17, vcc, v0, v15, v0
	s_mov_b32 s0, 0x800000
	v_fma_f32 v18, -v14, v16, 1.0
	v_fmac_f32_e32 v16, v18, v16
	v_mul_f32_e32 v18, v17, v16
	v_fma_f32 v19, -v14, v18, v17
	v_fmac_f32_e32 v18, v19, v16
	v_fma_f32 v14, -v14, v18, v17
	v_div_fmas_f32 v14, v14, v16, v18
	v_div_fixup_f32 v0, v14, v15, v0
	v_add_f32_e32 v0, s17, v0
	v_mul_f32_e32 v14, 0x4b800000, v0
	v_cmp_gt_f32_e32 vcc, s0, v0
	v_cndmask_b32_e32 v0, v0, v14, vcc
	v_rsq_f32_e32 v0, v0
	s_waitcnt vmcnt(0)
	v_cvt_f32_u32_sdwa v17, v2 dst_sel:DWORD dst_unused:UNUSED_PAD src0_sel:WORD_1
	v_cvt_f32_u32_sdwa v16, v2 dst_sel:DWORD dst_unused:UNUSED_PAD src0_sel:WORD_0
	v_cvt_f32_u32_sdwa v19, v3 dst_sel:DWORD dst_unused:UNUSED_PAD src0_sel:WORD_1
	v_mul_f32_e32 v14, 0x45800000, v0
	v_cndmask_b32_e32 v14, v0, v14, vcc
	v_mov_b32_e32 v15, v14
	;;#ASMSTART
	v_pk_mul_f32 v[12:13], v[12:13], v[14:15]
	;;#ASMEND
	;;#ASMSTART
	v_pk_mul_f32 v[10:11], v[10:11], v[14:15]
	;;#ASMEND
	;; [unrolled: 3-line block ×3, first 2 shown]
	v_cvt_f32_u32_sdwa v18, v3 dst_sel:DWORD dst_unused:UNUSED_PAD src0_sel:WORD_0
	;;#ASMSTART
	v_pk_mul_f32 v[2:3], v[6:7], v[14:15]
	;;#ASMEND
	v_cvt_f32_u32_sdwa v15, v4 dst_sel:DWORD dst_unused:UNUSED_PAD src0_sel:WORD_1
	v_cvt_f32_u32_sdwa v14, v4 dst_sel:DWORD dst_unused:UNUSED_PAD src0_sel:WORD_0
	v_pk_add_f32 v[6:7], v[16:17], 1.0 op_sel_hi:[1,0]
	v_cvt_f32_u32_sdwa v17, v5 dst_sel:DWORD dst_unused:UNUSED_PAD src0_sel:WORD_1
	v_cvt_f32_u32_sdwa v16, v5 dst_sel:DWORD dst_unused:UNUSED_PAD src0_sel:WORD_0
	s_mul_hi_i32 s1, s7, s6
	s_mul_i32 s0, s7, s6
	s_lshl_b64 s[0:1], s[0:1], 1
	s_add_u32 s12, s28, s0
	;;#ASMSTART
	v_pk_mul_f32 v[6:7], v[12:13], v[6:7]
	;;#ASMEND
	v_pk_add_f32 v[12:13], v[18:19], 1.0 op_sel_hi:[1,0]
	;;#ASMSTART
	v_pk_mul_f32 v[4:5], v[10:11], v[12:13]
	;;#ASMEND
	v_pk_add_f32 v[10:11], v[14:15], 1.0 op_sel_hi:[1,0]
	s_addc_u32 s0, s29, s1
	;;#ASMSTART
	v_pk_mul_f32 v[8:9], v[8:9], v[10:11]
	;;#ASMEND
	v_pk_add_f32 v[10:11], v[16:17], 1.0 op_sel_hi:[1,0]
	s_and_b32 s13, s0, 0xffff
	s_mov_b32 s0, 0x7060302
	;;#ASMSTART
	v_pk_mul_f32 v[10:11], v[2:3], v[10:11]
	;;#ASMEND
	v_perm_b32 v2, v7, v6, s0
	v_perm_b32 v3, v5, v4, s0
	;; [unrolled: 1-line block ×4, first 2 shown]
	buffer_store_dwordx4 v[2:5], v1, s[12:15], 0 offen
	;;#ASMSTART
	s_nop 0
	;;#ASMEND
	s_endpgm
	.section	.rodata,"a",@progbits
	.p2align	6, 0x0
	.amdhsa_kernel _ZN5aiter35fused_qk_rmsnorm_group_quant_kernelItDB8_Li128ELi8ELi4ELb0ELb1ELb1ELb0ELb0ELb0EEEvPT0_PvPT_S6_S6_PKS5_S8_S8_S8_S8_ffiiiiiiiiiiiii
		.amdhsa_group_segment_fixed_size 16
		.amdhsa_private_segment_fixed_size 0
		.amdhsa_kernarg_size 400
		.amdhsa_user_sgpr_count 6
		.amdhsa_user_sgpr_private_segment_buffer 1
		.amdhsa_user_sgpr_dispatch_ptr 0
		.amdhsa_user_sgpr_queue_ptr 0
		.amdhsa_user_sgpr_kernarg_segment_ptr 1
		.amdhsa_user_sgpr_dispatch_id 0
		.amdhsa_user_sgpr_flat_scratch_init 0
		.amdhsa_user_sgpr_kernarg_preload_length 0
		.amdhsa_user_sgpr_kernarg_preload_offset 0
		.amdhsa_user_sgpr_private_segment_size 0
		.amdhsa_uses_dynamic_stack 0
		.amdhsa_system_sgpr_private_segment_wavefront_offset 0
		.amdhsa_system_sgpr_workgroup_id_x 1
		.amdhsa_system_sgpr_workgroup_id_y 1
		.amdhsa_system_sgpr_workgroup_id_z 0
		.amdhsa_system_sgpr_workgroup_info 0
		.amdhsa_system_vgpr_workitem_id 0
		.amdhsa_next_free_vgpr 23
		.amdhsa_next_free_sgpr 36
		.amdhsa_accum_offset 24
		.amdhsa_reserve_vcc 1
		.amdhsa_reserve_flat_scratch 0
		.amdhsa_float_round_mode_32 0
		.amdhsa_float_round_mode_16_64 0
		.amdhsa_float_denorm_mode_32 3
		.amdhsa_float_denorm_mode_16_64 3
		.amdhsa_dx10_clamp 1
		.amdhsa_ieee_mode 1
		.amdhsa_fp16_overflow 0
		.amdhsa_tg_split 0
		.amdhsa_exception_fp_ieee_invalid_op 0
		.amdhsa_exception_fp_denorm_src 0
		.amdhsa_exception_fp_ieee_div_zero 0
		.amdhsa_exception_fp_ieee_overflow 0
		.amdhsa_exception_fp_ieee_underflow 0
		.amdhsa_exception_fp_ieee_inexact 0
		.amdhsa_exception_int_div_zero 0
	.end_amdhsa_kernel
	.section	.text._ZN5aiter35fused_qk_rmsnorm_group_quant_kernelItDB8_Li128ELi8ELi4ELb0ELb1ELb1ELb0ELb0ELb0EEEvPT0_PvPT_S6_S6_PKS5_S8_S8_S8_S8_ffiiiiiiiiiiiii,"axG",@progbits,_ZN5aiter35fused_qk_rmsnorm_group_quant_kernelItDB8_Li128ELi8ELi4ELb0ELb1ELb1ELb0ELb0ELb0EEEvPT0_PvPT_S6_S6_PKS5_S8_S8_S8_S8_ffiiiiiiiiiiiii,comdat
.Lfunc_end442:
	.size	_ZN5aiter35fused_qk_rmsnorm_group_quant_kernelItDB8_Li128ELi8ELi4ELb0ELb1ELb1ELb0ELb0ELb0EEEvPT0_PvPT_S6_S6_PKS5_S8_S8_S8_S8_ffiiiiiiiiiiiii, .Lfunc_end442-_ZN5aiter35fused_qk_rmsnorm_group_quant_kernelItDB8_Li128ELi8ELi4ELb0ELb1ELb1ELb0ELb0ELb0EEEvPT0_PvPT_S6_S6_PKS5_S8_S8_S8_S8_ffiiiiiiiiiiiii
                                        ; -- End function
	.section	.AMDGPU.csdata,"",@progbits
; Kernel info:
; codeLenInByte = 2644
; NumSgprs: 40
; NumVgprs: 23
; NumAgprs: 0
; TotalNumVgprs: 23
; ScratchSize: 0
; MemoryBound: 0
; FloatMode: 240
; IeeeMode: 1
; LDSByteSize: 16 bytes/workgroup (compile time only)
; SGPRBlocks: 4
; VGPRBlocks: 2
; NumSGPRsForWavesPerEU: 40
; NumVGPRsForWavesPerEU: 23
; AccumOffset: 24
; Occupancy: 8
; WaveLimiterHint : 0
; COMPUTE_PGM_RSRC2:SCRATCH_EN: 0
; COMPUTE_PGM_RSRC2:USER_SGPR: 6
; COMPUTE_PGM_RSRC2:TRAP_HANDLER: 0
; COMPUTE_PGM_RSRC2:TGID_X_EN: 1
; COMPUTE_PGM_RSRC2:TGID_Y_EN: 1
; COMPUTE_PGM_RSRC2:TGID_Z_EN: 0
; COMPUTE_PGM_RSRC2:TIDIG_COMP_CNT: 0
; COMPUTE_PGM_RSRC3_GFX90A:ACCUM_OFFSET: 5
; COMPUTE_PGM_RSRC3_GFX90A:TG_SPLIT: 0
	.section	.text._ZN5aiter35fused_qk_rmsnorm_group_quant_kernelIDF16_N4opus5fp4_tELi128ELi8ELi4ELb0ELb1ELb1ELb0ELb0ELb0EEEvPT0_PvPT_S7_S7_PKS6_S9_S9_S9_S9_ffiiiiiiiiiiiii,"axG",@progbits,_ZN5aiter35fused_qk_rmsnorm_group_quant_kernelIDF16_N4opus5fp4_tELi128ELi8ELi4ELb0ELb1ELb1ELb0ELb0ELb0EEEvPT0_PvPT_S7_S7_PKS6_S9_S9_S9_S9_ffiiiiiiiiiiiii,comdat
	.protected	_ZN5aiter35fused_qk_rmsnorm_group_quant_kernelIDF16_N4opus5fp4_tELi128ELi8ELi4ELb0ELb1ELb1ELb0ELb0ELb0EEEvPT0_PvPT_S7_S7_PKS6_S9_S9_S9_S9_ffiiiiiiiiiiiii ; -- Begin function _ZN5aiter35fused_qk_rmsnorm_group_quant_kernelIDF16_N4opus5fp4_tELi128ELi8ELi4ELb0ELb1ELb1ELb0ELb0ELb0EEEvPT0_PvPT_S7_S7_PKS6_S9_S9_S9_S9_ffiiiiiiiiiiiii
	.globl	_ZN5aiter35fused_qk_rmsnorm_group_quant_kernelIDF16_N4opus5fp4_tELi128ELi8ELi4ELb0ELb1ELb1ELb0ELb0ELb0EEEvPT0_PvPT_S7_S7_PKS6_S9_S9_S9_S9_ffiiiiiiiiiiiii
	.p2align	8
	.type	_ZN5aiter35fused_qk_rmsnorm_group_quant_kernelIDF16_N4opus5fp4_tELi128ELi8ELi4ELb0ELb1ELb1ELb0ELb0ELb0EEEvPT0_PvPT_S7_S7_PKS6_S9_S9_S9_S9_ffiiiiiiiiiiiii,@function
_ZN5aiter35fused_qk_rmsnorm_group_quant_kernelIDF16_N4opus5fp4_tELi128ELi8ELi4ELb0ELb1ELb1ELb0ELb0ELb0EEEvPT0_PvPT_S7_S7_PKS6_S9_S9_S9_S9_ffiiiiiiiiiiiii: ; @_ZN5aiter35fused_qk_rmsnorm_group_quant_kernelIDF16_N4opus5fp4_tELi128ELi8ELi4ELb0ELb1ELb1ELb0ELb0ELb0EEEvPT0_PvPT_S7_S7_PKS6_S9_S9_S9_S9_ffiiiiiiiiiiiii
; %bb.0:
	s_load_dwordx4 s[16:19], s[4:5], 0x50
	s_waitcnt lgkmcnt(0)
	s_cmp_ge_i32 s6, s18
	s_cbranch_scc1 .LBB443_12
; %bb.1:
	s_load_dwordx2 s[12:13], s[4:5], 0x48
	s_load_dwordx2 s[30:31], s[4:5], 0x30
	s_load_dwordx4 s[20:23], s[4:5], 0x60
	s_cmp_lg_u32 s7, 0
	s_cselect_b64 s[14:15], -1, 0
	s_cmp_eq_u32 s7, 0
	s_cselect_b64 vcc, -1, 0
	s_and_b64 s[0:1], vcc, exec
	s_waitcnt lgkmcnt(0)
	s_cselect_b32 s7, s19, s20
	s_add_i32 s0, s7, 1
	s_lshr_b32 s1, s0, 31
	s_add_i32 s0, s0, s1
	s_lshl_b32 s0, s0, 1
	v_lshlrev_b32_e32 v1, 3, v0
	s_and_b32 s10, s0, -4
	v_cmp_gt_i32_e64 s[2:3], s7, v1
	v_mov_b32_e32 v10, 0
	v_mov_b32_e32 v2, 0
	;; [unrolled: 1-line block ×9, first 2 shown]
	s_and_saveexec_b64 s[0:1], s[2:3]
	s_cbranch_execz .LBB443_3
; %bb.2:
	s_load_dwordx2 s[8:9], s[4:5], 0x28
	s_load_dwordx2 s[26:27], s[4:5], 0x40
	s_and_b64 s[24:25], vcc, exec
	s_cselect_b32 s11, s21, s22
	v_lshlrev_b32_e32 v11, 4, v0
	s_waitcnt lgkmcnt(0)
	s_cselect_b32 s18, s9, s31
	s_cselect_b32 s21, s8, s30
	s_mul_hi_i32 s9, s11, s6
	s_mul_i32 s8, s11, s6
	s_lshl_b64 s[8:9], s[8:9], 1
	s_add_u32 s24, s21, s8
	s_addc_u32 s18, s18, s9
	s_and_b64 s[8:9], vcc, exec
	s_mov_b32 s11, 0x20000
	s_cselect_b32 s8, s26, s12
	s_cselect_b32 s9, s27, s13
	s_and_b32 s25, s18, 0xffff
	s_mov_b32 s26, s10
	s_mov_b32 s27, s11
	s_and_b32 s9, s9, 0xffff
	buffer_load_dwordx4 v[6:9], v11, s[24:27], 0 offen glc slc
	buffer_load_dwordx4 v[2:5], v11, s[8:11], 0 offen
.LBB443_3:
	s_or_b64 exec, exec, s[0:1]
	v_mov_b32_e32 v11, 0
	v_mov_b32_e32 v16, 0
	v_mov_b32_e32 v17, 0
	v_mov_b32_e32 v14, 0
	v_mov_b32_e32 v15, 0
	v_mov_b32_e32 v12, 0
	v_mov_b32_e32 v13, 0
	s_and_saveexec_b64 s[0:1], s[2:3]
	s_cbranch_execz .LBB443_5
; %bb.4:
	s_waitcnt vmcnt(1)
	v_cvt_f32_f16_sdwa v11, v6 dst_sel:DWORD dst_unused:UNUSED_PAD src0_sel:WORD_1
	v_cvt_f32_f16_e32 v10, v6
	v_cvt_f32_f16_sdwa v17, v7 dst_sel:DWORD dst_unused:UNUSED_PAD src0_sel:WORD_1
	v_cvt_f32_f16_e32 v16, v7
	;; [unrolled: 2-line block ×4, first 2 shown]
.LBB443_5:
	s_or_b64 exec, exec, s[0:1]
	s_waitcnt vmcnt(1)
	v_mul_f32_e32 v6, v11, v11
	v_fmac_f32_e32 v6, v10, v10
	v_fmac_f32_e32 v6, v16, v16
	v_fmac_f32_e32 v6, v17, v17
	v_fmac_f32_e32 v6, v14, v14
	v_fmac_f32_e32 v6, v15, v15
	v_fmac_f32_e32 v6, v12, v12
	v_fmac_f32_e32 v6, v13, v13
	v_and_b32_e32 v8, 63, v0
	v_cmp_eq_u32_e64 s[0:1], 63, v8
	v_mov_b32_dpp v7, v6 quad_perm:[1,0,3,2] row_mask:0xf bank_mask:0xf
	v_add_f32_e32 v6, v6, v7
	s_nop 1
	v_mov_b32_dpp v7, v6 quad_perm:[2,3,0,1] row_mask:0xf bank_mask:0xf
	v_add_f32_e32 v6, v6, v7
	s_nop 1
	v_mov_b32_dpp v7, v6 row_half_mirror row_mask:0xf bank_mask:0xf
	v_add_f32_e32 v6, v6, v7
	s_nop 1
	v_mov_b32_dpp v7, v6 row_mirror row_mask:0xf bank_mask:0xf
	v_add_f32_e32 v6, v6, v7
	s_nop 1
	v_mov_b32_dpp v7, v6 row_bcast:15 row_mask:0xf bank_mask:0xf
	v_add_f32_e32 v6, v6, v7
	s_nop 1
	v_mov_b32_dpp v7, v6 row_bcast:31 row_mask:0xf bank_mask:0xf
	s_and_saveexec_b64 s[8:9], s[0:1]
	s_cbranch_execz .LBB443_7
; %bb.6:
	v_add_f32_e32 v6, v6, v7
	v_lshrrev_b32_e32 v7, 4, v0
	v_and_b32_e32 v7, 60, v7
	ds_write_b32 v7, v6 offset:8
.LBB443_7:
	s_or_b64 exec, exec, s[8:9]
	v_and_b32_e32 v6, 1, v0
	v_lshlrev_b32_e32 v18, 2, v6
	s_waitcnt lgkmcnt(0)
	s_barrier
	ds_read_b32 v6, v18 offset:8
	s_load_dwordx2 s[28:29], s[4:5], 0x18
	s_waitcnt lgkmcnt(0)
	v_mov_b32_dpp v7, v6 quad_perm:[1,0,3,2] row_mask:0xf bank_mask:0xf
	s_and_saveexec_b64 s[8:9], s[2:3]
	s_cbranch_execz .LBB443_9
; %bb.8:
	v_cvt_f32_u32_e32 v8, s7
	v_add_f32_e32 v6, v6, v7
	v_mov_b32_e32 v19, s17
	v_mov_b32_e32 v20, s16
	v_div_scale_f32 v7, s[24:25], v8, v8, v6
	v_rcp_f32_e32 v9, v7
	v_cndmask_b32_e32 v19, v19, v20, vcc
	s_mov_b32 s7, 0x800000
	v_fma_f32 v20, -v7, v9, 1.0
	v_fmac_f32_e32 v9, v20, v9
	v_div_scale_f32 v20, vcc, v6, v8, v6
	v_mul_f32_e32 v21, v20, v9
	v_fma_f32 v22, -v7, v21, v20
	v_fmac_f32_e32 v21, v22, v9
	v_fma_f32 v7, -v7, v21, v20
	v_div_fmas_f32 v7, v7, v9, v21
	v_div_fixup_f32 v6, v7, v8, v6
	v_add_f32_e32 v6, v19, v6
	v_mul_f32_e32 v7, 0x4b800000, v6
	v_cmp_gt_f32_e32 vcc, s7, v6
	v_cndmask_b32_e32 v6, v6, v7, vcc
	v_rsq_f32_e32 v6, v6
	s_waitcnt vmcnt(0)
	v_cvt_f32_f16_sdwa v21, v3 dst_sel:DWORD dst_unused:UNUSED_PAD src0_sel:WORD_1
	v_cvt_f32_f16_e32 v20, v3
	v_mul_f32_e32 v7, 0x45800000, v6
	v_cndmask_b32_e32 v6, v6, v7, vcc
	v_mov_b32_e32 v7, v6
	;;#ASMSTART
	v_pk_mul_f32 v[8:9], v[10:11], v[6:7]
	;;#ASMEND
	v_cvt_f32_f16_sdwa v11, v2 dst_sel:DWORD dst_unused:UNUSED_PAD src0_sel:WORD_1
	v_cvt_f32_f16_e32 v10, v2
	;;#ASMSTART
	v_pk_mul_f32 v[16:17], v[16:17], v[6:7]
	;;#ASMEND
	;;#ASMSTART
	v_pk_mul_f32 v[14:15], v[14:15], v[6:7]
	;;#ASMEND
	;; [unrolled: 3-line block ×3, first 2 shown]
	v_pk_add_f32 v[6:7], v[10:11], 1.0 op_sel_hi:[1,0]
	;;#ASMSTART
	v_pk_mul_f32 v[10:11], v[8:9], v[6:7]
	;;#ASMEND
	v_cvt_f32_f16_sdwa v9, v4 dst_sel:DWORD dst_unused:UNUSED_PAD src0_sel:WORD_1
	v_cvt_f32_f16_e32 v8, v4
	v_cvt_f32_f16_sdwa v13, v5 dst_sel:DWORD dst_unused:UNUSED_PAD src0_sel:WORD_1
	v_cvt_f32_f16_e32 v12, v5
	v_pk_add_f32 v[6:7], v[20:21], 1.0 op_sel_hi:[1,0]
	v_pk_add_f32 v[4:5], v[8:9], 1.0 op_sel_hi:[1,0]
	;;#ASMSTART
	v_pk_mul_f32 v[16:17], v[16:17], v[6:7]
	;;#ASMEND
	;;#ASMSTART
	v_pk_mul_f32 v[14:15], v[14:15], v[4:5]
	;;#ASMEND
	v_pk_add_f32 v[4:5], v[12:13], 1.0 op_sel_hi:[1,0]
	;;#ASMSTART
	v_pk_mul_f32 v[12:13], v[2:3], v[4:5]
	;;#ASMEND
.LBB443_9:
	s_or_b64 exec, exec, s[8:9]
	s_load_dword s7, s[4:5], 0x80
	s_mov_b64 s[8:9], -1
	s_and_b64 vcc, exec, s[14:15]
	s_cbranch_vccnz .LBB443_13
; %bb.10:
	s_andn2_b64 vcc, exec, s[8:9]
	s_cbranch_vccz .LBB443_16
.LBB443_11:
	s_cmp_lt_i32 s20, 1
	s_cbranch_scc0 .LBB443_25
.LBB443_12:
	s_endpgm
.LBB443_13:
	s_and_saveexec_b64 s[14:15], s[2:3]
	s_cbranch_execz .LBB443_15
; %bb.14:
	s_waitcnt lgkmcnt(0)
	s_mul_hi_i32 s9, s7, s6
	s_mul_i32 s8, s7, s6
	s_waitcnt vmcnt(0)
	v_cvt_f16_f32_e32 v2, v10
	v_cvt_f16_f32_e32 v3, v16
	;; [unrolled: 1-line block ×8, first 2 shown]
	s_lshl_b64 s[8:9], s[8:9], 1
	s_add_u32 s8, s28, s8
	s_addc_u32 s9, s29, s9
	s_and_b32 s9, s9, 0xffff
	s_mov_b32 s11, 0x20000
	v_pack_b32_f16 v5, v5, v6
	v_pack_b32_f16 v4, v4, v7
	v_pack_b32_f16 v3, v3, v8
	v_pack_b32_f16 v2, v2, v9
	v_lshlrev_b32_e32 v6, 4, v0
	buffer_store_dwordx4 v[2:5], v6, s[8:11], 0 offen
	;;#ASMSTART
	s_nop 0
	;;#ASMEND
.LBB443_15:
	s_or_b64 exec, exec, s[14:15]
	s_cbranch_execnz .LBB443_11
.LBB443_16:
	s_load_dwordx4 s[24:27], s[4:5], 0x70
	s_waitcnt vmcnt(0)
	v_mov_b32_e32 v2, 0
	s_and_saveexec_b64 s[14:15], s[2:3]
	s_cbranch_execz .LBB443_18
; %bb.17:
	s_load_dwordx2 s[8:9], s[4:5], 0x10
	s_waitcnt lgkmcnt(0)
	s_mul_hi_i32 s35, s27, s6
	s_mul_i32 s34, s27, s6
	v_cvt_f16_f32_e32 v2, v10
	v_cvt_f16_f32_e32 v3, v16
	;; [unrolled: 1-line block ×8, first 2 shown]
	s_lshl_b64 s[34:35], s[34:35], 1
	s_add_u32 s8, s8, s34
	s_addc_u32 s9, s9, s35
	s_mov_b32 s11, 0x20000
	s_and_b32 s9, s9, 0xffff
	v_pack_b32_f16 v5, v5, v6
	v_pack_b32_f16 v4, v4, v7
	v_pack_b32_f16 v3, v3, v8
	v_pack_b32_f16 v2, v2, v9
	v_lshlrev_b32_e32 v6, 4, v0
	buffer_store_dwordx4 v[2:5], v6, s[8:11], 0 offen
	;;#ASMSTART
	s_nop 0
	;;#ASMEND
	s_nop 0
	v_mov_b32_e32 v2, 0x2edbe6ff
.LBB443_18:
	s_or_b64 exec, exec, s[14:15]
	s_and_saveexec_b64 s[8:9], s[2:3]
	s_cbranch_execz .LBB443_20
; %bb.19:
	v_and_b32_e32 v3, 0x7fffffff, v10
	v_and_b32_e32 v4, 0x7fffffff, v11
	;;#ASMSTART
	v_max3_f32 v2, v2, v3, v4

	;;#ASMEND
	v_and_b32_e32 v3, 0x7fffffff, v16
	v_and_b32_e32 v4, 0x7fffffff, v17
	;;#ASMSTART
	v_max3_f32 v2, v2, v3, v4

	;;#ASMEND
	;; [unrolled: 6-line block ×4, first 2 shown]
.LBB443_20:
	s_or_b64 exec, exec, s[8:9]
	;;#ASMSTART
	v_max_f32 v3, v2, v2 quad_perm:[1,0,3,2] row_mask:0xf bank_mask:0xf bound_ctrl:1
	;;#ASMEND
	;;#ASMSTART
	v_max_f32 v2, v3, v3 quad_perm:[2,3,0,1] row_mask:0xf bank_mask:0xf bound_ctrl:1
	;;#ASMEND
	v_and_b32_e32 v3, 3, v0
	v_cmp_eq_u32_e32 vcc, 0, v3
	v_cmp_gt_i32_e64 s[8:9], s19, v1
	s_and_b64 s[10:11], vcc, s[8:9]
	s_and_saveexec_b64 s[8:9], s[10:11]
	s_cbranch_execz .LBB443_22
; %bb.21:
	s_load_dwordx2 s[10:11], s[4:5], 0x8
	v_mul_f32_e32 v2, 0x3e2aaaab, v2
	v_lshrrev_b32_e32 v3, 23, v2
	v_and_b32_e32 v4, 0x7f800000, v2
	v_and_b32_e32 v2, 0x7fffff, v2
	v_cmp_ne_u32_e32 vcc, 0, v2
	s_waitcnt lgkmcnt(0)
	s_mul_i32 s16, s25, s6
	s_mov_b32 s14, 0x7f800000
	v_addc_co_u32_e32 v2, vcc, 0, v3, vcc
	s_mul_hi_i32 s15, s25, s6
	s_add_u32 s10, s10, s16
	v_cmp_ne_u32_e32 vcc, s14, v4
	s_addc_u32 s11, s11, s15
	v_lshrrev_b32_e32 v5, 2, v0
	v_cndmask_b32_e32 v4, -1, v2, vcc
	v_pk_mov_b32 v[2:3], s[10:11], s[10:11] op_sel:[0,1]
	v_mad_i64_i32 v[2:3], s[10:11], s26, v5, v[2:3]
	global_store_byte v[2:3], v4, off
.LBB443_22:
	s_or_b64 exec, exec, s[8:9]
	s_and_saveexec_b64 s[8:9], s[2:3]
	s_cbranch_execz .LBB443_24
; %bb.23:
	s_load_dwordx2 s[2:3], s[4:5], 0x0
	s_waitcnt lgkmcnt(0)
	s_mul_i32 s11, s24, s6
	s_mul_hi_i32 s10, s24, s6
	v_lshlrev_b32_e32 v2, 2, v0
	s_mov_b32 s27, 0x20000
	s_add_u32 s24, s2, s11
	s_addc_u32 s2, s3, s10
	s_lshr_b32 s3, s19, 31
	s_add_i32 s3, s19, s3
	s_ashr_i32 s3, s3, 1
	s_add_i32 s3, s3, 3
	s_ashr_i32 s10, s3, 31
	s_lshr_b32 s10, s10, 30
	s_add_i32 s3, s3, s10
	s_and_b32 s26, s3, -4
	s_and_b32 s25, s2, 0xffff
	v_mov_b32_e32 v3, 0
	buffer_store_dword v3, v2, s[24:27], 0 offen
	;;#ASMSTART
	s_nop 0
	;;#ASMEND
.LBB443_24:
	s_or_b64 exec, exec, s[8:9]
	s_cmp_lt_i32 s20, 1
	s_cbranch_scc1 .LBB443_12
.LBB443_25:
	s_load_dword s2, s[4:5], 0x94
	s_waitcnt lgkmcnt(0)
	s_cmp_lg_u32 s2, 1
	s_cbranch_scc1 .LBB443_12
; %bb.26:
	s_lshl_b32 s2, s20, 1
	s_add_i32 s2, s2, 2
	v_cmp_gt_u32_e32 vcc, s20, v1
	s_and_b32 s14, s2, -4
	v_mov_b32_e32 v10, 0
	v_lshlrev_b32_e32 v1, 4, v0
	v_mov_b32_e32 v6, 0
	v_mov_b32_e32 v7, 0
	;; [unrolled: 1-line block ×4, first 2 shown]
	s_waitcnt vmcnt(0)
	v_mov_b32_e32 v2, 0
	v_mov_b32_e32 v3, 0
	;; [unrolled: 1-line block ×4, first 2 shown]
	s_barrier
	s_and_saveexec_b64 s[2:3], vcc
	s_cbranch_execz .LBB443_28
; %bb.27:
	s_mul_hi_i32 s5, s22, s6
	s_mul_i32 s4, s22, s6
	s_and_b32 s13, s13, 0xffff
	s_lshl_b64 s[4:5], s[4:5], 1
	s_add_u32 s8, s30, s4
	s_mov_b32 s15, 0x20000
	s_addc_u32 s4, s31, s5
	s_and_b32 s9, s4, 0xffff
	s_mov_b32 s10, s14
	s_mov_b32 s11, s15
	buffer_load_dwordx4 v[6:9], v1, s[8:11], 0 offen glc slc
	buffer_load_dwordx4 v[2:5], v1, s[12:15], 0 offen
.LBB443_28:
	s_or_b64 exec, exec, s[2:3]
	v_mov_b32_e32 v11, 0
	v_mov_b32_e32 v16, 0
	;; [unrolled: 1-line block ×7, first 2 shown]
	s_and_saveexec_b64 s[2:3], vcc
	s_cbranch_execz .LBB443_30
; %bb.29:
	s_waitcnt vmcnt(1)
	v_cvt_f32_f16_sdwa v11, v6 dst_sel:DWORD dst_unused:UNUSED_PAD src0_sel:WORD_1
	v_cvt_f32_f16_e32 v10, v6
	v_cvt_f32_f16_sdwa v17, v7 dst_sel:DWORD dst_unused:UNUSED_PAD src0_sel:WORD_1
	v_cvt_f32_f16_e32 v16, v7
	;; [unrolled: 2-line block ×4, first 2 shown]
.LBB443_30:
	s_or_b64 exec, exec, s[2:3]
	s_waitcnt vmcnt(1)
	v_mul_f32_e32 v6, v11, v11
	v_fmac_f32_e32 v6, v10, v10
	v_fmac_f32_e32 v6, v16, v16
	;; [unrolled: 1-line block ×7, first 2 shown]
	s_nop 1
	v_mov_b32_dpp v7, v6 quad_perm:[1,0,3,2] row_mask:0xf bank_mask:0xf
	v_add_f32_e32 v6, v6, v7
	s_nop 1
	v_mov_b32_dpp v7, v6 quad_perm:[2,3,0,1] row_mask:0xf bank_mask:0xf
	v_add_f32_e32 v6, v6, v7
	s_nop 1
	v_mov_b32_dpp v7, v6 row_half_mirror row_mask:0xf bank_mask:0xf
	v_add_f32_e32 v6, v6, v7
	s_nop 1
	v_mov_b32_dpp v7, v6 row_mirror row_mask:0xf bank_mask:0xf
	v_add_f32_e32 v6, v6, v7
	s_nop 1
	v_mov_b32_dpp v7, v6 row_bcast:15 row_mask:0xf bank_mask:0xf
	v_add_f32_e32 v6, v6, v7
	s_nop 1
	v_mov_b32_dpp v7, v6 row_bcast:31 row_mask:0xf bank_mask:0xf
	s_and_saveexec_b64 s[2:3], s[0:1]
	s_cbranch_execz .LBB443_32
; %bb.31:
	v_lshrrev_b32_e32 v0, 4, v0
	v_add_f32_e32 v6, v6, v7
	v_and_b32_e32 v0, 60, v0
	ds_write_b32 v0, v6
.LBB443_32:
	s_or_b64 exec, exec, s[2:3]
	s_waitcnt lgkmcnt(0)
	s_barrier
	ds_read_b32 v0, v18
	s_waitcnt lgkmcnt(0)
	s_nop 0
	v_mov_b32_dpp v6, v0 quad_perm:[1,0,3,2] row_mask:0xf bank_mask:0xf
	s_and_saveexec_b64 s[0:1], vcc
	s_cbranch_execz .LBB443_12
; %bb.33:
	v_cvt_f32_u32_e32 v7, s20
	v_add_f32_e32 v0, v0, v6
	s_mov_b32 s15, 0x20000
	v_div_scale_f32 v6, s[0:1], v7, v7, v0
	v_rcp_f32_e32 v8, v6
	v_div_scale_f32 v9, vcc, v0, v7, v0
	s_mov_b32 s0, 0x800000
	v_fma_f32 v18, -v6, v8, 1.0
	v_fmac_f32_e32 v8, v18, v8
	v_mul_f32_e32 v18, v9, v8
	v_fma_f32 v19, -v6, v18, v9
	v_fmac_f32_e32 v18, v19, v8
	v_fma_f32 v6, -v6, v18, v9
	v_div_fmas_f32 v6, v6, v8, v18
	v_div_fixup_f32 v0, v6, v7, v0
	v_add_f32_e32 v0, s17, v0
	v_mul_f32_e32 v6, 0x4b800000, v0
	v_cmp_gt_f32_e32 vcc, s0, v0
	v_cndmask_b32_e32 v0, v0, v6, vcc
	v_rsq_f32_e32 v0, v0
	s_waitcnt vmcnt(0)
	v_cvt_f32_f16_sdwa v19, v3 dst_sel:DWORD dst_unused:UNUSED_PAD src0_sel:WORD_1
	v_cvt_f32_f16_e32 v18, v3
	s_mul_hi_i32 s1, s7, s6
	v_mul_f32_e32 v6, 0x45800000, v0
	v_cndmask_b32_e32 v6, v0, v6, vcc
	v_mov_b32_e32 v7, v6
	;;#ASMSTART
	v_pk_mul_f32 v[8:9], v[10:11], v[6:7]
	;;#ASMEND
	;;#ASMSTART
	v_pk_mul_f32 v[10:11], v[16:17], v[6:7]
	;;#ASMEND
	v_cvt_f32_f16_sdwa v17, v2 dst_sel:DWORD dst_unused:UNUSED_PAD src0_sel:WORD_1
	v_cvt_f32_f16_e32 v16, v2
	;;#ASMSTART
	v_pk_mul_f32 v[14:15], v[14:15], v[6:7]
	;;#ASMEND
	;;#ASMSTART
	v_pk_mul_f32 v[2:3], v[12:13], v[6:7]
	;;#ASMEND
	v_cvt_f32_f16_sdwa v13, v4 dst_sel:DWORD dst_unused:UNUSED_PAD src0_sel:WORD_1
	v_cvt_f32_f16_e32 v12, v4
	v_pk_add_f32 v[6:7], v[16:17], 1.0 op_sel_hi:[1,0]
	v_cvt_f32_f16_sdwa v17, v5 dst_sel:DWORD dst_unused:UNUSED_PAD src0_sel:WORD_1
	v_cvt_f32_f16_e32 v16, v5
	;;#ASMSTART
	v_pk_mul_f32 v[6:7], v[8:9], v[6:7]
	;;#ASMEND
	v_pk_add_f32 v[8:9], v[18:19], 1.0 op_sel_hi:[1,0]
	;;#ASMSTART
	v_pk_mul_f32 v[4:5], v[10:11], v[8:9]
	;;#ASMEND
	v_pk_add_f32 v[8:9], v[12:13], 1.0 op_sel_hi:[1,0]
	;;#ASMSTART
	v_pk_mul_f32 v[8:9], v[14:15], v[8:9]
	;;#ASMEND
	v_pk_add_f32 v[10:11], v[16:17], 1.0 op_sel_hi:[1,0]
	;;#ASMSTART
	v_pk_mul_f32 v[2:3], v[2:3], v[10:11]
	;;#ASMEND
	s_mul_i32 s0, s7, s6
	v_cvt_f16_f32_e32 v0, v6
	v_cvt_f16_f32_e32 v6, v7
	;; [unrolled: 1-line block ×8, first 2 shown]
	s_lshl_b64 s[0:1], s[0:1], 1
	s_add_u32 s12, s28, s0
	s_addc_u32 s0, s29, s1
	s_and_b32 s13, s0, 0xffff
	v_pack_b32_f16 v2, v0, v6
	v_pack_b32_f16 v3, v4, v5
	;; [unrolled: 1-line block ×4, first 2 shown]
	buffer_store_dwordx4 v[2:5], v1, s[12:15], 0 offen
	;;#ASMSTART
	s_nop 0
	;;#ASMEND
	s_endpgm
	.section	.rodata,"a",@progbits
	.p2align	6, 0x0
	.amdhsa_kernel _ZN5aiter35fused_qk_rmsnorm_group_quant_kernelIDF16_N4opus5fp4_tELi128ELi8ELi4ELb0ELb1ELb1ELb0ELb0ELb0EEEvPT0_PvPT_S7_S7_PKS6_S9_S9_S9_S9_ffiiiiiiiiiiiii
		.amdhsa_group_segment_fixed_size 16
		.amdhsa_private_segment_fixed_size 0
		.amdhsa_kernarg_size 400
		.amdhsa_user_sgpr_count 6
		.amdhsa_user_sgpr_private_segment_buffer 1
		.amdhsa_user_sgpr_dispatch_ptr 0
		.amdhsa_user_sgpr_queue_ptr 0
		.amdhsa_user_sgpr_kernarg_segment_ptr 1
		.amdhsa_user_sgpr_dispatch_id 0
		.amdhsa_user_sgpr_flat_scratch_init 0
		.amdhsa_user_sgpr_kernarg_preload_length 0
		.amdhsa_user_sgpr_kernarg_preload_offset 0
		.amdhsa_user_sgpr_private_segment_size 0
		.amdhsa_uses_dynamic_stack 0
		.amdhsa_system_sgpr_private_segment_wavefront_offset 0
		.amdhsa_system_sgpr_workgroup_id_x 1
		.amdhsa_system_sgpr_workgroup_id_y 1
		.amdhsa_system_sgpr_workgroup_id_z 0
		.amdhsa_system_sgpr_workgroup_info 0
		.amdhsa_system_vgpr_workitem_id 0
		.amdhsa_next_free_vgpr 23
		.amdhsa_next_free_sgpr 36
		.amdhsa_accum_offset 24
		.amdhsa_reserve_vcc 1
		.amdhsa_reserve_flat_scratch 0
		.amdhsa_float_round_mode_32 0
		.amdhsa_float_round_mode_16_64 0
		.amdhsa_float_denorm_mode_32 3
		.amdhsa_float_denorm_mode_16_64 3
		.amdhsa_dx10_clamp 1
		.amdhsa_ieee_mode 1
		.amdhsa_fp16_overflow 0
		.amdhsa_tg_split 0
		.amdhsa_exception_fp_ieee_invalid_op 0
		.amdhsa_exception_fp_denorm_src 0
		.amdhsa_exception_fp_ieee_div_zero 0
		.amdhsa_exception_fp_ieee_overflow 0
		.amdhsa_exception_fp_ieee_underflow 0
		.amdhsa_exception_fp_ieee_inexact 0
		.amdhsa_exception_int_div_zero 0
	.end_amdhsa_kernel
	.section	.text._ZN5aiter35fused_qk_rmsnorm_group_quant_kernelIDF16_N4opus5fp4_tELi128ELi8ELi4ELb0ELb1ELb1ELb0ELb0ELb0EEEvPT0_PvPT_S7_S7_PKS6_S9_S9_S9_S9_ffiiiiiiiiiiiii,"axG",@progbits,_ZN5aiter35fused_qk_rmsnorm_group_quant_kernelIDF16_N4opus5fp4_tELi128ELi8ELi4ELb0ELb1ELb1ELb0ELb0ELb0EEEvPT0_PvPT_S7_S7_PKS6_S9_S9_S9_S9_ffiiiiiiiiiiiii,comdat
.Lfunc_end443:
	.size	_ZN5aiter35fused_qk_rmsnorm_group_quant_kernelIDF16_N4opus5fp4_tELi128ELi8ELi4ELb0ELb1ELb1ELb0ELb0ELb0EEEvPT0_PvPT_S7_S7_PKS6_S9_S9_S9_S9_ffiiiiiiiiiiiii, .Lfunc_end443-_ZN5aiter35fused_qk_rmsnorm_group_quant_kernelIDF16_N4opus5fp4_tELi128ELi8ELi4ELb0ELb1ELb1ELb0ELb0ELb0EEEvPT0_PvPT_S7_S7_PKS6_S9_S9_S9_S9_ffiiiiiiiiiiiii
                                        ; -- End function
	.section	.AMDGPU.csdata,"",@progbits
; Kernel info:
; codeLenInByte = 2468
; NumSgprs: 40
; NumVgprs: 23
; NumAgprs: 0
; TotalNumVgprs: 23
; ScratchSize: 0
; MemoryBound: 0
; FloatMode: 240
; IeeeMode: 1
; LDSByteSize: 16 bytes/workgroup (compile time only)
; SGPRBlocks: 4
; VGPRBlocks: 2
; NumSGPRsForWavesPerEU: 40
; NumVGPRsForWavesPerEU: 23
; AccumOffset: 24
; Occupancy: 8
; WaveLimiterHint : 0
; COMPUTE_PGM_RSRC2:SCRATCH_EN: 0
; COMPUTE_PGM_RSRC2:USER_SGPR: 6
; COMPUTE_PGM_RSRC2:TRAP_HANDLER: 0
; COMPUTE_PGM_RSRC2:TGID_X_EN: 1
; COMPUTE_PGM_RSRC2:TGID_Y_EN: 1
; COMPUTE_PGM_RSRC2:TGID_Z_EN: 0
; COMPUTE_PGM_RSRC2:TIDIG_COMP_CNT: 0
; COMPUTE_PGM_RSRC3_GFX90A:ACCUM_OFFSET: 5
; COMPUTE_PGM_RSRC3_GFX90A:TG_SPLIT: 0
	.section	.text._ZN5aiter35fused_qk_rmsnorm_group_quant_kernelItN4opus5fp4_tELi128ELi8ELi4ELb0ELb1ELb1ELb0ELb0ELb0EEEvPT0_PvPT_S7_S7_PKS6_S9_S9_S9_S9_ffiiiiiiiiiiiii,"axG",@progbits,_ZN5aiter35fused_qk_rmsnorm_group_quant_kernelItN4opus5fp4_tELi128ELi8ELi4ELb0ELb1ELb1ELb0ELb0ELb0EEEvPT0_PvPT_S7_S7_PKS6_S9_S9_S9_S9_ffiiiiiiiiiiiii,comdat
	.protected	_ZN5aiter35fused_qk_rmsnorm_group_quant_kernelItN4opus5fp4_tELi128ELi8ELi4ELb0ELb1ELb1ELb0ELb0ELb0EEEvPT0_PvPT_S7_S7_PKS6_S9_S9_S9_S9_ffiiiiiiiiiiiii ; -- Begin function _ZN5aiter35fused_qk_rmsnorm_group_quant_kernelItN4opus5fp4_tELi128ELi8ELi4ELb0ELb1ELb1ELb0ELb0ELb0EEEvPT0_PvPT_S7_S7_PKS6_S9_S9_S9_S9_ffiiiiiiiiiiiii
	.globl	_ZN5aiter35fused_qk_rmsnorm_group_quant_kernelItN4opus5fp4_tELi128ELi8ELi4ELb0ELb1ELb1ELb0ELb0ELb0EEEvPT0_PvPT_S7_S7_PKS6_S9_S9_S9_S9_ffiiiiiiiiiiiii
	.p2align	8
	.type	_ZN5aiter35fused_qk_rmsnorm_group_quant_kernelItN4opus5fp4_tELi128ELi8ELi4ELb0ELb1ELb1ELb0ELb0ELb0EEEvPT0_PvPT_S7_S7_PKS6_S9_S9_S9_S9_ffiiiiiiiiiiiii,@function
_ZN5aiter35fused_qk_rmsnorm_group_quant_kernelItN4opus5fp4_tELi128ELi8ELi4ELb0ELb1ELb1ELb0ELb0ELb0EEEvPT0_PvPT_S7_S7_PKS6_S9_S9_S9_S9_ffiiiiiiiiiiiii: ; @_ZN5aiter35fused_qk_rmsnorm_group_quant_kernelItN4opus5fp4_tELi128ELi8ELi4ELb0ELb1ELb1ELb0ELb0ELb0EEEvPT0_PvPT_S7_S7_PKS6_S9_S9_S9_S9_ffiiiiiiiiiiiii
; %bb.0:
	s_load_dwordx4 s[16:19], s[4:5], 0x50
	s_waitcnt lgkmcnt(0)
	s_cmp_ge_i32 s6, s18
	s_cbranch_scc1 .LBB444_10
; %bb.1:
	s_load_dwordx2 s[12:13], s[4:5], 0x48
	s_load_dwordx2 s[30:31], s[4:5], 0x30
	s_load_dwordx4 s[20:23], s[4:5], 0x60
	s_cmp_lg_u32 s7, 0
	s_cselect_b64 s[14:15], -1, 0
	s_cmp_eq_u32 s7, 0
	s_cselect_b64 vcc, -1, 0
	s_and_b64 s[0:1], vcc, exec
	s_waitcnt lgkmcnt(0)
	s_cselect_b32 s7, s19, s20
	s_add_i32 s0, s7, 1
	s_lshr_b32 s1, s0, 31
	s_add_i32 s0, s0, s1
	s_lshl_b32 s0, s0, 1
	v_lshlrev_b32_e32 v1, 3, v0
	s_and_b32 s10, s0, -4
	v_cmp_gt_i32_e64 s[2:3], s7, v1
	v_mov_b32_e32 v2, 0
	v_mov_b32_e32 v3, 0
	;; [unrolled: 1-line block ×8, first 2 shown]
	s_and_saveexec_b64 s[0:1], s[2:3]
	s_cbranch_execz .LBB444_3
; %bb.2:
	s_load_dwordx2 s[8:9], s[4:5], 0x28
	s_load_dwordx2 s[26:27], s[4:5], 0x40
	s_and_b64 s[24:25], vcc, exec
	s_cselect_b32 s11, s21, s22
	v_lshlrev_b32_e32 v10, 4, v0
	s_waitcnt lgkmcnt(0)
	s_cselect_b32 s18, s9, s31
	s_cselect_b32 s21, s8, s30
	s_mul_hi_i32 s9, s11, s6
	s_mul_i32 s8, s11, s6
	s_lshl_b64 s[8:9], s[8:9], 1
	s_add_u32 s24, s21, s8
	s_addc_u32 s18, s18, s9
	s_and_b64 s[8:9], vcc, exec
	s_mov_b32 s11, 0x20000
	s_cselect_b32 s8, s26, s12
	s_cselect_b32 s9, s27, s13
	s_and_b32 s25, s18, 0xffff
	s_mov_b32 s26, s10
	s_mov_b32 s27, s11
	s_and_b32 s9, s9, 0xffff
	buffer_load_dwordx4 v[6:9], v10, s[24:27], 0 offen glc slc
	buffer_load_dwordx4 v[2:5], v10, s[8:11], 0 offen
.LBB444_3:
	s_or_b64 exec, exec, s[0:1]
	s_waitcnt vmcnt(1)
	v_cvt_f32_u32_sdwa v11, v6 dst_sel:DWORD dst_unused:UNUSED_PAD src0_sel:WORD_1
	v_cvt_f32_u32_sdwa v10, v6 dst_sel:DWORD dst_unused:UNUSED_PAD src0_sel:WORD_0
	v_cvt_f32_u32_sdwa v6, v9 dst_sel:DWORD dst_unused:UNUSED_PAD src0_sel:WORD_1
	v_cvt_f32_u32_sdwa v9, v9 dst_sel:DWORD dst_unused:UNUSED_PAD src0_sel:WORD_0
	;; [unrolled: 2-line block ×4, first 2 shown]
	v_cndmask_b32_e64 v11, 0, v11, s[2:3]
	v_cndmask_b32_e64 v7, 0, v6, s[2:3]
	;; [unrolled: 1-line block ×5, first 2 shown]
	v_mul_f32_e32 v14, v11, v11
	v_cndmask_b32_e64 v12, 0, v12, s[2:3]
	v_fmac_f32_e32 v14, v10, v10
	v_cndmask_b32_e64 v13, 0, v13, s[2:3]
	v_fmac_f32_e32 v14, v12, v12
	;; [unrolled: 2-line block ×3, first 2 shown]
	v_fmac_f32_e32 v14, v8, v8
	v_fmac_f32_e32 v14, v9, v9
	;; [unrolled: 1-line block ×4, first 2 shown]
	v_and_b32_e32 v16, 63, v0
	v_cmp_eq_u32_e64 s[0:1], 63, v16
	v_mov_b32_dpp v15, v14 quad_perm:[1,0,3,2] row_mask:0xf bank_mask:0xf
	v_add_f32_e32 v14, v14, v15
	s_nop 1
	v_mov_b32_dpp v15, v14 quad_perm:[2,3,0,1] row_mask:0xf bank_mask:0xf
	v_add_f32_e32 v14, v14, v15
	s_nop 1
	v_mov_b32_dpp v15, v14 row_half_mirror row_mask:0xf bank_mask:0xf
	v_add_f32_e32 v14, v14, v15
	s_nop 1
	v_mov_b32_dpp v15, v14 row_mirror row_mask:0xf bank_mask:0xf
	v_add_f32_e32 v14, v14, v15
	s_nop 1
	v_mov_b32_dpp v15, v14 row_bcast:15 row_mask:0xf bank_mask:0xf
	v_add_f32_e32 v14, v14, v15
	s_nop 1
	v_mov_b32_dpp v15, v14 row_bcast:31 row_mask:0xf bank_mask:0xf
	s_and_saveexec_b64 s[8:9], s[0:1]
	s_cbranch_execz .LBB444_5
; %bb.4:
	v_add_f32_e32 v14, v14, v15
	v_lshrrev_b32_e32 v15, 4, v0
	v_and_b32_e32 v15, 60, v15
	ds_write_b32 v15, v14 offset:8
.LBB444_5:
	s_or_b64 exec, exec, s[8:9]
	v_and_b32_e32 v14, 1, v0
	v_lshlrev_b32_e32 v14, 2, v14
	s_waitcnt lgkmcnt(0)
	s_barrier
	ds_read_b32 v15, v14 offset:8
	s_load_dwordx2 s[28:29], s[4:5], 0x18
	s_waitcnt lgkmcnt(0)
	v_mov_b32_dpp v16, v15 quad_perm:[1,0,3,2] row_mask:0xf bank_mask:0xf
	s_and_saveexec_b64 s[8:9], s[2:3]
	s_cbranch_execz .LBB444_7
; %bb.6:
	v_cvt_f32_u32_e32 v17, s7
	v_add_f32_e32 v15, v15, v16
	v_mov_b32_e32 v19, s17
	v_mov_b32_e32 v20, s16
	v_div_scale_f32 v16, s[24:25], v17, v17, v15
	v_rcp_f32_e32 v18, v16
	v_cndmask_b32_e32 v19, v19, v20, vcc
	s_mov_b32 s7, 0x800000
	v_fma_f32 v20, -v16, v18, 1.0
	v_fmac_f32_e32 v18, v20, v18
	v_div_scale_f32 v20, vcc, v15, v17, v15
	v_mul_f32_e32 v21, v20, v18
	v_fma_f32 v22, -v16, v21, v20
	v_fmac_f32_e32 v21, v22, v18
	v_fma_f32 v16, -v16, v21, v20
	v_div_fmas_f32 v16, v16, v18, v21
	v_div_fixup_f32 v15, v16, v17, v15
	v_add_f32_e32 v15, v19, v15
	v_mul_f32_e32 v16, 0x4b800000, v15
	v_cmp_gt_f32_e32 vcc, s7, v15
	v_cndmask_b32_e32 v15, v15, v16, vcc
	v_rsq_f32_e32 v15, v15
	s_waitcnt vmcnt(0)
	v_cvt_f32_u32_sdwa v19, v2 dst_sel:DWORD dst_unused:UNUSED_PAD src0_sel:WORD_1
	v_cvt_f32_u32_sdwa v18, v2 dst_sel:DWORD dst_unused:UNUSED_PAD src0_sel:WORD_0
	v_cvt_f32_u32_sdwa v21, v3 dst_sel:DWORD dst_unused:UNUSED_PAD src0_sel:WORD_1
	v_mul_f32_e32 v16, 0x45800000, v15
	v_cndmask_b32_e32 v16, v15, v16, vcc
	v_mov_b32_e32 v17, v16
	;;#ASMSTART
	v_pk_mul_f32 v[10:11], v[10:11], v[16:17]
	;;#ASMEND
	;;#ASMSTART
	v_pk_mul_f32 v[12:13], v[12:13], v[16:17]
	;;#ASMEND
	;; [unrolled: 3-line block ×3, first 2 shown]
	v_cvt_f32_u32_sdwa v20, v3 dst_sel:DWORD dst_unused:UNUSED_PAD src0_sel:WORD_0
	;;#ASMSTART
	v_pk_mul_f32 v[2:3], v[6:7], v[16:17]
	;;#ASMEND
	v_cvt_f32_u32_sdwa v17, v4 dst_sel:DWORD dst_unused:UNUSED_PAD src0_sel:WORD_1
	v_cvt_f32_u32_sdwa v16, v4 dst_sel:DWORD dst_unused:UNUSED_PAD src0_sel:WORD_0
	v_pk_add_f32 v[6:7], v[18:19], 1.0 op_sel_hi:[1,0]
	v_cvt_f32_u32_sdwa v19, v5 dst_sel:DWORD dst_unused:UNUSED_PAD src0_sel:WORD_1
	v_cvt_f32_u32_sdwa v18, v5 dst_sel:DWORD dst_unused:UNUSED_PAD src0_sel:WORD_0
	;;#ASMSTART
	v_pk_mul_f32 v[10:11], v[10:11], v[6:7]
	;;#ASMEND
	v_pk_add_f32 v[6:7], v[20:21], 1.0 op_sel_hi:[1,0]
	v_pk_add_f32 v[4:5], v[16:17], 1.0 op_sel_hi:[1,0]
	;;#ASMSTART
	v_pk_mul_f32 v[12:13], v[12:13], v[6:7]
	;;#ASMEND
	;;#ASMSTART
	v_pk_mul_f32 v[8:9], v[8:9], v[4:5]
	;;#ASMEND
	v_pk_add_f32 v[4:5], v[18:19], 1.0 op_sel_hi:[1,0]
	;;#ASMSTART
	v_pk_mul_f32 v[6:7], v[2:3], v[4:5]
	;;#ASMEND
.LBB444_7:
	s_or_b64 exec, exec, s[8:9]
	s_load_dword s7, s[4:5], 0x80
	s_mov_b64 s[8:9], -1
	s_and_b64 vcc, exec, s[14:15]
	s_cbranch_vccnz .LBB444_11
; %bb.8:
	s_andn2_b64 vcc, exec, s[8:9]
	s_cbranch_vccz .LBB444_14
.LBB444_9:
	s_cmp_lt_i32 s20, 1
	s_cbranch_scc0 .LBB444_23
.LBB444_10:
	s_endpgm
.LBB444_11:
	s_and_saveexec_b64 s[14:15], s[2:3]
	s_cbranch_execz .LBB444_13
; %bb.12:
	s_waitcnt lgkmcnt(0)
	s_mul_hi_i32 s9, s7, s6
	s_mul_i32 s8, s7, s6
	s_lshl_b64 s[8:9], s[8:9], 1
	s_add_u32 s8, s28, s8
	s_addc_u32 s9, s29, s9
	s_mov_b32 s16, 0x7060302
	s_and_b32 s9, s9, 0xffff
	s_mov_b32 s11, 0x20000
	s_waitcnt vmcnt(0)
	v_perm_b32 v2, v11, v10, s16
	v_perm_b32 v3, v13, v12, s16
	;; [unrolled: 1-line block ×4, first 2 shown]
	v_lshlrev_b32_e32 v15, 4, v0
	buffer_store_dwordx4 v[2:5], v15, s[8:11], 0 offen
	;;#ASMSTART
	s_nop 0
	;;#ASMEND
.LBB444_13:
	s_or_b64 exec, exec, s[14:15]
	s_cbranch_execnz .LBB444_9
.LBB444_14:
	s_load_dwordx4 s[24:27], s[4:5], 0x70
	s_waitcnt vmcnt(0)
	v_mov_b32_e32 v2, 0
	s_and_saveexec_b64 s[14:15], s[2:3]
	s_cbranch_execz .LBB444_16
; %bb.15:
	s_load_dwordx2 s[8:9], s[4:5], 0x10
	s_waitcnt lgkmcnt(0)
	s_mul_hi_i32 s35, s27, s6
	s_mul_i32 s34, s27, s6
	s_lshl_b64 s[34:35], s[34:35], 1
	s_mov_b32 s16, 0x7060302
	s_add_u32 s8, s8, s34
	s_addc_u32 s9, s9, s35
	s_mov_b32 s11, 0x20000
	s_and_b32 s9, s9, 0xffff
	v_perm_b32 v2, v11, v10, s16
	v_perm_b32 v3, v13, v12, s16
	;; [unrolled: 1-line block ×4, first 2 shown]
	v_lshlrev_b32_e32 v15, 4, v0
	buffer_store_dwordx4 v[2:5], v15, s[8:11], 0 offen
	;;#ASMSTART
	s_nop 0
	;;#ASMEND
	s_nop 0
	v_mov_b32_e32 v2, 0x2edbe6ff
.LBB444_16:
	s_or_b64 exec, exec, s[14:15]
	s_and_saveexec_b64 s[8:9], s[2:3]
	s_cbranch_execz .LBB444_18
; %bb.17:
	v_and_b32_e32 v3, 0x7fffffff, v10
	v_and_b32_e32 v4, 0x7fffffff, v11
	;;#ASMSTART
	v_max3_f32 v2, v2, v3, v4

	;;#ASMEND
	v_and_b32_e32 v3, 0x7fffffff, v12
	v_and_b32_e32 v4, 0x7fffffff, v13
	;;#ASMSTART
	v_max3_f32 v2, v2, v3, v4

	;;#ASMEND
	;; [unrolled: 6-line block ×4, first 2 shown]
.LBB444_18:
	s_or_b64 exec, exec, s[8:9]
	;;#ASMSTART
	v_max_f32 v3, v2, v2 quad_perm:[1,0,3,2] row_mask:0xf bank_mask:0xf bound_ctrl:1
	;;#ASMEND
	;;#ASMSTART
	v_max_f32 v2, v3, v3 quad_perm:[2,3,0,1] row_mask:0xf bank_mask:0xf bound_ctrl:1
	;;#ASMEND
	v_and_b32_e32 v3, 3, v0
	v_cmp_eq_u32_e32 vcc, 0, v3
	v_cmp_gt_i32_e64 s[8:9], s19, v1
	s_and_b64 s[10:11], vcc, s[8:9]
	s_and_saveexec_b64 s[8:9], s[10:11]
	s_cbranch_execz .LBB444_20
; %bb.19:
	s_load_dwordx2 s[10:11], s[4:5], 0x8
	v_mul_f32_e32 v2, 0x3e2aaaab, v2
	v_lshrrev_b32_e32 v3, 23, v2
	v_and_b32_e32 v4, 0x7f800000, v2
	v_and_b32_e32 v2, 0x7fffff, v2
	v_cmp_ne_u32_e32 vcc, 0, v2
	s_waitcnt lgkmcnt(0)
	s_mul_i32 s16, s25, s6
	s_mov_b32 s14, 0x7f800000
	v_addc_co_u32_e32 v2, vcc, 0, v3, vcc
	s_mul_hi_i32 s15, s25, s6
	s_add_u32 s10, s10, s16
	v_cmp_ne_u32_e32 vcc, s14, v4
	s_addc_u32 s11, s11, s15
	v_lshrrev_b32_e32 v5, 2, v0
	v_cndmask_b32_e32 v4, -1, v2, vcc
	v_pk_mov_b32 v[2:3], s[10:11], s[10:11] op_sel:[0,1]
	v_mad_i64_i32 v[2:3], s[10:11], s26, v5, v[2:3]
	global_store_byte v[2:3], v4, off
.LBB444_20:
	s_or_b64 exec, exec, s[8:9]
	s_and_saveexec_b64 s[8:9], s[2:3]
	s_cbranch_execz .LBB444_22
; %bb.21:
	s_load_dwordx2 s[2:3], s[4:5], 0x0
	s_waitcnt lgkmcnt(0)
	s_mul_i32 s11, s24, s6
	s_mul_hi_i32 s10, s24, s6
	v_lshlrev_b32_e32 v2, 2, v0
	s_mov_b32 s27, 0x20000
	s_add_u32 s24, s2, s11
	s_addc_u32 s2, s3, s10
	s_lshr_b32 s3, s19, 31
	s_add_i32 s3, s19, s3
	s_ashr_i32 s3, s3, 1
	s_add_i32 s3, s3, 3
	s_ashr_i32 s10, s3, 31
	s_lshr_b32 s10, s10, 30
	s_add_i32 s3, s3, s10
	s_and_b32 s26, s3, -4
	s_and_b32 s25, s2, 0xffff
	v_mov_b32_e32 v3, 0
	buffer_store_dword v3, v2, s[24:27], 0 offen
	;;#ASMSTART
	s_nop 0
	;;#ASMEND
.LBB444_22:
	s_or_b64 exec, exec, s[8:9]
	s_cmp_lt_i32 s20, 1
	s_cbranch_scc1 .LBB444_10
.LBB444_23:
	s_load_dword s2, s[4:5], 0x94
	s_waitcnt lgkmcnt(0)
	s_cmp_lg_u32 s2, 1
	s_cbranch_scc1 .LBB444_10
; %bb.24:
	s_lshl_b32 s2, s20, 1
	s_add_i32 s2, s2, 2
	v_cmp_gt_u32_e32 vcc, s20, v1
	s_and_b32 s14, s2, -4
	v_mov_b32_e32 v6, 0
	v_lshlrev_b32_e32 v1, 4, v0
	v_mov_b32_e32 v7, 0
	v_mov_b32_e32 v8, 0
	;; [unrolled: 1-line block ×3, first 2 shown]
	s_waitcnt vmcnt(0)
	v_mov_b32_e32 v2, 0
	v_mov_b32_e32 v3, 0
	;; [unrolled: 1-line block ×4, first 2 shown]
	s_barrier
	s_and_saveexec_b64 s[2:3], vcc
	s_cbranch_execz .LBB444_26
; %bb.25:
	s_mul_hi_i32 s5, s22, s6
	s_mul_i32 s4, s22, s6
	s_and_b32 s13, s13, 0xffff
	s_lshl_b64 s[4:5], s[4:5], 1
	s_add_u32 s8, s30, s4
	s_mov_b32 s15, 0x20000
	s_addc_u32 s4, s31, s5
	s_and_b32 s9, s4, 0xffff
	s_mov_b32 s10, s14
	s_mov_b32 s11, s15
	buffer_load_dwordx4 v[6:9], v1, s[8:11], 0 offen glc slc
	buffer_load_dwordx4 v[2:5], v1, s[12:15], 0 offen
.LBB444_26:
	s_or_b64 exec, exec, s[2:3]
	s_waitcnt vmcnt(1)
	v_cvt_f32_u32_sdwa v13, v6 dst_sel:DWORD dst_unused:UNUSED_PAD src0_sel:WORD_1
	v_cvt_f32_u32_sdwa v12, v6 dst_sel:DWORD dst_unused:UNUSED_PAD src0_sel:WORD_0
	v_cvt_f32_u32_sdwa v6, v9 dst_sel:DWORD dst_unused:UNUSED_PAD src0_sel:WORD_1
	v_cvt_f32_u32_sdwa v9, v9 dst_sel:DWORD dst_unused:UNUSED_PAD src0_sel:WORD_0
	;; [unrolled: 2-line block ×4, first 2 shown]
	v_cndmask_b32_e32 v13, 0, v13, vcc
	v_cndmask_b32_e32 v7, 0, v6, vcc
	;; [unrolled: 1-line block ×5, first 2 shown]
	v_mul_f32_e32 v15, v13, v13
	v_cndmask_b32_e32 v10, 0, v10, vcc
	v_fmac_f32_e32 v15, v12, v12
	v_cndmask_b32_e32 v11, 0, v11, vcc
	v_fmac_f32_e32 v15, v10, v10
	;; [unrolled: 2-line block ×3, first 2 shown]
	v_fmac_f32_e32 v15, v8, v8
	v_fmac_f32_e32 v15, v9, v9
	;; [unrolled: 1-line block ×4, first 2 shown]
	s_nop 1
	v_mov_b32_dpp v16, v15 quad_perm:[1,0,3,2] row_mask:0xf bank_mask:0xf
	v_add_f32_e32 v15, v15, v16
	s_nop 1
	v_mov_b32_dpp v16, v15 quad_perm:[2,3,0,1] row_mask:0xf bank_mask:0xf
	v_add_f32_e32 v15, v15, v16
	s_nop 1
	v_mov_b32_dpp v16, v15 row_half_mirror row_mask:0xf bank_mask:0xf
	v_add_f32_e32 v15, v15, v16
	s_nop 1
	v_mov_b32_dpp v16, v15 row_mirror row_mask:0xf bank_mask:0xf
	v_add_f32_e32 v15, v15, v16
	s_nop 1
	v_mov_b32_dpp v16, v15 row_bcast:15 row_mask:0xf bank_mask:0xf
	v_add_f32_e32 v15, v15, v16
	s_nop 1
	v_mov_b32_dpp v16, v15 row_bcast:31 row_mask:0xf bank_mask:0xf
	s_and_saveexec_b64 s[2:3], s[0:1]
	s_cbranch_execz .LBB444_28
; %bb.27:
	v_lshrrev_b32_e32 v0, 4, v0
	v_add_f32_e32 v15, v15, v16
	v_and_b32_e32 v0, 60, v0
	ds_write_b32 v0, v15
.LBB444_28:
	s_or_b64 exec, exec, s[2:3]
	s_waitcnt lgkmcnt(0)
	s_barrier
	ds_read_b32 v0, v14
	s_waitcnt lgkmcnt(0)
	s_nop 0
	v_mov_b32_dpp v14, v0 quad_perm:[1,0,3,2] row_mask:0xf bank_mask:0xf
	s_and_saveexec_b64 s[0:1], vcc
	s_cbranch_execz .LBB444_10
; %bb.29:
	v_cvt_f32_u32_e32 v15, s20
	v_add_f32_e32 v0, v0, v14
	s_mov_b32 s15, 0x20000
	v_div_scale_f32 v14, s[0:1], v15, v15, v0
	v_rcp_f32_e32 v16, v14
	v_div_scale_f32 v17, vcc, v0, v15, v0
	s_mov_b32 s0, 0x800000
	v_fma_f32 v18, -v14, v16, 1.0
	v_fmac_f32_e32 v16, v18, v16
	v_mul_f32_e32 v18, v17, v16
	v_fma_f32 v19, -v14, v18, v17
	v_fmac_f32_e32 v18, v19, v16
	v_fma_f32 v14, -v14, v18, v17
	v_div_fmas_f32 v14, v14, v16, v18
	v_div_fixup_f32 v0, v14, v15, v0
	v_add_f32_e32 v0, s17, v0
	v_mul_f32_e32 v14, 0x4b800000, v0
	v_cmp_gt_f32_e32 vcc, s0, v0
	v_cndmask_b32_e32 v0, v0, v14, vcc
	v_rsq_f32_e32 v0, v0
	s_waitcnt vmcnt(0)
	v_cvt_f32_u32_sdwa v17, v2 dst_sel:DWORD dst_unused:UNUSED_PAD src0_sel:WORD_1
	v_cvt_f32_u32_sdwa v16, v2 dst_sel:DWORD dst_unused:UNUSED_PAD src0_sel:WORD_0
	v_cvt_f32_u32_sdwa v19, v3 dst_sel:DWORD dst_unused:UNUSED_PAD src0_sel:WORD_1
	v_mul_f32_e32 v14, 0x45800000, v0
	v_cndmask_b32_e32 v14, v0, v14, vcc
	v_mov_b32_e32 v15, v14
	;;#ASMSTART
	v_pk_mul_f32 v[12:13], v[12:13], v[14:15]
	;;#ASMEND
	;;#ASMSTART
	v_pk_mul_f32 v[10:11], v[10:11], v[14:15]
	;;#ASMEND
	;;#ASMSTART
	v_pk_mul_f32 v[8:9], v[8:9], v[14:15]
	;;#ASMEND
	v_cvt_f32_u32_sdwa v18, v3 dst_sel:DWORD dst_unused:UNUSED_PAD src0_sel:WORD_0
	;;#ASMSTART
	v_pk_mul_f32 v[2:3], v[6:7], v[14:15]
	;;#ASMEND
	v_cvt_f32_u32_sdwa v15, v4 dst_sel:DWORD dst_unused:UNUSED_PAD src0_sel:WORD_1
	v_cvt_f32_u32_sdwa v14, v4 dst_sel:DWORD dst_unused:UNUSED_PAD src0_sel:WORD_0
	v_pk_add_f32 v[6:7], v[16:17], 1.0 op_sel_hi:[1,0]
	v_cvt_f32_u32_sdwa v17, v5 dst_sel:DWORD dst_unused:UNUSED_PAD src0_sel:WORD_1
	v_cvt_f32_u32_sdwa v16, v5 dst_sel:DWORD dst_unused:UNUSED_PAD src0_sel:WORD_0
	s_mul_hi_i32 s1, s7, s6
	s_mul_i32 s0, s7, s6
	s_lshl_b64 s[0:1], s[0:1], 1
	s_add_u32 s12, s28, s0
	;;#ASMSTART
	v_pk_mul_f32 v[6:7], v[12:13], v[6:7]
	;;#ASMEND
	v_pk_add_f32 v[12:13], v[18:19], 1.0 op_sel_hi:[1,0]
	;;#ASMSTART
	v_pk_mul_f32 v[4:5], v[10:11], v[12:13]
	;;#ASMEND
	v_pk_add_f32 v[10:11], v[14:15], 1.0 op_sel_hi:[1,0]
	s_addc_u32 s0, s29, s1
	;;#ASMSTART
	v_pk_mul_f32 v[8:9], v[8:9], v[10:11]
	;;#ASMEND
	v_pk_add_f32 v[10:11], v[16:17], 1.0 op_sel_hi:[1,0]
	s_and_b32 s13, s0, 0xffff
	s_mov_b32 s0, 0x7060302
	;;#ASMSTART
	v_pk_mul_f32 v[10:11], v[2:3], v[10:11]
	;;#ASMEND
	v_perm_b32 v2, v7, v6, s0
	v_perm_b32 v3, v5, v4, s0
	;; [unrolled: 1-line block ×4, first 2 shown]
	buffer_store_dwordx4 v[2:5], v1, s[12:15], 0 offen
	;;#ASMSTART
	s_nop 0
	;;#ASMEND
	s_endpgm
	.section	.rodata,"a",@progbits
	.p2align	6, 0x0
	.amdhsa_kernel _ZN5aiter35fused_qk_rmsnorm_group_quant_kernelItN4opus5fp4_tELi128ELi8ELi4ELb0ELb1ELb1ELb0ELb0ELb0EEEvPT0_PvPT_S7_S7_PKS6_S9_S9_S9_S9_ffiiiiiiiiiiiii
		.amdhsa_group_segment_fixed_size 16
		.amdhsa_private_segment_fixed_size 0
		.amdhsa_kernarg_size 400
		.amdhsa_user_sgpr_count 6
		.amdhsa_user_sgpr_private_segment_buffer 1
		.amdhsa_user_sgpr_dispatch_ptr 0
		.amdhsa_user_sgpr_queue_ptr 0
		.amdhsa_user_sgpr_kernarg_segment_ptr 1
		.amdhsa_user_sgpr_dispatch_id 0
		.amdhsa_user_sgpr_flat_scratch_init 0
		.amdhsa_user_sgpr_kernarg_preload_length 0
		.amdhsa_user_sgpr_kernarg_preload_offset 0
		.amdhsa_user_sgpr_private_segment_size 0
		.amdhsa_uses_dynamic_stack 0
		.amdhsa_system_sgpr_private_segment_wavefront_offset 0
		.amdhsa_system_sgpr_workgroup_id_x 1
		.amdhsa_system_sgpr_workgroup_id_y 1
		.amdhsa_system_sgpr_workgroup_id_z 0
		.amdhsa_system_sgpr_workgroup_info 0
		.amdhsa_system_vgpr_workitem_id 0
		.amdhsa_next_free_vgpr 23
		.amdhsa_next_free_sgpr 36
		.amdhsa_accum_offset 24
		.amdhsa_reserve_vcc 1
		.amdhsa_reserve_flat_scratch 0
		.amdhsa_float_round_mode_32 0
		.amdhsa_float_round_mode_16_64 0
		.amdhsa_float_denorm_mode_32 3
		.amdhsa_float_denorm_mode_16_64 3
		.amdhsa_dx10_clamp 1
		.amdhsa_ieee_mode 1
		.amdhsa_fp16_overflow 0
		.amdhsa_tg_split 0
		.amdhsa_exception_fp_ieee_invalid_op 0
		.amdhsa_exception_fp_denorm_src 0
		.amdhsa_exception_fp_ieee_div_zero 0
		.amdhsa_exception_fp_ieee_overflow 0
		.amdhsa_exception_fp_ieee_underflow 0
		.amdhsa_exception_fp_ieee_inexact 0
		.amdhsa_exception_int_div_zero 0
	.end_amdhsa_kernel
	.section	.text._ZN5aiter35fused_qk_rmsnorm_group_quant_kernelItN4opus5fp4_tELi128ELi8ELi4ELb0ELb1ELb1ELb0ELb0ELb0EEEvPT0_PvPT_S7_S7_PKS6_S9_S9_S9_S9_ffiiiiiiiiiiiii,"axG",@progbits,_ZN5aiter35fused_qk_rmsnorm_group_quant_kernelItN4opus5fp4_tELi128ELi8ELi4ELb0ELb1ELb1ELb0ELb0ELb0EEEvPT0_PvPT_S7_S7_PKS6_S9_S9_S9_S9_ffiiiiiiiiiiiii,comdat
.Lfunc_end444:
	.size	_ZN5aiter35fused_qk_rmsnorm_group_quant_kernelItN4opus5fp4_tELi128ELi8ELi4ELb0ELb1ELb1ELb0ELb0ELb0EEEvPT0_PvPT_S7_S7_PKS6_S9_S9_S9_S9_ffiiiiiiiiiiiii, .Lfunc_end444-_ZN5aiter35fused_qk_rmsnorm_group_quant_kernelItN4opus5fp4_tELi128ELi8ELi4ELb0ELb1ELb1ELb0ELb0ELb0EEEvPT0_PvPT_S7_S7_PKS6_S9_S9_S9_S9_ffiiiiiiiiiiiii
                                        ; -- End function
	.section	.AMDGPU.csdata,"",@progbits
; Kernel info:
; codeLenInByte = 2460
; NumSgprs: 40
; NumVgprs: 23
; NumAgprs: 0
; TotalNumVgprs: 23
; ScratchSize: 0
; MemoryBound: 0
; FloatMode: 240
; IeeeMode: 1
; LDSByteSize: 16 bytes/workgroup (compile time only)
; SGPRBlocks: 4
; VGPRBlocks: 2
; NumSGPRsForWavesPerEU: 40
; NumVGPRsForWavesPerEU: 23
; AccumOffset: 24
; Occupancy: 8
; WaveLimiterHint : 0
; COMPUTE_PGM_RSRC2:SCRATCH_EN: 0
; COMPUTE_PGM_RSRC2:USER_SGPR: 6
; COMPUTE_PGM_RSRC2:TRAP_HANDLER: 0
; COMPUTE_PGM_RSRC2:TGID_X_EN: 1
; COMPUTE_PGM_RSRC2:TGID_Y_EN: 1
; COMPUTE_PGM_RSRC2:TGID_Z_EN: 0
; COMPUTE_PGM_RSRC2:TIDIG_COMP_CNT: 0
; COMPUTE_PGM_RSRC3_GFX90A:ACCUM_OFFSET: 5
; COMPUTE_PGM_RSRC3_GFX90A:TG_SPLIT: 0
	.section	.text._ZN5aiter35fused_qk_rmsnorm_group_quant_kernelIDF16_DB8_Li128ELi8ELi4ELb0ELb1ELb0ELb0ELb0ELb0EEEvPT0_PvPT_S6_S6_PKS5_S8_S8_S8_S8_ffiiiiiiiiiiiii,"axG",@progbits,_ZN5aiter35fused_qk_rmsnorm_group_quant_kernelIDF16_DB8_Li128ELi8ELi4ELb0ELb1ELb0ELb0ELb0ELb0EEEvPT0_PvPT_S6_S6_PKS5_S8_S8_S8_S8_ffiiiiiiiiiiiii,comdat
	.protected	_ZN5aiter35fused_qk_rmsnorm_group_quant_kernelIDF16_DB8_Li128ELi8ELi4ELb0ELb1ELb0ELb0ELb0ELb0EEEvPT0_PvPT_S6_S6_PKS5_S8_S8_S8_S8_ffiiiiiiiiiiiii ; -- Begin function _ZN5aiter35fused_qk_rmsnorm_group_quant_kernelIDF16_DB8_Li128ELi8ELi4ELb0ELb1ELb0ELb0ELb0ELb0EEEvPT0_PvPT_S6_S6_PKS5_S8_S8_S8_S8_ffiiiiiiiiiiiii
	.globl	_ZN5aiter35fused_qk_rmsnorm_group_quant_kernelIDF16_DB8_Li128ELi8ELi4ELb0ELb1ELb0ELb0ELb0ELb0EEEvPT0_PvPT_S6_S6_PKS5_S8_S8_S8_S8_ffiiiiiiiiiiiii
	.p2align	8
	.type	_ZN5aiter35fused_qk_rmsnorm_group_quant_kernelIDF16_DB8_Li128ELi8ELi4ELb0ELb1ELb0ELb0ELb0ELb0EEEvPT0_PvPT_S6_S6_PKS5_S8_S8_S8_S8_ffiiiiiiiiiiiii,@function
_ZN5aiter35fused_qk_rmsnorm_group_quant_kernelIDF16_DB8_Li128ELi8ELi4ELb0ELb1ELb0ELb0ELb0ELb0EEEvPT0_PvPT_S6_S6_PKS5_S8_S8_S8_S8_ffiiiiiiiiiiiii: ; @_ZN5aiter35fused_qk_rmsnorm_group_quant_kernelIDF16_DB8_Li128ELi8ELi4ELb0ELb1ELb0ELb0ELb0ELb0EEEvPT0_PvPT_S6_S6_PKS5_S8_S8_S8_S8_ffiiiiiiiiiiiii
; %bb.0:
	s_load_dwordx4 s[16:19], s[4:5], 0x50
	s_waitcnt lgkmcnt(0)
	s_cmp_ge_i32 s6, s18
	s_cbranch_scc1 .LBB445_12
; %bb.1:
	s_load_dwordx2 s[12:13], s[4:5], 0x48
	s_load_dwordx2 s[30:31], s[4:5], 0x30
	s_load_dwordx4 s[20:23], s[4:5], 0x60
	s_cmp_lg_u32 s7, 0
	s_cselect_b64 s[14:15], -1, 0
	s_cmp_eq_u32 s7, 0
	s_cselect_b64 vcc, -1, 0
	s_and_b64 s[0:1], vcc, exec
	s_waitcnt lgkmcnt(0)
	s_cselect_b32 s7, s19, s20
	s_add_i32 s0, s7, 1
	s_lshr_b32 s1, s0, 31
	s_add_i32 s0, s0, s1
	s_lshl_b32 s0, s0, 1
	v_lshlrev_b32_e32 v1, 3, v0
	s_and_b32 s10, s0, -4
	v_cmp_gt_i32_e64 s[2:3], s7, v1
	v_mov_b32_e32 v10, 0
	v_mov_b32_e32 v2, 0
	;; [unrolled: 1-line block ×9, first 2 shown]
	s_and_saveexec_b64 s[0:1], s[2:3]
	s_cbranch_execz .LBB445_3
; %bb.2:
	s_load_dwordx2 s[8:9], s[4:5], 0x28
	s_load_dwordx2 s[26:27], s[4:5], 0x40
	s_and_b64 s[24:25], vcc, exec
	s_cselect_b32 s11, s21, s22
	v_lshlrev_b32_e32 v11, 4, v0
	s_waitcnt lgkmcnt(0)
	s_cselect_b32 s18, s9, s31
	s_cselect_b32 s21, s8, s30
	s_mul_hi_i32 s9, s11, s6
	s_mul_i32 s8, s11, s6
	s_lshl_b64 s[8:9], s[8:9], 1
	s_add_u32 s24, s21, s8
	s_addc_u32 s18, s18, s9
	s_and_b64 s[8:9], vcc, exec
	s_mov_b32 s11, 0x20000
	s_cselect_b32 s8, s26, s12
	s_cselect_b32 s9, s27, s13
	s_and_b32 s25, s18, 0xffff
	s_mov_b32 s26, s10
	s_mov_b32 s27, s11
	s_and_b32 s9, s9, 0xffff
	buffer_load_dwordx4 v[6:9], v11, s[24:27], 0 offen glc slc
	buffer_load_dwordx4 v[2:5], v11, s[8:11], 0 offen
.LBB445_3:
	s_or_b64 exec, exec, s[0:1]
	v_mov_b32_e32 v11, 0
	v_mov_b32_e32 v16, 0
	;; [unrolled: 1-line block ×7, first 2 shown]
	s_and_saveexec_b64 s[0:1], s[2:3]
	s_cbranch_execz .LBB445_5
; %bb.4:
	s_waitcnt vmcnt(1)
	v_cvt_f32_f16_sdwa v11, v6 dst_sel:DWORD dst_unused:UNUSED_PAD src0_sel:WORD_1
	v_cvt_f32_f16_e32 v10, v6
	v_cvt_f32_f16_sdwa v17, v7 dst_sel:DWORD dst_unused:UNUSED_PAD src0_sel:WORD_1
	v_cvt_f32_f16_e32 v16, v7
	;; [unrolled: 2-line block ×4, first 2 shown]
.LBB445_5:
	s_or_b64 exec, exec, s[0:1]
	s_waitcnt vmcnt(1)
	v_mul_f32_e32 v6, v11, v11
	v_fmac_f32_e32 v6, v10, v10
	v_fmac_f32_e32 v6, v16, v16
	;; [unrolled: 1-line block ×7, first 2 shown]
	v_and_b32_e32 v8, 63, v0
	v_cmp_eq_u32_e64 s[0:1], 63, v8
	v_mov_b32_dpp v7, v6 quad_perm:[1,0,3,2] row_mask:0xf bank_mask:0xf
	v_add_f32_e32 v6, v6, v7
	s_nop 1
	v_mov_b32_dpp v7, v6 quad_perm:[2,3,0,1] row_mask:0xf bank_mask:0xf
	v_add_f32_e32 v6, v6, v7
	s_nop 1
	v_mov_b32_dpp v7, v6 row_half_mirror row_mask:0xf bank_mask:0xf
	v_add_f32_e32 v6, v6, v7
	s_nop 1
	v_mov_b32_dpp v7, v6 row_mirror row_mask:0xf bank_mask:0xf
	v_add_f32_e32 v6, v6, v7
	s_nop 1
	v_mov_b32_dpp v7, v6 row_bcast:15 row_mask:0xf bank_mask:0xf
	v_add_f32_e32 v6, v6, v7
	s_nop 1
	v_mov_b32_dpp v7, v6 row_bcast:31 row_mask:0xf bank_mask:0xf
	s_and_saveexec_b64 s[8:9], s[0:1]
	s_cbranch_execz .LBB445_7
; %bb.6:
	v_add_f32_e32 v6, v6, v7
	v_lshrrev_b32_e32 v7, 4, v0
	v_and_b32_e32 v7, 60, v7
	ds_write_b32 v7, v6 offset:8
.LBB445_7:
	s_or_b64 exec, exec, s[8:9]
	v_and_b32_e32 v6, 1, v0
	v_lshlrev_b32_e32 v18, 2, v6
	s_waitcnt lgkmcnt(0)
	s_barrier
	ds_read_b32 v6, v18 offset:8
	s_load_dwordx2 s[28:29], s[4:5], 0x18
	s_waitcnt lgkmcnt(0)
	v_mov_b32_dpp v7, v6 quad_perm:[1,0,3,2] row_mask:0xf bank_mask:0xf
	s_and_saveexec_b64 s[8:9], s[2:3]
	s_cbranch_execz .LBB445_9
; %bb.8:
	v_cvt_f32_u32_e32 v8, s7
	v_add_f32_e32 v6, v6, v7
	v_mov_b32_e32 v19, s17
	v_mov_b32_e32 v20, s16
	v_div_scale_f32 v7, s[24:25], v8, v8, v6
	v_rcp_f32_e32 v9, v7
	v_cndmask_b32_e32 v19, v19, v20, vcc
	s_mov_b32 s7, 0x800000
	v_fma_f32 v20, -v7, v9, 1.0
	v_fmac_f32_e32 v9, v20, v9
	v_div_scale_f32 v20, vcc, v6, v8, v6
	v_mul_f32_e32 v21, v20, v9
	v_fma_f32 v22, -v7, v21, v20
	v_fmac_f32_e32 v21, v22, v9
	v_fma_f32 v7, -v7, v21, v20
	v_div_fmas_f32 v7, v7, v9, v21
	v_div_fixup_f32 v6, v7, v8, v6
	v_add_f32_e32 v6, v19, v6
	v_mul_f32_e32 v7, 0x4b800000, v6
	v_cmp_gt_f32_e32 vcc, s7, v6
	v_cndmask_b32_e32 v6, v6, v7, vcc
	v_rsq_f32_e32 v6, v6
	s_waitcnt vmcnt(0)
	v_cvt_f32_f16_sdwa v21, v5 dst_sel:DWORD dst_unused:UNUSED_PAD src0_sel:WORD_1
	v_cvt_f32_f16_e32 v20, v5
	v_mul_f32_e32 v7, 0x45800000, v6
	v_cndmask_b32_e32 v6, v6, v7, vcc
	v_mov_b32_e32 v7, v6
	;;#ASMSTART
	v_pk_mul_f32 v[8:9], v[10:11], v[6:7]
	;;#ASMEND
	;;#ASMSTART
	v_pk_mul_f32 v[16:17], v[16:17], v[6:7]
	;;#ASMEND
	;; [unrolled: 3-line block ×4, first 2 shown]
	v_cvt_f32_f16_sdwa v11, v2 dst_sel:DWORD dst_unused:UNUSED_PAD src0_sel:WORD_1
	v_cvt_f32_f16_e32 v10, v2
	v_cvt_f32_f16_sdwa v13, v3 dst_sel:DWORD dst_unused:UNUSED_PAD src0_sel:WORD_1
	v_cvt_f32_f16_e32 v12, v3
	;; [unrolled: 2-line block ×3, first 2 shown]
	;;#ASMSTART
	v_pk_mul_f32 v[10:11], v[8:9], v[10:11]
	;;#ASMEND
	;;#ASMSTART
	v_pk_mul_f32 v[16:17], v[16:17], v[12:13]
	;;#ASMEND
	;;#ASMSTART
	v_pk_mul_f32 v[14:15], v[14:15], v[2:3]
	;;#ASMEND
	;;#ASMSTART
	v_pk_mul_f32 v[12:13], v[6:7], v[20:21]
	;;#ASMEND
.LBB445_9:
	s_or_b64 exec, exec, s[8:9]
	s_load_dword s7, s[4:5], 0x80
	s_mov_b64 s[8:9], -1
	s_and_b64 vcc, exec, s[14:15]
	s_cbranch_vccnz .LBB445_13
; %bb.10:
	s_andn2_b64 vcc, exec, s[8:9]
	s_cbranch_vccz .LBB445_16
.LBB445_11:
	s_cmp_lt_i32 s20, 1
	s_cbranch_scc0 .LBB445_25
.LBB445_12:
	s_endpgm
.LBB445_13:
	s_and_saveexec_b64 s[14:15], s[2:3]
	s_cbranch_execz .LBB445_15
; %bb.14:
	s_waitcnt lgkmcnt(0)
	s_mul_hi_i32 s9, s7, s6
	s_mul_i32 s8, s7, s6
	s_waitcnt vmcnt(0)
	v_cvt_f16_f32_e32 v2, v10
	v_cvt_f16_f32_e32 v3, v16
	v_cvt_f16_f32_e32 v4, v14
	v_cvt_f16_f32_e32 v5, v12
	v_cvt_f16_f32_e32 v6, v13
	v_cvt_f16_f32_e32 v7, v15
	v_cvt_f16_f32_e32 v8, v17
	v_cvt_f16_f32_e32 v9, v11
	s_lshl_b64 s[8:9], s[8:9], 1
	s_add_u32 s8, s28, s8
	s_addc_u32 s9, s29, s9
	s_and_b32 s9, s9, 0xffff
	s_mov_b32 s11, 0x20000
	v_pack_b32_f16 v5, v5, v6
	v_pack_b32_f16 v4, v4, v7
	;; [unrolled: 1-line block ×4, first 2 shown]
	v_lshlrev_b32_e32 v6, 4, v0
	buffer_store_dwordx4 v[2:5], v6, s[8:11], 0 offen
	;;#ASMSTART
	s_nop 0
	;;#ASMEND
.LBB445_15:
	s_or_b64 exec, exec, s[14:15]
	s_cbranch_execnz .LBB445_11
.LBB445_16:
	s_load_dwordx4 s[24:27], s[4:5], 0x70
	s_waitcnt vmcnt(0)
	v_mov_b32_e32 v2, 0
	s_and_saveexec_b64 s[14:15], s[2:3]
	s_cbranch_execz .LBB445_18
; %bb.17:
	s_load_dwordx2 s[8:9], s[4:5], 0x10
	s_waitcnt lgkmcnt(0)
	s_mul_hi_i32 s35, s27, s6
	s_mul_i32 s34, s27, s6
	v_cvt_f16_f32_e32 v2, v10
	v_cvt_f16_f32_e32 v3, v16
	;; [unrolled: 1-line block ×8, first 2 shown]
	s_lshl_b64 s[34:35], s[34:35], 1
	s_add_u32 s8, s8, s34
	s_addc_u32 s9, s9, s35
	s_mov_b32 s11, 0x20000
	s_and_b32 s9, s9, 0xffff
	v_pack_b32_f16 v5, v5, v6
	v_pack_b32_f16 v4, v4, v7
	;; [unrolled: 1-line block ×4, first 2 shown]
	v_lshlrev_b32_e32 v6, 4, v0
	buffer_store_dwordx4 v[2:5], v6, s[8:11], 0 offen
	;;#ASMSTART
	s_nop 0
	;;#ASMEND
	s_nop 0
	v_mov_b32_e32 v2, 0x2edbe6ff
.LBB445_18:
	s_or_b64 exec, exec, s[14:15]
	s_and_saveexec_b64 s[8:9], s[2:3]
	s_cbranch_execz .LBB445_20
; %bb.19:
	v_and_b32_e32 v3, 0x7fffffff, v10
	v_and_b32_e32 v4, 0x7fffffff, v11
	;;#ASMSTART
	v_max3_f32 v2, v2, v3, v4

	;;#ASMEND
	v_and_b32_e32 v3, 0x7fffffff, v16
	v_and_b32_e32 v4, 0x7fffffff, v17
	;;#ASMSTART
	v_max3_f32 v2, v2, v3, v4

	;;#ASMEND
	;; [unrolled: 6-line block ×4, first 2 shown]
.LBB445_20:
	s_or_b64 exec, exec, s[8:9]
	;;#ASMSTART
	v_max_f32 v3, v2, v2 quad_perm:[1,0,3,2] row_mask:0xf bank_mask:0xf bound_ctrl:1
	;;#ASMEND
	;;#ASMSTART
	v_max_f32 v2, v3, v3 quad_perm:[2,3,0,1] row_mask:0xf bank_mask:0xf bound_ctrl:1
	;;#ASMEND
	v_and_b32_e32 v3, 3, v0
	v_cmp_eq_u32_e32 vcc, 0, v3
	v_cmp_gt_i32_e64 s[8:9], s19, v1
	v_mul_f32_e32 v2, 0x3b124925, v2
	s_and_b64 s[10:11], vcc, s[8:9]
	s_and_saveexec_b64 s[8:9], s[10:11]
	s_cbranch_execz .LBB445_22
; %bb.21:
	s_load_dwordx2 s[10:11], s[4:5], 0x8
	s_waitcnt lgkmcnt(0)
	s_mul_hi_i32 s15, s25, s6
	s_mul_i32 s14, s25, s6
	v_lshrrev_b32_e32 v3, 2, v0
	s_lshl_b64 s[14:15], s[14:15], 2
	v_mad_i64_i32 v[4:5], s[26:27], s26, v3, 0
	s_add_u32 s10, s10, s14
	s_addc_u32 s11, s11, s15
	v_lshlrev_b64 v[4:5], 2, v[4:5]
	v_mov_b32_e32 v3, s11
	v_add_co_u32_e32 v4, vcc, s10, v4
	v_addc_co_u32_e32 v5, vcc, v3, v5, vcc
	global_store_dword v[4:5], v2, off
.LBB445_22:
	s_or_b64 exec, exec, s[8:9]
	;;#ASMSTART
	v_rcp_f32 v2, v2
	;;#ASMEND
	s_and_saveexec_b64 s[14:15], s[2:3]
	s_cbranch_execz .LBB445_24
; %bb.23:
	s_load_dwordx2 s[2:3], s[4:5], 0x0
	s_waitcnt lgkmcnt(0)
	s_mul_i32 s8, s24, s6
	s_mul_hi_i32 s9, s24, s6
	v_mov_b32_e32 v3, v2
	;;#ASMSTART
	v_pk_mul_f32 v[4:5], v[10:11], v[2:3]
	;;#ASMEND
	s_add_u32 s8, s2, s8
	s_addc_u32 s2, s3, s9
	s_add_i32 s3, s19, 3
	s_ashr_i32 s9, s3, 31
	v_mov_b32_e32 v8, 0xc3e00000
	v_mov_b32_e32 v9, 0x43e00000
	;;#ASMSTART
	v_med3_f32 v4, v4, v8, v9
v_med3_f32 v5, v5, v8, v9
v_cvt_pk_fp8_f32 v6, v4, v5
	;;#ASMEND
	s_lshr_b32 s9, s9, 30
	;;#ASMSTART
	v_pk_mul_f32 v[4:5], v[16:17], v[2:3]
	;;#ASMEND
	s_add_i32 s3, s3, s9
	s_and_b32 s9, s2, 0xffff
	;;#ASMSTART
	v_med3_f32 v4, v4, v8, v9
v_med3_f32 v5, v5, v8, v9
v_cvt_pk_fp8_f32 v7, v4, v5
	;;#ASMEND
	s_mov_b32 s2, 0x5040100
	v_perm_b32 v5, v7, v6, s2
	s_movk_i32 s2, 0xff
	v_and_b32_e32 v4, 0xffffff00, v7
	v_and_b32_sdwa v6, v5, s2 dst_sel:DWORD dst_unused:UNUSED_PAD src0_sel:WORD_1 src1_sel:DWORD
	s_mov_b32 s16, 0xffff
	v_or_b32_sdwa v4, v6, v4 dst_sel:WORD_1 dst_unused:UNUSED_PAD src0_sel:DWORD src1_sel:DWORD
	v_and_or_b32 v4, v5, s16, v4
	;;#ASMSTART
	v_pk_mul_f32 v[6:7], v[14:15], v[2:3]
	;;#ASMEND
	v_mov_b32_e32 v5, v6
	;;#ASMSTART
	v_med3_f32 v5, v5, v8, v9
v_med3_f32 v7, v7, v8, v9
v_cvt_pk_fp8_f32 v6, v5, v7
	;;#ASMEND
	;;#ASMSTART
	v_pk_mul_f32 v[2:3], v[12:13], v[2:3]
	;;#ASMEND
	;;#ASMSTART
	v_med3_f32 v2, v2, v8, v9
v_med3_f32 v3, v3, v8, v9
v_cvt_pk_fp8_f32 v5, v2, v3
	;;#ASMEND
	v_lshlrev_b32_e32 v2, 16, v5
	s_and_b32 s10, s3, -4
	s_mov_b32 s11, 0x20000
	v_and_or_b32 v5, v6, s16, v2
	buffer_store_dwordx2 v[4:5], v1, s[8:11], 0 offen
	;;#ASMSTART
	s_nop 0
	;;#ASMEND
.LBB445_24:
	s_or_b64 exec, exec, s[14:15]
	s_cmp_lt_i32 s20, 1
	s_cbranch_scc1 .LBB445_12
.LBB445_25:
	s_load_dword s2, s[4:5], 0x94
	s_waitcnt lgkmcnt(0)
	s_cmp_lg_u32 s2, 1
	s_cbranch_scc1 .LBB445_12
; %bb.26:
	s_lshl_b32 s2, s20, 1
	s_add_i32 s2, s2, 2
	v_cmp_gt_u32_e32 vcc, s20, v1
	s_and_b32 s14, s2, -4
	v_mov_b32_e32 v10, 0
	v_lshlrev_b32_e32 v1, 4, v0
	v_mov_b32_e32 v6, 0
	v_mov_b32_e32 v7, 0
	;; [unrolled: 1-line block ×4, first 2 shown]
	s_waitcnt vmcnt(0)
	v_mov_b32_e32 v2, 0
	v_mov_b32_e32 v3, 0
	;; [unrolled: 1-line block ×4, first 2 shown]
	s_barrier
	s_and_saveexec_b64 s[2:3], vcc
	s_cbranch_execz .LBB445_28
; %bb.27:
	s_mul_hi_i32 s5, s22, s6
	s_mul_i32 s4, s22, s6
	s_and_b32 s13, s13, 0xffff
	s_lshl_b64 s[4:5], s[4:5], 1
	s_add_u32 s8, s30, s4
	s_mov_b32 s15, 0x20000
	s_addc_u32 s4, s31, s5
	s_and_b32 s9, s4, 0xffff
	s_mov_b32 s10, s14
	s_mov_b32 s11, s15
	buffer_load_dwordx4 v[6:9], v1, s[8:11], 0 offen glc slc
	buffer_load_dwordx4 v[2:5], v1, s[12:15], 0 offen
.LBB445_28:
	s_or_b64 exec, exec, s[2:3]
	v_mov_b32_e32 v11, 0
	v_mov_b32_e32 v16, 0
	;; [unrolled: 1-line block ×7, first 2 shown]
	s_and_saveexec_b64 s[2:3], vcc
	s_cbranch_execz .LBB445_30
; %bb.29:
	s_waitcnt vmcnt(1)
	v_cvt_f32_f16_sdwa v11, v6 dst_sel:DWORD dst_unused:UNUSED_PAD src0_sel:WORD_1
	v_cvt_f32_f16_e32 v10, v6
	v_cvt_f32_f16_sdwa v17, v7 dst_sel:DWORD dst_unused:UNUSED_PAD src0_sel:WORD_1
	v_cvt_f32_f16_e32 v16, v7
	;; [unrolled: 2-line block ×4, first 2 shown]
.LBB445_30:
	s_or_b64 exec, exec, s[2:3]
	s_waitcnt vmcnt(1)
	v_mul_f32_e32 v6, v11, v11
	v_fmac_f32_e32 v6, v10, v10
	v_fmac_f32_e32 v6, v16, v16
	;; [unrolled: 1-line block ×7, first 2 shown]
	s_nop 1
	v_mov_b32_dpp v7, v6 quad_perm:[1,0,3,2] row_mask:0xf bank_mask:0xf
	v_add_f32_e32 v6, v6, v7
	s_nop 1
	v_mov_b32_dpp v7, v6 quad_perm:[2,3,0,1] row_mask:0xf bank_mask:0xf
	v_add_f32_e32 v6, v6, v7
	s_nop 1
	v_mov_b32_dpp v7, v6 row_half_mirror row_mask:0xf bank_mask:0xf
	v_add_f32_e32 v6, v6, v7
	s_nop 1
	v_mov_b32_dpp v7, v6 row_mirror row_mask:0xf bank_mask:0xf
	v_add_f32_e32 v6, v6, v7
	s_nop 1
	v_mov_b32_dpp v7, v6 row_bcast:15 row_mask:0xf bank_mask:0xf
	v_add_f32_e32 v6, v6, v7
	s_nop 1
	v_mov_b32_dpp v7, v6 row_bcast:31 row_mask:0xf bank_mask:0xf
	s_and_saveexec_b64 s[2:3], s[0:1]
	s_cbranch_execz .LBB445_32
; %bb.31:
	v_lshrrev_b32_e32 v0, 4, v0
	v_add_f32_e32 v6, v6, v7
	v_and_b32_e32 v0, 60, v0
	ds_write_b32 v0, v6
.LBB445_32:
	s_or_b64 exec, exec, s[2:3]
	s_waitcnt lgkmcnt(0)
	s_barrier
	ds_read_b32 v0, v18
	s_waitcnt lgkmcnt(0)
	s_nop 0
	v_mov_b32_dpp v6, v0 quad_perm:[1,0,3,2] row_mask:0xf bank_mask:0xf
	s_and_saveexec_b64 s[0:1], vcc
	s_cbranch_execz .LBB445_12
; %bb.33:
	v_cvt_f32_u32_e32 v7, s20
	v_add_f32_e32 v0, v0, v6
	s_mov_b32 s15, 0x20000
	v_div_scale_f32 v6, s[0:1], v7, v7, v0
	v_rcp_f32_e32 v8, v6
	v_div_scale_f32 v9, vcc, v0, v7, v0
	s_mov_b32 s0, 0x800000
	v_fma_f32 v18, -v6, v8, 1.0
	v_fmac_f32_e32 v8, v18, v8
	v_mul_f32_e32 v18, v9, v8
	v_fma_f32 v19, -v6, v18, v9
	v_fmac_f32_e32 v18, v19, v8
	v_fma_f32 v6, -v6, v18, v9
	v_div_fmas_f32 v6, v6, v8, v18
	v_div_fixup_f32 v0, v6, v7, v0
	v_add_f32_e32 v0, s17, v0
	v_mul_f32_e32 v6, 0x4b800000, v0
	v_cmp_gt_f32_e32 vcc, s0, v0
	v_cndmask_b32_e32 v0, v0, v6, vcc
	v_rsq_f32_e32 v0, v0
	s_waitcnt vmcnt(0)
	v_cvt_f32_f16_sdwa v19, v5 dst_sel:DWORD dst_unused:UNUSED_PAD src0_sel:WORD_1
	v_cvt_f32_f16_e32 v18, v5
	s_mul_hi_i32 s1, s7, s6
	v_mul_f32_e32 v6, 0x45800000, v0
	v_cndmask_b32_e32 v6, v0, v6, vcc
	v_mov_b32_e32 v7, v6
	;;#ASMSTART
	v_pk_mul_f32 v[8:9], v[10:11], v[6:7]
	;;#ASMEND
	;;#ASMSTART
	v_pk_mul_f32 v[10:11], v[16:17], v[6:7]
	;;#ASMEND
	;;#ASMSTART
	v_pk_mul_f32 v[14:15], v[14:15], v[6:7]
	;;#ASMEND
	;;#ASMSTART
	v_pk_mul_f32 v[6:7], v[12:13], v[6:7]
	;;#ASMEND
	v_cvt_f32_f16_sdwa v13, v2 dst_sel:DWORD dst_unused:UNUSED_PAD src0_sel:WORD_1
	v_cvt_f32_f16_e32 v12, v2
	v_cvt_f32_f16_sdwa v17, v3 dst_sel:DWORD dst_unused:UNUSED_PAD src0_sel:WORD_1
	v_cvt_f32_f16_e32 v16, v3
	v_cvt_f32_f16_sdwa v3, v4 dst_sel:DWORD dst_unused:UNUSED_PAD src0_sel:WORD_1
	v_cvt_f32_f16_e32 v2, v4
	;;#ASMSTART
	v_pk_mul_f32 v[4:5], v[8:9], v[12:13]
	;;#ASMEND
	;;#ASMSTART
	v_pk_mul_f32 v[8:9], v[10:11], v[16:17]
	;;#ASMEND
	;; [unrolled: 3-line block ×4, first 2 shown]
	s_mul_i32 s0, s7, s6
	v_cvt_f16_f32_e32 v0, v4
	v_cvt_f16_f32_e32 v4, v5
	;; [unrolled: 1-line block ×8, first 2 shown]
	s_lshl_b64 s[0:1], s[0:1], 1
	s_add_u32 s12, s28, s0
	s_addc_u32 s0, s29, s1
	s_and_b32 s13, s0, 0xffff
	v_pack_b32_f16 v2, v0, v4
	v_pack_b32_f16 v3, v5, v8
	;; [unrolled: 1-line block ×4, first 2 shown]
	buffer_store_dwordx4 v[2:5], v1, s[12:15], 0 offen
	;;#ASMSTART
	s_nop 0
	;;#ASMEND
	s_endpgm
	.section	.rodata,"a",@progbits
	.p2align	6, 0x0
	.amdhsa_kernel _ZN5aiter35fused_qk_rmsnorm_group_quant_kernelIDF16_DB8_Li128ELi8ELi4ELb0ELb1ELb0ELb0ELb0ELb0EEEvPT0_PvPT_S6_S6_PKS5_S8_S8_S8_S8_ffiiiiiiiiiiiii
		.amdhsa_group_segment_fixed_size 16
		.amdhsa_private_segment_fixed_size 0
		.amdhsa_kernarg_size 400
		.amdhsa_user_sgpr_count 6
		.amdhsa_user_sgpr_private_segment_buffer 1
		.amdhsa_user_sgpr_dispatch_ptr 0
		.amdhsa_user_sgpr_queue_ptr 0
		.amdhsa_user_sgpr_kernarg_segment_ptr 1
		.amdhsa_user_sgpr_dispatch_id 0
		.amdhsa_user_sgpr_flat_scratch_init 0
		.amdhsa_user_sgpr_kernarg_preload_length 0
		.amdhsa_user_sgpr_kernarg_preload_offset 0
		.amdhsa_user_sgpr_private_segment_size 0
		.amdhsa_uses_dynamic_stack 0
		.amdhsa_system_sgpr_private_segment_wavefront_offset 0
		.amdhsa_system_sgpr_workgroup_id_x 1
		.amdhsa_system_sgpr_workgroup_id_y 1
		.amdhsa_system_sgpr_workgroup_id_z 0
		.amdhsa_system_sgpr_workgroup_info 0
		.amdhsa_system_vgpr_workitem_id 0
		.amdhsa_next_free_vgpr 23
		.amdhsa_next_free_sgpr 36
		.amdhsa_accum_offset 24
		.amdhsa_reserve_vcc 1
		.amdhsa_reserve_flat_scratch 0
		.amdhsa_float_round_mode_32 0
		.amdhsa_float_round_mode_16_64 0
		.amdhsa_float_denorm_mode_32 3
		.amdhsa_float_denorm_mode_16_64 3
		.amdhsa_dx10_clamp 1
		.amdhsa_ieee_mode 1
		.amdhsa_fp16_overflow 0
		.amdhsa_tg_split 0
		.amdhsa_exception_fp_ieee_invalid_op 0
		.amdhsa_exception_fp_denorm_src 0
		.amdhsa_exception_fp_ieee_div_zero 0
		.amdhsa_exception_fp_ieee_overflow 0
		.amdhsa_exception_fp_ieee_underflow 0
		.amdhsa_exception_fp_ieee_inexact 0
		.amdhsa_exception_int_div_zero 0
	.end_amdhsa_kernel
	.section	.text._ZN5aiter35fused_qk_rmsnorm_group_quant_kernelIDF16_DB8_Li128ELi8ELi4ELb0ELb1ELb0ELb0ELb0ELb0EEEvPT0_PvPT_S6_S6_PKS5_S8_S8_S8_S8_ffiiiiiiiiiiiii,"axG",@progbits,_ZN5aiter35fused_qk_rmsnorm_group_quant_kernelIDF16_DB8_Li128ELi8ELi4ELb0ELb1ELb0ELb0ELb0ELb0EEEvPT0_PvPT_S6_S6_PKS5_S8_S8_S8_S8_ffiiiiiiiiiiiii,comdat
.Lfunc_end445:
	.size	_ZN5aiter35fused_qk_rmsnorm_group_quant_kernelIDF16_DB8_Li128ELi8ELi4ELb0ELb1ELb0ELb0ELb0ELb0EEEvPT0_PvPT_S6_S6_PKS5_S8_S8_S8_S8_ffiiiiiiiiiiiii, .Lfunc_end445-_ZN5aiter35fused_qk_rmsnorm_group_quant_kernelIDF16_DB8_Li128ELi8ELi4ELb0ELb1ELb0ELb0ELb0ELb0EEEvPT0_PvPT_S6_S6_PKS5_S8_S8_S8_S8_ffiiiiiiiiiiiii
                                        ; -- End function
	.section	.AMDGPU.csdata,"",@progbits
; Kernel info:
; codeLenInByte = 2588
; NumSgprs: 40
; NumVgprs: 23
; NumAgprs: 0
; TotalNumVgprs: 23
; ScratchSize: 0
; MemoryBound: 0
; FloatMode: 240
; IeeeMode: 1
; LDSByteSize: 16 bytes/workgroup (compile time only)
; SGPRBlocks: 4
; VGPRBlocks: 2
; NumSGPRsForWavesPerEU: 40
; NumVGPRsForWavesPerEU: 23
; AccumOffset: 24
; Occupancy: 8
; WaveLimiterHint : 0
; COMPUTE_PGM_RSRC2:SCRATCH_EN: 0
; COMPUTE_PGM_RSRC2:USER_SGPR: 6
; COMPUTE_PGM_RSRC2:TRAP_HANDLER: 0
; COMPUTE_PGM_RSRC2:TGID_X_EN: 1
; COMPUTE_PGM_RSRC2:TGID_Y_EN: 1
; COMPUTE_PGM_RSRC2:TGID_Z_EN: 0
; COMPUTE_PGM_RSRC2:TIDIG_COMP_CNT: 0
; COMPUTE_PGM_RSRC3_GFX90A:ACCUM_OFFSET: 5
; COMPUTE_PGM_RSRC3_GFX90A:TG_SPLIT: 0
	.section	.text._ZN5aiter35fused_qk_rmsnorm_group_quant_kernelItDB8_Li128ELi8ELi4ELb0ELb1ELb0ELb0ELb0ELb0EEEvPT0_PvPT_S6_S6_PKS5_S8_S8_S8_S8_ffiiiiiiiiiiiii,"axG",@progbits,_ZN5aiter35fused_qk_rmsnorm_group_quant_kernelItDB8_Li128ELi8ELi4ELb0ELb1ELb0ELb0ELb0ELb0EEEvPT0_PvPT_S6_S6_PKS5_S8_S8_S8_S8_ffiiiiiiiiiiiii,comdat
	.protected	_ZN5aiter35fused_qk_rmsnorm_group_quant_kernelItDB8_Li128ELi8ELi4ELb0ELb1ELb0ELb0ELb0ELb0EEEvPT0_PvPT_S6_S6_PKS5_S8_S8_S8_S8_ffiiiiiiiiiiiii ; -- Begin function _ZN5aiter35fused_qk_rmsnorm_group_quant_kernelItDB8_Li128ELi8ELi4ELb0ELb1ELb0ELb0ELb0ELb0EEEvPT0_PvPT_S6_S6_PKS5_S8_S8_S8_S8_ffiiiiiiiiiiiii
	.globl	_ZN5aiter35fused_qk_rmsnorm_group_quant_kernelItDB8_Li128ELi8ELi4ELb0ELb1ELb0ELb0ELb0ELb0EEEvPT0_PvPT_S6_S6_PKS5_S8_S8_S8_S8_ffiiiiiiiiiiiii
	.p2align	8
	.type	_ZN5aiter35fused_qk_rmsnorm_group_quant_kernelItDB8_Li128ELi8ELi4ELb0ELb1ELb0ELb0ELb0ELb0EEEvPT0_PvPT_S6_S6_PKS5_S8_S8_S8_S8_ffiiiiiiiiiiiii,@function
_ZN5aiter35fused_qk_rmsnorm_group_quant_kernelItDB8_Li128ELi8ELi4ELb0ELb1ELb0ELb0ELb0ELb0EEEvPT0_PvPT_S6_S6_PKS5_S8_S8_S8_S8_ffiiiiiiiiiiiii: ; @_ZN5aiter35fused_qk_rmsnorm_group_quant_kernelItDB8_Li128ELi8ELi4ELb0ELb1ELb0ELb0ELb0ELb0EEEvPT0_PvPT_S6_S6_PKS5_S8_S8_S8_S8_ffiiiiiiiiiiiii
; %bb.0:
	s_load_dwordx4 s[16:19], s[4:5], 0x50
	s_waitcnt lgkmcnt(0)
	s_cmp_ge_i32 s6, s18
	s_cbranch_scc1 .LBB446_10
; %bb.1:
	s_load_dwordx2 s[12:13], s[4:5], 0x48
	s_load_dwordx2 s[30:31], s[4:5], 0x30
	s_load_dwordx4 s[20:23], s[4:5], 0x60
	s_cmp_lg_u32 s7, 0
	s_cselect_b64 s[14:15], -1, 0
	s_cmp_eq_u32 s7, 0
	s_cselect_b64 vcc, -1, 0
	s_and_b64 s[0:1], vcc, exec
	s_waitcnt lgkmcnt(0)
	s_cselect_b32 s7, s19, s20
	s_add_i32 s0, s7, 1
	s_lshr_b32 s1, s0, 31
	s_add_i32 s0, s0, s1
	s_lshl_b32 s0, s0, 1
	v_lshlrev_b32_e32 v1, 3, v0
	s_and_b32 s10, s0, -4
	v_cmp_gt_i32_e64 s[2:3], s7, v1
	v_mov_b32_e32 v2, 0
	v_mov_b32_e32 v3, 0
	;; [unrolled: 1-line block ×8, first 2 shown]
	s_and_saveexec_b64 s[0:1], s[2:3]
	s_cbranch_execz .LBB446_3
; %bb.2:
	s_load_dwordx2 s[8:9], s[4:5], 0x28
	s_load_dwordx2 s[26:27], s[4:5], 0x40
	s_and_b64 s[24:25], vcc, exec
	s_cselect_b32 s11, s21, s22
	v_lshlrev_b32_e32 v10, 4, v0
	s_waitcnt lgkmcnt(0)
	s_cselect_b32 s18, s9, s31
	s_cselect_b32 s21, s8, s30
	s_mul_hi_i32 s9, s11, s6
	s_mul_i32 s8, s11, s6
	s_lshl_b64 s[8:9], s[8:9], 1
	s_add_u32 s24, s21, s8
	s_addc_u32 s18, s18, s9
	s_and_b64 s[8:9], vcc, exec
	s_mov_b32 s11, 0x20000
	s_cselect_b32 s8, s26, s12
	s_cselect_b32 s9, s27, s13
	s_and_b32 s25, s18, 0xffff
	s_mov_b32 s26, s10
	s_mov_b32 s27, s11
	s_and_b32 s9, s9, 0xffff
	buffer_load_dwordx4 v[6:9], v10, s[24:27], 0 offen glc slc
	buffer_load_dwordx4 v[2:5], v10, s[8:11], 0 offen
.LBB446_3:
	s_or_b64 exec, exec, s[0:1]
	s_waitcnt vmcnt(1)
	v_cvt_f32_u32_sdwa v13, v6 dst_sel:DWORD dst_unused:UNUSED_PAD src0_sel:WORD_1
	v_cvt_f32_u32_sdwa v12, v6 dst_sel:DWORD dst_unused:UNUSED_PAD src0_sel:WORD_0
	v_cvt_f32_u32_sdwa v6, v9 dst_sel:DWORD dst_unused:UNUSED_PAD src0_sel:WORD_1
	v_cvt_f32_u32_sdwa v9, v9 dst_sel:DWORD dst_unused:UNUSED_PAD src0_sel:WORD_0
	;; [unrolled: 2-line block ×4, first 2 shown]
	v_cndmask_b32_e64 v13, 0, v13, s[2:3]
	v_cndmask_b32_e64 v7, 0, v6, s[2:3]
	v_cndmask_b32_e64 v6, 0, v9, s[2:3]
	v_cndmask_b32_e64 v9, 0, v14, s[2:3]
	v_cndmask_b32_e64 v12, 0, v12, s[2:3]
	v_mul_f32_e32 v14, v13, v13
	v_cndmask_b32_e64 v10, 0, v10, s[2:3]
	v_fmac_f32_e32 v14, v12, v12
	v_cndmask_b32_e64 v11, 0, v11, s[2:3]
	v_fmac_f32_e32 v14, v10, v10
	;; [unrolled: 2-line block ×3, first 2 shown]
	v_fmac_f32_e32 v14, v8, v8
	v_fmac_f32_e32 v14, v9, v9
	;; [unrolled: 1-line block ×4, first 2 shown]
	v_and_b32_e32 v16, 63, v0
	v_cmp_eq_u32_e64 s[0:1], 63, v16
	v_mov_b32_dpp v15, v14 quad_perm:[1,0,3,2] row_mask:0xf bank_mask:0xf
	v_add_f32_e32 v14, v14, v15
	s_nop 1
	v_mov_b32_dpp v15, v14 quad_perm:[2,3,0,1] row_mask:0xf bank_mask:0xf
	v_add_f32_e32 v14, v14, v15
	s_nop 1
	v_mov_b32_dpp v15, v14 row_half_mirror row_mask:0xf bank_mask:0xf
	v_add_f32_e32 v14, v14, v15
	s_nop 1
	v_mov_b32_dpp v15, v14 row_mirror row_mask:0xf bank_mask:0xf
	v_add_f32_e32 v14, v14, v15
	s_nop 1
	v_mov_b32_dpp v15, v14 row_bcast:15 row_mask:0xf bank_mask:0xf
	v_add_f32_e32 v14, v14, v15
	s_nop 1
	v_mov_b32_dpp v15, v14 row_bcast:31 row_mask:0xf bank_mask:0xf
	s_and_saveexec_b64 s[8:9], s[0:1]
	s_cbranch_execz .LBB446_5
; %bb.4:
	v_add_f32_e32 v14, v14, v15
	v_lshrrev_b32_e32 v15, 4, v0
	v_and_b32_e32 v15, 60, v15
	ds_write_b32 v15, v14 offset:8
.LBB446_5:
	s_or_b64 exec, exec, s[8:9]
	v_and_b32_e32 v14, 1, v0
	v_lshlrev_b32_e32 v14, 2, v14
	s_waitcnt lgkmcnt(0)
	s_barrier
	ds_read_b32 v15, v14 offset:8
	s_load_dwordx2 s[28:29], s[4:5], 0x18
	s_waitcnt lgkmcnt(0)
	v_mov_b32_dpp v16, v15 quad_perm:[1,0,3,2] row_mask:0xf bank_mask:0xf
	s_and_saveexec_b64 s[8:9], s[2:3]
	s_cbranch_execz .LBB446_7
; %bb.6:
	v_cvt_f32_u32_e32 v17, s7
	v_add_f32_e32 v15, v15, v16
	v_mov_b32_e32 v19, s17
	v_mov_b32_e32 v20, s16
	v_div_scale_f32 v16, s[24:25], v17, v17, v15
	v_rcp_f32_e32 v18, v16
	v_cndmask_b32_e32 v19, v19, v20, vcc
	s_mov_b32 s7, 0x800000
	v_fma_f32 v20, -v16, v18, 1.0
	v_fmac_f32_e32 v18, v20, v18
	v_div_scale_f32 v20, vcc, v15, v17, v15
	v_mul_f32_e32 v21, v20, v18
	v_fma_f32 v22, -v16, v21, v20
	v_fmac_f32_e32 v21, v22, v18
	v_fma_f32 v16, -v16, v21, v20
	v_div_fmas_f32 v16, v16, v18, v21
	v_div_fixup_f32 v15, v16, v17, v15
	v_add_f32_e32 v15, v19, v15
	v_mul_f32_e32 v16, 0x4b800000, v15
	v_cmp_gt_f32_e32 vcc, s7, v15
	v_cndmask_b32_e32 v15, v15, v16, vcc
	v_rsq_f32_e32 v15, v15
	s_waitcnt vmcnt(0)
	v_cvt_f32_u32_sdwa v19, v3 dst_sel:DWORD dst_unused:UNUSED_PAD src0_sel:WORD_1
	v_cvt_f32_u32_sdwa v18, v3 dst_sel:DWORD dst_unused:UNUSED_PAD src0_sel:WORD_0
	v_cvt_f32_u32_sdwa v3, v4 dst_sel:DWORD dst_unused:UNUSED_PAD src0_sel:WORD_1
	v_mul_f32_e32 v16, 0x45800000, v15
	v_cndmask_b32_e32 v16, v15, v16, vcc
	v_mov_b32_e32 v17, v16
	;;#ASMSTART
	v_pk_mul_f32 v[12:13], v[12:13], v[16:17]
	;;#ASMEND
	;;#ASMSTART
	v_pk_mul_f32 v[10:11], v[10:11], v[16:17]
	;;#ASMEND
	;;#ASMSTART
	v_pk_mul_f32 v[8:9], v[8:9], v[16:17]
	;;#ASMEND
	;;#ASMSTART
	v_pk_mul_f32 v[6:7], v[6:7], v[16:17]
	;;#ASMEND
	v_cvt_f32_u32_sdwa v17, v2 dst_sel:DWORD dst_unused:UNUSED_PAD src0_sel:WORD_1
	v_cvt_f32_u32_sdwa v16, v2 dst_sel:DWORD dst_unused:UNUSED_PAD src0_sel:WORD_0
	v_cvt_f32_u32_sdwa v2, v4 dst_sel:DWORD dst_unused:UNUSED_PAD src0_sel:WORD_0
	v_cvt_f32_u32_sdwa v21, v5 dst_sel:DWORD dst_unused:UNUSED_PAD src0_sel:WORD_1
	v_cvt_f32_u32_sdwa v20, v5 dst_sel:DWORD dst_unused:UNUSED_PAD src0_sel:WORD_0
	;;#ASMSTART
	v_pk_mul_f32 v[12:13], v[12:13], v[16:17]
	;;#ASMEND
	;;#ASMSTART
	v_pk_mul_f32 v[10:11], v[10:11], v[18:19]
	;;#ASMEND
	;;#ASMSTART
	v_pk_mul_f32 v[8:9], v[8:9], v[2:3]
	;;#ASMEND
	;;#ASMSTART
	v_pk_mul_f32 v[6:7], v[6:7], v[20:21]
	;;#ASMEND
.LBB446_7:
	s_or_b64 exec, exec, s[8:9]
	s_load_dword s7, s[4:5], 0x80
	s_mov_b64 s[8:9], -1
	s_and_b64 vcc, exec, s[14:15]
	s_cbranch_vccnz .LBB446_11
; %bb.8:
	s_andn2_b64 vcc, exec, s[8:9]
	s_cbranch_vccz .LBB446_14
.LBB446_9:
	s_cmp_lt_i32 s20, 1
	s_cbranch_scc0 .LBB446_23
.LBB446_10:
	s_endpgm
.LBB446_11:
	s_and_saveexec_b64 s[14:15], s[2:3]
	s_cbranch_execz .LBB446_13
; %bb.12:
	s_waitcnt lgkmcnt(0)
	s_mul_hi_i32 s9, s7, s6
	s_mul_i32 s8, s7, s6
	s_lshl_b64 s[8:9], s[8:9], 1
	s_add_u32 s8, s28, s8
	s_addc_u32 s9, s29, s9
	s_mov_b32 s16, 0x7060302
	s_and_b32 s9, s9, 0xffff
	s_mov_b32 s11, 0x20000
	s_waitcnt vmcnt(0)
	v_perm_b32 v2, v13, v12, s16
	v_perm_b32 v3, v11, v10, s16
	;; [unrolled: 1-line block ×4, first 2 shown]
	v_lshlrev_b32_e32 v15, 4, v0
	buffer_store_dwordx4 v[2:5], v15, s[8:11], 0 offen
	;;#ASMSTART
	s_nop 0
	;;#ASMEND
.LBB446_13:
	s_or_b64 exec, exec, s[14:15]
	s_cbranch_execnz .LBB446_9
.LBB446_14:
	s_load_dwordx4 s[24:27], s[4:5], 0x70
	s_waitcnt vmcnt(0)
	v_mov_b32_e32 v2, 0
	s_and_saveexec_b64 s[14:15], s[2:3]
	s_cbranch_execz .LBB446_16
; %bb.15:
	s_load_dwordx2 s[8:9], s[4:5], 0x10
	s_waitcnt lgkmcnt(0)
	s_mul_hi_i32 s35, s27, s6
	s_mul_i32 s34, s27, s6
	s_lshl_b64 s[34:35], s[34:35], 1
	s_mov_b32 s16, 0x7060302
	s_add_u32 s8, s8, s34
	s_addc_u32 s9, s9, s35
	s_mov_b32 s11, 0x20000
	s_and_b32 s9, s9, 0xffff
	v_perm_b32 v2, v13, v12, s16
	v_perm_b32 v3, v11, v10, s16
	;; [unrolled: 1-line block ×4, first 2 shown]
	v_lshlrev_b32_e32 v15, 4, v0
	buffer_store_dwordx4 v[2:5], v15, s[8:11], 0 offen
	;;#ASMSTART
	s_nop 0
	;;#ASMEND
	s_nop 0
	v_mov_b32_e32 v2, 0x2edbe6ff
.LBB446_16:
	s_or_b64 exec, exec, s[14:15]
	s_and_saveexec_b64 s[8:9], s[2:3]
	s_cbranch_execz .LBB446_18
; %bb.17:
	v_and_b32_e32 v3, 0x7fffffff, v12
	v_and_b32_e32 v4, 0x7fffffff, v13
	;;#ASMSTART
	v_max3_f32 v2, v2, v3, v4

	;;#ASMEND
	v_and_b32_e32 v3, 0x7fffffff, v10
	v_and_b32_e32 v4, 0x7fffffff, v11
	;;#ASMSTART
	v_max3_f32 v2, v2, v3, v4

	;;#ASMEND
	;; [unrolled: 6-line block ×4, first 2 shown]
.LBB446_18:
	s_or_b64 exec, exec, s[8:9]
	;;#ASMSTART
	v_max_f32 v3, v2, v2 quad_perm:[1,0,3,2] row_mask:0xf bank_mask:0xf bound_ctrl:1
	;;#ASMEND
	;;#ASMSTART
	v_max_f32 v2, v3, v3 quad_perm:[2,3,0,1] row_mask:0xf bank_mask:0xf bound_ctrl:1
	;;#ASMEND
	v_and_b32_e32 v3, 3, v0
	v_cmp_eq_u32_e32 vcc, 0, v3
	v_cmp_gt_i32_e64 s[8:9], s19, v1
	v_mul_f32_e32 v2, 0x3b124925, v2
	s_and_b64 s[10:11], vcc, s[8:9]
	s_and_saveexec_b64 s[8:9], s[10:11]
	s_cbranch_execz .LBB446_20
; %bb.19:
	s_load_dwordx2 s[10:11], s[4:5], 0x8
	s_waitcnt lgkmcnt(0)
	s_mul_hi_i32 s15, s25, s6
	s_mul_i32 s14, s25, s6
	v_lshrrev_b32_e32 v3, 2, v0
	s_lshl_b64 s[14:15], s[14:15], 2
	v_mad_i64_i32 v[4:5], s[26:27], s26, v3, 0
	s_add_u32 s10, s10, s14
	s_addc_u32 s11, s11, s15
	v_lshlrev_b64 v[4:5], 2, v[4:5]
	v_mov_b32_e32 v3, s11
	v_add_co_u32_e32 v4, vcc, s10, v4
	v_addc_co_u32_e32 v5, vcc, v3, v5, vcc
	global_store_dword v[4:5], v2, off
.LBB446_20:
	s_or_b64 exec, exec, s[8:9]
	;;#ASMSTART
	v_rcp_f32 v2, v2
	;;#ASMEND
	s_and_saveexec_b64 s[14:15], s[2:3]
	s_cbranch_execz .LBB446_22
; %bb.21:
	s_load_dwordx2 s[2:3], s[4:5], 0x0
	s_waitcnt lgkmcnt(0)
	s_mul_i32 s8, s24, s6
	s_mul_hi_i32 s9, s24, s6
	v_mov_b32_e32 v3, v2
	;;#ASMSTART
	v_pk_mul_f32 v[4:5], v[12:13], v[2:3]
	;;#ASMEND
	s_add_u32 s8, s2, s8
	s_addc_u32 s2, s3, s9
	s_add_i32 s3, s19, 3
	s_ashr_i32 s9, s3, 31
	v_mov_b32_e32 v12, 0xc3e00000
	v_mov_b32_e32 v13, 0x43e00000
	;;#ASMSTART
	v_med3_f32 v4, v4, v12, v13
v_med3_f32 v5, v5, v12, v13
v_cvt_pk_fp8_f32 v15, v4, v5
	;;#ASMEND
	s_lshr_b32 s9, s9, 30
	;;#ASMSTART
	v_pk_mul_f32 v[4:5], v[10:11], v[2:3]
	;;#ASMEND
	s_add_i32 s3, s3, s9
	s_and_b32 s9, s2, 0xffff
	;;#ASMSTART
	v_med3_f32 v4, v4, v12, v13
v_med3_f32 v5, v5, v12, v13
v_cvt_pk_fp8_f32 v10, v4, v5
	;;#ASMEND
	s_mov_b32 s2, 0x5040100
	v_perm_b32 v5, v10, v15, s2
	s_movk_i32 s2, 0xff
	v_and_b32_e32 v4, 0xffffff00, v10
	v_and_b32_sdwa v10, v5, s2 dst_sel:DWORD dst_unused:UNUSED_PAD src0_sel:WORD_1 src1_sel:DWORD
	s_mov_b32 s16, 0xffff
	v_or_b32_sdwa v4, v10, v4 dst_sel:WORD_1 dst_unused:UNUSED_PAD src0_sel:DWORD src1_sel:DWORD
	v_and_or_b32 v4, v5, s16, v4
	;;#ASMSTART
	v_pk_mul_f32 v[8:9], v[8:9], v[2:3]
	;;#ASMEND
	v_mov_b32_e32 v5, v9
	;;#ASMSTART
	v_med3_f32 v8, v8, v12, v13
v_med3_f32 v5, v5, v12, v13
v_cvt_pk_fp8_f32 v9, v8, v5
	;;#ASMEND
	;;#ASMSTART
	v_pk_mul_f32 v[2:3], v[6:7], v[2:3]
	;;#ASMEND
	;;#ASMSTART
	v_med3_f32 v2, v2, v12, v13
v_med3_f32 v3, v3, v12, v13
v_cvt_pk_fp8_f32 v5, v2, v3
	;;#ASMEND
	v_lshlrev_b32_e32 v2, 16, v5
	s_and_b32 s10, s3, -4
	s_mov_b32 s11, 0x20000
	v_and_or_b32 v5, v9, s16, v2
	buffer_store_dwordx2 v[4:5], v1, s[8:11], 0 offen
	;;#ASMSTART
	s_nop 0
	;;#ASMEND
.LBB446_22:
	s_or_b64 exec, exec, s[14:15]
	s_cmp_lt_i32 s20, 1
	s_cbranch_scc1 .LBB446_10
.LBB446_23:
	s_load_dword s2, s[4:5], 0x94
	s_waitcnt lgkmcnt(0)
	s_cmp_lg_u32 s2, 1
	s_cbranch_scc1 .LBB446_10
; %bb.24:
	s_lshl_b32 s2, s20, 1
	s_add_i32 s2, s2, 2
	v_cmp_gt_u32_e32 vcc, s20, v1
	s_and_b32 s14, s2, -4
	v_mov_b32_e32 v6, 0
	v_lshlrev_b32_e32 v1, 4, v0
	v_mov_b32_e32 v7, 0
	v_mov_b32_e32 v8, 0
	;; [unrolled: 1-line block ×3, first 2 shown]
	s_waitcnt vmcnt(0)
	v_mov_b32_e32 v2, 0
	v_mov_b32_e32 v3, 0
	v_mov_b32_e32 v4, 0
	v_mov_b32_e32 v5, 0
	s_barrier
	s_and_saveexec_b64 s[2:3], vcc
	s_cbranch_execz .LBB446_26
; %bb.25:
	s_mul_hi_i32 s5, s22, s6
	s_mul_i32 s4, s22, s6
	s_and_b32 s13, s13, 0xffff
	s_lshl_b64 s[4:5], s[4:5], 1
	s_add_u32 s8, s30, s4
	s_mov_b32 s15, 0x20000
	s_addc_u32 s4, s31, s5
	s_and_b32 s9, s4, 0xffff
	s_mov_b32 s10, s14
	s_mov_b32 s11, s15
	buffer_load_dwordx4 v[6:9], v1, s[8:11], 0 offen glc slc
	buffer_load_dwordx4 v[2:5], v1, s[12:15], 0 offen
.LBB446_26:
	s_or_b64 exec, exec, s[2:3]
	s_waitcnt vmcnt(1)
	v_cvt_f32_u32_sdwa v13, v6 dst_sel:DWORD dst_unused:UNUSED_PAD src0_sel:WORD_1
	v_cvt_f32_u32_sdwa v12, v6 dst_sel:DWORD dst_unused:UNUSED_PAD src0_sel:WORD_0
	v_cvt_f32_u32_sdwa v6, v9 dst_sel:DWORD dst_unused:UNUSED_PAD src0_sel:WORD_1
	v_cvt_f32_u32_sdwa v9, v9 dst_sel:DWORD dst_unused:UNUSED_PAD src0_sel:WORD_0
	;; [unrolled: 2-line block ×4, first 2 shown]
	v_cndmask_b32_e32 v13, 0, v13, vcc
	v_cndmask_b32_e32 v7, 0, v6, vcc
	;; [unrolled: 1-line block ×5, first 2 shown]
	v_mul_f32_e32 v15, v13, v13
	v_cndmask_b32_e32 v10, 0, v10, vcc
	v_fmac_f32_e32 v15, v12, v12
	v_cndmask_b32_e32 v11, 0, v11, vcc
	v_fmac_f32_e32 v15, v10, v10
	;; [unrolled: 2-line block ×3, first 2 shown]
	v_fmac_f32_e32 v15, v8, v8
	v_fmac_f32_e32 v15, v9, v9
	;; [unrolled: 1-line block ×4, first 2 shown]
	s_nop 1
	v_mov_b32_dpp v16, v15 quad_perm:[1,0,3,2] row_mask:0xf bank_mask:0xf
	v_add_f32_e32 v15, v15, v16
	s_nop 1
	v_mov_b32_dpp v16, v15 quad_perm:[2,3,0,1] row_mask:0xf bank_mask:0xf
	v_add_f32_e32 v15, v15, v16
	s_nop 1
	v_mov_b32_dpp v16, v15 row_half_mirror row_mask:0xf bank_mask:0xf
	v_add_f32_e32 v15, v15, v16
	s_nop 1
	v_mov_b32_dpp v16, v15 row_mirror row_mask:0xf bank_mask:0xf
	v_add_f32_e32 v15, v15, v16
	s_nop 1
	v_mov_b32_dpp v16, v15 row_bcast:15 row_mask:0xf bank_mask:0xf
	v_add_f32_e32 v15, v15, v16
	s_nop 1
	v_mov_b32_dpp v16, v15 row_bcast:31 row_mask:0xf bank_mask:0xf
	s_and_saveexec_b64 s[2:3], s[0:1]
	s_cbranch_execz .LBB446_28
; %bb.27:
	v_lshrrev_b32_e32 v0, 4, v0
	v_add_f32_e32 v15, v15, v16
	v_and_b32_e32 v0, 60, v0
	ds_write_b32 v0, v15
.LBB446_28:
	s_or_b64 exec, exec, s[2:3]
	s_waitcnt lgkmcnt(0)
	s_barrier
	ds_read_b32 v0, v14
	s_waitcnt lgkmcnt(0)
	s_nop 0
	v_mov_b32_dpp v14, v0 quad_perm:[1,0,3,2] row_mask:0xf bank_mask:0xf
	s_and_saveexec_b64 s[0:1], vcc
	s_cbranch_execz .LBB446_10
; %bb.29:
	v_cvt_f32_u32_e32 v15, s20
	v_add_f32_e32 v0, v0, v14
	s_mov_b32 s15, 0x20000
	v_div_scale_f32 v14, s[0:1], v15, v15, v0
	v_rcp_f32_e32 v16, v14
	v_div_scale_f32 v17, vcc, v0, v15, v0
	s_mov_b32 s0, 0x800000
	v_fma_f32 v18, -v14, v16, 1.0
	v_fmac_f32_e32 v16, v18, v16
	v_mul_f32_e32 v18, v17, v16
	v_fma_f32 v19, -v14, v18, v17
	v_fmac_f32_e32 v18, v19, v16
	v_fma_f32 v14, -v14, v18, v17
	v_div_fmas_f32 v14, v14, v16, v18
	v_div_fixup_f32 v0, v14, v15, v0
	v_add_f32_e32 v0, s17, v0
	v_mul_f32_e32 v14, 0x4b800000, v0
	v_cmp_gt_f32_e32 vcc, s0, v0
	v_cndmask_b32_e32 v0, v0, v14, vcc
	v_rsq_f32_e32 v0, v0
	s_mul_hi_i32 s1, s7, s6
	s_mul_i32 s0, s7, s6
	s_lshl_b64 s[0:1], s[0:1], 1
	v_mul_f32_e32 v14, 0x45800000, v0
	v_cndmask_b32_e32 v14, v0, v14, vcc
	s_add_u32 s12, s28, s0
	v_mov_b32_e32 v15, v14
	s_addc_u32 s0, s29, s1
	;;#ASMSTART
	v_pk_mul_f32 v[12:13], v[12:13], v[14:15]
	;;#ASMEND
	;;#ASMSTART
	v_pk_mul_f32 v[10:11], v[10:11], v[14:15]
	;;#ASMEND
	;; [unrolled: 3-line block ×4, first 2 shown]
	s_waitcnt vmcnt(0)
	v_cvt_f32_u32_sdwa v15, v2 dst_sel:DWORD dst_unused:UNUSED_PAD src0_sel:WORD_1
	v_cvt_f32_u32_sdwa v14, v2 dst_sel:DWORD dst_unused:UNUSED_PAD src0_sel:WORD_0
	v_cvt_f32_u32_sdwa v17, v3 dst_sel:DWORD dst_unused:UNUSED_PAD src0_sel:WORD_1
	v_cvt_f32_u32_sdwa v16, v3 dst_sel:DWORD dst_unused:UNUSED_PAD src0_sel:WORD_0
	v_cvt_f32_u32_sdwa v3, v4 dst_sel:DWORD dst_unused:UNUSED_PAD src0_sel:WORD_1
	v_cvt_f32_u32_sdwa v2, v4 dst_sel:DWORD dst_unused:UNUSED_PAD src0_sel:WORD_0
	v_cvt_f32_u32_sdwa v19, v5 dst_sel:DWORD dst_unused:UNUSED_PAD src0_sel:WORD_1
	v_cvt_f32_u32_sdwa v18, v5 dst_sel:DWORD dst_unused:UNUSED_PAD src0_sel:WORD_0
	;;#ASMSTART
	v_pk_mul_f32 v[4:5], v[12:13], v[14:15]
	;;#ASMEND
	s_and_b32 s13, s0, 0xffff
	s_mov_b32 s0, 0x7060302
	;;#ASMSTART
	v_pk_mul_f32 v[10:11], v[10:11], v[16:17]
	;;#ASMEND
	;;#ASMSTART
	v_pk_mul_f32 v[8:9], v[8:9], v[2:3]
	;;#ASMEND
	;; [unrolled: 3-line block ×3, first 2 shown]
	v_perm_b32 v2, v5, v4, s0
	v_perm_b32 v3, v11, v10, s0
	;; [unrolled: 1-line block ×4, first 2 shown]
	buffer_store_dwordx4 v[2:5], v1, s[12:15], 0 offen
	;;#ASMSTART
	s_nop 0
	;;#ASMEND
	s_endpgm
	.section	.rodata,"a",@progbits
	.p2align	6, 0x0
	.amdhsa_kernel _ZN5aiter35fused_qk_rmsnorm_group_quant_kernelItDB8_Li128ELi8ELi4ELb0ELb1ELb0ELb0ELb0ELb0EEEvPT0_PvPT_S6_S6_PKS5_S8_S8_S8_S8_ffiiiiiiiiiiiii
		.amdhsa_group_segment_fixed_size 16
		.amdhsa_private_segment_fixed_size 0
		.amdhsa_kernarg_size 400
		.amdhsa_user_sgpr_count 6
		.amdhsa_user_sgpr_private_segment_buffer 1
		.amdhsa_user_sgpr_dispatch_ptr 0
		.amdhsa_user_sgpr_queue_ptr 0
		.amdhsa_user_sgpr_kernarg_segment_ptr 1
		.amdhsa_user_sgpr_dispatch_id 0
		.amdhsa_user_sgpr_flat_scratch_init 0
		.amdhsa_user_sgpr_kernarg_preload_length 0
		.amdhsa_user_sgpr_kernarg_preload_offset 0
		.amdhsa_user_sgpr_private_segment_size 0
		.amdhsa_uses_dynamic_stack 0
		.amdhsa_system_sgpr_private_segment_wavefront_offset 0
		.amdhsa_system_sgpr_workgroup_id_x 1
		.amdhsa_system_sgpr_workgroup_id_y 1
		.amdhsa_system_sgpr_workgroup_id_z 0
		.amdhsa_system_sgpr_workgroup_info 0
		.amdhsa_system_vgpr_workitem_id 0
		.amdhsa_next_free_vgpr 23
		.amdhsa_next_free_sgpr 36
		.amdhsa_accum_offset 24
		.amdhsa_reserve_vcc 1
		.amdhsa_reserve_flat_scratch 0
		.amdhsa_float_round_mode_32 0
		.amdhsa_float_round_mode_16_64 0
		.amdhsa_float_denorm_mode_32 3
		.amdhsa_float_denorm_mode_16_64 3
		.amdhsa_dx10_clamp 1
		.amdhsa_ieee_mode 1
		.amdhsa_fp16_overflow 0
		.amdhsa_tg_split 0
		.amdhsa_exception_fp_ieee_invalid_op 0
		.amdhsa_exception_fp_denorm_src 0
		.amdhsa_exception_fp_ieee_div_zero 0
		.amdhsa_exception_fp_ieee_overflow 0
		.amdhsa_exception_fp_ieee_underflow 0
		.amdhsa_exception_fp_ieee_inexact 0
		.amdhsa_exception_int_div_zero 0
	.end_amdhsa_kernel
	.section	.text._ZN5aiter35fused_qk_rmsnorm_group_quant_kernelItDB8_Li128ELi8ELi4ELb0ELb1ELb0ELb0ELb0ELb0EEEvPT0_PvPT_S6_S6_PKS5_S8_S8_S8_S8_ffiiiiiiiiiiiii,"axG",@progbits,_ZN5aiter35fused_qk_rmsnorm_group_quant_kernelItDB8_Li128ELi8ELi4ELb0ELb1ELb0ELb0ELb0ELb0EEEvPT0_PvPT_S6_S6_PKS5_S8_S8_S8_S8_ffiiiiiiiiiiiii,comdat
.Lfunc_end446:
	.size	_ZN5aiter35fused_qk_rmsnorm_group_quant_kernelItDB8_Li128ELi8ELi4ELb0ELb1ELb0ELb0ELb0ELb0EEEvPT0_PvPT_S6_S6_PKS5_S8_S8_S8_S8_ffiiiiiiiiiiiii, .Lfunc_end446-_ZN5aiter35fused_qk_rmsnorm_group_quant_kernelItDB8_Li128ELi8ELi4ELb0ELb1ELb0ELb0ELb0ELb0EEEvPT0_PvPT_S6_S6_PKS5_S8_S8_S8_S8_ffiiiiiiiiiiiii
                                        ; -- End function
	.section	.AMDGPU.csdata,"",@progbits
; Kernel info:
; codeLenInByte = 2580
; NumSgprs: 40
; NumVgprs: 23
; NumAgprs: 0
; TotalNumVgprs: 23
; ScratchSize: 0
; MemoryBound: 0
; FloatMode: 240
; IeeeMode: 1
; LDSByteSize: 16 bytes/workgroup (compile time only)
; SGPRBlocks: 4
; VGPRBlocks: 2
; NumSGPRsForWavesPerEU: 40
; NumVGPRsForWavesPerEU: 23
; AccumOffset: 24
; Occupancy: 8
; WaveLimiterHint : 0
; COMPUTE_PGM_RSRC2:SCRATCH_EN: 0
; COMPUTE_PGM_RSRC2:USER_SGPR: 6
; COMPUTE_PGM_RSRC2:TRAP_HANDLER: 0
; COMPUTE_PGM_RSRC2:TGID_X_EN: 1
; COMPUTE_PGM_RSRC2:TGID_Y_EN: 1
; COMPUTE_PGM_RSRC2:TGID_Z_EN: 0
; COMPUTE_PGM_RSRC2:TIDIG_COMP_CNT: 0
; COMPUTE_PGM_RSRC3_GFX90A:ACCUM_OFFSET: 5
; COMPUTE_PGM_RSRC3_GFX90A:TG_SPLIT: 0
	.section	.text._ZN5aiter35fused_qk_rmsnorm_group_quant_kernelIDF16_N4opus5fp4_tELi128ELi8ELi4ELb0ELb1ELb0ELb0ELb0ELb0EEEvPT0_PvPT_S7_S7_PKS6_S9_S9_S9_S9_ffiiiiiiiiiiiii,"axG",@progbits,_ZN5aiter35fused_qk_rmsnorm_group_quant_kernelIDF16_N4opus5fp4_tELi128ELi8ELi4ELb0ELb1ELb0ELb0ELb0ELb0EEEvPT0_PvPT_S7_S7_PKS6_S9_S9_S9_S9_ffiiiiiiiiiiiii,comdat
	.protected	_ZN5aiter35fused_qk_rmsnorm_group_quant_kernelIDF16_N4opus5fp4_tELi128ELi8ELi4ELb0ELb1ELb0ELb0ELb0ELb0EEEvPT0_PvPT_S7_S7_PKS6_S9_S9_S9_S9_ffiiiiiiiiiiiii ; -- Begin function _ZN5aiter35fused_qk_rmsnorm_group_quant_kernelIDF16_N4opus5fp4_tELi128ELi8ELi4ELb0ELb1ELb0ELb0ELb0ELb0EEEvPT0_PvPT_S7_S7_PKS6_S9_S9_S9_S9_ffiiiiiiiiiiiii
	.globl	_ZN5aiter35fused_qk_rmsnorm_group_quant_kernelIDF16_N4opus5fp4_tELi128ELi8ELi4ELb0ELb1ELb0ELb0ELb0ELb0EEEvPT0_PvPT_S7_S7_PKS6_S9_S9_S9_S9_ffiiiiiiiiiiiii
	.p2align	8
	.type	_ZN5aiter35fused_qk_rmsnorm_group_quant_kernelIDF16_N4opus5fp4_tELi128ELi8ELi4ELb0ELb1ELb0ELb0ELb0ELb0EEEvPT0_PvPT_S7_S7_PKS6_S9_S9_S9_S9_ffiiiiiiiiiiiii,@function
_ZN5aiter35fused_qk_rmsnorm_group_quant_kernelIDF16_N4opus5fp4_tELi128ELi8ELi4ELb0ELb1ELb0ELb0ELb0ELb0EEEvPT0_PvPT_S7_S7_PKS6_S9_S9_S9_S9_ffiiiiiiiiiiiii: ; @_ZN5aiter35fused_qk_rmsnorm_group_quant_kernelIDF16_N4opus5fp4_tELi128ELi8ELi4ELb0ELb1ELb0ELb0ELb0ELb0EEEvPT0_PvPT_S7_S7_PKS6_S9_S9_S9_S9_ffiiiiiiiiiiiii
; %bb.0:
	s_load_dwordx4 s[16:19], s[4:5], 0x50
	s_waitcnt lgkmcnt(0)
	s_cmp_ge_i32 s6, s18
	s_cbranch_scc1 .LBB447_12
; %bb.1:
	s_load_dwordx2 s[12:13], s[4:5], 0x48
	s_load_dwordx2 s[30:31], s[4:5], 0x30
	s_load_dwordx4 s[20:23], s[4:5], 0x60
	s_cmp_lg_u32 s7, 0
	s_cselect_b64 s[14:15], -1, 0
	s_cmp_eq_u32 s7, 0
	s_cselect_b64 vcc, -1, 0
	s_and_b64 s[0:1], vcc, exec
	s_waitcnt lgkmcnt(0)
	s_cselect_b32 s7, s19, s20
	s_add_i32 s0, s7, 1
	s_lshr_b32 s1, s0, 31
	s_add_i32 s0, s0, s1
	s_lshl_b32 s0, s0, 1
	v_lshlrev_b32_e32 v1, 3, v0
	s_and_b32 s10, s0, -4
	v_cmp_gt_i32_e64 s[2:3], s7, v1
	v_mov_b32_e32 v10, 0
	v_mov_b32_e32 v2, 0
	v_mov_b32_e32 v3, 0
	v_mov_b32_e32 v4, 0
	v_mov_b32_e32 v5, 0
	v_mov_b32_e32 v6, 0
	v_mov_b32_e32 v7, 0
	v_mov_b32_e32 v8, 0
	v_mov_b32_e32 v9, 0
	s_and_saveexec_b64 s[0:1], s[2:3]
	s_cbranch_execz .LBB447_3
; %bb.2:
	s_load_dwordx2 s[8:9], s[4:5], 0x28
	s_load_dwordx2 s[26:27], s[4:5], 0x40
	s_and_b64 s[24:25], vcc, exec
	s_cselect_b32 s11, s21, s22
	v_lshlrev_b32_e32 v11, 4, v0
	s_waitcnt lgkmcnt(0)
	s_cselect_b32 s18, s9, s31
	s_cselect_b32 s21, s8, s30
	s_mul_hi_i32 s9, s11, s6
	s_mul_i32 s8, s11, s6
	s_lshl_b64 s[8:9], s[8:9], 1
	s_add_u32 s24, s21, s8
	s_addc_u32 s18, s18, s9
	s_and_b64 s[8:9], vcc, exec
	s_mov_b32 s11, 0x20000
	s_cselect_b32 s8, s26, s12
	s_cselect_b32 s9, s27, s13
	s_and_b32 s25, s18, 0xffff
	s_mov_b32 s26, s10
	s_mov_b32 s27, s11
	s_and_b32 s9, s9, 0xffff
	buffer_load_dwordx4 v[6:9], v11, s[24:27], 0 offen glc slc
	buffer_load_dwordx4 v[2:5], v11, s[8:11], 0 offen
.LBB447_3:
	s_or_b64 exec, exec, s[0:1]
	v_mov_b32_e32 v11, 0
	v_mov_b32_e32 v16, 0
	;; [unrolled: 1-line block ×7, first 2 shown]
	s_and_saveexec_b64 s[0:1], s[2:3]
	s_cbranch_execz .LBB447_5
; %bb.4:
	s_waitcnt vmcnt(1)
	v_cvt_f32_f16_sdwa v11, v6 dst_sel:DWORD dst_unused:UNUSED_PAD src0_sel:WORD_1
	v_cvt_f32_f16_e32 v10, v6
	v_cvt_f32_f16_sdwa v17, v7 dst_sel:DWORD dst_unused:UNUSED_PAD src0_sel:WORD_1
	v_cvt_f32_f16_e32 v16, v7
	v_cvt_f32_f16_sdwa v13, v8 dst_sel:DWORD dst_unused:UNUSED_PAD src0_sel:WORD_1
	v_cvt_f32_f16_e32 v12, v8
	v_cvt_f32_f16_sdwa v15, v9 dst_sel:DWORD dst_unused:UNUSED_PAD src0_sel:WORD_1
	v_cvt_f32_f16_e32 v14, v9
.LBB447_5:
	s_or_b64 exec, exec, s[0:1]
	s_waitcnt vmcnt(1)
	v_mul_f32_e32 v6, v11, v11
	v_fmac_f32_e32 v6, v10, v10
	v_fmac_f32_e32 v6, v16, v16
	;; [unrolled: 1-line block ×7, first 2 shown]
	v_and_b32_e32 v8, 63, v0
	v_cmp_eq_u32_e64 s[0:1], 63, v8
	v_mov_b32_dpp v7, v6 quad_perm:[1,0,3,2] row_mask:0xf bank_mask:0xf
	v_add_f32_e32 v6, v6, v7
	s_nop 1
	v_mov_b32_dpp v7, v6 quad_perm:[2,3,0,1] row_mask:0xf bank_mask:0xf
	v_add_f32_e32 v6, v6, v7
	s_nop 1
	v_mov_b32_dpp v7, v6 row_half_mirror row_mask:0xf bank_mask:0xf
	v_add_f32_e32 v6, v6, v7
	s_nop 1
	v_mov_b32_dpp v7, v6 row_mirror row_mask:0xf bank_mask:0xf
	v_add_f32_e32 v6, v6, v7
	s_nop 1
	v_mov_b32_dpp v7, v6 row_bcast:15 row_mask:0xf bank_mask:0xf
	v_add_f32_e32 v6, v6, v7
	s_nop 1
	v_mov_b32_dpp v7, v6 row_bcast:31 row_mask:0xf bank_mask:0xf
	s_and_saveexec_b64 s[8:9], s[0:1]
	s_cbranch_execz .LBB447_7
; %bb.6:
	v_add_f32_e32 v6, v6, v7
	v_lshrrev_b32_e32 v7, 4, v0
	v_and_b32_e32 v7, 60, v7
	ds_write_b32 v7, v6 offset:8
.LBB447_7:
	s_or_b64 exec, exec, s[8:9]
	v_and_b32_e32 v6, 1, v0
	v_lshlrev_b32_e32 v18, 2, v6
	s_waitcnt lgkmcnt(0)
	s_barrier
	ds_read_b32 v6, v18 offset:8
	s_load_dwordx2 s[28:29], s[4:5], 0x18
	s_waitcnt lgkmcnt(0)
	v_mov_b32_dpp v7, v6 quad_perm:[1,0,3,2] row_mask:0xf bank_mask:0xf
	s_and_saveexec_b64 s[8:9], s[2:3]
	s_cbranch_execz .LBB447_9
; %bb.8:
	v_cvt_f32_u32_e32 v8, s7
	v_add_f32_e32 v6, v6, v7
	v_mov_b32_e32 v19, s17
	v_mov_b32_e32 v20, s16
	v_div_scale_f32 v7, s[24:25], v8, v8, v6
	v_rcp_f32_e32 v9, v7
	v_cndmask_b32_e32 v19, v19, v20, vcc
	s_mov_b32 s7, 0x800000
	v_fma_f32 v20, -v7, v9, 1.0
	v_fmac_f32_e32 v9, v20, v9
	v_div_scale_f32 v20, vcc, v6, v8, v6
	v_mul_f32_e32 v21, v20, v9
	v_fma_f32 v22, -v7, v21, v20
	v_fmac_f32_e32 v21, v22, v9
	v_fma_f32 v7, -v7, v21, v20
	v_div_fmas_f32 v7, v7, v9, v21
	v_div_fixup_f32 v6, v7, v8, v6
	v_add_f32_e32 v6, v19, v6
	v_mul_f32_e32 v7, 0x4b800000, v6
	v_cmp_gt_f32_e32 vcc, s7, v6
	v_cndmask_b32_e32 v6, v6, v7, vcc
	v_rsq_f32_e32 v6, v6
	s_waitcnt vmcnt(0)
	v_cvt_f32_f16_sdwa v21, v5 dst_sel:DWORD dst_unused:UNUSED_PAD src0_sel:WORD_1
	v_cvt_f32_f16_e32 v20, v5
	v_mul_f32_e32 v7, 0x45800000, v6
	v_cndmask_b32_e32 v6, v6, v7, vcc
	v_mov_b32_e32 v7, v6
	;;#ASMSTART
	v_pk_mul_f32 v[8:9], v[10:11], v[6:7]
	;;#ASMEND
	;;#ASMSTART
	v_pk_mul_f32 v[16:17], v[16:17], v[6:7]
	;;#ASMEND
	;; [unrolled: 3-line block ×4, first 2 shown]
	v_cvt_f32_f16_sdwa v11, v2 dst_sel:DWORD dst_unused:UNUSED_PAD src0_sel:WORD_1
	v_cvt_f32_f16_e32 v10, v2
	v_cvt_f32_f16_sdwa v15, v3 dst_sel:DWORD dst_unused:UNUSED_PAD src0_sel:WORD_1
	v_cvt_f32_f16_e32 v14, v3
	;; [unrolled: 2-line block ×3, first 2 shown]
	;;#ASMSTART
	v_pk_mul_f32 v[10:11], v[8:9], v[10:11]
	;;#ASMEND
	;;#ASMSTART
	v_pk_mul_f32 v[16:17], v[16:17], v[14:15]
	;;#ASMEND
	;; [unrolled: 3-line block ×4, first 2 shown]
.LBB447_9:
	s_or_b64 exec, exec, s[8:9]
	s_load_dword s7, s[4:5], 0x80
	s_mov_b64 s[8:9], -1
	s_and_b64 vcc, exec, s[14:15]
	s_cbranch_vccnz .LBB447_13
; %bb.10:
	s_andn2_b64 vcc, exec, s[8:9]
	s_cbranch_vccz .LBB447_16
.LBB447_11:
	s_cmp_lt_i32 s20, 1
	s_cbranch_scc0 .LBB447_25
.LBB447_12:
	s_endpgm
.LBB447_13:
	s_and_saveexec_b64 s[14:15], s[2:3]
	s_cbranch_execz .LBB447_15
; %bb.14:
	s_waitcnt lgkmcnt(0)
	s_mul_hi_i32 s9, s7, s6
	s_mul_i32 s8, s7, s6
	s_waitcnt vmcnt(0)
	v_cvt_f16_f32_e32 v2, v10
	v_cvt_f16_f32_e32 v3, v16
	;; [unrolled: 1-line block ×8, first 2 shown]
	s_lshl_b64 s[8:9], s[8:9], 1
	s_add_u32 s8, s28, s8
	s_addc_u32 s9, s29, s9
	s_and_b32 s9, s9, 0xffff
	s_mov_b32 s11, 0x20000
	v_pack_b32_f16 v5, v5, v6
	v_pack_b32_f16 v4, v4, v7
	;; [unrolled: 1-line block ×4, first 2 shown]
	v_lshlrev_b32_e32 v6, 4, v0
	buffer_store_dwordx4 v[2:5], v6, s[8:11], 0 offen
	;;#ASMSTART
	s_nop 0
	;;#ASMEND
.LBB447_15:
	s_or_b64 exec, exec, s[14:15]
	s_cbranch_execnz .LBB447_11
.LBB447_16:
	s_load_dwordx4 s[24:27], s[4:5], 0x70
	s_waitcnt vmcnt(0)
	v_mov_b32_e32 v2, 0
	s_and_saveexec_b64 s[14:15], s[2:3]
	s_cbranch_execz .LBB447_18
; %bb.17:
	s_load_dwordx2 s[8:9], s[4:5], 0x10
	s_waitcnt lgkmcnt(0)
	s_mul_hi_i32 s35, s27, s6
	s_mul_i32 s34, s27, s6
	v_cvt_f16_f32_e32 v2, v10
	v_cvt_f16_f32_e32 v3, v16
	;; [unrolled: 1-line block ×8, first 2 shown]
	s_lshl_b64 s[34:35], s[34:35], 1
	s_add_u32 s8, s8, s34
	s_addc_u32 s9, s9, s35
	s_mov_b32 s11, 0x20000
	s_and_b32 s9, s9, 0xffff
	v_pack_b32_f16 v5, v5, v6
	v_pack_b32_f16 v4, v4, v7
	;; [unrolled: 1-line block ×4, first 2 shown]
	v_lshlrev_b32_e32 v6, 4, v0
	buffer_store_dwordx4 v[2:5], v6, s[8:11], 0 offen
	;;#ASMSTART
	s_nop 0
	;;#ASMEND
	s_nop 0
	v_mov_b32_e32 v2, 0x2edbe6ff
.LBB447_18:
	s_or_b64 exec, exec, s[14:15]
	s_and_saveexec_b64 s[8:9], s[2:3]
	s_cbranch_execz .LBB447_20
; %bb.19:
	v_and_b32_e32 v3, 0x7fffffff, v10
	v_and_b32_e32 v4, 0x7fffffff, v11
	;;#ASMSTART
	v_max3_f32 v2, v2, v3, v4

	;;#ASMEND
	v_and_b32_e32 v3, 0x7fffffff, v16
	v_and_b32_e32 v4, 0x7fffffff, v17
	;;#ASMSTART
	v_max3_f32 v2, v2, v3, v4

	;;#ASMEND
	;; [unrolled: 6-line block ×4, first 2 shown]
.LBB447_20:
	s_or_b64 exec, exec, s[8:9]
	;;#ASMSTART
	v_max_f32 v3, v2, v2 quad_perm:[1,0,3,2] row_mask:0xf bank_mask:0xf bound_ctrl:1
	;;#ASMEND
	;;#ASMSTART
	v_max_f32 v2, v3, v3 quad_perm:[2,3,0,1] row_mask:0xf bank_mask:0xf bound_ctrl:1
	;;#ASMEND
	v_and_b32_e32 v3, 3, v0
	v_cmp_eq_u32_e32 vcc, 0, v3
	v_cmp_gt_i32_e64 s[8:9], s19, v1
	s_and_b64 s[10:11], vcc, s[8:9]
	s_and_saveexec_b64 s[8:9], s[10:11]
	s_cbranch_execz .LBB447_22
; %bb.21:
	s_load_dwordx2 s[10:11], s[4:5], 0x8
	v_mul_f32_e32 v2, 0x3e2aaaab, v2
	v_lshrrev_b32_e32 v3, 23, v2
	v_and_b32_e32 v4, 0x7f800000, v2
	v_and_b32_e32 v2, 0x7fffff, v2
	v_cmp_ne_u32_e32 vcc, 0, v2
	s_waitcnt lgkmcnt(0)
	s_mul_i32 s16, s25, s6
	s_mov_b32 s14, 0x7f800000
	v_addc_co_u32_e32 v2, vcc, 0, v3, vcc
	s_mul_hi_i32 s15, s25, s6
	s_add_u32 s10, s10, s16
	v_cmp_ne_u32_e32 vcc, s14, v4
	s_addc_u32 s11, s11, s15
	v_lshrrev_b32_e32 v5, 2, v0
	v_cndmask_b32_e32 v4, -1, v2, vcc
	v_pk_mov_b32 v[2:3], s[10:11], s[10:11] op_sel:[0,1]
	v_mad_i64_i32 v[2:3], s[10:11], s26, v5, v[2:3]
	global_store_byte v[2:3], v4, off
.LBB447_22:
	s_or_b64 exec, exec, s[8:9]
	s_and_saveexec_b64 s[8:9], s[2:3]
	s_cbranch_execz .LBB447_24
; %bb.23:
	s_load_dwordx2 s[2:3], s[4:5], 0x0
	s_waitcnt lgkmcnt(0)
	s_mul_i32 s11, s24, s6
	s_mul_hi_i32 s10, s24, s6
	v_lshlrev_b32_e32 v2, 2, v0
	s_mov_b32 s27, 0x20000
	s_add_u32 s24, s2, s11
	s_addc_u32 s2, s3, s10
	s_lshr_b32 s3, s19, 31
	s_add_i32 s3, s19, s3
	s_ashr_i32 s3, s3, 1
	s_add_i32 s3, s3, 3
	s_ashr_i32 s10, s3, 31
	s_lshr_b32 s10, s10, 30
	s_add_i32 s3, s3, s10
	s_and_b32 s26, s3, -4
	s_and_b32 s25, s2, 0xffff
	v_mov_b32_e32 v3, 0
	buffer_store_dword v3, v2, s[24:27], 0 offen
	;;#ASMSTART
	s_nop 0
	;;#ASMEND
.LBB447_24:
	s_or_b64 exec, exec, s[8:9]
	s_cmp_lt_i32 s20, 1
	s_cbranch_scc1 .LBB447_12
.LBB447_25:
	s_load_dword s2, s[4:5], 0x94
	s_waitcnt lgkmcnt(0)
	s_cmp_lg_u32 s2, 1
	s_cbranch_scc1 .LBB447_12
; %bb.26:
	s_lshl_b32 s2, s20, 1
	s_add_i32 s2, s2, 2
	v_cmp_gt_u32_e32 vcc, s20, v1
	s_and_b32 s14, s2, -4
	v_mov_b32_e32 v10, 0
	v_lshlrev_b32_e32 v1, 4, v0
	v_mov_b32_e32 v6, 0
	v_mov_b32_e32 v7, 0
	;; [unrolled: 1-line block ×4, first 2 shown]
	s_waitcnt vmcnt(0)
	v_mov_b32_e32 v2, 0
	v_mov_b32_e32 v3, 0
	;; [unrolled: 1-line block ×4, first 2 shown]
	s_barrier
	s_and_saveexec_b64 s[2:3], vcc
	s_cbranch_execz .LBB447_28
; %bb.27:
	s_mul_hi_i32 s5, s22, s6
	s_mul_i32 s4, s22, s6
	s_and_b32 s13, s13, 0xffff
	s_lshl_b64 s[4:5], s[4:5], 1
	s_add_u32 s8, s30, s4
	s_mov_b32 s15, 0x20000
	s_addc_u32 s4, s31, s5
	s_and_b32 s9, s4, 0xffff
	s_mov_b32 s10, s14
	s_mov_b32 s11, s15
	buffer_load_dwordx4 v[6:9], v1, s[8:11], 0 offen glc slc
	buffer_load_dwordx4 v[2:5], v1, s[12:15], 0 offen
.LBB447_28:
	s_or_b64 exec, exec, s[2:3]
	v_mov_b32_e32 v11, 0
	v_mov_b32_e32 v16, 0
	;; [unrolled: 1-line block ×7, first 2 shown]
	s_and_saveexec_b64 s[2:3], vcc
	s_cbranch_execz .LBB447_30
; %bb.29:
	s_waitcnt vmcnt(1)
	v_cvt_f32_f16_sdwa v11, v6 dst_sel:DWORD dst_unused:UNUSED_PAD src0_sel:WORD_1
	v_cvt_f32_f16_e32 v10, v6
	v_cvt_f32_f16_sdwa v17, v7 dst_sel:DWORD dst_unused:UNUSED_PAD src0_sel:WORD_1
	v_cvt_f32_f16_e32 v16, v7
	;; [unrolled: 2-line block ×4, first 2 shown]
.LBB447_30:
	s_or_b64 exec, exec, s[2:3]
	s_waitcnt vmcnt(1)
	v_mul_f32_e32 v6, v11, v11
	v_fmac_f32_e32 v6, v10, v10
	v_fmac_f32_e32 v6, v16, v16
	;; [unrolled: 1-line block ×7, first 2 shown]
	s_nop 1
	v_mov_b32_dpp v7, v6 quad_perm:[1,0,3,2] row_mask:0xf bank_mask:0xf
	v_add_f32_e32 v6, v6, v7
	s_nop 1
	v_mov_b32_dpp v7, v6 quad_perm:[2,3,0,1] row_mask:0xf bank_mask:0xf
	v_add_f32_e32 v6, v6, v7
	s_nop 1
	v_mov_b32_dpp v7, v6 row_half_mirror row_mask:0xf bank_mask:0xf
	v_add_f32_e32 v6, v6, v7
	s_nop 1
	v_mov_b32_dpp v7, v6 row_mirror row_mask:0xf bank_mask:0xf
	v_add_f32_e32 v6, v6, v7
	s_nop 1
	v_mov_b32_dpp v7, v6 row_bcast:15 row_mask:0xf bank_mask:0xf
	v_add_f32_e32 v6, v6, v7
	s_nop 1
	v_mov_b32_dpp v7, v6 row_bcast:31 row_mask:0xf bank_mask:0xf
	s_and_saveexec_b64 s[2:3], s[0:1]
	s_cbranch_execz .LBB447_32
; %bb.31:
	v_lshrrev_b32_e32 v0, 4, v0
	v_add_f32_e32 v6, v6, v7
	v_and_b32_e32 v0, 60, v0
	ds_write_b32 v0, v6
.LBB447_32:
	s_or_b64 exec, exec, s[2:3]
	s_waitcnt lgkmcnt(0)
	s_barrier
	ds_read_b32 v0, v18
	s_waitcnt lgkmcnt(0)
	s_nop 0
	v_mov_b32_dpp v6, v0 quad_perm:[1,0,3,2] row_mask:0xf bank_mask:0xf
	s_and_saveexec_b64 s[0:1], vcc
	s_cbranch_execz .LBB447_12
; %bb.33:
	v_cvt_f32_u32_e32 v7, s20
	v_add_f32_e32 v0, v0, v6
	s_mov_b32 s15, 0x20000
	v_div_scale_f32 v6, s[0:1], v7, v7, v0
	v_rcp_f32_e32 v8, v6
	v_div_scale_f32 v9, vcc, v0, v7, v0
	s_mov_b32 s0, 0x800000
	v_fma_f32 v18, -v6, v8, 1.0
	v_fmac_f32_e32 v8, v18, v8
	v_mul_f32_e32 v18, v9, v8
	v_fma_f32 v19, -v6, v18, v9
	v_fmac_f32_e32 v18, v19, v8
	v_fma_f32 v6, -v6, v18, v9
	v_div_fmas_f32 v6, v6, v8, v18
	v_div_fixup_f32 v0, v6, v7, v0
	v_add_f32_e32 v0, s17, v0
	v_mul_f32_e32 v6, 0x4b800000, v0
	v_cmp_gt_f32_e32 vcc, s0, v0
	v_cndmask_b32_e32 v0, v0, v6, vcc
	v_rsq_f32_e32 v0, v0
	s_waitcnt vmcnt(0)
	v_cvt_f32_f16_sdwa v19, v5 dst_sel:DWORD dst_unused:UNUSED_PAD src0_sel:WORD_1
	v_cvt_f32_f16_e32 v18, v5
	s_mul_hi_i32 s1, s7, s6
	v_mul_f32_e32 v6, 0x45800000, v0
	v_cndmask_b32_e32 v6, v0, v6, vcc
	v_mov_b32_e32 v7, v6
	;;#ASMSTART
	v_pk_mul_f32 v[8:9], v[10:11], v[6:7]
	;;#ASMEND
	;;#ASMSTART
	v_pk_mul_f32 v[10:11], v[16:17], v[6:7]
	;;#ASMEND
	;; [unrolled: 3-line block ×4, first 2 shown]
	v_cvt_f32_f16_sdwa v13, v2 dst_sel:DWORD dst_unused:UNUSED_PAD src0_sel:WORD_1
	v_cvt_f32_f16_e32 v12, v2
	v_cvt_f32_f16_sdwa v17, v3 dst_sel:DWORD dst_unused:UNUSED_PAD src0_sel:WORD_1
	v_cvt_f32_f16_e32 v16, v3
	;; [unrolled: 2-line block ×3, first 2 shown]
	;;#ASMSTART
	v_pk_mul_f32 v[4:5], v[8:9], v[12:13]
	;;#ASMEND
	;;#ASMSTART
	v_pk_mul_f32 v[8:9], v[10:11], v[16:17]
	;;#ASMEND
	;; [unrolled: 3-line block ×4, first 2 shown]
	s_mul_i32 s0, s7, s6
	v_cvt_f16_f32_e32 v0, v4
	v_cvt_f16_f32_e32 v4, v5
	v_cvt_f16_f32_e32 v5, v8
	v_cvt_f16_f32_e32 v8, v9
	v_cvt_f16_f32_e32 v9, v2
	v_cvt_f16_f32_e32 v10, v3
	v_cvt_f16_f32_e32 v6, v6
	v_cvt_f16_f32_e32 v7, v7
	s_lshl_b64 s[0:1], s[0:1], 1
	s_add_u32 s12, s28, s0
	s_addc_u32 s0, s29, s1
	s_and_b32 s13, s0, 0xffff
	v_pack_b32_f16 v2, v0, v4
	v_pack_b32_f16 v3, v5, v8
	;; [unrolled: 1-line block ×4, first 2 shown]
	buffer_store_dwordx4 v[2:5], v1, s[12:15], 0 offen
	;;#ASMSTART
	s_nop 0
	;;#ASMEND
	s_endpgm
	.section	.rodata,"a",@progbits
	.p2align	6, 0x0
	.amdhsa_kernel _ZN5aiter35fused_qk_rmsnorm_group_quant_kernelIDF16_N4opus5fp4_tELi128ELi8ELi4ELb0ELb1ELb0ELb0ELb0ELb0EEEvPT0_PvPT_S7_S7_PKS6_S9_S9_S9_S9_ffiiiiiiiiiiiii
		.amdhsa_group_segment_fixed_size 16
		.amdhsa_private_segment_fixed_size 0
		.amdhsa_kernarg_size 400
		.amdhsa_user_sgpr_count 6
		.amdhsa_user_sgpr_private_segment_buffer 1
		.amdhsa_user_sgpr_dispatch_ptr 0
		.amdhsa_user_sgpr_queue_ptr 0
		.amdhsa_user_sgpr_kernarg_segment_ptr 1
		.amdhsa_user_sgpr_dispatch_id 0
		.amdhsa_user_sgpr_flat_scratch_init 0
		.amdhsa_user_sgpr_kernarg_preload_length 0
		.amdhsa_user_sgpr_kernarg_preload_offset 0
		.amdhsa_user_sgpr_private_segment_size 0
		.amdhsa_uses_dynamic_stack 0
		.amdhsa_system_sgpr_private_segment_wavefront_offset 0
		.amdhsa_system_sgpr_workgroup_id_x 1
		.amdhsa_system_sgpr_workgroup_id_y 1
		.amdhsa_system_sgpr_workgroup_id_z 0
		.amdhsa_system_sgpr_workgroup_info 0
		.amdhsa_system_vgpr_workitem_id 0
		.amdhsa_next_free_vgpr 23
		.amdhsa_next_free_sgpr 36
		.amdhsa_accum_offset 24
		.amdhsa_reserve_vcc 1
		.amdhsa_reserve_flat_scratch 0
		.amdhsa_float_round_mode_32 0
		.amdhsa_float_round_mode_16_64 0
		.amdhsa_float_denorm_mode_32 3
		.amdhsa_float_denorm_mode_16_64 3
		.amdhsa_dx10_clamp 1
		.amdhsa_ieee_mode 1
		.amdhsa_fp16_overflow 0
		.amdhsa_tg_split 0
		.amdhsa_exception_fp_ieee_invalid_op 0
		.amdhsa_exception_fp_denorm_src 0
		.amdhsa_exception_fp_ieee_div_zero 0
		.amdhsa_exception_fp_ieee_overflow 0
		.amdhsa_exception_fp_ieee_underflow 0
		.amdhsa_exception_fp_ieee_inexact 0
		.amdhsa_exception_int_div_zero 0
	.end_amdhsa_kernel
	.section	.text._ZN5aiter35fused_qk_rmsnorm_group_quant_kernelIDF16_N4opus5fp4_tELi128ELi8ELi4ELb0ELb1ELb0ELb0ELb0ELb0EEEvPT0_PvPT_S7_S7_PKS6_S9_S9_S9_S9_ffiiiiiiiiiiiii,"axG",@progbits,_ZN5aiter35fused_qk_rmsnorm_group_quant_kernelIDF16_N4opus5fp4_tELi128ELi8ELi4ELb0ELb1ELb0ELb0ELb0ELb0EEEvPT0_PvPT_S7_S7_PKS6_S9_S9_S9_S9_ffiiiiiiiiiiiii,comdat
.Lfunc_end447:
	.size	_ZN5aiter35fused_qk_rmsnorm_group_quant_kernelIDF16_N4opus5fp4_tELi128ELi8ELi4ELb0ELb1ELb0ELb0ELb0ELb0EEEvPT0_PvPT_S7_S7_PKS6_S9_S9_S9_S9_ffiiiiiiiiiiiii, .Lfunc_end447-_ZN5aiter35fused_qk_rmsnorm_group_quant_kernelIDF16_N4opus5fp4_tELi128ELi8ELi4ELb0ELb1ELb0ELb0ELb0ELb0EEEvPT0_PvPT_S7_S7_PKS6_S9_S9_S9_S9_ffiiiiiiiiiiiii
                                        ; -- End function
	.section	.AMDGPU.csdata,"",@progbits
; Kernel info:
; codeLenInByte = 2404
; NumSgprs: 40
; NumVgprs: 23
; NumAgprs: 0
; TotalNumVgprs: 23
; ScratchSize: 0
; MemoryBound: 0
; FloatMode: 240
; IeeeMode: 1
; LDSByteSize: 16 bytes/workgroup (compile time only)
; SGPRBlocks: 4
; VGPRBlocks: 2
; NumSGPRsForWavesPerEU: 40
; NumVGPRsForWavesPerEU: 23
; AccumOffset: 24
; Occupancy: 8
; WaveLimiterHint : 0
; COMPUTE_PGM_RSRC2:SCRATCH_EN: 0
; COMPUTE_PGM_RSRC2:USER_SGPR: 6
; COMPUTE_PGM_RSRC2:TRAP_HANDLER: 0
; COMPUTE_PGM_RSRC2:TGID_X_EN: 1
; COMPUTE_PGM_RSRC2:TGID_Y_EN: 1
; COMPUTE_PGM_RSRC2:TGID_Z_EN: 0
; COMPUTE_PGM_RSRC2:TIDIG_COMP_CNT: 0
; COMPUTE_PGM_RSRC3_GFX90A:ACCUM_OFFSET: 5
; COMPUTE_PGM_RSRC3_GFX90A:TG_SPLIT: 0
	.section	.text._ZN5aiter35fused_qk_rmsnorm_group_quant_kernelItN4opus5fp4_tELi128ELi8ELi4ELb0ELb1ELb0ELb0ELb0ELb0EEEvPT0_PvPT_S7_S7_PKS6_S9_S9_S9_S9_ffiiiiiiiiiiiii,"axG",@progbits,_ZN5aiter35fused_qk_rmsnorm_group_quant_kernelItN4opus5fp4_tELi128ELi8ELi4ELb0ELb1ELb0ELb0ELb0ELb0EEEvPT0_PvPT_S7_S7_PKS6_S9_S9_S9_S9_ffiiiiiiiiiiiii,comdat
	.protected	_ZN5aiter35fused_qk_rmsnorm_group_quant_kernelItN4opus5fp4_tELi128ELi8ELi4ELb0ELb1ELb0ELb0ELb0ELb0EEEvPT0_PvPT_S7_S7_PKS6_S9_S9_S9_S9_ffiiiiiiiiiiiii ; -- Begin function _ZN5aiter35fused_qk_rmsnorm_group_quant_kernelItN4opus5fp4_tELi128ELi8ELi4ELb0ELb1ELb0ELb0ELb0ELb0EEEvPT0_PvPT_S7_S7_PKS6_S9_S9_S9_S9_ffiiiiiiiiiiiii
	.globl	_ZN5aiter35fused_qk_rmsnorm_group_quant_kernelItN4opus5fp4_tELi128ELi8ELi4ELb0ELb1ELb0ELb0ELb0ELb0EEEvPT0_PvPT_S7_S7_PKS6_S9_S9_S9_S9_ffiiiiiiiiiiiii
	.p2align	8
	.type	_ZN5aiter35fused_qk_rmsnorm_group_quant_kernelItN4opus5fp4_tELi128ELi8ELi4ELb0ELb1ELb0ELb0ELb0ELb0EEEvPT0_PvPT_S7_S7_PKS6_S9_S9_S9_S9_ffiiiiiiiiiiiii,@function
_ZN5aiter35fused_qk_rmsnorm_group_quant_kernelItN4opus5fp4_tELi128ELi8ELi4ELb0ELb1ELb0ELb0ELb0ELb0EEEvPT0_PvPT_S7_S7_PKS6_S9_S9_S9_S9_ffiiiiiiiiiiiii: ; @_ZN5aiter35fused_qk_rmsnorm_group_quant_kernelItN4opus5fp4_tELi128ELi8ELi4ELb0ELb1ELb0ELb0ELb0ELb0EEEvPT0_PvPT_S7_S7_PKS6_S9_S9_S9_S9_ffiiiiiiiiiiiii
; %bb.0:
	s_load_dwordx4 s[16:19], s[4:5], 0x50
	s_waitcnt lgkmcnt(0)
	s_cmp_ge_i32 s6, s18
	s_cbranch_scc1 .LBB448_10
; %bb.1:
	s_load_dwordx2 s[12:13], s[4:5], 0x48
	s_load_dwordx2 s[30:31], s[4:5], 0x30
	s_load_dwordx4 s[20:23], s[4:5], 0x60
	s_cmp_lg_u32 s7, 0
	s_cselect_b64 s[14:15], -1, 0
	s_cmp_eq_u32 s7, 0
	s_cselect_b64 vcc, -1, 0
	s_and_b64 s[0:1], vcc, exec
	s_waitcnt lgkmcnt(0)
	s_cselect_b32 s7, s19, s20
	s_add_i32 s0, s7, 1
	s_lshr_b32 s1, s0, 31
	s_add_i32 s0, s0, s1
	s_lshl_b32 s0, s0, 1
	v_lshlrev_b32_e32 v1, 3, v0
	s_and_b32 s10, s0, -4
	v_cmp_gt_i32_e64 s[2:3], s7, v1
	v_mov_b32_e32 v2, 0
	v_mov_b32_e32 v3, 0
	;; [unrolled: 1-line block ×8, first 2 shown]
	s_and_saveexec_b64 s[0:1], s[2:3]
	s_cbranch_execz .LBB448_3
; %bb.2:
	s_load_dwordx2 s[8:9], s[4:5], 0x28
	s_load_dwordx2 s[26:27], s[4:5], 0x40
	s_and_b64 s[24:25], vcc, exec
	s_cselect_b32 s11, s21, s22
	v_lshlrev_b32_e32 v10, 4, v0
	s_waitcnt lgkmcnt(0)
	s_cselect_b32 s18, s9, s31
	s_cselect_b32 s21, s8, s30
	s_mul_hi_i32 s9, s11, s6
	s_mul_i32 s8, s11, s6
	s_lshl_b64 s[8:9], s[8:9], 1
	s_add_u32 s24, s21, s8
	s_addc_u32 s18, s18, s9
	s_and_b64 s[8:9], vcc, exec
	s_mov_b32 s11, 0x20000
	s_cselect_b32 s8, s26, s12
	s_cselect_b32 s9, s27, s13
	s_and_b32 s25, s18, 0xffff
	s_mov_b32 s26, s10
	s_mov_b32 s27, s11
	s_and_b32 s9, s9, 0xffff
	buffer_load_dwordx4 v[6:9], v10, s[24:27], 0 offen glc slc
	buffer_load_dwordx4 v[2:5], v10, s[8:11], 0 offen
.LBB448_3:
	s_or_b64 exec, exec, s[0:1]
	s_waitcnt vmcnt(1)
	v_cvt_f32_u32_sdwa v13, v6 dst_sel:DWORD dst_unused:UNUSED_PAD src0_sel:WORD_1
	v_cvt_f32_u32_sdwa v12, v6 dst_sel:DWORD dst_unused:UNUSED_PAD src0_sel:WORD_0
	v_cvt_f32_u32_sdwa v6, v9 dst_sel:DWORD dst_unused:UNUSED_PAD src0_sel:WORD_1
	v_cvt_f32_u32_sdwa v9, v9 dst_sel:DWORD dst_unused:UNUSED_PAD src0_sel:WORD_0
	;; [unrolled: 2-line block ×4, first 2 shown]
	v_cndmask_b32_e64 v13, 0, v13, s[2:3]
	v_cndmask_b32_e64 v7, 0, v6, s[2:3]
	;; [unrolled: 1-line block ×5, first 2 shown]
	v_mul_f32_e32 v14, v13, v13
	v_cndmask_b32_e64 v10, 0, v10, s[2:3]
	v_fmac_f32_e32 v14, v12, v12
	v_cndmask_b32_e64 v11, 0, v11, s[2:3]
	v_fmac_f32_e32 v14, v10, v10
	;; [unrolled: 2-line block ×3, first 2 shown]
	v_fmac_f32_e32 v14, v8, v8
	v_fmac_f32_e32 v14, v9, v9
	;; [unrolled: 1-line block ×4, first 2 shown]
	v_and_b32_e32 v16, 63, v0
	v_cmp_eq_u32_e64 s[0:1], 63, v16
	v_mov_b32_dpp v15, v14 quad_perm:[1,0,3,2] row_mask:0xf bank_mask:0xf
	v_add_f32_e32 v14, v14, v15
	s_nop 1
	v_mov_b32_dpp v15, v14 quad_perm:[2,3,0,1] row_mask:0xf bank_mask:0xf
	v_add_f32_e32 v14, v14, v15
	s_nop 1
	v_mov_b32_dpp v15, v14 row_half_mirror row_mask:0xf bank_mask:0xf
	v_add_f32_e32 v14, v14, v15
	s_nop 1
	v_mov_b32_dpp v15, v14 row_mirror row_mask:0xf bank_mask:0xf
	v_add_f32_e32 v14, v14, v15
	s_nop 1
	v_mov_b32_dpp v15, v14 row_bcast:15 row_mask:0xf bank_mask:0xf
	v_add_f32_e32 v14, v14, v15
	s_nop 1
	v_mov_b32_dpp v15, v14 row_bcast:31 row_mask:0xf bank_mask:0xf
	s_and_saveexec_b64 s[8:9], s[0:1]
	s_cbranch_execz .LBB448_5
; %bb.4:
	v_add_f32_e32 v14, v14, v15
	v_lshrrev_b32_e32 v15, 4, v0
	v_and_b32_e32 v15, 60, v15
	ds_write_b32 v15, v14 offset:8
.LBB448_5:
	s_or_b64 exec, exec, s[8:9]
	v_and_b32_e32 v14, 1, v0
	v_lshlrev_b32_e32 v14, 2, v14
	s_waitcnt lgkmcnt(0)
	s_barrier
	ds_read_b32 v15, v14 offset:8
	s_load_dwordx2 s[28:29], s[4:5], 0x18
	s_waitcnt lgkmcnt(0)
	v_mov_b32_dpp v16, v15 quad_perm:[1,0,3,2] row_mask:0xf bank_mask:0xf
	s_and_saveexec_b64 s[8:9], s[2:3]
	s_cbranch_execz .LBB448_7
; %bb.6:
	v_cvt_f32_u32_e32 v17, s7
	v_add_f32_e32 v15, v15, v16
	v_mov_b32_e32 v19, s17
	v_mov_b32_e32 v20, s16
	v_div_scale_f32 v16, s[24:25], v17, v17, v15
	v_rcp_f32_e32 v18, v16
	v_cndmask_b32_e32 v19, v19, v20, vcc
	s_mov_b32 s7, 0x800000
	v_fma_f32 v20, -v16, v18, 1.0
	v_fmac_f32_e32 v18, v20, v18
	v_div_scale_f32 v20, vcc, v15, v17, v15
	v_mul_f32_e32 v21, v20, v18
	v_fma_f32 v22, -v16, v21, v20
	v_fmac_f32_e32 v21, v22, v18
	v_fma_f32 v16, -v16, v21, v20
	v_div_fmas_f32 v16, v16, v18, v21
	v_div_fixup_f32 v15, v16, v17, v15
	v_add_f32_e32 v15, v19, v15
	v_mul_f32_e32 v16, 0x4b800000, v15
	v_cmp_gt_f32_e32 vcc, s7, v15
	v_cndmask_b32_e32 v15, v15, v16, vcc
	v_rsq_f32_e32 v15, v15
	s_waitcnt vmcnt(0)
	v_cvt_f32_u32_sdwa v19, v3 dst_sel:DWORD dst_unused:UNUSED_PAD src0_sel:WORD_1
	v_cvt_f32_u32_sdwa v18, v3 dst_sel:DWORD dst_unused:UNUSED_PAD src0_sel:WORD_0
	v_cvt_f32_u32_sdwa v3, v4 dst_sel:DWORD dst_unused:UNUSED_PAD src0_sel:WORD_1
	v_mul_f32_e32 v16, 0x45800000, v15
	v_cndmask_b32_e32 v16, v15, v16, vcc
	v_mov_b32_e32 v17, v16
	;;#ASMSTART
	v_pk_mul_f32 v[12:13], v[12:13], v[16:17]
	;;#ASMEND
	;;#ASMSTART
	v_pk_mul_f32 v[10:11], v[10:11], v[16:17]
	;;#ASMEND
	;; [unrolled: 3-line block ×4, first 2 shown]
	v_cvt_f32_u32_sdwa v17, v2 dst_sel:DWORD dst_unused:UNUSED_PAD src0_sel:WORD_1
	v_cvt_f32_u32_sdwa v16, v2 dst_sel:DWORD dst_unused:UNUSED_PAD src0_sel:WORD_0
	v_cvt_f32_u32_sdwa v2, v4 dst_sel:DWORD dst_unused:UNUSED_PAD src0_sel:WORD_0
	v_cvt_f32_u32_sdwa v21, v5 dst_sel:DWORD dst_unused:UNUSED_PAD src0_sel:WORD_1
	v_cvt_f32_u32_sdwa v20, v5 dst_sel:DWORD dst_unused:UNUSED_PAD src0_sel:WORD_0
	;;#ASMSTART
	v_pk_mul_f32 v[12:13], v[12:13], v[16:17]
	;;#ASMEND
	;;#ASMSTART
	v_pk_mul_f32 v[10:11], v[10:11], v[18:19]
	;;#ASMEND
	;; [unrolled: 3-line block ×4, first 2 shown]
.LBB448_7:
	s_or_b64 exec, exec, s[8:9]
	s_load_dword s7, s[4:5], 0x80
	s_mov_b64 s[8:9], -1
	s_and_b64 vcc, exec, s[14:15]
	s_cbranch_vccnz .LBB448_11
; %bb.8:
	s_andn2_b64 vcc, exec, s[8:9]
	s_cbranch_vccz .LBB448_14
.LBB448_9:
	s_cmp_lt_i32 s20, 1
	s_cbranch_scc0 .LBB448_23
.LBB448_10:
	s_endpgm
.LBB448_11:
	s_and_saveexec_b64 s[14:15], s[2:3]
	s_cbranch_execz .LBB448_13
; %bb.12:
	s_waitcnt lgkmcnt(0)
	s_mul_hi_i32 s9, s7, s6
	s_mul_i32 s8, s7, s6
	s_lshl_b64 s[8:9], s[8:9], 1
	s_add_u32 s8, s28, s8
	s_addc_u32 s9, s29, s9
	s_mov_b32 s16, 0x7060302
	s_and_b32 s9, s9, 0xffff
	s_mov_b32 s11, 0x20000
	s_waitcnt vmcnt(0)
	v_perm_b32 v2, v13, v12, s16
	v_perm_b32 v3, v11, v10, s16
	;; [unrolled: 1-line block ×4, first 2 shown]
	v_lshlrev_b32_e32 v15, 4, v0
	buffer_store_dwordx4 v[2:5], v15, s[8:11], 0 offen
	;;#ASMSTART
	s_nop 0
	;;#ASMEND
.LBB448_13:
	s_or_b64 exec, exec, s[14:15]
	s_cbranch_execnz .LBB448_9
.LBB448_14:
	s_load_dwordx4 s[24:27], s[4:5], 0x70
	s_waitcnt vmcnt(0)
	v_mov_b32_e32 v2, 0
	s_and_saveexec_b64 s[14:15], s[2:3]
	s_cbranch_execz .LBB448_16
; %bb.15:
	s_load_dwordx2 s[8:9], s[4:5], 0x10
	s_waitcnt lgkmcnt(0)
	s_mul_hi_i32 s35, s27, s6
	s_mul_i32 s34, s27, s6
	s_lshl_b64 s[34:35], s[34:35], 1
	s_mov_b32 s16, 0x7060302
	s_add_u32 s8, s8, s34
	s_addc_u32 s9, s9, s35
	s_mov_b32 s11, 0x20000
	s_and_b32 s9, s9, 0xffff
	v_perm_b32 v2, v13, v12, s16
	v_perm_b32 v3, v11, v10, s16
	;; [unrolled: 1-line block ×4, first 2 shown]
	v_lshlrev_b32_e32 v15, 4, v0
	buffer_store_dwordx4 v[2:5], v15, s[8:11], 0 offen
	;;#ASMSTART
	s_nop 0
	;;#ASMEND
	s_nop 0
	v_mov_b32_e32 v2, 0x2edbe6ff
.LBB448_16:
	s_or_b64 exec, exec, s[14:15]
	s_and_saveexec_b64 s[8:9], s[2:3]
	s_cbranch_execz .LBB448_18
; %bb.17:
	v_and_b32_e32 v3, 0x7fffffff, v12
	v_and_b32_e32 v4, 0x7fffffff, v13
	;;#ASMSTART
	v_max3_f32 v2, v2, v3, v4

	;;#ASMEND
	v_and_b32_e32 v3, 0x7fffffff, v10
	v_and_b32_e32 v4, 0x7fffffff, v11
	;;#ASMSTART
	v_max3_f32 v2, v2, v3, v4

	;;#ASMEND
	v_and_b32_e32 v3, 0x7fffffff, v8
	v_and_b32_e32 v4, 0x7fffffff, v9
	;;#ASMSTART
	v_max3_f32 v2, v2, v3, v4

	;;#ASMEND
	v_and_b32_e32 v3, 0x7fffffff, v6
	v_and_b32_e32 v4, 0x7fffffff, v7
	;;#ASMSTART
	v_max3_f32 v2, v2, v3, v4

	;;#ASMEND
.LBB448_18:
	s_or_b64 exec, exec, s[8:9]
	;;#ASMSTART
	v_max_f32 v3, v2, v2 quad_perm:[1,0,3,2] row_mask:0xf bank_mask:0xf bound_ctrl:1
	;;#ASMEND
	;;#ASMSTART
	v_max_f32 v2, v3, v3 quad_perm:[2,3,0,1] row_mask:0xf bank_mask:0xf bound_ctrl:1
	;;#ASMEND
	v_and_b32_e32 v3, 3, v0
	v_cmp_eq_u32_e32 vcc, 0, v3
	v_cmp_gt_i32_e64 s[8:9], s19, v1
	s_and_b64 s[10:11], vcc, s[8:9]
	s_and_saveexec_b64 s[8:9], s[10:11]
	s_cbranch_execz .LBB448_20
; %bb.19:
	s_load_dwordx2 s[10:11], s[4:5], 0x8
	v_mul_f32_e32 v2, 0x3e2aaaab, v2
	v_lshrrev_b32_e32 v3, 23, v2
	v_and_b32_e32 v4, 0x7f800000, v2
	v_and_b32_e32 v2, 0x7fffff, v2
	v_cmp_ne_u32_e32 vcc, 0, v2
	s_waitcnt lgkmcnt(0)
	s_mul_i32 s16, s25, s6
	s_mov_b32 s14, 0x7f800000
	v_addc_co_u32_e32 v2, vcc, 0, v3, vcc
	s_mul_hi_i32 s15, s25, s6
	s_add_u32 s10, s10, s16
	v_cmp_ne_u32_e32 vcc, s14, v4
	s_addc_u32 s11, s11, s15
	v_lshrrev_b32_e32 v5, 2, v0
	v_cndmask_b32_e32 v4, -1, v2, vcc
	v_pk_mov_b32 v[2:3], s[10:11], s[10:11] op_sel:[0,1]
	v_mad_i64_i32 v[2:3], s[10:11], s26, v5, v[2:3]
	global_store_byte v[2:3], v4, off
.LBB448_20:
	s_or_b64 exec, exec, s[8:9]
	s_and_saveexec_b64 s[8:9], s[2:3]
	s_cbranch_execz .LBB448_22
; %bb.21:
	s_load_dwordx2 s[2:3], s[4:5], 0x0
	s_waitcnt lgkmcnt(0)
	s_mul_i32 s11, s24, s6
	s_mul_hi_i32 s10, s24, s6
	v_lshlrev_b32_e32 v2, 2, v0
	s_mov_b32 s27, 0x20000
	s_add_u32 s24, s2, s11
	s_addc_u32 s2, s3, s10
	s_lshr_b32 s3, s19, 31
	s_add_i32 s3, s19, s3
	s_ashr_i32 s3, s3, 1
	s_add_i32 s3, s3, 3
	s_ashr_i32 s10, s3, 31
	s_lshr_b32 s10, s10, 30
	s_add_i32 s3, s3, s10
	s_and_b32 s26, s3, -4
	s_and_b32 s25, s2, 0xffff
	v_mov_b32_e32 v3, 0
	buffer_store_dword v3, v2, s[24:27], 0 offen
	;;#ASMSTART
	s_nop 0
	;;#ASMEND
.LBB448_22:
	s_or_b64 exec, exec, s[8:9]
	s_cmp_lt_i32 s20, 1
	s_cbranch_scc1 .LBB448_10
.LBB448_23:
	s_load_dword s2, s[4:5], 0x94
	s_waitcnt lgkmcnt(0)
	s_cmp_lg_u32 s2, 1
	s_cbranch_scc1 .LBB448_10
; %bb.24:
	s_lshl_b32 s2, s20, 1
	s_add_i32 s2, s2, 2
	v_cmp_gt_u32_e32 vcc, s20, v1
	s_and_b32 s14, s2, -4
	v_mov_b32_e32 v6, 0
	v_lshlrev_b32_e32 v1, 4, v0
	v_mov_b32_e32 v7, 0
	v_mov_b32_e32 v8, 0
	;; [unrolled: 1-line block ×3, first 2 shown]
	s_waitcnt vmcnt(0)
	v_mov_b32_e32 v2, 0
	v_mov_b32_e32 v3, 0
	v_mov_b32_e32 v4, 0
	v_mov_b32_e32 v5, 0
	s_barrier
	s_and_saveexec_b64 s[2:3], vcc
	s_cbranch_execz .LBB448_26
; %bb.25:
	s_mul_hi_i32 s5, s22, s6
	s_mul_i32 s4, s22, s6
	s_and_b32 s13, s13, 0xffff
	s_lshl_b64 s[4:5], s[4:5], 1
	s_add_u32 s8, s30, s4
	s_mov_b32 s15, 0x20000
	s_addc_u32 s4, s31, s5
	s_and_b32 s9, s4, 0xffff
	s_mov_b32 s10, s14
	s_mov_b32 s11, s15
	buffer_load_dwordx4 v[6:9], v1, s[8:11], 0 offen glc slc
	buffer_load_dwordx4 v[2:5], v1, s[12:15], 0 offen
.LBB448_26:
	s_or_b64 exec, exec, s[2:3]
	s_waitcnt vmcnt(1)
	v_cvt_f32_u32_sdwa v13, v6 dst_sel:DWORD dst_unused:UNUSED_PAD src0_sel:WORD_1
	v_cvt_f32_u32_sdwa v12, v6 dst_sel:DWORD dst_unused:UNUSED_PAD src0_sel:WORD_0
	v_cvt_f32_u32_sdwa v6, v9 dst_sel:DWORD dst_unused:UNUSED_PAD src0_sel:WORD_1
	v_cvt_f32_u32_sdwa v9, v9 dst_sel:DWORD dst_unused:UNUSED_PAD src0_sel:WORD_0
	;; [unrolled: 2-line block ×4, first 2 shown]
	v_cndmask_b32_e32 v13, 0, v13, vcc
	v_cndmask_b32_e32 v7, 0, v6, vcc
	;; [unrolled: 1-line block ×5, first 2 shown]
	v_mul_f32_e32 v15, v13, v13
	v_cndmask_b32_e32 v10, 0, v10, vcc
	v_fmac_f32_e32 v15, v12, v12
	v_cndmask_b32_e32 v11, 0, v11, vcc
	v_fmac_f32_e32 v15, v10, v10
	;; [unrolled: 2-line block ×3, first 2 shown]
	v_fmac_f32_e32 v15, v8, v8
	v_fmac_f32_e32 v15, v9, v9
	v_fmac_f32_e32 v15, v6, v6
	v_fmac_f32_e32 v15, v7, v7
	s_nop 1
	v_mov_b32_dpp v16, v15 quad_perm:[1,0,3,2] row_mask:0xf bank_mask:0xf
	v_add_f32_e32 v15, v15, v16
	s_nop 1
	v_mov_b32_dpp v16, v15 quad_perm:[2,3,0,1] row_mask:0xf bank_mask:0xf
	v_add_f32_e32 v15, v15, v16
	s_nop 1
	v_mov_b32_dpp v16, v15 row_half_mirror row_mask:0xf bank_mask:0xf
	v_add_f32_e32 v15, v15, v16
	s_nop 1
	v_mov_b32_dpp v16, v15 row_mirror row_mask:0xf bank_mask:0xf
	v_add_f32_e32 v15, v15, v16
	s_nop 1
	v_mov_b32_dpp v16, v15 row_bcast:15 row_mask:0xf bank_mask:0xf
	v_add_f32_e32 v15, v15, v16
	s_nop 1
	v_mov_b32_dpp v16, v15 row_bcast:31 row_mask:0xf bank_mask:0xf
	s_and_saveexec_b64 s[2:3], s[0:1]
	s_cbranch_execz .LBB448_28
; %bb.27:
	v_lshrrev_b32_e32 v0, 4, v0
	v_add_f32_e32 v15, v15, v16
	v_and_b32_e32 v0, 60, v0
	ds_write_b32 v0, v15
.LBB448_28:
	s_or_b64 exec, exec, s[2:3]
	s_waitcnt lgkmcnt(0)
	s_barrier
	ds_read_b32 v0, v14
	s_waitcnt lgkmcnt(0)
	s_nop 0
	v_mov_b32_dpp v14, v0 quad_perm:[1,0,3,2] row_mask:0xf bank_mask:0xf
	s_and_saveexec_b64 s[0:1], vcc
	s_cbranch_execz .LBB448_10
; %bb.29:
	v_cvt_f32_u32_e32 v15, s20
	v_add_f32_e32 v0, v0, v14
	s_mov_b32 s15, 0x20000
	v_div_scale_f32 v14, s[0:1], v15, v15, v0
	v_rcp_f32_e32 v16, v14
	v_div_scale_f32 v17, vcc, v0, v15, v0
	s_mov_b32 s0, 0x800000
	v_fma_f32 v18, -v14, v16, 1.0
	v_fmac_f32_e32 v16, v18, v16
	v_mul_f32_e32 v18, v17, v16
	v_fma_f32 v19, -v14, v18, v17
	v_fmac_f32_e32 v18, v19, v16
	v_fma_f32 v14, -v14, v18, v17
	v_div_fmas_f32 v14, v14, v16, v18
	v_div_fixup_f32 v0, v14, v15, v0
	v_add_f32_e32 v0, s17, v0
	v_mul_f32_e32 v14, 0x4b800000, v0
	v_cmp_gt_f32_e32 vcc, s0, v0
	v_cndmask_b32_e32 v0, v0, v14, vcc
	v_rsq_f32_e32 v0, v0
	s_mul_hi_i32 s1, s7, s6
	s_mul_i32 s0, s7, s6
	s_lshl_b64 s[0:1], s[0:1], 1
	v_mul_f32_e32 v14, 0x45800000, v0
	v_cndmask_b32_e32 v14, v0, v14, vcc
	s_add_u32 s12, s28, s0
	v_mov_b32_e32 v15, v14
	s_addc_u32 s0, s29, s1
	;;#ASMSTART
	v_pk_mul_f32 v[12:13], v[12:13], v[14:15]
	;;#ASMEND
	;;#ASMSTART
	v_pk_mul_f32 v[10:11], v[10:11], v[14:15]
	;;#ASMEND
	;; [unrolled: 3-line block ×4, first 2 shown]
	s_waitcnt vmcnt(0)
	v_cvt_f32_u32_sdwa v15, v2 dst_sel:DWORD dst_unused:UNUSED_PAD src0_sel:WORD_1
	v_cvt_f32_u32_sdwa v14, v2 dst_sel:DWORD dst_unused:UNUSED_PAD src0_sel:WORD_0
	v_cvt_f32_u32_sdwa v17, v3 dst_sel:DWORD dst_unused:UNUSED_PAD src0_sel:WORD_1
	v_cvt_f32_u32_sdwa v16, v3 dst_sel:DWORD dst_unused:UNUSED_PAD src0_sel:WORD_0
	;; [unrolled: 2-line block ×4, first 2 shown]
	;;#ASMSTART
	v_pk_mul_f32 v[4:5], v[12:13], v[14:15]
	;;#ASMEND
	s_and_b32 s13, s0, 0xffff
	s_mov_b32 s0, 0x7060302
	;;#ASMSTART
	v_pk_mul_f32 v[10:11], v[10:11], v[16:17]
	;;#ASMEND
	;;#ASMSTART
	v_pk_mul_f32 v[8:9], v[8:9], v[2:3]
	;;#ASMEND
	;; [unrolled: 3-line block ×3, first 2 shown]
	v_perm_b32 v2, v5, v4, s0
	v_perm_b32 v3, v11, v10, s0
	;; [unrolled: 1-line block ×4, first 2 shown]
	buffer_store_dwordx4 v[2:5], v1, s[12:15], 0 offen
	;;#ASMSTART
	s_nop 0
	;;#ASMEND
	s_endpgm
	.section	.rodata,"a",@progbits
	.p2align	6, 0x0
	.amdhsa_kernel _ZN5aiter35fused_qk_rmsnorm_group_quant_kernelItN4opus5fp4_tELi128ELi8ELi4ELb0ELb1ELb0ELb0ELb0ELb0EEEvPT0_PvPT_S7_S7_PKS6_S9_S9_S9_S9_ffiiiiiiiiiiiii
		.amdhsa_group_segment_fixed_size 16
		.amdhsa_private_segment_fixed_size 0
		.amdhsa_kernarg_size 400
		.amdhsa_user_sgpr_count 6
		.amdhsa_user_sgpr_private_segment_buffer 1
		.amdhsa_user_sgpr_dispatch_ptr 0
		.amdhsa_user_sgpr_queue_ptr 0
		.amdhsa_user_sgpr_kernarg_segment_ptr 1
		.amdhsa_user_sgpr_dispatch_id 0
		.amdhsa_user_sgpr_flat_scratch_init 0
		.amdhsa_user_sgpr_kernarg_preload_length 0
		.amdhsa_user_sgpr_kernarg_preload_offset 0
		.amdhsa_user_sgpr_private_segment_size 0
		.amdhsa_uses_dynamic_stack 0
		.amdhsa_system_sgpr_private_segment_wavefront_offset 0
		.amdhsa_system_sgpr_workgroup_id_x 1
		.amdhsa_system_sgpr_workgroup_id_y 1
		.amdhsa_system_sgpr_workgroup_id_z 0
		.amdhsa_system_sgpr_workgroup_info 0
		.amdhsa_system_vgpr_workitem_id 0
		.amdhsa_next_free_vgpr 23
		.amdhsa_next_free_sgpr 36
		.amdhsa_accum_offset 24
		.amdhsa_reserve_vcc 1
		.amdhsa_reserve_flat_scratch 0
		.amdhsa_float_round_mode_32 0
		.amdhsa_float_round_mode_16_64 0
		.amdhsa_float_denorm_mode_32 3
		.amdhsa_float_denorm_mode_16_64 3
		.amdhsa_dx10_clamp 1
		.amdhsa_ieee_mode 1
		.amdhsa_fp16_overflow 0
		.amdhsa_tg_split 0
		.amdhsa_exception_fp_ieee_invalid_op 0
		.amdhsa_exception_fp_denorm_src 0
		.amdhsa_exception_fp_ieee_div_zero 0
		.amdhsa_exception_fp_ieee_overflow 0
		.amdhsa_exception_fp_ieee_underflow 0
		.amdhsa_exception_fp_ieee_inexact 0
		.amdhsa_exception_int_div_zero 0
	.end_amdhsa_kernel
	.section	.text._ZN5aiter35fused_qk_rmsnorm_group_quant_kernelItN4opus5fp4_tELi128ELi8ELi4ELb0ELb1ELb0ELb0ELb0ELb0EEEvPT0_PvPT_S7_S7_PKS6_S9_S9_S9_S9_ffiiiiiiiiiiiii,"axG",@progbits,_ZN5aiter35fused_qk_rmsnorm_group_quant_kernelItN4opus5fp4_tELi128ELi8ELi4ELb0ELb1ELb0ELb0ELb0ELb0EEEvPT0_PvPT_S7_S7_PKS6_S9_S9_S9_S9_ffiiiiiiiiiiiii,comdat
.Lfunc_end448:
	.size	_ZN5aiter35fused_qk_rmsnorm_group_quant_kernelItN4opus5fp4_tELi128ELi8ELi4ELb0ELb1ELb0ELb0ELb0ELb0EEEvPT0_PvPT_S7_S7_PKS6_S9_S9_S9_S9_ffiiiiiiiiiiiii, .Lfunc_end448-_ZN5aiter35fused_qk_rmsnorm_group_quant_kernelItN4opus5fp4_tELi128ELi8ELi4ELb0ELb1ELb0ELb0ELb0ELb0EEEvPT0_PvPT_S7_S7_PKS6_S9_S9_S9_S9_ffiiiiiiiiiiiii
                                        ; -- End function
	.section	.AMDGPU.csdata,"",@progbits
; Kernel info:
; codeLenInByte = 2396
; NumSgprs: 40
; NumVgprs: 23
; NumAgprs: 0
; TotalNumVgprs: 23
; ScratchSize: 0
; MemoryBound: 0
; FloatMode: 240
; IeeeMode: 1
; LDSByteSize: 16 bytes/workgroup (compile time only)
; SGPRBlocks: 4
; VGPRBlocks: 2
; NumSGPRsForWavesPerEU: 40
; NumVGPRsForWavesPerEU: 23
; AccumOffset: 24
; Occupancy: 8
; WaveLimiterHint : 0
; COMPUTE_PGM_RSRC2:SCRATCH_EN: 0
; COMPUTE_PGM_RSRC2:USER_SGPR: 6
; COMPUTE_PGM_RSRC2:TRAP_HANDLER: 0
; COMPUTE_PGM_RSRC2:TGID_X_EN: 1
; COMPUTE_PGM_RSRC2:TGID_Y_EN: 1
; COMPUTE_PGM_RSRC2:TGID_Z_EN: 0
; COMPUTE_PGM_RSRC2:TIDIG_COMP_CNT: 0
; COMPUTE_PGM_RSRC3_GFX90A:ACCUM_OFFSET: 5
; COMPUTE_PGM_RSRC3_GFX90A:TG_SPLIT: 0
	.section	.text._ZN5aiter35fused_qk_rmsnorm_group_quant_kernelIDF16_DB8_Li128ELi8ELi4ELb0ELb0ELb1ELb0ELb0ELb0EEEvPT0_PvPT_S6_S6_PKS5_S8_S8_S8_S8_ffiiiiiiiiiiiii,"axG",@progbits,_ZN5aiter35fused_qk_rmsnorm_group_quant_kernelIDF16_DB8_Li128ELi8ELi4ELb0ELb0ELb1ELb0ELb0ELb0EEEvPT0_PvPT_S6_S6_PKS5_S8_S8_S8_S8_ffiiiiiiiiiiiii,comdat
	.protected	_ZN5aiter35fused_qk_rmsnorm_group_quant_kernelIDF16_DB8_Li128ELi8ELi4ELb0ELb0ELb1ELb0ELb0ELb0EEEvPT0_PvPT_S6_S6_PKS5_S8_S8_S8_S8_ffiiiiiiiiiiiii ; -- Begin function _ZN5aiter35fused_qk_rmsnorm_group_quant_kernelIDF16_DB8_Li128ELi8ELi4ELb0ELb0ELb1ELb0ELb0ELb0EEEvPT0_PvPT_S6_S6_PKS5_S8_S8_S8_S8_ffiiiiiiiiiiiii
	.globl	_ZN5aiter35fused_qk_rmsnorm_group_quant_kernelIDF16_DB8_Li128ELi8ELi4ELb0ELb0ELb1ELb0ELb0ELb0EEEvPT0_PvPT_S6_S6_PKS5_S8_S8_S8_S8_ffiiiiiiiiiiiii
	.p2align	8
	.type	_ZN5aiter35fused_qk_rmsnorm_group_quant_kernelIDF16_DB8_Li128ELi8ELi4ELb0ELb0ELb1ELb0ELb0ELb0EEEvPT0_PvPT_S6_S6_PKS5_S8_S8_S8_S8_ffiiiiiiiiiiiii,@function
_ZN5aiter35fused_qk_rmsnorm_group_quant_kernelIDF16_DB8_Li128ELi8ELi4ELb0ELb0ELb1ELb0ELb0ELb0EEEvPT0_PvPT_S6_S6_PKS5_S8_S8_S8_S8_ffiiiiiiiiiiiii: ; @_ZN5aiter35fused_qk_rmsnorm_group_quant_kernelIDF16_DB8_Li128ELi8ELi4ELb0ELb0ELb1ELb0ELb0ELb0EEEvPT0_PvPT_S6_S6_PKS5_S8_S8_S8_S8_ffiiiiiiiiiiiii
; %bb.0:
	s_load_dwordx4 s[16:19], s[4:5], 0x50
	s_waitcnt lgkmcnt(0)
	s_cmp_ge_i32 s6, s18
	s_cbranch_scc1 .LBB449_12
; %bb.1:
	s_load_dwordx2 s[12:13], s[4:5], 0x48
	s_load_dwordx2 s[30:31], s[4:5], 0x30
	s_load_dwordx4 s[20:23], s[4:5], 0x60
	s_cmp_lg_u32 s7, 0
	s_cselect_b64 s[14:15], -1, 0
	s_cmp_eq_u32 s7, 0
	s_cselect_b64 vcc, -1, 0
	s_and_b64 s[0:1], vcc, exec
	s_waitcnt lgkmcnt(0)
	s_cselect_b32 s7, s19, s20
	s_add_i32 s0, s7, 1
	s_lshr_b32 s1, s0, 31
	s_add_i32 s0, s0, s1
	s_lshl_b32 s0, s0, 1
	v_lshlrev_b32_e32 v1, 3, v0
	s_and_b32 s10, s0, -4
	v_cmp_gt_i32_e64 s[2:3], s7, v1
	v_mov_b32_e32 v10, 0
	v_mov_b32_e32 v2, 0
	v_mov_b32_e32 v3, 0
	v_mov_b32_e32 v4, 0
	v_mov_b32_e32 v5, 0
	v_mov_b32_e32 v6, 0
	v_mov_b32_e32 v7, 0
	v_mov_b32_e32 v8, 0
	v_mov_b32_e32 v9, 0
	s_and_saveexec_b64 s[0:1], s[2:3]
	s_cbranch_execz .LBB449_3
; %bb.2:
	s_load_dwordx2 s[8:9], s[4:5], 0x28
	s_load_dwordx2 s[26:27], s[4:5], 0x40
	s_and_b64 s[24:25], vcc, exec
	s_cselect_b32 s11, s21, s22
	v_lshlrev_b32_e32 v11, 4, v0
	s_waitcnt lgkmcnt(0)
	s_cselect_b32 s18, s9, s31
	s_cselect_b32 s21, s8, s30
	s_mul_hi_i32 s9, s11, s6
	s_mul_i32 s8, s11, s6
	s_lshl_b64 s[8:9], s[8:9], 1
	s_add_u32 s24, s21, s8
	s_addc_u32 s18, s18, s9
	s_and_b64 s[8:9], vcc, exec
	s_mov_b32 s11, 0x20000
	s_cselect_b32 s8, s26, s12
	s_cselect_b32 s9, s27, s13
	s_and_b32 s25, s18, 0xffff
	s_mov_b32 s26, s10
	s_mov_b32 s27, s11
	s_and_b32 s9, s9, 0xffff
	buffer_load_dwordx4 v[6:9], v11, s[24:27], 0 offen glc slc
	buffer_load_dwordx4 v[2:5], v11, s[8:11], 0 offen
.LBB449_3:
	s_or_b64 exec, exec, s[0:1]
	v_mov_b32_e32 v11, 0
	v_mov_b32_e32 v16, 0
	;; [unrolled: 1-line block ×7, first 2 shown]
	s_and_saveexec_b64 s[0:1], s[2:3]
	s_cbranch_execz .LBB449_5
; %bb.4:
	s_waitcnt vmcnt(1)
	v_cvt_f32_f16_sdwa v11, v6 dst_sel:DWORD dst_unused:UNUSED_PAD src0_sel:WORD_1
	v_cvt_f32_f16_e32 v10, v6
	v_cvt_f32_f16_sdwa v17, v7 dst_sel:DWORD dst_unused:UNUSED_PAD src0_sel:WORD_1
	v_cvt_f32_f16_e32 v16, v7
	;; [unrolled: 2-line block ×4, first 2 shown]
.LBB449_5:
	s_or_b64 exec, exec, s[0:1]
	s_waitcnt vmcnt(1)
	v_mul_f32_e32 v6, v11, v11
	v_fmac_f32_e32 v6, v10, v10
	v_fmac_f32_e32 v6, v16, v16
	;; [unrolled: 1-line block ×7, first 2 shown]
	v_and_b32_e32 v8, 63, v0
	v_cmp_eq_u32_e64 s[0:1], 63, v8
	v_mov_b32_dpp v7, v6 quad_perm:[1,0,3,2] row_mask:0xf bank_mask:0xf
	v_add_f32_e32 v6, v6, v7
	s_nop 1
	v_mov_b32_dpp v7, v6 quad_perm:[2,3,0,1] row_mask:0xf bank_mask:0xf
	v_add_f32_e32 v6, v6, v7
	s_nop 1
	v_mov_b32_dpp v7, v6 row_half_mirror row_mask:0xf bank_mask:0xf
	v_add_f32_e32 v6, v6, v7
	s_nop 1
	v_mov_b32_dpp v7, v6 row_mirror row_mask:0xf bank_mask:0xf
	v_add_f32_e32 v6, v6, v7
	s_nop 1
	v_mov_b32_dpp v7, v6 row_bcast:15 row_mask:0xf bank_mask:0xf
	v_add_f32_e32 v6, v6, v7
	s_nop 1
	v_mov_b32_dpp v7, v6 row_bcast:31 row_mask:0xf bank_mask:0xf
	s_and_saveexec_b64 s[8:9], s[0:1]
	s_cbranch_execz .LBB449_7
; %bb.6:
	v_add_f32_e32 v6, v6, v7
	v_lshrrev_b32_e32 v7, 4, v0
	v_and_b32_e32 v7, 60, v7
	ds_write_b32 v7, v6 offset:8
.LBB449_7:
	s_or_b64 exec, exec, s[8:9]
	v_and_b32_e32 v6, 1, v0
	v_lshlrev_b32_e32 v18, 2, v6
	s_waitcnt lgkmcnt(0)
	s_barrier
	ds_read_b32 v6, v18 offset:8
	s_load_dwordx2 s[28:29], s[4:5], 0x18
	s_waitcnt lgkmcnt(0)
	v_mov_b32_dpp v7, v6 quad_perm:[1,0,3,2] row_mask:0xf bank_mask:0xf
	s_and_saveexec_b64 s[8:9], s[2:3]
	s_cbranch_execz .LBB449_9
; %bb.8:
	v_cvt_f32_u32_e32 v8, s7
	v_add_f32_e32 v6, v6, v7
	v_mov_b32_e32 v19, s17
	v_mov_b32_e32 v20, s16
	v_div_scale_f32 v7, s[24:25], v8, v8, v6
	v_rcp_f32_e32 v9, v7
	v_cndmask_b32_e32 v19, v19, v20, vcc
	s_mov_b32 s7, 0x800000
	v_fma_f32 v20, -v7, v9, 1.0
	v_fmac_f32_e32 v9, v20, v9
	v_div_scale_f32 v20, vcc, v6, v8, v6
	v_mul_f32_e32 v21, v20, v9
	v_fma_f32 v22, -v7, v21, v20
	v_fmac_f32_e32 v21, v22, v9
	v_fma_f32 v7, -v7, v21, v20
	v_div_fmas_f32 v7, v7, v9, v21
	v_div_fixup_f32 v6, v7, v8, v6
	v_add_f32_e32 v6, v19, v6
	v_mul_f32_e32 v7, 0x4b800000, v6
	v_cmp_gt_f32_e32 vcc, s7, v6
	v_cndmask_b32_e32 v6, v6, v7, vcc
	v_rsq_f32_e32 v6, v6
	s_waitcnt vmcnt(0)
	v_cvt_f32_f16_sdwa v21, v3 dst_sel:DWORD dst_unused:UNUSED_PAD src0_sel:WORD_1
	v_cvt_f32_f16_e32 v20, v3
	v_mul_f32_e32 v7, 0x45800000, v6
	v_cndmask_b32_e32 v6, v6, v7, vcc
	v_mov_b32_e32 v7, v6
	;;#ASMSTART
	v_pk_mul_f32 v[8:9], v[10:11], v[6:7]
	;;#ASMEND
	v_cvt_f32_f16_sdwa v11, v2 dst_sel:DWORD dst_unused:UNUSED_PAD src0_sel:WORD_1
	v_cvt_f32_f16_e32 v10, v2
	;;#ASMSTART
	v_pk_mul_f32 v[16:17], v[16:17], v[6:7]
	;;#ASMEND
	;;#ASMSTART
	v_pk_mul_f32 v[14:15], v[14:15], v[6:7]
	;;#ASMEND
	;; [unrolled: 3-line block ×3, first 2 shown]
	v_pk_add_f32 v[6:7], v[10:11], 1.0 op_sel_hi:[1,0]
	;;#ASMSTART
	v_pk_mul_f32 v[10:11], v[8:9], v[6:7]
	;;#ASMEND
	v_cvt_f32_f16_sdwa v9, v4 dst_sel:DWORD dst_unused:UNUSED_PAD src0_sel:WORD_1
	v_cvt_f32_f16_e32 v8, v4
	v_cvt_f32_f16_sdwa v13, v5 dst_sel:DWORD dst_unused:UNUSED_PAD src0_sel:WORD_1
	v_cvt_f32_f16_e32 v12, v5
	v_pk_add_f32 v[6:7], v[20:21], 1.0 op_sel_hi:[1,0]
	v_pk_add_f32 v[4:5], v[8:9], 1.0 op_sel_hi:[1,0]
	;;#ASMSTART
	v_pk_mul_f32 v[16:17], v[16:17], v[6:7]
	;;#ASMEND
	;;#ASMSTART
	v_pk_mul_f32 v[14:15], v[14:15], v[4:5]
	;;#ASMEND
	v_pk_add_f32 v[4:5], v[12:13], 1.0 op_sel_hi:[1,0]
	;;#ASMSTART
	v_pk_mul_f32 v[12:13], v[2:3], v[4:5]
	;;#ASMEND
.LBB449_9:
	s_or_b64 exec, exec, s[8:9]
	s_load_dword s7, s[4:5], 0x80
	s_mov_b64 s[8:9], -1
	s_and_b64 vcc, exec, s[14:15]
	s_cbranch_vccnz .LBB449_13
; %bb.10:
	s_andn2_b64 vcc, exec, s[8:9]
	s_cbranch_vccz .LBB449_16
.LBB449_11:
	s_cmp_lt_i32 s20, 1
	s_cbranch_scc0 .LBB449_23
.LBB449_12:
	s_endpgm
.LBB449_13:
	s_and_saveexec_b64 s[14:15], s[2:3]
	s_cbranch_execz .LBB449_15
; %bb.14:
	s_waitcnt lgkmcnt(0)
	s_mul_hi_i32 s9, s7, s6
	s_mul_i32 s8, s7, s6
	s_waitcnt vmcnt(0)
	v_cvt_f16_f32_e32 v2, v10
	v_cvt_f16_f32_e32 v3, v16
	;; [unrolled: 1-line block ×8, first 2 shown]
	s_lshl_b64 s[8:9], s[8:9], 1
	s_add_u32 s8, s28, s8
	s_addc_u32 s9, s29, s9
	s_and_b32 s9, s9, 0xffff
	s_mov_b32 s11, 0x20000
	v_pack_b32_f16 v5, v5, v6
	v_pack_b32_f16 v4, v4, v7
	;; [unrolled: 1-line block ×4, first 2 shown]
	v_lshlrev_b32_e32 v6, 4, v0
	buffer_store_dwordx4 v[2:5], v6, s[8:11], 0 offen
	;;#ASMSTART
	s_nop 0
	;;#ASMEND
.LBB449_15:
	s_or_b64 exec, exec, s[14:15]
	s_cbranch_execnz .LBB449_11
.LBB449_16:
	s_waitcnt vmcnt(0)
	v_mov_b32_e32 v2, 0
	s_and_saveexec_b64 s[8:9], s[2:3]
	s_cbranch_execz .LBB449_18
; %bb.17:
	v_and_b32_e32 v2, 0x7fffffff, v10
	v_and_b32_e32 v3, 0x7fffffff, v11
	v_mov_b32_e32 v4, 0x2edbe6ff
	;;#ASMSTART
	v_max3_f32 v2, v4, v2, v3

	;;#ASMEND
	v_and_b32_e32 v3, 0x7fffffff, v16
	v_and_b32_e32 v4, 0x7fffffff, v17
	;;#ASMSTART
	v_max3_f32 v2, v2, v3, v4

	;;#ASMEND
	v_and_b32_e32 v3, 0x7fffffff, v14
	v_and_b32_e32 v4, 0x7fffffff, v15
	;; [unrolled: 6-line block ×3, first 2 shown]
	;;#ASMSTART
	v_max3_f32 v2, v2, v3, v4

	;;#ASMEND
.LBB449_18:
	s_or_b64 exec, exec, s[8:9]
	s_load_dwordx4 s[24:27], s[4:5], 0x70
	;;#ASMSTART
	v_max_f32 v3, v2, v2 quad_perm:[1,0,3,2] row_mask:0xf bank_mask:0xf bound_ctrl:1
	;;#ASMEND
	;;#ASMSTART
	v_max_f32 v2, v3, v3 quad_perm:[2,3,0,1] row_mask:0xf bank_mask:0xf bound_ctrl:1
	;;#ASMEND
	v_and_b32_e32 v3, 3, v0
	v_cmp_eq_u32_e32 vcc, 0, v3
	v_cmp_gt_i32_e64 s[8:9], s19, v1
	v_mul_f32_e32 v2, 0x3b124925, v2
	s_and_b64 s[10:11], vcc, s[8:9]
	s_and_saveexec_b64 s[8:9], s[10:11]
	s_cbranch_execz .LBB449_20
; %bb.19:
	s_load_dwordx2 s[10:11], s[4:5], 0x8
	s_waitcnt lgkmcnt(0)
	s_mul_hi_i32 s15, s25, s6
	s_mul_i32 s14, s25, s6
	v_lshrrev_b32_e32 v3, 2, v0
	s_lshl_b64 s[14:15], s[14:15], 2
	v_mad_i64_i32 v[4:5], s[26:27], s26, v3, 0
	s_add_u32 s10, s10, s14
	s_addc_u32 s11, s11, s15
	v_lshlrev_b64 v[4:5], 2, v[4:5]
	v_mov_b32_e32 v3, s11
	v_add_co_u32_e32 v4, vcc, s10, v4
	v_addc_co_u32_e32 v5, vcc, v3, v5, vcc
	global_store_dword v[4:5], v2, off
.LBB449_20:
	s_or_b64 exec, exec, s[8:9]
	;;#ASMSTART
	v_rcp_f32 v2, v2
	;;#ASMEND
	s_and_saveexec_b64 s[14:15], s[2:3]
	s_cbranch_execz .LBB449_22
; %bb.21:
	s_load_dwordx2 s[2:3], s[4:5], 0x0
	s_waitcnt lgkmcnt(0)
	s_mul_i32 s8, s24, s6
	s_mul_hi_i32 s9, s24, s6
	v_mov_b32_e32 v3, v2
	;;#ASMSTART
	v_pk_mul_f32 v[4:5], v[10:11], v[2:3]
	;;#ASMEND
	s_add_u32 s8, s2, s8
	s_addc_u32 s2, s3, s9
	s_add_i32 s3, s19, 3
	s_ashr_i32 s9, s3, 31
	v_mov_b32_e32 v8, 0xc3e00000
	v_mov_b32_e32 v9, 0x43e00000
	;;#ASMSTART
	v_med3_f32 v4, v4, v8, v9
v_med3_f32 v5, v5, v8, v9
v_cvt_pk_fp8_f32 v6, v4, v5
	;;#ASMEND
	s_lshr_b32 s9, s9, 30
	;;#ASMSTART
	v_pk_mul_f32 v[4:5], v[16:17], v[2:3]
	;;#ASMEND
	s_add_i32 s3, s3, s9
	s_and_b32 s9, s2, 0xffff
	;;#ASMSTART
	v_med3_f32 v4, v4, v8, v9
v_med3_f32 v5, v5, v8, v9
v_cvt_pk_fp8_f32 v7, v4, v5
	;;#ASMEND
	s_mov_b32 s2, 0x5040100
	v_perm_b32 v5, v7, v6, s2
	s_movk_i32 s2, 0xff
	v_and_b32_e32 v4, 0xffffff00, v7
	v_and_b32_sdwa v6, v5, s2 dst_sel:DWORD dst_unused:UNUSED_PAD src0_sel:WORD_1 src1_sel:DWORD
	s_mov_b32 s16, 0xffff
	v_or_b32_sdwa v4, v6, v4 dst_sel:WORD_1 dst_unused:UNUSED_PAD src0_sel:DWORD src1_sel:DWORD
	v_and_or_b32 v4, v5, s16, v4
	;;#ASMSTART
	v_pk_mul_f32 v[6:7], v[14:15], v[2:3]
	;;#ASMEND
	v_mov_b32_e32 v5, v7
	;;#ASMSTART
	v_med3_f32 v6, v6, v8, v9
v_med3_f32 v5, v5, v8, v9
v_cvt_pk_fp8_f32 v7, v6, v5
	;;#ASMEND
	;;#ASMSTART
	v_pk_mul_f32 v[2:3], v[12:13], v[2:3]
	;;#ASMEND
	;;#ASMSTART
	v_med3_f32 v2, v2, v8, v9
v_med3_f32 v3, v3, v8, v9
v_cvt_pk_fp8_f32 v5, v2, v3
	;;#ASMEND
	v_lshlrev_b32_e32 v2, 16, v5
	s_and_b32 s10, s3, -4
	s_mov_b32 s11, 0x20000
	v_and_or_b32 v5, v7, s16, v2
	buffer_store_dwordx2 v[4:5], v1, s[8:11], 0 offen
	;;#ASMSTART
	s_nop 0
	;;#ASMEND
.LBB449_22:
	s_or_b64 exec, exec, s[14:15]
	s_cmp_lt_i32 s20, 1
	s_cbranch_scc1 .LBB449_12
.LBB449_23:
	s_load_dword s2, s[4:5], 0x94
	s_waitcnt lgkmcnt(0)
	s_cmp_lg_u32 s2, 1
	s_cbranch_scc1 .LBB449_12
; %bb.24:
	s_lshl_b32 s2, s20, 1
	s_add_i32 s2, s2, 2
	v_cmp_gt_u32_e32 vcc, s20, v1
	s_and_b32 s14, s2, -4
	v_mov_b32_e32 v10, 0
	v_lshlrev_b32_e32 v1, 4, v0
	v_mov_b32_e32 v6, 0
	v_mov_b32_e32 v7, 0
	;; [unrolled: 1-line block ×4, first 2 shown]
	s_waitcnt vmcnt(0)
	v_mov_b32_e32 v2, 0
	v_mov_b32_e32 v3, 0
	;; [unrolled: 1-line block ×4, first 2 shown]
	s_barrier
	s_and_saveexec_b64 s[2:3], vcc
	s_cbranch_execz .LBB449_26
; %bb.25:
	s_mul_hi_i32 s5, s22, s6
	s_mul_i32 s4, s22, s6
	s_and_b32 s13, s13, 0xffff
	s_lshl_b64 s[4:5], s[4:5], 1
	s_add_u32 s8, s30, s4
	s_mov_b32 s15, 0x20000
	s_addc_u32 s4, s31, s5
	s_and_b32 s9, s4, 0xffff
	s_mov_b32 s10, s14
	s_mov_b32 s11, s15
	buffer_load_dwordx4 v[6:9], v1, s[8:11], 0 offen glc slc
	buffer_load_dwordx4 v[2:5], v1, s[12:15], 0 offen
.LBB449_26:
	s_or_b64 exec, exec, s[2:3]
	v_mov_b32_e32 v11, 0
	v_mov_b32_e32 v16, 0
	;; [unrolled: 1-line block ×7, first 2 shown]
	s_and_saveexec_b64 s[2:3], vcc
	s_cbranch_execz .LBB449_28
; %bb.27:
	s_waitcnt vmcnt(1)
	v_cvt_f32_f16_sdwa v11, v6 dst_sel:DWORD dst_unused:UNUSED_PAD src0_sel:WORD_1
	v_cvt_f32_f16_e32 v10, v6
	v_cvt_f32_f16_sdwa v17, v7 dst_sel:DWORD dst_unused:UNUSED_PAD src0_sel:WORD_1
	v_cvt_f32_f16_e32 v16, v7
	;; [unrolled: 2-line block ×4, first 2 shown]
.LBB449_28:
	s_or_b64 exec, exec, s[2:3]
	s_waitcnt vmcnt(1)
	v_mul_f32_e32 v6, v11, v11
	v_fmac_f32_e32 v6, v10, v10
	v_fmac_f32_e32 v6, v16, v16
	;; [unrolled: 1-line block ×7, first 2 shown]
	s_nop 1
	v_mov_b32_dpp v7, v6 quad_perm:[1,0,3,2] row_mask:0xf bank_mask:0xf
	v_add_f32_e32 v6, v6, v7
	s_nop 1
	v_mov_b32_dpp v7, v6 quad_perm:[2,3,0,1] row_mask:0xf bank_mask:0xf
	v_add_f32_e32 v6, v6, v7
	s_nop 1
	v_mov_b32_dpp v7, v6 row_half_mirror row_mask:0xf bank_mask:0xf
	v_add_f32_e32 v6, v6, v7
	s_nop 1
	v_mov_b32_dpp v7, v6 row_mirror row_mask:0xf bank_mask:0xf
	v_add_f32_e32 v6, v6, v7
	s_nop 1
	v_mov_b32_dpp v7, v6 row_bcast:15 row_mask:0xf bank_mask:0xf
	v_add_f32_e32 v6, v6, v7
	s_nop 1
	v_mov_b32_dpp v7, v6 row_bcast:31 row_mask:0xf bank_mask:0xf
	s_and_saveexec_b64 s[2:3], s[0:1]
	s_cbranch_execz .LBB449_30
; %bb.29:
	v_lshrrev_b32_e32 v0, 4, v0
	v_add_f32_e32 v6, v6, v7
	v_and_b32_e32 v0, 60, v0
	ds_write_b32 v0, v6
.LBB449_30:
	s_or_b64 exec, exec, s[2:3]
	s_waitcnt lgkmcnt(0)
	s_barrier
	ds_read_b32 v0, v18
	s_waitcnt lgkmcnt(0)
	s_nop 0
	v_mov_b32_dpp v6, v0 quad_perm:[1,0,3,2] row_mask:0xf bank_mask:0xf
	s_and_saveexec_b64 s[0:1], vcc
	s_cbranch_execz .LBB449_12
; %bb.31:
	v_cvt_f32_u32_e32 v7, s20
	v_add_f32_e32 v0, v0, v6
	s_mov_b32 s15, 0x20000
	v_div_scale_f32 v6, s[0:1], v7, v7, v0
	v_rcp_f32_e32 v8, v6
	v_div_scale_f32 v9, vcc, v0, v7, v0
	s_mov_b32 s0, 0x800000
	v_fma_f32 v18, -v6, v8, 1.0
	v_fmac_f32_e32 v8, v18, v8
	v_mul_f32_e32 v18, v9, v8
	v_fma_f32 v19, -v6, v18, v9
	v_fmac_f32_e32 v18, v19, v8
	v_fma_f32 v6, -v6, v18, v9
	v_div_fmas_f32 v6, v6, v8, v18
	v_div_fixup_f32 v0, v6, v7, v0
	v_add_f32_e32 v0, s17, v0
	v_mul_f32_e32 v6, 0x4b800000, v0
	v_cmp_gt_f32_e32 vcc, s0, v0
	v_cndmask_b32_e32 v0, v0, v6, vcc
	v_rsq_f32_e32 v0, v0
	s_waitcnt vmcnt(0)
	v_cvt_f32_f16_sdwa v19, v3 dst_sel:DWORD dst_unused:UNUSED_PAD src0_sel:WORD_1
	v_cvt_f32_f16_e32 v18, v3
	s_mul_hi_i32 s1, s7, s6
	v_mul_f32_e32 v6, 0x45800000, v0
	v_cndmask_b32_e32 v6, v0, v6, vcc
	v_mov_b32_e32 v7, v6
	;;#ASMSTART
	v_pk_mul_f32 v[8:9], v[10:11], v[6:7]
	;;#ASMEND
	;;#ASMSTART
	v_pk_mul_f32 v[10:11], v[16:17], v[6:7]
	;;#ASMEND
	v_cvt_f32_f16_sdwa v17, v2 dst_sel:DWORD dst_unused:UNUSED_PAD src0_sel:WORD_1
	v_cvt_f32_f16_e32 v16, v2
	;;#ASMSTART
	v_pk_mul_f32 v[14:15], v[14:15], v[6:7]
	;;#ASMEND
	;;#ASMSTART
	v_pk_mul_f32 v[2:3], v[12:13], v[6:7]
	;;#ASMEND
	v_cvt_f32_f16_sdwa v13, v4 dst_sel:DWORD dst_unused:UNUSED_PAD src0_sel:WORD_1
	v_cvt_f32_f16_e32 v12, v4
	v_pk_add_f32 v[6:7], v[16:17], 1.0 op_sel_hi:[1,0]
	v_cvt_f32_f16_sdwa v17, v5 dst_sel:DWORD dst_unused:UNUSED_PAD src0_sel:WORD_1
	v_cvt_f32_f16_e32 v16, v5
	;;#ASMSTART
	v_pk_mul_f32 v[6:7], v[8:9], v[6:7]
	;;#ASMEND
	v_pk_add_f32 v[8:9], v[18:19], 1.0 op_sel_hi:[1,0]
	;;#ASMSTART
	v_pk_mul_f32 v[4:5], v[10:11], v[8:9]
	;;#ASMEND
	v_pk_add_f32 v[8:9], v[12:13], 1.0 op_sel_hi:[1,0]
	;; [unrolled: 4-line block ×3, first 2 shown]
	;;#ASMSTART
	v_pk_mul_f32 v[2:3], v[2:3], v[10:11]
	;;#ASMEND
	s_mul_i32 s0, s7, s6
	v_cvt_f16_f32_e32 v0, v6
	v_cvt_f16_f32_e32 v6, v7
	;; [unrolled: 1-line block ×8, first 2 shown]
	s_lshl_b64 s[0:1], s[0:1], 1
	s_add_u32 s12, s28, s0
	s_addc_u32 s0, s29, s1
	s_and_b32 s13, s0, 0xffff
	v_pack_b32_f16 v2, v0, v6
	v_pack_b32_f16 v3, v4, v5
	;; [unrolled: 1-line block ×4, first 2 shown]
	buffer_store_dwordx4 v[2:5], v1, s[12:15], 0 offen
	;;#ASMSTART
	s_nop 0
	;;#ASMEND
	s_endpgm
	.section	.rodata,"a",@progbits
	.p2align	6, 0x0
	.amdhsa_kernel _ZN5aiter35fused_qk_rmsnorm_group_quant_kernelIDF16_DB8_Li128ELi8ELi4ELb0ELb0ELb1ELb0ELb0ELb0EEEvPT0_PvPT_S6_S6_PKS5_S8_S8_S8_S8_ffiiiiiiiiiiiii
		.amdhsa_group_segment_fixed_size 16
		.amdhsa_private_segment_fixed_size 0
		.amdhsa_kernarg_size 400
		.amdhsa_user_sgpr_count 6
		.amdhsa_user_sgpr_private_segment_buffer 1
		.amdhsa_user_sgpr_dispatch_ptr 0
		.amdhsa_user_sgpr_queue_ptr 0
		.amdhsa_user_sgpr_kernarg_segment_ptr 1
		.amdhsa_user_sgpr_dispatch_id 0
		.amdhsa_user_sgpr_flat_scratch_init 0
		.amdhsa_user_sgpr_kernarg_preload_length 0
		.amdhsa_user_sgpr_kernarg_preload_offset 0
		.amdhsa_user_sgpr_private_segment_size 0
		.amdhsa_uses_dynamic_stack 0
		.amdhsa_system_sgpr_private_segment_wavefront_offset 0
		.amdhsa_system_sgpr_workgroup_id_x 1
		.amdhsa_system_sgpr_workgroup_id_y 1
		.amdhsa_system_sgpr_workgroup_id_z 0
		.amdhsa_system_sgpr_workgroup_info 0
		.amdhsa_system_vgpr_workitem_id 0
		.amdhsa_next_free_vgpr 23
		.amdhsa_next_free_sgpr 32
		.amdhsa_accum_offset 24
		.amdhsa_reserve_vcc 1
		.amdhsa_reserve_flat_scratch 0
		.amdhsa_float_round_mode_32 0
		.amdhsa_float_round_mode_16_64 0
		.amdhsa_float_denorm_mode_32 3
		.amdhsa_float_denorm_mode_16_64 3
		.amdhsa_dx10_clamp 1
		.amdhsa_ieee_mode 1
		.amdhsa_fp16_overflow 0
		.amdhsa_tg_split 0
		.amdhsa_exception_fp_ieee_invalid_op 0
		.amdhsa_exception_fp_denorm_src 0
		.amdhsa_exception_fp_ieee_div_zero 0
		.amdhsa_exception_fp_ieee_overflow 0
		.amdhsa_exception_fp_ieee_underflow 0
		.amdhsa_exception_fp_ieee_inexact 0
		.amdhsa_exception_int_div_zero 0
	.end_amdhsa_kernel
	.section	.text._ZN5aiter35fused_qk_rmsnorm_group_quant_kernelIDF16_DB8_Li128ELi8ELi4ELb0ELb0ELb1ELb0ELb0ELb0EEEvPT0_PvPT_S6_S6_PKS5_S8_S8_S8_S8_ffiiiiiiiiiiiii,"axG",@progbits,_ZN5aiter35fused_qk_rmsnorm_group_quant_kernelIDF16_DB8_Li128ELi8ELi4ELb0ELb0ELb1ELb0ELb0ELb0EEEvPT0_PvPT_S6_S6_PKS5_S8_S8_S8_S8_ffiiiiiiiiiiiii,comdat
.Lfunc_end449:
	.size	_ZN5aiter35fused_qk_rmsnorm_group_quant_kernelIDF16_DB8_Li128ELi8ELi4ELb0ELb0ELb1ELb0ELb0ELb0EEEvPT0_PvPT_S6_S6_PKS5_S8_S8_S8_S8_ffiiiiiiiiiiiii, .Lfunc_end449-_ZN5aiter35fused_qk_rmsnorm_group_quant_kernelIDF16_DB8_Li128ELi8ELi4ELb0ELb0ELb1ELb0ELb0ELb0EEEvPT0_PvPT_S6_S6_PKS5_S8_S8_S8_S8_ffiiiiiiiiiiiii
                                        ; -- End function
	.section	.AMDGPU.csdata,"",@progbits
; Kernel info:
; codeLenInByte = 2504
; NumSgprs: 36
; NumVgprs: 23
; NumAgprs: 0
; TotalNumVgprs: 23
; ScratchSize: 0
; MemoryBound: 0
; FloatMode: 240
; IeeeMode: 1
; LDSByteSize: 16 bytes/workgroup (compile time only)
; SGPRBlocks: 4
; VGPRBlocks: 2
; NumSGPRsForWavesPerEU: 36
; NumVGPRsForWavesPerEU: 23
; AccumOffset: 24
; Occupancy: 8
; WaveLimiterHint : 0
; COMPUTE_PGM_RSRC2:SCRATCH_EN: 0
; COMPUTE_PGM_RSRC2:USER_SGPR: 6
; COMPUTE_PGM_RSRC2:TRAP_HANDLER: 0
; COMPUTE_PGM_RSRC2:TGID_X_EN: 1
; COMPUTE_PGM_RSRC2:TGID_Y_EN: 1
; COMPUTE_PGM_RSRC2:TGID_Z_EN: 0
; COMPUTE_PGM_RSRC2:TIDIG_COMP_CNT: 0
; COMPUTE_PGM_RSRC3_GFX90A:ACCUM_OFFSET: 5
; COMPUTE_PGM_RSRC3_GFX90A:TG_SPLIT: 0
	.section	.text._ZN5aiter35fused_qk_rmsnorm_group_quant_kernelItDB8_Li128ELi8ELi4ELb0ELb0ELb1ELb0ELb0ELb0EEEvPT0_PvPT_S6_S6_PKS5_S8_S8_S8_S8_ffiiiiiiiiiiiii,"axG",@progbits,_ZN5aiter35fused_qk_rmsnorm_group_quant_kernelItDB8_Li128ELi8ELi4ELb0ELb0ELb1ELb0ELb0ELb0EEEvPT0_PvPT_S6_S6_PKS5_S8_S8_S8_S8_ffiiiiiiiiiiiii,comdat
	.protected	_ZN5aiter35fused_qk_rmsnorm_group_quant_kernelItDB8_Li128ELi8ELi4ELb0ELb0ELb1ELb0ELb0ELb0EEEvPT0_PvPT_S6_S6_PKS5_S8_S8_S8_S8_ffiiiiiiiiiiiii ; -- Begin function _ZN5aiter35fused_qk_rmsnorm_group_quant_kernelItDB8_Li128ELi8ELi4ELb0ELb0ELb1ELb0ELb0ELb0EEEvPT0_PvPT_S6_S6_PKS5_S8_S8_S8_S8_ffiiiiiiiiiiiii
	.globl	_ZN5aiter35fused_qk_rmsnorm_group_quant_kernelItDB8_Li128ELi8ELi4ELb0ELb0ELb1ELb0ELb0ELb0EEEvPT0_PvPT_S6_S6_PKS5_S8_S8_S8_S8_ffiiiiiiiiiiiii
	.p2align	8
	.type	_ZN5aiter35fused_qk_rmsnorm_group_quant_kernelItDB8_Li128ELi8ELi4ELb0ELb0ELb1ELb0ELb0ELb0EEEvPT0_PvPT_S6_S6_PKS5_S8_S8_S8_S8_ffiiiiiiiiiiiii,@function
_ZN5aiter35fused_qk_rmsnorm_group_quant_kernelItDB8_Li128ELi8ELi4ELb0ELb0ELb1ELb0ELb0ELb0EEEvPT0_PvPT_S6_S6_PKS5_S8_S8_S8_S8_ffiiiiiiiiiiiii: ; @_ZN5aiter35fused_qk_rmsnorm_group_quant_kernelItDB8_Li128ELi8ELi4ELb0ELb0ELb1ELb0ELb0ELb0EEEvPT0_PvPT_S6_S6_PKS5_S8_S8_S8_S8_ffiiiiiiiiiiiii
; %bb.0:
	s_load_dwordx4 s[16:19], s[4:5], 0x50
	s_waitcnt lgkmcnt(0)
	s_cmp_ge_i32 s6, s18
	s_cbranch_scc1 .LBB450_10
; %bb.1:
	s_load_dwordx2 s[12:13], s[4:5], 0x48
	s_load_dwordx2 s[30:31], s[4:5], 0x30
	s_load_dwordx4 s[20:23], s[4:5], 0x60
	s_cmp_lg_u32 s7, 0
	s_cselect_b64 s[14:15], -1, 0
	s_cmp_eq_u32 s7, 0
	s_cselect_b64 vcc, -1, 0
	s_and_b64 s[0:1], vcc, exec
	s_waitcnt lgkmcnt(0)
	s_cselect_b32 s7, s19, s20
	s_add_i32 s0, s7, 1
	s_lshr_b32 s1, s0, 31
	s_add_i32 s0, s0, s1
	s_lshl_b32 s0, s0, 1
	v_lshlrev_b32_e32 v1, 3, v0
	s_and_b32 s10, s0, -4
	v_cmp_gt_i32_e64 s[2:3], s7, v1
	v_mov_b32_e32 v2, 0
	v_mov_b32_e32 v3, 0
	;; [unrolled: 1-line block ×8, first 2 shown]
	s_and_saveexec_b64 s[0:1], s[2:3]
	s_cbranch_execz .LBB450_3
; %bb.2:
	s_load_dwordx2 s[8:9], s[4:5], 0x28
	s_load_dwordx2 s[26:27], s[4:5], 0x40
	s_and_b64 s[24:25], vcc, exec
	s_cselect_b32 s11, s21, s22
	v_lshlrev_b32_e32 v10, 4, v0
	s_waitcnt lgkmcnt(0)
	s_cselect_b32 s18, s9, s31
	s_cselect_b32 s21, s8, s30
	s_mul_hi_i32 s9, s11, s6
	s_mul_i32 s8, s11, s6
	s_lshl_b64 s[8:9], s[8:9], 1
	s_add_u32 s24, s21, s8
	s_addc_u32 s18, s18, s9
	s_and_b64 s[8:9], vcc, exec
	s_mov_b32 s11, 0x20000
	s_cselect_b32 s8, s26, s12
	s_cselect_b32 s9, s27, s13
	s_and_b32 s25, s18, 0xffff
	s_mov_b32 s26, s10
	s_mov_b32 s27, s11
	s_and_b32 s9, s9, 0xffff
	buffer_load_dwordx4 v[6:9], v10, s[24:27], 0 offen glc slc
	buffer_load_dwordx4 v[2:5], v10, s[8:11], 0 offen
.LBB450_3:
	s_or_b64 exec, exec, s[0:1]
	s_waitcnt vmcnt(1)
	v_cvt_f32_u32_sdwa v13, v6 dst_sel:DWORD dst_unused:UNUSED_PAD src0_sel:WORD_1
	v_cvt_f32_u32_sdwa v12, v6 dst_sel:DWORD dst_unused:UNUSED_PAD src0_sel:WORD_0
	v_cvt_f32_u32_sdwa v6, v9 dst_sel:DWORD dst_unused:UNUSED_PAD src0_sel:WORD_1
	v_cvt_f32_u32_sdwa v9, v9 dst_sel:DWORD dst_unused:UNUSED_PAD src0_sel:WORD_0
	;; [unrolled: 2-line block ×4, first 2 shown]
	v_cndmask_b32_e64 v13, 0, v13, s[2:3]
	v_cndmask_b32_e64 v7, 0, v6, s[2:3]
	;; [unrolled: 1-line block ×5, first 2 shown]
	v_mul_f32_e32 v14, v13, v13
	v_cndmask_b32_e64 v10, 0, v10, s[2:3]
	v_fmac_f32_e32 v14, v12, v12
	v_cndmask_b32_e64 v11, 0, v11, s[2:3]
	v_fmac_f32_e32 v14, v10, v10
	;; [unrolled: 2-line block ×3, first 2 shown]
	v_fmac_f32_e32 v14, v8, v8
	v_fmac_f32_e32 v14, v9, v9
	;; [unrolled: 1-line block ×4, first 2 shown]
	v_and_b32_e32 v16, 63, v0
	v_cmp_eq_u32_e64 s[0:1], 63, v16
	v_mov_b32_dpp v15, v14 quad_perm:[1,0,3,2] row_mask:0xf bank_mask:0xf
	v_add_f32_e32 v14, v14, v15
	s_nop 1
	v_mov_b32_dpp v15, v14 quad_perm:[2,3,0,1] row_mask:0xf bank_mask:0xf
	v_add_f32_e32 v14, v14, v15
	s_nop 1
	v_mov_b32_dpp v15, v14 row_half_mirror row_mask:0xf bank_mask:0xf
	v_add_f32_e32 v14, v14, v15
	s_nop 1
	v_mov_b32_dpp v15, v14 row_mirror row_mask:0xf bank_mask:0xf
	v_add_f32_e32 v14, v14, v15
	s_nop 1
	v_mov_b32_dpp v15, v14 row_bcast:15 row_mask:0xf bank_mask:0xf
	v_add_f32_e32 v14, v14, v15
	s_nop 1
	v_mov_b32_dpp v15, v14 row_bcast:31 row_mask:0xf bank_mask:0xf
	s_and_saveexec_b64 s[8:9], s[0:1]
	s_cbranch_execz .LBB450_5
; %bb.4:
	v_add_f32_e32 v14, v14, v15
	v_lshrrev_b32_e32 v15, 4, v0
	v_and_b32_e32 v15, 60, v15
	ds_write_b32 v15, v14 offset:8
.LBB450_5:
	s_or_b64 exec, exec, s[8:9]
	v_and_b32_e32 v14, 1, v0
	v_lshlrev_b32_e32 v14, 2, v14
	s_waitcnt lgkmcnt(0)
	s_barrier
	ds_read_b32 v15, v14 offset:8
	s_load_dwordx2 s[28:29], s[4:5], 0x18
	s_waitcnt lgkmcnt(0)
	v_mov_b32_dpp v16, v15 quad_perm:[1,0,3,2] row_mask:0xf bank_mask:0xf
	s_and_saveexec_b64 s[8:9], s[2:3]
	s_cbranch_execz .LBB450_7
; %bb.6:
	v_cvt_f32_u32_e32 v17, s7
	v_add_f32_e32 v15, v15, v16
	v_mov_b32_e32 v19, s17
	v_mov_b32_e32 v20, s16
	v_div_scale_f32 v16, s[24:25], v17, v17, v15
	v_rcp_f32_e32 v18, v16
	v_cndmask_b32_e32 v19, v19, v20, vcc
	s_mov_b32 s7, 0x800000
	v_fma_f32 v20, -v16, v18, 1.0
	v_fmac_f32_e32 v18, v20, v18
	v_div_scale_f32 v20, vcc, v15, v17, v15
	v_mul_f32_e32 v21, v20, v18
	v_fma_f32 v22, -v16, v21, v20
	v_fmac_f32_e32 v21, v22, v18
	v_fma_f32 v16, -v16, v21, v20
	v_div_fmas_f32 v16, v16, v18, v21
	v_div_fixup_f32 v15, v16, v17, v15
	v_add_f32_e32 v15, v19, v15
	v_mul_f32_e32 v16, 0x4b800000, v15
	v_cmp_gt_f32_e32 vcc, s7, v15
	v_cndmask_b32_e32 v15, v15, v16, vcc
	v_rsq_f32_e32 v15, v15
	s_waitcnt vmcnt(0)
	v_cvt_f32_u32_sdwa v19, v2 dst_sel:DWORD dst_unused:UNUSED_PAD src0_sel:WORD_1
	v_cvt_f32_u32_sdwa v18, v2 dst_sel:DWORD dst_unused:UNUSED_PAD src0_sel:WORD_0
	v_cvt_f32_u32_sdwa v21, v3 dst_sel:DWORD dst_unused:UNUSED_PAD src0_sel:WORD_1
	v_mul_f32_e32 v16, 0x45800000, v15
	v_cndmask_b32_e32 v16, v15, v16, vcc
	v_mov_b32_e32 v17, v16
	;;#ASMSTART
	v_pk_mul_f32 v[12:13], v[12:13], v[16:17]
	;;#ASMEND
	;;#ASMSTART
	v_pk_mul_f32 v[10:11], v[10:11], v[16:17]
	;;#ASMEND
	;; [unrolled: 3-line block ×3, first 2 shown]
	v_cvt_f32_u32_sdwa v20, v3 dst_sel:DWORD dst_unused:UNUSED_PAD src0_sel:WORD_0
	;;#ASMSTART
	v_pk_mul_f32 v[2:3], v[6:7], v[16:17]
	;;#ASMEND
	v_cvt_f32_u32_sdwa v17, v4 dst_sel:DWORD dst_unused:UNUSED_PAD src0_sel:WORD_1
	v_cvt_f32_u32_sdwa v16, v4 dst_sel:DWORD dst_unused:UNUSED_PAD src0_sel:WORD_0
	v_pk_add_f32 v[6:7], v[18:19], 1.0 op_sel_hi:[1,0]
	v_cvt_f32_u32_sdwa v19, v5 dst_sel:DWORD dst_unused:UNUSED_PAD src0_sel:WORD_1
	v_cvt_f32_u32_sdwa v18, v5 dst_sel:DWORD dst_unused:UNUSED_PAD src0_sel:WORD_0
	;;#ASMSTART
	v_pk_mul_f32 v[12:13], v[12:13], v[6:7]
	;;#ASMEND
	v_pk_add_f32 v[6:7], v[20:21], 1.0 op_sel_hi:[1,0]
	v_pk_add_f32 v[4:5], v[16:17], 1.0 op_sel_hi:[1,0]
	;;#ASMSTART
	v_pk_mul_f32 v[10:11], v[10:11], v[6:7]
	;;#ASMEND
	;;#ASMSTART
	v_pk_mul_f32 v[8:9], v[8:9], v[4:5]
	;;#ASMEND
	v_pk_add_f32 v[4:5], v[18:19], 1.0 op_sel_hi:[1,0]
	;;#ASMSTART
	v_pk_mul_f32 v[6:7], v[2:3], v[4:5]
	;;#ASMEND
.LBB450_7:
	s_or_b64 exec, exec, s[8:9]
	s_load_dword s7, s[4:5], 0x80
	s_mov_b64 s[8:9], -1
	s_and_b64 vcc, exec, s[14:15]
	s_cbranch_vccnz .LBB450_11
; %bb.8:
	s_andn2_b64 vcc, exec, s[8:9]
	s_cbranch_vccz .LBB450_14
.LBB450_9:
	s_cmp_lt_i32 s20, 1
	s_cbranch_scc0 .LBB450_21
.LBB450_10:
	s_endpgm
.LBB450_11:
	s_and_saveexec_b64 s[14:15], s[2:3]
	s_cbranch_execz .LBB450_13
; %bb.12:
	s_waitcnt lgkmcnt(0)
	s_mul_hi_i32 s9, s7, s6
	s_mul_i32 s8, s7, s6
	s_lshl_b64 s[8:9], s[8:9], 1
	s_add_u32 s8, s28, s8
	s_addc_u32 s9, s29, s9
	s_mov_b32 s16, 0x7060302
	s_and_b32 s9, s9, 0xffff
	s_mov_b32 s11, 0x20000
	s_waitcnt vmcnt(0)
	v_perm_b32 v2, v13, v12, s16
	v_perm_b32 v3, v11, v10, s16
	;; [unrolled: 1-line block ×4, first 2 shown]
	v_lshlrev_b32_e32 v15, 4, v0
	buffer_store_dwordx4 v[2:5], v15, s[8:11], 0 offen
	;;#ASMSTART
	s_nop 0
	;;#ASMEND
.LBB450_13:
	s_or_b64 exec, exec, s[14:15]
	s_cbranch_execnz .LBB450_9
.LBB450_14:
	s_waitcnt vmcnt(0)
	v_mov_b32_e32 v2, 0
	s_and_saveexec_b64 s[8:9], s[2:3]
	s_cbranch_execz .LBB450_16
; %bb.15:
	v_and_b32_e32 v2, 0x7fffffff, v12
	v_and_b32_e32 v3, 0x7fffffff, v13
	v_mov_b32_e32 v4, 0x2edbe6ff
	;;#ASMSTART
	v_max3_f32 v2, v4, v2, v3

	;;#ASMEND
	v_and_b32_e32 v3, 0x7fffffff, v10
	v_and_b32_e32 v4, 0x7fffffff, v11
	;;#ASMSTART
	v_max3_f32 v2, v2, v3, v4

	;;#ASMEND
	v_and_b32_e32 v3, 0x7fffffff, v8
	v_and_b32_e32 v4, 0x7fffffff, v9
	;; [unrolled: 6-line block ×3, first 2 shown]
	;;#ASMSTART
	v_max3_f32 v2, v2, v3, v4

	;;#ASMEND
.LBB450_16:
	s_or_b64 exec, exec, s[8:9]
	s_load_dwordx4 s[24:27], s[4:5], 0x70
	;;#ASMSTART
	v_max_f32 v3, v2, v2 quad_perm:[1,0,3,2] row_mask:0xf bank_mask:0xf bound_ctrl:1
	;;#ASMEND
	;;#ASMSTART
	v_max_f32 v2, v3, v3 quad_perm:[2,3,0,1] row_mask:0xf bank_mask:0xf bound_ctrl:1
	;;#ASMEND
	v_and_b32_e32 v3, 3, v0
	v_cmp_eq_u32_e32 vcc, 0, v3
	v_cmp_gt_i32_e64 s[8:9], s19, v1
	v_mul_f32_e32 v2, 0x3b124925, v2
	s_and_b64 s[10:11], vcc, s[8:9]
	s_and_saveexec_b64 s[8:9], s[10:11]
	s_cbranch_execz .LBB450_18
; %bb.17:
	s_load_dwordx2 s[10:11], s[4:5], 0x8
	s_waitcnt lgkmcnt(0)
	s_mul_hi_i32 s15, s25, s6
	s_mul_i32 s14, s25, s6
	v_lshrrev_b32_e32 v3, 2, v0
	s_lshl_b64 s[14:15], s[14:15], 2
	v_mad_i64_i32 v[4:5], s[26:27], s26, v3, 0
	s_add_u32 s10, s10, s14
	s_addc_u32 s11, s11, s15
	v_lshlrev_b64 v[4:5], 2, v[4:5]
	v_mov_b32_e32 v3, s11
	v_add_co_u32_e32 v4, vcc, s10, v4
	v_addc_co_u32_e32 v5, vcc, v3, v5, vcc
	global_store_dword v[4:5], v2, off
.LBB450_18:
	s_or_b64 exec, exec, s[8:9]
	;;#ASMSTART
	v_rcp_f32 v2, v2
	;;#ASMEND
	s_and_saveexec_b64 s[14:15], s[2:3]
	s_cbranch_execz .LBB450_20
; %bb.19:
	s_load_dwordx2 s[2:3], s[4:5], 0x0
	s_waitcnt lgkmcnt(0)
	s_mul_i32 s8, s24, s6
	s_mul_hi_i32 s9, s24, s6
	v_mov_b32_e32 v3, v2
	;;#ASMSTART
	v_pk_mul_f32 v[4:5], v[12:13], v[2:3]
	;;#ASMEND
	s_add_u32 s8, s2, s8
	s_addc_u32 s2, s3, s9
	s_add_i32 s3, s19, 3
	s_ashr_i32 s9, s3, 31
	v_mov_b32_e32 v12, 0xc3e00000
	v_mov_b32_e32 v13, 0x43e00000
	;;#ASMSTART
	v_med3_f32 v4, v4, v12, v13
v_med3_f32 v5, v5, v12, v13
v_cvt_pk_fp8_f32 v15, v4, v5
	;;#ASMEND
	s_lshr_b32 s9, s9, 30
	;;#ASMSTART
	v_pk_mul_f32 v[4:5], v[10:11], v[2:3]
	;;#ASMEND
	s_add_i32 s3, s3, s9
	s_and_b32 s9, s2, 0xffff
	;;#ASMSTART
	v_med3_f32 v4, v4, v12, v13
v_med3_f32 v5, v5, v12, v13
v_cvt_pk_fp8_f32 v10, v4, v5
	;;#ASMEND
	s_mov_b32 s2, 0x5040100
	v_perm_b32 v5, v10, v15, s2
	s_movk_i32 s2, 0xff
	v_and_b32_e32 v4, 0xffffff00, v10
	v_and_b32_sdwa v10, v5, s2 dst_sel:DWORD dst_unused:UNUSED_PAD src0_sel:WORD_1 src1_sel:DWORD
	s_mov_b32 s16, 0xffff
	v_or_b32_sdwa v4, v10, v4 dst_sel:WORD_1 dst_unused:UNUSED_PAD src0_sel:DWORD src1_sel:DWORD
	v_and_or_b32 v4, v5, s16, v4
	;;#ASMSTART
	v_pk_mul_f32 v[8:9], v[8:9], v[2:3]
	;;#ASMEND
	v_mov_b32_e32 v5, v9
	;;#ASMSTART
	v_med3_f32 v8, v8, v12, v13
v_med3_f32 v5, v5, v12, v13
v_cvt_pk_fp8_f32 v9, v8, v5
	;;#ASMEND
	;;#ASMSTART
	v_pk_mul_f32 v[2:3], v[6:7], v[2:3]
	;;#ASMEND
	;;#ASMSTART
	v_med3_f32 v2, v2, v12, v13
v_med3_f32 v3, v3, v12, v13
v_cvt_pk_fp8_f32 v5, v2, v3
	;;#ASMEND
	v_lshlrev_b32_e32 v2, 16, v5
	s_and_b32 s10, s3, -4
	s_mov_b32 s11, 0x20000
	v_and_or_b32 v5, v9, s16, v2
	buffer_store_dwordx2 v[4:5], v1, s[8:11], 0 offen
	;;#ASMSTART
	s_nop 0
	;;#ASMEND
.LBB450_20:
	s_or_b64 exec, exec, s[14:15]
	s_cmp_lt_i32 s20, 1
	s_cbranch_scc1 .LBB450_10
.LBB450_21:
	s_load_dword s2, s[4:5], 0x94
	s_waitcnt lgkmcnt(0)
	s_cmp_lg_u32 s2, 1
	s_cbranch_scc1 .LBB450_10
; %bb.22:
	s_lshl_b32 s2, s20, 1
	s_add_i32 s2, s2, 2
	v_cmp_gt_u32_e32 vcc, s20, v1
	s_and_b32 s14, s2, -4
	v_mov_b32_e32 v6, 0
	v_lshlrev_b32_e32 v1, 4, v0
	v_mov_b32_e32 v7, 0
	v_mov_b32_e32 v8, 0
	;; [unrolled: 1-line block ×3, first 2 shown]
	s_waitcnt vmcnt(0)
	v_mov_b32_e32 v2, 0
	v_mov_b32_e32 v3, 0
	;; [unrolled: 1-line block ×4, first 2 shown]
	s_barrier
	s_and_saveexec_b64 s[2:3], vcc
	s_cbranch_execz .LBB450_24
; %bb.23:
	s_mul_hi_i32 s5, s22, s6
	s_mul_i32 s4, s22, s6
	s_and_b32 s13, s13, 0xffff
	s_lshl_b64 s[4:5], s[4:5], 1
	s_add_u32 s8, s30, s4
	s_mov_b32 s15, 0x20000
	s_addc_u32 s4, s31, s5
	s_and_b32 s9, s4, 0xffff
	s_mov_b32 s10, s14
	s_mov_b32 s11, s15
	buffer_load_dwordx4 v[6:9], v1, s[8:11], 0 offen glc slc
	buffer_load_dwordx4 v[2:5], v1, s[12:15], 0 offen
.LBB450_24:
	s_or_b64 exec, exec, s[2:3]
	s_waitcnt vmcnt(1)
	v_cvt_f32_u32_sdwa v13, v6 dst_sel:DWORD dst_unused:UNUSED_PAD src0_sel:WORD_1
	v_cvt_f32_u32_sdwa v12, v6 dst_sel:DWORD dst_unused:UNUSED_PAD src0_sel:WORD_0
	v_cvt_f32_u32_sdwa v6, v9 dst_sel:DWORD dst_unused:UNUSED_PAD src0_sel:WORD_1
	v_cvt_f32_u32_sdwa v9, v9 dst_sel:DWORD dst_unused:UNUSED_PAD src0_sel:WORD_0
	;; [unrolled: 2-line block ×4, first 2 shown]
	v_cndmask_b32_e32 v13, 0, v13, vcc
	v_cndmask_b32_e32 v7, 0, v6, vcc
	;; [unrolled: 1-line block ×5, first 2 shown]
	v_mul_f32_e32 v15, v13, v13
	v_cndmask_b32_e32 v10, 0, v10, vcc
	v_fmac_f32_e32 v15, v12, v12
	v_cndmask_b32_e32 v11, 0, v11, vcc
	v_fmac_f32_e32 v15, v10, v10
	;; [unrolled: 2-line block ×3, first 2 shown]
	v_fmac_f32_e32 v15, v8, v8
	v_fmac_f32_e32 v15, v9, v9
	;; [unrolled: 1-line block ×4, first 2 shown]
	s_nop 1
	v_mov_b32_dpp v16, v15 quad_perm:[1,0,3,2] row_mask:0xf bank_mask:0xf
	v_add_f32_e32 v15, v15, v16
	s_nop 1
	v_mov_b32_dpp v16, v15 quad_perm:[2,3,0,1] row_mask:0xf bank_mask:0xf
	v_add_f32_e32 v15, v15, v16
	s_nop 1
	v_mov_b32_dpp v16, v15 row_half_mirror row_mask:0xf bank_mask:0xf
	v_add_f32_e32 v15, v15, v16
	s_nop 1
	v_mov_b32_dpp v16, v15 row_mirror row_mask:0xf bank_mask:0xf
	v_add_f32_e32 v15, v15, v16
	s_nop 1
	v_mov_b32_dpp v16, v15 row_bcast:15 row_mask:0xf bank_mask:0xf
	v_add_f32_e32 v15, v15, v16
	s_nop 1
	v_mov_b32_dpp v16, v15 row_bcast:31 row_mask:0xf bank_mask:0xf
	s_and_saveexec_b64 s[2:3], s[0:1]
	s_cbranch_execz .LBB450_26
; %bb.25:
	v_lshrrev_b32_e32 v0, 4, v0
	v_add_f32_e32 v15, v15, v16
	v_and_b32_e32 v0, 60, v0
	ds_write_b32 v0, v15
.LBB450_26:
	s_or_b64 exec, exec, s[2:3]
	s_waitcnt lgkmcnt(0)
	s_barrier
	ds_read_b32 v0, v14
	s_waitcnt lgkmcnt(0)
	s_nop 0
	v_mov_b32_dpp v14, v0 quad_perm:[1,0,3,2] row_mask:0xf bank_mask:0xf
	s_and_saveexec_b64 s[0:1], vcc
	s_cbranch_execz .LBB450_10
; %bb.27:
	v_cvt_f32_u32_e32 v15, s20
	v_add_f32_e32 v0, v0, v14
	s_mov_b32 s15, 0x20000
	v_div_scale_f32 v14, s[0:1], v15, v15, v0
	v_rcp_f32_e32 v16, v14
	v_div_scale_f32 v17, vcc, v0, v15, v0
	s_mov_b32 s0, 0x800000
	v_fma_f32 v18, -v14, v16, 1.0
	v_fmac_f32_e32 v16, v18, v16
	v_mul_f32_e32 v18, v17, v16
	v_fma_f32 v19, -v14, v18, v17
	v_fmac_f32_e32 v18, v19, v16
	v_fma_f32 v14, -v14, v18, v17
	v_div_fmas_f32 v14, v14, v16, v18
	v_div_fixup_f32 v0, v14, v15, v0
	v_add_f32_e32 v0, s17, v0
	v_mul_f32_e32 v14, 0x4b800000, v0
	v_cmp_gt_f32_e32 vcc, s0, v0
	v_cndmask_b32_e32 v0, v0, v14, vcc
	v_rsq_f32_e32 v0, v0
	s_waitcnt vmcnt(0)
	v_cvt_f32_u32_sdwa v17, v2 dst_sel:DWORD dst_unused:UNUSED_PAD src0_sel:WORD_1
	v_cvt_f32_u32_sdwa v16, v2 dst_sel:DWORD dst_unused:UNUSED_PAD src0_sel:WORD_0
	v_cvt_f32_u32_sdwa v19, v3 dst_sel:DWORD dst_unused:UNUSED_PAD src0_sel:WORD_1
	v_mul_f32_e32 v14, 0x45800000, v0
	v_cndmask_b32_e32 v14, v0, v14, vcc
	v_mov_b32_e32 v15, v14
	;;#ASMSTART
	v_pk_mul_f32 v[12:13], v[12:13], v[14:15]
	;;#ASMEND
	;;#ASMSTART
	v_pk_mul_f32 v[10:11], v[10:11], v[14:15]
	;;#ASMEND
	;; [unrolled: 3-line block ×3, first 2 shown]
	v_cvt_f32_u32_sdwa v18, v3 dst_sel:DWORD dst_unused:UNUSED_PAD src0_sel:WORD_0
	;;#ASMSTART
	v_pk_mul_f32 v[2:3], v[6:7], v[14:15]
	;;#ASMEND
	v_cvt_f32_u32_sdwa v15, v4 dst_sel:DWORD dst_unused:UNUSED_PAD src0_sel:WORD_1
	v_cvt_f32_u32_sdwa v14, v4 dst_sel:DWORD dst_unused:UNUSED_PAD src0_sel:WORD_0
	v_pk_add_f32 v[6:7], v[16:17], 1.0 op_sel_hi:[1,0]
	v_cvt_f32_u32_sdwa v17, v5 dst_sel:DWORD dst_unused:UNUSED_PAD src0_sel:WORD_1
	v_cvt_f32_u32_sdwa v16, v5 dst_sel:DWORD dst_unused:UNUSED_PAD src0_sel:WORD_0
	s_mul_hi_i32 s1, s7, s6
	s_mul_i32 s0, s7, s6
	s_lshl_b64 s[0:1], s[0:1], 1
	s_add_u32 s12, s28, s0
	;;#ASMSTART
	v_pk_mul_f32 v[6:7], v[12:13], v[6:7]
	;;#ASMEND
	v_pk_add_f32 v[12:13], v[18:19], 1.0 op_sel_hi:[1,0]
	;;#ASMSTART
	v_pk_mul_f32 v[4:5], v[10:11], v[12:13]
	;;#ASMEND
	v_pk_add_f32 v[10:11], v[14:15], 1.0 op_sel_hi:[1,0]
	s_addc_u32 s0, s29, s1
	;;#ASMSTART
	v_pk_mul_f32 v[8:9], v[8:9], v[10:11]
	;;#ASMEND
	v_pk_add_f32 v[10:11], v[16:17], 1.0 op_sel_hi:[1,0]
	s_and_b32 s13, s0, 0xffff
	s_mov_b32 s0, 0x7060302
	;;#ASMSTART
	v_pk_mul_f32 v[10:11], v[2:3], v[10:11]
	;;#ASMEND
	v_perm_b32 v2, v7, v6, s0
	v_perm_b32 v3, v5, v4, s0
	;; [unrolled: 1-line block ×4, first 2 shown]
	buffer_store_dwordx4 v[2:5], v1, s[12:15], 0 offen
	;;#ASMSTART
	s_nop 0
	;;#ASMEND
	s_endpgm
	.section	.rodata,"a",@progbits
	.p2align	6, 0x0
	.amdhsa_kernel _ZN5aiter35fused_qk_rmsnorm_group_quant_kernelItDB8_Li128ELi8ELi4ELb0ELb0ELb1ELb0ELb0ELb0EEEvPT0_PvPT_S6_S6_PKS5_S8_S8_S8_S8_ffiiiiiiiiiiiii
		.amdhsa_group_segment_fixed_size 16
		.amdhsa_private_segment_fixed_size 0
		.amdhsa_kernarg_size 400
		.amdhsa_user_sgpr_count 6
		.amdhsa_user_sgpr_private_segment_buffer 1
		.amdhsa_user_sgpr_dispatch_ptr 0
		.amdhsa_user_sgpr_queue_ptr 0
		.amdhsa_user_sgpr_kernarg_segment_ptr 1
		.amdhsa_user_sgpr_dispatch_id 0
		.amdhsa_user_sgpr_flat_scratch_init 0
		.amdhsa_user_sgpr_kernarg_preload_length 0
		.amdhsa_user_sgpr_kernarg_preload_offset 0
		.amdhsa_user_sgpr_private_segment_size 0
		.amdhsa_uses_dynamic_stack 0
		.amdhsa_system_sgpr_private_segment_wavefront_offset 0
		.amdhsa_system_sgpr_workgroup_id_x 1
		.amdhsa_system_sgpr_workgroup_id_y 1
		.amdhsa_system_sgpr_workgroup_id_z 0
		.amdhsa_system_sgpr_workgroup_info 0
		.amdhsa_system_vgpr_workitem_id 0
		.amdhsa_next_free_vgpr 23
		.amdhsa_next_free_sgpr 32
		.amdhsa_accum_offset 24
		.amdhsa_reserve_vcc 1
		.amdhsa_reserve_flat_scratch 0
		.amdhsa_float_round_mode_32 0
		.amdhsa_float_round_mode_16_64 0
		.amdhsa_float_denorm_mode_32 3
		.amdhsa_float_denorm_mode_16_64 3
		.amdhsa_dx10_clamp 1
		.amdhsa_ieee_mode 1
		.amdhsa_fp16_overflow 0
		.amdhsa_tg_split 0
		.amdhsa_exception_fp_ieee_invalid_op 0
		.amdhsa_exception_fp_denorm_src 0
		.amdhsa_exception_fp_ieee_div_zero 0
		.amdhsa_exception_fp_ieee_overflow 0
		.amdhsa_exception_fp_ieee_underflow 0
		.amdhsa_exception_fp_ieee_inexact 0
		.amdhsa_exception_int_div_zero 0
	.end_amdhsa_kernel
	.section	.text._ZN5aiter35fused_qk_rmsnorm_group_quant_kernelItDB8_Li128ELi8ELi4ELb0ELb0ELb1ELb0ELb0ELb0EEEvPT0_PvPT_S6_S6_PKS5_S8_S8_S8_S8_ffiiiiiiiiiiiii,"axG",@progbits,_ZN5aiter35fused_qk_rmsnorm_group_quant_kernelItDB8_Li128ELi8ELi4ELb0ELb0ELb1ELb0ELb0ELb0EEEvPT0_PvPT_S6_S6_PKS5_S8_S8_S8_S8_ffiiiiiiiiiiiii,comdat
.Lfunc_end450:
	.size	_ZN5aiter35fused_qk_rmsnorm_group_quant_kernelItDB8_Li128ELi8ELi4ELb0ELb0ELb1ELb0ELb0ELb0EEEvPT0_PvPT_S6_S6_PKS5_S8_S8_S8_S8_ffiiiiiiiiiiiii, .Lfunc_end450-_ZN5aiter35fused_qk_rmsnorm_group_quant_kernelItDB8_Li128ELi8ELi4ELb0ELb0ELb1ELb0ELb0ELb0EEEvPT0_PvPT_S6_S6_PKS5_S8_S8_S8_S8_ffiiiiiiiiiiiii
                                        ; -- End function
	.section	.AMDGPU.csdata,"",@progbits
; Kernel info:
; codeLenInByte = 2520
; NumSgprs: 36
; NumVgprs: 23
; NumAgprs: 0
; TotalNumVgprs: 23
; ScratchSize: 0
; MemoryBound: 0
; FloatMode: 240
; IeeeMode: 1
; LDSByteSize: 16 bytes/workgroup (compile time only)
; SGPRBlocks: 4
; VGPRBlocks: 2
; NumSGPRsForWavesPerEU: 36
; NumVGPRsForWavesPerEU: 23
; AccumOffset: 24
; Occupancy: 8
; WaveLimiterHint : 0
; COMPUTE_PGM_RSRC2:SCRATCH_EN: 0
; COMPUTE_PGM_RSRC2:USER_SGPR: 6
; COMPUTE_PGM_RSRC2:TRAP_HANDLER: 0
; COMPUTE_PGM_RSRC2:TGID_X_EN: 1
; COMPUTE_PGM_RSRC2:TGID_Y_EN: 1
; COMPUTE_PGM_RSRC2:TGID_Z_EN: 0
; COMPUTE_PGM_RSRC2:TIDIG_COMP_CNT: 0
; COMPUTE_PGM_RSRC3_GFX90A:ACCUM_OFFSET: 5
; COMPUTE_PGM_RSRC3_GFX90A:TG_SPLIT: 0
	.section	.text._ZN5aiter35fused_qk_rmsnorm_group_quant_kernelIDF16_N4opus5fp4_tELi128ELi8ELi4ELb0ELb0ELb1ELb0ELb0ELb0EEEvPT0_PvPT_S7_S7_PKS6_S9_S9_S9_S9_ffiiiiiiiiiiiii,"axG",@progbits,_ZN5aiter35fused_qk_rmsnorm_group_quant_kernelIDF16_N4opus5fp4_tELi128ELi8ELi4ELb0ELb0ELb1ELb0ELb0ELb0EEEvPT0_PvPT_S7_S7_PKS6_S9_S9_S9_S9_ffiiiiiiiiiiiii,comdat
	.protected	_ZN5aiter35fused_qk_rmsnorm_group_quant_kernelIDF16_N4opus5fp4_tELi128ELi8ELi4ELb0ELb0ELb1ELb0ELb0ELb0EEEvPT0_PvPT_S7_S7_PKS6_S9_S9_S9_S9_ffiiiiiiiiiiiii ; -- Begin function _ZN5aiter35fused_qk_rmsnorm_group_quant_kernelIDF16_N4opus5fp4_tELi128ELi8ELi4ELb0ELb0ELb1ELb0ELb0ELb0EEEvPT0_PvPT_S7_S7_PKS6_S9_S9_S9_S9_ffiiiiiiiiiiiii
	.globl	_ZN5aiter35fused_qk_rmsnorm_group_quant_kernelIDF16_N4opus5fp4_tELi128ELi8ELi4ELb0ELb0ELb1ELb0ELb0ELb0EEEvPT0_PvPT_S7_S7_PKS6_S9_S9_S9_S9_ffiiiiiiiiiiiii
	.p2align	8
	.type	_ZN5aiter35fused_qk_rmsnorm_group_quant_kernelIDF16_N4opus5fp4_tELi128ELi8ELi4ELb0ELb0ELb1ELb0ELb0ELb0EEEvPT0_PvPT_S7_S7_PKS6_S9_S9_S9_S9_ffiiiiiiiiiiiii,@function
_ZN5aiter35fused_qk_rmsnorm_group_quant_kernelIDF16_N4opus5fp4_tELi128ELi8ELi4ELb0ELb0ELb1ELb0ELb0ELb0EEEvPT0_PvPT_S7_S7_PKS6_S9_S9_S9_S9_ffiiiiiiiiiiiii: ; @_ZN5aiter35fused_qk_rmsnorm_group_quant_kernelIDF16_N4opus5fp4_tELi128ELi8ELi4ELb0ELb0ELb1ELb0ELb0ELb0EEEvPT0_PvPT_S7_S7_PKS6_S9_S9_S9_S9_ffiiiiiiiiiiiii
; %bb.0:
	s_load_dwordx4 s[16:19], s[4:5], 0x50
	s_waitcnt lgkmcnt(0)
	s_cmp_ge_i32 s6, s18
	s_cbranch_scc1 .LBB451_12
; %bb.1:
	s_load_dwordx2 s[12:13], s[4:5], 0x48
	s_load_dwordx2 s[30:31], s[4:5], 0x30
	s_load_dwordx4 s[20:23], s[4:5], 0x60
	s_cmp_lg_u32 s7, 0
	s_cselect_b64 s[14:15], -1, 0
	s_cmp_eq_u32 s7, 0
	s_cselect_b64 vcc, -1, 0
	s_and_b64 s[0:1], vcc, exec
	s_waitcnt lgkmcnt(0)
	s_cselect_b32 s7, s19, s20
	s_add_i32 s0, s7, 1
	s_lshr_b32 s1, s0, 31
	s_add_i32 s0, s0, s1
	s_lshl_b32 s0, s0, 1
	v_lshlrev_b32_e32 v1, 3, v0
	s_and_b32 s10, s0, -4
	v_cmp_gt_i32_e64 s[2:3], s7, v1
	v_mov_b32_e32 v10, 0
	v_mov_b32_e32 v2, 0
	;; [unrolled: 1-line block ×9, first 2 shown]
	s_and_saveexec_b64 s[0:1], s[2:3]
	s_cbranch_execz .LBB451_3
; %bb.2:
	s_load_dwordx2 s[8:9], s[4:5], 0x28
	s_load_dwordx2 s[26:27], s[4:5], 0x40
	s_and_b64 s[24:25], vcc, exec
	s_cselect_b32 s11, s21, s22
	v_lshlrev_b32_e32 v11, 4, v0
	s_waitcnt lgkmcnt(0)
	s_cselect_b32 s18, s9, s31
	s_cselect_b32 s21, s8, s30
	s_mul_hi_i32 s9, s11, s6
	s_mul_i32 s8, s11, s6
	s_lshl_b64 s[8:9], s[8:9], 1
	s_add_u32 s24, s21, s8
	s_addc_u32 s18, s18, s9
	s_and_b64 s[8:9], vcc, exec
	s_mov_b32 s11, 0x20000
	s_cselect_b32 s8, s26, s12
	s_cselect_b32 s9, s27, s13
	s_and_b32 s25, s18, 0xffff
	s_mov_b32 s26, s10
	s_mov_b32 s27, s11
	s_and_b32 s9, s9, 0xffff
	buffer_load_dwordx4 v[6:9], v11, s[24:27], 0 offen glc slc
	buffer_load_dwordx4 v[2:5], v11, s[8:11], 0 offen
.LBB451_3:
	s_or_b64 exec, exec, s[0:1]
	v_mov_b32_e32 v11, 0
	v_mov_b32_e32 v16, 0
	v_mov_b32_e32 v17, 0
	v_mov_b32_e32 v14, 0
	v_mov_b32_e32 v15, 0
	v_mov_b32_e32 v12, 0
	v_mov_b32_e32 v13, 0
	s_and_saveexec_b64 s[0:1], s[2:3]
	s_cbranch_execz .LBB451_5
; %bb.4:
	s_waitcnt vmcnt(1)
	v_cvt_f32_f16_sdwa v11, v6 dst_sel:DWORD dst_unused:UNUSED_PAD src0_sel:WORD_1
	v_cvt_f32_f16_e32 v10, v6
	v_cvt_f32_f16_sdwa v17, v7 dst_sel:DWORD dst_unused:UNUSED_PAD src0_sel:WORD_1
	v_cvt_f32_f16_e32 v16, v7
	;; [unrolled: 2-line block ×4, first 2 shown]
.LBB451_5:
	s_or_b64 exec, exec, s[0:1]
	s_waitcnt vmcnt(1)
	v_mul_f32_e32 v6, v11, v11
	v_fmac_f32_e32 v6, v10, v10
	v_fmac_f32_e32 v6, v16, v16
	;; [unrolled: 1-line block ×7, first 2 shown]
	v_and_b32_e32 v8, 63, v0
	v_cmp_eq_u32_e64 s[0:1], 63, v8
	v_mov_b32_dpp v7, v6 quad_perm:[1,0,3,2] row_mask:0xf bank_mask:0xf
	v_add_f32_e32 v6, v6, v7
	s_nop 1
	v_mov_b32_dpp v7, v6 quad_perm:[2,3,0,1] row_mask:0xf bank_mask:0xf
	v_add_f32_e32 v6, v6, v7
	s_nop 1
	v_mov_b32_dpp v7, v6 row_half_mirror row_mask:0xf bank_mask:0xf
	v_add_f32_e32 v6, v6, v7
	s_nop 1
	v_mov_b32_dpp v7, v6 row_mirror row_mask:0xf bank_mask:0xf
	v_add_f32_e32 v6, v6, v7
	s_nop 1
	v_mov_b32_dpp v7, v6 row_bcast:15 row_mask:0xf bank_mask:0xf
	v_add_f32_e32 v6, v6, v7
	s_nop 1
	v_mov_b32_dpp v7, v6 row_bcast:31 row_mask:0xf bank_mask:0xf
	s_and_saveexec_b64 s[8:9], s[0:1]
	s_cbranch_execz .LBB451_7
; %bb.6:
	v_add_f32_e32 v6, v6, v7
	v_lshrrev_b32_e32 v7, 4, v0
	v_and_b32_e32 v7, 60, v7
	ds_write_b32 v7, v6 offset:8
.LBB451_7:
	s_or_b64 exec, exec, s[8:9]
	v_and_b32_e32 v6, 1, v0
	v_lshlrev_b32_e32 v18, 2, v6
	s_waitcnt lgkmcnt(0)
	s_barrier
	ds_read_b32 v6, v18 offset:8
	s_load_dwordx2 s[28:29], s[4:5], 0x18
	s_waitcnt lgkmcnt(0)
	v_mov_b32_dpp v7, v6 quad_perm:[1,0,3,2] row_mask:0xf bank_mask:0xf
	s_and_saveexec_b64 s[8:9], s[2:3]
	s_cbranch_execz .LBB451_9
; %bb.8:
	v_cvt_f32_u32_e32 v8, s7
	v_add_f32_e32 v6, v6, v7
	v_mov_b32_e32 v19, s17
	v_mov_b32_e32 v20, s16
	v_div_scale_f32 v7, s[24:25], v8, v8, v6
	v_rcp_f32_e32 v9, v7
	v_cndmask_b32_e32 v19, v19, v20, vcc
	s_mov_b32 s7, 0x800000
	v_fma_f32 v20, -v7, v9, 1.0
	v_fmac_f32_e32 v9, v20, v9
	v_div_scale_f32 v20, vcc, v6, v8, v6
	v_mul_f32_e32 v21, v20, v9
	v_fma_f32 v22, -v7, v21, v20
	v_fmac_f32_e32 v21, v22, v9
	v_fma_f32 v7, -v7, v21, v20
	v_div_fmas_f32 v7, v7, v9, v21
	v_div_fixup_f32 v6, v7, v8, v6
	v_add_f32_e32 v6, v19, v6
	v_mul_f32_e32 v7, 0x4b800000, v6
	v_cmp_gt_f32_e32 vcc, s7, v6
	v_cndmask_b32_e32 v6, v6, v7, vcc
	v_rsq_f32_e32 v6, v6
	s_waitcnt vmcnt(0)
	v_cvt_f32_f16_sdwa v21, v3 dst_sel:DWORD dst_unused:UNUSED_PAD src0_sel:WORD_1
	v_cvt_f32_f16_e32 v20, v3
	v_mul_f32_e32 v7, 0x45800000, v6
	v_cndmask_b32_e32 v6, v6, v7, vcc
	v_mov_b32_e32 v7, v6
	;;#ASMSTART
	v_pk_mul_f32 v[8:9], v[10:11], v[6:7]
	;;#ASMEND
	v_cvt_f32_f16_sdwa v11, v2 dst_sel:DWORD dst_unused:UNUSED_PAD src0_sel:WORD_1
	v_cvt_f32_f16_e32 v10, v2
	;;#ASMSTART
	v_pk_mul_f32 v[16:17], v[16:17], v[6:7]
	;;#ASMEND
	;;#ASMSTART
	v_pk_mul_f32 v[14:15], v[14:15], v[6:7]
	;;#ASMEND
	;; [unrolled: 3-line block ×3, first 2 shown]
	v_pk_add_f32 v[6:7], v[10:11], 1.0 op_sel_hi:[1,0]
	;;#ASMSTART
	v_pk_mul_f32 v[10:11], v[8:9], v[6:7]
	;;#ASMEND
	v_cvt_f32_f16_sdwa v9, v4 dst_sel:DWORD dst_unused:UNUSED_PAD src0_sel:WORD_1
	v_cvt_f32_f16_e32 v8, v4
	v_cvt_f32_f16_sdwa v13, v5 dst_sel:DWORD dst_unused:UNUSED_PAD src0_sel:WORD_1
	v_cvt_f32_f16_e32 v12, v5
	v_pk_add_f32 v[6:7], v[20:21], 1.0 op_sel_hi:[1,0]
	v_pk_add_f32 v[4:5], v[8:9], 1.0 op_sel_hi:[1,0]
	;;#ASMSTART
	v_pk_mul_f32 v[16:17], v[16:17], v[6:7]
	;;#ASMEND
	;;#ASMSTART
	v_pk_mul_f32 v[14:15], v[14:15], v[4:5]
	;;#ASMEND
	v_pk_add_f32 v[4:5], v[12:13], 1.0 op_sel_hi:[1,0]
	;;#ASMSTART
	v_pk_mul_f32 v[12:13], v[2:3], v[4:5]
	;;#ASMEND
.LBB451_9:
	s_or_b64 exec, exec, s[8:9]
	s_load_dword s7, s[4:5], 0x80
	s_mov_b64 s[8:9], -1
	s_and_b64 vcc, exec, s[14:15]
	s_cbranch_vccnz .LBB451_13
; %bb.10:
	s_andn2_b64 vcc, exec, s[8:9]
	s_cbranch_vccz .LBB451_16
.LBB451_11:
	s_cmp_lt_i32 s20, 1
	s_cbranch_scc0 .LBB451_23
.LBB451_12:
	s_endpgm
.LBB451_13:
	s_and_saveexec_b64 s[14:15], s[2:3]
	s_cbranch_execz .LBB451_15
; %bb.14:
	s_waitcnt lgkmcnt(0)
	s_mul_hi_i32 s9, s7, s6
	s_mul_i32 s8, s7, s6
	s_waitcnt vmcnt(0)
	v_cvt_f16_f32_e32 v2, v10
	v_cvt_f16_f32_e32 v3, v16
	;; [unrolled: 1-line block ×8, first 2 shown]
	s_lshl_b64 s[8:9], s[8:9], 1
	s_add_u32 s8, s28, s8
	s_addc_u32 s9, s29, s9
	s_and_b32 s9, s9, 0xffff
	s_mov_b32 s11, 0x20000
	v_pack_b32_f16 v5, v5, v6
	v_pack_b32_f16 v4, v4, v7
	;; [unrolled: 1-line block ×4, first 2 shown]
	v_lshlrev_b32_e32 v6, 4, v0
	buffer_store_dwordx4 v[2:5], v6, s[8:11], 0 offen
	;;#ASMSTART
	s_nop 0
	;;#ASMEND
.LBB451_15:
	s_or_b64 exec, exec, s[14:15]
	s_cbranch_execnz .LBB451_11
.LBB451_16:
	s_waitcnt vmcnt(0)
	v_mov_b32_e32 v2, 0
	s_and_saveexec_b64 s[8:9], s[2:3]
	s_cbranch_execz .LBB451_18
; %bb.17:
	v_and_b32_e32 v2, 0x7fffffff, v10
	v_and_b32_e32 v3, 0x7fffffff, v11
	v_mov_b32_e32 v4, 0x2edbe6ff
	;;#ASMSTART
	v_max3_f32 v2, v4, v2, v3

	;;#ASMEND
	v_and_b32_e32 v3, 0x7fffffff, v16
	v_and_b32_e32 v4, 0x7fffffff, v17
	;;#ASMSTART
	v_max3_f32 v2, v2, v3, v4

	;;#ASMEND
	v_and_b32_e32 v3, 0x7fffffff, v14
	v_and_b32_e32 v4, 0x7fffffff, v15
	;; [unrolled: 6-line block ×3, first 2 shown]
	;;#ASMSTART
	v_max3_f32 v2, v2, v3, v4

	;;#ASMEND
.LBB451_18:
	s_or_b64 exec, exec, s[8:9]
	s_load_dwordx4 s[24:27], s[4:5], 0x70
	;;#ASMSTART
	v_max_f32 v3, v2, v2 quad_perm:[1,0,3,2] row_mask:0xf bank_mask:0xf bound_ctrl:1
	;;#ASMEND
	;;#ASMSTART
	v_max_f32 v2, v3, v3 quad_perm:[2,3,0,1] row_mask:0xf bank_mask:0xf bound_ctrl:1
	;;#ASMEND
	v_and_b32_e32 v3, 3, v0
	v_cmp_eq_u32_e32 vcc, 0, v3
	v_cmp_gt_i32_e64 s[8:9], s19, v1
	s_and_b64 s[10:11], vcc, s[8:9]
	s_and_saveexec_b64 s[8:9], s[10:11]
	s_cbranch_execz .LBB451_20
; %bb.19:
	s_load_dwordx2 s[10:11], s[4:5], 0x8
	v_mul_f32_e32 v2, 0x3e2aaaab, v2
	v_lshrrev_b32_e32 v3, 23, v2
	v_and_b32_e32 v4, 0x7f800000, v2
	v_and_b32_e32 v2, 0x7fffff, v2
	v_cmp_ne_u32_e32 vcc, 0, v2
	s_waitcnt lgkmcnt(0)
	s_mul_i32 s16, s25, s6
	s_mov_b32 s14, 0x7f800000
	v_addc_co_u32_e32 v2, vcc, 0, v3, vcc
	s_mul_hi_i32 s15, s25, s6
	s_add_u32 s10, s10, s16
	v_cmp_ne_u32_e32 vcc, s14, v4
	s_addc_u32 s11, s11, s15
	v_lshrrev_b32_e32 v5, 2, v0
	v_cndmask_b32_e32 v4, -1, v2, vcc
	v_pk_mov_b32 v[2:3], s[10:11], s[10:11] op_sel:[0,1]
	v_mad_i64_i32 v[2:3], s[10:11], s26, v5, v[2:3]
	global_store_byte v[2:3], v4, off
.LBB451_20:
	s_or_b64 exec, exec, s[8:9]
	s_and_saveexec_b64 s[8:9], s[2:3]
	s_cbranch_execz .LBB451_22
; %bb.21:
	s_load_dwordx2 s[2:3], s[4:5], 0x0
	s_waitcnt lgkmcnt(0)
	s_mul_i32 s11, s24, s6
	s_mul_hi_i32 s10, s24, s6
	v_lshlrev_b32_e32 v2, 2, v0
	s_mov_b32 s27, 0x20000
	s_add_u32 s24, s2, s11
	s_addc_u32 s2, s3, s10
	s_lshr_b32 s3, s19, 31
	s_add_i32 s3, s19, s3
	s_ashr_i32 s3, s3, 1
	s_add_i32 s3, s3, 3
	s_ashr_i32 s10, s3, 31
	s_lshr_b32 s10, s10, 30
	s_add_i32 s3, s3, s10
	s_and_b32 s26, s3, -4
	s_and_b32 s25, s2, 0xffff
	v_mov_b32_e32 v3, 0
	buffer_store_dword v3, v2, s[24:27], 0 offen
	;;#ASMSTART
	s_nop 0
	;;#ASMEND
.LBB451_22:
	s_or_b64 exec, exec, s[8:9]
	s_cmp_lt_i32 s20, 1
	s_cbranch_scc1 .LBB451_12
.LBB451_23:
	s_load_dword s2, s[4:5], 0x94
	s_waitcnt lgkmcnt(0)
	s_cmp_lg_u32 s2, 1
	s_cbranch_scc1 .LBB451_12
; %bb.24:
	s_lshl_b32 s2, s20, 1
	s_add_i32 s2, s2, 2
	v_cmp_gt_u32_e32 vcc, s20, v1
	s_and_b32 s14, s2, -4
	v_mov_b32_e32 v10, 0
	v_lshlrev_b32_e32 v1, 4, v0
	v_mov_b32_e32 v6, 0
	v_mov_b32_e32 v7, 0
	;; [unrolled: 1-line block ×4, first 2 shown]
	s_waitcnt vmcnt(0)
	v_mov_b32_e32 v2, 0
	v_mov_b32_e32 v3, 0
	;; [unrolled: 1-line block ×4, first 2 shown]
	s_barrier
	s_and_saveexec_b64 s[2:3], vcc
	s_cbranch_execz .LBB451_26
; %bb.25:
	s_mul_hi_i32 s5, s22, s6
	s_mul_i32 s4, s22, s6
	s_and_b32 s13, s13, 0xffff
	s_lshl_b64 s[4:5], s[4:5], 1
	s_add_u32 s8, s30, s4
	s_mov_b32 s15, 0x20000
	s_addc_u32 s4, s31, s5
	s_and_b32 s9, s4, 0xffff
	s_mov_b32 s10, s14
	s_mov_b32 s11, s15
	buffer_load_dwordx4 v[6:9], v1, s[8:11], 0 offen glc slc
	buffer_load_dwordx4 v[2:5], v1, s[12:15], 0 offen
.LBB451_26:
	s_or_b64 exec, exec, s[2:3]
	v_mov_b32_e32 v11, 0
	v_mov_b32_e32 v16, 0
	;; [unrolled: 1-line block ×7, first 2 shown]
	s_and_saveexec_b64 s[2:3], vcc
	s_cbranch_execz .LBB451_28
; %bb.27:
	s_waitcnt vmcnt(1)
	v_cvt_f32_f16_sdwa v11, v6 dst_sel:DWORD dst_unused:UNUSED_PAD src0_sel:WORD_1
	v_cvt_f32_f16_e32 v10, v6
	v_cvt_f32_f16_sdwa v17, v7 dst_sel:DWORD dst_unused:UNUSED_PAD src0_sel:WORD_1
	v_cvt_f32_f16_e32 v16, v7
	;; [unrolled: 2-line block ×4, first 2 shown]
.LBB451_28:
	s_or_b64 exec, exec, s[2:3]
	s_waitcnt vmcnt(1)
	v_mul_f32_e32 v6, v11, v11
	v_fmac_f32_e32 v6, v10, v10
	v_fmac_f32_e32 v6, v16, v16
	;; [unrolled: 1-line block ×7, first 2 shown]
	s_nop 1
	v_mov_b32_dpp v7, v6 quad_perm:[1,0,3,2] row_mask:0xf bank_mask:0xf
	v_add_f32_e32 v6, v6, v7
	s_nop 1
	v_mov_b32_dpp v7, v6 quad_perm:[2,3,0,1] row_mask:0xf bank_mask:0xf
	v_add_f32_e32 v6, v6, v7
	s_nop 1
	v_mov_b32_dpp v7, v6 row_half_mirror row_mask:0xf bank_mask:0xf
	v_add_f32_e32 v6, v6, v7
	s_nop 1
	v_mov_b32_dpp v7, v6 row_mirror row_mask:0xf bank_mask:0xf
	v_add_f32_e32 v6, v6, v7
	s_nop 1
	v_mov_b32_dpp v7, v6 row_bcast:15 row_mask:0xf bank_mask:0xf
	v_add_f32_e32 v6, v6, v7
	s_nop 1
	v_mov_b32_dpp v7, v6 row_bcast:31 row_mask:0xf bank_mask:0xf
	s_and_saveexec_b64 s[2:3], s[0:1]
	s_cbranch_execz .LBB451_30
; %bb.29:
	v_lshrrev_b32_e32 v0, 4, v0
	v_add_f32_e32 v6, v6, v7
	v_and_b32_e32 v0, 60, v0
	ds_write_b32 v0, v6
.LBB451_30:
	s_or_b64 exec, exec, s[2:3]
	s_waitcnt lgkmcnt(0)
	s_barrier
	ds_read_b32 v0, v18
	s_waitcnt lgkmcnt(0)
	s_nop 0
	v_mov_b32_dpp v6, v0 quad_perm:[1,0,3,2] row_mask:0xf bank_mask:0xf
	s_and_saveexec_b64 s[0:1], vcc
	s_cbranch_execz .LBB451_12
; %bb.31:
	v_cvt_f32_u32_e32 v7, s20
	v_add_f32_e32 v0, v0, v6
	s_mov_b32 s15, 0x20000
	v_div_scale_f32 v6, s[0:1], v7, v7, v0
	v_rcp_f32_e32 v8, v6
	v_div_scale_f32 v9, vcc, v0, v7, v0
	s_mov_b32 s0, 0x800000
	v_fma_f32 v18, -v6, v8, 1.0
	v_fmac_f32_e32 v8, v18, v8
	v_mul_f32_e32 v18, v9, v8
	v_fma_f32 v19, -v6, v18, v9
	v_fmac_f32_e32 v18, v19, v8
	v_fma_f32 v6, -v6, v18, v9
	v_div_fmas_f32 v6, v6, v8, v18
	v_div_fixup_f32 v0, v6, v7, v0
	v_add_f32_e32 v0, s17, v0
	v_mul_f32_e32 v6, 0x4b800000, v0
	v_cmp_gt_f32_e32 vcc, s0, v0
	v_cndmask_b32_e32 v0, v0, v6, vcc
	v_rsq_f32_e32 v0, v0
	s_waitcnt vmcnt(0)
	v_cvt_f32_f16_sdwa v19, v3 dst_sel:DWORD dst_unused:UNUSED_PAD src0_sel:WORD_1
	v_cvt_f32_f16_e32 v18, v3
	s_mul_hi_i32 s1, s7, s6
	v_mul_f32_e32 v6, 0x45800000, v0
	v_cndmask_b32_e32 v6, v0, v6, vcc
	v_mov_b32_e32 v7, v6
	;;#ASMSTART
	v_pk_mul_f32 v[8:9], v[10:11], v[6:7]
	;;#ASMEND
	;;#ASMSTART
	v_pk_mul_f32 v[10:11], v[16:17], v[6:7]
	;;#ASMEND
	v_cvt_f32_f16_sdwa v17, v2 dst_sel:DWORD dst_unused:UNUSED_PAD src0_sel:WORD_1
	v_cvt_f32_f16_e32 v16, v2
	;;#ASMSTART
	v_pk_mul_f32 v[14:15], v[14:15], v[6:7]
	;;#ASMEND
	;;#ASMSTART
	v_pk_mul_f32 v[2:3], v[12:13], v[6:7]
	;;#ASMEND
	v_cvt_f32_f16_sdwa v13, v4 dst_sel:DWORD dst_unused:UNUSED_PAD src0_sel:WORD_1
	v_cvt_f32_f16_e32 v12, v4
	v_pk_add_f32 v[6:7], v[16:17], 1.0 op_sel_hi:[1,0]
	v_cvt_f32_f16_sdwa v17, v5 dst_sel:DWORD dst_unused:UNUSED_PAD src0_sel:WORD_1
	v_cvt_f32_f16_e32 v16, v5
	;;#ASMSTART
	v_pk_mul_f32 v[6:7], v[8:9], v[6:7]
	;;#ASMEND
	v_pk_add_f32 v[8:9], v[18:19], 1.0 op_sel_hi:[1,0]
	;;#ASMSTART
	v_pk_mul_f32 v[4:5], v[10:11], v[8:9]
	;;#ASMEND
	v_pk_add_f32 v[8:9], v[12:13], 1.0 op_sel_hi:[1,0]
	;; [unrolled: 4-line block ×3, first 2 shown]
	;;#ASMSTART
	v_pk_mul_f32 v[2:3], v[2:3], v[10:11]
	;;#ASMEND
	s_mul_i32 s0, s7, s6
	v_cvt_f16_f32_e32 v0, v6
	v_cvt_f16_f32_e32 v6, v7
	;; [unrolled: 1-line block ×8, first 2 shown]
	s_lshl_b64 s[0:1], s[0:1], 1
	s_add_u32 s12, s28, s0
	s_addc_u32 s0, s29, s1
	s_and_b32 s13, s0, 0xffff
	v_pack_b32_f16 v2, v0, v6
	v_pack_b32_f16 v3, v4, v5
	;; [unrolled: 1-line block ×4, first 2 shown]
	buffer_store_dwordx4 v[2:5], v1, s[12:15], 0 offen
	;;#ASMSTART
	s_nop 0
	;;#ASMEND
	s_endpgm
	.section	.rodata,"a",@progbits
	.p2align	6, 0x0
	.amdhsa_kernel _ZN5aiter35fused_qk_rmsnorm_group_quant_kernelIDF16_N4opus5fp4_tELi128ELi8ELi4ELb0ELb0ELb1ELb0ELb0ELb0EEEvPT0_PvPT_S7_S7_PKS6_S9_S9_S9_S9_ffiiiiiiiiiiiii
		.amdhsa_group_segment_fixed_size 16
		.amdhsa_private_segment_fixed_size 0
		.amdhsa_kernarg_size 400
		.amdhsa_user_sgpr_count 6
		.amdhsa_user_sgpr_private_segment_buffer 1
		.amdhsa_user_sgpr_dispatch_ptr 0
		.amdhsa_user_sgpr_queue_ptr 0
		.amdhsa_user_sgpr_kernarg_segment_ptr 1
		.amdhsa_user_sgpr_dispatch_id 0
		.amdhsa_user_sgpr_flat_scratch_init 0
		.amdhsa_user_sgpr_kernarg_preload_length 0
		.amdhsa_user_sgpr_kernarg_preload_offset 0
		.amdhsa_user_sgpr_private_segment_size 0
		.amdhsa_uses_dynamic_stack 0
		.amdhsa_system_sgpr_private_segment_wavefront_offset 0
		.amdhsa_system_sgpr_workgroup_id_x 1
		.amdhsa_system_sgpr_workgroup_id_y 1
		.amdhsa_system_sgpr_workgroup_id_z 0
		.amdhsa_system_sgpr_workgroup_info 0
		.amdhsa_system_vgpr_workitem_id 0
		.amdhsa_next_free_vgpr 23
		.amdhsa_next_free_sgpr 32
		.amdhsa_accum_offset 24
		.amdhsa_reserve_vcc 1
		.amdhsa_reserve_flat_scratch 0
		.amdhsa_float_round_mode_32 0
		.amdhsa_float_round_mode_16_64 0
		.amdhsa_float_denorm_mode_32 3
		.amdhsa_float_denorm_mode_16_64 3
		.amdhsa_dx10_clamp 1
		.amdhsa_ieee_mode 1
		.amdhsa_fp16_overflow 0
		.amdhsa_tg_split 0
		.amdhsa_exception_fp_ieee_invalid_op 0
		.amdhsa_exception_fp_denorm_src 0
		.amdhsa_exception_fp_ieee_div_zero 0
		.amdhsa_exception_fp_ieee_overflow 0
		.amdhsa_exception_fp_ieee_underflow 0
		.amdhsa_exception_fp_ieee_inexact 0
		.amdhsa_exception_int_div_zero 0
	.end_amdhsa_kernel
	.section	.text._ZN5aiter35fused_qk_rmsnorm_group_quant_kernelIDF16_N4opus5fp4_tELi128ELi8ELi4ELb0ELb0ELb1ELb0ELb0ELb0EEEvPT0_PvPT_S7_S7_PKS6_S9_S9_S9_S9_ffiiiiiiiiiiiii,"axG",@progbits,_ZN5aiter35fused_qk_rmsnorm_group_quant_kernelIDF16_N4opus5fp4_tELi128ELi8ELi4ELb0ELb0ELb1ELb0ELb0ELb0EEEvPT0_PvPT_S7_S7_PKS6_S9_S9_S9_S9_ffiiiiiiiiiiiii,comdat
.Lfunc_end451:
	.size	_ZN5aiter35fused_qk_rmsnorm_group_quant_kernelIDF16_N4opus5fp4_tELi128ELi8ELi4ELb0ELb0ELb1ELb0ELb0ELb0EEEvPT0_PvPT_S7_S7_PKS6_S9_S9_S9_S9_ffiiiiiiiiiiiii, .Lfunc_end451-_ZN5aiter35fused_qk_rmsnorm_group_quant_kernelIDF16_N4opus5fp4_tELi128ELi8ELi4ELb0ELb0ELb1ELb0ELb0ELb0EEEvPT0_PvPT_S7_S7_PKS6_S9_S9_S9_S9_ffiiiiiiiiiiiii
                                        ; -- End function
	.section	.AMDGPU.csdata,"",@progbits
; Kernel info:
; codeLenInByte = 2320
; NumSgprs: 36
; NumVgprs: 23
; NumAgprs: 0
; TotalNumVgprs: 23
; ScratchSize: 0
; MemoryBound: 0
; FloatMode: 240
; IeeeMode: 1
; LDSByteSize: 16 bytes/workgroup (compile time only)
; SGPRBlocks: 4
; VGPRBlocks: 2
; NumSGPRsForWavesPerEU: 36
; NumVGPRsForWavesPerEU: 23
; AccumOffset: 24
; Occupancy: 8
; WaveLimiterHint : 0
; COMPUTE_PGM_RSRC2:SCRATCH_EN: 0
; COMPUTE_PGM_RSRC2:USER_SGPR: 6
; COMPUTE_PGM_RSRC2:TRAP_HANDLER: 0
; COMPUTE_PGM_RSRC2:TGID_X_EN: 1
; COMPUTE_PGM_RSRC2:TGID_Y_EN: 1
; COMPUTE_PGM_RSRC2:TGID_Z_EN: 0
; COMPUTE_PGM_RSRC2:TIDIG_COMP_CNT: 0
; COMPUTE_PGM_RSRC3_GFX90A:ACCUM_OFFSET: 5
; COMPUTE_PGM_RSRC3_GFX90A:TG_SPLIT: 0
	.section	.text._ZN5aiter35fused_qk_rmsnorm_group_quant_kernelItN4opus5fp4_tELi128ELi8ELi4ELb0ELb0ELb1ELb0ELb0ELb0EEEvPT0_PvPT_S7_S7_PKS6_S9_S9_S9_S9_ffiiiiiiiiiiiii,"axG",@progbits,_ZN5aiter35fused_qk_rmsnorm_group_quant_kernelItN4opus5fp4_tELi128ELi8ELi4ELb0ELb0ELb1ELb0ELb0ELb0EEEvPT0_PvPT_S7_S7_PKS6_S9_S9_S9_S9_ffiiiiiiiiiiiii,comdat
	.protected	_ZN5aiter35fused_qk_rmsnorm_group_quant_kernelItN4opus5fp4_tELi128ELi8ELi4ELb0ELb0ELb1ELb0ELb0ELb0EEEvPT0_PvPT_S7_S7_PKS6_S9_S9_S9_S9_ffiiiiiiiiiiiii ; -- Begin function _ZN5aiter35fused_qk_rmsnorm_group_quant_kernelItN4opus5fp4_tELi128ELi8ELi4ELb0ELb0ELb1ELb0ELb0ELb0EEEvPT0_PvPT_S7_S7_PKS6_S9_S9_S9_S9_ffiiiiiiiiiiiii
	.globl	_ZN5aiter35fused_qk_rmsnorm_group_quant_kernelItN4opus5fp4_tELi128ELi8ELi4ELb0ELb0ELb1ELb0ELb0ELb0EEEvPT0_PvPT_S7_S7_PKS6_S9_S9_S9_S9_ffiiiiiiiiiiiii
	.p2align	8
	.type	_ZN5aiter35fused_qk_rmsnorm_group_quant_kernelItN4opus5fp4_tELi128ELi8ELi4ELb0ELb0ELb1ELb0ELb0ELb0EEEvPT0_PvPT_S7_S7_PKS6_S9_S9_S9_S9_ffiiiiiiiiiiiii,@function
_ZN5aiter35fused_qk_rmsnorm_group_quant_kernelItN4opus5fp4_tELi128ELi8ELi4ELb0ELb0ELb1ELb0ELb0ELb0EEEvPT0_PvPT_S7_S7_PKS6_S9_S9_S9_S9_ffiiiiiiiiiiiii: ; @_ZN5aiter35fused_qk_rmsnorm_group_quant_kernelItN4opus5fp4_tELi128ELi8ELi4ELb0ELb0ELb1ELb0ELb0ELb0EEEvPT0_PvPT_S7_S7_PKS6_S9_S9_S9_S9_ffiiiiiiiiiiiii
; %bb.0:
	s_load_dwordx4 s[16:19], s[4:5], 0x50
	s_waitcnt lgkmcnt(0)
	s_cmp_ge_i32 s6, s18
	s_cbranch_scc1 .LBB452_10
; %bb.1:
	s_load_dwordx2 s[12:13], s[4:5], 0x48
	s_load_dwordx2 s[30:31], s[4:5], 0x30
	s_load_dwordx4 s[20:23], s[4:5], 0x60
	s_cmp_lg_u32 s7, 0
	s_cselect_b64 s[14:15], -1, 0
	s_cmp_eq_u32 s7, 0
	s_cselect_b64 vcc, -1, 0
	s_and_b64 s[0:1], vcc, exec
	s_waitcnt lgkmcnt(0)
	s_cselect_b32 s7, s19, s20
	s_add_i32 s0, s7, 1
	s_lshr_b32 s1, s0, 31
	s_add_i32 s0, s0, s1
	s_lshl_b32 s0, s0, 1
	v_lshlrev_b32_e32 v1, 3, v0
	s_and_b32 s10, s0, -4
	v_cmp_gt_i32_e64 s[2:3], s7, v1
	v_mov_b32_e32 v2, 0
	v_mov_b32_e32 v3, 0
	;; [unrolled: 1-line block ×8, first 2 shown]
	s_and_saveexec_b64 s[0:1], s[2:3]
	s_cbranch_execz .LBB452_3
; %bb.2:
	s_load_dwordx2 s[8:9], s[4:5], 0x28
	s_load_dwordx2 s[26:27], s[4:5], 0x40
	s_and_b64 s[24:25], vcc, exec
	s_cselect_b32 s11, s21, s22
	v_lshlrev_b32_e32 v10, 4, v0
	s_waitcnt lgkmcnt(0)
	s_cselect_b32 s18, s9, s31
	s_cselect_b32 s21, s8, s30
	s_mul_hi_i32 s9, s11, s6
	s_mul_i32 s8, s11, s6
	s_lshl_b64 s[8:9], s[8:9], 1
	s_add_u32 s24, s21, s8
	s_addc_u32 s18, s18, s9
	s_and_b64 s[8:9], vcc, exec
	s_mov_b32 s11, 0x20000
	s_cselect_b32 s8, s26, s12
	s_cselect_b32 s9, s27, s13
	s_and_b32 s25, s18, 0xffff
	s_mov_b32 s26, s10
	s_mov_b32 s27, s11
	s_and_b32 s9, s9, 0xffff
	buffer_load_dwordx4 v[6:9], v10, s[24:27], 0 offen glc slc
	buffer_load_dwordx4 v[2:5], v10, s[8:11], 0 offen
.LBB452_3:
	s_or_b64 exec, exec, s[0:1]
	s_waitcnt vmcnt(1)
	v_cvt_f32_u32_sdwa v11, v6 dst_sel:DWORD dst_unused:UNUSED_PAD src0_sel:WORD_1
	v_cvt_f32_u32_sdwa v10, v6 dst_sel:DWORD dst_unused:UNUSED_PAD src0_sel:WORD_0
	v_cvt_f32_u32_sdwa v6, v9 dst_sel:DWORD dst_unused:UNUSED_PAD src0_sel:WORD_1
	v_cvt_f32_u32_sdwa v9, v9 dst_sel:DWORD dst_unused:UNUSED_PAD src0_sel:WORD_0
	;; [unrolled: 2-line block ×4, first 2 shown]
	v_cndmask_b32_e64 v11, 0, v11, s[2:3]
	v_cndmask_b32_e64 v7, 0, v6, s[2:3]
	v_cndmask_b32_e64 v6, 0, v9, s[2:3]
	v_cndmask_b32_e64 v9, 0, v14, s[2:3]
	v_cndmask_b32_e64 v10, 0, v10, s[2:3]
	v_mul_f32_e32 v14, v11, v11
	v_cndmask_b32_e64 v12, 0, v12, s[2:3]
	v_fmac_f32_e32 v14, v10, v10
	v_cndmask_b32_e64 v13, 0, v13, s[2:3]
	v_fmac_f32_e32 v14, v12, v12
	;; [unrolled: 2-line block ×3, first 2 shown]
	v_fmac_f32_e32 v14, v8, v8
	v_fmac_f32_e32 v14, v9, v9
	;; [unrolled: 1-line block ×4, first 2 shown]
	v_and_b32_e32 v16, 63, v0
	v_cmp_eq_u32_e64 s[0:1], 63, v16
	v_mov_b32_dpp v15, v14 quad_perm:[1,0,3,2] row_mask:0xf bank_mask:0xf
	v_add_f32_e32 v14, v14, v15
	s_nop 1
	v_mov_b32_dpp v15, v14 quad_perm:[2,3,0,1] row_mask:0xf bank_mask:0xf
	v_add_f32_e32 v14, v14, v15
	s_nop 1
	v_mov_b32_dpp v15, v14 row_half_mirror row_mask:0xf bank_mask:0xf
	v_add_f32_e32 v14, v14, v15
	s_nop 1
	v_mov_b32_dpp v15, v14 row_mirror row_mask:0xf bank_mask:0xf
	v_add_f32_e32 v14, v14, v15
	s_nop 1
	v_mov_b32_dpp v15, v14 row_bcast:15 row_mask:0xf bank_mask:0xf
	v_add_f32_e32 v14, v14, v15
	s_nop 1
	v_mov_b32_dpp v15, v14 row_bcast:31 row_mask:0xf bank_mask:0xf
	s_and_saveexec_b64 s[8:9], s[0:1]
	s_cbranch_execz .LBB452_5
; %bb.4:
	v_add_f32_e32 v14, v14, v15
	v_lshrrev_b32_e32 v15, 4, v0
	v_and_b32_e32 v15, 60, v15
	ds_write_b32 v15, v14 offset:8
.LBB452_5:
	s_or_b64 exec, exec, s[8:9]
	v_and_b32_e32 v14, 1, v0
	v_lshlrev_b32_e32 v14, 2, v14
	s_waitcnt lgkmcnt(0)
	s_barrier
	ds_read_b32 v15, v14 offset:8
	s_load_dwordx2 s[28:29], s[4:5], 0x18
	s_waitcnt lgkmcnt(0)
	v_mov_b32_dpp v16, v15 quad_perm:[1,0,3,2] row_mask:0xf bank_mask:0xf
	s_and_saveexec_b64 s[8:9], s[2:3]
	s_cbranch_execz .LBB452_7
; %bb.6:
	v_cvt_f32_u32_e32 v17, s7
	v_add_f32_e32 v15, v15, v16
	v_mov_b32_e32 v19, s17
	v_mov_b32_e32 v20, s16
	v_div_scale_f32 v16, s[24:25], v17, v17, v15
	v_rcp_f32_e32 v18, v16
	v_cndmask_b32_e32 v19, v19, v20, vcc
	s_mov_b32 s7, 0x800000
	v_fma_f32 v20, -v16, v18, 1.0
	v_fmac_f32_e32 v18, v20, v18
	v_div_scale_f32 v20, vcc, v15, v17, v15
	v_mul_f32_e32 v21, v20, v18
	v_fma_f32 v22, -v16, v21, v20
	v_fmac_f32_e32 v21, v22, v18
	v_fma_f32 v16, -v16, v21, v20
	v_div_fmas_f32 v16, v16, v18, v21
	v_div_fixup_f32 v15, v16, v17, v15
	v_add_f32_e32 v15, v19, v15
	v_mul_f32_e32 v16, 0x4b800000, v15
	v_cmp_gt_f32_e32 vcc, s7, v15
	v_cndmask_b32_e32 v15, v15, v16, vcc
	v_rsq_f32_e32 v15, v15
	s_waitcnt vmcnt(0)
	v_cvt_f32_u32_sdwa v19, v2 dst_sel:DWORD dst_unused:UNUSED_PAD src0_sel:WORD_1
	v_cvt_f32_u32_sdwa v18, v2 dst_sel:DWORD dst_unused:UNUSED_PAD src0_sel:WORD_0
	v_cvt_f32_u32_sdwa v21, v3 dst_sel:DWORD dst_unused:UNUSED_PAD src0_sel:WORD_1
	v_mul_f32_e32 v16, 0x45800000, v15
	v_cndmask_b32_e32 v16, v15, v16, vcc
	v_mov_b32_e32 v17, v16
	;;#ASMSTART
	v_pk_mul_f32 v[10:11], v[10:11], v[16:17]
	;;#ASMEND
	;;#ASMSTART
	v_pk_mul_f32 v[12:13], v[12:13], v[16:17]
	;;#ASMEND
	;; [unrolled: 3-line block ×3, first 2 shown]
	v_cvt_f32_u32_sdwa v20, v3 dst_sel:DWORD dst_unused:UNUSED_PAD src0_sel:WORD_0
	;;#ASMSTART
	v_pk_mul_f32 v[2:3], v[6:7], v[16:17]
	;;#ASMEND
	v_cvt_f32_u32_sdwa v17, v4 dst_sel:DWORD dst_unused:UNUSED_PAD src0_sel:WORD_1
	v_cvt_f32_u32_sdwa v16, v4 dst_sel:DWORD dst_unused:UNUSED_PAD src0_sel:WORD_0
	v_pk_add_f32 v[6:7], v[18:19], 1.0 op_sel_hi:[1,0]
	v_cvt_f32_u32_sdwa v19, v5 dst_sel:DWORD dst_unused:UNUSED_PAD src0_sel:WORD_1
	v_cvt_f32_u32_sdwa v18, v5 dst_sel:DWORD dst_unused:UNUSED_PAD src0_sel:WORD_0
	;;#ASMSTART
	v_pk_mul_f32 v[10:11], v[10:11], v[6:7]
	;;#ASMEND
	v_pk_add_f32 v[6:7], v[20:21], 1.0 op_sel_hi:[1,0]
	v_pk_add_f32 v[4:5], v[16:17], 1.0 op_sel_hi:[1,0]
	;;#ASMSTART
	v_pk_mul_f32 v[12:13], v[12:13], v[6:7]
	;;#ASMEND
	;;#ASMSTART
	v_pk_mul_f32 v[8:9], v[8:9], v[4:5]
	;;#ASMEND
	v_pk_add_f32 v[4:5], v[18:19], 1.0 op_sel_hi:[1,0]
	;;#ASMSTART
	v_pk_mul_f32 v[6:7], v[2:3], v[4:5]
	;;#ASMEND
.LBB452_7:
	s_or_b64 exec, exec, s[8:9]
	s_load_dword s7, s[4:5], 0x80
	s_mov_b64 s[8:9], -1
	s_and_b64 vcc, exec, s[14:15]
	s_cbranch_vccnz .LBB452_11
; %bb.8:
	s_andn2_b64 vcc, exec, s[8:9]
	s_cbranch_vccz .LBB452_14
.LBB452_9:
	s_cmp_lt_i32 s20, 1
	s_cbranch_scc0 .LBB452_21
.LBB452_10:
	s_endpgm
.LBB452_11:
	s_and_saveexec_b64 s[14:15], s[2:3]
	s_cbranch_execz .LBB452_13
; %bb.12:
	s_waitcnt lgkmcnt(0)
	s_mul_hi_i32 s9, s7, s6
	s_mul_i32 s8, s7, s6
	s_lshl_b64 s[8:9], s[8:9], 1
	s_add_u32 s8, s28, s8
	s_addc_u32 s9, s29, s9
	s_mov_b32 s16, 0x7060302
	s_and_b32 s9, s9, 0xffff
	s_mov_b32 s11, 0x20000
	s_waitcnt vmcnt(0)
	v_perm_b32 v2, v11, v10, s16
	v_perm_b32 v3, v13, v12, s16
	;; [unrolled: 1-line block ×4, first 2 shown]
	v_lshlrev_b32_e32 v15, 4, v0
	buffer_store_dwordx4 v[2:5], v15, s[8:11], 0 offen
	;;#ASMSTART
	s_nop 0
	;;#ASMEND
.LBB452_13:
	s_or_b64 exec, exec, s[14:15]
	s_cbranch_execnz .LBB452_9
.LBB452_14:
	s_waitcnt vmcnt(0)
	v_mov_b32_e32 v2, 0
	s_and_saveexec_b64 s[8:9], s[2:3]
	s_cbranch_execz .LBB452_16
; %bb.15:
	v_and_b32_e32 v2, 0x7fffffff, v10
	v_and_b32_e32 v3, 0x7fffffff, v11
	v_mov_b32_e32 v4, 0x2edbe6ff
	;;#ASMSTART
	v_max3_f32 v2, v4, v2, v3

	;;#ASMEND
	v_and_b32_e32 v3, 0x7fffffff, v12
	v_and_b32_e32 v4, 0x7fffffff, v13
	;;#ASMSTART
	v_max3_f32 v2, v2, v3, v4

	;;#ASMEND
	v_and_b32_e32 v3, 0x7fffffff, v8
	v_and_b32_e32 v4, 0x7fffffff, v9
	;; [unrolled: 6-line block ×3, first 2 shown]
	;;#ASMSTART
	v_max3_f32 v2, v2, v3, v4

	;;#ASMEND
.LBB452_16:
	s_or_b64 exec, exec, s[8:9]
	s_load_dwordx4 s[24:27], s[4:5], 0x70
	;;#ASMSTART
	v_max_f32 v3, v2, v2 quad_perm:[1,0,3,2] row_mask:0xf bank_mask:0xf bound_ctrl:1
	;;#ASMEND
	;;#ASMSTART
	v_max_f32 v2, v3, v3 quad_perm:[2,3,0,1] row_mask:0xf bank_mask:0xf bound_ctrl:1
	;;#ASMEND
	v_and_b32_e32 v3, 3, v0
	v_cmp_eq_u32_e32 vcc, 0, v3
	v_cmp_gt_i32_e64 s[8:9], s19, v1
	s_and_b64 s[10:11], vcc, s[8:9]
	s_and_saveexec_b64 s[8:9], s[10:11]
	s_cbranch_execz .LBB452_18
; %bb.17:
	s_load_dwordx2 s[10:11], s[4:5], 0x8
	v_mul_f32_e32 v2, 0x3e2aaaab, v2
	v_lshrrev_b32_e32 v3, 23, v2
	v_and_b32_e32 v4, 0x7f800000, v2
	v_and_b32_e32 v2, 0x7fffff, v2
	v_cmp_ne_u32_e32 vcc, 0, v2
	s_waitcnt lgkmcnt(0)
	s_mul_i32 s16, s25, s6
	s_mov_b32 s14, 0x7f800000
	v_addc_co_u32_e32 v2, vcc, 0, v3, vcc
	s_mul_hi_i32 s15, s25, s6
	s_add_u32 s10, s10, s16
	v_cmp_ne_u32_e32 vcc, s14, v4
	s_addc_u32 s11, s11, s15
	v_lshrrev_b32_e32 v5, 2, v0
	v_cndmask_b32_e32 v4, -1, v2, vcc
	v_pk_mov_b32 v[2:3], s[10:11], s[10:11] op_sel:[0,1]
	v_mad_i64_i32 v[2:3], s[10:11], s26, v5, v[2:3]
	global_store_byte v[2:3], v4, off
.LBB452_18:
	s_or_b64 exec, exec, s[8:9]
	s_and_saveexec_b64 s[8:9], s[2:3]
	s_cbranch_execz .LBB452_20
; %bb.19:
	s_load_dwordx2 s[2:3], s[4:5], 0x0
	s_waitcnt lgkmcnt(0)
	s_mul_i32 s11, s24, s6
	s_mul_hi_i32 s10, s24, s6
	v_lshlrev_b32_e32 v2, 2, v0
	s_mov_b32 s27, 0x20000
	s_add_u32 s24, s2, s11
	s_addc_u32 s2, s3, s10
	s_lshr_b32 s3, s19, 31
	s_add_i32 s3, s19, s3
	s_ashr_i32 s3, s3, 1
	s_add_i32 s3, s3, 3
	s_ashr_i32 s10, s3, 31
	s_lshr_b32 s10, s10, 30
	s_add_i32 s3, s3, s10
	s_and_b32 s26, s3, -4
	s_and_b32 s25, s2, 0xffff
	v_mov_b32_e32 v3, 0
	buffer_store_dword v3, v2, s[24:27], 0 offen
	;;#ASMSTART
	s_nop 0
	;;#ASMEND
.LBB452_20:
	s_or_b64 exec, exec, s[8:9]
	s_cmp_lt_i32 s20, 1
	s_cbranch_scc1 .LBB452_10
.LBB452_21:
	s_load_dword s2, s[4:5], 0x94
	s_waitcnt lgkmcnt(0)
	s_cmp_lg_u32 s2, 1
	s_cbranch_scc1 .LBB452_10
; %bb.22:
	s_lshl_b32 s2, s20, 1
	s_add_i32 s2, s2, 2
	v_cmp_gt_u32_e32 vcc, s20, v1
	s_and_b32 s14, s2, -4
	v_mov_b32_e32 v6, 0
	v_lshlrev_b32_e32 v1, 4, v0
	v_mov_b32_e32 v7, 0
	v_mov_b32_e32 v8, 0
	;; [unrolled: 1-line block ×3, first 2 shown]
	s_waitcnt vmcnt(0)
	v_mov_b32_e32 v2, 0
	v_mov_b32_e32 v3, 0
	;; [unrolled: 1-line block ×4, first 2 shown]
	s_barrier
	s_and_saveexec_b64 s[2:3], vcc
	s_cbranch_execz .LBB452_24
; %bb.23:
	s_mul_hi_i32 s5, s22, s6
	s_mul_i32 s4, s22, s6
	s_and_b32 s13, s13, 0xffff
	s_lshl_b64 s[4:5], s[4:5], 1
	s_add_u32 s8, s30, s4
	s_mov_b32 s15, 0x20000
	s_addc_u32 s4, s31, s5
	s_and_b32 s9, s4, 0xffff
	s_mov_b32 s10, s14
	s_mov_b32 s11, s15
	buffer_load_dwordx4 v[6:9], v1, s[8:11], 0 offen glc slc
	buffer_load_dwordx4 v[2:5], v1, s[12:15], 0 offen
.LBB452_24:
	s_or_b64 exec, exec, s[2:3]
	s_waitcnt vmcnt(1)
	v_cvt_f32_u32_sdwa v13, v6 dst_sel:DWORD dst_unused:UNUSED_PAD src0_sel:WORD_1
	v_cvt_f32_u32_sdwa v12, v6 dst_sel:DWORD dst_unused:UNUSED_PAD src0_sel:WORD_0
	v_cvt_f32_u32_sdwa v6, v9 dst_sel:DWORD dst_unused:UNUSED_PAD src0_sel:WORD_1
	v_cvt_f32_u32_sdwa v9, v9 dst_sel:DWORD dst_unused:UNUSED_PAD src0_sel:WORD_0
	;; [unrolled: 2-line block ×4, first 2 shown]
	v_cndmask_b32_e32 v13, 0, v13, vcc
	v_cndmask_b32_e32 v7, 0, v6, vcc
	;; [unrolled: 1-line block ×5, first 2 shown]
	v_mul_f32_e32 v15, v13, v13
	v_cndmask_b32_e32 v10, 0, v10, vcc
	v_fmac_f32_e32 v15, v12, v12
	v_cndmask_b32_e32 v11, 0, v11, vcc
	v_fmac_f32_e32 v15, v10, v10
	;; [unrolled: 2-line block ×3, first 2 shown]
	v_fmac_f32_e32 v15, v8, v8
	v_fmac_f32_e32 v15, v9, v9
	;; [unrolled: 1-line block ×4, first 2 shown]
	s_nop 1
	v_mov_b32_dpp v16, v15 quad_perm:[1,0,3,2] row_mask:0xf bank_mask:0xf
	v_add_f32_e32 v15, v15, v16
	s_nop 1
	v_mov_b32_dpp v16, v15 quad_perm:[2,3,0,1] row_mask:0xf bank_mask:0xf
	v_add_f32_e32 v15, v15, v16
	s_nop 1
	v_mov_b32_dpp v16, v15 row_half_mirror row_mask:0xf bank_mask:0xf
	v_add_f32_e32 v15, v15, v16
	s_nop 1
	v_mov_b32_dpp v16, v15 row_mirror row_mask:0xf bank_mask:0xf
	v_add_f32_e32 v15, v15, v16
	s_nop 1
	v_mov_b32_dpp v16, v15 row_bcast:15 row_mask:0xf bank_mask:0xf
	v_add_f32_e32 v15, v15, v16
	s_nop 1
	v_mov_b32_dpp v16, v15 row_bcast:31 row_mask:0xf bank_mask:0xf
	s_and_saveexec_b64 s[2:3], s[0:1]
	s_cbranch_execz .LBB452_26
; %bb.25:
	v_lshrrev_b32_e32 v0, 4, v0
	v_add_f32_e32 v15, v15, v16
	v_and_b32_e32 v0, 60, v0
	ds_write_b32 v0, v15
.LBB452_26:
	s_or_b64 exec, exec, s[2:3]
	s_waitcnt lgkmcnt(0)
	s_barrier
	ds_read_b32 v0, v14
	s_waitcnt lgkmcnt(0)
	s_nop 0
	v_mov_b32_dpp v14, v0 quad_perm:[1,0,3,2] row_mask:0xf bank_mask:0xf
	s_and_saveexec_b64 s[0:1], vcc
	s_cbranch_execz .LBB452_10
; %bb.27:
	v_cvt_f32_u32_e32 v15, s20
	v_add_f32_e32 v0, v0, v14
	s_mov_b32 s15, 0x20000
	v_div_scale_f32 v14, s[0:1], v15, v15, v0
	v_rcp_f32_e32 v16, v14
	v_div_scale_f32 v17, vcc, v0, v15, v0
	s_mov_b32 s0, 0x800000
	v_fma_f32 v18, -v14, v16, 1.0
	v_fmac_f32_e32 v16, v18, v16
	v_mul_f32_e32 v18, v17, v16
	v_fma_f32 v19, -v14, v18, v17
	v_fmac_f32_e32 v18, v19, v16
	v_fma_f32 v14, -v14, v18, v17
	v_div_fmas_f32 v14, v14, v16, v18
	v_div_fixup_f32 v0, v14, v15, v0
	v_add_f32_e32 v0, s17, v0
	v_mul_f32_e32 v14, 0x4b800000, v0
	v_cmp_gt_f32_e32 vcc, s0, v0
	v_cndmask_b32_e32 v0, v0, v14, vcc
	v_rsq_f32_e32 v0, v0
	s_waitcnt vmcnt(0)
	v_cvt_f32_u32_sdwa v17, v2 dst_sel:DWORD dst_unused:UNUSED_PAD src0_sel:WORD_1
	v_cvt_f32_u32_sdwa v16, v2 dst_sel:DWORD dst_unused:UNUSED_PAD src0_sel:WORD_0
	v_cvt_f32_u32_sdwa v19, v3 dst_sel:DWORD dst_unused:UNUSED_PAD src0_sel:WORD_1
	v_mul_f32_e32 v14, 0x45800000, v0
	v_cndmask_b32_e32 v14, v0, v14, vcc
	v_mov_b32_e32 v15, v14
	;;#ASMSTART
	v_pk_mul_f32 v[12:13], v[12:13], v[14:15]
	;;#ASMEND
	;;#ASMSTART
	v_pk_mul_f32 v[10:11], v[10:11], v[14:15]
	;;#ASMEND
	;;#ASMSTART
	v_pk_mul_f32 v[8:9], v[8:9], v[14:15]
	;;#ASMEND
	v_cvt_f32_u32_sdwa v18, v3 dst_sel:DWORD dst_unused:UNUSED_PAD src0_sel:WORD_0
	;;#ASMSTART
	v_pk_mul_f32 v[2:3], v[6:7], v[14:15]
	;;#ASMEND
	v_cvt_f32_u32_sdwa v15, v4 dst_sel:DWORD dst_unused:UNUSED_PAD src0_sel:WORD_1
	v_cvt_f32_u32_sdwa v14, v4 dst_sel:DWORD dst_unused:UNUSED_PAD src0_sel:WORD_0
	v_pk_add_f32 v[6:7], v[16:17], 1.0 op_sel_hi:[1,0]
	v_cvt_f32_u32_sdwa v17, v5 dst_sel:DWORD dst_unused:UNUSED_PAD src0_sel:WORD_1
	v_cvt_f32_u32_sdwa v16, v5 dst_sel:DWORD dst_unused:UNUSED_PAD src0_sel:WORD_0
	s_mul_hi_i32 s1, s7, s6
	s_mul_i32 s0, s7, s6
	s_lshl_b64 s[0:1], s[0:1], 1
	s_add_u32 s12, s28, s0
	;;#ASMSTART
	v_pk_mul_f32 v[6:7], v[12:13], v[6:7]
	;;#ASMEND
	v_pk_add_f32 v[12:13], v[18:19], 1.0 op_sel_hi:[1,0]
	;;#ASMSTART
	v_pk_mul_f32 v[4:5], v[10:11], v[12:13]
	;;#ASMEND
	v_pk_add_f32 v[10:11], v[14:15], 1.0 op_sel_hi:[1,0]
	s_addc_u32 s0, s29, s1
	;;#ASMSTART
	v_pk_mul_f32 v[8:9], v[8:9], v[10:11]
	;;#ASMEND
	v_pk_add_f32 v[10:11], v[16:17], 1.0 op_sel_hi:[1,0]
	s_and_b32 s13, s0, 0xffff
	s_mov_b32 s0, 0x7060302
	;;#ASMSTART
	v_pk_mul_f32 v[10:11], v[2:3], v[10:11]
	;;#ASMEND
	v_perm_b32 v2, v7, v6, s0
	v_perm_b32 v3, v5, v4, s0
	;; [unrolled: 1-line block ×4, first 2 shown]
	buffer_store_dwordx4 v[2:5], v1, s[12:15], 0 offen
	;;#ASMSTART
	s_nop 0
	;;#ASMEND
	s_endpgm
	.section	.rodata,"a",@progbits
	.p2align	6, 0x0
	.amdhsa_kernel _ZN5aiter35fused_qk_rmsnorm_group_quant_kernelItN4opus5fp4_tELi128ELi8ELi4ELb0ELb0ELb1ELb0ELb0ELb0EEEvPT0_PvPT_S7_S7_PKS6_S9_S9_S9_S9_ffiiiiiiiiiiiii
		.amdhsa_group_segment_fixed_size 16
		.amdhsa_private_segment_fixed_size 0
		.amdhsa_kernarg_size 400
		.amdhsa_user_sgpr_count 6
		.amdhsa_user_sgpr_private_segment_buffer 1
		.amdhsa_user_sgpr_dispatch_ptr 0
		.amdhsa_user_sgpr_queue_ptr 0
		.amdhsa_user_sgpr_kernarg_segment_ptr 1
		.amdhsa_user_sgpr_dispatch_id 0
		.amdhsa_user_sgpr_flat_scratch_init 0
		.amdhsa_user_sgpr_kernarg_preload_length 0
		.amdhsa_user_sgpr_kernarg_preload_offset 0
		.amdhsa_user_sgpr_private_segment_size 0
		.amdhsa_uses_dynamic_stack 0
		.amdhsa_system_sgpr_private_segment_wavefront_offset 0
		.amdhsa_system_sgpr_workgroup_id_x 1
		.amdhsa_system_sgpr_workgroup_id_y 1
		.amdhsa_system_sgpr_workgroup_id_z 0
		.amdhsa_system_sgpr_workgroup_info 0
		.amdhsa_system_vgpr_workitem_id 0
		.amdhsa_next_free_vgpr 23
		.amdhsa_next_free_sgpr 32
		.amdhsa_accum_offset 24
		.amdhsa_reserve_vcc 1
		.amdhsa_reserve_flat_scratch 0
		.amdhsa_float_round_mode_32 0
		.amdhsa_float_round_mode_16_64 0
		.amdhsa_float_denorm_mode_32 3
		.amdhsa_float_denorm_mode_16_64 3
		.amdhsa_dx10_clamp 1
		.amdhsa_ieee_mode 1
		.amdhsa_fp16_overflow 0
		.amdhsa_tg_split 0
		.amdhsa_exception_fp_ieee_invalid_op 0
		.amdhsa_exception_fp_denorm_src 0
		.amdhsa_exception_fp_ieee_div_zero 0
		.amdhsa_exception_fp_ieee_overflow 0
		.amdhsa_exception_fp_ieee_underflow 0
		.amdhsa_exception_fp_ieee_inexact 0
		.amdhsa_exception_int_div_zero 0
	.end_amdhsa_kernel
	.section	.text._ZN5aiter35fused_qk_rmsnorm_group_quant_kernelItN4opus5fp4_tELi128ELi8ELi4ELb0ELb0ELb1ELb0ELb0ELb0EEEvPT0_PvPT_S7_S7_PKS6_S9_S9_S9_S9_ffiiiiiiiiiiiii,"axG",@progbits,_ZN5aiter35fused_qk_rmsnorm_group_quant_kernelItN4opus5fp4_tELi128ELi8ELi4ELb0ELb0ELb1ELb0ELb0ELb0EEEvPT0_PvPT_S7_S7_PKS6_S9_S9_S9_S9_ffiiiiiiiiiiiii,comdat
.Lfunc_end452:
	.size	_ZN5aiter35fused_qk_rmsnorm_group_quant_kernelItN4opus5fp4_tELi128ELi8ELi4ELb0ELb0ELb1ELb0ELb0ELb0EEEvPT0_PvPT_S7_S7_PKS6_S9_S9_S9_S9_ffiiiiiiiiiiiii, .Lfunc_end452-_ZN5aiter35fused_qk_rmsnorm_group_quant_kernelItN4opus5fp4_tELi128ELi8ELi4ELb0ELb0ELb1ELb0ELb0ELb0EEEvPT0_PvPT_S7_S7_PKS6_S9_S9_S9_S9_ffiiiiiiiiiiiii
                                        ; -- End function
	.section	.AMDGPU.csdata,"",@progbits
; Kernel info:
; codeLenInByte = 2336
; NumSgprs: 36
; NumVgprs: 23
; NumAgprs: 0
; TotalNumVgprs: 23
; ScratchSize: 0
; MemoryBound: 0
; FloatMode: 240
; IeeeMode: 1
; LDSByteSize: 16 bytes/workgroup (compile time only)
; SGPRBlocks: 4
; VGPRBlocks: 2
; NumSGPRsForWavesPerEU: 36
; NumVGPRsForWavesPerEU: 23
; AccumOffset: 24
; Occupancy: 8
; WaveLimiterHint : 0
; COMPUTE_PGM_RSRC2:SCRATCH_EN: 0
; COMPUTE_PGM_RSRC2:USER_SGPR: 6
; COMPUTE_PGM_RSRC2:TRAP_HANDLER: 0
; COMPUTE_PGM_RSRC2:TGID_X_EN: 1
; COMPUTE_PGM_RSRC2:TGID_Y_EN: 1
; COMPUTE_PGM_RSRC2:TGID_Z_EN: 0
; COMPUTE_PGM_RSRC2:TIDIG_COMP_CNT: 0
; COMPUTE_PGM_RSRC3_GFX90A:ACCUM_OFFSET: 5
; COMPUTE_PGM_RSRC3_GFX90A:TG_SPLIT: 0
	.section	.text._ZN5aiter35fused_qk_rmsnorm_group_quant_kernelIDF16_DB8_Li128ELi8ELi4ELb0ELb0ELb0ELb0ELb0ELb0EEEvPT0_PvPT_S6_S6_PKS5_S8_S8_S8_S8_ffiiiiiiiiiiiii,"axG",@progbits,_ZN5aiter35fused_qk_rmsnorm_group_quant_kernelIDF16_DB8_Li128ELi8ELi4ELb0ELb0ELb0ELb0ELb0ELb0EEEvPT0_PvPT_S6_S6_PKS5_S8_S8_S8_S8_ffiiiiiiiiiiiii,comdat
	.protected	_ZN5aiter35fused_qk_rmsnorm_group_quant_kernelIDF16_DB8_Li128ELi8ELi4ELb0ELb0ELb0ELb0ELb0ELb0EEEvPT0_PvPT_S6_S6_PKS5_S8_S8_S8_S8_ffiiiiiiiiiiiii ; -- Begin function _ZN5aiter35fused_qk_rmsnorm_group_quant_kernelIDF16_DB8_Li128ELi8ELi4ELb0ELb0ELb0ELb0ELb0ELb0EEEvPT0_PvPT_S6_S6_PKS5_S8_S8_S8_S8_ffiiiiiiiiiiiii
	.globl	_ZN5aiter35fused_qk_rmsnorm_group_quant_kernelIDF16_DB8_Li128ELi8ELi4ELb0ELb0ELb0ELb0ELb0ELb0EEEvPT0_PvPT_S6_S6_PKS5_S8_S8_S8_S8_ffiiiiiiiiiiiii
	.p2align	8
	.type	_ZN5aiter35fused_qk_rmsnorm_group_quant_kernelIDF16_DB8_Li128ELi8ELi4ELb0ELb0ELb0ELb0ELb0ELb0EEEvPT0_PvPT_S6_S6_PKS5_S8_S8_S8_S8_ffiiiiiiiiiiiii,@function
_ZN5aiter35fused_qk_rmsnorm_group_quant_kernelIDF16_DB8_Li128ELi8ELi4ELb0ELb0ELb0ELb0ELb0ELb0EEEvPT0_PvPT_S6_S6_PKS5_S8_S8_S8_S8_ffiiiiiiiiiiiii: ; @_ZN5aiter35fused_qk_rmsnorm_group_quant_kernelIDF16_DB8_Li128ELi8ELi4ELb0ELb0ELb0ELb0ELb0ELb0EEEvPT0_PvPT_S6_S6_PKS5_S8_S8_S8_S8_ffiiiiiiiiiiiii
; %bb.0:
	s_load_dwordx4 s[16:19], s[4:5], 0x50
	s_waitcnt lgkmcnt(0)
	s_cmp_ge_i32 s6, s18
	s_cbranch_scc1 .LBB453_12
; %bb.1:
	s_load_dwordx2 s[12:13], s[4:5], 0x48
	s_load_dwordx2 s[30:31], s[4:5], 0x30
	s_load_dwordx4 s[20:23], s[4:5], 0x60
	s_cmp_lg_u32 s7, 0
	s_cselect_b64 s[14:15], -1, 0
	s_cmp_eq_u32 s7, 0
	s_cselect_b64 vcc, -1, 0
	s_and_b64 s[0:1], vcc, exec
	s_waitcnt lgkmcnt(0)
	s_cselect_b32 s7, s19, s20
	s_add_i32 s0, s7, 1
	s_lshr_b32 s1, s0, 31
	s_add_i32 s0, s0, s1
	s_lshl_b32 s0, s0, 1
	v_lshlrev_b32_e32 v1, 3, v0
	s_and_b32 s10, s0, -4
	v_cmp_gt_i32_e64 s[2:3], s7, v1
	v_mov_b32_e32 v10, 0
	v_mov_b32_e32 v2, 0
	;; [unrolled: 1-line block ×9, first 2 shown]
	s_and_saveexec_b64 s[0:1], s[2:3]
	s_cbranch_execz .LBB453_3
; %bb.2:
	s_load_dwordx2 s[8:9], s[4:5], 0x28
	s_load_dwordx2 s[26:27], s[4:5], 0x40
	s_and_b64 s[24:25], vcc, exec
	s_cselect_b32 s11, s21, s22
	v_lshlrev_b32_e32 v11, 4, v0
	s_waitcnt lgkmcnt(0)
	s_cselect_b32 s18, s9, s31
	s_cselect_b32 s21, s8, s30
	s_mul_hi_i32 s9, s11, s6
	s_mul_i32 s8, s11, s6
	s_lshl_b64 s[8:9], s[8:9], 1
	s_add_u32 s24, s21, s8
	s_addc_u32 s18, s18, s9
	s_and_b64 s[8:9], vcc, exec
	s_mov_b32 s11, 0x20000
	s_cselect_b32 s8, s26, s12
	s_cselect_b32 s9, s27, s13
	s_and_b32 s25, s18, 0xffff
	s_mov_b32 s26, s10
	s_mov_b32 s27, s11
	s_and_b32 s9, s9, 0xffff
	buffer_load_dwordx4 v[6:9], v11, s[24:27], 0 offen glc slc
	buffer_load_dwordx4 v[2:5], v11, s[8:11], 0 offen
.LBB453_3:
	s_or_b64 exec, exec, s[0:1]
	v_mov_b32_e32 v11, 0
	v_mov_b32_e32 v16, 0
	v_mov_b32_e32 v17, 0
	v_mov_b32_e32 v14, 0
	v_mov_b32_e32 v15, 0
	v_mov_b32_e32 v12, 0
	v_mov_b32_e32 v13, 0
	s_and_saveexec_b64 s[0:1], s[2:3]
	s_cbranch_execz .LBB453_5
; %bb.4:
	s_waitcnt vmcnt(1)
	v_cvt_f32_f16_sdwa v11, v6 dst_sel:DWORD dst_unused:UNUSED_PAD src0_sel:WORD_1
	v_cvt_f32_f16_e32 v10, v6
	v_cvt_f32_f16_sdwa v17, v7 dst_sel:DWORD dst_unused:UNUSED_PAD src0_sel:WORD_1
	v_cvt_f32_f16_e32 v16, v7
	;; [unrolled: 2-line block ×4, first 2 shown]
.LBB453_5:
	s_or_b64 exec, exec, s[0:1]
	s_waitcnt vmcnt(1)
	v_mul_f32_e32 v6, v11, v11
	v_fmac_f32_e32 v6, v10, v10
	v_fmac_f32_e32 v6, v16, v16
	;; [unrolled: 1-line block ×7, first 2 shown]
	v_and_b32_e32 v8, 63, v0
	v_cmp_eq_u32_e64 s[0:1], 63, v8
	v_mov_b32_dpp v7, v6 quad_perm:[1,0,3,2] row_mask:0xf bank_mask:0xf
	v_add_f32_e32 v6, v6, v7
	s_nop 1
	v_mov_b32_dpp v7, v6 quad_perm:[2,3,0,1] row_mask:0xf bank_mask:0xf
	v_add_f32_e32 v6, v6, v7
	s_nop 1
	v_mov_b32_dpp v7, v6 row_half_mirror row_mask:0xf bank_mask:0xf
	v_add_f32_e32 v6, v6, v7
	s_nop 1
	v_mov_b32_dpp v7, v6 row_mirror row_mask:0xf bank_mask:0xf
	v_add_f32_e32 v6, v6, v7
	s_nop 1
	v_mov_b32_dpp v7, v6 row_bcast:15 row_mask:0xf bank_mask:0xf
	v_add_f32_e32 v6, v6, v7
	s_nop 1
	v_mov_b32_dpp v7, v6 row_bcast:31 row_mask:0xf bank_mask:0xf
	s_and_saveexec_b64 s[8:9], s[0:1]
	s_cbranch_execz .LBB453_7
; %bb.6:
	v_add_f32_e32 v6, v6, v7
	v_lshrrev_b32_e32 v7, 4, v0
	v_and_b32_e32 v7, 60, v7
	ds_write_b32 v7, v6 offset:8
.LBB453_7:
	s_or_b64 exec, exec, s[8:9]
	v_and_b32_e32 v6, 1, v0
	v_lshlrev_b32_e32 v18, 2, v6
	s_waitcnt lgkmcnt(0)
	s_barrier
	ds_read_b32 v6, v18 offset:8
	s_load_dwordx2 s[28:29], s[4:5], 0x18
	s_waitcnt lgkmcnt(0)
	v_mov_b32_dpp v7, v6 quad_perm:[1,0,3,2] row_mask:0xf bank_mask:0xf
	s_and_saveexec_b64 s[8:9], s[2:3]
	s_cbranch_execz .LBB453_9
; %bb.8:
	v_cvt_f32_u32_e32 v8, s7
	v_add_f32_e32 v6, v6, v7
	v_mov_b32_e32 v19, s17
	v_mov_b32_e32 v20, s16
	v_div_scale_f32 v7, s[24:25], v8, v8, v6
	v_rcp_f32_e32 v9, v7
	v_cndmask_b32_e32 v19, v19, v20, vcc
	s_mov_b32 s7, 0x800000
	v_fma_f32 v20, -v7, v9, 1.0
	v_fmac_f32_e32 v9, v20, v9
	v_div_scale_f32 v20, vcc, v6, v8, v6
	v_mul_f32_e32 v21, v20, v9
	v_fma_f32 v22, -v7, v21, v20
	v_fmac_f32_e32 v21, v22, v9
	v_fma_f32 v7, -v7, v21, v20
	v_div_fmas_f32 v7, v7, v9, v21
	v_div_fixup_f32 v6, v7, v8, v6
	v_add_f32_e32 v6, v19, v6
	v_mul_f32_e32 v7, 0x4b800000, v6
	v_cmp_gt_f32_e32 vcc, s7, v6
	v_cndmask_b32_e32 v6, v6, v7, vcc
	v_rsq_f32_e32 v6, v6
	s_waitcnt vmcnt(0)
	v_cvt_f32_f16_sdwa v21, v5 dst_sel:DWORD dst_unused:UNUSED_PAD src0_sel:WORD_1
	v_cvt_f32_f16_e32 v20, v5
	v_mul_f32_e32 v7, 0x45800000, v6
	v_cndmask_b32_e32 v6, v6, v7, vcc
	v_mov_b32_e32 v7, v6
	;;#ASMSTART
	v_pk_mul_f32 v[8:9], v[10:11], v[6:7]
	;;#ASMEND
	;;#ASMSTART
	v_pk_mul_f32 v[16:17], v[16:17], v[6:7]
	;;#ASMEND
	;; [unrolled: 3-line block ×4, first 2 shown]
	v_cvt_f32_f16_sdwa v11, v2 dst_sel:DWORD dst_unused:UNUSED_PAD src0_sel:WORD_1
	v_cvt_f32_f16_e32 v10, v2
	v_cvt_f32_f16_sdwa v13, v3 dst_sel:DWORD dst_unused:UNUSED_PAD src0_sel:WORD_1
	v_cvt_f32_f16_e32 v12, v3
	;; [unrolled: 2-line block ×3, first 2 shown]
	;;#ASMSTART
	v_pk_mul_f32 v[10:11], v[8:9], v[10:11]
	;;#ASMEND
	;;#ASMSTART
	v_pk_mul_f32 v[16:17], v[16:17], v[12:13]
	;;#ASMEND
	;; [unrolled: 3-line block ×4, first 2 shown]
.LBB453_9:
	s_or_b64 exec, exec, s[8:9]
	s_load_dword s7, s[4:5], 0x80
	s_mov_b64 s[8:9], -1
	s_and_b64 vcc, exec, s[14:15]
	s_cbranch_vccnz .LBB453_13
; %bb.10:
	s_andn2_b64 vcc, exec, s[8:9]
	s_cbranch_vccz .LBB453_16
.LBB453_11:
	s_cmp_lt_i32 s20, 1
	s_cbranch_scc0 .LBB453_23
.LBB453_12:
	s_endpgm
.LBB453_13:
	s_and_saveexec_b64 s[14:15], s[2:3]
	s_cbranch_execz .LBB453_15
; %bb.14:
	s_waitcnt lgkmcnt(0)
	s_mul_hi_i32 s9, s7, s6
	s_mul_i32 s8, s7, s6
	s_waitcnt vmcnt(0)
	v_cvt_f16_f32_e32 v2, v10
	v_cvt_f16_f32_e32 v3, v16
	;; [unrolled: 1-line block ×8, first 2 shown]
	s_lshl_b64 s[8:9], s[8:9], 1
	s_add_u32 s8, s28, s8
	s_addc_u32 s9, s29, s9
	s_and_b32 s9, s9, 0xffff
	s_mov_b32 s11, 0x20000
	v_pack_b32_f16 v5, v5, v6
	v_pack_b32_f16 v4, v4, v7
	v_pack_b32_f16 v3, v3, v8
	v_pack_b32_f16 v2, v2, v9
	v_lshlrev_b32_e32 v6, 4, v0
	buffer_store_dwordx4 v[2:5], v6, s[8:11], 0 offen
	;;#ASMSTART
	s_nop 0
	;;#ASMEND
.LBB453_15:
	s_or_b64 exec, exec, s[14:15]
	s_cbranch_execnz .LBB453_11
.LBB453_16:
	s_waitcnt vmcnt(0)
	v_mov_b32_e32 v2, 0
	s_and_saveexec_b64 s[8:9], s[2:3]
	s_cbranch_execz .LBB453_18
; %bb.17:
	v_and_b32_e32 v2, 0x7fffffff, v10
	v_and_b32_e32 v3, 0x7fffffff, v11
	v_mov_b32_e32 v4, 0x2edbe6ff
	;;#ASMSTART
	v_max3_f32 v2, v4, v2, v3

	;;#ASMEND
	v_and_b32_e32 v3, 0x7fffffff, v16
	v_and_b32_e32 v4, 0x7fffffff, v17
	;;#ASMSTART
	v_max3_f32 v2, v2, v3, v4

	;;#ASMEND
	v_and_b32_e32 v3, 0x7fffffff, v14
	v_and_b32_e32 v4, 0x7fffffff, v15
	;; [unrolled: 6-line block ×3, first 2 shown]
	;;#ASMSTART
	v_max3_f32 v2, v2, v3, v4

	;;#ASMEND
.LBB453_18:
	s_or_b64 exec, exec, s[8:9]
	s_load_dwordx4 s[24:27], s[4:5], 0x70
	;;#ASMSTART
	v_max_f32 v3, v2, v2 quad_perm:[1,0,3,2] row_mask:0xf bank_mask:0xf bound_ctrl:1
	;;#ASMEND
	;;#ASMSTART
	v_max_f32 v2, v3, v3 quad_perm:[2,3,0,1] row_mask:0xf bank_mask:0xf bound_ctrl:1
	;;#ASMEND
	v_and_b32_e32 v3, 3, v0
	v_cmp_eq_u32_e32 vcc, 0, v3
	v_cmp_gt_i32_e64 s[8:9], s19, v1
	v_mul_f32_e32 v2, 0x3b124925, v2
	s_and_b64 s[10:11], vcc, s[8:9]
	s_and_saveexec_b64 s[8:9], s[10:11]
	s_cbranch_execz .LBB453_20
; %bb.19:
	s_load_dwordx2 s[10:11], s[4:5], 0x8
	s_waitcnt lgkmcnt(0)
	s_mul_hi_i32 s15, s25, s6
	s_mul_i32 s14, s25, s6
	v_lshrrev_b32_e32 v3, 2, v0
	s_lshl_b64 s[14:15], s[14:15], 2
	v_mad_i64_i32 v[4:5], s[26:27], s26, v3, 0
	s_add_u32 s10, s10, s14
	s_addc_u32 s11, s11, s15
	v_lshlrev_b64 v[4:5], 2, v[4:5]
	v_mov_b32_e32 v3, s11
	v_add_co_u32_e32 v4, vcc, s10, v4
	v_addc_co_u32_e32 v5, vcc, v3, v5, vcc
	global_store_dword v[4:5], v2, off
.LBB453_20:
	s_or_b64 exec, exec, s[8:9]
	;;#ASMSTART
	v_rcp_f32 v2, v2
	;;#ASMEND
	s_and_saveexec_b64 s[14:15], s[2:3]
	s_cbranch_execz .LBB453_22
; %bb.21:
	s_load_dwordx2 s[2:3], s[4:5], 0x0
	s_waitcnt lgkmcnt(0)
	s_mul_i32 s8, s24, s6
	s_mul_hi_i32 s9, s24, s6
	v_mov_b32_e32 v3, v2
	;;#ASMSTART
	v_pk_mul_f32 v[4:5], v[10:11], v[2:3]
	;;#ASMEND
	s_add_u32 s8, s2, s8
	s_addc_u32 s2, s3, s9
	s_add_i32 s3, s19, 3
	s_ashr_i32 s9, s3, 31
	v_mov_b32_e32 v8, 0xc3e00000
	v_mov_b32_e32 v9, 0x43e00000
	;;#ASMSTART
	v_med3_f32 v4, v4, v8, v9
v_med3_f32 v5, v5, v8, v9
v_cvt_pk_fp8_f32 v6, v4, v5
	;;#ASMEND
	s_lshr_b32 s9, s9, 30
	;;#ASMSTART
	v_pk_mul_f32 v[4:5], v[16:17], v[2:3]
	;;#ASMEND
	s_add_i32 s3, s3, s9
	s_and_b32 s9, s2, 0xffff
	;;#ASMSTART
	v_med3_f32 v4, v4, v8, v9
v_med3_f32 v5, v5, v8, v9
v_cvt_pk_fp8_f32 v7, v4, v5
	;;#ASMEND
	s_mov_b32 s2, 0x5040100
	v_perm_b32 v5, v7, v6, s2
	s_movk_i32 s2, 0xff
	v_and_b32_e32 v4, 0xffffff00, v7
	v_and_b32_sdwa v6, v5, s2 dst_sel:DWORD dst_unused:UNUSED_PAD src0_sel:WORD_1 src1_sel:DWORD
	s_mov_b32 s16, 0xffff
	v_or_b32_sdwa v4, v6, v4 dst_sel:WORD_1 dst_unused:UNUSED_PAD src0_sel:DWORD src1_sel:DWORD
	v_and_or_b32 v4, v5, s16, v4
	;;#ASMSTART
	v_pk_mul_f32 v[6:7], v[14:15], v[2:3]
	;;#ASMEND
	v_mov_b32_e32 v5, v7
	;;#ASMSTART
	v_med3_f32 v6, v6, v8, v9
v_med3_f32 v5, v5, v8, v9
v_cvt_pk_fp8_f32 v7, v6, v5
	;;#ASMEND
	;;#ASMSTART
	v_pk_mul_f32 v[2:3], v[12:13], v[2:3]
	;;#ASMEND
	;;#ASMSTART
	v_med3_f32 v2, v2, v8, v9
v_med3_f32 v3, v3, v8, v9
v_cvt_pk_fp8_f32 v5, v2, v3
	;;#ASMEND
	v_lshlrev_b32_e32 v2, 16, v5
	s_and_b32 s10, s3, -4
	s_mov_b32 s11, 0x20000
	v_and_or_b32 v5, v7, s16, v2
	buffer_store_dwordx2 v[4:5], v1, s[8:11], 0 offen
	;;#ASMSTART
	s_nop 0
	;;#ASMEND
.LBB453_22:
	s_or_b64 exec, exec, s[14:15]
	s_cmp_lt_i32 s20, 1
	s_cbranch_scc1 .LBB453_12
.LBB453_23:
	s_load_dword s2, s[4:5], 0x94
	s_waitcnt lgkmcnt(0)
	s_cmp_lg_u32 s2, 1
	s_cbranch_scc1 .LBB453_12
; %bb.24:
	s_lshl_b32 s2, s20, 1
	s_add_i32 s2, s2, 2
	v_cmp_gt_u32_e32 vcc, s20, v1
	s_and_b32 s14, s2, -4
	v_mov_b32_e32 v10, 0
	v_lshlrev_b32_e32 v1, 4, v0
	v_mov_b32_e32 v6, 0
	v_mov_b32_e32 v7, 0
	;; [unrolled: 1-line block ×4, first 2 shown]
	s_waitcnt vmcnt(0)
	v_mov_b32_e32 v2, 0
	v_mov_b32_e32 v3, 0
	;; [unrolled: 1-line block ×4, first 2 shown]
	s_barrier
	s_and_saveexec_b64 s[2:3], vcc
	s_cbranch_execz .LBB453_26
; %bb.25:
	s_mul_hi_i32 s5, s22, s6
	s_mul_i32 s4, s22, s6
	s_and_b32 s13, s13, 0xffff
	s_lshl_b64 s[4:5], s[4:5], 1
	s_add_u32 s8, s30, s4
	s_mov_b32 s15, 0x20000
	s_addc_u32 s4, s31, s5
	s_and_b32 s9, s4, 0xffff
	s_mov_b32 s10, s14
	s_mov_b32 s11, s15
	buffer_load_dwordx4 v[6:9], v1, s[8:11], 0 offen glc slc
	buffer_load_dwordx4 v[2:5], v1, s[12:15], 0 offen
.LBB453_26:
	s_or_b64 exec, exec, s[2:3]
	v_mov_b32_e32 v11, 0
	v_mov_b32_e32 v16, 0
	;; [unrolled: 1-line block ×7, first 2 shown]
	s_and_saveexec_b64 s[2:3], vcc
	s_cbranch_execz .LBB453_28
; %bb.27:
	s_waitcnt vmcnt(1)
	v_cvt_f32_f16_sdwa v11, v6 dst_sel:DWORD dst_unused:UNUSED_PAD src0_sel:WORD_1
	v_cvt_f32_f16_e32 v10, v6
	v_cvt_f32_f16_sdwa v17, v7 dst_sel:DWORD dst_unused:UNUSED_PAD src0_sel:WORD_1
	v_cvt_f32_f16_e32 v16, v7
	;; [unrolled: 2-line block ×4, first 2 shown]
.LBB453_28:
	s_or_b64 exec, exec, s[2:3]
	s_waitcnt vmcnt(1)
	v_mul_f32_e32 v6, v11, v11
	v_fmac_f32_e32 v6, v10, v10
	v_fmac_f32_e32 v6, v16, v16
	;; [unrolled: 1-line block ×7, first 2 shown]
	s_nop 1
	v_mov_b32_dpp v7, v6 quad_perm:[1,0,3,2] row_mask:0xf bank_mask:0xf
	v_add_f32_e32 v6, v6, v7
	s_nop 1
	v_mov_b32_dpp v7, v6 quad_perm:[2,3,0,1] row_mask:0xf bank_mask:0xf
	v_add_f32_e32 v6, v6, v7
	s_nop 1
	v_mov_b32_dpp v7, v6 row_half_mirror row_mask:0xf bank_mask:0xf
	v_add_f32_e32 v6, v6, v7
	s_nop 1
	v_mov_b32_dpp v7, v6 row_mirror row_mask:0xf bank_mask:0xf
	v_add_f32_e32 v6, v6, v7
	s_nop 1
	v_mov_b32_dpp v7, v6 row_bcast:15 row_mask:0xf bank_mask:0xf
	v_add_f32_e32 v6, v6, v7
	s_nop 1
	v_mov_b32_dpp v7, v6 row_bcast:31 row_mask:0xf bank_mask:0xf
	s_and_saveexec_b64 s[2:3], s[0:1]
	s_cbranch_execz .LBB453_30
; %bb.29:
	v_lshrrev_b32_e32 v0, 4, v0
	v_add_f32_e32 v6, v6, v7
	v_and_b32_e32 v0, 60, v0
	ds_write_b32 v0, v6
.LBB453_30:
	s_or_b64 exec, exec, s[2:3]
	s_waitcnt lgkmcnt(0)
	s_barrier
	ds_read_b32 v0, v18
	s_waitcnt lgkmcnt(0)
	s_nop 0
	v_mov_b32_dpp v6, v0 quad_perm:[1,0,3,2] row_mask:0xf bank_mask:0xf
	s_and_saveexec_b64 s[0:1], vcc
	s_cbranch_execz .LBB453_12
; %bb.31:
	v_cvt_f32_u32_e32 v7, s20
	v_add_f32_e32 v0, v0, v6
	s_mov_b32 s15, 0x20000
	v_div_scale_f32 v6, s[0:1], v7, v7, v0
	v_rcp_f32_e32 v8, v6
	v_div_scale_f32 v9, vcc, v0, v7, v0
	s_mov_b32 s0, 0x800000
	v_fma_f32 v18, -v6, v8, 1.0
	v_fmac_f32_e32 v8, v18, v8
	v_mul_f32_e32 v18, v9, v8
	v_fma_f32 v19, -v6, v18, v9
	v_fmac_f32_e32 v18, v19, v8
	v_fma_f32 v6, -v6, v18, v9
	v_div_fmas_f32 v6, v6, v8, v18
	v_div_fixup_f32 v0, v6, v7, v0
	v_add_f32_e32 v0, s17, v0
	v_mul_f32_e32 v6, 0x4b800000, v0
	v_cmp_gt_f32_e32 vcc, s0, v0
	v_cndmask_b32_e32 v0, v0, v6, vcc
	v_rsq_f32_e32 v0, v0
	s_waitcnt vmcnt(0)
	v_cvt_f32_f16_sdwa v19, v5 dst_sel:DWORD dst_unused:UNUSED_PAD src0_sel:WORD_1
	v_cvt_f32_f16_e32 v18, v5
	s_mul_hi_i32 s1, s7, s6
	v_mul_f32_e32 v6, 0x45800000, v0
	v_cndmask_b32_e32 v6, v0, v6, vcc
	v_mov_b32_e32 v7, v6
	;;#ASMSTART
	v_pk_mul_f32 v[8:9], v[10:11], v[6:7]
	;;#ASMEND
	;;#ASMSTART
	v_pk_mul_f32 v[10:11], v[16:17], v[6:7]
	;;#ASMEND
	;; [unrolled: 3-line block ×4, first 2 shown]
	v_cvt_f32_f16_sdwa v13, v2 dst_sel:DWORD dst_unused:UNUSED_PAD src0_sel:WORD_1
	v_cvt_f32_f16_e32 v12, v2
	v_cvt_f32_f16_sdwa v17, v3 dst_sel:DWORD dst_unused:UNUSED_PAD src0_sel:WORD_1
	v_cvt_f32_f16_e32 v16, v3
	;; [unrolled: 2-line block ×3, first 2 shown]
	;;#ASMSTART
	v_pk_mul_f32 v[4:5], v[8:9], v[12:13]
	;;#ASMEND
	;;#ASMSTART
	v_pk_mul_f32 v[8:9], v[10:11], v[16:17]
	;;#ASMEND
	;; [unrolled: 3-line block ×4, first 2 shown]
	s_mul_i32 s0, s7, s6
	v_cvt_f16_f32_e32 v0, v4
	v_cvt_f16_f32_e32 v4, v5
	;; [unrolled: 1-line block ×8, first 2 shown]
	s_lshl_b64 s[0:1], s[0:1], 1
	s_add_u32 s12, s28, s0
	s_addc_u32 s0, s29, s1
	s_and_b32 s13, s0, 0xffff
	v_pack_b32_f16 v2, v0, v4
	v_pack_b32_f16 v3, v5, v8
	v_pack_b32_f16 v4, v9, v10
	v_pack_b32_f16 v5, v6, v7
	buffer_store_dwordx4 v[2:5], v1, s[12:15], 0 offen
	;;#ASMSTART
	s_nop 0
	;;#ASMEND
	s_endpgm
	.section	.rodata,"a",@progbits
	.p2align	6, 0x0
	.amdhsa_kernel _ZN5aiter35fused_qk_rmsnorm_group_quant_kernelIDF16_DB8_Li128ELi8ELi4ELb0ELb0ELb0ELb0ELb0ELb0EEEvPT0_PvPT_S6_S6_PKS5_S8_S8_S8_S8_ffiiiiiiiiiiiii
		.amdhsa_group_segment_fixed_size 16
		.amdhsa_private_segment_fixed_size 0
		.amdhsa_kernarg_size 400
		.amdhsa_user_sgpr_count 6
		.amdhsa_user_sgpr_private_segment_buffer 1
		.amdhsa_user_sgpr_dispatch_ptr 0
		.amdhsa_user_sgpr_queue_ptr 0
		.amdhsa_user_sgpr_kernarg_segment_ptr 1
		.amdhsa_user_sgpr_dispatch_id 0
		.amdhsa_user_sgpr_flat_scratch_init 0
		.amdhsa_user_sgpr_kernarg_preload_length 0
		.amdhsa_user_sgpr_kernarg_preload_offset 0
		.amdhsa_user_sgpr_private_segment_size 0
		.amdhsa_uses_dynamic_stack 0
		.amdhsa_system_sgpr_private_segment_wavefront_offset 0
		.amdhsa_system_sgpr_workgroup_id_x 1
		.amdhsa_system_sgpr_workgroup_id_y 1
		.amdhsa_system_sgpr_workgroup_id_z 0
		.amdhsa_system_sgpr_workgroup_info 0
		.amdhsa_system_vgpr_workitem_id 0
		.amdhsa_next_free_vgpr 23
		.amdhsa_next_free_sgpr 32
		.amdhsa_accum_offset 24
		.amdhsa_reserve_vcc 1
		.amdhsa_reserve_flat_scratch 0
		.amdhsa_float_round_mode_32 0
		.amdhsa_float_round_mode_16_64 0
		.amdhsa_float_denorm_mode_32 3
		.amdhsa_float_denorm_mode_16_64 3
		.amdhsa_dx10_clamp 1
		.amdhsa_ieee_mode 1
		.amdhsa_fp16_overflow 0
		.amdhsa_tg_split 0
		.amdhsa_exception_fp_ieee_invalid_op 0
		.amdhsa_exception_fp_denorm_src 0
		.amdhsa_exception_fp_ieee_div_zero 0
		.amdhsa_exception_fp_ieee_overflow 0
		.amdhsa_exception_fp_ieee_underflow 0
		.amdhsa_exception_fp_ieee_inexact 0
		.amdhsa_exception_int_div_zero 0
	.end_amdhsa_kernel
	.section	.text._ZN5aiter35fused_qk_rmsnorm_group_quant_kernelIDF16_DB8_Li128ELi8ELi4ELb0ELb0ELb0ELb0ELb0ELb0EEEvPT0_PvPT_S6_S6_PKS5_S8_S8_S8_S8_ffiiiiiiiiiiiii,"axG",@progbits,_ZN5aiter35fused_qk_rmsnorm_group_quant_kernelIDF16_DB8_Li128ELi8ELi4ELb0ELb0ELb0ELb0ELb0ELb0EEEvPT0_PvPT_S6_S6_PKS5_S8_S8_S8_S8_ffiiiiiiiiiiiii,comdat
.Lfunc_end453:
	.size	_ZN5aiter35fused_qk_rmsnorm_group_quant_kernelIDF16_DB8_Li128ELi8ELi4ELb0ELb0ELb0ELb0ELb0ELb0EEEvPT0_PvPT_S6_S6_PKS5_S8_S8_S8_S8_ffiiiiiiiiiiiii, .Lfunc_end453-_ZN5aiter35fused_qk_rmsnorm_group_quant_kernelIDF16_DB8_Li128ELi8ELi4ELb0ELb0ELb0ELb0ELb0ELb0EEEvPT0_PvPT_S6_S6_PKS5_S8_S8_S8_S8_ffiiiiiiiiiiiii
                                        ; -- End function
	.section	.AMDGPU.csdata,"",@progbits
; Kernel info:
; codeLenInByte = 2440
; NumSgprs: 36
; NumVgprs: 23
; NumAgprs: 0
; TotalNumVgprs: 23
; ScratchSize: 0
; MemoryBound: 0
; FloatMode: 240
; IeeeMode: 1
; LDSByteSize: 16 bytes/workgroup (compile time only)
; SGPRBlocks: 4
; VGPRBlocks: 2
; NumSGPRsForWavesPerEU: 36
; NumVGPRsForWavesPerEU: 23
; AccumOffset: 24
; Occupancy: 8
; WaveLimiterHint : 0
; COMPUTE_PGM_RSRC2:SCRATCH_EN: 0
; COMPUTE_PGM_RSRC2:USER_SGPR: 6
; COMPUTE_PGM_RSRC2:TRAP_HANDLER: 0
; COMPUTE_PGM_RSRC2:TGID_X_EN: 1
; COMPUTE_PGM_RSRC2:TGID_Y_EN: 1
; COMPUTE_PGM_RSRC2:TGID_Z_EN: 0
; COMPUTE_PGM_RSRC2:TIDIG_COMP_CNT: 0
; COMPUTE_PGM_RSRC3_GFX90A:ACCUM_OFFSET: 5
; COMPUTE_PGM_RSRC3_GFX90A:TG_SPLIT: 0
	.section	.text._ZN5aiter35fused_qk_rmsnorm_group_quant_kernelItDB8_Li128ELi8ELi4ELb0ELb0ELb0ELb0ELb0ELb0EEEvPT0_PvPT_S6_S6_PKS5_S8_S8_S8_S8_ffiiiiiiiiiiiii,"axG",@progbits,_ZN5aiter35fused_qk_rmsnorm_group_quant_kernelItDB8_Li128ELi8ELi4ELb0ELb0ELb0ELb0ELb0ELb0EEEvPT0_PvPT_S6_S6_PKS5_S8_S8_S8_S8_ffiiiiiiiiiiiii,comdat
	.protected	_ZN5aiter35fused_qk_rmsnorm_group_quant_kernelItDB8_Li128ELi8ELi4ELb0ELb0ELb0ELb0ELb0ELb0EEEvPT0_PvPT_S6_S6_PKS5_S8_S8_S8_S8_ffiiiiiiiiiiiii ; -- Begin function _ZN5aiter35fused_qk_rmsnorm_group_quant_kernelItDB8_Li128ELi8ELi4ELb0ELb0ELb0ELb0ELb0ELb0EEEvPT0_PvPT_S6_S6_PKS5_S8_S8_S8_S8_ffiiiiiiiiiiiii
	.globl	_ZN5aiter35fused_qk_rmsnorm_group_quant_kernelItDB8_Li128ELi8ELi4ELb0ELb0ELb0ELb0ELb0ELb0EEEvPT0_PvPT_S6_S6_PKS5_S8_S8_S8_S8_ffiiiiiiiiiiiii
	.p2align	8
	.type	_ZN5aiter35fused_qk_rmsnorm_group_quant_kernelItDB8_Li128ELi8ELi4ELb0ELb0ELb0ELb0ELb0ELb0EEEvPT0_PvPT_S6_S6_PKS5_S8_S8_S8_S8_ffiiiiiiiiiiiii,@function
_ZN5aiter35fused_qk_rmsnorm_group_quant_kernelItDB8_Li128ELi8ELi4ELb0ELb0ELb0ELb0ELb0ELb0EEEvPT0_PvPT_S6_S6_PKS5_S8_S8_S8_S8_ffiiiiiiiiiiiii: ; @_ZN5aiter35fused_qk_rmsnorm_group_quant_kernelItDB8_Li128ELi8ELi4ELb0ELb0ELb0ELb0ELb0ELb0EEEvPT0_PvPT_S6_S6_PKS5_S8_S8_S8_S8_ffiiiiiiiiiiiii
; %bb.0:
	s_load_dwordx4 s[16:19], s[4:5], 0x50
	s_waitcnt lgkmcnt(0)
	s_cmp_ge_i32 s6, s18
	s_cbranch_scc1 .LBB454_10
; %bb.1:
	s_load_dwordx2 s[12:13], s[4:5], 0x48
	s_load_dwordx2 s[30:31], s[4:5], 0x30
	s_load_dwordx4 s[20:23], s[4:5], 0x60
	s_cmp_lg_u32 s7, 0
	s_cselect_b64 s[14:15], -1, 0
	s_cmp_eq_u32 s7, 0
	s_cselect_b64 vcc, -1, 0
	s_and_b64 s[0:1], vcc, exec
	s_waitcnt lgkmcnt(0)
	s_cselect_b32 s7, s19, s20
	s_add_i32 s0, s7, 1
	s_lshr_b32 s1, s0, 31
	s_add_i32 s0, s0, s1
	s_lshl_b32 s0, s0, 1
	v_lshlrev_b32_e32 v1, 3, v0
	s_and_b32 s10, s0, -4
	v_cmp_gt_i32_e64 s[2:3], s7, v1
	v_mov_b32_e32 v2, 0
	v_mov_b32_e32 v3, 0
	;; [unrolled: 1-line block ×8, first 2 shown]
	s_and_saveexec_b64 s[0:1], s[2:3]
	s_cbranch_execz .LBB454_3
; %bb.2:
	s_load_dwordx2 s[8:9], s[4:5], 0x28
	s_load_dwordx2 s[26:27], s[4:5], 0x40
	s_and_b64 s[24:25], vcc, exec
	s_cselect_b32 s11, s21, s22
	v_lshlrev_b32_e32 v10, 4, v0
	s_waitcnt lgkmcnt(0)
	s_cselect_b32 s18, s9, s31
	s_cselect_b32 s21, s8, s30
	s_mul_hi_i32 s9, s11, s6
	s_mul_i32 s8, s11, s6
	s_lshl_b64 s[8:9], s[8:9], 1
	s_add_u32 s24, s21, s8
	s_addc_u32 s18, s18, s9
	s_and_b64 s[8:9], vcc, exec
	s_mov_b32 s11, 0x20000
	s_cselect_b32 s8, s26, s12
	s_cselect_b32 s9, s27, s13
	s_and_b32 s25, s18, 0xffff
	s_mov_b32 s26, s10
	s_mov_b32 s27, s11
	s_and_b32 s9, s9, 0xffff
	buffer_load_dwordx4 v[6:9], v10, s[24:27], 0 offen glc slc
	buffer_load_dwordx4 v[2:5], v10, s[8:11], 0 offen
.LBB454_3:
	s_or_b64 exec, exec, s[0:1]
	s_waitcnt vmcnt(1)
	v_cvt_f32_u32_sdwa v13, v6 dst_sel:DWORD dst_unused:UNUSED_PAD src0_sel:WORD_1
	v_cvt_f32_u32_sdwa v12, v6 dst_sel:DWORD dst_unused:UNUSED_PAD src0_sel:WORD_0
	v_cvt_f32_u32_sdwa v6, v9 dst_sel:DWORD dst_unused:UNUSED_PAD src0_sel:WORD_1
	v_cvt_f32_u32_sdwa v9, v9 dst_sel:DWORD dst_unused:UNUSED_PAD src0_sel:WORD_0
	v_cvt_f32_u32_sdwa v14, v8 dst_sel:DWORD dst_unused:UNUSED_PAD src0_sel:WORD_1
	v_cvt_f32_u32_sdwa v10, v7 dst_sel:DWORD dst_unused:UNUSED_PAD src0_sel:WORD_0
	v_cvt_f32_u32_sdwa v11, v7 dst_sel:DWORD dst_unused:UNUSED_PAD src0_sel:WORD_1
	v_cvt_f32_u32_sdwa v8, v8 dst_sel:DWORD dst_unused:UNUSED_PAD src0_sel:WORD_0
	v_cndmask_b32_e64 v13, 0, v13, s[2:3]
	v_cndmask_b32_e64 v7, 0, v6, s[2:3]
	v_cndmask_b32_e64 v6, 0, v9, s[2:3]
	v_cndmask_b32_e64 v9, 0, v14, s[2:3]
	v_cndmask_b32_e64 v12, 0, v12, s[2:3]
	v_mul_f32_e32 v14, v13, v13
	v_cndmask_b32_e64 v10, 0, v10, s[2:3]
	v_fmac_f32_e32 v14, v12, v12
	v_cndmask_b32_e64 v11, 0, v11, s[2:3]
	v_fmac_f32_e32 v14, v10, v10
	;; [unrolled: 2-line block ×3, first 2 shown]
	v_fmac_f32_e32 v14, v8, v8
	v_fmac_f32_e32 v14, v9, v9
	;; [unrolled: 1-line block ×4, first 2 shown]
	v_and_b32_e32 v16, 63, v0
	v_cmp_eq_u32_e64 s[0:1], 63, v16
	v_mov_b32_dpp v15, v14 quad_perm:[1,0,3,2] row_mask:0xf bank_mask:0xf
	v_add_f32_e32 v14, v14, v15
	s_nop 1
	v_mov_b32_dpp v15, v14 quad_perm:[2,3,0,1] row_mask:0xf bank_mask:0xf
	v_add_f32_e32 v14, v14, v15
	s_nop 1
	v_mov_b32_dpp v15, v14 row_half_mirror row_mask:0xf bank_mask:0xf
	v_add_f32_e32 v14, v14, v15
	s_nop 1
	v_mov_b32_dpp v15, v14 row_mirror row_mask:0xf bank_mask:0xf
	v_add_f32_e32 v14, v14, v15
	s_nop 1
	v_mov_b32_dpp v15, v14 row_bcast:15 row_mask:0xf bank_mask:0xf
	v_add_f32_e32 v14, v14, v15
	s_nop 1
	v_mov_b32_dpp v15, v14 row_bcast:31 row_mask:0xf bank_mask:0xf
	s_and_saveexec_b64 s[8:9], s[0:1]
	s_cbranch_execz .LBB454_5
; %bb.4:
	v_add_f32_e32 v14, v14, v15
	v_lshrrev_b32_e32 v15, 4, v0
	v_and_b32_e32 v15, 60, v15
	ds_write_b32 v15, v14 offset:8
.LBB454_5:
	s_or_b64 exec, exec, s[8:9]
	v_and_b32_e32 v14, 1, v0
	v_lshlrev_b32_e32 v14, 2, v14
	s_waitcnt lgkmcnt(0)
	s_barrier
	ds_read_b32 v15, v14 offset:8
	s_load_dwordx2 s[28:29], s[4:5], 0x18
	s_waitcnt lgkmcnt(0)
	v_mov_b32_dpp v16, v15 quad_perm:[1,0,3,2] row_mask:0xf bank_mask:0xf
	s_and_saveexec_b64 s[8:9], s[2:3]
	s_cbranch_execz .LBB454_7
; %bb.6:
	v_cvt_f32_u32_e32 v17, s7
	v_add_f32_e32 v15, v15, v16
	v_mov_b32_e32 v19, s17
	v_mov_b32_e32 v20, s16
	v_div_scale_f32 v16, s[24:25], v17, v17, v15
	v_rcp_f32_e32 v18, v16
	v_cndmask_b32_e32 v19, v19, v20, vcc
	s_mov_b32 s7, 0x800000
	v_fma_f32 v20, -v16, v18, 1.0
	v_fmac_f32_e32 v18, v20, v18
	v_div_scale_f32 v20, vcc, v15, v17, v15
	v_mul_f32_e32 v21, v20, v18
	v_fma_f32 v22, -v16, v21, v20
	v_fmac_f32_e32 v21, v22, v18
	v_fma_f32 v16, -v16, v21, v20
	v_div_fmas_f32 v16, v16, v18, v21
	v_div_fixup_f32 v15, v16, v17, v15
	v_add_f32_e32 v15, v19, v15
	v_mul_f32_e32 v16, 0x4b800000, v15
	v_cmp_gt_f32_e32 vcc, s7, v15
	v_cndmask_b32_e32 v15, v15, v16, vcc
	v_rsq_f32_e32 v15, v15
	s_waitcnt vmcnt(0)
	v_cvt_f32_u32_sdwa v19, v3 dst_sel:DWORD dst_unused:UNUSED_PAD src0_sel:WORD_1
	v_cvt_f32_u32_sdwa v18, v3 dst_sel:DWORD dst_unused:UNUSED_PAD src0_sel:WORD_0
	v_cvt_f32_u32_sdwa v3, v4 dst_sel:DWORD dst_unused:UNUSED_PAD src0_sel:WORD_1
	v_mul_f32_e32 v16, 0x45800000, v15
	v_cndmask_b32_e32 v16, v15, v16, vcc
	v_mov_b32_e32 v17, v16
	;;#ASMSTART
	v_pk_mul_f32 v[12:13], v[12:13], v[16:17]
	;;#ASMEND
	;;#ASMSTART
	v_pk_mul_f32 v[10:11], v[10:11], v[16:17]
	;;#ASMEND
	;; [unrolled: 3-line block ×4, first 2 shown]
	v_cvt_f32_u32_sdwa v17, v2 dst_sel:DWORD dst_unused:UNUSED_PAD src0_sel:WORD_1
	v_cvt_f32_u32_sdwa v16, v2 dst_sel:DWORD dst_unused:UNUSED_PAD src0_sel:WORD_0
	v_cvt_f32_u32_sdwa v2, v4 dst_sel:DWORD dst_unused:UNUSED_PAD src0_sel:WORD_0
	v_cvt_f32_u32_sdwa v21, v5 dst_sel:DWORD dst_unused:UNUSED_PAD src0_sel:WORD_1
	v_cvt_f32_u32_sdwa v20, v5 dst_sel:DWORD dst_unused:UNUSED_PAD src0_sel:WORD_0
	;;#ASMSTART
	v_pk_mul_f32 v[12:13], v[12:13], v[16:17]
	;;#ASMEND
	;;#ASMSTART
	v_pk_mul_f32 v[10:11], v[10:11], v[18:19]
	;;#ASMEND
	;; [unrolled: 3-line block ×4, first 2 shown]
.LBB454_7:
	s_or_b64 exec, exec, s[8:9]
	s_load_dword s7, s[4:5], 0x80
	s_mov_b64 s[8:9], -1
	s_and_b64 vcc, exec, s[14:15]
	s_cbranch_vccnz .LBB454_11
; %bb.8:
	s_andn2_b64 vcc, exec, s[8:9]
	s_cbranch_vccz .LBB454_14
.LBB454_9:
	s_cmp_lt_i32 s20, 1
	s_cbranch_scc0 .LBB454_21
.LBB454_10:
	s_endpgm
.LBB454_11:
	s_and_saveexec_b64 s[14:15], s[2:3]
	s_cbranch_execz .LBB454_13
; %bb.12:
	s_waitcnt lgkmcnt(0)
	s_mul_hi_i32 s9, s7, s6
	s_mul_i32 s8, s7, s6
	s_lshl_b64 s[8:9], s[8:9], 1
	s_add_u32 s8, s28, s8
	s_addc_u32 s9, s29, s9
	s_mov_b32 s16, 0x7060302
	s_and_b32 s9, s9, 0xffff
	s_mov_b32 s11, 0x20000
	s_waitcnt vmcnt(0)
	v_perm_b32 v2, v13, v12, s16
	v_perm_b32 v3, v11, v10, s16
	;; [unrolled: 1-line block ×4, first 2 shown]
	v_lshlrev_b32_e32 v15, 4, v0
	buffer_store_dwordx4 v[2:5], v15, s[8:11], 0 offen
	;;#ASMSTART
	s_nop 0
	;;#ASMEND
.LBB454_13:
	s_or_b64 exec, exec, s[14:15]
	s_cbranch_execnz .LBB454_9
.LBB454_14:
	s_waitcnt vmcnt(0)
	v_mov_b32_e32 v2, 0
	s_and_saveexec_b64 s[8:9], s[2:3]
	s_cbranch_execz .LBB454_16
; %bb.15:
	v_and_b32_e32 v2, 0x7fffffff, v12
	v_and_b32_e32 v3, 0x7fffffff, v13
	v_mov_b32_e32 v4, 0x2edbe6ff
	;;#ASMSTART
	v_max3_f32 v2, v4, v2, v3

	;;#ASMEND
	v_and_b32_e32 v3, 0x7fffffff, v10
	v_and_b32_e32 v4, 0x7fffffff, v11
	;;#ASMSTART
	v_max3_f32 v2, v2, v3, v4

	;;#ASMEND
	v_and_b32_e32 v3, 0x7fffffff, v8
	v_and_b32_e32 v4, 0x7fffffff, v9
	;; [unrolled: 6-line block ×3, first 2 shown]
	;;#ASMSTART
	v_max3_f32 v2, v2, v3, v4

	;;#ASMEND
.LBB454_16:
	s_or_b64 exec, exec, s[8:9]
	s_load_dwordx4 s[24:27], s[4:5], 0x70
	;;#ASMSTART
	v_max_f32 v3, v2, v2 quad_perm:[1,0,3,2] row_mask:0xf bank_mask:0xf bound_ctrl:1
	;;#ASMEND
	;;#ASMSTART
	v_max_f32 v2, v3, v3 quad_perm:[2,3,0,1] row_mask:0xf bank_mask:0xf bound_ctrl:1
	;;#ASMEND
	v_and_b32_e32 v3, 3, v0
	v_cmp_eq_u32_e32 vcc, 0, v3
	v_cmp_gt_i32_e64 s[8:9], s19, v1
	v_mul_f32_e32 v2, 0x3b124925, v2
	s_and_b64 s[10:11], vcc, s[8:9]
	s_and_saveexec_b64 s[8:9], s[10:11]
	s_cbranch_execz .LBB454_18
; %bb.17:
	s_load_dwordx2 s[10:11], s[4:5], 0x8
	s_waitcnt lgkmcnt(0)
	s_mul_hi_i32 s15, s25, s6
	s_mul_i32 s14, s25, s6
	v_lshrrev_b32_e32 v3, 2, v0
	s_lshl_b64 s[14:15], s[14:15], 2
	v_mad_i64_i32 v[4:5], s[26:27], s26, v3, 0
	s_add_u32 s10, s10, s14
	s_addc_u32 s11, s11, s15
	v_lshlrev_b64 v[4:5], 2, v[4:5]
	v_mov_b32_e32 v3, s11
	v_add_co_u32_e32 v4, vcc, s10, v4
	v_addc_co_u32_e32 v5, vcc, v3, v5, vcc
	global_store_dword v[4:5], v2, off
.LBB454_18:
	s_or_b64 exec, exec, s[8:9]
	;;#ASMSTART
	v_rcp_f32 v2, v2
	;;#ASMEND
	s_and_saveexec_b64 s[14:15], s[2:3]
	s_cbranch_execz .LBB454_20
; %bb.19:
	s_load_dwordx2 s[2:3], s[4:5], 0x0
	s_waitcnt lgkmcnt(0)
	s_mul_i32 s8, s24, s6
	s_mul_hi_i32 s9, s24, s6
	v_mov_b32_e32 v3, v2
	;;#ASMSTART
	v_pk_mul_f32 v[4:5], v[12:13], v[2:3]
	;;#ASMEND
	s_add_u32 s8, s2, s8
	s_addc_u32 s2, s3, s9
	s_add_i32 s3, s19, 3
	s_ashr_i32 s9, s3, 31
	v_mov_b32_e32 v12, 0xc3e00000
	v_mov_b32_e32 v13, 0x43e00000
	;;#ASMSTART
	v_med3_f32 v4, v4, v12, v13
v_med3_f32 v5, v5, v12, v13
v_cvt_pk_fp8_f32 v15, v4, v5
	;;#ASMEND
	s_lshr_b32 s9, s9, 30
	;;#ASMSTART
	v_pk_mul_f32 v[4:5], v[10:11], v[2:3]
	;;#ASMEND
	s_add_i32 s3, s3, s9
	s_and_b32 s9, s2, 0xffff
	;;#ASMSTART
	v_med3_f32 v4, v4, v12, v13
v_med3_f32 v5, v5, v12, v13
v_cvt_pk_fp8_f32 v10, v4, v5
	;;#ASMEND
	s_mov_b32 s2, 0x5040100
	v_perm_b32 v5, v10, v15, s2
	s_movk_i32 s2, 0xff
	v_and_b32_e32 v4, 0xffffff00, v10
	v_and_b32_sdwa v10, v5, s2 dst_sel:DWORD dst_unused:UNUSED_PAD src0_sel:WORD_1 src1_sel:DWORD
	s_mov_b32 s16, 0xffff
	v_or_b32_sdwa v4, v10, v4 dst_sel:WORD_1 dst_unused:UNUSED_PAD src0_sel:DWORD src1_sel:DWORD
	v_and_or_b32 v4, v5, s16, v4
	;;#ASMSTART
	v_pk_mul_f32 v[8:9], v[8:9], v[2:3]
	;;#ASMEND
	v_mov_b32_e32 v5, v9
	;;#ASMSTART
	v_med3_f32 v8, v8, v12, v13
v_med3_f32 v5, v5, v12, v13
v_cvt_pk_fp8_f32 v9, v8, v5
	;;#ASMEND
	;;#ASMSTART
	v_pk_mul_f32 v[2:3], v[6:7], v[2:3]
	;;#ASMEND
	;;#ASMSTART
	v_med3_f32 v2, v2, v12, v13
v_med3_f32 v3, v3, v12, v13
v_cvt_pk_fp8_f32 v5, v2, v3
	;;#ASMEND
	v_lshlrev_b32_e32 v2, 16, v5
	s_and_b32 s10, s3, -4
	s_mov_b32 s11, 0x20000
	v_and_or_b32 v5, v9, s16, v2
	buffer_store_dwordx2 v[4:5], v1, s[8:11], 0 offen
	;;#ASMSTART
	s_nop 0
	;;#ASMEND
.LBB454_20:
	s_or_b64 exec, exec, s[14:15]
	s_cmp_lt_i32 s20, 1
	s_cbranch_scc1 .LBB454_10
.LBB454_21:
	s_load_dword s2, s[4:5], 0x94
	s_waitcnt lgkmcnt(0)
	s_cmp_lg_u32 s2, 1
	s_cbranch_scc1 .LBB454_10
; %bb.22:
	s_lshl_b32 s2, s20, 1
	s_add_i32 s2, s2, 2
	v_cmp_gt_u32_e32 vcc, s20, v1
	s_and_b32 s14, s2, -4
	v_mov_b32_e32 v6, 0
	v_lshlrev_b32_e32 v1, 4, v0
	v_mov_b32_e32 v7, 0
	v_mov_b32_e32 v8, 0
	;; [unrolled: 1-line block ×3, first 2 shown]
	s_waitcnt vmcnt(0)
	v_mov_b32_e32 v2, 0
	v_mov_b32_e32 v3, 0
	;; [unrolled: 1-line block ×4, first 2 shown]
	s_barrier
	s_and_saveexec_b64 s[2:3], vcc
	s_cbranch_execz .LBB454_24
; %bb.23:
	s_mul_hi_i32 s5, s22, s6
	s_mul_i32 s4, s22, s6
	s_and_b32 s13, s13, 0xffff
	s_lshl_b64 s[4:5], s[4:5], 1
	s_add_u32 s8, s30, s4
	s_mov_b32 s15, 0x20000
	s_addc_u32 s4, s31, s5
	s_and_b32 s9, s4, 0xffff
	s_mov_b32 s10, s14
	s_mov_b32 s11, s15
	buffer_load_dwordx4 v[6:9], v1, s[8:11], 0 offen glc slc
	buffer_load_dwordx4 v[2:5], v1, s[12:15], 0 offen
.LBB454_24:
	s_or_b64 exec, exec, s[2:3]
	s_waitcnt vmcnt(1)
	v_cvt_f32_u32_sdwa v13, v6 dst_sel:DWORD dst_unused:UNUSED_PAD src0_sel:WORD_1
	v_cvt_f32_u32_sdwa v12, v6 dst_sel:DWORD dst_unused:UNUSED_PAD src0_sel:WORD_0
	v_cvt_f32_u32_sdwa v6, v9 dst_sel:DWORD dst_unused:UNUSED_PAD src0_sel:WORD_1
	v_cvt_f32_u32_sdwa v9, v9 dst_sel:DWORD dst_unused:UNUSED_PAD src0_sel:WORD_0
	v_cvt_f32_u32_sdwa v15, v8 dst_sel:DWORD dst_unused:UNUSED_PAD src0_sel:WORD_1
	v_cvt_f32_u32_sdwa v10, v7 dst_sel:DWORD dst_unused:UNUSED_PAD src0_sel:WORD_0
	v_cvt_f32_u32_sdwa v11, v7 dst_sel:DWORD dst_unused:UNUSED_PAD src0_sel:WORD_1
	v_cvt_f32_u32_sdwa v8, v8 dst_sel:DWORD dst_unused:UNUSED_PAD src0_sel:WORD_0
	v_cndmask_b32_e32 v13, 0, v13, vcc
	v_cndmask_b32_e32 v7, 0, v6, vcc
	;; [unrolled: 1-line block ×5, first 2 shown]
	v_mul_f32_e32 v15, v13, v13
	v_cndmask_b32_e32 v10, 0, v10, vcc
	v_fmac_f32_e32 v15, v12, v12
	v_cndmask_b32_e32 v11, 0, v11, vcc
	v_fmac_f32_e32 v15, v10, v10
	;; [unrolled: 2-line block ×3, first 2 shown]
	v_fmac_f32_e32 v15, v8, v8
	v_fmac_f32_e32 v15, v9, v9
	;; [unrolled: 1-line block ×4, first 2 shown]
	s_nop 1
	v_mov_b32_dpp v16, v15 quad_perm:[1,0,3,2] row_mask:0xf bank_mask:0xf
	v_add_f32_e32 v15, v15, v16
	s_nop 1
	v_mov_b32_dpp v16, v15 quad_perm:[2,3,0,1] row_mask:0xf bank_mask:0xf
	v_add_f32_e32 v15, v15, v16
	s_nop 1
	v_mov_b32_dpp v16, v15 row_half_mirror row_mask:0xf bank_mask:0xf
	v_add_f32_e32 v15, v15, v16
	s_nop 1
	v_mov_b32_dpp v16, v15 row_mirror row_mask:0xf bank_mask:0xf
	v_add_f32_e32 v15, v15, v16
	s_nop 1
	v_mov_b32_dpp v16, v15 row_bcast:15 row_mask:0xf bank_mask:0xf
	v_add_f32_e32 v15, v15, v16
	s_nop 1
	v_mov_b32_dpp v16, v15 row_bcast:31 row_mask:0xf bank_mask:0xf
	s_and_saveexec_b64 s[2:3], s[0:1]
	s_cbranch_execz .LBB454_26
; %bb.25:
	v_lshrrev_b32_e32 v0, 4, v0
	v_add_f32_e32 v15, v15, v16
	v_and_b32_e32 v0, 60, v0
	ds_write_b32 v0, v15
.LBB454_26:
	s_or_b64 exec, exec, s[2:3]
	s_waitcnt lgkmcnt(0)
	s_barrier
	ds_read_b32 v0, v14
	s_waitcnt lgkmcnt(0)
	s_nop 0
	v_mov_b32_dpp v14, v0 quad_perm:[1,0,3,2] row_mask:0xf bank_mask:0xf
	s_and_saveexec_b64 s[0:1], vcc
	s_cbranch_execz .LBB454_10
; %bb.27:
	v_cvt_f32_u32_e32 v15, s20
	v_add_f32_e32 v0, v0, v14
	s_mov_b32 s15, 0x20000
	v_div_scale_f32 v14, s[0:1], v15, v15, v0
	v_rcp_f32_e32 v16, v14
	v_div_scale_f32 v17, vcc, v0, v15, v0
	s_mov_b32 s0, 0x800000
	v_fma_f32 v18, -v14, v16, 1.0
	v_fmac_f32_e32 v16, v18, v16
	v_mul_f32_e32 v18, v17, v16
	v_fma_f32 v19, -v14, v18, v17
	v_fmac_f32_e32 v18, v19, v16
	v_fma_f32 v14, -v14, v18, v17
	v_div_fmas_f32 v14, v14, v16, v18
	v_div_fixup_f32 v0, v14, v15, v0
	v_add_f32_e32 v0, s17, v0
	v_mul_f32_e32 v14, 0x4b800000, v0
	v_cmp_gt_f32_e32 vcc, s0, v0
	v_cndmask_b32_e32 v0, v0, v14, vcc
	v_rsq_f32_e32 v0, v0
	s_mul_hi_i32 s1, s7, s6
	s_mul_i32 s0, s7, s6
	s_lshl_b64 s[0:1], s[0:1], 1
	v_mul_f32_e32 v14, 0x45800000, v0
	v_cndmask_b32_e32 v14, v0, v14, vcc
	s_add_u32 s12, s28, s0
	v_mov_b32_e32 v15, v14
	s_addc_u32 s0, s29, s1
	;;#ASMSTART
	v_pk_mul_f32 v[12:13], v[12:13], v[14:15]
	;;#ASMEND
	;;#ASMSTART
	v_pk_mul_f32 v[10:11], v[10:11], v[14:15]
	;;#ASMEND
	;; [unrolled: 3-line block ×4, first 2 shown]
	s_waitcnt vmcnt(0)
	v_cvt_f32_u32_sdwa v15, v2 dst_sel:DWORD dst_unused:UNUSED_PAD src0_sel:WORD_1
	v_cvt_f32_u32_sdwa v14, v2 dst_sel:DWORD dst_unused:UNUSED_PAD src0_sel:WORD_0
	v_cvt_f32_u32_sdwa v17, v3 dst_sel:DWORD dst_unused:UNUSED_PAD src0_sel:WORD_1
	v_cvt_f32_u32_sdwa v16, v3 dst_sel:DWORD dst_unused:UNUSED_PAD src0_sel:WORD_0
	;; [unrolled: 2-line block ×4, first 2 shown]
	;;#ASMSTART
	v_pk_mul_f32 v[4:5], v[12:13], v[14:15]
	;;#ASMEND
	s_and_b32 s13, s0, 0xffff
	s_mov_b32 s0, 0x7060302
	;;#ASMSTART
	v_pk_mul_f32 v[10:11], v[10:11], v[16:17]
	;;#ASMEND
	;;#ASMSTART
	v_pk_mul_f32 v[8:9], v[8:9], v[2:3]
	;;#ASMEND
	;; [unrolled: 3-line block ×3, first 2 shown]
	v_perm_b32 v2, v5, v4, s0
	v_perm_b32 v3, v11, v10, s0
	;; [unrolled: 1-line block ×4, first 2 shown]
	buffer_store_dwordx4 v[2:5], v1, s[12:15], 0 offen
	;;#ASMSTART
	s_nop 0
	;;#ASMEND
	s_endpgm
	.section	.rodata,"a",@progbits
	.p2align	6, 0x0
	.amdhsa_kernel _ZN5aiter35fused_qk_rmsnorm_group_quant_kernelItDB8_Li128ELi8ELi4ELb0ELb0ELb0ELb0ELb0ELb0EEEvPT0_PvPT_S6_S6_PKS5_S8_S8_S8_S8_ffiiiiiiiiiiiii
		.amdhsa_group_segment_fixed_size 16
		.amdhsa_private_segment_fixed_size 0
		.amdhsa_kernarg_size 400
		.amdhsa_user_sgpr_count 6
		.amdhsa_user_sgpr_private_segment_buffer 1
		.amdhsa_user_sgpr_dispatch_ptr 0
		.amdhsa_user_sgpr_queue_ptr 0
		.amdhsa_user_sgpr_kernarg_segment_ptr 1
		.amdhsa_user_sgpr_dispatch_id 0
		.amdhsa_user_sgpr_flat_scratch_init 0
		.amdhsa_user_sgpr_kernarg_preload_length 0
		.amdhsa_user_sgpr_kernarg_preload_offset 0
		.amdhsa_user_sgpr_private_segment_size 0
		.amdhsa_uses_dynamic_stack 0
		.amdhsa_system_sgpr_private_segment_wavefront_offset 0
		.amdhsa_system_sgpr_workgroup_id_x 1
		.amdhsa_system_sgpr_workgroup_id_y 1
		.amdhsa_system_sgpr_workgroup_id_z 0
		.amdhsa_system_sgpr_workgroup_info 0
		.amdhsa_system_vgpr_workitem_id 0
		.amdhsa_next_free_vgpr 23
		.amdhsa_next_free_sgpr 32
		.amdhsa_accum_offset 24
		.amdhsa_reserve_vcc 1
		.amdhsa_reserve_flat_scratch 0
		.amdhsa_float_round_mode_32 0
		.amdhsa_float_round_mode_16_64 0
		.amdhsa_float_denorm_mode_32 3
		.amdhsa_float_denorm_mode_16_64 3
		.amdhsa_dx10_clamp 1
		.amdhsa_ieee_mode 1
		.amdhsa_fp16_overflow 0
		.amdhsa_tg_split 0
		.amdhsa_exception_fp_ieee_invalid_op 0
		.amdhsa_exception_fp_denorm_src 0
		.amdhsa_exception_fp_ieee_div_zero 0
		.amdhsa_exception_fp_ieee_overflow 0
		.amdhsa_exception_fp_ieee_underflow 0
		.amdhsa_exception_fp_ieee_inexact 0
		.amdhsa_exception_int_div_zero 0
	.end_amdhsa_kernel
	.section	.text._ZN5aiter35fused_qk_rmsnorm_group_quant_kernelItDB8_Li128ELi8ELi4ELb0ELb0ELb0ELb0ELb0ELb0EEEvPT0_PvPT_S6_S6_PKS5_S8_S8_S8_S8_ffiiiiiiiiiiiii,"axG",@progbits,_ZN5aiter35fused_qk_rmsnorm_group_quant_kernelItDB8_Li128ELi8ELi4ELb0ELb0ELb0ELb0ELb0ELb0EEEvPT0_PvPT_S6_S6_PKS5_S8_S8_S8_S8_ffiiiiiiiiiiiii,comdat
.Lfunc_end454:
	.size	_ZN5aiter35fused_qk_rmsnorm_group_quant_kernelItDB8_Li128ELi8ELi4ELb0ELb0ELb0ELb0ELb0ELb0EEEvPT0_PvPT_S6_S6_PKS5_S8_S8_S8_S8_ffiiiiiiiiiiiii, .Lfunc_end454-_ZN5aiter35fused_qk_rmsnorm_group_quant_kernelItDB8_Li128ELi8ELi4ELb0ELb0ELb0ELb0ELb0ELb0EEEvPT0_PvPT_S6_S6_PKS5_S8_S8_S8_S8_ffiiiiiiiiiiiii
                                        ; -- End function
	.section	.AMDGPU.csdata,"",@progbits
; Kernel info:
; codeLenInByte = 2456
; NumSgprs: 36
; NumVgprs: 23
; NumAgprs: 0
; TotalNumVgprs: 23
; ScratchSize: 0
; MemoryBound: 0
; FloatMode: 240
; IeeeMode: 1
; LDSByteSize: 16 bytes/workgroup (compile time only)
; SGPRBlocks: 4
; VGPRBlocks: 2
; NumSGPRsForWavesPerEU: 36
; NumVGPRsForWavesPerEU: 23
; AccumOffset: 24
; Occupancy: 8
; WaveLimiterHint : 0
; COMPUTE_PGM_RSRC2:SCRATCH_EN: 0
; COMPUTE_PGM_RSRC2:USER_SGPR: 6
; COMPUTE_PGM_RSRC2:TRAP_HANDLER: 0
; COMPUTE_PGM_RSRC2:TGID_X_EN: 1
; COMPUTE_PGM_RSRC2:TGID_Y_EN: 1
; COMPUTE_PGM_RSRC2:TGID_Z_EN: 0
; COMPUTE_PGM_RSRC2:TIDIG_COMP_CNT: 0
; COMPUTE_PGM_RSRC3_GFX90A:ACCUM_OFFSET: 5
; COMPUTE_PGM_RSRC3_GFX90A:TG_SPLIT: 0
	.section	.text._ZN5aiter35fused_qk_rmsnorm_group_quant_kernelIDF16_N4opus5fp4_tELi128ELi8ELi4ELb0ELb0ELb0ELb0ELb0ELb0EEEvPT0_PvPT_S7_S7_PKS6_S9_S9_S9_S9_ffiiiiiiiiiiiii,"axG",@progbits,_ZN5aiter35fused_qk_rmsnorm_group_quant_kernelIDF16_N4opus5fp4_tELi128ELi8ELi4ELb0ELb0ELb0ELb0ELb0ELb0EEEvPT0_PvPT_S7_S7_PKS6_S9_S9_S9_S9_ffiiiiiiiiiiiii,comdat
	.protected	_ZN5aiter35fused_qk_rmsnorm_group_quant_kernelIDF16_N4opus5fp4_tELi128ELi8ELi4ELb0ELb0ELb0ELb0ELb0ELb0EEEvPT0_PvPT_S7_S7_PKS6_S9_S9_S9_S9_ffiiiiiiiiiiiii ; -- Begin function _ZN5aiter35fused_qk_rmsnorm_group_quant_kernelIDF16_N4opus5fp4_tELi128ELi8ELi4ELb0ELb0ELb0ELb0ELb0ELb0EEEvPT0_PvPT_S7_S7_PKS6_S9_S9_S9_S9_ffiiiiiiiiiiiii
	.globl	_ZN5aiter35fused_qk_rmsnorm_group_quant_kernelIDF16_N4opus5fp4_tELi128ELi8ELi4ELb0ELb0ELb0ELb0ELb0ELb0EEEvPT0_PvPT_S7_S7_PKS6_S9_S9_S9_S9_ffiiiiiiiiiiiii
	.p2align	8
	.type	_ZN5aiter35fused_qk_rmsnorm_group_quant_kernelIDF16_N4opus5fp4_tELi128ELi8ELi4ELb0ELb0ELb0ELb0ELb0ELb0EEEvPT0_PvPT_S7_S7_PKS6_S9_S9_S9_S9_ffiiiiiiiiiiiii,@function
_ZN5aiter35fused_qk_rmsnorm_group_quant_kernelIDF16_N4opus5fp4_tELi128ELi8ELi4ELb0ELb0ELb0ELb0ELb0ELb0EEEvPT0_PvPT_S7_S7_PKS6_S9_S9_S9_S9_ffiiiiiiiiiiiii: ; @_ZN5aiter35fused_qk_rmsnorm_group_quant_kernelIDF16_N4opus5fp4_tELi128ELi8ELi4ELb0ELb0ELb0ELb0ELb0ELb0EEEvPT0_PvPT_S7_S7_PKS6_S9_S9_S9_S9_ffiiiiiiiiiiiii
; %bb.0:
	s_load_dwordx4 s[16:19], s[4:5], 0x50
	s_waitcnt lgkmcnt(0)
	s_cmp_ge_i32 s6, s18
	s_cbranch_scc1 .LBB455_12
; %bb.1:
	s_load_dwordx2 s[12:13], s[4:5], 0x48
	s_load_dwordx2 s[30:31], s[4:5], 0x30
	s_load_dwordx4 s[20:23], s[4:5], 0x60
	s_cmp_lg_u32 s7, 0
	s_cselect_b64 s[14:15], -1, 0
	s_cmp_eq_u32 s7, 0
	s_cselect_b64 vcc, -1, 0
	s_and_b64 s[0:1], vcc, exec
	s_waitcnt lgkmcnt(0)
	s_cselect_b32 s7, s19, s20
	s_add_i32 s0, s7, 1
	s_lshr_b32 s1, s0, 31
	s_add_i32 s0, s0, s1
	s_lshl_b32 s0, s0, 1
	v_lshlrev_b32_e32 v1, 3, v0
	s_and_b32 s10, s0, -4
	v_cmp_gt_i32_e64 s[2:3], s7, v1
	v_mov_b32_e32 v10, 0
	v_mov_b32_e32 v2, 0
	v_mov_b32_e32 v3, 0
	v_mov_b32_e32 v4, 0
	v_mov_b32_e32 v5, 0
	v_mov_b32_e32 v6, 0
	v_mov_b32_e32 v7, 0
	v_mov_b32_e32 v8, 0
	v_mov_b32_e32 v9, 0
	s_and_saveexec_b64 s[0:1], s[2:3]
	s_cbranch_execz .LBB455_3
; %bb.2:
	s_load_dwordx2 s[8:9], s[4:5], 0x28
	s_load_dwordx2 s[26:27], s[4:5], 0x40
	s_and_b64 s[24:25], vcc, exec
	s_cselect_b32 s11, s21, s22
	v_lshlrev_b32_e32 v11, 4, v0
	s_waitcnt lgkmcnt(0)
	s_cselect_b32 s18, s9, s31
	s_cselect_b32 s21, s8, s30
	s_mul_hi_i32 s9, s11, s6
	s_mul_i32 s8, s11, s6
	s_lshl_b64 s[8:9], s[8:9], 1
	s_add_u32 s24, s21, s8
	s_addc_u32 s18, s18, s9
	s_and_b64 s[8:9], vcc, exec
	s_mov_b32 s11, 0x20000
	s_cselect_b32 s8, s26, s12
	s_cselect_b32 s9, s27, s13
	s_and_b32 s25, s18, 0xffff
	s_mov_b32 s26, s10
	s_mov_b32 s27, s11
	s_and_b32 s9, s9, 0xffff
	buffer_load_dwordx4 v[6:9], v11, s[24:27], 0 offen glc slc
	buffer_load_dwordx4 v[2:5], v11, s[8:11], 0 offen
.LBB455_3:
	s_or_b64 exec, exec, s[0:1]
	v_mov_b32_e32 v11, 0
	v_mov_b32_e32 v16, 0
	;; [unrolled: 1-line block ×7, first 2 shown]
	s_and_saveexec_b64 s[0:1], s[2:3]
	s_cbranch_execz .LBB455_5
; %bb.4:
	s_waitcnt vmcnt(1)
	v_cvt_f32_f16_sdwa v11, v6 dst_sel:DWORD dst_unused:UNUSED_PAD src0_sel:WORD_1
	v_cvt_f32_f16_e32 v10, v6
	v_cvt_f32_f16_sdwa v17, v7 dst_sel:DWORD dst_unused:UNUSED_PAD src0_sel:WORD_1
	v_cvt_f32_f16_e32 v16, v7
	;; [unrolled: 2-line block ×4, first 2 shown]
.LBB455_5:
	s_or_b64 exec, exec, s[0:1]
	s_waitcnt vmcnt(1)
	v_mul_f32_e32 v6, v11, v11
	v_fmac_f32_e32 v6, v10, v10
	v_fmac_f32_e32 v6, v16, v16
	;; [unrolled: 1-line block ×7, first 2 shown]
	v_and_b32_e32 v8, 63, v0
	v_cmp_eq_u32_e64 s[0:1], 63, v8
	v_mov_b32_dpp v7, v6 quad_perm:[1,0,3,2] row_mask:0xf bank_mask:0xf
	v_add_f32_e32 v6, v6, v7
	s_nop 1
	v_mov_b32_dpp v7, v6 quad_perm:[2,3,0,1] row_mask:0xf bank_mask:0xf
	v_add_f32_e32 v6, v6, v7
	s_nop 1
	v_mov_b32_dpp v7, v6 row_half_mirror row_mask:0xf bank_mask:0xf
	v_add_f32_e32 v6, v6, v7
	s_nop 1
	v_mov_b32_dpp v7, v6 row_mirror row_mask:0xf bank_mask:0xf
	v_add_f32_e32 v6, v6, v7
	s_nop 1
	v_mov_b32_dpp v7, v6 row_bcast:15 row_mask:0xf bank_mask:0xf
	v_add_f32_e32 v6, v6, v7
	s_nop 1
	v_mov_b32_dpp v7, v6 row_bcast:31 row_mask:0xf bank_mask:0xf
	s_and_saveexec_b64 s[8:9], s[0:1]
	s_cbranch_execz .LBB455_7
; %bb.6:
	v_add_f32_e32 v6, v6, v7
	v_lshrrev_b32_e32 v7, 4, v0
	v_and_b32_e32 v7, 60, v7
	ds_write_b32 v7, v6 offset:8
.LBB455_7:
	s_or_b64 exec, exec, s[8:9]
	v_and_b32_e32 v6, 1, v0
	v_lshlrev_b32_e32 v18, 2, v6
	s_waitcnt lgkmcnt(0)
	s_barrier
	ds_read_b32 v6, v18 offset:8
	s_load_dwordx2 s[28:29], s[4:5], 0x18
	s_waitcnt lgkmcnt(0)
	v_mov_b32_dpp v7, v6 quad_perm:[1,0,3,2] row_mask:0xf bank_mask:0xf
	s_and_saveexec_b64 s[8:9], s[2:3]
	s_cbranch_execz .LBB455_9
; %bb.8:
	v_cvt_f32_u32_e32 v8, s7
	v_add_f32_e32 v6, v6, v7
	v_mov_b32_e32 v19, s17
	v_mov_b32_e32 v20, s16
	v_div_scale_f32 v7, s[24:25], v8, v8, v6
	v_rcp_f32_e32 v9, v7
	v_cndmask_b32_e32 v19, v19, v20, vcc
	s_mov_b32 s7, 0x800000
	v_fma_f32 v20, -v7, v9, 1.0
	v_fmac_f32_e32 v9, v20, v9
	v_div_scale_f32 v20, vcc, v6, v8, v6
	v_mul_f32_e32 v21, v20, v9
	v_fma_f32 v22, -v7, v21, v20
	v_fmac_f32_e32 v21, v22, v9
	v_fma_f32 v7, -v7, v21, v20
	v_div_fmas_f32 v7, v7, v9, v21
	v_div_fixup_f32 v6, v7, v8, v6
	v_add_f32_e32 v6, v19, v6
	v_mul_f32_e32 v7, 0x4b800000, v6
	v_cmp_gt_f32_e32 vcc, s7, v6
	v_cndmask_b32_e32 v6, v6, v7, vcc
	v_rsq_f32_e32 v6, v6
	s_waitcnt vmcnt(0)
	v_cvt_f32_f16_sdwa v21, v5 dst_sel:DWORD dst_unused:UNUSED_PAD src0_sel:WORD_1
	v_cvt_f32_f16_e32 v20, v5
	v_mul_f32_e32 v7, 0x45800000, v6
	v_cndmask_b32_e32 v6, v6, v7, vcc
	v_mov_b32_e32 v7, v6
	;;#ASMSTART
	v_pk_mul_f32 v[8:9], v[10:11], v[6:7]
	;;#ASMEND
	;;#ASMSTART
	v_pk_mul_f32 v[16:17], v[16:17], v[6:7]
	;;#ASMEND
	;; [unrolled: 3-line block ×4, first 2 shown]
	v_cvt_f32_f16_sdwa v11, v2 dst_sel:DWORD dst_unused:UNUSED_PAD src0_sel:WORD_1
	v_cvt_f32_f16_e32 v10, v2
	v_cvt_f32_f16_sdwa v15, v3 dst_sel:DWORD dst_unused:UNUSED_PAD src0_sel:WORD_1
	v_cvt_f32_f16_e32 v14, v3
	;; [unrolled: 2-line block ×3, first 2 shown]
	;;#ASMSTART
	v_pk_mul_f32 v[10:11], v[8:9], v[10:11]
	;;#ASMEND
	;;#ASMSTART
	v_pk_mul_f32 v[16:17], v[16:17], v[14:15]
	;;#ASMEND
	;; [unrolled: 3-line block ×4, first 2 shown]
.LBB455_9:
	s_or_b64 exec, exec, s[8:9]
	s_load_dword s7, s[4:5], 0x80
	s_mov_b64 s[8:9], -1
	s_and_b64 vcc, exec, s[14:15]
	s_cbranch_vccnz .LBB455_13
; %bb.10:
	s_andn2_b64 vcc, exec, s[8:9]
	s_cbranch_vccz .LBB455_16
.LBB455_11:
	s_cmp_lt_i32 s20, 1
	s_cbranch_scc0 .LBB455_23
.LBB455_12:
	s_endpgm
.LBB455_13:
	s_and_saveexec_b64 s[14:15], s[2:3]
	s_cbranch_execz .LBB455_15
; %bb.14:
	s_waitcnt lgkmcnt(0)
	s_mul_hi_i32 s9, s7, s6
	s_mul_i32 s8, s7, s6
	s_waitcnt vmcnt(0)
	v_cvt_f16_f32_e32 v2, v10
	v_cvt_f16_f32_e32 v3, v16
	;; [unrolled: 1-line block ×8, first 2 shown]
	s_lshl_b64 s[8:9], s[8:9], 1
	s_add_u32 s8, s28, s8
	s_addc_u32 s9, s29, s9
	s_and_b32 s9, s9, 0xffff
	s_mov_b32 s11, 0x20000
	v_pack_b32_f16 v5, v5, v6
	v_pack_b32_f16 v4, v4, v7
	;; [unrolled: 1-line block ×4, first 2 shown]
	v_lshlrev_b32_e32 v6, 4, v0
	buffer_store_dwordx4 v[2:5], v6, s[8:11], 0 offen
	;;#ASMSTART
	s_nop 0
	;;#ASMEND
.LBB455_15:
	s_or_b64 exec, exec, s[14:15]
	s_cbranch_execnz .LBB455_11
.LBB455_16:
	s_waitcnt vmcnt(0)
	v_mov_b32_e32 v2, 0
	s_and_saveexec_b64 s[8:9], s[2:3]
	s_cbranch_execz .LBB455_18
; %bb.17:
	v_and_b32_e32 v2, 0x7fffffff, v10
	v_and_b32_e32 v3, 0x7fffffff, v11
	v_mov_b32_e32 v4, 0x2edbe6ff
	;;#ASMSTART
	v_max3_f32 v2, v4, v2, v3

	;;#ASMEND
	v_and_b32_e32 v3, 0x7fffffff, v16
	v_and_b32_e32 v4, 0x7fffffff, v17
	;;#ASMSTART
	v_max3_f32 v2, v2, v3, v4

	;;#ASMEND
	v_and_b32_e32 v3, 0x7fffffff, v12
	v_and_b32_e32 v4, 0x7fffffff, v13
	;;#ASMSTART
	v_max3_f32 v2, v2, v3, v4

	;;#ASMEND
	v_and_b32_e32 v3, 0x7fffffff, v14
	v_and_b32_e32 v4, 0x7fffffff, v15
	;;#ASMSTART
	v_max3_f32 v2, v2, v3, v4

	;;#ASMEND
.LBB455_18:
	s_or_b64 exec, exec, s[8:9]
	s_load_dwordx4 s[24:27], s[4:5], 0x70
	;;#ASMSTART
	v_max_f32 v3, v2, v2 quad_perm:[1,0,3,2] row_mask:0xf bank_mask:0xf bound_ctrl:1
	;;#ASMEND
	;;#ASMSTART
	v_max_f32 v2, v3, v3 quad_perm:[2,3,0,1] row_mask:0xf bank_mask:0xf bound_ctrl:1
	;;#ASMEND
	v_and_b32_e32 v3, 3, v0
	v_cmp_eq_u32_e32 vcc, 0, v3
	v_cmp_gt_i32_e64 s[8:9], s19, v1
	s_and_b64 s[10:11], vcc, s[8:9]
	s_and_saveexec_b64 s[8:9], s[10:11]
	s_cbranch_execz .LBB455_20
; %bb.19:
	s_load_dwordx2 s[10:11], s[4:5], 0x8
	v_mul_f32_e32 v2, 0x3e2aaaab, v2
	v_lshrrev_b32_e32 v3, 23, v2
	v_and_b32_e32 v4, 0x7f800000, v2
	v_and_b32_e32 v2, 0x7fffff, v2
	v_cmp_ne_u32_e32 vcc, 0, v2
	s_waitcnt lgkmcnt(0)
	s_mul_i32 s16, s25, s6
	s_mov_b32 s14, 0x7f800000
	v_addc_co_u32_e32 v2, vcc, 0, v3, vcc
	s_mul_hi_i32 s15, s25, s6
	s_add_u32 s10, s10, s16
	v_cmp_ne_u32_e32 vcc, s14, v4
	s_addc_u32 s11, s11, s15
	v_lshrrev_b32_e32 v5, 2, v0
	v_cndmask_b32_e32 v4, -1, v2, vcc
	v_pk_mov_b32 v[2:3], s[10:11], s[10:11] op_sel:[0,1]
	v_mad_i64_i32 v[2:3], s[10:11], s26, v5, v[2:3]
	global_store_byte v[2:3], v4, off
.LBB455_20:
	s_or_b64 exec, exec, s[8:9]
	s_and_saveexec_b64 s[8:9], s[2:3]
	s_cbranch_execz .LBB455_22
; %bb.21:
	s_load_dwordx2 s[2:3], s[4:5], 0x0
	s_waitcnt lgkmcnt(0)
	s_mul_i32 s11, s24, s6
	s_mul_hi_i32 s10, s24, s6
	v_lshlrev_b32_e32 v2, 2, v0
	s_mov_b32 s27, 0x20000
	s_add_u32 s24, s2, s11
	s_addc_u32 s2, s3, s10
	s_lshr_b32 s3, s19, 31
	s_add_i32 s3, s19, s3
	s_ashr_i32 s3, s3, 1
	s_add_i32 s3, s3, 3
	s_ashr_i32 s10, s3, 31
	s_lshr_b32 s10, s10, 30
	s_add_i32 s3, s3, s10
	s_and_b32 s26, s3, -4
	s_and_b32 s25, s2, 0xffff
	v_mov_b32_e32 v3, 0
	buffer_store_dword v3, v2, s[24:27], 0 offen
	;;#ASMSTART
	s_nop 0
	;;#ASMEND
.LBB455_22:
	s_or_b64 exec, exec, s[8:9]
	s_cmp_lt_i32 s20, 1
	s_cbranch_scc1 .LBB455_12
.LBB455_23:
	s_load_dword s2, s[4:5], 0x94
	s_waitcnt lgkmcnt(0)
	s_cmp_lg_u32 s2, 1
	s_cbranch_scc1 .LBB455_12
; %bb.24:
	s_lshl_b32 s2, s20, 1
	s_add_i32 s2, s2, 2
	v_cmp_gt_u32_e32 vcc, s20, v1
	s_and_b32 s14, s2, -4
	v_mov_b32_e32 v10, 0
	v_lshlrev_b32_e32 v1, 4, v0
	v_mov_b32_e32 v6, 0
	v_mov_b32_e32 v7, 0
	;; [unrolled: 1-line block ×4, first 2 shown]
	s_waitcnt vmcnt(0)
	v_mov_b32_e32 v2, 0
	v_mov_b32_e32 v3, 0
	;; [unrolled: 1-line block ×4, first 2 shown]
	s_barrier
	s_and_saveexec_b64 s[2:3], vcc
	s_cbranch_execz .LBB455_26
; %bb.25:
	s_mul_hi_i32 s5, s22, s6
	s_mul_i32 s4, s22, s6
	s_and_b32 s13, s13, 0xffff
	s_lshl_b64 s[4:5], s[4:5], 1
	s_add_u32 s8, s30, s4
	s_mov_b32 s15, 0x20000
	s_addc_u32 s4, s31, s5
	s_and_b32 s9, s4, 0xffff
	s_mov_b32 s10, s14
	s_mov_b32 s11, s15
	buffer_load_dwordx4 v[6:9], v1, s[8:11], 0 offen glc slc
	buffer_load_dwordx4 v[2:5], v1, s[12:15], 0 offen
.LBB455_26:
	s_or_b64 exec, exec, s[2:3]
	v_mov_b32_e32 v11, 0
	v_mov_b32_e32 v16, 0
	;; [unrolled: 1-line block ×7, first 2 shown]
	s_and_saveexec_b64 s[2:3], vcc
	s_cbranch_execz .LBB455_28
; %bb.27:
	s_waitcnt vmcnt(1)
	v_cvt_f32_f16_sdwa v11, v6 dst_sel:DWORD dst_unused:UNUSED_PAD src0_sel:WORD_1
	v_cvt_f32_f16_e32 v10, v6
	v_cvt_f32_f16_sdwa v17, v7 dst_sel:DWORD dst_unused:UNUSED_PAD src0_sel:WORD_1
	v_cvt_f32_f16_e32 v16, v7
	;; [unrolled: 2-line block ×4, first 2 shown]
.LBB455_28:
	s_or_b64 exec, exec, s[2:3]
	s_waitcnt vmcnt(1)
	v_mul_f32_e32 v6, v11, v11
	v_fmac_f32_e32 v6, v10, v10
	v_fmac_f32_e32 v6, v16, v16
	;; [unrolled: 1-line block ×7, first 2 shown]
	s_nop 1
	v_mov_b32_dpp v7, v6 quad_perm:[1,0,3,2] row_mask:0xf bank_mask:0xf
	v_add_f32_e32 v6, v6, v7
	s_nop 1
	v_mov_b32_dpp v7, v6 quad_perm:[2,3,0,1] row_mask:0xf bank_mask:0xf
	v_add_f32_e32 v6, v6, v7
	s_nop 1
	v_mov_b32_dpp v7, v6 row_half_mirror row_mask:0xf bank_mask:0xf
	v_add_f32_e32 v6, v6, v7
	s_nop 1
	v_mov_b32_dpp v7, v6 row_mirror row_mask:0xf bank_mask:0xf
	v_add_f32_e32 v6, v6, v7
	s_nop 1
	v_mov_b32_dpp v7, v6 row_bcast:15 row_mask:0xf bank_mask:0xf
	v_add_f32_e32 v6, v6, v7
	s_nop 1
	v_mov_b32_dpp v7, v6 row_bcast:31 row_mask:0xf bank_mask:0xf
	s_and_saveexec_b64 s[2:3], s[0:1]
	s_cbranch_execz .LBB455_30
; %bb.29:
	v_lshrrev_b32_e32 v0, 4, v0
	v_add_f32_e32 v6, v6, v7
	v_and_b32_e32 v0, 60, v0
	ds_write_b32 v0, v6
.LBB455_30:
	s_or_b64 exec, exec, s[2:3]
	s_waitcnt lgkmcnt(0)
	s_barrier
	ds_read_b32 v0, v18
	s_waitcnt lgkmcnt(0)
	s_nop 0
	v_mov_b32_dpp v6, v0 quad_perm:[1,0,3,2] row_mask:0xf bank_mask:0xf
	s_and_saveexec_b64 s[0:1], vcc
	s_cbranch_execz .LBB455_12
; %bb.31:
	v_cvt_f32_u32_e32 v7, s20
	v_add_f32_e32 v0, v0, v6
	s_mov_b32 s15, 0x20000
	v_div_scale_f32 v6, s[0:1], v7, v7, v0
	v_rcp_f32_e32 v8, v6
	v_div_scale_f32 v9, vcc, v0, v7, v0
	s_mov_b32 s0, 0x800000
	v_fma_f32 v18, -v6, v8, 1.0
	v_fmac_f32_e32 v8, v18, v8
	v_mul_f32_e32 v18, v9, v8
	v_fma_f32 v19, -v6, v18, v9
	v_fmac_f32_e32 v18, v19, v8
	v_fma_f32 v6, -v6, v18, v9
	v_div_fmas_f32 v6, v6, v8, v18
	v_div_fixup_f32 v0, v6, v7, v0
	v_add_f32_e32 v0, s17, v0
	v_mul_f32_e32 v6, 0x4b800000, v0
	v_cmp_gt_f32_e32 vcc, s0, v0
	v_cndmask_b32_e32 v0, v0, v6, vcc
	v_rsq_f32_e32 v0, v0
	s_waitcnt vmcnt(0)
	v_cvt_f32_f16_sdwa v19, v5 dst_sel:DWORD dst_unused:UNUSED_PAD src0_sel:WORD_1
	v_cvt_f32_f16_e32 v18, v5
	s_mul_hi_i32 s1, s7, s6
	v_mul_f32_e32 v6, 0x45800000, v0
	v_cndmask_b32_e32 v6, v0, v6, vcc
	v_mov_b32_e32 v7, v6
	;;#ASMSTART
	v_pk_mul_f32 v[8:9], v[10:11], v[6:7]
	;;#ASMEND
	;;#ASMSTART
	v_pk_mul_f32 v[10:11], v[16:17], v[6:7]
	;;#ASMEND
	;; [unrolled: 3-line block ×4, first 2 shown]
	v_cvt_f32_f16_sdwa v13, v2 dst_sel:DWORD dst_unused:UNUSED_PAD src0_sel:WORD_1
	v_cvt_f32_f16_e32 v12, v2
	v_cvt_f32_f16_sdwa v17, v3 dst_sel:DWORD dst_unused:UNUSED_PAD src0_sel:WORD_1
	v_cvt_f32_f16_e32 v16, v3
	;; [unrolled: 2-line block ×3, first 2 shown]
	;;#ASMSTART
	v_pk_mul_f32 v[4:5], v[8:9], v[12:13]
	;;#ASMEND
	;;#ASMSTART
	v_pk_mul_f32 v[8:9], v[10:11], v[16:17]
	;;#ASMEND
	;; [unrolled: 3-line block ×4, first 2 shown]
	s_mul_i32 s0, s7, s6
	v_cvt_f16_f32_e32 v0, v4
	v_cvt_f16_f32_e32 v4, v5
	v_cvt_f16_f32_e32 v5, v8
	v_cvt_f16_f32_e32 v8, v9
	v_cvt_f16_f32_e32 v9, v2
	v_cvt_f16_f32_e32 v10, v3
	v_cvt_f16_f32_e32 v6, v6
	v_cvt_f16_f32_e32 v7, v7
	s_lshl_b64 s[0:1], s[0:1], 1
	s_add_u32 s12, s28, s0
	s_addc_u32 s0, s29, s1
	s_and_b32 s13, s0, 0xffff
	v_pack_b32_f16 v2, v0, v4
	v_pack_b32_f16 v3, v5, v8
	;; [unrolled: 1-line block ×4, first 2 shown]
	buffer_store_dwordx4 v[2:5], v1, s[12:15], 0 offen
	;;#ASMSTART
	s_nop 0
	;;#ASMEND
	s_endpgm
	.section	.rodata,"a",@progbits
	.p2align	6, 0x0
	.amdhsa_kernel _ZN5aiter35fused_qk_rmsnorm_group_quant_kernelIDF16_N4opus5fp4_tELi128ELi8ELi4ELb0ELb0ELb0ELb0ELb0ELb0EEEvPT0_PvPT_S7_S7_PKS6_S9_S9_S9_S9_ffiiiiiiiiiiiii
		.amdhsa_group_segment_fixed_size 16
		.amdhsa_private_segment_fixed_size 0
		.amdhsa_kernarg_size 400
		.amdhsa_user_sgpr_count 6
		.amdhsa_user_sgpr_private_segment_buffer 1
		.amdhsa_user_sgpr_dispatch_ptr 0
		.amdhsa_user_sgpr_queue_ptr 0
		.amdhsa_user_sgpr_kernarg_segment_ptr 1
		.amdhsa_user_sgpr_dispatch_id 0
		.amdhsa_user_sgpr_flat_scratch_init 0
		.amdhsa_user_sgpr_kernarg_preload_length 0
		.amdhsa_user_sgpr_kernarg_preload_offset 0
		.amdhsa_user_sgpr_private_segment_size 0
		.amdhsa_uses_dynamic_stack 0
		.amdhsa_system_sgpr_private_segment_wavefront_offset 0
		.amdhsa_system_sgpr_workgroup_id_x 1
		.amdhsa_system_sgpr_workgroup_id_y 1
		.amdhsa_system_sgpr_workgroup_id_z 0
		.amdhsa_system_sgpr_workgroup_info 0
		.amdhsa_system_vgpr_workitem_id 0
		.amdhsa_next_free_vgpr 23
		.amdhsa_next_free_sgpr 32
		.amdhsa_accum_offset 24
		.amdhsa_reserve_vcc 1
		.amdhsa_reserve_flat_scratch 0
		.amdhsa_float_round_mode_32 0
		.amdhsa_float_round_mode_16_64 0
		.amdhsa_float_denorm_mode_32 3
		.amdhsa_float_denorm_mode_16_64 3
		.amdhsa_dx10_clamp 1
		.amdhsa_ieee_mode 1
		.amdhsa_fp16_overflow 0
		.amdhsa_tg_split 0
		.amdhsa_exception_fp_ieee_invalid_op 0
		.amdhsa_exception_fp_denorm_src 0
		.amdhsa_exception_fp_ieee_div_zero 0
		.amdhsa_exception_fp_ieee_overflow 0
		.amdhsa_exception_fp_ieee_underflow 0
		.amdhsa_exception_fp_ieee_inexact 0
		.amdhsa_exception_int_div_zero 0
	.end_amdhsa_kernel
	.section	.text._ZN5aiter35fused_qk_rmsnorm_group_quant_kernelIDF16_N4opus5fp4_tELi128ELi8ELi4ELb0ELb0ELb0ELb0ELb0ELb0EEEvPT0_PvPT_S7_S7_PKS6_S9_S9_S9_S9_ffiiiiiiiiiiiii,"axG",@progbits,_ZN5aiter35fused_qk_rmsnorm_group_quant_kernelIDF16_N4opus5fp4_tELi128ELi8ELi4ELb0ELb0ELb0ELb0ELb0ELb0EEEvPT0_PvPT_S7_S7_PKS6_S9_S9_S9_S9_ffiiiiiiiiiiiii,comdat
.Lfunc_end455:
	.size	_ZN5aiter35fused_qk_rmsnorm_group_quant_kernelIDF16_N4opus5fp4_tELi128ELi8ELi4ELb0ELb0ELb0ELb0ELb0ELb0EEEvPT0_PvPT_S7_S7_PKS6_S9_S9_S9_S9_ffiiiiiiiiiiiii, .Lfunc_end455-_ZN5aiter35fused_qk_rmsnorm_group_quant_kernelIDF16_N4opus5fp4_tELi128ELi8ELi4ELb0ELb0ELb0ELb0ELb0ELb0EEEvPT0_PvPT_S7_S7_PKS6_S9_S9_S9_S9_ffiiiiiiiiiiiii
                                        ; -- End function
	.section	.AMDGPU.csdata,"",@progbits
; Kernel info:
; codeLenInByte = 2256
; NumSgprs: 36
; NumVgprs: 23
; NumAgprs: 0
; TotalNumVgprs: 23
; ScratchSize: 0
; MemoryBound: 0
; FloatMode: 240
; IeeeMode: 1
; LDSByteSize: 16 bytes/workgroup (compile time only)
; SGPRBlocks: 4
; VGPRBlocks: 2
; NumSGPRsForWavesPerEU: 36
; NumVGPRsForWavesPerEU: 23
; AccumOffset: 24
; Occupancy: 8
; WaveLimiterHint : 0
; COMPUTE_PGM_RSRC2:SCRATCH_EN: 0
; COMPUTE_PGM_RSRC2:USER_SGPR: 6
; COMPUTE_PGM_RSRC2:TRAP_HANDLER: 0
; COMPUTE_PGM_RSRC2:TGID_X_EN: 1
; COMPUTE_PGM_RSRC2:TGID_Y_EN: 1
; COMPUTE_PGM_RSRC2:TGID_Z_EN: 0
; COMPUTE_PGM_RSRC2:TIDIG_COMP_CNT: 0
; COMPUTE_PGM_RSRC3_GFX90A:ACCUM_OFFSET: 5
; COMPUTE_PGM_RSRC3_GFX90A:TG_SPLIT: 0
	.section	.text._ZN5aiter35fused_qk_rmsnorm_group_quant_kernelItN4opus5fp4_tELi128ELi8ELi4ELb0ELb0ELb0ELb0ELb0ELb0EEEvPT0_PvPT_S7_S7_PKS6_S9_S9_S9_S9_ffiiiiiiiiiiiii,"axG",@progbits,_ZN5aiter35fused_qk_rmsnorm_group_quant_kernelItN4opus5fp4_tELi128ELi8ELi4ELb0ELb0ELb0ELb0ELb0ELb0EEEvPT0_PvPT_S7_S7_PKS6_S9_S9_S9_S9_ffiiiiiiiiiiiii,comdat
	.protected	_ZN5aiter35fused_qk_rmsnorm_group_quant_kernelItN4opus5fp4_tELi128ELi8ELi4ELb0ELb0ELb0ELb0ELb0ELb0EEEvPT0_PvPT_S7_S7_PKS6_S9_S9_S9_S9_ffiiiiiiiiiiiii ; -- Begin function _ZN5aiter35fused_qk_rmsnorm_group_quant_kernelItN4opus5fp4_tELi128ELi8ELi4ELb0ELb0ELb0ELb0ELb0ELb0EEEvPT0_PvPT_S7_S7_PKS6_S9_S9_S9_S9_ffiiiiiiiiiiiii
	.globl	_ZN5aiter35fused_qk_rmsnorm_group_quant_kernelItN4opus5fp4_tELi128ELi8ELi4ELb0ELb0ELb0ELb0ELb0ELb0EEEvPT0_PvPT_S7_S7_PKS6_S9_S9_S9_S9_ffiiiiiiiiiiiii
	.p2align	8
	.type	_ZN5aiter35fused_qk_rmsnorm_group_quant_kernelItN4opus5fp4_tELi128ELi8ELi4ELb0ELb0ELb0ELb0ELb0ELb0EEEvPT0_PvPT_S7_S7_PKS6_S9_S9_S9_S9_ffiiiiiiiiiiiii,@function
_ZN5aiter35fused_qk_rmsnorm_group_quant_kernelItN4opus5fp4_tELi128ELi8ELi4ELb0ELb0ELb0ELb0ELb0ELb0EEEvPT0_PvPT_S7_S7_PKS6_S9_S9_S9_S9_ffiiiiiiiiiiiii: ; @_ZN5aiter35fused_qk_rmsnorm_group_quant_kernelItN4opus5fp4_tELi128ELi8ELi4ELb0ELb0ELb0ELb0ELb0ELb0EEEvPT0_PvPT_S7_S7_PKS6_S9_S9_S9_S9_ffiiiiiiiiiiiii
; %bb.0:
	s_load_dwordx4 s[16:19], s[4:5], 0x50
	s_waitcnt lgkmcnt(0)
	s_cmp_ge_i32 s6, s18
	s_cbranch_scc1 .LBB456_10
; %bb.1:
	s_load_dwordx2 s[12:13], s[4:5], 0x48
	s_load_dwordx2 s[30:31], s[4:5], 0x30
	s_load_dwordx4 s[20:23], s[4:5], 0x60
	s_cmp_lg_u32 s7, 0
	s_cselect_b64 s[14:15], -1, 0
	s_cmp_eq_u32 s7, 0
	s_cselect_b64 vcc, -1, 0
	s_and_b64 s[0:1], vcc, exec
	s_waitcnt lgkmcnt(0)
	s_cselect_b32 s7, s19, s20
	s_add_i32 s0, s7, 1
	s_lshr_b32 s1, s0, 31
	s_add_i32 s0, s0, s1
	s_lshl_b32 s0, s0, 1
	v_lshlrev_b32_e32 v1, 3, v0
	s_and_b32 s10, s0, -4
	v_cmp_gt_i32_e64 s[2:3], s7, v1
	v_mov_b32_e32 v2, 0
	v_mov_b32_e32 v3, 0
	;; [unrolled: 1-line block ×8, first 2 shown]
	s_and_saveexec_b64 s[0:1], s[2:3]
	s_cbranch_execz .LBB456_3
; %bb.2:
	s_load_dwordx2 s[8:9], s[4:5], 0x28
	s_load_dwordx2 s[26:27], s[4:5], 0x40
	s_and_b64 s[24:25], vcc, exec
	s_cselect_b32 s11, s21, s22
	v_lshlrev_b32_e32 v10, 4, v0
	s_waitcnt lgkmcnt(0)
	s_cselect_b32 s18, s9, s31
	s_cselect_b32 s21, s8, s30
	s_mul_hi_i32 s9, s11, s6
	s_mul_i32 s8, s11, s6
	s_lshl_b64 s[8:9], s[8:9], 1
	s_add_u32 s24, s21, s8
	s_addc_u32 s18, s18, s9
	s_and_b64 s[8:9], vcc, exec
	s_mov_b32 s11, 0x20000
	s_cselect_b32 s8, s26, s12
	s_cselect_b32 s9, s27, s13
	s_and_b32 s25, s18, 0xffff
	s_mov_b32 s26, s10
	s_mov_b32 s27, s11
	s_and_b32 s9, s9, 0xffff
	buffer_load_dwordx4 v[6:9], v10, s[24:27], 0 offen glc slc
	buffer_load_dwordx4 v[2:5], v10, s[8:11], 0 offen
.LBB456_3:
	s_or_b64 exec, exec, s[0:1]
	s_waitcnt vmcnt(1)
	v_cvt_f32_u32_sdwa v13, v6 dst_sel:DWORD dst_unused:UNUSED_PAD src0_sel:WORD_1
	v_cvt_f32_u32_sdwa v12, v6 dst_sel:DWORD dst_unused:UNUSED_PAD src0_sel:WORD_0
	v_cvt_f32_u32_sdwa v6, v9 dst_sel:DWORD dst_unused:UNUSED_PAD src0_sel:WORD_1
	v_cvt_f32_u32_sdwa v9, v9 dst_sel:DWORD dst_unused:UNUSED_PAD src0_sel:WORD_0
	;; [unrolled: 2-line block ×4, first 2 shown]
	v_cndmask_b32_e64 v13, 0, v13, s[2:3]
	v_cndmask_b32_e64 v7, 0, v6, s[2:3]
	;; [unrolled: 1-line block ×5, first 2 shown]
	v_mul_f32_e32 v14, v13, v13
	v_cndmask_b32_e64 v10, 0, v10, s[2:3]
	v_fmac_f32_e32 v14, v12, v12
	v_cndmask_b32_e64 v11, 0, v11, s[2:3]
	v_fmac_f32_e32 v14, v10, v10
	;; [unrolled: 2-line block ×3, first 2 shown]
	v_fmac_f32_e32 v14, v8, v8
	v_fmac_f32_e32 v14, v9, v9
	;; [unrolled: 1-line block ×4, first 2 shown]
	v_and_b32_e32 v16, 63, v0
	v_cmp_eq_u32_e64 s[0:1], 63, v16
	v_mov_b32_dpp v15, v14 quad_perm:[1,0,3,2] row_mask:0xf bank_mask:0xf
	v_add_f32_e32 v14, v14, v15
	s_nop 1
	v_mov_b32_dpp v15, v14 quad_perm:[2,3,0,1] row_mask:0xf bank_mask:0xf
	v_add_f32_e32 v14, v14, v15
	s_nop 1
	v_mov_b32_dpp v15, v14 row_half_mirror row_mask:0xf bank_mask:0xf
	v_add_f32_e32 v14, v14, v15
	s_nop 1
	v_mov_b32_dpp v15, v14 row_mirror row_mask:0xf bank_mask:0xf
	v_add_f32_e32 v14, v14, v15
	s_nop 1
	v_mov_b32_dpp v15, v14 row_bcast:15 row_mask:0xf bank_mask:0xf
	v_add_f32_e32 v14, v14, v15
	s_nop 1
	v_mov_b32_dpp v15, v14 row_bcast:31 row_mask:0xf bank_mask:0xf
	s_and_saveexec_b64 s[8:9], s[0:1]
	s_cbranch_execz .LBB456_5
; %bb.4:
	v_add_f32_e32 v14, v14, v15
	v_lshrrev_b32_e32 v15, 4, v0
	v_and_b32_e32 v15, 60, v15
	ds_write_b32 v15, v14 offset:8
.LBB456_5:
	s_or_b64 exec, exec, s[8:9]
	v_and_b32_e32 v14, 1, v0
	v_lshlrev_b32_e32 v14, 2, v14
	s_waitcnt lgkmcnt(0)
	s_barrier
	ds_read_b32 v15, v14 offset:8
	s_load_dwordx2 s[28:29], s[4:5], 0x18
	s_waitcnt lgkmcnt(0)
	v_mov_b32_dpp v16, v15 quad_perm:[1,0,3,2] row_mask:0xf bank_mask:0xf
	s_and_saveexec_b64 s[8:9], s[2:3]
	s_cbranch_execz .LBB456_7
; %bb.6:
	v_cvt_f32_u32_e32 v17, s7
	v_add_f32_e32 v15, v15, v16
	v_mov_b32_e32 v19, s17
	v_mov_b32_e32 v20, s16
	v_div_scale_f32 v16, s[24:25], v17, v17, v15
	v_rcp_f32_e32 v18, v16
	v_cndmask_b32_e32 v19, v19, v20, vcc
	s_mov_b32 s7, 0x800000
	v_fma_f32 v20, -v16, v18, 1.0
	v_fmac_f32_e32 v18, v20, v18
	v_div_scale_f32 v20, vcc, v15, v17, v15
	v_mul_f32_e32 v21, v20, v18
	v_fma_f32 v22, -v16, v21, v20
	v_fmac_f32_e32 v21, v22, v18
	v_fma_f32 v16, -v16, v21, v20
	v_div_fmas_f32 v16, v16, v18, v21
	v_div_fixup_f32 v15, v16, v17, v15
	v_add_f32_e32 v15, v19, v15
	v_mul_f32_e32 v16, 0x4b800000, v15
	v_cmp_gt_f32_e32 vcc, s7, v15
	v_cndmask_b32_e32 v15, v15, v16, vcc
	v_rsq_f32_e32 v15, v15
	s_waitcnt vmcnt(0)
	v_cvt_f32_u32_sdwa v19, v3 dst_sel:DWORD dst_unused:UNUSED_PAD src0_sel:WORD_1
	v_cvt_f32_u32_sdwa v18, v3 dst_sel:DWORD dst_unused:UNUSED_PAD src0_sel:WORD_0
	v_cvt_f32_u32_sdwa v3, v4 dst_sel:DWORD dst_unused:UNUSED_PAD src0_sel:WORD_1
	v_mul_f32_e32 v16, 0x45800000, v15
	v_cndmask_b32_e32 v16, v15, v16, vcc
	v_mov_b32_e32 v17, v16
	;;#ASMSTART
	v_pk_mul_f32 v[12:13], v[12:13], v[16:17]
	;;#ASMEND
	;;#ASMSTART
	v_pk_mul_f32 v[10:11], v[10:11], v[16:17]
	;;#ASMEND
	;; [unrolled: 3-line block ×4, first 2 shown]
	v_cvt_f32_u32_sdwa v17, v2 dst_sel:DWORD dst_unused:UNUSED_PAD src0_sel:WORD_1
	v_cvt_f32_u32_sdwa v16, v2 dst_sel:DWORD dst_unused:UNUSED_PAD src0_sel:WORD_0
	v_cvt_f32_u32_sdwa v2, v4 dst_sel:DWORD dst_unused:UNUSED_PAD src0_sel:WORD_0
	v_cvt_f32_u32_sdwa v21, v5 dst_sel:DWORD dst_unused:UNUSED_PAD src0_sel:WORD_1
	v_cvt_f32_u32_sdwa v20, v5 dst_sel:DWORD dst_unused:UNUSED_PAD src0_sel:WORD_0
	;;#ASMSTART
	v_pk_mul_f32 v[12:13], v[12:13], v[16:17]
	;;#ASMEND
	;;#ASMSTART
	v_pk_mul_f32 v[10:11], v[10:11], v[18:19]
	;;#ASMEND
	;; [unrolled: 3-line block ×4, first 2 shown]
.LBB456_7:
	s_or_b64 exec, exec, s[8:9]
	s_load_dword s7, s[4:5], 0x80
	s_mov_b64 s[8:9], -1
	s_and_b64 vcc, exec, s[14:15]
	s_cbranch_vccnz .LBB456_11
; %bb.8:
	s_andn2_b64 vcc, exec, s[8:9]
	s_cbranch_vccz .LBB456_14
.LBB456_9:
	s_cmp_lt_i32 s20, 1
	s_cbranch_scc0 .LBB456_21
.LBB456_10:
	s_endpgm
.LBB456_11:
	s_and_saveexec_b64 s[14:15], s[2:3]
	s_cbranch_execz .LBB456_13
; %bb.12:
	s_waitcnt lgkmcnt(0)
	s_mul_hi_i32 s9, s7, s6
	s_mul_i32 s8, s7, s6
	s_lshl_b64 s[8:9], s[8:9], 1
	s_add_u32 s8, s28, s8
	s_addc_u32 s9, s29, s9
	s_mov_b32 s16, 0x7060302
	s_and_b32 s9, s9, 0xffff
	s_mov_b32 s11, 0x20000
	s_waitcnt vmcnt(0)
	v_perm_b32 v2, v13, v12, s16
	v_perm_b32 v3, v11, v10, s16
	;; [unrolled: 1-line block ×4, first 2 shown]
	v_lshlrev_b32_e32 v15, 4, v0
	buffer_store_dwordx4 v[2:5], v15, s[8:11], 0 offen
	;;#ASMSTART
	s_nop 0
	;;#ASMEND
.LBB456_13:
	s_or_b64 exec, exec, s[14:15]
	s_cbranch_execnz .LBB456_9
.LBB456_14:
	s_waitcnt vmcnt(0)
	v_mov_b32_e32 v2, 0
	s_and_saveexec_b64 s[8:9], s[2:3]
	s_cbranch_execz .LBB456_16
; %bb.15:
	v_and_b32_e32 v2, 0x7fffffff, v12
	v_and_b32_e32 v3, 0x7fffffff, v13
	v_mov_b32_e32 v4, 0x2edbe6ff
	;;#ASMSTART
	v_max3_f32 v2, v4, v2, v3

	;;#ASMEND
	v_and_b32_e32 v3, 0x7fffffff, v10
	v_and_b32_e32 v4, 0x7fffffff, v11
	;;#ASMSTART
	v_max3_f32 v2, v2, v3, v4

	;;#ASMEND
	v_and_b32_e32 v3, 0x7fffffff, v8
	v_and_b32_e32 v4, 0x7fffffff, v9
	;; [unrolled: 6-line block ×3, first 2 shown]
	;;#ASMSTART
	v_max3_f32 v2, v2, v3, v4

	;;#ASMEND
.LBB456_16:
	s_or_b64 exec, exec, s[8:9]
	s_load_dwordx4 s[24:27], s[4:5], 0x70
	;;#ASMSTART
	v_max_f32 v3, v2, v2 quad_perm:[1,0,3,2] row_mask:0xf bank_mask:0xf bound_ctrl:1
	;;#ASMEND
	;;#ASMSTART
	v_max_f32 v2, v3, v3 quad_perm:[2,3,0,1] row_mask:0xf bank_mask:0xf bound_ctrl:1
	;;#ASMEND
	v_and_b32_e32 v3, 3, v0
	v_cmp_eq_u32_e32 vcc, 0, v3
	v_cmp_gt_i32_e64 s[8:9], s19, v1
	s_and_b64 s[10:11], vcc, s[8:9]
	s_and_saveexec_b64 s[8:9], s[10:11]
	s_cbranch_execz .LBB456_18
; %bb.17:
	s_load_dwordx2 s[10:11], s[4:5], 0x8
	v_mul_f32_e32 v2, 0x3e2aaaab, v2
	v_lshrrev_b32_e32 v3, 23, v2
	v_and_b32_e32 v4, 0x7f800000, v2
	v_and_b32_e32 v2, 0x7fffff, v2
	v_cmp_ne_u32_e32 vcc, 0, v2
	s_waitcnt lgkmcnt(0)
	s_mul_i32 s16, s25, s6
	s_mov_b32 s14, 0x7f800000
	v_addc_co_u32_e32 v2, vcc, 0, v3, vcc
	s_mul_hi_i32 s15, s25, s6
	s_add_u32 s10, s10, s16
	v_cmp_ne_u32_e32 vcc, s14, v4
	s_addc_u32 s11, s11, s15
	v_lshrrev_b32_e32 v5, 2, v0
	v_cndmask_b32_e32 v4, -1, v2, vcc
	v_pk_mov_b32 v[2:3], s[10:11], s[10:11] op_sel:[0,1]
	v_mad_i64_i32 v[2:3], s[10:11], s26, v5, v[2:3]
	global_store_byte v[2:3], v4, off
.LBB456_18:
	s_or_b64 exec, exec, s[8:9]
	s_and_saveexec_b64 s[8:9], s[2:3]
	s_cbranch_execz .LBB456_20
; %bb.19:
	s_load_dwordx2 s[2:3], s[4:5], 0x0
	s_waitcnt lgkmcnt(0)
	s_mul_i32 s11, s24, s6
	s_mul_hi_i32 s10, s24, s6
	v_lshlrev_b32_e32 v2, 2, v0
	s_mov_b32 s27, 0x20000
	s_add_u32 s24, s2, s11
	s_addc_u32 s2, s3, s10
	s_lshr_b32 s3, s19, 31
	s_add_i32 s3, s19, s3
	s_ashr_i32 s3, s3, 1
	s_add_i32 s3, s3, 3
	s_ashr_i32 s10, s3, 31
	s_lshr_b32 s10, s10, 30
	s_add_i32 s3, s3, s10
	s_and_b32 s26, s3, -4
	s_and_b32 s25, s2, 0xffff
	v_mov_b32_e32 v3, 0
	buffer_store_dword v3, v2, s[24:27], 0 offen
	;;#ASMSTART
	s_nop 0
	;;#ASMEND
.LBB456_20:
	s_or_b64 exec, exec, s[8:9]
	s_cmp_lt_i32 s20, 1
	s_cbranch_scc1 .LBB456_10
.LBB456_21:
	s_load_dword s2, s[4:5], 0x94
	s_waitcnt lgkmcnt(0)
	s_cmp_lg_u32 s2, 1
	s_cbranch_scc1 .LBB456_10
; %bb.22:
	s_lshl_b32 s2, s20, 1
	s_add_i32 s2, s2, 2
	v_cmp_gt_u32_e32 vcc, s20, v1
	s_and_b32 s14, s2, -4
	v_mov_b32_e32 v6, 0
	v_lshlrev_b32_e32 v1, 4, v0
	v_mov_b32_e32 v7, 0
	v_mov_b32_e32 v8, 0
	;; [unrolled: 1-line block ×3, first 2 shown]
	s_waitcnt vmcnt(0)
	v_mov_b32_e32 v2, 0
	v_mov_b32_e32 v3, 0
	;; [unrolled: 1-line block ×4, first 2 shown]
	s_barrier
	s_and_saveexec_b64 s[2:3], vcc
	s_cbranch_execz .LBB456_24
; %bb.23:
	s_mul_hi_i32 s5, s22, s6
	s_mul_i32 s4, s22, s6
	s_and_b32 s13, s13, 0xffff
	s_lshl_b64 s[4:5], s[4:5], 1
	s_add_u32 s8, s30, s4
	s_mov_b32 s15, 0x20000
	s_addc_u32 s4, s31, s5
	s_and_b32 s9, s4, 0xffff
	s_mov_b32 s10, s14
	s_mov_b32 s11, s15
	buffer_load_dwordx4 v[6:9], v1, s[8:11], 0 offen glc slc
	buffer_load_dwordx4 v[2:5], v1, s[12:15], 0 offen
.LBB456_24:
	s_or_b64 exec, exec, s[2:3]
	s_waitcnt vmcnt(1)
	v_cvt_f32_u32_sdwa v13, v6 dst_sel:DWORD dst_unused:UNUSED_PAD src0_sel:WORD_1
	v_cvt_f32_u32_sdwa v12, v6 dst_sel:DWORD dst_unused:UNUSED_PAD src0_sel:WORD_0
	v_cvt_f32_u32_sdwa v6, v9 dst_sel:DWORD dst_unused:UNUSED_PAD src0_sel:WORD_1
	v_cvt_f32_u32_sdwa v9, v9 dst_sel:DWORD dst_unused:UNUSED_PAD src0_sel:WORD_0
	;; [unrolled: 2-line block ×4, first 2 shown]
	v_cndmask_b32_e32 v13, 0, v13, vcc
	v_cndmask_b32_e32 v7, 0, v6, vcc
	;; [unrolled: 1-line block ×5, first 2 shown]
	v_mul_f32_e32 v15, v13, v13
	v_cndmask_b32_e32 v10, 0, v10, vcc
	v_fmac_f32_e32 v15, v12, v12
	v_cndmask_b32_e32 v11, 0, v11, vcc
	v_fmac_f32_e32 v15, v10, v10
	;; [unrolled: 2-line block ×3, first 2 shown]
	v_fmac_f32_e32 v15, v8, v8
	v_fmac_f32_e32 v15, v9, v9
	;; [unrolled: 1-line block ×4, first 2 shown]
	s_nop 1
	v_mov_b32_dpp v16, v15 quad_perm:[1,0,3,2] row_mask:0xf bank_mask:0xf
	v_add_f32_e32 v15, v15, v16
	s_nop 1
	v_mov_b32_dpp v16, v15 quad_perm:[2,3,0,1] row_mask:0xf bank_mask:0xf
	v_add_f32_e32 v15, v15, v16
	s_nop 1
	v_mov_b32_dpp v16, v15 row_half_mirror row_mask:0xf bank_mask:0xf
	v_add_f32_e32 v15, v15, v16
	s_nop 1
	v_mov_b32_dpp v16, v15 row_mirror row_mask:0xf bank_mask:0xf
	v_add_f32_e32 v15, v15, v16
	s_nop 1
	v_mov_b32_dpp v16, v15 row_bcast:15 row_mask:0xf bank_mask:0xf
	v_add_f32_e32 v15, v15, v16
	s_nop 1
	v_mov_b32_dpp v16, v15 row_bcast:31 row_mask:0xf bank_mask:0xf
	s_and_saveexec_b64 s[2:3], s[0:1]
	s_cbranch_execz .LBB456_26
; %bb.25:
	v_lshrrev_b32_e32 v0, 4, v0
	v_add_f32_e32 v15, v15, v16
	v_and_b32_e32 v0, 60, v0
	ds_write_b32 v0, v15
.LBB456_26:
	s_or_b64 exec, exec, s[2:3]
	s_waitcnt lgkmcnt(0)
	s_barrier
	ds_read_b32 v0, v14
	s_waitcnt lgkmcnt(0)
	s_nop 0
	v_mov_b32_dpp v14, v0 quad_perm:[1,0,3,2] row_mask:0xf bank_mask:0xf
	s_and_saveexec_b64 s[0:1], vcc
	s_cbranch_execz .LBB456_10
; %bb.27:
	v_cvt_f32_u32_e32 v15, s20
	v_add_f32_e32 v0, v0, v14
	s_mov_b32 s15, 0x20000
	v_div_scale_f32 v14, s[0:1], v15, v15, v0
	v_rcp_f32_e32 v16, v14
	v_div_scale_f32 v17, vcc, v0, v15, v0
	s_mov_b32 s0, 0x800000
	v_fma_f32 v18, -v14, v16, 1.0
	v_fmac_f32_e32 v16, v18, v16
	v_mul_f32_e32 v18, v17, v16
	v_fma_f32 v19, -v14, v18, v17
	v_fmac_f32_e32 v18, v19, v16
	v_fma_f32 v14, -v14, v18, v17
	v_div_fmas_f32 v14, v14, v16, v18
	v_div_fixup_f32 v0, v14, v15, v0
	v_add_f32_e32 v0, s17, v0
	v_mul_f32_e32 v14, 0x4b800000, v0
	v_cmp_gt_f32_e32 vcc, s0, v0
	v_cndmask_b32_e32 v0, v0, v14, vcc
	v_rsq_f32_e32 v0, v0
	s_mul_hi_i32 s1, s7, s6
	s_mul_i32 s0, s7, s6
	s_lshl_b64 s[0:1], s[0:1], 1
	v_mul_f32_e32 v14, 0x45800000, v0
	v_cndmask_b32_e32 v14, v0, v14, vcc
	s_add_u32 s12, s28, s0
	v_mov_b32_e32 v15, v14
	s_addc_u32 s0, s29, s1
	;;#ASMSTART
	v_pk_mul_f32 v[12:13], v[12:13], v[14:15]
	;;#ASMEND
	;;#ASMSTART
	v_pk_mul_f32 v[10:11], v[10:11], v[14:15]
	;;#ASMEND
	;; [unrolled: 3-line block ×4, first 2 shown]
	s_waitcnt vmcnt(0)
	v_cvt_f32_u32_sdwa v15, v2 dst_sel:DWORD dst_unused:UNUSED_PAD src0_sel:WORD_1
	v_cvt_f32_u32_sdwa v14, v2 dst_sel:DWORD dst_unused:UNUSED_PAD src0_sel:WORD_0
	v_cvt_f32_u32_sdwa v17, v3 dst_sel:DWORD dst_unused:UNUSED_PAD src0_sel:WORD_1
	v_cvt_f32_u32_sdwa v16, v3 dst_sel:DWORD dst_unused:UNUSED_PAD src0_sel:WORD_0
	;; [unrolled: 2-line block ×4, first 2 shown]
	;;#ASMSTART
	v_pk_mul_f32 v[4:5], v[12:13], v[14:15]
	;;#ASMEND
	s_and_b32 s13, s0, 0xffff
	s_mov_b32 s0, 0x7060302
	;;#ASMSTART
	v_pk_mul_f32 v[10:11], v[10:11], v[16:17]
	;;#ASMEND
	;;#ASMSTART
	v_pk_mul_f32 v[8:9], v[8:9], v[2:3]
	;;#ASMEND
	;; [unrolled: 3-line block ×3, first 2 shown]
	v_perm_b32 v2, v5, v4, s0
	v_perm_b32 v3, v11, v10, s0
	;; [unrolled: 1-line block ×4, first 2 shown]
	buffer_store_dwordx4 v[2:5], v1, s[12:15], 0 offen
	;;#ASMSTART
	s_nop 0
	;;#ASMEND
	s_endpgm
	.section	.rodata,"a",@progbits
	.p2align	6, 0x0
	.amdhsa_kernel _ZN5aiter35fused_qk_rmsnorm_group_quant_kernelItN4opus5fp4_tELi128ELi8ELi4ELb0ELb0ELb0ELb0ELb0ELb0EEEvPT0_PvPT_S7_S7_PKS6_S9_S9_S9_S9_ffiiiiiiiiiiiii
		.amdhsa_group_segment_fixed_size 16
		.amdhsa_private_segment_fixed_size 0
		.amdhsa_kernarg_size 400
		.amdhsa_user_sgpr_count 6
		.amdhsa_user_sgpr_private_segment_buffer 1
		.amdhsa_user_sgpr_dispatch_ptr 0
		.amdhsa_user_sgpr_queue_ptr 0
		.amdhsa_user_sgpr_kernarg_segment_ptr 1
		.amdhsa_user_sgpr_dispatch_id 0
		.amdhsa_user_sgpr_flat_scratch_init 0
		.amdhsa_user_sgpr_kernarg_preload_length 0
		.amdhsa_user_sgpr_kernarg_preload_offset 0
		.amdhsa_user_sgpr_private_segment_size 0
		.amdhsa_uses_dynamic_stack 0
		.amdhsa_system_sgpr_private_segment_wavefront_offset 0
		.amdhsa_system_sgpr_workgroup_id_x 1
		.amdhsa_system_sgpr_workgroup_id_y 1
		.amdhsa_system_sgpr_workgroup_id_z 0
		.amdhsa_system_sgpr_workgroup_info 0
		.amdhsa_system_vgpr_workitem_id 0
		.amdhsa_next_free_vgpr 23
		.amdhsa_next_free_sgpr 32
		.amdhsa_accum_offset 24
		.amdhsa_reserve_vcc 1
		.amdhsa_reserve_flat_scratch 0
		.amdhsa_float_round_mode_32 0
		.amdhsa_float_round_mode_16_64 0
		.amdhsa_float_denorm_mode_32 3
		.amdhsa_float_denorm_mode_16_64 3
		.amdhsa_dx10_clamp 1
		.amdhsa_ieee_mode 1
		.amdhsa_fp16_overflow 0
		.amdhsa_tg_split 0
		.amdhsa_exception_fp_ieee_invalid_op 0
		.amdhsa_exception_fp_denorm_src 0
		.amdhsa_exception_fp_ieee_div_zero 0
		.amdhsa_exception_fp_ieee_overflow 0
		.amdhsa_exception_fp_ieee_underflow 0
		.amdhsa_exception_fp_ieee_inexact 0
		.amdhsa_exception_int_div_zero 0
	.end_amdhsa_kernel
	.section	.text._ZN5aiter35fused_qk_rmsnorm_group_quant_kernelItN4opus5fp4_tELi128ELi8ELi4ELb0ELb0ELb0ELb0ELb0ELb0EEEvPT0_PvPT_S7_S7_PKS6_S9_S9_S9_S9_ffiiiiiiiiiiiii,"axG",@progbits,_ZN5aiter35fused_qk_rmsnorm_group_quant_kernelItN4opus5fp4_tELi128ELi8ELi4ELb0ELb0ELb0ELb0ELb0ELb0EEEvPT0_PvPT_S7_S7_PKS6_S9_S9_S9_S9_ffiiiiiiiiiiiii,comdat
.Lfunc_end456:
	.size	_ZN5aiter35fused_qk_rmsnorm_group_quant_kernelItN4opus5fp4_tELi128ELi8ELi4ELb0ELb0ELb0ELb0ELb0ELb0EEEvPT0_PvPT_S7_S7_PKS6_S9_S9_S9_S9_ffiiiiiiiiiiiii, .Lfunc_end456-_ZN5aiter35fused_qk_rmsnorm_group_quant_kernelItN4opus5fp4_tELi128ELi8ELi4ELb0ELb0ELb0ELb0ELb0ELb0EEEvPT0_PvPT_S7_S7_PKS6_S9_S9_S9_S9_ffiiiiiiiiiiiii
                                        ; -- End function
	.section	.AMDGPU.csdata,"",@progbits
; Kernel info:
; codeLenInByte = 2272
; NumSgprs: 36
; NumVgprs: 23
; NumAgprs: 0
; TotalNumVgprs: 23
; ScratchSize: 0
; MemoryBound: 0
; FloatMode: 240
; IeeeMode: 1
; LDSByteSize: 16 bytes/workgroup (compile time only)
; SGPRBlocks: 4
; VGPRBlocks: 2
; NumSGPRsForWavesPerEU: 36
; NumVGPRsForWavesPerEU: 23
; AccumOffset: 24
; Occupancy: 8
; WaveLimiterHint : 0
; COMPUTE_PGM_RSRC2:SCRATCH_EN: 0
; COMPUTE_PGM_RSRC2:USER_SGPR: 6
; COMPUTE_PGM_RSRC2:TRAP_HANDLER: 0
; COMPUTE_PGM_RSRC2:TGID_X_EN: 1
; COMPUTE_PGM_RSRC2:TGID_Y_EN: 1
; COMPUTE_PGM_RSRC2:TGID_Z_EN: 0
; COMPUTE_PGM_RSRC2:TIDIG_COMP_CNT: 0
; COMPUTE_PGM_RSRC3_GFX90A:ACCUM_OFFSET: 5
; COMPUTE_PGM_RSRC3_GFX90A:TG_SPLIT: 0
	.section	.text._ZN5aiter35fused_qk_rmsnorm_group_quant_kernelIDF16_DB8_Li256ELi8ELi16ELb1ELb1ELb1ELb1ELb0ELb0EEEvPT0_PvPT_S6_S6_PKS5_S8_S8_S8_S8_ffiiiiiiiiiiiii,"axG",@progbits,_ZN5aiter35fused_qk_rmsnorm_group_quant_kernelIDF16_DB8_Li256ELi8ELi16ELb1ELb1ELb1ELb1ELb0ELb0EEEvPT0_PvPT_S6_S6_PKS5_S8_S8_S8_S8_ffiiiiiiiiiiiii,comdat
	.protected	_ZN5aiter35fused_qk_rmsnorm_group_quant_kernelIDF16_DB8_Li256ELi8ELi16ELb1ELb1ELb1ELb1ELb0ELb0EEEvPT0_PvPT_S6_S6_PKS5_S8_S8_S8_S8_ffiiiiiiiiiiiii ; -- Begin function _ZN5aiter35fused_qk_rmsnorm_group_quant_kernelIDF16_DB8_Li256ELi8ELi16ELb1ELb1ELb1ELb1ELb0ELb0EEEvPT0_PvPT_S6_S6_PKS5_S8_S8_S8_S8_ffiiiiiiiiiiiii
	.globl	_ZN5aiter35fused_qk_rmsnorm_group_quant_kernelIDF16_DB8_Li256ELi8ELi16ELb1ELb1ELb1ELb1ELb0ELb0EEEvPT0_PvPT_S6_S6_PKS5_S8_S8_S8_S8_ffiiiiiiiiiiiii
	.p2align	8
	.type	_ZN5aiter35fused_qk_rmsnorm_group_quant_kernelIDF16_DB8_Li256ELi8ELi16ELb1ELb1ELb1ELb1ELb0ELb0EEEvPT0_PvPT_S6_S6_PKS5_S8_S8_S8_S8_ffiiiiiiiiiiiii,@function
_ZN5aiter35fused_qk_rmsnorm_group_quant_kernelIDF16_DB8_Li256ELi8ELi16ELb1ELb1ELb1ELb1ELb0ELb0EEEvPT0_PvPT_S6_S6_PKS5_S8_S8_S8_S8_ffiiiiiiiiiiiii: ; @_ZN5aiter35fused_qk_rmsnorm_group_quant_kernelIDF16_DB8_Li256ELi8ELi16ELb1ELb1ELb1ELb1ELb0ELb0EEEvPT0_PvPT_S6_S6_PKS5_S8_S8_S8_S8_ffiiiiiiiiiiiii
; %bb.0:
	s_load_dwordx8 s[12:19], s[4:5], 0x50
	s_waitcnt lgkmcnt(0)
	s_cmp_ge_i32 s6, s14
	s_cbranch_scc1 .LBB457_17
; %bb.1:
	s_cmp_lg_u32 s7, 0
	s_cselect_b64 s[22:23], -1, 0
	s_cmp_eq_u32 s7, 0
	s_cselect_b64 s[2:3], -1, 0
	s_and_b64 s[0:1], s[2:3], exec
	s_cselect_b32 s7, s15, s16
	s_load_dwordx2 s[10:11], s[4:5], 0x30
	s_load_dwordx2 s[20:21], s[4:5], 0x48
	s_add_i32 s0, s7, 1
	s_lshr_b32 s1, s0, 31
	s_add_i32 s0, s0, s1
	s_lshl_b32 s0, s0, 1
	v_lshlrev_b32_e32 v1, 3, v0
	s_and_b32 s30, s0, -4
	v_cmp_gt_i32_e64 s[0:1], s7, v1
	v_mov_b32_e32 v2, 0
	v_mov_b32_e32 v3, 0
	;; [unrolled: 1-line block ×8, first 2 shown]
	s_and_saveexec_b64 s[8:9], s[0:1]
	s_cbranch_execz .LBB457_3
; %bb.2:
	s_load_dwordx2 s[14:15], s[4:5], 0x28
	s_load_dwordx2 s[26:27], s[4:5], 0x40
	s_and_b64 s[24:25], s[2:3], exec
	s_cselect_b32 s17, s17, s18
	s_mov_b32 s31, 0x20000
	s_waitcnt lgkmcnt(0)
	s_cselect_b32 s25, s15, s11
	s_cselect_b32 s24, s14, s10
	s_mul_hi_i32 s15, s17, s6
	s_mul_i32 s14, s17, s6
	s_lshl_b64 s[14:15], s[14:15], 1
	s_add_u32 s24, s24, s14
	s_addc_u32 s17, s25, s15
	s_and_b64 s[14:15], s[2:3], exec
	s_cselect_b32 s28, s26, s20
	s_cselect_b32 s14, s27, s21
	v_lshlrev_b32_e32 v10, 4, v0
	s_and_b32 s25, s17, 0xffff
	s_mov_b32 s26, s30
	s_mov_b32 s27, s31
	s_and_b32 s29, s14, 0xffff
	buffer_load_dwordx4 v[6:9], v10, s[24:27], 0 offen glc slc
	buffer_load_dwordx4 v[2:5], v10, s[28:31], 0 offen
.LBB457_3:
	s_or_b64 exec, exec, s[8:9]
	s_load_dwordx4 s[24:27], s[4:5], 0x7c
	s_and_b64 vcc, exec, s[22:23]
	s_cbranch_vccz .LBB457_7
; %bb.4:
	v_mov_b32_e32 v11, 0
	v_mov_b32_e32 v10, 0
	;; [unrolled: 1-line block ×8, first 2 shown]
	s_and_saveexec_b64 s[8:9], s[0:1]
	s_cbranch_execz .LBB457_6
; %bb.5:
	s_waitcnt vmcnt(1)
	v_cvt_f32_f16_sdwa v13, v6 dst_sel:DWORD dst_unused:UNUSED_PAD src0_sel:WORD_1
	v_cvt_f32_f16_e32 v12, v6
	v_cvt_f32_f16_sdwa v17, v7 dst_sel:DWORD dst_unused:UNUSED_PAD src0_sel:WORD_1
	v_cvt_f32_f16_e32 v16, v7
	;; [unrolled: 2-line block ×4, first 2 shown]
.LBB457_6:
	s_or_b64 exec, exec, s[8:9]
	s_cbranch_execz .LBB457_8
	s_branch .LBB457_11
.LBB457_7:
                                        ; implicit-def: $vgpr11
                                        ; implicit-def: $vgpr15
                                        ; implicit-def: $vgpr17
                                        ; implicit-def: $vgpr13
.LBB457_8:
	v_mov_b32_e32 v11, 0
	v_mov_b32_e32 v10, 0
	;; [unrolled: 1-line block ×8, first 2 shown]
	s_and_saveexec_b64 s[8:9], s[0:1]
	s_cbranch_execz .LBB457_10
; %bb.9:
	s_load_dwordx2 s[14:15], s[4:5], 0x38
	s_mul_hi_i32 s29, s19, s6
	s_mul_i32 s28, s19, s6
	s_lshl_b64 s[28:29], s[28:29], 1
	s_mov_b32 s31, 0x20000
	s_waitcnt lgkmcnt(0)
	s_add_u32 s28, s14, s28
	s_addc_u32 s14, s15, s29
	s_and_b32 s29, s14, 0xffff
	v_lshlrev_b32_e32 v24, 4, v0
	buffer_load_dwordx4 v[10:13], v24, s[28:31], 0 offen glc slc
	s_waitcnt vmcnt(2)
	v_cvt_f32_f16_sdwa v15, v6 dst_sel:DWORD dst_unused:UNUSED_PAD src0_sel:WORD_1
	v_cvt_f32_f16_e32 v14, v6
	v_cvt_f32_f16_sdwa v17, v7 dst_sel:DWORD dst_unused:UNUSED_PAD src0_sel:WORD_1
	v_cvt_f32_f16_e32 v16, v7
	v_cvt_f32_f16_sdwa v7, v8 dst_sel:DWORD dst_unused:UNUSED_PAD src0_sel:WORD_1
	v_cvt_f32_f16_e32 v6, v8
	v_cvt_f32_f16_sdwa v19, v9 dst_sel:DWORD dst_unused:UNUSED_PAD src0_sel:WORD_1
	v_cvt_f32_f16_e32 v18, v9
	s_load_dwordx2 s[14:15], s[4:5], 0x20
	s_mul_hi_i32 s27, s26, s6
	s_mul_i32 s26, s26, s6
	s_lshl_b64 s[26:27], s[26:27], 1
	s_waitcnt lgkmcnt(0)
	s_add_u32 s28, s14, s26
	s_addc_u32 s14, s15, s27
	s_and_b32 s29, s14, 0xffff
	s_waitcnt vmcnt(0)
	v_cvt_f32_f16_e32 v8, v10
	v_cvt_f32_f16_sdwa v9, v10 dst_sel:DWORD dst_unused:UNUSED_PAD src0_sel:WORD_1
	v_cvt_f32_f16_e32 v10, v11
	v_cvt_f32_f16_sdwa v11, v11 dst_sel:DWORD dst_unused:UNUSED_PAD src0_sel:WORD_1
	;; [unrolled: 2-line block ×4, first 2 shown]
	v_pk_add_f32 v[12:13], v[14:15], v[8:9]
	v_pk_add_f32 v[16:17], v[16:17], v[10:11]
	;; [unrolled: 1-line block ×4, first 2 shown]
	v_cvt_f16_f32_e32 v6, v13
	v_cvt_f16_f32_e32 v7, v17
	;; [unrolled: 1-line block ×8, first 2 shown]
	v_pack_b32_f16 v9, v18, v9
	v_pack_b32_f16 v8, v19, v8
	v_pack_b32_f16 v7, v20, v7
	v_pack_b32_f16 v6, v21, v6
	buffer_store_dwordx4 v[6:9], v24, s[28:31], 0 offen glc slc
	;;#ASMSTART
	s_nop 0
	;;#ASMEND
.LBB457_10:
	s_or_b64 exec, exec, s[8:9]
.LBB457_11:
	s_waitcnt vmcnt(1)
	v_mul_f32_e32 v6, v13, v13
	v_fmac_f32_e32 v6, v12, v12
	v_fmac_f32_e32 v6, v16, v16
	;; [unrolled: 1-line block ×7, first 2 shown]
	v_and_b32_e32 v8, 63, v0
	v_cmp_eq_u32_e64 s[8:9], 63, v8
	v_mov_b32_dpp v7, v6 quad_perm:[1,0,3,2] row_mask:0xf bank_mask:0xf
	v_add_f32_e32 v6, v6, v7
	s_nop 1
	v_mov_b32_dpp v7, v6 quad_perm:[2,3,0,1] row_mask:0xf bank_mask:0xf
	v_add_f32_e32 v6, v6, v7
	s_nop 1
	v_mov_b32_dpp v7, v6 row_half_mirror row_mask:0xf bank_mask:0xf
	v_add_f32_e32 v6, v6, v7
	s_nop 1
	v_mov_b32_dpp v7, v6 row_mirror row_mask:0xf bank_mask:0xf
	v_add_f32_e32 v6, v6, v7
	s_nop 1
	v_mov_b32_dpp v7, v6 row_bcast:15 row_mask:0xf bank_mask:0xf
	v_add_f32_e32 v6, v6, v7
	s_nop 1
	v_mov_b32_dpp v7, v6 row_bcast:31 row_mask:0xf bank_mask:0xf
	s_and_saveexec_b64 s[14:15], s[8:9]
	s_cbranch_execz .LBB457_13
; %bb.12:
	v_add_f32_e32 v6, v6, v7
	v_lshrrev_b32_e32 v7, 4, v0
	v_and_b32_e32 v7, 60, v7
	ds_write_b32 v7, v6 offset:16
.LBB457_13:
	s_or_b64 exec, exec, s[14:15]
	v_and_b32_e32 v6, 3, v0
	v_lshlrev_b32_e32 v18, 2, v6
	s_waitcnt lgkmcnt(0)
	s_barrier
	ds_read_b32 v6, v18 offset:16
	s_load_dwordx2 s[14:15], s[4:5], 0x18
	s_waitcnt lgkmcnt(0)
	v_mov_b32_dpp v7, v6 quad_perm:[1,0,3,2] row_mask:0xf bank_mask:0xf
	v_add_f32_e32 v6, v6, v7
	s_nop 1
	v_mov_b32_dpp v7, v6 quad_perm:[2,3,0,1] row_mask:0xf bank_mask:0xf
	s_and_saveexec_b64 s[26:27], s[0:1]
	s_cbranch_execnz .LBB457_18
; %bb.14:
	s_or_b64 exec, exec, s[26:27]
	s_mov_b64 s[2:3], -1
	s_and_b64 vcc, exec, s[22:23]
	s_cbranch_vccnz .LBB457_19
.LBB457_15:
	s_andn2_b64 vcc, exec, s[2:3]
	s_cbranch_vccz .LBB457_22
.LBB457_16:
	s_cmp_lt_i32 s16, 1
	s_cbranch_scc0 .LBB457_25
.LBB457_17:
	s_endpgm
.LBB457_18:
	v_cvt_f32_u32_e32 v8, s7
	v_add_f32_e32 v6, v6, v7
	v_mov_b32_e32 v19, s13
	v_mov_b32_e32 v20, s12
	v_div_scale_f32 v7, s[28:29], v8, v8, v6
	v_rcp_f32_e32 v9, v7
	v_cndmask_b32_e64 v19, v19, v20, s[2:3]
	s_mov_b32 s2, 0x800000
	v_fma_f32 v20, -v7, v9, 1.0
	v_fmac_f32_e32 v9, v20, v9
	v_div_scale_f32 v20, vcc, v6, v8, v6
	v_mul_f32_e32 v21, v20, v9
	v_fma_f32 v22, -v7, v21, v20
	v_fmac_f32_e32 v21, v22, v9
	v_fma_f32 v7, -v7, v21, v20
	v_div_fmas_f32 v7, v7, v9, v21
	v_div_fixup_f32 v6, v7, v8, v6
	v_add_f32_e32 v6, v19, v6
	v_mul_f32_e32 v7, 0x4b800000, v6
	v_cmp_gt_f32_e32 vcc, s2, v6
	v_cndmask_b32_e32 v6, v6, v7, vcc
	v_rsq_f32_e32 v6, v6
	s_waitcnt vmcnt(0)
	v_cvt_f32_f16_sdwa v21, v3 dst_sel:DWORD dst_unused:UNUSED_PAD src0_sel:WORD_1
	v_cvt_f32_f16_e32 v20, v3
	v_mul_f32_e32 v7, 0x45800000, v6
	v_cndmask_b32_e32 v6, v6, v7, vcc
	v_mov_b32_e32 v7, v6
	;;#ASMSTART
	v_pk_mul_f32 v[8:9], v[12:13], v[6:7]
	;;#ASMEND
	v_cvt_f32_f16_sdwa v13, v2 dst_sel:DWORD dst_unused:UNUSED_PAD src0_sel:WORD_1
	v_cvt_f32_f16_e32 v12, v2
	;;#ASMSTART
	v_pk_mul_f32 v[16:17], v[16:17], v[6:7]
	;;#ASMEND
	;;#ASMSTART
	v_pk_mul_f32 v[14:15], v[14:15], v[6:7]
	;;#ASMEND
	;; [unrolled: 3-line block ×3, first 2 shown]
	v_pk_add_f32 v[6:7], v[12:13], 1.0 op_sel_hi:[1,0]
	;;#ASMSTART
	v_pk_mul_f32 v[12:13], v[8:9], v[6:7]
	;;#ASMEND
	v_cvt_f32_f16_sdwa v9, v4 dst_sel:DWORD dst_unused:UNUSED_PAD src0_sel:WORD_1
	v_cvt_f32_f16_e32 v8, v4
	v_cvt_f32_f16_sdwa v11, v5 dst_sel:DWORD dst_unused:UNUSED_PAD src0_sel:WORD_1
	v_cvt_f32_f16_e32 v10, v5
	v_pk_add_f32 v[6:7], v[20:21], 1.0 op_sel_hi:[1,0]
	v_pk_add_f32 v[4:5], v[8:9], 1.0 op_sel_hi:[1,0]
	;;#ASMSTART
	v_pk_mul_f32 v[16:17], v[16:17], v[6:7]
	;;#ASMEND
	;;#ASMSTART
	v_pk_mul_f32 v[14:15], v[14:15], v[4:5]
	;;#ASMEND
	v_pk_add_f32 v[4:5], v[10:11], 1.0 op_sel_hi:[1,0]
	;;#ASMSTART
	v_pk_mul_f32 v[10:11], v[2:3], v[4:5]
	;;#ASMEND
	s_or_b64 exec, exec, s[26:27]
	s_mov_b64 s[2:3], -1
	s_and_b64 vcc, exec, s[22:23]
	s_cbranch_vccz .LBB457_15
.LBB457_19:
	s_and_saveexec_b64 s[2:3], s[0:1]
	s_cbranch_execz .LBB457_21
; %bb.20:
	s_mul_hi_i32 s23, s25, s6
	s_mul_i32 s22, s25, s6
	s_waitcnt vmcnt(0)
	v_cvt_f16_f32_e32 v2, v12
	v_cvt_f16_f32_e32 v3, v16
	;; [unrolled: 1-line block ×8, first 2 shown]
	s_lshl_b64 s[22:23], s[22:23], 1
	s_add_u32 s28, s14, s22
	s_addc_u32 s7, s15, s23
	s_and_b32 s29, s7, 0xffff
	s_mov_b32 s31, 0x20000
	v_pack_b32_f16 v5, v5, v6
	v_pack_b32_f16 v4, v4, v7
	;; [unrolled: 1-line block ×4, first 2 shown]
	v_lshlrev_b32_e32 v6, 4, v0
	buffer_store_dwordx4 v[2:5], v6, s[28:31], 0 offen
	;;#ASMSTART
	s_nop 0
	;;#ASMEND
.LBB457_21:
	s_or_b64 exec, exec, s[2:3]
	s_cbranch_execnz .LBB457_16
.LBB457_22:
	s_and_saveexec_b64 s[2:3], s[0:1]
	s_cbranch_execz .LBB457_24
; %bb.23:
	s_load_dwordx2 s[0:1], s[4:5], 0x10
	s_mul_hi_i32 s23, s24, s6
	s_mul_i32 s22, s24, s6
	s_waitcnt vmcnt(0)
	v_cvt_f16_f32_e32 v2, v12
	v_cvt_f16_f32_e32 v3, v16
	;; [unrolled: 1-line block ×8, first 2 shown]
	s_lshl_b64 s[22:23], s[22:23], 1
	s_waitcnt lgkmcnt(0)
	s_add_u32 s28, s0, s22
	s_addc_u32 s0, s1, s23
	s_mov_b32 s31, 0x20000
	s_and_b32 s29, s0, 0xffff
	v_pack_b32_f16 v5, v5, v6
	v_pack_b32_f16 v4, v4, v7
	;; [unrolled: 1-line block ×4, first 2 shown]
	v_lshlrev_b32_e32 v6, 4, v0
	buffer_store_dwordx4 v[2:5], v6, s[28:31], 0 offen
	;;#ASMSTART
	s_nop 0
	;;#ASMEND
.LBB457_24:
	s_or_b64 exec, exec, s[2:3]
	s_cmp_lt_i32 s16, 1
	s_cbranch_scc1 .LBB457_17
.LBB457_25:
	s_load_dword s0, s[4:5], 0x94
	s_waitcnt lgkmcnt(0)
	s_cmp_lg_u32 s0, 1
	s_cbranch_scc1 .LBB457_17
; %bb.26:
	s_lshl_b32 s0, s16, 1
	s_add_i32 s0, s0, 2
	v_cmp_gt_u32_e32 vcc, s16, v1
	s_and_b32 s22, s0, -4
	v_mov_b32_e32 v10, 0
	v_lshlrev_b32_e32 v1, 4, v0
	v_mov_b32_e32 v6, 0
	v_mov_b32_e32 v7, 0
	;; [unrolled: 1-line block ×4, first 2 shown]
	s_waitcnt vmcnt(0)
	v_mov_b32_e32 v2, 0
	v_mov_b32_e32 v3, 0
	;; [unrolled: 1-line block ×4, first 2 shown]
	s_barrier
	s_and_saveexec_b64 s[0:1], vcc
	s_cbranch_execz .LBB457_28
; %bb.27:
	s_mul_hi_i32 s3, s18, s6
	s_mul_i32 s2, s18, s6
	s_and_b32 s21, s21, 0xffff
	s_lshl_b64 s[2:3], s[2:3], 1
	s_add_u32 s28, s10, s2
	s_mov_b32 s23, 0x20000
	s_addc_u32 s2, s11, s3
	s_and_b32 s29, s2, 0xffff
	s_mov_b32 s30, s22
	s_mov_b32 s31, s23
	buffer_load_dwordx4 v[6:9], v1, s[28:31], 0 offen glc slc
	buffer_load_dwordx4 v[2:5], v1, s[20:23], 0 offen
.LBB457_28:
	s_or_b64 exec, exec, s[0:1]
	v_mov_b32_e32 v11, 0
	v_mov_b32_e32 v16, 0
	;; [unrolled: 1-line block ×7, first 2 shown]
	s_and_saveexec_b64 s[0:1], vcc
	s_cbranch_execz .LBB457_30
; %bb.29:
	s_waitcnt vmcnt(1)
	v_cvt_f32_f16_sdwa v11, v6 dst_sel:DWORD dst_unused:UNUSED_PAD src0_sel:WORD_1
	v_cvt_f32_f16_e32 v10, v6
	v_cvt_f32_f16_sdwa v17, v7 dst_sel:DWORD dst_unused:UNUSED_PAD src0_sel:WORD_1
	v_cvt_f32_f16_e32 v16, v7
	;; [unrolled: 2-line block ×4, first 2 shown]
.LBB457_30:
	s_or_b64 exec, exec, s[0:1]
	s_waitcnt vmcnt(1)
	v_mul_f32_e32 v6, v11, v11
	v_fmac_f32_e32 v6, v10, v10
	v_fmac_f32_e32 v6, v16, v16
	;; [unrolled: 1-line block ×7, first 2 shown]
	s_nop 1
	v_mov_b32_dpp v7, v6 quad_perm:[1,0,3,2] row_mask:0xf bank_mask:0xf
	v_add_f32_e32 v6, v6, v7
	s_nop 1
	v_mov_b32_dpp v7, v6 quad_perm:[2,3,0,1] row_mask:0xf bank_mask:0xf
	v_add_f32_e32 v6, v6, v7
	s_nop 1
	v_mov_b32_dpp v7, v6 row_half_mirror row_mask:0xf bank_mask:0xf
	v_add_f32_e32 v6, v6, v7
	s_nop 1
	v_mov_b32_dpp v7, v6 row_mirror row_mask:0xf bank_mask:0xf
	v_add_f32_e32 v6, v6, v7
	s_nop 1
	v_mov_b32_dpp v7, v6 row_bcast:15 row_mask:0xf bank_mask:0xf
	v_add_f32_e32 v6, v6, v7
	s_nop 1
	v_mov_b32_dpp v7, v6 row_bcast:31 row_mask:0xf bank_mask:0xf
	s_and_saveexec_b64 s[0:1], s[8:9]
	s_cbranch_execz .LBB457_32
; %bb.31:
	v_lshrrev_b32_e32 v0, 4, v0
	v_add_f32_e32 v6, v6, v7
	v_and_b32_e32 v0, 60, v0
	ds_write_b32 v0, v6
.LBB457_32:
	s_or_b64 exec, exec, s[0:1]
	s_waitcnt lgkmcnt(0)
	s_barrier
	ds_read_b32 v0, v18
	s_waitcnt lgkmcnt(0)
	s_nop 0
	v_mov_b32_dpp v6, v0 quad_perm:[1,0,3,2] row_mask:0xf bank_mask:0xf
	v_add_f32_e32 v0, v0, v6
	s_nop 1
	v_mov_b32_dpp v6, v0 quad_perm:[2,3,0,1] row_mask:0xf bank_mask:0xf
	s_and_saveexec_b64 s[0:1], vcc
	s_cbranch_execz .LBB457_17
; %bb.33:
	v_cvt_f32_u32_e32 v7, s16
	v_add_f32_e32 v0, v0, v6
	s_mov_b32 s23, 0x20000
	v_div_scale_f32 v6, s[0:1], v7, v7, v0
	v_rcp_f32_e32 v8, v6
	v_div_scale_f32 v9, vcc, v0, v7, v0
	s_mov_b32 s0, 0x800000
	v_fma_f32 v18, -v6, v8, 1.0
	v_fmac_f32_e32 v8, v18, v8
	v_mul_f32_e32 v18, v9, v8
	v_fma_f32 v19, -v6, v18, v9
	v_fmac_f32_e32 v18, v19, v8
	v_fma_f32 v6, -v6, v18, v9
	v_div_fmas_f32 v6, v6, v8, v18
	v_div_fixup_f32 v0, v6, v7, v0
	v_add_f32_e32 v0, s13, v0
	v_mul_f32_e32 v6, 0x4b800000, v0
	v_cmp_gt_f32_e32 vcc, s0, v0
	v_cndmask_b32_e32 v0, v0, v6, vcc
	v_rsq_f32_e32 v0, v0
	s_waitcnt vmcnt(0)
	v_cvt_f32_f16_sdwa v19, v3 dst_sel:DWORD dst_unused:UNUSED_PAD src0_sel:WORD_1
	v_cvt_f32_f16_e32 v18, v3
	s_mul_hi_i32 s1, s25, s6
	v_mul_f32_e32 v6, 0x45800000, v0
	v_cndmask_b32_e32 v6, v0, v6, vcc
	v_mov_b32_e32 v7, v6
	;;#ASMSTART
	v_pk_mul_f32 v[8:9], v[10:11], v[6:7]
	;;#ASMEND
	;;#ASMSTART
	v_pk_mul_f32 v[10:11], v[16:17], v[6:7]
	;;#ASMEND
	v_cvt_f32_f16_sdwa v17, v2 dst_sel:DWORD dst_unused:UNUSED_PAD src0_sel:WORD_1
	v_cvt_f32_f16_e32 v16, v2
	;;#ASMSTART
	v_pk_mul_f32 v[14:15], v[14:15], v[6:7]
	;;#ASMEND
	;;#ASMSTART
	v_pk_mul_f32 v[2:3], v[12:13], v[6:7]
	;;#ASMEND
	v_cvt_f32_f16_sdwa v13, v4 dst_sel:DWORD dst_unused:UNUSED_PAD src0_sel:WORD_1
	v_cvt_f32_f16_e32 v12, v4
	v_pk_add_f32 v[6:7], v[16:17], 1.0 op_sel_hi:[1,0]
	v_cvt_f32_f16_sdwa v17, v5 dst_sel:DWORD dst_unused:UNUSED_PAD src0_sel:WORD_1
	v_cvt_f32_f16_e32 v16, v5
	;;#ASMSTART
	v_pk_mul_f32 v[6:7], v[8:9], v[6:7]
	;;#ASMEND
	v_pk_add_f32 v[8:9], v[18:19], 1.0 op_sel_hi:[1,0]
	;;#ASMSTART
	v_pk_mul_f32 v[4:5], v[10:11], v[8:9]
	;;#ASMEND
	v_pk_add_f32 v[8:9], v[12:13], 1.0 op_sel_hi:[1,0]
	;; [unrolled: 4-line block ×3, first 2 shown]
	;;#ASMSTART
	v_pk_mul_f32 v[2:3], v[2:3], v[10:11]
	;;#ASMEND
	s_mul_i32 s0, s25, s6
	v_cvt_f16_f32_e32 v0, v6
	v_cvt_f16_f32_e32 v6, v7
	;; [unrolled: 1-line block ×8, first 2 shown]
	s_lshl_b64 s[0:1], s[0:1], 1
	s_add_u32 s20, s14, s0
	s_addc_u32 s0, s15, s1
	s_and_b32 s21, s0, 0xffff
	v_pack_b32_f16 v2, v0, v6
	v_pack_b32_f16 v3, v4, v5
	;; [unrolled: 1-line block ×4, first 2 shown]
	buffer_store_dwordx4 v[2:5], v1, s[20:23], 0 offen
	;;#ASMSTART
	s_nop 0
	;;#ASMEND
	s_endpgm
	.section	.rodata,"a",@progbits
	.p2align	6, 0x0
	.amdhsa_kernel _ZN5aiter35fused_qk_rmsnorm_group_quant_kernelIDF16_DB8_Li256ELi8ELi16ELb1ELb1ELb1ELb1ELb0ELb0EEEvPT0_PvPT_S6_S6_PKS5_S8_S8_S8_S8_ffiiiiiiiiiiiii
		.amdhsa_group_segment_fixed_size 32
		.amdhsa_private_segment_fixed_size 0
		.amdhsa_kernarg_size 400
		.amdhsa_user_sgpr_count 6
		.amdhsa_user_sgpr_private_segment_buffer 1
		.amdhsa_user_sgpr_dispatch_ptr 0
		.amdhsa_user_sgpr_queue_ptr 0
		.amdhsa_user_sgpr_kernarg_segment_ptr 1
		.amdhsa_user_sgpr_dispatch_id 0
		.amdhsa_user_sgpr_flat_scratch_init 0
		.amdhsa_user_sgpr_kernarg_preload_length 0
		.amdhsa_user_sgpr_kernarg_preload_offset 0
		.amdhsa_user_sgpr_private_segment_size 0
		.amdhsa_uses_dynamic_stack 0
		.amdhsa_system_sgpr_private_segment_wavefront_offset 0
		.amdhsa_system_sgpr_workgroup_id_x 1
		.amdhsa_system_sgpr_workgroup_id_y 1
		.amdhsa_system_sgpr_workgroup_id_z 0
		.amdhsa_system_sgpr_workgroup_info 0
		.amdhsa_system_vgpr_workitem_id 0
		.amdhsa_next_free_vgpr 25
		.amdhsa_next_free_sgpr 32
		.amdhsa_accum_offset 28
		.amdhsa_reserve_vcc 1
		.amdhsa_reserve_flat_scratch 0
		.amdhsa_float_round_mode_32 0
		.amdhsa_float_round_mode_16_64 0
		.amdhsa_float_denorm_mode_32 3
		.amdhsa_float_denorm_mode_16_64 3
		.amdhsa_dx10_clamp 1
		.amdhsa_ieee_mode 1
		.amdhsa_fp16_overflow 0
		.amdhsa_tg_split 0
		.amdhsa_exception_fp_ieee_invalid_op 0
		.amdhsa_exception_fp_denorm_src 0
		.amdhsa_exception_fp_ieee_div_zero 0
		.amdhsa_exception_fp_ieee_overflow 0
		.amdhsa_exception_fp_ieee_underflow 0
		.amdhsa_exception_fp_ieee_inexact 0
		.amdhsa_exception_int_div_zero 0
	.end_amdhsa_kernel
	.section	.text._ZN5aiter35fused_qk_rmsnorm_group_quant_kernelIDF16_DB8_Li256ELi8ELi16ELb1ELb1ELb1ELb1ELb0ELb0EEEvPT0_PvPT_S6_S6_PKS5_S8_S8_S8_S8_ffiiiiiiiiiiiii,"axG",@progbits,_ZN5aiter35fused_qk_rmsnorm_group_quant_kernelIDF16_DB8_Li256ELi8ELi16ELb1ELb1ELb1ELb1ELb0ELb0EEEvPT0_PvPT_S6_S6_PKS5_S8_S8_S8_S8_ffiiiiiiiiiiiii,comdat
.Lfunc_end457:
	.size	_ZN5aiter35fused_qk_rmsnorm_group_quant_kernelIDF16_DB8_Li256ELi8ELi16ELb1ELb1ELb1ELb1ELb0ELb0EEEvPT0_PvPT_S6_S6_PKS5_S8_S8_S8_S8_ffiiiiiiiiiiiii, .Lfunc_end457-_ZN5aiter35fused_qk_rmsnorm_group_quant_kernelIDF16_DB8_Li256ELi8ELi16ELb1ELb1ELb1ELb1ELb0ELb0EEEvPT0_PvPT_S6_S6_PKS5_S8_S8_S8_S8_ffiiiiiiiiiiiii
                                        ; -- End function
	.section	.AMDGPU.csdata,"",@progbits
; Kernel info:
; codeLenInByte = 2480
; NumSgprs: 36
; NumVgprs: 25
; NumAgprs: 0
; TotalNumVgprs: 25
; ScratchSize: 0
; MemoryBound: 0
; FloatMode: 240
; IeeeMode: 1
; LDSByteSize: 32 bytes/workgroup (compile time only)
; SGPRBlocks: 4
; VGPRBlocks: 3
; NumSGPRsForWavesPerEU: 36
; NumVGPRsForWavesPerEU: 25
; AccumOffset: 28
; Occupancy: 8
; WaveLimiterHint : 0
; COMPUTE_PGM_RSRC2:SCRATCH_EN: 0
; COMPUTE_PGM_RSRC2:USER_SGPR: 6
; COMPUTE_PGM_RSRC2:TRAP_HANDLER: 0
; COMPUTE_PGM_RSRC2:TGID_X_EN: 1
; COMPUTE_PGM_RSRC2:TGID_Y_EN: 1
; COMPUTE_PGM_RSRC2:TGID_Z_EN: 0
; COMPUTE_PGM_RSRC2:TIDIG_COMP_CNT: 0
; COMPUTE_PGM_RSRC3_GFX90A:ACCUM_OFFSET: 6
; COMPUTE_PGM_RSRC3_GFX90A:TG_SPLIT: 0
	.section	.text._ZN5aiter35fused_qk_rmsnorm_group_quant_kernelItDB8_Li256ELi8ELi16ELb1ELb1ELb1ELb1ELb0ELb0EEEvPT0_PvPT_S6_S6_PKS5_S8_S8_S8_S8_ffiiiiiiiiiiiii,"axG",@progbits,_ZN5aiter35fused_qk_rmsnorm_group_quant_kernelItDB8_Li256ELi8ELi16ELb1ELb1ELb1ELb1ELb0ELb0EEEvPT0_PvPT_S6_S6_PKS5_S8_S8_S8_S8_ffiiiiiiiiiiiii,comdat
	.protected	_ZN5aiter35fused_qk_rmsnorm_group_quant_kernelItDB8_Li256ELi8ELi16ELb1ELb1ELb1ELb1ELb0ELb0EEEvPT0_PvPT_S6_S6_PKS5_S8_S8_S8_S8_ffiiiiiiiiiiiii ; -- Begin function _ZN5aiter35fused_qk_rmsnorm_group_quant_kernelItDB8_Li256ELi8ELi16ELb1ELb1ELb1ELb1ELb0ELb0EEEvPT0_PvPT_S6_S6_PKS5_S8_S8_S8_S8_ffiiiiiiiiiiiii
	.globl	_ZN5aiter35fused_qk_rmsnorm_group_quant_kernelItDB8_Li256ELi8ELi16ELb1ELb1ELb1ELb1ELb0ELb0EEEvPT0_PvPT_S6_S6_PKS5_S8_S8_S8_S8_ffiiiiiiiiiiiii
	.p2align	8
	.type	_ZN5aiter35fused_qk_rmsnorm_group_quant_kernelItDB8_Li256ELi8ELi16ELb1ELb1ELb1ELb1ELb0ELb0EEEvPT0_PvPT_S6_S6_PKS5_S8_S8_S8_S8_ffiiiiiiiiiiiii,@function
_ZN5aiter35fused_qk_rmsnorm_group_quant_kernelItDB8_Li256ELi8ELi16ELb1ELb1ELb1ELb1ELb0ELb0EEEvPT0_PvPT_S6_S6_PKS5_S8_S8_S8_S8_ffiiiiiiiiiiiii: ; @_ZN5aiter35fused_qk_rmsnorm_group_quant_kernelItDB8_Li256ELi8ELi16ELb1ELb1ELb1ELb1ELb0ELb0EEEvPT0_PvPT_S6_S6_PKS5_S8_S8_S8_S8_ffiiiiiiiiiiiii
; %bb.0:
	s_load_dwordx8 s[12:19], s[4:5], 0x50
	s_waitcnt lgkmcnt(0)
	s_cmp_ge_i32 s6, s14
	s_cbranch_scc1 .LBB458_17
; %bb.1:
	s_cmp_lg_u32 s7, 0
	s_cselect_b64 s[22:23], -1, 0
	s_cmp_eq_u32 s7, 0
	s_cselect_b64 s[8:9], -1, 0
	s_and_b64 s[0:1], s[8:9], exec
	s_cselect_b32 s7, s15, s16
	s_load_dwordx2 s[10:11], s[4:5], 0x30
	s_load_dwordx2 s[20:21], s[4:5], 0x48
	s_add_i32 s0, s7, 1
	s_lshr_b32 s1, s0, 31
	s_add_i32 s0, s0, s1
	s_lshl_b32 s0, s0, 1
	v_lshlrev_b32_e32 v1, 3, v0
	s_and_b32 s30, s0, -4
	v_cmp_gt_i32_e64 s[0:1], s7, v1
	v_mov_b32_e32 v10, 0
	v_mov_b32_e32 v11, 0
	;; [unrolled: 1-line block ×8, first 2 shown]
	s_and_saveexec_b64 s[2:3], s[0:1]
	s_cbranch_execz .LBB458_3
; %bb.2:
	s_load_dwordx2 s[14:15], s[4:5], 0x28
	s_load_dwordx2 s[26:27], s[4:5], 0x40
	s_and_b64 s[24:25], s[8:9], exec
	s_cselect_b32 s17, s17, s18
	s_mov_b32 s31, 0x20000
	s_waitcnt lgkmcnt(0)
	s_cselect_b32 s25, s15, s11
	s_cselect_b32 s24, s14, s10
	s_mul_hi_i32 s15, s17, s6
	s_mul_i32 s14, s17, s6
	s_lshl_b64 s[14:15], s[14:15], 1
	s_add_u32 s24, s24, s14
	s_addc_u32 s17, s25, s15
	s_and_b64 s[14:15], s[8:9], exec
	s_cselect_b32 s28, s26, s20
	s_cselect_b32 s14, s27, s21
	v_lshlrev_b32_e32 v2, 4, v0
	s_and_b32 s25, s17, 0xffff
	s_mov_b32 s26, s30
	s_mov_b32 s27, s31
	s_and_b32 s29, s14, 0xffff
	buffer_load_dwordx4 v[14:17], v2, s[24:27], 0 offen glc slc
	buffer_load_dwordx4 v[10:13], v2, s[28:31], 0 offen
.LBB458_3:
	s_or_b64 exec, exec, s[2:3]
	s_load_dwordx4 s[24:27], s[4:5], 0x7c
	s_and_b64 vcc, exec, s[22:23]
	s_cbranch_vccz .LBB458_7
; %bb.4:
	s_mov_b32 s36, 0
	s_mov_b32 s37, s36
	;; [unrolled: 1-line block ×8, first 2 shown]
	v_pk_mov_b32 v[2:3], s[36:37], s[36:37] op_sel:[0,1]
	v_pk_mov_b32 v[4:5], s[38:39], s[38:39] op_sel:[0,1]
	;; [unrolled: 1-line block ×4, first 2 shown]
	s_and_saveexec_b64 s[2:3], s[0:1]
	s_cbranch_execz .LBB458_6
; %bb.5:
	s_waitcnt vmcnt(1)
	v_cvt_f32_u32_sdwa v3, v14 dst_sel:DWORD dst_unused:UNUSED_PAD src0_sel:WORD_1
	v_cvt_f32_u32_sdwa v2, v14 dst_sel:DWORD dst_unused:UNUSED_PAD src0_sel:WORD_0
	v_cvt_f32_u32_sdwa v5, v15 dst_sel:DWORD dst_unused:UNUSED_PAD src0_sel:WORD_1
	v_cvt_f32_u32_sdwa v4, v15 dst_sel:DWORD dst_unused:UNUSED_PAD src0_sel:WORD_0
	;; [unrolled: 2-line block ×4, first 2 shown]
.LBB458_6:
	s_or_b64 exec, exec, s[2:3]
	s_cbranch_execz .LBB458_8
	s_branch .LBB458_11
.LBB458_7:
                                        ; implicit-def: $vgpr2_vgpr3_vgpr4_vgpr5_vgpr6_vgpr7_vgpr8_vgpr9
.LBB458_8:
	s_mov_b32 s36, 0
	s_mov_b32 s37, s36
	;; [unrolled: 1-line block ×8, first 2 shown]
	v_pk_mov_b32 v[2:3], s[36:37], s[36:37] op_sel:[0,1]
	v_pk_mov_b32 v[4:5], s[38:39], s[38:39] op_sel:[0,1]
	;; [unrolled: 1-line block ×4, first 2 shown]
	s_and_saveexec_b64 s[2:3], s[0:1]
	s_cbranch_execz .LBB458_10
; %bb.9:
	s_load_dwordx2 s[14:15], s[4:5], 0x38
	s_mul_hi_i32 s29, s19, s6
	s_mul_i32 s28, s19, s6
	s_lshl_b64 s[28:29], s[28:29], 1
	s_mov_b32 s31, 0x20000
	s_waitcnt lgkmcnt(0)
	s_add_u32 s28, s14, s28
	s_addc_u32 s14, s15, s29
	s_and_b32 s29, s14, 0xffff
	v_lshlrev_b32_e32 v26, 4, v0
	buffer_load_dwordx4 v[2:5], v26, s[28:31], 0 offen glc slc
	s_load_dwordx2 s[14:15], s[4:5], 0x20
	s_waitcnt vmcnt(2)
	v_cvt_f32_u32_sdwa v7, v14 dst_sel:DWORD dst_unused:UNUSED_PAD src0_sel:WORD_1
	v_cvt_f32_u32_sdwa v6, v14 dst_sel:DWORD dst_unused:UNUSED_PAD src0_sel:WORD_0
	v_cvt_f32_u32_sdwa v9, v15 dst_sel:DWORD dst_unused:UNUSED_PAD src0_sel:WORD_1
	v_cvt_f32_u32_sdwa v8, v15 dst_sel:DWORD dst_unused:UNUSED_PAD src0_sel:WORD_0
	;; [unrolled: 2-line block ×4, first 2 shown]
	s_mul_hi_i32 s27, s26, s6
	s_mul_i32 s26, s26, s6
	s_lshl_b64 s[26:27], s[26:27], 1
	s_waitcnt lgkmcnt(0)
	s_add_u32 s28, s14, s26
	s_mov_b32 s17, 0x7060302
	s_addc_u32 s14, s15, s27
	s_and_b32 s29, s14, 0xffff
	s_waitcnt vmcnt(0)
	v_cvt_f32_u32_sdwa v17, v2 dst_sel:DWORD dst_unused:UNUSED_PAD src0_sel:WORD_1
	v_cvt_f32_u32_sdwa v16, v2 dst_sel:DWORD dst_unused:UNUSED_PAD src0_sel:WORD_0
	v_cvt_f32_u32_sdwa v21, v3 dst_sel:DWORD dst_unused:UNUSED_PAD src0_sel:WORD_1
	v_cvt_f32_u32_sdwa v20, v3 dst_sel:DWORD dst_unused:UNUSED_PAD src0_sel:WORD_0
	;; [unrolled: 2-line block ×4, first 2 shown]
	v_pk_add_f32 v[2:3], v[6:7], v[16:17]
	v_pk_add_f32 v[4:5], v[8:9], v[20:21]
	;; [unrolled: 1-line block ×4, first 2 shown]
	v_perm_b32 v17, v9, v8, s17
	v_perm_b32 v16, v7, v6, s17
	;; [unrolled: 1-line block ×4, first 2 shown]
	buffer_store_dwordx4 v[14:17], v26, s[28:31], 0 offen glc slc
	;;#ASMSTART
	s_nop 0
	;;#ASMEND
.LBB458_10:
	s_or_b64 exec, exec, s[2:3]
.LBB458_11:
	s_waitcnt vmcnt(1)
	v_mul_f32_e32 v14, v3, v3
	v_fmac_f32_e32 v14, v2, v2
	v_fmac_f32_e32 v14, v4, v4
	;; [unrolled: 1-line block ×7, first 2 shown]
	v_and_b32_e32 v16, 63, v0
	v_cmp_eq_u32_e64 s[2:3], 63, v16
	v_mov_b32_dpp v15, v14 quad_perm:[1,0,3,2] row_mask:0xf bank_mask:0xf
	v_add_f32_e32 v14, v14, v15
	s_nop 1
	v_mov_b32_dpp v15, v14 quad_perm:[2,3,0,1] row_mask:0xf bank_mask:0xf
	v_add_f32_e32 v14, v14, v15
	s_nop 1
	v_mov_b32_dpp v15, v14 row_half_mirror row_mask:0xf bank_mask:0xf
	v_add_f32_e32 v14, v14, v15
	s_nop 1
	v_mov_b32_dpp v15, v14 row_mirror row_mask:0xf bank_mask:0xf
	v_add_f32_e32 v14, v14, v15
	s_nop 1
	v_mov_b32_dpp v15, v14 row_bcast:15 row_mask:0xf bank_mask:0xf
	v_add_f32_e32 v14, v14, v15
	s_nop 1
	v_mov_b32_dpp v15, v14 row_bcast:31 row_mask:0xf bank_mask:0xf
	s_and_saveexec_b64 s[14:15], s[2:3]
	s_cbranch_execz .LBB458_13
; %bb.12:
	v_add_f32_e32 v14, v14, v15
	v_lshrrev_b32_e32 v15, 4, v0
	v_and_b32_e32 v15, 60, v15
	ds_write_b32 v15, v14 offset:16
.LBB458_13:
	s_or_b64 exec, exec, s[14:15]
	v_and_b32_e32 v14, 3, v0
	v_lshlrev_b32_e32 v14, 2, v14
	s_waitcnt lgkmcnt(0)
	s_barrier
	ds_read_b32 v15, v14 offset:16
	s_load_dwordx2 s[14:15], s[4:5], 0x18
	s_waitcnt lgkmcnt(0)
	v_mov_b32_dpp v16, v15 quad_perm:[1,0,3,2] row_mask:0xf bank_mask:0xf
	v_add_f32_e32 v15, v15, v16
	s_nop 1
	v_mov_b32_dpp v16, v15 quad_perm:[2,3,0,1] row_mask:0xf bank_mask:0xf
	s_and_saveexec_b64 s[26:27], s[0:1]
	s_cbranch_execnz .LBB458_18
; %bb.14:
	s_or_b64 exec, exec, s[26:27]
	s_mov_b64 s[8:9], -1
	s_and_b64 vcc, exec, s[22:23]
	s_cbranch_vccnz .LBB458_19
.LBB458_15:
	s_andn2_b64 vcc, exec, s[8:9]
	s_cbranch_vccz .LBB458_22
.LBB458_16:
	s_cmp_lt_i32 s16, 1
	s_cbranch_scc0 .LBB458_25
.LBB458_17:
	s_endpgm
.LBB458_18:
	v_cvt_f32_u32_e32 v17, s7
	v_add_f32_e32 v15, v15, v16
	v_mov_b32_e32 v19, s13
	v_mov_b32_e32 v20, s12
	v_div_scale_f32 v16, s[28:29], v17, v17, v15
	v_rcp_f32_e32 v18, v16
	v_cndmask_b32_e64 v19, v19, v20, s[8:9]
	s_mov_b32 s7, 0x800000
	v_fma_f32 v20, -v16, v18, 1.0
	v_fmac_f32_e32 v18, v20, v18
	v_div_scale_f32 v20, vcc, v15, v17, v15
	v_mul_f32_e32 v21, v20, v18
	v_fma_f32 v22, -v16, v21, v20
	v_fmac_f32_e32 v21, v22, v18
	v_fma_f32 v16, -v16, v21, v20
	v_div_fmas_f32 v16, v16, v18, v21
	v_div_fixup_f32 v15, v16, v17, v15
	v_add_f32_e32 v15, v19, v15
	v_mul_f32_e32 v16, 0x4b800000, v15
	v_cmp_gt_f32_e32 vcc, s7, v15
	v_cndmask_b32_e32 v15, v15, v16, vcc
	v_rsq_f32_e32 v15, v15
	s_waitcnt vmcnt(0)
	v_cvt_f32_u32_sdwa v19, v10 dst_sel:DWORD dst_unused:UNUSED_PAD src0_sel:WORD_1
	v_cvt_f32_u32_sdwa v18, v10 dst_sel:DWORD dst_unused:UNUSED_PAD src0_sel:WORD_0
	v_cvt_f32_u32_sdwa v21, v11 dst_sel:DWORD dst_unused:UNUSED_PAD src0_sel:WORD_1
	v_mul_f32_e32 v16, 0x45800000, v15
	v_cndmask_b32_e32 v16, v15, v16, vcc
	v_mov_b32_e32 v17, v16
	v_cvt_f32_u32_sdwa v20, v11 dst_sel:DWORD dst_unused:UNUSED_PAD src0_sel:WORD_0
	;;#ASMSTART
	v_pk_mul_f32 v[2:3], v[2:3], v[16:17]
	;;#ASMEND
	;;#ASMSTART
	v_pk_mul_f32 v[4:5], v[4:5], v[16:17]
	;;#ASMEND
	;; [unrolled: 3-line block ×4, first 2 shown]
	v_cvt_f32_u32_sdwa v17, v12 dst_sel:DWORD dst_unused:UNUSED_PAD src0_sel:WORD_1
	v_cvt_f32_u32_sdwa v16, v12 dst_sel:DWORD dst_unused:UNUSED_PAD src0_sel:WORD_0
	v_pk_add_f32 v[10:11], v[18:19], 1.0 op_sel_hi:[1,0]
	v_cvt_f32_u32_sdwa v19, v13 dst_sel:DWORD dst_unused:UNUSED_PAD src0_sel:WORD_1
	v_cvt_f32_u32_sdwa v18, v13 dst_sel:DWORD dst_unused:UNUSED_PAD src0_sel:WORD_0
	;;#ASMSTART
	v_pk_mul_f32 v[2:3], v[2:3], v[10:11]
	;;#ASMEND
	v_pk_add_f32 v[10:11], v[20:21], 1.0 op_sel_hi:[1,0]
	;;#ASMSTART
	v_pk_mul_f32 v[4:5], v[4:5], v[10:11]
	;;#ASMEND
	v_pk_add_f32 v[10:11], v[16:17], 1.0 op_sel_hi:[1,0]
	;; [unrolled: 4-line block ×3, first 2 shown]
	;;#ASMSTART
	v_pk_mul_f32 v[8:9], v[8:9], v[10:11]
	;;#ASMEND
	s_or_b64 exec, exec, s[26:27]
	s_mov_b64 s[8:9], -1
	s_and_b64 vcc, exec, s[22:23]
	s_cbranch_vccz .LBB458_15
.LBB458_19:
	s_and_saveexec_b64 s[8:9], s[0:1]
	s_cbranch_execz .LBB458_21
; %bb.20:
	s_mul_hi_i32 s23, s25, s6
	s_mul_i32 s22, s25, s6
	s_lshl_b64 s[22:23], s[22:23], 1
	s_add_u32 s28, s14, s22
	s_addc_u32 s7, s15, s23
	s_and_b32 s29, s7, 0xffff
	s_mov_b32 s7, 0x7060302
	s_mov_b32 s31, 0x20000
	s_waitcnt vmcnt(0)
	v_perm_b32 v10, v3, v2, s7
	v_perm_b32 v11, v5, v4, s7
	;; [unrolled: 1-line block ×4, first 2 shown]
	v_lshlrev_b32_e32 v15, 4, v0
	buffer_store_dwordx4 v[10:13], v15, s[28:31], 0 offen
	;;#ASMSTART
	s_nop 0
	;;#ASMEND
.LBB458_21:
	s_or_b64 exec, exec, s[8:9]
	s_cbranch_execnz .LBB458_16
.LBB458_22:
	s_and_saveexec_b64 s[8:9], s[0:1]
	s_cbranch_execz .LBB458_24
; %bb.23:
	s_load_dwordx2 s[0:1], s[4:5], 0x10
	s_mul_hi_i32 s23, s24, s6
	s_mul_i32 s22, s24, s6
	s_lshl_b64 s[22:23], s[22:23], 1
	s_mov_b32 s31, 0x20000
	s_waitcnt lgkmcnt(0)
	s_add_u32 s28, s0, s22
	s_addc_u32 s0, s1, s23
	s_and_b32 s29, s0, 0xffff
	s_mov_b32 s0, 0x7060302
	v_perm_b32 v2, v3, v2, s0
	v_perm_b32 v3, v5, v4, s0
	;; [unrolled: 1-line block ×4, first 2 shown]
	v_lshlrev_b32_e32 v6, 4, v0
	buffer_store_dwordx4 v[2:5], v6, s[28:31], 0 offen
	;;#ASMSTART
	s_nop 0
	;;#ASMEND
.LBB458_24:
	s_or_b64 exec, exec, s[8:9]
	s_cmp_lt_i32 s16, 1
	s_cbranch_scc1 .LBB458_17
.LBB458_25:
	s_load_dword s0, s[4:5], 0x94
	s_waitcnt lgkmcnt(0)
	s_cmp_lg_u32 s0, 1
	s_cbranch_scc1 .LBB458_17
; %bb.26:
	s_lshl_b32 s0, s16, 1
	s_add_i32 s0, s0, 2
	v_cmp_gt_u32_e32 vcc, s16, v1
	s_and_b32 s22, s0, -4
	v_mov_b32_e32 v6, 0
	v_lshlrev_b32_e32 v1, 4, v0
	v_mov_b32_e32 v7, 0
	v_mov_b32_e32 v8, 0
	;; [unrolled: 1-line block ×7, first 2 shown]
	s_barrier
	s_and_saveexec_b64 s[0:1], vcc
	s_cbranch_execz .LBB458_28
; %bb.27:
	s_mul_hi_i32 s5, s18, s6
	s_mul_i32 s4, s18, s6
	s_and_b32 s21, s21, 0xffff
	s_lshl_b64 s[4:5], s[4:5], 1
	s_add_u32 s8, s10, s4
	s_mov_b32 s23, 0x20000
	s_addc_u32 s4, s11, s5
	s_and_b32 s9, s4, 0xffff
	s_mov_b32 s10, s22
	s_mov_b32 s11, s23
	buffer_load_dwordx4 v[6:9], v1, s[8:11], 0 offen glc slc
	buffer_load_dwordx4 v[2:5], v1, s[20:23], 0 offen
.LBB458_28:
	s_or_b64 exec, exec, s[0:1]
	s_waitcnt vmcnt(0)
	v_cvt_f32_u32_sdwa v13, v6 dst_sel:DWORD dst_unused:UNUSED_PAD src0_sel:WORD_1
	v_cvt_f32_u32_sdwa v12, v6 dst_sel:DWORD dst_unused:UNUSED_PAD src0_sel:WORD_0
	v_cvt_f32_u32_sdwa v6, v9 dst_sel:DWORD dst_unused:UNUSED_PAD src0_sel:WORD_1
	v_cvt_f32_u32_sdwa v9, v9 dst_sel:DWORD dst_unused:UNUSED_PAD src0_sel:WORD_0
	;; [unrolled: 2-line block ×4, first 2 shown]
	v_cndmask_b32_e32 v13, 0, v13, vcc
	v_cndmask_b32_e32 v7, 0, v6, vcc
	;; [unrolled: 1-line block ×5, first 2 shown]
	v_mul_f32_e32 v15, v13, v13
	v_cndmask_b32_e32 v10, 0, v10, vcc
	v_fmac_f32_e32 v15, v12, v12
	v_cndmask_b32_e32 v11, 0, v11, vcc
	v_fmac_f32_e32 v15, v10, v10
	;; [unrolled: 2-line block ×3, first 2 shown]
	v_fmac_f32_e32 v15, v8, v8
	v_fmac_f32_e32 v15, v9, v9
	;; [unrolled: 1-line block ×4, first 2 shown]
	s_nop 1
	v_mov_b32_dpp v16, v15 quad_perm:[1,0,3,2] row_mask:0xf bank_mask:0xf
	v_add_f32_e32 v15, v15, v16
	s_nop 1
	v_mov_b32_dpp v16, v15 quad_perm:[2,3,0,1] row_mask:0xf bank_mask:0xf
	v_add_f32_e32 v15, v15, v16
	s_nop 1
	v_mov_b32_dpp v16, v15 row_half_mirror row_mask:0xf bank_mask:0xf
	v_add_f32_e32 v15, v15, v16
	s_nop 1
	v_mov_b32_dpp v16, v15 row_mirror row_mask:0xf bank_mask:0xf
	v_add_f32_e32 v15, v15, v16
	s_nop 1
	v_mov_b32_dpp v16, v15 row_bcast:15 row_mask:0xf bank_mask:0xf
	v_add_f32_e32 v15, v15, v16
	s_nop 1
	v_mov_b32_dpp v16, v15 row_bcast:31 row_mask:0xf bank_mask:0xf
	s_and_saveexec_b64 s[0:1], s[2:3]
	s_cbranch_execz .LBB458_30
; %bb.29:
	v_lshrrev_b32_e32 v0, 4, v0
	v_add_f32_e32 v15, v15, v16
	v_and_b32_e32 v0, 60, v0
	ds_write_b32 v0, v15
.LBB458_30:
	s_or_b64 exec, exec, s[0:1]
	s_waitcnt lgkmcnt(0)
	s_barrier
	ds_read_b32 v0, v14
	s_waitcnt lgkmcnt(0)
	s_nop 0
	v_mov_b32_dpp v14, v0 quad_perm:[1,0,3,2] row_mask:0xf bank_mask:0xf
	v_add_f32_e32 v0, v0, v14
	s_nop 1
	v_mov_b32_dpp v14, v0 quad_perm:[2,3,0,1] row_mask:0xf bank_mask:0xf
	s_and_saveexec_b64 s[0:1], vcc
	s_cbranch_execz .LBB458_17
; %bb.31:
	v_cvt_f32_u32_e32 v15, s16
	v_add_f32_e32 v0, v0, v14
	s_mov_b32 s23, 0x20000
	v_div_scale_f32 v14, s[0:1], v15, v15, v0
	v_rcp_f32_e32 v16, v14
	v_div_scale_f32 v17, vcc, v0, v15, v0
	s_mov_b32 s0, 0x800000
	v_fma_f32 v18, -v14, v16, 1.0
	v_fmac_f32_e32 v16, v18, v16
	v_mul_f32_e32 v18, v17, v16
	v_fma_f32 v19, -v14, v18, v17
	v_fmac_f32_e32 v18, v19, v16
	v_fma_f32 v14, -v14, v18, v17
	v_div_fmas_f32 v14, v14, v16, v18
	v_div_fixup_f32 v0, v14, v15, v0
	v_add_f32_e32 v0, s13, v0
	v_mul_f32_e32 v14, 0x4b800000, v0
	v_cmp_gt_f32_e32 vcc, s0, v0
	v_cndmask_b32_e32 v0, v0, v14, vcc
	v_rsq_f32_e32 v0, v0
	v_cvt_f32_u32_sdwa v17, v2 dst_sel:DWORD dst_unused:UNUSED_PAD src0_sel:WORD_1
	v_cvt_f32_u32_sdwa v16, v2 dst_sel:DWORD dst_unused:UNUSED_PAD src0_sel:WORD_0
	v_cvt_f32_u32_sdwa v19, v3 dst_sel:DWORD dst_unused:UNUSED_PAD src0_sel:WORD_1
	v_mul_f32_e32 v14, 0x45800000, v0
	v_cndmask_b32_e32 v14, v0, v14, vcc
	v_mov_b32_e32 v15, v14
	;;#ASMSTART
	v_pk_mul_f32 v[12:13], v[12:13], v[14:15]
	;;#ASMEND
	;;#ASMSTART
	v_pk_mul_f32 v[10:11], v[10:11], v[14:15]
	;;#ASMEND
	;; [unrolled: 3-line block ×3, first 2 shown]
	v_cvt_f32_u32_sdwa v18, v3 dst_sel:DWORD dst_unused:UNUSED_PAD src0_sel:WORD_0
	;;#ASMSTART
	v_pk_mul_f32 v[2:3], v[6:7], v[14:15]
	;;#ASMEND
	v_cvt_f32_u32_sdwa v15, v4 dst_sel:DWORD dst_unused:UNUSED_PAD src0_sel:WORD_1
	v_cvt_f32_u32_sdwa v14, v4 dst_sel:DWORD dst_unused:UNUSED_PAD src0_sel:WORD_0
	v_pk_add_f32 v[6:7], v[16:17], 1.0 op_sel_hi:[1,0]
	v_cvt_f32_u32_sdwa v17, v5 dst_sel:DWORD dst_unused:UNUSED_PAD src0_sel:WORD_1
	v_cvt_f32_u32_sdwa v16, v5 dst_sel:DWORD dst_unused:UNUSED_PAD src0_sel:WORD_0
	s_mul_hi_i32 s1, s25, s6
	s_mul_i32 s0, s25, s6
	s_lshl_b64 s[0:1], s[0:1], 1
	s_add_u32 s20, s14, s0
	;;#ASMSTART
	v_pk_mul_f32 v[6:7], v[12:13], v[6:7]
	;;#ASMEND
	v_pk_add_f32 v[12:13], v[18:19], 1.0 op_sel_hi:[1,0]
	;;#ASMSTART
	v_pk_mul_f32 v[4:5], v[10:11], v[12:13]
	;;#ASMEND
	v_pk_add_f32 v[10:11], v[14:15], 1.0 op_sel_hi:[1,0]
	s_addc_u32 s0, s15, s1
	;;#ASMSTART
	v_pk_mul_f32 v[8:9], v[8:9], v[10:11]
	;;#ASMEND
	v_pk_add_f32 v[10:11], v[16:17], 1.0 op_sel_hi:[1,0]
	s_and_b32 s21, s0, 0xffff
	s_mov_b32 s0, 0x7060302
	;;#ASMSTART
	v_pk_mul_f32 v[10:11], v[2:3], v[10:11]
	;;#ASMEND
	v_perm_b32 v2, v7, v6, s0
	v_perm_b32 v3, v5, v4, s0
	;; [unrolled: 1-line block ×4, first 2 shown]
	buffer_store_dwordx4 v[2:5], v1, s[20:23], 0 offen
	;;#ASMSTART
	s_nop 0
	;;#ASMEND
	s_endpgm
	.section	.rodata,"a",@progbits
	.p2align	6, 0x0
	.amdhsa_kernel _ZN5aiter35fused_qk_rmsnorm_group_quant_kernelItDB8_Li256ELi8ELi16ELb1ELb1ELb1ELb1ELb0ELb0EEEvPT0_PvPT_S6_S6_PKS5_S8_S8_S8_S8_ffiiiiiiiiiiiii
		.amdhsa_group_segment_fixed_size 32
		.amdhsa_private_segment_fixed_size 0
		.amdhsa_kernarg_size 400
		.amdhsa_user_sgpr_count 6
		.amdhsa_user_sgpr_private_segment_buffer 1
		.amdhsa_user_sgpr_dispatch_ptr 0
		.amdhsa_user_sgpr_queue_ptr 0
		.amdhsa_user_sgpr_kernarg_segment_ptr 1
		.amdhsa_user_sgpr_dispatch_id 0
		.amdhsa_user_sgpr_flat_scratch_init 0
		.amdhsa_user_sgpr_kernarg_preload_length 0
		.amdhsa_user_sgpr_kernarg_preload_offset 0
		.amdhsa_user_sgpr_private_segment_size 0
		.amdhsa_uses_dynamic_stack 0
		.amdhsa_system_sgpr_private_segment_wavefront_offset 0
		.amdhsa_system_sgpr_workgroup_id_x 1
		.amdhsa_system_sgpr_workgroup_id_y 1
		.amdhsa_system_sgpr_workgroup_id_z 0
		.amdhsa_system_sgpr_workgroup_info 0
		.amdhsa_system_vgpr_workitem_id 0
		.amdhsa_next_free_vgpr 27
		.amdhsa_next_free_sgpr 44
		.amdhsa_accum_offset 28
		.amdhsa_reserve_vcc 1
		.amdhsa_reserve_flat_scratch 0
		.amdhsa_float_round_mode_32 0
		.amdhsa_float_round_mode_16_64 0
		.amdhsa_float_denorm_mode_32 3
		.amdhsa_float_denorm_mode_16_64 3
		.amdhsa_dx10_clamp 1
		.amdhsa_ieee_mode 1
		.amdhsa_fp16_overflow 0
		.amdhsa_tg_split 0
		.amdhsa_exception_fp_ieee_invalid_op 0
		.amdhsa_exception_fp_denorm_src 0
		.amdhsa_exception_fp_ieee_div_zero 0
		.amdhsa_exception_fp_ieee_overflow 0
		.amdhsa_exception_fp_ieee_underflow 0
		.amdhsa_exception_fp_ieee_inexact 0
		.amdhsa_exception_int_div_zero 0
	.end_amdhsa_kernel
	.section	.text._ZN5aiter35fused_qk_rmsnorm_group_quant_kernelItDB8_Li256ELi8ELi16ELb1ELb1ELb1ELb1ELb0ELb0EEEvPT0_PvPT_S6_S6_PKS5_S8_S8_S8_S8_ffiiiiiiiiiiiii,"axG",@progbits,_ZN5aiter35fused_qk_rmsnorm_group_quant_kernelItDB8_Li256ELi8ELi16ELb1ELb1ELb1ELb1ELb0ELb0EEEvPT0_PvPT_S6_S6_PKS5_S8_S8_S8_S8_ffiiiiiiiiiiiii,comdat
.Lfunc_end458:
	.size	_ZN5aiter35fused_qk_rmsnorm_group_quant_kernelItDB8_Li256ELi8ELi16ELb1ELb1ELb1ELb1ELb0ELb0EEEvPT0_PvPT_S6_S6_PKS5_S8_S8_S8_S8_ffiiiiiiiiiiiii, .Lfunc_end458-_ZN5aiter35fused_qk_rmsnorm_group_quant_kernelItDB8_Li256ELi8ELi16ELb1ELb1ELb1ELb1ELb0ELb0EEEvPT0_PvPT_S6_S6_PKS5_S8_S8_S8_S8_ffiiiiiiiiiiiii
                                        ; -- End function
	.section	.AMDGPU.csdata,"",@progbits
; Kernel info:
; codeLenInByte = 2516
; NumSgprs: 48
; NumVgprs: 27
; NumAgprs: 0
; TotalNumVgprs: 27
; ScratchSize: 0
; MemoryBound: 0
; FloatMode: 240
; IeeeMode: 1
; LDSByteSize: 32 bytes/workgroup (compile time only)
; SGPRBlocks: 5
; VGPRBlocks: 3
; NumSGPRsForWavesPerEU: 48
; NumVGPRsForWavesPerEU: 27
; AccumOffset: 28
; Occupancy: 8
; WaveLimiterHint : 0
; COMPUTE_PGM_RSRC2:SCRATCH_EN: 0
; COMPUTE_PGM_RSRC2:USER_SGPR: 6
; COMPUTE_PGM_RSRC2:TRAP_HANDLER: 0
; COMPUTE_PGM_RSRC2:TGID_X_EN: 1
; COMPUTE_PGM_RSRC2:TGID_Y_EN: 1
; COMPUTE_PGM_RSRC2:TGID_Z_EN: 0
; COMPUTE_PGM_RSRC2:TIDIG_COMP_CNT: 0
; COMPUTE_PGM_RSRC3_GFX90A:ACCUM_OFFSET: 6
; COMPUTE_PGM_RSRC3_GFX90A:TG_SPLIT: 0
	.section	.text._ZN5aiter35fused_qk_rmsnorm_group_quant_kernelIDF16_N4opus5fp4_tELi256ELi8ELi16ELb1ELb1ELb1ELb1ELb0ELb0EEEvPT0_PvPT_S7_S7_PKS6_S9_S9_S9_S9_ffiiiiiiiiiiiii,"axG",@progbits,_ZN5aiter35fused_qk_rmsnorm_group_quant_kernelIDF16_N4opus5fp4_tELi256ELi8ELi16ELb1ELb1ELb1ELb1ELb0ELb0EEEvPT0_PvPT_S7_S7_PKS6_S9_S9_S9_S9_ffiiiiiiiiiiiii,comdat
	.protected	_ZN5aiter35fused_qk_rmsnorm_group_quant_kernelIDF16_N4opus5fp4_tELi256ELi8ELi16ELb1ELb1ELb1ELb1ELb0ELb0EEEvPT0_PvPT_S7_S7_PKS6_S9_S9_S9_S9_ffiiiiiiiiiiiii ; -- Begin function _ZN5aiter35fused_qk_rmsnorm_group_quant_kernelIDF16_N4opus5fp4_tELi256ELi8ELi16ELb1ELb1ELb1ELb1ELb0ELb0EEEvPT0_PvPT_S7_S7_PKS6_S9_S9_S9_S9_ffiiiiiiiiiiiii
	.globl	_ZN5aiter35fused_qk_rmsnorm_group_quant_kernelIDF16_N4opus5fp4_tELi256ELi8ELi16ELb1ELb1ELb1ELb1ELb0ELb0EEEvPT0_PvPT_S7_S7_PKS6_S9_S9_S9_S9_ffiiiiiiiiiiiii
	.p2align	8
	.type	_ZN5aiter35fused_qk_rmsnorm_group_quant_kernelIDF16_N4opus5fp4_tELi256ELi8ELi16ELb1ELb1ELb1ELb1ELb0ELb0EEEvPT0_PvPT_S7_S7_PKS6_S9_S9_S9_S9_ffiiiiiiiiiiiii,@function
_ZN5aiter35fused_qk_rmsnorm_group_quant_kernelIDF16_N4opus5fp4_tELi256ELi8ELi16ELb1ELb1ELb1ELb1ELb0ELb0EEEvPT0_PvPT_S7_S7_PKS6_S9_S9_S9_S9_ffiiiiiiiiiiiii: ; @_ZN5aiter35fused_qk_rmsnorm_group_quant_kernelIDF16_N4opus5fp4_tELi256ELi8ELi16ELb1ELb1ELb1ELb1ELb0ELb0EEEvPT0_PvPT_S7_S7_PKS6_S9_S9_S9_S9_ffiiiiiiiiiiiii
; %bb.0:
	s_load_dwordx8 s[12:19], s[4:5], 0x50
	s_waitcnt lgkmcnt(0)
	s_cmp_ge_i32 s6, s14
	s_cbranch_scc1 .LBB459_17
; %bb.1:
	s_cmp_lg_u32 s7, 0
	s_cselect_b64 s[22:23], -1, 0
	s_cmp_eq_u32 s7, 0
	s_cselect_b64 s[2:3], -1, 0
	s_and_b64 s[0:1], s[2:3], exec
	s_cselect_b32 s7, s15, s16
	s_load_dwordx2 s[10:11], s[4:5], 0x30
	s_load_dwordx2 s[20:21], s[4:5], 0x48
	s_add_i32 s0, s7, 1
	s_lshr_b32 s1, s0, 31
	s_add_i32 s0, s0, s1
	s_lshl_b32 s0, s0, 1
	v_lshlrev_b32_e32 v1, 3, v0
	s_and_b32 s30, s0, -4
	v_cmp_gt_i32_e64 s[0:1], s7, v1
	v_mov_b32_e32 v2, 0
	v_mov_b32_e32 v3, 0
	;; [unrolled: 1-line block ×8, first 2 shown]
	s_and_saveexec_b64 s[8:9], s[0:1]
	s_cbranch_execz .LBB459_3
; %bb.2:
	s_load_dwordx2 s[14:15], s[4:5], 0x28
	s_load_dwordx2 s[26:27], s[4:5], 0x40
	s_and_b64 s[24:25], s[2:3], exec
	s_cselect_b32 s17, s17, s18
	s_mov_b32 s31, 0x20000
	s_waitcnt lgkmcnt(0)
	s_cselect_b32 s25, s15, s11
	s_cselect_b32 s24, s14, s10
	s_mul_hi_i32 s15, s17, s6
	s_mul_i32 s14, s17, s6
	s_lshl_b64 s[14:15], s[14:15], 1
	s_add_u32 s24, s24, s14
	s_addc_u32 s17, s25, s15
	s_and_b64 s[14:15], s[2:3], exec
	s_cselect_b32 s28, s26, s20
	s_cselect_b32 s14, s27, s21
	v_lshlrev_b32_e32 v10, 4, v0
	s_and_b32 s25, s17, 0xffff
	s_mov_b32 s26, s30
	s_mov_b32 s27, s31
	s_and_b32 s29, s14, 0xffff
	buffer_load_dwordx4 v[6:9], v10, s[24:27], 0 offen glc slc
	buffer_load_dwordx4 v[2:5], v10, s[28:31], 0 offen
.LBB459_3:
	s_or_b64 exec, exec, s[8:9]
	s_load_dwordx4 s[24:27], s[4:5], 0x7c
	s_and_b64 vcc, exec, s[22:23]
	s_cbranch_vccz .LBB459_7
; %bb.4:
	v_mov_b32_e32 v11, 0
	v_mov_b32_e32 v10, 0
	;; [unrolled: 1-line block ×8, first 2 shown]
	s_and_saveexec_b64 s[8:9], s[0:1]
	s_cbranch_execz .LBB459_6
; %bb.5:
	s_waitcnt vmcnt(1)
	v_cvt_f32_f16_sdwa v13, v6 dst_sel:DWORD dst_unused:UNUSED_PAD src0_sel:WORD_1
	v_cvt_f32_f16_e32 v12, v6
	v_cvt_f32_f16_sdwa v17, v7 dst_sel:DWORD dst_unused:UNUSED_PAD src0_sel:WORD_1
	v_cvt_f32_f16_e32 v16, v7
	;; [unrolled: 2-line block ×4, first 2 shown]
.LBB459_6:
	s_or_b64 exec, exec, s[8:9]
	s_cbranch_execz .LBB459_8
	s_branch .LBB459_11
.LBB459_7:
                                        ; implicit-def: $vgpr11
                                        ; implicit-def: $vgpr15
                                        ; implicit-def: $vgpr17
                                        ; implicit-def: $vgpr13
.LBB459_8:
	v_mov_b32_e32 v11, 0
	v_mov_b32_e32 v10, 0
	;; [unrolled: 1-line block ×8, first 2 shown]
	s_and_saveexec_b64 s[8:9], s[0:1]
	s_cbranch_execz .LBB459_10
; %bb.9:
	s_load_dwordx2 s[14:15], s[4:5], 0x38
	s_mul_hi_i32 s29, s19, s6
	s_mul_i32 s28, s19, s6
	s_lshl_b64 s[28:29], s[28:29], 1
	s_mov_b32 s31, 0x20000
	s_waitcnt lgkmcnt(0)
	s_add_u32 s28, s14, s28
	s_addc_u32 s14, s15, s29
	s_and_b32 s29, s14, 0xffff
	v_lshlrev_b32_e32 v24, 4, v0
	buffer_load_dwordx4 v[10:13], v24, s[28:31], 0 offen glc slc
	s_waitcnt vmcnt(2)
	v_cvt_f32_f16_sdwa v15, v6 dst_sel:DWORD dst_unused:UNUSED_PAD src0_sel:WORD_1
	v_cvt_f32_f16_e32 v14, v6
	v_cvt_f32_f16_sdwa v17, v7 dst_sel:DWORD dst_unused:UNUSED_PAD src0_sel:WORD_1
	v_cvt_f32_f16_e32 v16, v7
	;; [unrolled: 2-line block ×4, first 2 shown]
	s_load_dwordx2 s[14:15], s[4:5], 0x20
	s_mul_hi_i32 s27, s26, s6
	s_mul_i32 s26, s26, s6
	s_lshl_b64 s[26:27], s[26:27], 1
	s_waitcnt lgkmcnt(0)
	s_add_u32 s28, s14, s26
	s_addc_u32 s14, s15, s27
	s_and_b32 s29, s14, 0xffff
	s_waitcnt vmcnt(0)
	v_cvt_f32_f16_e32 v8, v10
	v_cvt_f32_f16_sdwa v9, v10 dst_sel:DWORD dst_unused:UNUSED_PAD src0_sel:WORD_1
	v_cvt_f32_f16_e32 v10, v11
	v_cvt_f32_f16_sdwa v11, v11 dst_sel:DWORD dst_unused:UNUSED_PAD src0_sel:WORD_1
	;; [unrolled: 2-line block ×4, first 2 shown]
	v_pk_add_f32 v[12:13], v[14:15], v[8:9]
	v_pk_add_f32 v[16:17], v[16:17], v[10:11]
	;; [unrolled: 1-line block ×4, first 2 shown]
	v_cvt_f16_f32_e32 v6, v13
	v_cvt_f16_f32_e32 v7, v17
	;; [unrolled: 1-line block ×8, first 2 shown]
	v_pack_b32_f16 v9, v18, v9
	v_pack_b32_f16 v8, v19, v8
	;; [unrolled: 1-line block ×4, first 2 shown]
	buffer_store_dwordx4 v[6:9], v24, s[28:31], 0 offen glc slc
	;;#ASMSTART
	s_nop 0
	;;#ASMEND
.LBB459_10:
	s_or_b64 exec, exec, s[8:9]
.LBB459_11:
	s_waitcnt vmcnt(1)
	v_mul_f32_e32 v6, v13, v13
	v_fmac_f32_e32 v6, v12, v12
	v_fmac_f32_e32 v6, v16, v16
	;; [unrolled: 1-line block ×7, first 2 shown]
	v_and_b32_e32 v8, 63, v0
	v_cmp_eq_u32_e64 s[8:9], 63, v8
	v_mov_b32_dpp v7, v6 quad_perm:[1,0,3,2] row_mask:0xf bank_mask:0xf
	v_add_f32_e32 v6, v6, v7
	s_nop 1
	v_mov_b32_dpp v7, v6 quad_perm:[2,3,0,1] row_mask:0xf bank_mask:0xf
	v_add_f32_e32 v6, v6, v7
	s_nop 1
	v_mov_b32_dpp v7, v6 row_half_mirror row_mask:0xf bank_mask:0xf
	v_add_f32_e32 v6, v6, v7
	s_nop 1
	v_mov_b32_dpp v7, v6 row_mirror row_mask:0xf bank_mask:0xf
	v_add_f32_e32 v6, v6, v7
	s_nop 1
	v_mov_b32_dpp v7, v6 row_bcast:15 row_mask:0xf bank_mask:0xf
	v_add_f32_e32 v6, v6, v7
	s_nop 1
	v_mov_b32_dpp v7, v6 row_bcast:31 row_mask:0xf bank_mask:0xf
	s_and_saveexec_b64 s[14:15], s[8:9]
	s_cbranch_execz .LBB459_13
; %bb.12:
	v_add_f32_e32 v6, v6, v7
	v_lshrrev_b32_e32 v7, 4, v0
	v_and_b32_e32 v7, 60, v7
	ds_write_b32 v7, v6 offset:16
.LBB459_13:
	s_or_b64 exec, exec, s[14:15]
	v_and_b32_e32 v6, 3, v0
	v_lshlrev_b32_e32 v18, 2, v6
	s_waitcnt lgkmcnt(0)
	s_barrier
	ds_read_b32 v6, v18 offset:16
	s_load_dwordx2 s[14:15], s[4:5], 0x18
	s_waitcnt lgkmcnt(0)
	v_mov_b32_dpp v7, v6 quad_perm:[1,0,3,2] row_mask:0xf bank_mask:0xf
	v_add_f32_e32 v6, v6, v7
	s_nop 1
	v_mov_b32_dpp v7, v6 quad_perm:[2,3,0,1] row_mask:0xf bank_mask:0xf
	s_and_saveexec_b64 s[26:27], s[0:1]
	s_cbranch_execnz .LBB459_18
; %bb.14:
	s_or_b64 exec, exec, s[26:27]
	s_mov_b64 s[2:3], -1
	s_and_b64 vcc, exec, s[22:23]
	s_cbranch_vccnz .LBB459_19
.LBB459_15:
	s_andn2_b64 vcc, exec, s[2:3]
	s_cbranch_vccz .LBB459_22
.LBB459_16:
	s_cmp_lt_i32 s16, 1
	s_cbranch_scc0 .LBB459_25
.LBB459_17:
	s_endpgm
.LBB459_18:
	v_cvt_f32_u32_e32 v8, s7
	v_add_f32_e32 v6, v6, v7
	v_mov_b32_e32 v19, s13
	v_mov_b32_e32 v20, s12
	v_div_scale_f32 v7, s[28:29], v8, v8, v6
	v_rcp_f32_e32 v9, v7
	v_cndmask_b32_e64 v19, v19, v20, s[2:3]
	s_mov_b32 s2, 0x800000
	v_fma_f32 v20, -v7, v9, 1.0
	v_fmac_f32_e32 v9, v20, v9
	v_div_scale_f32 v20, vcc, v6, v8, v6
	v_mul_f32_e32 v21, v20, v9
	v_fma_f32 v22, -v7, v21, v20
	v_fmac_f32_e32 v21, v22, v9
	v_fma_f32 v7, -v7, v21, v20
	v_div_fmas_f32 v7, v7, v9, v21
	v_div_fixup_f32 v6, v7, v8, v6
	v_add_f32_e32 v6, v19, v6
	v_mul_f32_e32 v7, 0x4b800000, v6
	v_cmp_gt_f32_e32 vcc, s2, v6
	v_cndmask_b32_e32 v6, v6, v7, vcc
	v_rsq_f32_e32 v6, v6
	s_waitcnt vmcnt(0)
	v_cvt_f32_f16_sdwa v21, v3 dst_sel:DWORD dst_unused:UNUSED_PAD src0_sel:WORD_1
	v_cvt_f32_f16_e32 v20, v3
	v_mul_f32_e32 v7, 0x45800000, v6
	v_cndmask_b32_e32 v6, v6, v7, vcc
	v_mov_b32_e32 v7, v6
	;;#ASMSTART
	v_pk_mul_f32 v[8:9], v[12:13], v[6:7]
	;;#ASMEND
	v_cvt_f32_f16_sdwa v13, v2 dst_sel:DWORD dst_unused:UNUSED_PAD src0_sel:WORD_1
	v_cvt_f32_f16_e32 v12, v2
	;;#ASMSTART
	v_pk_mul_f32 v[16:17], v[16:17], v[6:7]
	;;#ASMEND
	;;#ASMSTART
	v_pk_mul_f32 v[14:15], v[14:15], v[6:7]
	;;#ASMEND
	;;#ASMSTART
	v_pk_mul_f32 v[2:3], v[10:11], v[6:7]
	;;#ASMEND
	v_pk_add_f32 v[6:7], v[12:13], 1.0 op_sel_hi:[1,0]
	;;#ASMSTART
	v_pk_mul_f32 v[12:13], v[8:9], v[6:7]
	;;#ASMEND
	v_cvt_f32_f16_sdwa v9, v4 dst_sel:DWORD dst_unused:UNUSED_PAD src0_sel:WORD_1
	v_cvt_f32_f16_e32 v8, v4
	v_cvt_f32_f16_sdwa v11, v5 dst_sel:DWORD dst_unused:UNUSED_PAD src0_sel:WORD_1
	v_cvt_f32_f16_e32 v10, v5
	v_pk_add_f32 v[6:7], v[20:21], 1.0 op_sel_hi:[1,0]
	v_pk_add_f32 v[4:5], v[8:9], 1.0 op_sel_hi:[1,0]
	;;#ASMSTART
	v_pk_mul_f32 v[16:17], v[16:17], v[6:7]
	;;#ASMEND
	;;#ASMSTART
	v_pk_mul_f32 v[14:15], v[14:15], v[4:5]
	;;#ASMEND
	v_pk_add_f32 v[4:5], v[10:11], 1.0 op_sel_hi:[1,0]
	;;#ASMSTART
	v_pk_mul_f32 v[10:11], v[2:3], v[4:5]
	;;#ASMEND
	s_or_b64 exec, exec, s[26:27]
	s_mov_b64 s[2:3], -1
	s_and_b64 vcc, exec, s[22:23]
	s_cbranch_vccz .LBB459_15
.LBB459_19:
	s_and_saveexec_b64 s[2:3], s[0:1]
	s_cbranch_execz .LBB459_21
; %bb.20:
	s_mul_hi_i32 s23, s25, s6
	s_mul_i32 s22, s25, s6
	s_waitcnt vmcnt(0)
	v_cvt_f16_f32_e32 v2, v12
	v_cvt_f16_f32_e32 v3, v16
	;; [unrolled: 1-line block ×8, first 2 shown]
	s_lshl_b64 s[22:23], s[22:23], 1
	s_add_u32 s28, s14, s22
	s_addc_u32 s7, s15, s23
	s_and_b32 s29, s7, 0xffff
	s_mov_b32 s31, 0x20000
	v_pack_b32_f16 v5, v5, v6
	v_pack_b32_f16 v4, v4, v7
	v_pack_b32_f16 v3, v3, v8
	v_pack_b32_f16 v2, v2, v9
	v_lshlrev_b32_e32 v6, 4, v0
	buffer_store_dwordx4 v[2:5], v6, s[28:31], 0 offen
	;;#ASMSTART
	s_nop 0
	;;#ASMEND
.LBB459_21:
	s_or_b64 exec, exec, s[2:3]
	s_cbranch_execnz .LBB459_16
.LBB459_22:
	s_and_saveexec_b64 s[2:3], s[0:1]
	s_cbranch_execz .LBB459_24
; %bb.23:
	s_load_dwordx2 s[0:1], s[4:5], 0x10
	s_mul_hi_i32 s23, s24, s6
	s_mul_i32 s22, s24, s6
	s_waitcnt vmcnt(0)
	v_cvt_f16_f32_e32 v2, v12
	v_cvt_f16_f32_e32 v3, v16
	;; [unrolled: 1-line block ×8, first 2 shown]
	s_lshl_b64 s[22:23], s[22:23], 1
	s_waitcnt lgkmcnt(0)
	s_add_u32 s28, s0, s22
	s_addc_u32 s0, s1, s23
	s_mov_b32 s31, 0x20000
	s_and_b32 s29, s0, 0xffff
	v_pack_b32_f16 v5, v5, v6
	v_pack_b32_f16 v4, v4, v7
	;; [unrolled: 1-line block ×4, first 2 shown]
	v_lshlrev_b32_e32 v6, 4, v0
	buffer_store_dwordx4 v[2:5], v6, s[28:31], 0 offen
	;;#ASMSTART
	s_nop 0
	;;#ASMEND
.LBB459_24:
	s_or_b64 exec, exec, s[2:3]
	s_cmp_lt_i32 s16, 1
	s_cbranch_scc1 .LBB459_17
.LBB459_25:
	s_load_dword s0, s[4:5], 0x94
	s_waitcnt lgkmcnt(0)
	s_cmp_lg_u32 s0, 1
	s_cbranch_scc1 .LBB459_17
; %bb.26:
	s_lshl_b32 s0, s16, 1
	s_add_i32 s0, s0, 2
	v_cmp_gt_u32_e32 vcc, s16, v1
	s_and_b32 s22, s0, -4
	v_mov_b32_e32 v10, 0
	v_lshlrev_b32_e32 v1, 4, v0
	v_mov_b32_e32 v6, 0
	v_mov_b32_e32 v7, 0
	;; [unrolled: 1-line block ×4, first 2 shown]
	s_waitcnt vmcnt(0)
	v_mov_b32_e32 v2, 0
	v_mov_b32_e32 v3, 0
	;; [unrolled: 1-line block ×4, first 2 shown]
	s_barrier
	s_and_saveexec_b64 s[0:1], vcc
	s_cbranch_execz .LBB459_28
; %bb.27:
	s_mul_hi_i32 s3, s18, s6
	s_mul_i32 s2, s18, s6
	s_and_b32 s21, s21, 0xffff
	s_lshl_b64 s[2:3], s[2:3], 1
	s_add_u32 s28, s10, s2
	s_mov_b32 s23, 0x20000
	s_addc_u32 s2, s11, s3
	s_and_b32 s29, s2, 0xffff
	s_mov_b32 s30, s22
	s_mov_b32 s31, s23
	buffer_load_dwordx4 v[6:9], v1, s[28:31], 0 offen glc slc
	buffer_load_dwordx4 v[2:5], v1, s[20:23], 0 offen
.LBB459_28:
	s_or_b64 exec, exec, s[0:1]
	v_mov_b32_e32 v11, 0
	v_mov_b32_e32 v16, 0
	;; [unrolled: 1-line block ×7, first 2 shown]
	s_and_saveexec_b64 s[0:1], vcc
	s_cbranch_execz .LBB459_30
; %bb.29:
	s_waitcnt vmcnt(1)
	v_cvt_f32_f16_sdwa v11, v6 dst_sel:DWORD dst_unused:UNUSED_PAD src0_sel:WORD_1
	v_cvt_f32_f16_e32 v10, v6
	v_cvt_f32_f16_sdwa v17, v7 dst_sel:DWORD dst_unused:UNUSED_PAD src0_sel:WORD_1
	v_cvt_f32_f16_e32 v16, v7
	;; [unrolled: 2-line block ×4, first 2 shown]
.LBB459_30:
	s_or_b64 exec, exec, s[0:1]
	s_waitcnt vmcnt(1)
	v_mul_f32_e32 v6, v11, v11
	v_fmac_f32_e32 v6, v10, v10
	v_fmac_f32_e32 v6, v16, v16
	;; [unrolled: 1-line block ×7, first 2 shown]
	s_nop 1
	v_mov_b32_dpp v7, v6 quad_perm:[1,0,3,2] row_mask:0xf bank_mask:0xf
	v_add_f32_e32 v6, v6, v7
	s_nop 1
	v_mov_b32_dpp v7, v6 quad_perm:[2,3,0,1] row_mask:0xf bank_mask:0xf
	v_add_f32_e32 v6, v6, v7
	s_nop 1
	v_mov_b32_dpp v7, v6 row_half_mirror row_mask:0xf bank_mask:0xf
	v_add_f32_e32 v6, v6, v7
	s_nop 1
	v_mov_b32_dpp v7, v6 row_mirror row_mask:0xf bank_mask:0xf
	v_add_f32_e32 v6, v6, v7
	s_nop 1
	v_mov_b32_dpp v7, v6 row_bcast:15 row_mask:0xf bank_mask:0xf
	v_add_f32_e32 v6, v6, v7
	s_nop 1
	v_mov_b32_dpp v7, v6 row_bcast:31 row_mask:0xf bank_mask:0xf
	s_and_saveexec_b64 s[0:1], s[8:9]
	s_cbranch_execz .LBB459_32
; %bb.31:
	v_lshrrev_b32_e32 v0, 4, v0
	v_add_f32_e32 v6, v6, v7
	v_and_b32_e32 v0, 60, v0
	ds_write_b32 v0, v6
.LBB459_32:
	s_or_b64 exec, exec, s[0:1]
	s_waitcnt lgkmcnt(0)
	s_barrier
	ds_read_b32 v0, v18
	s_waitcnt lgkmcnt(0)
	s_nop 0
	v_mov_b32_dpp v6, v0 quad_perm:[1,0,3,2] row_mask:0xf bank_mask:0xf
	v_add_f32_e32 v0, v0, v6
	s_nop 1
	v_mov_b32_dpp v6, v0 quad_perm:[2,3,0,1] row_mask:0xf bank_mask:0xf
	s_and_saveexec_b64 s[0:1], vcc
	s_cbranch_execz .LBB459_17
; %bb.33:
	v_cvt_f32_u32_e32 v7, s16
	v_add_f32_e32 v0, v0, v6
	s_mov_b32 s23, 0x20000
	v_div_scale_f32 v6, s[0:1], v7, v7, v0
	v_rcp_f32_e32 v8, v6
	v_div_scale_f32 v9, vcc, v0, v7, v0
	s_mov_b32 s0, 0x800000
	v_fma_f32 v18, -v6, v8, 1.0
	v_fmac_f32_e32 v8, v18, v8
	v_mul_f32_e32 v18, v9, v8
	v_fma_f32 v19, -v6, v18, v9
	v_fmac_f32_e32 v18, v19, v8
	v_fma_f32 v6, -v6, v18, v9
	v_div_fmas_f32 v6, v6, v8, v18
	v_div_fixup_f32 v0, v6, v7, v0
	v_add_f32_e32 v0, s13, v0
	v_mul_f32_e32 v6, 0x4b800000, v0
	v_cmp_gt_f32_e32 vcc, s0, v0
	v_cndmask_b32_e32 v0, v0, v6, vcc
	v_rsq_f32_e32 v0, v0
	s_waitcnt vmcnt(0)
	v_cvt_f32_f16_sdwa v19, v3 dst_sel:DWORD dst_unused:UNUSED_PAD src0_sel:WORD_1
	v_cvt_f32_f16_e32 v18, v3
	s_mul_hi_i32 s1, s25, s6
	v_mul_f32_e32 v6, 0x45800000, v0
	v_cndmask_b32_e32 v6, v0, v6, vcc
	v_mov_b32_e32 v7, v6
	;;#ASMSTART
	v_pk_mul_f32 v[8:9], v[10:11], v[6:7]
	;;#ASMEND
	;;#ASMSTART
	v_pk_mul_f32 v[10:11], v[16:17], v[6:7]
	;;#ASMEND
	v_cvt_f32_f16_sdwa v17, v2 dst_sel:DWORD dst_unused:UNUSED_PAD src0_sel:WORD_1
	v_cvt_f32_f16_e32 v16, v2
	;;#ASMSTART
	v_pk_mul_f32 v[14:15], v[14:15], v[6:7]
	;;#ASMEND
	;;#ASMSTART
	v_pk_mul_f32 v[2:3], v[12:13], v[6:7]
	;;#ASMEND
	v_cvt_f32_f16_sdwa v13, v4 dst_sel:DWORD dst_unused:UNUSED_PAD src0_sel:WORD_1
	v_cvt_f32_f16_e32 v12, v4
	v_pk_add_f32 v[6:7], v[16:17], 1.0 op_sel_hi:[1,0]
	v_cvt_f32_f16_sdwa v17, v5 dst_sel:DWORD dst_unused:UNUSED_PAD src0_sel:WORD_1
	v_cvt_f32_f16_e32 v16, v5
	;;#ASMSTART
	v_pk_mul_f32 v[6:7], v[8:9], v[6:7]
	;;#ASMEND
	v_pk_add_f32 v[8:9], v[18:19], 1.0 op_sel_hi:[1,0]
	;;#ASMSTART
	v_pk_mul_f32 v[4:5], v[10:11], v[8:9]
	;;#ASMEND
	v_pk_add_f32 v[8:9], v[12:13], 1.0 op_sel_hi:[1,0]
	;; [unrolled: 4-line block ×3, first 2 shown]
	;;#ASMSTART
	v_pk_mul_f32 v[2:3], v[2:3], v[10:11]
	;;#ASMEND
	s_mul_i32 s0, s25, s6
	v_cvt_f16_f32_e32 v0, v6
	v_cvt_f16_f32_e32 v6, v7
	;; [unrolled: 1-line block ×8, first 2 shown]
	s_lshl_b64 s[0:1], s[0:1], 1
	s_add_u32 s20, s14, s0
	s_addc_u32 s0, s15, s1
	s_and_b32 s21, s0, 0xffff
	v_pack_b32_f16 v2, v0, v6
	v_pack_b32_f16 v3, v4, v5
	;; [unrolled: 1-line block ×4, first 2 shown]
	buffer_store_dwordx4 v[2:5], v1, s[20:23], 0 offen
	;;#ASMSTART
	s_nop 0
	;;#ASMEND
	s_endpgm
	.section	.rodata,"a",@progbits
	.p2align	6, 0x0
	.amdhsa_kernel _ZN5aiter35fused_qk_rmsnorm_group_quant_kernelIDF16_N4opus5fp4_tELi256ELi8ELi16ELb1ELb1ELb1ELb1ELb0ELb0EEEvPT0_PvPT_S7_S7_PKS6_S9_S9_S9_S9_ffiiiiiiiiiiiii
		.amdhsa_group_segment_fixed_size 32
		.amdhsa_private_segment_fixed_size 0
		.amdhsa_kernarg_size 400
		.amdhsa_user_sgpr_count 6
		.amdhsa_user_sgpr_private_segment_buffer 1
		.amdhsa_user_sgpr_dispatch_ptr 0
		.amdhsa_user_sgpr_queue_ptr 0
		.amdhsa_user_sgpr_kernarg_segment_ptr 1
		.amdhsa_user_sgpr_dispatch_id 0
		.amdhsa_user_sgpr_flat_scratch_init 0
		.amdhsa_user_sgpr_kernarg_preload_length 0
		.amdhsa_user_sgpr_kernarg_preload_offset 0
		.amdhsa_user_sgpr_private_segment_size 0
		.amdhsa_uses_dynamic_stack 0
		.amdhsa_system_sgpr_private_segment_wavefront_offset 0
		.amdhsa_system_sgpr_workgroup_id_x 1
		.amdhsa_system_sgpr_workgroup_id_y 1
		.amdhsa_system_sgpr_workgroup_id_z 0
		.amdhsa_system_sgpr_workgroup_info 0
		.amdhsa_system_vgpr_workitem_id 0
		.amdhsa_next_free_vgpr 25
		.amdhsa_next_free_sgpr 32
		.amdhsa_accum_offset 28
		.amdhsa_reserve_vcc 1
		.amdhsa_reserve_flat_scratch 0
		.amdhsa_float_round_mode_32 0
		.amdhsa_float_round_mode_16_64 0
		.amdhsa_float_denorm_mode_32 3
		.amdhsa_float_denorm_mode_16_64 3
		.amdhsa_dx10_clamp 1
		.amdhsa_ieee_mode 1
		.amdhsa_fp16_overflow 0
		.amdhsa_tg_split 0
		.amdhsa_exception_fp_ieee_invalid_op 0
		.amdhsa_exception_fp_denorm_src 0
		.amdhsa_exception_fp_ieee_div_zero 0
		.amdhsa_exception_fp_ieee_overflow 0
		.amdhsa_exception_fp_ieee_underflow 0
		.amdhsa_exception_fp_ieee_inexact 0
		.amdhsa_exception_int_div_zero 0
	.end_amdhsa_kernel
	.section	.text._ZN5aiter35fused_qk_rmsnorm_group_quant_kernelIDF16_N4opus5fp4_tELi256ELi8ELi16ELb1ELb1ELb1ELb1ELb0ELb0EEEvPT0_PvPT_S7_S7_PKS6_S9_S9_S9_S9_ffiiiiiiiiiiiii,"axG",@progbits,_ZN5aiter35fused_qk_rmsnorm_group_quant_kernelIDF16_N4opus5fp4_tELi256ELi8ELi16ELb1ELb1ELb1ELb1ELb0ELb0EEEvPT0_PvPT_S7_S7_PKS6_S9_S9_S9_S9_ffiiiiiiiiiiiii,comdat
.Lfunc_end459:
	.size	_ZN5aiter35fused_qk_rmsnorm_group_quant_kernelIDF16_N4opus5fp4_tELi256ELi8ELi16ELb1ELb1ELb1ELb1ELb0ELb0EEEvPT0_PvPT_S7_S7_PKS6_S9_S9_S9_S9_ffiiiiiiiiiiiii, .Lfunc_end459-_ZN5aiter35fused_qk_rmsnorm_group_quant_kernelIDF16_N4opus5fp4_tELi256ELi8ELi16ELb1ELb1ELb1ELb1ELb0ELb0EEEvPT0_PvPT_S7_S7_PKS6_S9_S9_S9_S9_ffiiiiiiiiiiiii
                                        ; -- End function
	.section	.AMDGPU.csdata,"",@progbits
; Kernel info:
; codeLenInByte = 2480
; NumSgprs: 36
; NumVgprs: 25
; NumAgprs: 0
; TotalNumVgprs: 25
; ScratchSize: 0
; MemoryBound: 0
; FloatMode: 240
; IeeeMode: 1
; LDSByteSize: 32 bytes/workgroup (compile time only)
; SGPRBlocks: 4
; VGPRBlocks: 3
; NumSGPRsForWavesPerEU: 36
; NumVGPRsForWavesPerEU: 25
; AccumOffset: 28
; Occupancy: 8
; WaveLimiterHint : 0
; COMPUTE_PGM_RSRC2:SCRATCH_EN: 0
; COMPUTE_PGM_RSRC2:USER_SGPR: 6
; COMPUTE_PGM_RSRC2:TRAP_HANDLER: 0
; COMPUTE_PGM_RSRC2:TGID_X_EN: 1
; COMPUTE_PGM_RSRC2:TGID_Y_EN: 1
; COMPUTE_PGM_RSRC2:TGID_Z_EN: 0
; COMPUTE_PGM_RSRC2:TIDIG_COMP_CNT: 0
; COMPUTE_PGM_RSRC3_GFX90A:ACCUM_OFFSET: 6
; COMPUTE_PGM_RSRC3_GFX90A:TG_SPLIT: 0
	.section	.text._ZN5aiter35fused_qk_rmsnorm_group_quant_kernelItN4opus5fp4_tELi256ELi8ELi16ELb1ELb1ELb1ELb1ELb0ELb0EEEvPT0_PvPT_S7_S7_PKS6_S9_S9_S9_S9_ffiiiiiiiiiiiii,"axG",@progbits,_ZN5aiter35fused_qk_rmsnorm_group_quant_kernelItN4opus5fp4_tELi256ELi8ELi16ELb1ELb1ELb1ELb1ELb0ELb0EEEvPT0_PvPT_S7_S7_PKS6_S9_S9_S9_S9_ffiiiiiiiiiiiii,comdat
	.protected	_ZN5aiter35fused_qk_rmsnorm_group_quant_kernelItN4opus5fp4_tELi256ELi8ELi16ELb1ELb1ELb1ELb1ELb0ELb0EEEvPT0_PvPT_S7_S7_PKS6_S9_S9_S9_S9_ffiiiiiiiiiiiii ; -- Begin function _ZN5aiter35fused_qk_rmsnorm_group_quant_kernelItN4opus5fp4_tELi256ELi8ELi16ELb1ELb1ELb1ELb1ELb0ELb0EEEvPT0_PvPT_S7_S7_PKS6_S9_S9_S9_S9_ffiiiiiiiiiiiii
	.globl	_ZN5aiter35fused_qk_rmsnorm_group_quant_kernelItN4opus5fp4_tELi256ELi8ELi16ELb1ELb1ELb1ELb1ELb0ELb0EEEvPT0_PvPT_S7_S7_PKS6_S9_S9_S9_S9_ffiiiiiiiiiiiii
	.p2align	8
	.type	_ZN5aiter35fused_qk_rmsnorm_group_quant_kernelItN4opus5fp4_tELi256ELi8ELi16ELb1ELb1ELb1ELb1ELb0ELb0EEEvPT0_PvPT_S7_S7_PKS6_S9_S9_S9_S9_ffiiiiiiiiiiiii,@function
_ZN5aiter35fused_qk_rmsnorm_group_quant_kernelItN4opus5fp4_tELi256ELi8ELi16ELb1ELb1ELb1ELb1ELb0ELb0EEEvPT0_PvPT_S7_S7_PKS6_S9_S9_S9_S9_ffiiiiiiiiiiiii: ; @_ZN5aiter35fused_qk_rmsnorm_group_quant_kernelItN4opus5fp4_tELi256ELi8ELi16ELb1ELb1ELb1ELb1ELb0ELb0EEEvPT0_PvPT_S7_S7_PKS6_S9_S9_S9_S9_ffiiiiiiiiiiiii
; %bb.0:
	s_load_dwordx8 s[12:19], s[4:5], 0x50
	s_waitcnt lgkmcnt(0)
	s_cmp_ge_i32 s6, s14
	s_cbranch_scc1 .LBB460_17
; %bb.1:
	s_cmp_lg_u32 s7, 0
	s_cselect_b64 s[22:23], -1, 0
	s_cmp_eq_u32 s7, 0
	s_cselect_b64 s[8:9], -1, 0
	s_and_b64 s[0:1], s[8:9], exec
	s_cselect_b32 s7, s15, s16
	s_load_dwordx2 s[10:11], s[4:5], 0x30
	s_load_dwordx2 s[20:21], s[4:5], 0x48
	s_add_i32 s0, s7, 1
	s_lshr_b32 s1, s0, 31
	s_add_i32 s0, s0, s1
	s_lshl_b32 s0, s0, 1
	v_lshlrev_b32_e32 v1, 3, v0
	s_and_b32 s30, s0, -4
	v_cmp_gt_i32_e64 s[0:1], s7, v1
	v_mov_b32_e32 v10, 0
	v_mov_b32_e32 v11, 0
	v_mov_b32_e32 v12, 0
	v_mov_b32_e32 v13, 0
	v_mov_b32_e32 v14, 0
	v_mov_b32_e32 v15, 0
	v_mov_b32_e32 v16, 0
	v_mov_b32_e32 v17, 0
	s_and_saveexec_b64 s[2:3], s[0:1]
	s_cbranch_execz .LBB460_3
; %bb.2:
	s_load_dwordx2 s[14:15], s[4:5], 0x28
	s_load_dwordx2 s[26:27], s[4:5], 0x40
	s_and_b64 s[24:25], s[8:9], exec
	s_cselect_b32 s17, s17, s18
	s_mov_b32 s31, 0x20000
	s_waitcnt lgkmcnt(0)
	s_cselect_b32 s25, s15, s11
	s_cselect_b32 s24, s14, s10
	s_mul_hi_i32 s15, s17, s6
	s_mul_i32 s14, s17, s6
	s_lshl_b64 s[14:15], s[14:15], 1
	s_add_u32 s24, s24, s14
	s_addc_u32 s17, s25, s15
	s_and_b64 s[14:15], s[8:9], exec
	s_cselect_b32 s28, s26, s20
	s_cselect_b32 s14, s27, s21
	v_lshlrev_b32_e32 v2, 4, v0
	s_and_b32 s25, s17, 0xffff
	s_mov_b32 s26, s30
	s_mov_b32 s27, s31
	s_and_b32 s29, s14, 0xffff
	buffer_load_dwordx4 v[14:17], v2, s[24:27], 0 offen glc slc
	buffer_load_dwordx4 v[10:13], v2, s[28:31], 0 offen
.LBB460_3:
	s_or_b64 exec, exec, s[2:3]
	s_load_dwordx4 s[24:27], s[4:5], 0x7c
	s_and_b64 vcc, exec, s[22:23]
	s_cbranch_vccz .LBB460_7
; %bb.4:
	s_mov_b32 s36, 0
	s_mov_b32 s37, s36
	;; [unrolled: 1-line block ×8, first 2 shown]
	v_pk_mov_b32 v[2:3], s[36:37], s[36:37] op_sel:[0,1]
	v_pk_mov_b32 v[4:5], s[38:39], s[38:39] op_sel:[0,1]
	;; [unrolled: 1-line block ×4, first 2 shown]
	s_and_saveexec_b64 s[2:3], s[0:1]
	s_cbranch_execz .LBB460_6
; %bb.5:
	s_waitcnt vmcnt(1)
	v_cvt_f32_u32_sdwa v3, v14 dst_sel:DWORD dst_unused:UNUSED_PAD src0_sel:WORD_1
	v_cvt_f32_u32_sdwa v2, v14 dst_sel:DWORD dst_unused:UNUSED_PAD src0_sel:WORD_0
	v_cvt_f32_u32_sdwa v5, v15 dst_sel:DWORD dst_unused:UNUSED_PAD src0_sel:WORD_1
	v_cvt_f32_u32_sdwa v4, v15 dst_sel:DWORD dst_unused:UNUSED_PAD src0_sel:WORD_0
	;; [unrolled: 2-line block ×4, first 2 shown]
.LBB460_6:
	s_or_b64 exec, exec, s[2:3]
	s_cbranch_execz .LBB460_8
	s_branch .LBB460_11
.LBB460_7:
                                        ; implicit-def: $vgpr2_vgpr3_vgpr4_vgpr5_vgpr6_vgpr7_vgpr8_vgpr9
.LBB460_8:
	s_mov_b32 s36, 0
	s_mov_b32 s37, s36
	;; [unrolled: 1-line block ×8, first 2 shown]
	v_pk_mov_b32 v[2:3], s[36:37], s[36:37] op_sel:[0,1]
	v_pk_mov_b32 v[4:5], s[38:39], s[38:39] op_sel:[0,1]
	;; [unrolled: 1-line block ×4, first 2 shown]
	s_and_saveexec_b64 s[2:3], s[0:1]
	s_cbranch_execz .LBB460_10
; %bb.9:
	s_load_dwordx2 s[14:15], s[4:5], 0x38
	s_mul_hi_i32 s29, s19, s6
	s_mul_i32 s28, s19, s6
	s_lshl_b64 s[28:29], s[28:29], 1
	s_mov_b32 s31, 0x20000
	s_waitcnt lgkmcnt(0)
	s_add_u32 s28, s14, s28
	s_addc_u32 s14, s15, s29
	s_and_b32 s29, s14, 0xffff
	v_lshlrev_b32_e32 v26, 4, v0
	buffer_load_dwordx4 v[2:5], v26, s[28:31], 0 offen glc slc
	s_load_dwordx2 s[14:15], s[4:5], 0x20
	s_waitcnt vmcnt(2)
	v_cvt_f32_u32_sdwa v7, v14 dst_sel:DWORD dst_unused:UNUSED_PAD src0_sel:WORD_1
	v_cvt_f32_u32_sdwa v6, v14 dst_sel:DWORD dst_unused:UNUSED_PAD src0_sel:WORD_0
	v_cvt_f32_u32_sdwa v9, v15 dst_sel:DWORD dst_unused:UNUSED_PAD src0_sel:WORD_1
	v_cvt_f32_u32_sdwa v8, v15 dst_sel:DWORD dst_unused:UNUSED_PAD src0_sel:WORD_0
	v_cvt_f32_u32_sdwa v15, v16 dst_sel:DWORD dst_unused:UNUSED_PAD src0_sel:WORD_1
	v_cvt_f32_u32_sdwa v14, v16 dst_sel:DWORD dst_unused:UNUSED_PAD src0_sel:WORD_0
	v_cvt_f32_u32_sdwa v19, v17 dst_sel:DWORD dst_unused:UNUSED_PAD src0_sel:WORD_1
	v_cvt_f32_u32_sdwa v18, v17 dst_sel:DWORD dst_unused:UNUSED_PAD src0_sel:WORD_0
	s_mul_hi_i32 s27, s26, s6
	s_mul_i32 s26, s26, s6
	s_lshl_b64 s[26:27], s[26:27], 1
	s_waitcnt lgkmcnt(0)
	s_add_u32 s28, s14, s26
	s_mov_b32 s17, 0x7060302
	s_addc_u32 s14, s15, s27
	s_and_b32 s29, s14, 0xffff
	s_waitcnt vmcnt(0)
	v_cvt_f32_u32_sdwa v17, v2 dst_sel:DWORD dst_unused:UNUSED_PAD src0_sel:WORD_1
	v_cvt_f32_u32_sdwa v16, v2 dst_sel:DWORD dst_unused:UNUSED_PAD src0_sel:WORD_0
	v_cvt_f32_u32_sdwa v21, v3 dst_sel:DWORD dst_unused:UNUSED_PAD src0_sel:WORD_1
	v_cvt_f32_u32_sdwa v20, v3 dst_sel:DWORD dst_unused:UNUSED_PAD src0_sel:WORD_0
	;; [unrolled: 2-line block ×4, first 2 shown]
	v_pk_add_f32 v[2:3], v[6:7], v[16:17]
	v_pk_add_f32 v[4:5], v[8:9], v[20:21]
	;; [unrolled: 1-line block ×4, first 2 shown]
	v_perm_b32 v17, v9, v8, s17
	v_perm_b32 v16, v7, v6, s17
	;; [unrolled: 1-line block ×4, first 2 shown]
	buffer_store_dwordx4 v[14:17], v26, s[28:31], 0 offen glc slc
	;;#ASMSTART
	s_nop 0
	;;#ASMEND
.LBB460_10:
	s_or_b64 exec, exec, s[2:3]
.LBB460_11:
	s_waitcnt vmcnt(1)
	v_mul_f32_e32 v14, v3, v3
	v_fmac_f32_e32 v14, v2, v2
	v_fmac_f32_e32 v14, v4, v4
	;; [unrolled: 1-line block ×7, first 2 shown]
	v_and_b32_e32 v16, 63, v0
	v_cmp_eq_u32_e64 s[2:3], 63, v16
	v_mov_b32_dpp v15, v14 quad_perm:[1,0,3,2] row_mask:0xf bank_mask:0xf
	v_add_f32_e32 v14, v14, v15
	s_nop 1
	v_mov_b32_dpp v15, v14 quad_perm:[2,3,0,1] row_mask:0xf bank_mask:0xf
	v_add_f32_e32 v14, v14, v15
	s_nop 1
	v_mov_b32_dpp v15, v14 row_half_mirror row_mask:0xf bank_mask:0xf
	v_add_f32_e32 v14, v14, v15
	s_nop 1
	v_mov_b32_dpp v15, v14 row_mirror row_mask:0xf bank_mask:0xf
	v_add_f32_e32 v14, v14, v15
	s_nop 1
	v_mov_b32_dpp v15, v14 row_bcast:15 row_mask:0xf bank_mask:0xf
	v_add_f32_e32 v14, v14, v15
	s_nop 1
	v_mov_b32_dpp v15, v14 row_bcast:31 row_mask:0xf bank_mask:0xf
	s_and_saveexec_b64 s[14:15], s[2:3]
	s_cbranch_execz .LBB460_13
; %bb.12:
	v_add_f32_e32 v14, v14, v15
	v_lshrrev_b32_e32 v15, 4, v0
	v_and_b32_e32 v15, 60, v15
	ds_write_b32 v15, v14 offset:16
.LBB460_13:
	s_or_b64 exec, exec, s[14:15]
	v_and_b32_e32 v14, 3, v0
	v_lshlrev_b32_e32 v14, 2, v14
	s_waitcnt lgkmcnt(0)
	s_barrier
	ds_read_b32 v15, v14 offset:16
	s_load_dwordx2 s[14:15], s[4:5], 0x18
	s_waitcnt lgkmcnt(0)
	v_mov_b32_dpp v16, v15 quad_perm:[1,0,3,2] row_mask:0xf bank_mask:0xf
	v_add_f32_e32 v15, v15, v16
	s_nop 1
	v_mov_b32_dpp v16, v15 quad_perm:[2,3,0,1] row_mask:0xf bank_mask:0xf
	s_and_saveexec_b64 s[26:27], s[0:1]
	s_cbranch_execnz .LBB460_18
; %bb.14:
	s_or_b64 exec, exec, s[26:27]
	s_mov_b64 s[8:9], -1
	s_and_b64 vcc, exec, s[22:23]
	s_cbranch_vccnz .LBB460_19
.LBB460_15:
	s_andn2_b64 vcc, exec, s[8:9]
	s_cbranch_vccz .LBB460_22
.LBB460_16:
	s_cmp_lt_i32 s16, 1
	s_cbranch_scc0 .LBB460_25
.LBB460_17:
	s_endpgm
.LBB460_18:
	v_cvt_f32_u32_e32 v17, s7
	v_add_f32_e32 v15, v15, v16
	v_mov_b32_e32 v19, s13
	v_mov_b32_e32 v20, s12
	v_div_scale_f32 v16, s[28:29], v17, v17, v15
	v_rcp_f32_e32 v18, v16
	v_cndmask_b32_e64 v19, v19, v20, s[8:9]
	s_mov_b32 s7, 0x800000
	v_fma_f32 v20, -v16, v18, 1.0
	v_fmac_f32_e32 v18, v20, v18
	v_div_scale_f32 v20, vcc, v15, v17, v15
	v_mul_f32_e32 v21, v20, v18
	v_fma_f32 v22, -v16, v21, v20
	v_fmac_f32_e32 v21, v22, v18
	v_fma_f32 v16, -v16, v21, v20
	v_div_fmas_f32 v16, v16, v18, v21
	v_div_fixup_f32 v15, v16, v17, v15
	v_add_f32_e32 v15, v19, v15
	v_mul_f32_e32 v16, 0x4b800000, v15
	v_cmp_gt_f32_e32 vcc, s7, v15
	v_cndmask_b32_e32 v15, v15, v16, vcc
	v_rsq_f32_e32 v15, v15
	s_waitcnt vmcnt(0)
	v_cvt_f32_u32_sdwa v19, v10 dst_sel:DWORD dst_unused:UNUSED_PAD src0_sel:WORD_1
	v_cvt_f32_u32_sdwa v18, v10 dst_sel:DWORD dst_unused:UNUSED_PAD src0_sel:WORD_0
	v_cvt_f32_u32_sdwa v21, v11 dst_sel:DWORD dst_unused:UNUSED_PAD src0_sel:WORD_1
	v_mul_f32_e32 v16, 0x45800000, v15
	v_cndmask_b32_e32 v16, v15, v16, vcc
	v_mov_b32_e32 v17, v16
	v_cvt_f32_u32_sdwa v20, v11 dst_sel:DWORD dst_unused:UNUSED_PAD src0_sel:WORD_0
	;;#ASMSTART
	v_pk_mul_f32 v[2:3], v[2:3], v[16:17]
	;;#ASMEND
	;;#ASMSTART
	v_pk_mul_f32 v[4:5], v[4:5], v[16:17]
	;;#ASMEND
	;; [unrolled: 3-line block ×4, first 2 shown]
	v_cvt_f32_u32_sdwa v17, v12 dst_sel:DWORD dst_unused:UNUSED_PAD src0_sel:WORD_1
	v_cvt_f32_u32_sdwa v16, v12 dst_sel:DWORD dst_unused:UNUSED_PAD src0_sel:WORD_0
	v_pk_add_f32 v[10:11], v[18:19], 1.0 op_sel_hi:[1,0]
	v_cvt_f32_u32_sdwa v19, v13 dst_sel:DWORD dst_unused:UNUSED_PAD src0_sel:WORD_1
	v_cvt_f32_u32_sdwa v18, v13 dst_sel:DWORD dst_unused:UNUSED_PAD src0_sel:WORD_0
	;;#ASMSTART
	v_pk_mul_f32 v[2:3], v[2:3], v[10:11]
	;;#ASMEND
	v_pk_add_f32 v[10:11], v[20:21], 1.0 op_sel_hi:[1,0]
	;;#ASMSTART
	v_pk_mul_f32 v[4:5], v[4:5], v[10:11]
	;;#ASMEND
	v_pk_add_f32 v[10:11], v[16:17], 1.0 op_sel_hi:[1,0]
	;;#ASMSTART
	v_pk_mul_f32 v[6:7], v[6:7], v[10:11]
	;;#ASMEND
	v_pk_add_f32 v[10:11], v[18:19], 1.0 op_sel_hi:[1,0]
	;;#ASMSTART
	v_pk_mul_f32 v[8:9], v[8:9], v[10:11]
	;;#ASMEND
	s_or_b64 exec, exec, s[26:27]
	s_mov_b64 s[8:9], -1
	s_and_b64 vcc, exec, s[22:23]
	s_cbranch_vccz .LBB460_15
.LBB460_19:
	s_and_saveexec_b64 s[8:9], s[0:1]
	s_cbranch_execz .LBB460_21
; %bb.20:
	s_mul_hi_i32 s23, s25, s6
	s_mul_i32 s22, s25, s6
	s_lshl_b64 s[22:23], s[22:23], 1
	s_add_u32 s28, s14, s22
	s_addc_u32 s7, s15, s23
	s_and_b32 s29, s7, 0xffff
	s_mov_b32 s7, 0x7060302
	s_mov_b32 s31, 0x20000
	s_waitcnt vmcnt(0)
	v_perm_b32 v10, v3, v2, s7
	v_perm_b32 v11, v5, v4, s7
	;; [unrolled: 1-line block ×4, first 2 shown]
	v_lshlrev_b32_e32 v15, 4, v0
	buffer_store_dwordx4 v[10:13], v15, s[28:31], 0 offen
	;;#ASMSTART
	s_nop 0
	;;#ASMEND
.LBB460_21:
	s_or_b64 exec, exec, s[8:9]
	s_cbranch_execnz .LBB460_16
.LBB460_22:
	s_and_saveexec_b64 s[8:9], s[0:1]
	s_cbranch_execz .LBB460_24
; %bb.23:
	s_load_dwordx2 s[0:1], s[4:5], 0x10
	s_mul_hi_i32 s23, s24, s6
	s_mul_i32 s22, s24, s6
	s_lshl_b64 s[22:23], s[22:23], 1
	s_mov_b32 s31, 0x20000
	s_waitcnt lgkmcnt(0)
	s_add_u32 s28, s0, s22
	s_addc_u32 s0, s1, s23
	s_and_b32 s29, s0, 0xffff
	s_mov_b32 s0, 0x7060302
	v_perm_b32 v2, v3, v2, s0
	v_perm_b32 v3, v5, v4, s0
	;; [unrolled: 1-line block ×4, first 2 shown]
	v_lshlrev_b32_e32 v6, 4, v0
	buffer_store_dwordx4 v[2:5], v6, s[28:31], 0 offen
	;;#ASMSTART
	s_nop 0
	;;#ASMEND
.LBB460_24:
	s_or_b64 exec, exec, s[8:9]
	s_cmp_lt_i32 s16, 1
	s_cbranch_scc1 .LBB460_17
.LBB460_25:
	s_load_dword s0, s[4:5], 0x94
	s_waitcnt lgkmcnt(0)
	s_cmp_lg_u32 s0, 1
	s_cbranch_scc1 .LBB460_17
; %bb.26:
	s_lshl_b32 s0, s16, 1
	s_add_i32 s0, s0, 2
	v_cmp_gt_u32_e32 vcc, s16, v1
	s_and_b32 s22, s0, -4
	v_mov_b32_e32 v6, 0
	v_lshlrev_b32_e32 v1, 4, v0
	v_mov_b32_e32 v7, 0
	v_mov_b32_e32 v8, 0
	;; [unrolled: 1-line block ×7, first 2 shown]
	s_barrier
	s_and_saveexec_b64 s[0:1], vcc
	s_cbranch_execz .LBB460_28
; %bb.27:
	s_mul_hi_i32 s5, s18, s6
	s_mul_i32 s4, s18, s6
	s_and_b32 s21, s21, 0xffff
	s_lshl_b64 s[4:5], s[4:5], 1
	s_add_u32 s8, s10, s4
	s_mov_b32 s23, 0x20000
	s_addc_u32 s4, s11, s5
	s_and_b32 s9, s4, 0xffff
	s_mov_b32 s10, s22
	s_mov_b32 s11, s23
	buffer_load_dwordx4 v[6:9], v1, s[8:11], 0 offen glc slc
	buffer_load_dwordx4 v[2:5], v1, s[20:23], 0 offen
.LBB460_28:
	s_or_b64 exec, exec, s[0:1]
	s_waitcnt vmcnt(0)
	v_cvt_f32_u32_sdwa v13, v6 dst_sel:DWORD dst_unused:UNUSED_PAD src0_sel:WORD_1
	v_cvt_f32_u32_sdwa v12, v6 dst_sel:DWORD dst_unused:UNUSED_PAD src0_sel:WORD_0
	v_cvt_f32_u32_sdwa v6, v9 dst_sel:DWORD dst_unused:UNUSED_PAD src0_sel:WORD_1
	v_cvt_f32_u32_sdwa v9, v9 dst_sel:DWORD dst_unused:UNUSED_PAD src0_sel:WORD_0
	;; [unrolled: 2-line block ×4, first 2 shown]
	v_cndmask_b32_e32 v13, 0, v13, vcc
	v_cndmask_b32_e32 v7, 0, v6, vcc
	v_cndmask_b32_e32 v6, 0, v9, vcc
	v_cndmask_b32_e32 v9, 0, v15, vcc
	v_cndmask_b32_e32 v12, 0, v12, vcc
	v_mul_f32_e32 v15, v13, v13
	v_cndmask_b32_e32 v10, 0, v10, vcc
	v_fmac_f32_e32 v15, v12, v12
	v_cndmask_b32_e32 v11, 0, v11, vcc
	v_fmac_f32_e32 v15, v10, v10
	;; [unrolled: 2-line block ×3, first 2 shown]
	v_fmac_f32_e32 v15, v8, v8
	v_fmac_f32_e32 v15, v9, v9
	;; [unrolled: 1-line block ×4, first 2 shown]
	s_nop 1
	v_mov_b32_dpp v16, v15 quad_perm:[1,0,3,2] row_mask:0xf bank_mask:0xf
	v_add_f32_e32 v15, v15, v16
	s_nop 1
	v_mov_b32_dpp v16, v15 quad_perm:[2,3,0,1] row_mask:0xf bank_mask:0xf
	v_add_f32_e32 v15, v15, v16
	s_nop 1
	v_mov_b32_dpp v16, v15 row_half_mirror row_mask:0xf bank_mask:0xf
	v_add_f32_e32 v15, v15, v16
	s_nop 1
	v_mov_b32_dpp v16, v15 row_mirror row_mask:0xf bank_mask:0xf
	v_add_f32_e32 v15, v15, v16
	s_nop 1
	v_mov_b32_dpp v16, v15 row_bcast:15 row_mask:0xf bank_mask:0xf
	v_add_f32_e32 v15, v15, v16
	s_nop 1
	v_mov_b32_dpp v16, v15 row_bcast:31 row_mask:0xf bank_mask:0xf
	s_and_saveexec_b64 s[0:1], s[2:3]
	s_cbranch_execz .LBB460_30
; %bb.29:
	v_lshrrev_b32_e32 v0, 4, v0
	v_add_f32_e32 v15, v15, v16
	v_and_b32_e32 v0, 60, v0
	ds_write_b32 v0, v15
.LBB460_30:
	s_or_b64 exec, exec, s[0:1]
	s_waitcnt lgkmcnt(0)
	s_barrier
	ds_read_b32 v0, v14
	s_waitcnt lgkmcnt(0)
	s_nop 0
	v_mov_b32_dpp v14, v0 quad_perm:[1,0,3,2] row_mask:0xf bank_mask:0xf
	v_add_f32_e32 v0, v0, v14
	s_nop 1
	v_mov_b32_dpp v14, v0 quad_perm:[2,3,0,1] row_mask:0xf bank_mask:0xf
	s_and_saveexec_b64 s[0:1], vcc
	s_cbranch_execz .LBB460_17
; %bb.31:
	v_cvt_f32_u32_e32 v15, s16
	v_add_f32_e32 v0, v0, v14
	s_mov_b32 s23, 0x20000
	v_div_scale_f32 v14, s[0:1], v15, v15, v0
	v_rcp_f32_e32 v16, v14
	v_div_scale_f32 v17, vcc, v0, v15, v0
	s_mov_b32 s0, 0x800000
	v_fma_f32 v18, -v14, v16, 1.0
	v_fmac_f32_e32 v16, v18, v16
	v_mul_f32_e32 v18, v17, v16
	v_fma_f32 v19, -v14, v18, v17
	v_fmac_f32_e32 v18, v19, v16
	v_fma_f32 v14, -v14, v18, v17
	v_div_fmas_f32 v14, v14, v16, v18
	v_div_fixup_f32 v0, v14, v15, v0
	v_add_f32_e32 v0, s13, v0
	v_mul_f32_e32 v14, 0x4b800000, v0
	v_cmp_gt_f32_e32 vcc, s0, v0
	v_cndmask_b32_e32 v0, v0, v14, vcc
	v_rsq_f32_e32 v0, v0
	v_cvt_f32_u32_sdwa v17, v2 dst_sel:DWORD dst_unused:UNUSED_PAD src0_sel:WORD_1
	v_cvt_f32_u32_sdwa v16, v2 dst_sel:DWORD dst_unused:UNUSED_PAD src0_sel:WORD_0
	v_cvt_f32_u32_sdwa v19, v3 dst_sel:DWORD dst_unused:UNUSED_PAD src0_sel:WORD_1
	v_mul_f32_e32 v14, 0x45800000, v0
	v_cndmask_b32_e32 v14, v0, v14, vcc
	v_mov_b32_e32 v15, v14
	;;#ASMSTART
	v_pk_mul_f32 v[12:13], v[12:13], v[14:15]
	;;#ASMEND
	;;#ASMSTART
	v_pk_mul_f32 v[10:11], v[10:11], v[14:15]
	;;#ASMEND
	;; [unrolled: 3-line block ×3, first 2 shown]
	v_cvt_f32_u32_sdwa v18, v3 dst_sel:DWORD dst_unused:UNUSED_PAD src0_sel:WORD_0
	;;#ASMSTART
	v_pk_mul_f32 v[2:3], v[6:7], v[14:15]
	;;#ASMEND
	v_cvt_f32_u32_sdwa v15, v4 dst_sel:DWORD dst_unused:UNUSED_PAD src0_sel:WORD_1
	v_cvt_f32_u32_sdwa v14, v4 dst_sel:DWORD dst_unused:UNUSED_PAD src0_sel:WORD_0
	v_pk_add_f32 v[6:7], v[16:17], 1.0 op_sel_hi:[1,0]
	v_cvt_f32_u32_sdwa v17, v5 dst_sel:DWORD dst_unused:UNUSED_PAD src0_sel:WORD_1
	v_cvt_f32_u32_sdwa v16, v5 dst_sel:DWORD dst_unused:UNUSED_PAD src0_sel:WORD_0
	s_mul_hi_i32 s1, s25, s6
	s_mul_i32 s0, s25, s6
	s_lshl_b64 s[0:1], s[0:1], 1
	s_add_u32 s20, s14, s0
	;;#ASMSTART
	v_pk_mul_f32 v[6:7], v[12:13], v[6:7]
	;;#ASMEND
	v_pk_add_f32 v[12:13], v[18:19], 1.0 op_sel_hi:[1,0]
	;;#ASMSTART
	v_pk_mul_f32 v[4:5], v[10:11], v[12:13]
	;;#ASMEND
	v_pk_add_f32 v[10:11], v[14:15], 1.0 op_sel_hi:[1,0]
	s_addc_u32 s0, s15, s1
	;;#ASMSTART
	v_pk_mul_f32 v[8:9], v[8:9], v[10:11]
	;;#ASMEND
	v_pk_add_f32 v[10:11], v[16:17], 1.0 op_sel_hi:[1,0]
	s_and_b32 s21, s0, 0xffff
	s_mov_b32 s0, 0x7060302
	;;#ASMSTART
	v_pk_mul_f32 v[10:11], v[2:3], v[10:11]
	;;#ASMEND
	v_perm_b32 v2, v7, v6, s0
	v_perm_b32 v3, v5, v4, s0
	;; [unrolled: 1-line block ×4, first 2 shown]
	buffer_store_dwordx4 v[2:5], v1, s[20:23], 0 offen
	;;#ASMSTART
	s_nop 0
	;;#ASMEND
	s_endpgm
	.section	.rodata,"a",@progbits
	.p2align	6, 0x0
	.amdhsa_kernel _ZN5aiter35fused_qk_rmsnorm_group_quant_kernelItN4opus5fp4_tELi256ELi8ELi16ELb1ELb1ELb1ELb1ELb0ELb0EEEvPT0_PvPT_S7_S7_PKS6_S9_S9_S9_S9_ffiiiiiiiiiiiii
		.amdhsa_group_segment_fixed_size 32
		.amdhsa_private_segment_fixed_size 0
		.amdhsa_kernarg_size 400
		.amdhsa_user_sgpr_count 6
		.amdhsa_user_sgpr_private_segment_buffer 1
		.amdhsa_user_sgpr_dispatch_ptr 0
		.amdhsa_user_sgpr_queue_ptr 0
		.amdhsa_user_sgpr_kernarg_segment_ptr 1
		.amdhsa_user_sgpr_dispatch_id 0
		.amdhsa_user_sgpr_flat_scratch_init 0
		.amdhsa_user_sgpr_kernarg_preload_length 0
		.amdhsa_user_sgpr_kernarg_preload_offset 0
		.amdhsa_user_sgpr_private_segment_size 0
		.amdhsa_uses_dynamic_stack 0
		.amdhsa_system_sgpr_private_segment_wavefront_offset 0
		.amdhsa_system_sgpr_workgroup_id_x 1
		.amdhsa_system_sgpr_workgroup_id_y 1
		.amdhsa_system_sgpr_workgroup_id_z 0
		.amdhsa_system_sgpr_workgroup_info 0
		.amdhsa_system_vgpr_workitem_id 0
		.amdhsa_next_free_vgpr 27
		.amdhsa_next_free_sgpr 44
		.amdhsa_accum_offset 28
		.amdhsa_reserve_vcc 1
		.amdhsa_reserve_flat_scratch 0
		.amdhsa_float_round_mode_32 0
		.amdhsa_float_round_mode_16_64 0
		.amdhsa_float_denorm_mode_32 3
		.amdhsa_float_denorm_mode_16_64 3
		.amdhsa_dx10_clamp 1
		.amdhsa_ieee_mode 1
		.amdhsa_fp16_overflow 0
		.amdhsa_tg_split 0
		.amdhsa_exception_fp_ieee_invalid_op 0
		.amdhsa_exception_fp_denorm_src 0
		.amdhsa_exception_fp_ieee_div_zero 0
		.amdhsa_exception_fp_ieee_overflow 0
		.amdhsa_exception_fp_ieee_underflow 0
		.amdhsa_exception_fp_ieee_inexact 0
		.amdhsa_exception_int_div_zero 0
	.end_amdhsa_kernel
	.section	.text._ZN5aiter35fused_qk_rmsnorm_group_quant_kernelItN4opus5fp4_tELi256ELi8ELi16ELb1ELb1ELb1ELb1ELb0ELb0EEEvPT0_PvPT_S7_S7_PKS6_S9_S9_S9_S9_ffiiiiiiiiiiiii,"axG",@progbits,_ZN5aiter35fused_qk_rmsnorm_group_quant_kernelItN4opus5fp4_tELi256ELi8ELi16ELb1ELb1ELb1ELb1ELb0ELb0EEEvPT0_PvPT_S7_S7_PKS6_S9_S9_S9_S9_ffiiiiiiiiiiiii,comdat
.Lfunc_end460:
	.size	_ZN5aiter35fused_qk_rmsnorm_group_quant_kernelItN4opus5fp4_tELi256ELi8ELi16ELb1ELb1ELb1ELb1ELb0ELb0EEEvPT0_PvPT_S7_S7_PKS6_S9_S9_S9_S9_ffiiiiiiiiiiiii, .Lfunc_end460-_ZN5aiter35fused_qk_rmsnorm_group_quant_kernelItN4opus5fp4_tELi256ELi8ELi16ELb1ELb1ELb1ELb1ELb0ELb0EEEvPT0_PvPT_S7_S7_PKS6_S9_S9_S9_S9_ffiiiiiiiiiiiii
                                        ; -- End function
	.section	.AMDGPU.csdata,"",@progbits
; Kernel info:
; codeLenInByte = 2516
; NumSgprs: 48
; NumVgprs: 27
; NumAgprs: 0
; TotalNumVgprs: 27
; ScratchSize: 0
; MemoryBound: 0
; FloatMode: 240
; IeeeMode: 1
; LDSByteSize: 32 bytes/workgroup (compile time only)
; SGPRBlocks: 5
; VGPRBlocks: 3
; NumSGPRsForWavesPerEU: 48
; NumVGPRsForWavesPerEU: 27
; AccumOffset: 28
; Occupancy: 8
; WaveLimiterHint : 0
; COMPUTE_PGM_RSRC2:SCRATCH_EN: 0
; COMPUTE_PGM_RSRC2:USER_SGPR: 6
; COMPUTE_PGM_RSRC2:TRAP_HANDLER: 0
; COMPUTE_PGM_RSRC2:TGID_X_EN: 1
; COMPUTE_PGM_RSRC2:TGID_Y_EN: 1
; COMPUTE_PGM_RSRC2:TGID_Z_EN: 0
; COMPUTE_PGM_RSRC2:TIDIG_COMP_CNT: 0
; COMPUTE_PGM_RSRC3_GFX90A:ACCUM_OFFSET: 6
; COMPUTE_PGM_RSRC3_GFX90A:TG_SPLIT: 0
	.section	.text._ZN5aiter35fused_qk_rmsnorm_group_quant_kernelIDF16_DB8_Li256ELi8ELi16ELb1ELb1ELb0ELb1ELb0ELb0EEEvPT0_PvPT_S6_S6_PKS5_S8_S8_S8_S8_ffiiiiiiiiiiiii,"axG",@progbits,_ZN5aiter35fused_qk_rmsnorm_group_quant_kernelIDF16_DB8_Li256ELi8ELi16ELb1ELb1ELb0ELb1ELb0ELb0EEEvPT0_PvPT_S6_S6_PKS5_S8_S8_S8_S8_ffiiiiiiiiiiiii,comdat
	.protected	_ZN5aiter35fused_qk_rmsnorm_group_quant_kernelIDF16_DB8_Li256ELi8ELi16ELb1ELb1ELb0ELb1ELb0ELb0EEEvPT0_PvPT_S6_S6_PKS5_S8_S8_S8_S8_ffiiiiiiiiiiiii ; -- Begin function _ZN5aiter35fused_qk_rmsnorm_group_quant_kernelIDF16_DB8_Li256ELi8ELi16ELb1ELb1ELb0ELb1ELb0ELb0EEEvPT0_PvPT_S6_S6_PKS5_S8_S8_S8_S8_ffiiiiiiiiiiiii
	.globl	_ZN5aiter35fused_qk_rmsnorm_group_quant_kernelIDF16_DB8_Li256ELi8ELi16ELb1ELb1ELb0ELb1ELb0ELb0EEEvPT0_PvPT_S6_S6_PKS5_S8_S8_S8_S8_ffiiiiiiiiiiiii
	.p2align	8
	.type	_ZN5aiter35fused_qk_rmsnorm_group_quant_kernelIDF16_DB8_Li256ELi8ELi16ELb1ELb1ELb0ELb1ELb0ELb0EEEvPT0_PvPT_S6_S6_PKS5_S8_S8_S8_S8_ffiiiiiiiiiiiii,@function
_ZN5aiter35fused_qk_rmsnorm_group_quant_kernelIDF16_DB8_Li256ELi8ELi16ELb1ELb1ELb0ELb1ELb0ELb0EEEvPT0_PvPT_S6_S6_PKS5_S8_S8_S8_S8_ffiiiiiiiiiiiii: ; @_ZN5aiter35fused_qk_rmsnorm_group_quant_kernelIDF16_DB8_Li256ELi8ELi16ELb1ELb1ELb0ELb1ELb0ELb0EEEvPT0_PvPT_S6_S6_PKS5_S8_S8_S8_S8_ffiiiiiiiiiiiii
; %bb.0:
	s_load_dwordx8 s[12:19], s[4:5], 0x50
	s_waitcnt lgkmcnt(0)
	s_cmp_ge_i32 s6, s14
	s_cbranch_scc1 .LBB461_17
; %bb.1:
	s_cmp_lg_u32 s7, 0
	s_cselect_b64 s[22:23], -1, 0
	s_cmp_eq_u32 s7, 0
	s_cselect_b64 s[2:3], -1, 0
	s_and_b64 s[0:1], s[2:3], exec
	s_cselect_b32 s7, s15, s16
	s_load_dwordx2 s[10:11], s[4:5], 0x30
	s_load_dwordx2 s[20:21], s[4:5], 0x48
	s_add_i32 s0, s7, 1
	s_lshr_b32 s1, s0, 31
	s_add_i32 s0, s0, s1
	s_lshl_b32 s0, s0, 1
	v_lshlrev_b32_e32 v1, 3, v0
	s_and_b32 s30, s0, -4
	v_cmp_gt_i32_e64 s[0:1], s7, v1
	v_mov_b32_e32 v2, 0
	v_mov_b32_e32 v3, 0
	;; [unrolled: 1-line block ×8, first 2 shown]
	s_and_saveexec_b64 s[8:9], s[0:1]
	s_cbranch_execz .LBB461_3
; %bb.2:
	s_load_dwordx2 s[14:15], s[4:5], 0x28
	s_load_dwordx2 s[26:27], s[4:5], 0x40
	s_and_b64 s[24:25], s[2:3], exec
	s_cselect_b32 s17, s17, s18
	s_mov_b32 s31, 0x20000
	s_waitcnt lgkmcnt(0)
	s_cselect_b32 s25, s15, s11
	s_cselect_b32 s24, s14, s10
	s_mul_hi_i32 s15, s17, s6
	s_mul_i32 s14, s17, s6
	s_lshl_b64 s[14:15], s[14:15], 1
	s_add_u32 s24, s24, s14
	s_addc_u32 s17, s25, s15
	s_and_b64 s[14:15], s[2:3], exec
	s_cselect_b32 s28, s26, s20
	s_cselect_b32 s14, s27, s21
	v_lshlrev_b32_e32 v10, 4, v0
	s_and_b32 s25, s17, 0xffff
	s_mov_b32 s26, s30
	s_mov_b32 s27, s31
	s_and_b32 s29, s14, 0xffff
	buffer_load_dwordx4 v[6:9], v10, s[24:27], 0 offen glc slc
	buffer_load_dwordx4 v[2:5], v10, s[28:31], 0 offen
.LBB461_3:
	s_or_b64 exec, exec, s[8:9]
	s_load_dwordx4 s[24:27], s[4:5], 0x7c
	s_and_b64 vcc, exec, s[22:23]
	s_cbranch_vccz .LBB461_7
; %bb.4:
	v_mov_b32_e32 v11, 0
	v_mov_b32_e32 v10, 0
	;; [unrolled: 1-line block ×8, first 2 shown]
	s_and_saveexec_b64 s[8:9], s[0:1]
	s_cbranch_execz .LBB461_6
; %bb.5:
	s_waitcnt vmcnt(1)
	v_cvt_f32_f16_sdwa v17, v6 dst_sel:DWORD dst_unused:UNUSED_PAD src0_sel:WORD_1
	v_cvt_f32_f16_e32 v16, v6
	v_cvt_f32_f16_sdwa v15, v7 dst_sel:DWORD dst_unused:UNUSED_PAD src0_sel:WORD_1
	v_cvt_f32_f16_e32 v14, v7
	;; [unrolled: 2-line block ×4, first 2 shown]
.LBB461_6:
	s_or_b64 exec, exec, s[8:9]
	s_cbranch_execz .LBB461_8
	s_branch .LBB461_11
.LBB461_7:
                                        ; implicit-def: $vgpr11
                                        ; implicit-def: $vgpr13
                                        ; implicit-def: $vgpr15
                                        ; implicit-def: $vgpr17
.LBB461_8:
	v_mov_b32_e32 v11, 0
	v_mov_b32_e32 v10, 0
	;; [unrolled: 1-line block ×8, first 2 shown]
	s_and_saveexec_b64 s[8:9], s[0:1]
	s_cbranch_execz .LBB461_10
; %bb.9:
	s_load_dwordx2 s[14:15], s[4:5], 0x38
	s_mul_hi_i32 s29, s19, s6
	s_mul_i32 s28, s19, s6
	s_lshl_b64 s[28:29], s[28:29], 1
	s_mov_b32 s31, 0x20000
	s_waitcnt lgkmcnt(0)
	s_add_u32 s28, s14, s28
	s_addc_u32 s14, s15, s29
	s_and_b32 s29, s14, 0xffff
	v_lshlrev_b32_e32 v26, 4, v0
	buffer_load_dwordx4 v[10:13], v26, s[28:31], 0 offen glc slc
	s_waitcnt vmcnt(2)
	v_cvt_f32_f16_sdwa v15, v6 dst_sel:DWORD dst_unused:UNUSED_PAD src0_sel:WORD_1
	v_cvt_f32_f16_e32 v14, v6
	v_cvt_f32_f16_sdwa v19, v7 dst_sel:DWORD dst_unused:UNUSED_PAD src0_sel:WORD_1
	v_cvt_f32_f16_e32 v18, v7
	;; [unrolled: 2-line block ×4, first 2 shown]
	s_load_dwordx2 s[14:15], s[4:5], 0x20
	s_mul_hi_i32 s27, s26, s6
	s_mul_i32 s26, s26, s6
	s_lshl_b64 s[26:27], s[26:27], 1
	s_waitcnt lgkmcnt(0)
	s_add_u32 s28, s14, s26
	s_addc_u32 s14, s15, s27
	s_and_b32 s29, s14, 0xffff
	s_waitcnt vmcnt(0)
	v_cvt_f32_f16_e32 v8, v10
	v_cvt_f32_f16_sdwa v9, v10 dst_sel:DWORD dst_unused:UNUSED_PAD src0_sel:WORD_1
	v_cvt_f32_f16_e32 v10, v11
	v_cvt_f32_f16_sdwa v11, v11 dst_sel:DWORD dst_unused:UNUSED_PAD src0_sel:WORD_1
	;; [unrolled: 2-line block ×4, first 2 shown]
	v_pk_add_f32 v[16:17], v[14:15], v[8:9]
	v_pk_add_f32 v[14:15], v[18:19], v[10:11]
	;; [unrolled: 1-line block ×4, first 2 shown]
	v_cvt_f16_f32_e32 v6, v17
	v_cvt_f16_f32_e32 v7, v15
	;; [unrolled: 1-line block ×8, first 2 shown]
	v_pack_b32_f16 v9, v18, v9
	v_pack_b32_f16 v8, v19, v8
	;; [unrolled: 1-line block ×4, first 2 shown]
	buffer_store_dwordx4 v[6:9], v26, s[28:31], 0 offen glc slc
	;;#ASMSTART
	s_nop 0
	;;#ASMEND
.LBB461_10:
	s_or_b64 exec, exec, s[8:9]
.LBB461_11:
	s_waitcnt vmcnt(1)
	v_mul_f32_e32 v6, v17, v17
	v_fmac_f32_e32 v6, v16, v16
	v_fmac_f32_e32 v6, v14, v14
	;; [unrolled: 1-line block ×7, first 2 shown]
	v_and_b32_e32 v8, 63, v0
	v_cmp_eq_u32_e64 s[8:9], 63, v8
	v_mov_b32_dpp v7, v6 quad_perm:[1,0,3,2] row_mask:0xf bank_mask:0xf
	v_add_f32_e32 v6, v6, v7
	s_nop 1
	v_mov_b32_dpp v7, v6 quad_perm:[2,3,0,1] row_mask:0xf bank_mask:0xf
	v_add_f32_e32 v6, v6, v7
	s_nop 1
	v_mov_b32_dpp v7, v6 row_half_mirror row_mask:0xf bank_mask:0xf
	v_add_f32_e32 v6, v6, v7
	s_nop 1
	v_mov_b32_dpp v7, v6 row_mirror row_mask:0xf bank_mask:0xf
	v_add_f32_e32 v6, v6, v7
	s_nop 1
	v_mov_b32_dpp v7, v6 row_bcast:15 row_mask:0xf bank_mask:0xf
	v_add_f32_e32 v6, v6, v7
	s_nop 1
	v_mov_b32_dpp v7, v6 row_bcast:31 row_mask:0xf bank_mask:0xf
	s_and_saveexec_b64 s[14:15], s[8:9]
	s_cbranch_execz .LBB461_13
; %bb.12:
	v_add_f32_e32 v6, v6, v7
	v_lshrrev_b32_e32 v7, 4, v0
	v_and_b32_e32 v7, 60, v7
	ds_write_b32 v7, v6 offset:16
.LBB461_13:
	s_or_b64 exec, exec, s[14:15]
	v_and_b32_e32 v6, 3, v0
	v_lshlrev_b32_e32 v18, 2, v6
	s_waitcnt lgkmcnt(0)
	s_barrier
	ds_read_b32 v6, v18 offset:16
	s_load_dwordx2 s[14:15], s[4:5], 0x18
	s_waitcnt lgkmcnt(0)
	v_mov_b32_dpp v7, v6 quad_perm:[1,0,3,2] row_mask:0xf bank_mask:0xf
	v_add_f32_e32 v6, v6, v7
	s_nop 1
	v_mov_b32_dpp v7, v6 quad_perm:[2,3,0,1] row_mask:0xf bank_mask:0xf
	s_and_saveexec_b64 s[26:27], s[0:1]
	s_cbranch_execnz .LBB461_18
; %bb.14:
	s_or_b64 exec, exec, s[26:27]
	s_mov_b64 s[2:3], -1
	s_and_b64 vcc, exec, s[22:23]
	s_cbranch_vccnz .LBB461_19
.LBB461_15:
	s_andn2_b64 vcc, exec, s[2:3]
	s_cbranch_vccz .LBB461_22
.LBB461_16:
	s_cmp_lt_i32 s16, 1
	s_cbranch_scc0 .LBB461_25
.LBB461_17:
	s_endpgm
.LBB461_18:
	v_cvt_f32_u32_e32 v8, s7
	v_add_f32_e32 v6, v6, v7
	v_mov_b32_e32 v19, s13
	v_mov_b32_e32 v20, s12
	v_div_scale_f32 v7, s[28:29], v8, v8, v6
	v_rcp_f32_e32 v9, v7
	v_cndmask_b32_e64 v19, v19, v20, s[2:3]
	s_mov_b32 s2, 0x800000
	s_waitcnt vmcnt(0)
	v_cvt_f32_f16_sdwa v23, v5 dst_sel:DWORD dst_unused:UNUSED_PAD src0_sel:WORD_1
	v_fma_f32 v20, -v7, v9, 1.0
	v_fmac_f32_e32 v9, v20, v9
	v_div_scale_f32 v20, vcc, v6, v8, v6
	v_mul_f32_e32 v21, v20, v9
	v_fma_f32 v22, -v7, v21, v20
	v_fmac_f32_e32 v21, v22, v9
	v_fma_f32 v7, -v7, v21, v20
	v_div_fmas_f32 v7, v7, v9, v21
	v_div_fixup_f32 v6, v7, v8, v6
	v_add_f32_e32 v6, v19, v6
	v_mul_f32_e32 v7, 0x4b800000, v6
	v_cmp_gt_f32_e32 vcc, s2, v6
	v_cndmask_b32_e32 v6, v6, v7, vcc
	v_rsq_f32_e32 v6, v6
	v_cvt_f32_f16_sdwa v21, v3 dst_sel:DWORD dst_unused:UNUSED_PAD src0_sel:WORD_1
	v_cvt_f32_f16_e32 v20, v3
	v_cvt_f32_f16_sdwa v3, v4 dst_sel:DWORD dst_unused:UNUSED_PAD src0_sel:WORD_1
	v_mul_f32_e32 v7, 0x45800000, v6
	v_cndmask_b32_e32 v6, v6, v7, vcc
	v_mov_b32_e32 v7, v6
	;;#ASMSTART
	v_pk_mul_f32 v[8:9], v[16:17], v[6:7]
	;;#ASMEND
	;;#ASMSTART
	v_pk_mul_f32 v[14:15], v[14:15], v[6:7]
	;;#ASMEND
	;; [unrolled: 3-line block ×4, first 2 shown]
	v_cvt_f32_f16_sdwa v11, v2 dst_sel:DWORD dst_unused:UNUSED_PAD src0_sel:WORD_1
	v_cvt_f32_f16_e32 v10, v2
	v_cvt_f32_f16_e32 v2, v4
	;; [unrolled: 1-line block ×3, first 2 shown]
	;;#ASMSTART
	v_pk_mul_f32 v[16:17], v[8:9], v[10:11]
	;;#ASMEND
	;;#ASMSTART
	v_pk_mul_f32 v[14:15], v[14:15], v[20:21]
	;;#ASMEND
	;; [unrolled: 3-line block ×4, first 2 shown]
	s_or_b64 exec, exec, s[26:27]
	s_mov_b64 s[2:3], -1
	s_and_b64 vcc, exec, s[22:23]
	s_cbranch_vccz .LBB461_15
.LBB461_19:
	s_and_saveexec_b64 s[2:3], s[0:1]
	s_cbranch_execz .LBB461_21
; %bb.20:
	s_mul_hi_i32 s23, s25, s6
	s_mul_i32 s22, s25, s6
	s_waitcnt vmcnt(0)
	v_cvt_f16_f32_e32 v2, v16
	v_cvt_f16_f32_e32 v3, v14
	;; [unrolled: 1-line block ×8, first 2 shown]
	s_lshl_b64 s[22:23], s[22:23], 1
	s_add_u32 s28, s14, s22
	s_addc_u32 s7, s15, s23
	s_and_b32 s29, s7, 0xffff
	s_mov_b32 s31, 0x20000
	v_pack_b32_f16 v5, v5, v6
	v_pack_b32_f16 v4, v4, v7
	;; [unrolled: 1-line block ×4, first 2 shown]
	v_lshlrev_b32_e32 v6, 4, v0
	buffer_store_dwordx4 v[2:5], v6, s[28:31], 0 offen
	;;#ASMSTART
	s_nop 0
	;;#ASMEND
.LBB461_21:
	s_or_b64 exec, exec, s[2:3]
	s_cbranch_execnz .LBB461_16
.LBB461_22:
	s_and_saveexec_b64 s[2:3], s[0:1]
	s_cbranch_execz .LBB461_24
; %bb.23:
	s_load_dwordx2 s[0:1], s[4:5], 0x10
	s_mul_hi_i32 s23, s24, s6
	s_mul_i32 s22, s24, s6
	s_waitcnt vmcnt(0)
	v_cvt_f16_f32_e32 v2, v16
	v_cvt_f16_f32_e32 v3, v14
	;; [unrolled: 1-line block ×8, first 2 shown]
	s_lshl_b64 s[22:23], s[22:23], 1
	s_waitcnt lgkmcnt(0)
	s_add_u32 s28, s0, s22
	s_addc_u32 s0, s1, s23
	s_mov_b32 s31, 0x20000
	s_and_b32 s29, s0, 0xffff
	v_pack_b32_f16 v5, v5, v6
	v_pack_b32_f16 v4, v4, v7
	;; [unrolled: 1-line block ×4, first 2 shown]
	v_lshlrev_b32_e32 v6, 4, v0
	buffer_store_dwordx4 v[2:5], v6, s[28:31], 0 offen
	;;#ASMSTART
	s_nop 0
	;;#ASMEND
.LBB461_24:
	s_or_b64 exec, exec, s[2:3]
	s_cmp_lt_i32 s16, 1
	s_cbranch_scc1 .LBB461_17
.LBB461_25:
	s_load_dword s0, s[4:5], 0x94
	s_waitcnt lgkmcnt(0)
	s_cmp_lg_u32 s0, 1
	s_cbranch_scc1 .LBB461_17
; %bb.26:
	s_lshl_b32 s0, s16, 1
	s_add_i32 s0, s0, 2
	v_cmp_gt_u32_e32 vcc, s16, v1
	s_and_b32 s22, s0, -4
	v_mov_b32_e32 v10, 0
	v_lshlrev_b32_e32 v1, 4, v0
	v_mov_b32_e32 v6, 0
	v_mov_b32_e32 v7, 0
	;; [unrolled: 1-line block ×4, first 2 shown]
	s_waitcnt vmcnt(0)
	v_mov_b32_e32 v2, 0
	v_mov_b32_e32 v3, 0
	;; [unrolled: 1-line block ×4, first 2 shown]
	s_barrier
	s_and_saveexec_b64 s[0:1], vcc
	s_cbranch_execz .LBB461_28
; %bb.27:
	s_mul_hi_i32 s3, s18, s6
	s_mul_i32 s2, s18, s6
	s_and_b32 s21, s21, 0xffff
	s_lshl_b64 s[2:3], s[2:3], 1
	s_add_u32 s28, s10, s2
	s_mov_b32 s23, 0x20000
	s_addc_u32 s2, s11, s3
	s_and_b32 s29, s2, 0xffff
	s_mov_b32 s30, s22
	s_mov_b32 s31, s23
	buffer_load_dwordx4 v[6:9], v1, s[28:31], 0 offen glc slc
	buffer_load_dwordx4 v[2:5], v1, s[20:23], 0 offen
.LBB461_28:
	s_or_b64 exec, exec, s[0:1]
	v_mov_b32_e32 v11, 0
	v_mov_b32_e32 v16, 0
	;; [unrolled: 1-line block ×7, first 2 shown]
	s_and_saveexec_b64 s[0:1], vcc
	s_cbranch_execz .LBB461_30
; %bb.29:
	s_waitcnt vmcnt(1)
	v_cvt_f32_f16_sdwa v11, v6 dst_sel:DWORD dst_unused:UNUSED_PAD src0_sel:WORD_1
	v_cvt_f32_f16_e32 v10, v6
	v_cvt_f32_f16_sdwa v17, v7 dst_sel:DWORD dst_unused:UNUSED_PAD src0_sel:WORD_1
	v_cvt_f32_f16_e32 v16, v7
	;; [unrolled: 2-line block ×4, first 2 shown]
.LBB461_30:
	s_or_b64 exec, exec, s[0:1]
	s_waitcnt vmcnt(1)
	v_mul_f32_e32 v6, v11, v11
	v_fmac_f32_e32 v6, v10, v10
	v_fmac_f32_e32 v6, v16, v16
	;; [unrolled: 1-line block ×7, first 2 shown]
	s_nop 1
	v_mov_b32_dpp v7, v6 quad_perm:[1,0,3,2] row_mask:0xf bank_mask:0xf
	v_add_f32_e32 v6, v6, v7
	s_nop 1
	v_mov_b32_dpp v7, v6 quad_perm:[2,3,0,1] row_mask:0xf bank_mask:0xf
	v_add_f32_e32 v6, v6, v7
	s_nop 1
	v_mov_b32_dpp v7, v6 row_half_mirror row_mask:0xf bank_mask:0xf
	v_add_f32_e32 v6, v6, v7
	s_nop 1
	v_mov_b32_dpp v7, v6 row_mirror row_mask:0xf bank_mask:0xf
	v_add_f32_e32 v6, v6, v7
	s_nop 1
	v_mov_b32_dpp v7, v6 row_bcast:15 row_mask:0xf bank_mask:0xf
	v_add_f32_e32 v6, v6, v7
	s_nop 1
	v_mov_b32_dpp v7, v6 row_bcast:31 row_mask:0xf bank_mask:0xf
	s_and_saveexec_b64 s[0:1], s[8:9]
	s_cbranch_execz .LBB461_32
; %bb.31:
	v_lshrrev_b32_e32 v0, 4, v0
	v_add_f32_e32 v6, v6, v7
	v_and_b32_e32 v0, 60, v0
	ds_write_b32 v0, v6
.LBB461_32:
	s_or_b64 exec, exec, s[0:1]
	s_waitcnt lgkmcnt(0)
	s_barrier
	ds_read_b32 v0, v18
	s_waitcnt lgkmcnt(0)
	s_nop 0
	v_mov_b32_dpp v6, v0 quad_perm:[1,0,3,2] row_mask:0xf bank_mask:0xf
	v_add_f32_e32 v0, v0, v6
	s_nop 1
	v_mov_b32_dpp v6, v0 quad_perm:[2,3,0,1] row_mask:0xf bank_mask:0xf
	s_and_saveexec_b64 s[0:1], vcc
	s_cbranch_execz .LBB461_17
; %bb.33:
	v_cvt_f32_u32_e32 v7, s16
	v_add_f32_e32 v0, v0, v6
	s_mov_b32 s23, 0x20000
	v_div_scale_f32 v6, s[0:1], v7, v7, v0
	v_rcp_f32_e32 v8, v6
	v_div_scale_f32 v9, vcc, v0, v7, v0
	s_mov_b32 s0, 0x800000
	v_fma_f32 v18, -v6, v8, 1.0
	v_fmac_f32_e32 v8, v18, v8
	v_mul_f32_e32 v18, v9, v8
	v_fma_f32 v19, -v6, v18, v9
	v_fmac_f32_e32 v18, v19, v8
	v_fma_f32 v6, -v6, v18, v9
	v_div_fmas_f32 v6, v6, v8, v18
	v_div_fixup_f32 v0, v6, v7, v0
	v_add_f32_e32 v0, s13, v0
	v_mul_f32_e32 v6, 0x4b800000, v0
	v_cmp_gt_f32_e32 vcc, s0, v0
	v_cndmask_b32_e32 v0, v0, v6, vcc
	v_rsq_f32_e32 v0, v0
	s_waitcnt vmcnt(0)
	v_cvt_f32_f16_sdwa v19, v5 dst_sel:DWORD dst_unused:UNUSED_PAD src0_sel:WORD_1
	v_cvt_f32_f16_e32 v18, v5
	s_mul_hi_i32 s1, s25, s6
	v_mul_f32_e32 v6, 0x45800000, v0
	v_cndmask_b32_e32 v6, v0, v6, vcc
	v_mov_b32_e32 v7, v6
	;;#ASMSTART
	v_pk_mul_f32 v[8:9], v[10:11], v[6:7]
	;;#ASMEND
	;;#ASMSTART
	v_pk_mul_f32 v[10:11], v[16:17], v[6:7]
	;;#ASMEND
	;;#ASMSTART
	v_pk_mul_f32 v[14:15], v[14:15], v[6:7]
	;;#ASMEND
	;;#ASMSTART
	v_pk_mul_f32 v[6:7], v[12:13], v[6:7]
	;;#ASMEND
	v_cvt_f32_f16_sdwa v13, v2 dst_sel:DWORD dst_unused:UNUSED_PAD src0_sel:WORD_1
	v_cvt_f32_f16_e32 v12, v2
	v_cvt_f32_f16_sdwa v17, v3 dst_sel:DWORD dst_unused:UNUSED_PAD src0_sel:WORD_1
	v_cvt_f32_f16_e32 v16, v3
	;; [unrolled: 2-line block ×3, first 2 shown]
	;;#ASMSTART
	v_pk_mul_f32 v[4:5], v[8:9], v[12:13]
	;;#ASMEND
	;;#ASMSTART
	v_pk_mul_f32 v[8:9], v[10:11], v[16:17]
	;;#ASMEND
	;; [unrolled: 3-line block ×4, first 2 shown]
	s_mul_i32 s0, s25, s6
	v_cvt_f16_f32_e32 v0, v4
	v_cvt_f16_f32_e32 v4, v5
	;; [unrolled: 1-line block ×8, first 2 shown]
	s_lshl_b64 s[0:1], s[0:1], 1
	s_add_u32 s20, s14, s0
	s_addc_u32 s0, s15, s1
	s_and_b32 s21, s0, 0xffff
	v_pack_b32_f16 v2, v0, v4
	v_pack_b32_f16 v3, v5, v8
	;; [unrolled: 1-line block ×4, first 2 shown]
	buffer_store_dwordx4 v[2:5], v1, s[20:23], 0 offen
	;;#ASMSTART
	s_nop 0
	;;#ASMEND
	s_endpgm
	.section	.rodata,"a",@progbits
	.p2align	6, 0x0
	.amdhsa_kernel _ZN5aiter35fused_qk_rmsnorm_group_quant_kernelIDF16_DB8_Li256ELi8ELi16ELb1ELb1ELb0ELb1ELb0ELb0EEEvPT0_PvPT_S6_S6_PKS5_S8_S8_S8_S8_ffiiiiiiiiiiiii
		.amdhsa_group_segment_fixed_size 32
		.amdhsa_private_segment_fixed_size 0
		.amdhsa_kernarg_size 400
		.amdhsa_user_sgpr_count 6
		.amdhsa_user_sgpr_private_segment_buffer 1
		.amdhsa_user_sgpr_dispatch_ptr 0
		.amdhsa_user_sgpr_queue_ptr 0
		.amdhsa_user_sgpr_kernarg_segment_ptr 1
		.amdhsa_user_sgpr_dispatch_id 0
		.amdhsa_user_sgpr_flat_scratch_init 0
		.amdhsa_user_sgpr_kernarg_preload_length 0
		.amdhsa_user_sgpr_kernarg_preload_offset 0
		.amdhsa_user_sgpr_private_segment_size 0
		.amdhsa_uses_dynamic_stack 0
		.amdhsa_system_sgpr_private_segment_wavefront_offset 0
		.amdhsa_system_sgpr_workgroup_id_x 1
		.amdhsa_system_sgpr_workgroup_id_y 1
		.amdhsa_system_sgpr_workgroup_id_z 0
		.amdhsa_system_sgpr_workgroup_info 0
		.amdhsa_system_vgpr_workitem_id 0
		.amdhsa_next_free_vgpr 27
		.amdhsa_next_free_sgpr 32
		.amdhsa_accum_offset 28
		.amdhsa_reserve_vcc 1
		.amdhsa_reserve_flat_scratch 0
		.amdhsa_float_round_mode_32 0
		.amdhsa_float_round_mode_16_64 0
		.amdhsa_float_denorm_mode_32 3
		.amdhsa_float_denorm_mode_16_64 3
		.amdhsa_dx10_clamp 1
		.amdhsa_ieee_mode 1
		.amdhsa_fp16_overflow 0
		.amdhsa_tg_split 0
		.amdhsa_exception_fp_ieee_invalid_op 0
		.amdhsa_exception_fp_denorm_src 0
		.amdhsa_exception_fp_ieee_div_zero 0
		.amdhsa_exception_fp_ieee_overflow 0
		.amdhsa_exception_fp_ieee_underflow 0
		.amdhsa_exception_fp_ieee_inexact 0
		.amdhsa_exception_int_div_zero 0
	.end_amdhsa_kernel
	.section	.text._ZN5aiter35fused_qk_rmsnorm_group_quant_kernelIDF16_DB8_Li256ELi8ELi16ELb1ELb1ELb0ELb1ELb0ELb0EEEvPT0_PvPT_S6_S6_PKS5_S8_S8_S8_S8_ffiiiiiiiiiiiii,"axG",@progbits,_ZN5aiter35fused_qk_rmsnorm_group_quant_kernelIDF16_DB8_Li256ELi8ELi16ELb1ELb1ELb0ELb1ELb0ELb0EEEvPT0_PvPT_S6_S6_PKS5_S8_S8_S8_S8_ffiiiiiiiiiiiii,comdat
.Lfunc_end461:
	.size	_ZN5aiter35fused_qk_rmsnorm_group_quant_kernelIDF16_DB8_Li256ELi8ELi16ELb1ELb1ELb0ELb1ELb0ELb0EEEvPT0_PvPT_S6_S6_PKS5_S8_S8_S8_S8_ffiiiiiiiiiiiii, .Lfunc_end461-_ZN5aiter35fused_qk_rmsnorm_group_quant_kernelIDF16_DB8_Li256ELi8ELi16ELb1ELb1ELb0ELb1ELb0ELb0EEEvPT0_PvPT_S6_S6_PKS5_S8_S8_S8_S8_ffiiiiiiiiiiiii
                                        ; -- End function
	.section	.AMDGPU.csdata,"",@progbits
; Kernel info:
; codeLenInByte = 2416
; NumSgprs: 36
; NumVgprs: 27
; NumAgprs: 0
; TotalNumVgprs: 27
; ScratchSize: 0
; MemoryBound: 0
; FloatMode: 240
; IeeeMode: 1
; LDSByteSize: 32 bytes/workgroup (compile time only)
; SGPRBlocks: 4
; VGPRBlocks: 3
; NumSGPRsForWavesPerEU: 36
; NumVGPRsForWavesPerEU: 27
; AccumOffset: 28
; Occupancy: 8
; WaveLimiterHint : 0
; COMPUTE_PGM_RSRC2:SCRATCH_EN: 0
; COMPUTE_PGM_RSRC2:USER_SGPR: 6
; COMPUTE_PGM_RSRC2:TRAP_HANDLER: 0
; COMPUTE_PGM_RSRC2:TGID_X_EN: 1
; COMPUTE_PGM_RSRC2:TGID_Y_EN: 1
; COMPUTE_PGM_RSRC2:TGID_Z_EN: 0
; COMPUTE_PGM_RSRC2:TIDIG_COMP_CNT: 0
; COMPUTE_PGM_RSRC3_GFX90A:ACCUM_OFFSET: 6
; COMPUTE_PGM_RSRC3_GFX90A:TG_SPLIT: 0
	.section	.text._ZN5aiter35fused_qk_rmsnorm_group_quant_kernelItDB8_Li256ELi8ELi16ELb1ELb1ELb0ELb1ELb0ELb0EEEvPT0_PvPT_S6_S6_PKS5_S8_S8_S8_S8_ffiiiiiiiiiiiii,"axG",@progbits,_ZN5aiter35fused_qk_rmsnorm_group_quant_kernelItDB8_Li256ELi8ELi16ELb1ELb1ELb0ELb1ELb0ELb0EEEvPT0_PvPT_S6_S6_PKS5_S8_S8_S8_S8_ffiiiiiiiiiiiii,comdat
	.protected	_ZN5aiter35fused_qk_rmsnorm_group_quant_kernelItDB8_Li256ELi8ELi16ELb1ELb1ELb0ELb1ELb0ELb0EEEvPT0_PvPT_S6_S6_PKS5_S8_S8_S8_S8_ffiiiiiiiiiiiii ; -- Begin function _ZN5aiter35fused_qk_rmsnorm_group_quant_kernelItDB8_Li256ELi8ELi16ELb1ELb1ELb0ELb1ELb0ELb0EEEvPT0_PvPT_S6_S6_PKS5_S8_S8_S8_S8_ffiiiiiiiiiiiii
	.globl	_ZN5aiter35fused_qk_rmsnorm_group_quant_kernelItDB8_Li256ELi8ELi16ELb1ELb1ELb0ELb1ELb0ELb0EEEvPT0_PvPT_S6_S6_PKS5_S8_S8_S8_S8_ffiiiiiiiiiiiii
	.p2align	8
	.type	_ZN5aiter35fused_qk_rmsnorm_group_quant_kernelItDB8_Li256ELi8ELi16ELb1ELb1ELb0ELb1ELb0ELb0EEEvPT0_PvPT_S6_S6_PKS5_S8_S8_S8_S8_ffiiiiiiiiiiiii,@function
_ZN5aiter35fused_qk_rmsnorm_group_quant_kernelItDB8_Li256ELi8ELi16ELb1ELb1ELb0ELb1ELb0ELb0EEEvPT0_PvPT_S6_S6_PKS5_S8_S8_S8_S8_ffiiiiiiiiiiiii: ; @_ZN5aiter35fused_qk_rmsnorm_group_quant_kernelItDB8_Li256ELi8ELi16ELb1ELb1ELb0ELb1ELb0ELb0EEEvPT0_PvPT_S6_S6_PKS5_S8_S8_S8_S8_ffiiiiiiiiiiiii
; %bb.0:
	s_load_dwordx8 s[12:19], s[4:5], 0x50
	s_waitcnt lgkmcnt(0)
	s_cmp_ge_i32 s6, s14
	s_cbranch_scc1 .LBB462_17
; %bb.1:
	s_cmp_lg_u32 s7, 0
	s_cselect_b64 s[22:23], -1, 0
	s_cmp_eq_u32 s7, 0
	s_cselect_b64 s[8:9], -1, 0
	s_and_b64 s[0:1], s[8:9], exec
	s_cselect_b32 s7, s15, s16
	s_load_dwordx2 s[10:11], s[4:5], 0x30
	s_load_dwordx2 s[20:21], s[4:5], 0x48
	s_add_i32 s0, s7, 1
	s_lshr_b32 s1, s0, 31
	s_add_i32 s0, s0, s1
	s_lshl_b32 s0, s0, 1
	v_lshlrev_b32_e32 v1, 3, v0
	s_and_b32 s30, s0, -4
	v_cmp_gt_i32_e64 s[0:1], s7, v1
	v_mov_b32_e32 v10, 0
	v_mov_b32_e32 v11, 0
	;; [unrolled: 1-line block ×8, first 2 shown]
	s_and_saveexec_b64 s[2:3], s[0:1]
	s_cbranch_execz .LBB462_3
; %bb.2:
	s_load_dwordx2 s[14:15], s[4:5], 0x28
	s_load_dwordx2 s[26:27], s[4:5], 0x40
	s_and_b64 s[24:25], s[8:9], exec
	s_cselect_b32 s17, s17, s18
	s_mov_b32 s31, 0x20000
	s_waitcnt lgkmcnt(0)
	s_cselect_b32 s25, s15, s11
	s_cselect_b32 s24, s14, s10
	s_mul_hi_i32 s15, s17, s6
	s_mul_i32 s14, s17, s6
	s_lshl_b64 s[14:15], s[14:15], 1
	s_add_u32 s24, s24, s14
	s_addc_u32 s17, s25, s15
	s_and_b64 s[14:15], s[8:9], exec
	s_cselect_b32 s28, s26, s20
	s_cselect_b32 s14, s27, s21
	v_lshlrev_b32_e32 v2, 4, v0
	s_and_b32 s25, s17, 0xffff
	s_mov_b32 s26, s30
	s_mov_b32 s27, s31
	s_and_b32 s29, s14, 0xffff
	buffer_load_dwordx4 v[14:17], v2, s[24:27], 0 offen glc slc
	buffer_load_dwordx4 v[10:13], v2, s[28:31], 0 offen
.LBB462_3:
	s_or_b64 exec, exec, s[2:3]
	s_load_dwordx4 s[24:27], s[4:5], 0x7c
	s_and_b64 vcc, exec, s[22:23]
	s_cbranch_vccz .LBB462_7
; %bb.4:
	s_mov_b32 s36, 0
	s_mov_b32 s37, s36
	;; [unrolled: 1-line block ×8, first 2 shown]
	v_pk_mov_b32 v[2:3], s[36:37], s[36:37] op_sel:[0,1]
	v_pk_mov_b32 v[4:5], s[38:39], s[38:39] op_sel:[0,1]
	;; [unrolled: 1-line block ×4, first 2 shown]
	s_and_saveexec_b64 s[2:3], s[0:1]
	s_cbranch_execz .LBB462_6
; %bb.5:
	s_waitcnt vmcnt(1)
	v_cvt_f32_u32_sdwa v3, v14 dst_sel:DWORD dst_unused:UNUSED_PAD src0_sel:WORD_1
	v_cvt_f32_u32_sdwa v2, v14 dst_sel:DWORD dst_unused:UNUSED_PAD src0_sel:WORD_0
	v_cvt_f32_u32_sdwa v5, v15 dst_sel:DWORD dst_unused:UNUSED_PAD src0_sel:WORD_1
	v_cvt_f32_u32_sdwa v4, v15 dst_sel:DWORD dst_unused:UNUSED_PAD src0_sel:WORD_0
	;; [unrolled: 2-line block ×4, first 2 shown]
.LBB462_6:
	s_or_b64 exec, exec, s[2:3]
	s_cbranch_execz .LBB462_8
	s_branch .LBB462_11
.LBB462_7:
                                        ; implicit-def: $vgpr2_vgpr3_vgpr4_vgpr5_vgpr6_vgpr7_vgpr8_vgpr9
.LBB462_8:
	s_mov_b32 s36, 0
	s_mov_b32 s37, s36
	;; [unrolled: 1-line block ×8, first 2 shown]
	v_pk_mov_b32 v[2:3], s[36:37], s[36:37] op_sel:[0,1]
	v_pk_mov_b32 v[4:5], s[38:39], s[38:39] op_sel:[0,1]
	;; [unrolled: 1-line block ×4, first 2 shown]
	s_and_saveexec_b64 s[2:3], s[0:1]
	s_cbranch_execz .LBB462_10
; %bb.9:
	s_load_dwordx2 s[14:15], s[4:5], 0x38
	s_mul_hi_i32 s29, s19, s6
	s_mul_i32 s28, s19, s6
	s_lshl_b64 s[28:29], s[28:29], 1
	s_mov_b32 s31, 0x20000
	s_waitcnt lgkmcnt(0)
	s_add_u32 s28, s14, s28
	s_addc_u32 s14, s15, s29
	s_and_b32 s29, s14, 0xffff
	v_lshlrev_b32_e32 v26, 4, v0
	buffer_load_dwordx4 v[2:5], v26, s[28:31], 0 offen glc slc
	s_load_dwordx2 s[14:15], s[4:5], 0x20
	s_waitcnt vmcnt(2)
	v_cvt_f32_u32_sdwa v7, v14 dst_sel:DWORD dst_unused:UNUSED_PAD src0_sel:WORD_1
	v_cvt_f32_u32_sdwa v6, v14 dst_sel:DWORD dst_unused:UNUSED_PAD src0_sel:WORD_0
	v_cvt_f32_u32_sdwa v9, v15 dst_sel:DWORD dst_unused:UNUSED_PAD src0_sel:WORD_1
	v_cvt_f32_u32_sdwa v8, v15 dst_sel:DWORD dst_unused:UNUSED_PAD src0_sel:WORD_0
	;; [unrolled: 2-line block ×4, first 2 shown]
	s_mul_hi_i32 s27, s26, s6
	s_mul_i32 s26, s26, s6
	s_lshl_b64 s[26:27], s[26:27], 1
	s_waitcnt lgkmcnt(0)
	s_add_u32 s28, s14, s26
	s_mov_b32 s17, 0x7060302
	s_addc_u32 s14, s15, s27
	s_and_b32 s29, s14, 0xffff
	s_waitcnt vmcnt(0)
	v_cvt_f32_u32_sdwa v17, v2 dst_sel:DWORD dst_unused:UNUSED_PAD src0_sel:WORD_1
	v_cvt_f32_u32_sdwa v16, v2 dst_sel:DWORD dst_unused:UNUSED_PAD src0_sel:WORD_0
	v_cvt_f32_u32_sdwa v21, v3 dst_sel:DWORD dst_unused:UNUSED_PAD src0_sel:WORD_1
	v_cvt_f32_u32_sdwa v20, v3 dst_sel:DWORD dst_unused:UNUSED_PAD src0_sel:WORD_0
	;; [unrolled: 2-line block ×4, first 2 shown]
	v_pk_add_f32 v[2:3], v[6:7], v[16:17]
	v_pk_add_f32 v[4:5], v[8:9], v[20:21]
	v_pk_add_f32 v[6:7], v[14:15], v[22:23]
	v_pk_add_f32 v[8:9], v[18:19], v[24:25]
	v_perm_b32 v17, v9, v8, s17
	v_perm_b32 v16, v7, v6, s17
	;; [unrolled: 1-line block ×4, first 2 shown]
	buffer_store_dwordx4 v[14:17], v26, s[28:31], 0 offen glc slc
	;;#ASMSTART
	s_nop 0
	;;#ASMEND
.LBB462_10:
	s_or_b64 exec, exec, s[2:3]
.LBB462_11:
	s_waitcnt vmcnt(1)
	v_mul_f32_e32 v14, v3, v3
	v_fmac_f32_e32 v14, v2, v2
	v_fmac_f32_e32 v14, v4, v4
	;; [unrolled: 1-line block ×7, first 2 shown]
	v_and_b32_e32 v16, 63, v0
	v_cmp_eq_u32_e64 s[2:3], 63, v16
	v_mov_b32_dpp v15, v14 quad_perm:[1,0,3,2] row_mask:0xf bank_mask:0xf
	v_add_f32_e32 v14, v14, v15
	s_nop 1
	v_mov_b32_dpp v15, v14 quad_perm:[2,3,0,1] row_mask:0xf bank_mask:0xf
	v_add_f32_e32 v14, v14, v15
	s_nop 1
	v_mov_b32_dpp v15, v14 row_half_mirror row_mask:0xf bank_mask:0xf
	v_add_f32_e32 v14, v14, v15
	s_nop 1
	v_mov_b32_dpp v15, v14 row_mirror row_mask:0xf bank_mask:0xf
	v_add_f32_e32 v14, v14, v15
	s_nop 1
	v_mov_b32_dpp v15, v14 row_bcast:15 row_mask:0xf bank_mask:0xf
	v_add_f32_e32 v14, v14, v15
	s_nop 1
	v_mov_b32_dpp v15, v14 row_bcast:31 row_mask:0xf bank_mask:0xf
	s_and_saveexec_b64 s[14:15], s[2:3]
	s_cbranch_execz .LBB462_13
; %bb.12:
	v_add_f32_e32 v14, v14, v15
	v_lshrrev_b32_e32 v15, 4, v0
	v_and_b32_e32 v15, 60, v15
	ds_write_b32 v15, v14 offset:16
.LBB462_13:
	s_or_b64 exec, exec, s[14:15]
	v_and_b32_e32 v14, 3, v0
	v_lshlrev_b32_e32 v14, 2, v14
	s_waitcnt lgkmcnt(0)
	s_barrier
	ds_read_b32 v15, v14 offset:16
	s_load_dwordx2 s[14:15], s[4:5], 0x18
	s_waitcnt lgkmcnt(0)
	v_mov_b32_dpp v16, v15 quad_perm:[1,0,3,2] row_mask:0xf bank_mask:0xf
	v_add_f32_e32 v15, v15, v16
	s_nop 1
	v_mov_b32_dpp v16, v15 quad_perm:[2,3,0,1] row_mask:0xf bank_mask:0xf
	s_and_saveexec_b64 s[26:27], s[0:1]
	s_cbranch_execnz .LBB462_18
; %bb.14:
	s_or_b64 exec, exec, s[26:27]
	s_mov_b64 s[8:9], -1
	s_and_b64 vcc, exec, s[22:23]
	s_cbranch_vccnz .LBB462_19
.LBB462_15:
	s_andn2_b64 vcc, exec, s[8:9]
	s_cbranch_vccz .LBB462_22
.LBB462_16:
	s_cmp_lt_i32 s16, 1
	s_cbranch_scc0 .LBB462_25
.LBB462_17:
	s_endpgm
.LBB462_18:
	v_cvt_f32_u32_e32 v17, s7
	v_add_f32_e32 v15, v15, v16
	v_mov_b32_e32 v19, s13
	v_mov_b32_e32 v20, s12
	v_div_scale_f32 v16, s[28:29], v17, v17, v15
	v_rcp_f32_e32 v18, v16
	v_cndmask_b32_e64 v19, v19, v20, s[8:9]
	s_mov_b32 s7, 0x800000
	v_fma_f32 v20, -v16, v18, 1.0
	v_fmac_f32_e32 v18, v20, v18
	v_div_scale_f32 v20, vcc, v15, v17, v15
	v_mul_f32_e32 v21, v20, v18
	v_fma_f32 v22, -v16, v21, v20
	v_fmac_f32_e32 v21, v22, v18
	v_fma_f32 v16, -v16, v21, v20
	v_div_fmas_f32 v16, v16, v18, v21
	v_div_fixup_f32 v15, v16, v17, v15
	v_add_f32_e32 v15, v19, v15
	v_mul_f32_e32 v16, 0x4b800000, v15
	v_cmp_gt_f32_e32 vcc, s7, v15
	v_cndmask_b32_e32 v15, v15, v16, vcc
	v_rsq_f32_e32 v15, v15
	s_waitcnt vmcnt(0)
	v_cvt_f32_u32_sdwa v19, v11 dst_sel:DWORD dst_unused:UNUSED_PAD src0_sel:WORD_1
	v_cvt_f32_u32_sdwa v18, v11 dst_sel:DWORD dst_unused:UNUSED_PAD src0_sel:WORD_0
	v_cvt_f32_u32_sdwa v11, v12 dst_sel:DWORD dst_unused:UNUSED_PAD src0_sel:WORD_1
	v_mul_f32_e32 v16, 0x45800000, v15
	v_cndmask_b32_e32 v16, v15, v16, vcc
	v_mov_b32_e32 v17, v16
	;;#ASMSTART
	v_pk_mul_f32 v[2:3], v[2:3], v[16:17]
	;;#ASMEND
	;;#ASMSTART
	v_pk_mul_f32 v[4:5], v[4:5], v[16:17]
	;;#ASMEND
	;; [unrolled: 3-line block ×4, first 2 shown]
	v_cvt_f32_u32_sdwa v17, v10 dst_sel:DWORD dst_unused:UNUSED_PAD src0_sel:WORD_1
	v_cvt_f32_u32_sdwa v16, v10 dst_sel:DWORD dst_unused:UNUSED_PAD src0_sel:WORD_0
	v_cvt_f32_u32_sdwa v10, v12 dst_sel:DWORD dst_unused:UNUSED_PAD src0_sel:WORD_0
	v_cvt_f32_u32_sdwa v21, v13 dst_sel:DWORD dst_unused:UNUSED_PAD src0_sel:WORD_1
	v_cvt_f32_u32_sdwa v20, v13 dst_sel:DWORD dst_unused:UNUSED_PAD src0_sel:WORD_0
	;;#ASMSTART
	v_pk_mul_f32 v[2:3], v[2:3], v[16:17]
	;;#ASMEND
	;;#ASMSTART
	v_pk_mul_f32 v[4:5], v[4:5], v[18:19]
	;;#ASMEND
	;; [unrolled: 3-line block ×4, first 2 shown]
	s_or_b64 exec, exec, s[26:27]
	s_mov_b64 s[8:9], -1
	s_and_b64 vcc, exec, s[22:23]
	s_cbranch_vccz .LBB462_15
.LBB462_19:
	s_and_saveexec_b64 s[8:9], s[0:1]
	s_cbranch_execz .LBB462_21
; %bb.20:
	s_mul_hi_i32 s23, s25, s6
	s_mul_i32 s22, s25, s6
	s_lshl_b64 s[22:23], s[22:23], 1
	s_add_u32 s28, s14, s22
	s_addc_u32 s7, s15, s23
	s_and_b32 s29, s7, 0xffff
	s_mov_b32 s7, 0x7060302
	s_mov_b32 s31, 0x20000
	s_waitcnt vmcnt(0)
	v_perm_b32 v10, v3, v2, s7
	v_perm_b32 v11, v5, v4, s7
	;; [unrolled: 1-line block ×4, first 2 shown]
	v_lshlrev_b32_e32 v15, 4, v0
	buffer_store_dwordx4 v[10:13], v15, s[28:31], 0 offen
	;;#ASMSTART
	s_nop 0
	;;#ASMEND
.LBB462_21:
	s_or_b64 exec, exec, s[8:9]
	s_cbranch_execnz .LBB462_16
.LBB462_22:
	s_and_saveexec_b64 s[8:9], s[0:1]
	s_cbranch_execz .LBB462_24
; %bb.23:
	s_load_dwordx2 s[0:1], s[4:5], 0x10
	s_mul_hi_i32 s23, s24, s6
	s_mul_i32 s22, s24, s6
	s_lshl_b64 s[22:23], s[22:23], 1
	s_mov_b32 s31, 0x20000
	s_waitcnt lgkmcnt(0)
	s_add_u32 s28, s0, s22
	s_addc_u32 s0, s1, s23
	s_and_b32 s29, s0, 0xffff
	s_mov_b32 s0, 0x7060302
	v_perm_b32 v2, v3, v2, s0
	v_perm_b32 v3, v5, v4, s0
	;; [unrolled: 1-line block ×4, first 2 shown]
	v_lshlrev_b32_e32 v6, 4, v0
	buffer_store_dwordx4 v[2:5], v6, s[28:31], 0 offen
	;;#ASMSTART
	s_nop 0
	;;#ASMEND
.LBB462_24:
	s_or_b64 exec, exec, s[8:9]
	s_cmp_lt_i32 s16, 1
	s_cbranch_scc1 .LBB462_17
.LBB462_25:
	s_load_dword s0, s[4:5], 0x94
	s_waitcnt lgkmcnt(0)
	s_cmp_lg_u32 s0, 1
	s_cbranch_scc1 .LBB462_17
; %bb.26:
	s_lshl_b32 s0, s16, 1
	s_add_i32 s0, s0, 2
	v_cmp_gt_u32_e32 vcc, s16, v1
	s_and_b32 s22, s0, -4
	v_mov_b32_e32 v6, 0
	v_lshlrev_b32_e32 v1, 4, v0
	v_mov_b32_e32 v7, 0
	v_mov_b32_e32 v8, 0
	;; [unrolled: 1-line block ×7, first 2 shown]
	s_barrier
	s_and_saveexec_b64 s[0:1], vcc
	s_cbranch_execz .LBB462_28
; %bb.27:
	s_mul_hi_i32 s5, s18, s6
	s_mul_i32 s4, s18, s6
	s_and_b32 s21, s21, 0xffff
	s_lshl_b64 s[4:5], s[4:5], 1
	s_add_u32 s8, s10, s4
	s_mov_b32 s23, 0x20000
	s_addc_u32 s4, s11, s5
	s_and_b32 s9, s4, 0xffff
	s_mov_b32 s10, s22
	s_mov_b32 s11, s23
	buffer_load_dwordx4 v[6:9], v1, s[8:11], 0 offen glc slc
	buffer_load_dwordx4 v[2:5], v1, s[20:23], 0 offen
.LBB462_28:
	s_or_b64 exec, exec, s[0:1]
	s_waitcnt vmcnt(0)
	v_cvt_f32_u32_sdwa v13, v6 dst_sel:DWORD dst_unused:UNUSED_PAD src0_sel:WORD_1
	v_cvt_f32_u32_sdwa v12, v6 dst_sel:DWORD dst_unused:UNUSED_PAD src0_sel:WORD_0
	v_cvt_f32_u32_sdwa v6, v9 dst_sel:DWORD dst_unused:UNUSED_PAD src0_sel:WORD_1
	v_cvt_f32_u32_sdwa v9, v9 dst_sel:DWORD dst_unused:UNUSED_PAD src0_sel:WORD_0
	;; [unrolled: 2-line block ×4, first 2 shown]
	v_cndmask_b32_e32 v13, 0, v13, vcc
	v_cndmask_b32_e32 v7, 0, v6, vcc
	;; [unrolled: 1-line block ×5, first 2 shown]
	v_mul_f32_e32 v15, v13, v13
	v_cndmask_b32_e32 v10, 0, v10, vcc
	v_fmac_f32_e32 v15, v12, v12
	v_cndmask_b32_e32 v11, 0, v11, vcc
	v_fmac_f32_e32 v15, v10, v10
	;; [unrolled: 2-line block ×3, first 2 shown]
	v_fmac_f32_e32 v15, v8, v8
	v_fmac_f32_e32 v15, v9, v9
	;; [unrolled: 1-line block ×4, first 2 shown]
	s_nop 1
	v_mov_b32_dpp v16, v15 quad_perm:[1,0,3,2] row_mask:0xf bank_mask:0xf
	v_add_f32_e32 v15, v15, v16
	s_nop 1
	v_mov_b32_dpp v16, v15 quad_perm:[2,3,0,1] row_mask:0xf bank_mask:0xf
	v_add_f32_e32 v15, v15, v16
	s_nop 1
	v_mov_b32_dpp v16, v15 row_half_mirror row_mask:0xf bank_mask:0xf
	v_add_f32_e32 v15, v15, v16
	s_nop 1
	v_mov_b32_dpp v16, v15 row_mirror row_mask:0xf bank_mask:0xf
	v_add_f32_e32 v15, v15, v16
	s_nop 1
	v_mov_b32_dpp v16, v15 row_bcast:15 row_mask:0xf bank_mask:0xf
	v_add_f32_e32 v15, v15, v16
	s_nop 1
	v_mov_b32_dpp v16, v15 row_bcast:31 row_mask:0xf bank_mask:0xf
	s_and_saveexec_b64 s[0:1], s[2:3]
	s_cbranch_execz .LBB462_30
; %bb.29:
	v_lshrrev_b32_e32 v0, 4, v0
	v_add_f32_e32 v15, v15, v16
	v_and_b32_e32 v0, 60, v0
	ds_write_b32 v0, v15
.LBB462_30:
	s_or_b64 exec, exec, s[0:1]
	s_waitcnt lgkmcnt(0)
	s_barrier
	ds_read_b32 v0, v14
	s_waitcnt lgkmcnt(0)
	s_nop 0
	v_mov_b32_dpp v14, v0 quad_perm:[1,0,3,2] row_mask:0xf bank_mask:0xf
	v_add_f32_e32 v0, v0, v14
	s_nop 1
	v_mov_b32_dpp v14, v0 quad_perm:[2,3,0,1] row_mask:0xf bank_mask:0xf
	s_and_saveexec_b64 s[0:1], vcc
	s_cbranch_execz .LBB462_17
; %bb.31:
	v_cvt_f32_u32_e32 v15, s16
	v_add_f32_e32 v0, v0, v14
	s_mov_b32 s23, 0x20000
	v_div_scale_f32 v14, s[0:1], v15, v15, v0
	v_rcp_f32_e32 v16, v14
	v_div_scale_f32 v17, vcc, v0, v15, v0
	s_mov_b32 s0, 0x800000
	v_fma_f32 v18, -v14, v16, 1.0
	v_fmac_f32_e32 v16, v18, v16
	v_mul_f32_e32 v18, v17, v16
	v_fma_f32 v19, -v14, v18, v17
	v_fmac_f32_e32 v18, v19, v16
	v_fma_f32 v14, -v14, v18, v17
	v_div_fmas_f32 v14, v14, v16, v18
	v_div_fixup_f32 v0, v14, v15, v0
	v_add_f32_e32 v0, s13, v0
	v_mul_f32_e32 v14, 0x4b800000, v0
	v_cmp_gt_f32_e32 vcc, s0, v0
	v_cndmask_b32_e32 v0, v0, v14, vcc
	v_rsq_f32_e32 v0, v0
	s_mul_hi_i32 s1, s25, s6
	s_mul_i32 s0, s25, s6
	s_lshl_b64 s[0:1], s[0:1], 1
	v_mul_f32_e32 v14, 0x45800000, v0
	v_cndmask_b32_e32 v14, v0, v14, vcc
	s_add_u32 s20, s14, s0
	v_mov_b32_e32 v15, v14
	s_addc_u32 s0, s15, s1
	;;#ASMSTART
	v_pk_mul_f32 v[12:13], v[12:13], v[14:15]
	;;#ASMEND
	;;#ASMSTART
	v_pk_mul_f32 v[10:11], v[10:11], v[14:15]
	;;#ASMEND
	;; [unrolled: 3-line block ×4, first 2 shown]
	v_cvt_f32_u32_sdwa v15, v2 dst_sel:DWORD dst_unused:UNUSED_PAD src0_sel:WORD_1
	v_cvt_f32_u32_sdwa v14, v2 dst_sel:DWORD dst_unused:UNUSED_PAD src0_sel:WORD_0
	v_cvt_f32_u32_sdwa v17, v3 dst_sel:DWORD dst_unused:UNUSED_PAD src0_sel:WORD_1
	v_cvt_f32_u32_sdwa v16, v3 dst_sel:DWORD dst_unused:UNUSED_PAD src0_sel:WORD_0
	;; [unrolled: 2-line block ×4, first 2 shown]
	;;#ASMSTART
	v_pk_mul_f32 v[4:5], v[12:13], v[14:15]
	;;#ASMEND
	s_and_b32 s21, s0, 0xffff
	s_mov_b32 s0, 0x7060302
	;;#ASMSTART
	v_pk_mul_f32 v[10:11], v[10:11], v[16:17]
	;;#ASMEND
	;;#ASMSTART
	v_pk_mul_f32 v[8:9], v[8:9], v[2:3]
	;;#ASMEND
	;;#ASMSTART
	v_pk_mul_f32 v[6:7], v[6:7], v[18:19]
	;;#ASMEND
	v_perm_b32 v2, v5, v4, s0
	v_perm_b32 v3, v11, v10, s0
	;; [unrolled: 1-line block ×4, first 2 shown]
	buffer_store_dwordx4 v[2:5], v1, s[20:23], 0 offen
	;;#ASMSTART
	s_nop 0
	;;#ASMEND
	s_endpgm
	.section	.rodata,"a",@progbits
	.p2align	6, 0x0
	.amdhsa_kernel _ZN5aiter35fused_qk_rmsnorm_group_quant_kernelItDB8_Li256ELi8ELi16ELb1ELb1ELb0ELb1ELb0ELb0EEEvPT0_PvPT_S6_S6_PKS5_S8_S8_S8_S8_ffiiiiiiiiiiiii
		.amdhsa_group_segment_fixed_size 32
		.amdhsa_private_segment_fixed_size 0
		.amdhsa_kernarg_size 400
		.amdhsa_user_sgpr_count 6
		.amdhsa_user_sgpr_private_segment_buffer 1
		.amdhsa_user_sgpr_dispatch_ptr 0
		.amdhsa_user_sgpr_queue_ptr 0
		.amdhsa_user_sgpr_kernarg_segment_ptr 1
		.amdhsa_user_sgpr_dispatch_id 0
		.amdhsa_user_sgpr_flat_scratch_init 0
		.amdhsa_user_sgpr_kernarg_preload_length 0
		.amdhsa_user_sgpr_kernarg_preload_offset 0
		.amdhsa_user_sgpr_private_segment_size 0
		.amdhsa_uses_dynamic_stack 0
		.amdhsa_system_sgpr_private_segment_wavefront_offset 0
		.amdhsa_system_sgpr_workgroup_id_x 1
		.amdhsa_system_sgpr_workgroup_id_y 1
		.amdhsa_system_sgpr_workgroup_id_z 0
		.amdhsa_system_sgpr_workgroup_info 0
		.amdhsa_system_vgpr_workitem_id 0
		.amdhsa_next_free_vgpr 27
		.amdhsa_next_free_sgpr 44
		.amdhsa_accum_offset 28
		.amdhsa_reserve_vcc 1
		.amdhsa_reserve_flat_scratch 0
		.amdhsa_float_round_mode_32 0
		.amdhsa_float_round_mode_16_64 0
		.amdhsa_float_denorm_mode_32 3
		.amdhsa_float_denorm_mode_16_64 3
		.amdhsa_dx10_clamp 1
		.amdhsa_ieee_mode 1
		.amdhsa_fp16_overflow 0
		.amdhsa_tg_split 0
		.amdhsa_exception_fp_ieee_invalid_op 0
		.amdhsa_exception_fp_denorm_src 0
		.amdhsa_exception_fp_ieee_div_zero 0
		.amdhsa_exception_fp_ieee_overflow 0
		.amdhsa_exception_fp_ieee_underflow 0
		.amdhsa_exception_fp_ieee_inexact 0
		.amdhsa_exception_int_div_zero 0
	.end_amdhsa_kernel
	.section	.text._ZN5aiter35fused_qk_rmsnorm_group_quant_kernelItDB8_Li256ELi8ELi16ELb1ELb1ELb0ELb1ELb0ELb0EEEvPT0_PvPT_S6_S6_PKS5_S8_S8_S8_S8_ffiiiiiiiiiiiii,"axG",@progbits,_ZN5aiter35fused_qk_rmsnorm_group_quant_kernelItDB8_Li256ELi8ELi16ELb1ELb1ELb0ELb1ELb0ELb0EEEvPT0_PvPT_S6_S6_PKS5_S8_S8_S8_S8_ffiiiiiiiiiiiii,comdat
.Lfunc_end462:
	.size	_ZN5aiter35fused_qk_rmsnorm_group_quant_kernelItDB8_Li256ELi8ELi16ELb1ELb1ELb0ELb1ELb0ELb0EEEvPT0_PvPT_S6_S6_PKS5_S8_S8_S8_S8_ffiiiiiiiiiiiii, .Lfunc_end462-_ZN5aiter35fused_qk_rmsnorm_group_quant_kernelItDB8_Li256ELi8ELi16ELb1ELb1ELb0ELb1ELb0ELb0EEEvPT0_PvPT_S6_S6_PKS5_S8_S8_S8_S8_ffiiiiiiiiiiiii
                                        ; -- End function
	.section	.AMDGPU.csdata,"",@progbits
; Kernel info:
; codeLenInByte = 2452
; NumSgprs: 48
; NumVgprs: 27
; NumAgprs: 0
; TotalNumVgprs: 27
; ScratchSize: 0
; MemoryBound: 0
; FloatMode: 240
; IeeeMode: 1
; LDSByteSize: 32 bytes/workgroup (compile time only)
; SGPRBlocks: 5
; VGPRBlocks: 3
; NumSGPRsForWavesPerEU: 48
; NumVGPRsForWavesPerEU: 27
; AccumOffset: 28
; Occupancy: 8
; WaveLimiterHint : 0
; COMPUTE_PGM_RSRC2:SCRATCH_EN: 0
; COMPUTE_PGM_RSRC2:USER_SGPR: 6
; COMPUTE_PGM_RSRC2:TRAP_HANDLER: 0
; COMPUTE_PGM_RSRC2:TGID_X_EN: 1
; COMPUTE_PGM_RSRC2:TGID_Y_EN: 1
; COMPUTE_PGM_RSRC2:TGID_Z_EN: 0
; COMPUTE_PGM_RSRC2:TIDIG_COMP_CNT: 0
; COMPUTE_PGM_RSRC3_GFX90A:ACCUM_OFFSET: 6
; COMPUTE_PGM_RSRC3_GFX90A:TG_SPLIT: 0
	.section	.text._ZN5aiter35fused_qk_rmsnorm_group_quant_kernelIDF16_N4opus5fp4_tELi256ELi8ELi16ELb1ELb1ELb0ELb1ELb0ELb0EEEvPT0_PvPT_S7_S7_PKS6_S9_S9_S9_S9_ffiiiiiiiiiiiii,"axG",@progbits,_ZN5aiter35fused_qk_rmsnorm_group_quant_kernelIDF16_N4opus5fp4_tELi256ELi8ELi16ELb1ELb1ELb0ELb1ELb0ELb0EEEvPT0_PvPT_S7_S7_PKS6_S9_S9_S9_S9_ffiiiiiiiiiiiii,comdat
	.protected	_ZN5aiter35fused_qk_rmsnorm_group_quant_kernelIDF16_N4opus5fp4_tELi256ELi8ELi16ELb1ELb1ELb0ELb1ELb0ELb0EEEvPT0_PvPT_S7_S7_PKS6_S9_S9_S9_S9_ffiiiiiiiiiiiii ; -- Begin function _ZN5aiter35fused_qk_rmsnorm_group_quant_kernelIDF16_N4opus5fp4_tELi256ELi8ELi16ELb1ELb1ELb0ELb1ELb0ELb0EEEvPT0_PvPT_S7_S7_PKS6_S9_S9_S9_S9_ffiiiiiiiiiiiii
	.globl	_ZN5aiter35fused_qk_rmsnorm_group_quant_kernelIDF16_N4opus5fp4_tELi256ELi8ELi16ELb1ELb1ELb0ELb1ELb0ELb0EEEvPT0_PvPT_S7_S7_PKS6_S9_S9_S9_S9_ffiiiiiiiiiiiii
	.p2align	8
	.type	_ZN5aiter35fused_qk_rmsnorm_group_quant_kernelIDF16_N4opus5fp4_tELi256ELi8ELi16ELb1ELb1ELb0ELb1ELb0ELb0EEEvPT0_PvPT_S7_S7_PKS6_S9_S9_S9_S9_ffiiiiiiiiiiiii,@function
_ZN5aiter35fused_qk_rmsnorm_group_quant_kernelIDF16_N4opus5fp4_tELi256ELi8ELi16ELb1ELb1ELb0ELb1ELb0ELb0EEEvPT0_PvPT_S7_S7_PKS6_S9_S9_S9_S9_ffiiiiiiiiiiiii: ; @_ZN5aiter35fused_qk_rmsnorm_group_quant_kernelIDF16_N4opus5fp4_tELi256ELi8ELi16ELb1ELb1ELb0ELb1ELb0ELb0EEEvPT0_PvPT_S7_S7_PKS6_S9_S9_S9_S9_ffiiiiiiiiiiiii
; %bb.0:
	s_load_dwordx8 s[12:19], s[4:5], 0x50
	s_waitcnt lgkmcnt(0)
	s_cmp_ge_i32 s6, s14
	s_cbranch_scc1 .LBB463_17
; %bb.1:
	s_cmp_lg_u32 s7, 0
	s_cselect_b64 s[22:23], -1, 0
	s_cmp_eq_u32 s7, 0
	s_cselect_b64 s[2:3], -1, 0
	s_and_b64 s[0:1], s[2:3], exec
	s_cselect_b32 s7, s15, s16
	s_load_dwordx2 s[10:11], s[4:5], 0x30
	s_load_dwordx2 s[20:21], s[4:5], 0x48
	s_add_i32 s0, s7, 1
	s_lshr_b32 s1, s0, 31
	s_add_i32 s0, s0, s1
	s_lshl_b32 s0, s0, 1
	v_lshlrev_b32_e32 v1, 3, v0
	s_and_b32 s30, s0, -4
	v_cmp_gt_i32_e64 s[0:1], s7, v1
	v_mov_b32_e32 v2, 0
	v_mov_b32_e32 v3, 0
	;; [unrolled: 1-line block ×8, first 2 shown]
	s_and_saveexec_b64 s[8:9], s[0:1]
	s_cbranch_execz .LBB463_3
; %bb.2:
	s_load_dwordx2 s[14:15], s[4:5], 0x28
	s_load_dwordx2 s[26:27], s[4:5], 0x40
	s_and_b64 s[24:25], s[2:3], exec
	s_cselect_b32 s17, s17, s18
	s_mov_b32 s31, 0x20000
	s_waitcnt lgkmcnt(0)
	s_cselect_b32 s25, s15, s11
	s_cselect_b32 s24, s14, s10
	s_mul_hi_i32 s15, s17, s6
	s_mul_i32 s14, s17, s6
	s_lshl_b64 s[14:15], s[14:15], 1
	s_add_u32 s24, s24, s14
	s_addc_u32 s17, s25, s15
	s_and_b64 s[14:15], s[2:3], exec
	s_cselect_b32 s28, s26, s20
	s_cselect_b32 s14, s27, s21
	v_lshlrev_b32_e32 v10, 4, v0
	s_and_b32 s25, s17, 0xffff
	s_mov_b32 s26, s30
	s_mov_b32 s27, s31
	s_and_b32 s29, s14, 0xffff
	buffer_load_dwordx4 v[6:9], v10, s[24:27], 0 offen glc slc
	buffer_load_dwordx4 v[2:5], v10, s[28:31], 0 offen
.LBB463_3:
	s_or_b64 exec, exec, s[8:9]
	s_load_dwordx4 s[24:27], s[4:5], 0x7c
	s_and_b64 vcc, exec, s[22:23]
	s_cbranch_vccz .LBB463_7
; %bb.4:
	v_mov_b32_e32 v11, 0
	v_mov_b32_e32 v10, 0
	;; [unrolled: 1-line block ×8, first 2 shown]
	s_and_saveexec_b64 s[8:9], s[0:1]
	s_cbranch_execz .LBB463_6
; %bb.5:
	s_waitcnt vmcnt(1)
	v_cvt_f32_f16_sdwa v17, v6 dst_sel:DWORD dst_unused:UNUSED_PAD src0_sel:WORD_1
	v_cvt_f32_f16_e32 v16, v6
	v_cvt_f32_f16_sdwa v15, v7 dst_sel:DWORD dst_unused:UNUSED_PAD src0_sel:WORD_1
	v_cvt_f32_f16_e32 v14, v7
	;; [unrolled: 2-line block ×4, first 2 shown]
.LBB463_6:
	s_or_b64 exec, exec, s[8:9]
	s_cbranch_execz .LBB463_8
	s_branch .LBB463_11
.LBB463_7:
                                        ; implicit-def: $vgpr11
                                        ; implicit-def: $vgpr13
                                        ; implicit-def: $vgpr15
                                        ; implicit-def: $vgpr17
.LBB463_8:
	v_mov_b32_e32 v11, 0
	v_mov_b32_e32 v10, 0
	;; [unrolled: 1-line block ×8, first 2 shown]
	s_and_saveexec_b64 s[8:9], s[0:1]
	s_cbranch_execz .LBB463_10
; %bb.9:
	s_load_dwordx2 s[14:15], s[4:5], 0x38
	s_mul_hi_i32 s29, s19, s6
	s_mul_i32 s28, s19, s6
	s_lshl_b64 s[28:29], s[28:29], 1
	s_mov_b32 s31, 0x20000
	s_waitcnt lgkmcnt(0)
	s_add_u32 s28, s14, s28
	s_addc_u32 s14, s15, s29
	s_and_b32 s29, s14, 0xffff
	v_lshlrev_b32_e32 v26, 4, v0
	buffer_load_dwordx4 v[10:13], v26, s[28:31], 0 offen glc slc
	s_waitcnt vmcnt(2)
	v_cvt_f32_f16_sdwa v15, v6 dst_sel:DWORD dst_unused:UNUSED_PAD src0_sel:WORD_1
	v_cvt_f32_f16_e32 v14, v6
	v_cvt_f32_f16_sdwa v19, v7 dst_sel:DWORD dst_unused:UNUSED_PAD src0_sel:WORD_1
	v_cvt_f32_f16_e32 v18, v7
	;; [unrolled: 2-line block ×4, first 2 shown]
	s_load_dwordx2 s[14:15], s[4:5], 0x20
	s_mul_hi_i32 s27, s26, s6
	s_mul_i32 s26, s26, s6
	s_lshl_b64 s[26:27], s[26:27], 1
	s_waitcnt lgkmcnt(0)
	s_add_u32 s28, s14, s26
	s_addc_u32 s14, s15, s27
	s_and_b32 s29, s14, 0xffff
	s_waitcnt vmcnt(0)
	v_cvt_f32_f16_e32 v8, v10
	v_cvt_f32_f16_sdwa v9, v10 dst_sel:DWORD dst_unused:UNUSED_PAD src0_sel:WORD_1
	v_cvt_f32_f16_e32 v10, v11
	v_cvt_f32_f16_sdwa v11, v11 dst_sel:DWORD dst_unused:UNUSED_PAD src0_sel:WORD_1
	;; [unrolled: 2-line block ×4, first 2 shown]
	v_pk_add_f32 v[16:17], v[14:15], v[8:9]
	v_pk_add_f32 v[14:15], v[18:19], v[10:11]
	;; [unrolled: 1-line block ×4, first 2 shown]
	v_cvt_f16_f32_e32 v6, v17
	v_cvt_f16_f32_e32 v7, v15
	;; [unrolled: 1-line block ×8, first 2 shown]
	v_pack_b32_f16 v9, v18, v9
	v_pack_b32_f16 v8, v19, v8
	;; [unrolled: 1-line block ×4, first 2 shown]
	buffer_store_dwordx4 v[6:9], v26, s[28:31], 0 offen glc slc
	;;#ASMSTART
	s_nop 0
	;;#ASMEND
.LBB463_10:
	s_or_b64 exec, exec, s[8:9]
.LBB463_11:
	s_waitcnt vmcnt(1)
	v_mul_f32_e32 v6, v17, v17
	v_fmac_f32_e32 v6, v16, v16
	v_fmac_f32_e32 v6, v14, v14
	;; [unrolled: 1-line block ×7, first 2 shown]
	v_and_b32_e32 v8, 63, v0
	v_cmp_eq_u32_e64 s[8:9], 63, v8
	v_mov_b32_dpp v7, v6 quad_perm:[1,0,3,2] row_mask:0xf bank_mask:0xf
	v_add_f32_e32 v6, v6, v7
	s_nop 1
	v_mov_b32_dpp v7, v6 quad_perm:[2,3,0,1] row_mask:0xf bank_mask:0xf
	v_add_f32_e32 v6, v6, v7
	s_nop 1
	v_mov_b32_dpp v7, v6 row_half_mirror row_mask:0xf bank_mask:0xf
	v_add_f32_e32 v6, v6, v7
	s_nop 1
	v_mov_b32_dpp v7, v6 row_mirror row_mask:0xf bank_mask:0xf
	v_add_f32_e32 v6, v6, v7
	s_nop 1
	v_mov_b32_dpp v7, v6 row_bcast:15 row_mask:0xf bank_mask:0xf
	v_add_f32_e32 v6, v6, v7
	s_nop 1
	v_mov_b32_dpp v7, v6 row_bcast:31 row_mask:0xf bank_mask:0xf
	s_and_saveexec_b64 s[14:15], s[8:9]
	s_cbranch_execz .LBB463_13
; %bb.12:
	v_add_f32_e32 v6, v6, v7
	v_lshrrev_b32_e32 v7, 4, v0
	v_and_b32_e32 v7, 60, v7
	ds_write_b32 v7, v6 offset:16
.LBB463_13:
	s_or_b64 exec, exec, s[14:15]
	v_and_b32_e32 v6, 3, v0
	v_lshlrev_b32_e32 v18, 2, v6
	s_waitcnt lgkmcnt(0)
	s_barrier
	ds_read_b32 v6, v18 offset:16
	s_load_dwordx2 s[14:15], s[4:5], 0x18
	s_waitcnt lgkmcnt(0)
	v_mov_b32_dpp v7, v6 quad_perm:[1,0,3,2] row_mask:0xf bank_mask:0xf
	v_add_f32_e32 v6, v6, v7
	s_nop 1
	v_mov_b32_dpp v7, v6 quad_perm:[2,3,0,1] row_mask:0xf bank_mask:0xf
	s_and_saveexec_b64 s[26:27], s[0:1]
	s_cbranch_execnz .LBB463_18
; %bb.14:
	s_or_b64 exec, exec, s[26:27]
	s_mov_b64 s[2:3], -1
	s_and_b64 vcc, exec, s[22:23]
	s_cbranch_vccnz .LBB463_19
.LBB463_15:
	s_andn2_b64 vcc, exec, s[2:3]
	s_cbranch_vccz .LBB463_22
.LBB463_16:
	s_cmp_lt_i32 s16, 1
	s_cbranch_scc0 .LBB463_25
.LBB463_17:
	s_endpgm
.LBB463_18:
	v_cvt_f32_u32_e32 v8, s7
	v_add_f32_e32 v6, v6, v7
	v_mov_b32_e32 v19, s13
	v_mov_b32_e32 v20, s12
	v_div_scale_f32 v7, s[28:29], v8, v8, v6
	v_rcp_f32_e32 v9, v7
	v_cndmask_b32_e64 v19, v19, v20, s[2:3]
	s_mov_b32 s2, 0x800000
	s_waitcnt vmcnt(0)
	v_cvt_f32_f16_sdwa v23, v5 dst_sel:DWORD dst_unused:UNUSED_PAD src0_sel:WORD_1
	v_fma_f32 v20, -v7, v9, 1.0
	v_fmac_f32_e32 v9, v20, v9
	v_div_scale_f32 v20, vcc, v6, v8, v6
	v_mul_f32_e32 v21, v20, v9
	v_fma_f32 v22, -v7, v21, v20
	v_fmac_f32_e32 v21, v22, v9
	v_fma_f32 v7, -v7, v21, v20
	v_div_fmas_f32 v7, v7, v9, v21
	v_div_fixup_f32 v6, v7, v8, v6
	v_add_f32_e32 v6, v19, v6
	v_mul_f32_e32 v7, 0x4b800000, v6
	v_cmp_gt_f32_e32 vcc, s2, v6
	v_cndmask_b32_e32 v6, v6, v7, vcc
	v_rsq_f32_e32 v6, v6
	v_cvt_f32_f16_sdwa v21, v3 dst_sel:DWORD dst_unused:UNUSED_PAD src0_sel:WORD_1
	v_cvt_f32_f16_e32 v20, v3
	v_cvt_f32_f16_sdwa v3, v4 dst_sel:DWORD dst_unused:UNUSED_PAD src0_sel:WORD_1
	v_mul_f32_e32 v7, 0x45800000, v6
	v_cndmask_b32_e32 v6, v6, v7, vcc
	v_mov_b32_e32 v7, v6
	;;#ASMSTART
	v_pk_mul_f32 v[8:9], v[16:17], v[6:7]
	;;#ASMEND
	;;#ASMSTART
	v_pk_mul_f32 v[14:15], v[14:15], v[6:7]
	;;#ASMEND
	;; [unrolled: 3-line block ×4, first 2 shown]
	v_cvt_f32_f16_sdwa v11, v2 dst_sel:DWORD dst_unused:UNUSED_PAD src0_sel:WORD_1
	v_cvt_f32_f16_e32 v10, v2
	v_cvt_f32_f16_e32 v2, v4
	;; [unrolled: 1-line block ×3, first 2 shown]
	;;#ASMSTART
	v_pk_mul_f32 v[16:17], v[8:9], v[10:11]
	;;#ASMEND
	;;#ASMSTART
	v_pk_mul_f32 v[14:15], v[14:15], v[20:21]
	;;#ASMEND
	;; [unrolled: 3-line block ×4, first 2 shown]
	s_or_b64 exec, exec, s[26:27]
	s_mov_b64 s[2:3], -1
	s_and_b64 vcc, exec, s[22:23]
	s_cbranch_vccz .LBB463_15
.LBB463_19:
	s_and_saveexec_b64 s[2:3], s[0:1]
	s_cbranch_execz .LBB463_21
; %bb.20:
	s_mul_hi_i32 s23, s25, s6
	s_mul_i32 s22, s25, s6
	s_waitcnt vmcnt(0)
	v_cvt_f16_f32_e32 v2, v16
	v_cvt_f16_f32_e32 v3, v14
	;; [unrolled: 1-line block ×8, first 2 shown]
	s_lshl_b64 s[22:23], s[22:23], 1
	s_add_u32 s28, s14, s22
	s_addc_u32 s7, s15, s23
	s_and_b32 s29, s7, 0xffff
	s_mov_b32 s31, 0x20000
	v_pack_b32_f16 v5, v5, v6
	v_pack_b32_f16 v4, v4, v7
	;; [unrolled: 1-line block ×4, first 2 shown]
	v_lshlrev_b32_e32 v6, 4, v0
	buffer_store_dwordx4 v[2:5], v6, s[28:31], 0 offen
	;;#ASMSTART
	s_nop 0
	;;#ASMEND
.LBB463_21:
	s_or_b64 exec, exec, s[2:3]
	s_cbranch_execnz .LBB463_16
.LBB463_22:
	s_and_saveexec_b64 s[2:3], s[0:1]
	s_cbranch_execz .LBB463_24
; %bb.23:
	s_load_dwordx2 s[0:1], s[4:5], 0x10
	s_mul_hi_i32 s23, s24, s6
	s_mul_i32 s22, s24, s6
	s_waitcnt vmcnt(0)
	v_cvt_f16_f32_e32 v2, v16
	v_cvt_f16_f32_e32 v3, v14
	;; [unrolled: 1-line block ×8, first 2 shown]
	s_lshl_b64 s[22:23], s[22:23], 1
	s_waitcnt lgkmcnt(0)
	s_add_u32 s28, s0, s22
	s_addc_u32 s0, s1, s23
	s_mov_b32 s31, 0x20000
	s_and_b32 s29, s0, 0xffff
	v_pack_b32_f16 v5, v5, v6
	v_pack_b32_f16 v4, v4, v7
	;; [unrolled: 1-line block ×4, first 2 shown]
	v_lshlrev_b32_e32 v6, 4, v0
	buffer_store_dwordx4 v[2:5], v6, s[28:31], 0 offen
	;;#ASMSTART
	s_nop 0
	;;#ASMEND
.LBB463_24:
	s_or_b64 exec, exec, s[2:3]
	s_cmp_lt_i32 s16, 1
	s_cbranch_scc1 .LBB463_17
.LBB463_25:
	s_load_dword s0, s[4:5], 0x94
	s_waitcnt lgkmcnt(0)
	s_cmp_lg_u32 s0, 1
	s_cbranch_scc1 .LBB463_17
; %bb.26:
	s_lshl_b32 s0, s16, 1
	s_add_i32 s0, s0, 2
	v_cmp_gt_u32_e32 vcc, s16, v1
	s_and_b32 s22, s0, -4
	v_mov_b32_e32 v10, 0
	v_lshlrev_b32_e32 v1, 4, v0
	v_mov_b32_e32 v6, 0
	v_mov_b32_e32 v7, 0
	;; [unrolled: 1-line block ×4, first 2 shown]
	s_waitcnt vmcnt(0)
	v_mov_b32_e32 v2, 0
	v_mov_b32_e32 v3, 0
	;; [unrolled: 1-line block ×4, first 2 shown]
	s_barrier
	s_and_saveexec_b64 s[0:1], vcc
	s_cbranch_execz .LBB463_28
; %bb.27:
	s_mul_hi_i32 s3, s18, s6
	s_mul_i32 s2, s18, s6
	s_and_b32 s21, s21, 0xffff
	s_lshl_b64 s[2:3], s[2:3], 1
	s_add_u32 s28, s10, s2
	s_mov_b32 s23, 0x20000
	s_addc_u32 s2, s11, s3
	s_and_b32 s29, s2, 0xffff
	s_mov_b32 s30, s22
	s_mov_b32 s31, s23
	buffer_load_dwordx4 v[6:9], v1, s[28:31], 0 offen glc slc
	buffer_load_dwordx4 v[2:5], v1, s[20:23], 0 offen
.LBB463_28:
	s_or_b64 exec, exec, s[0:1]
	v_mov_b32_e32 v11, 0
	v_mov_b32_e32 v16, 0
	;; [unrolled: 1-line block ×7, first 2 shown]
	s_and_saveexec_b64 s[0:1], vcc
	s_cbranch_execz .LBB463_30
; %bb.29:
	s_waitcnt vmcnt(1)
	v_cvt_f32_f16_sdwa v11, v6 dst_sel:DWORD dst_unused:UNUSED_PAD src0_sel:WORD_1
	v_cvt_f32_f16_e32 v10, v6
	v_cvt_f32_f16_sdwa v17, v7 dst_sel:DWORD dst_unused:UNUSED_PAD src0_sel:WORD_1
	v_cvt_f32_f16_e32 v16, v7
	;; [unrolled: 2-line block ×4, first 2 shown]
.LBB463_30:
	s_or_b64 exec, exec, s[0:1]
	s_waitcnt vmcnt(1)
	v_mul_f32_e32 v6, v11, v11
	v_fmac_f32_e32 v6, v10, v10
	v_fmac_f32_e32 v6, v16, v16
	;; [unrolled: 1-line block ×7, first 2 shown]
	s_nop 1
	v_mov_b32_dpp v7, v6 quad_perm:[1,0,3,2] row_mask:0xf bank_mask:0xf
	v_add_f32_e32 v6, v6, v7
	s_nop 1
	v_mov_b32_dpp v7, v6 quad_perm:[2,3,0,1] row_mask:0xf bank_mask:0xf
	v_add_f32_e32 v6, v6, v7
	s_nop 1
	v_mov_b32_dpp v7, v6 row_half_mirror row_mask:0xf bank_mask:0xf
	v_add_f32_e32 v6, v6, v7
	s_nop 1
	v_mov_b32_dpp v7, v6 row_mirror row_mask:0xf bank_mask:0xf
	v_add_f32_e32 v6, v6, v7
	s_nop 1
	v_mov_b32_dpp v7, v6 row_bcast:15 row_mask:0xf bank_mask:0xf
	v_add_f32_e32 v6, v6, v7
	s_nop 1
	v_mov_b32_dpp v7, v6 row_bcast:31 row_mask:0xf bank_mask:0xf
	s_and_saveexec_b64 s[0:1], s[8:9]
	s_cbranch_execz .LBB463_32
; %bb.31:
	v_lshrrev_b32_e32 v0, 4, v0
	v_add_f32_e32 v6, v6, v7
	v_and_b32_e32 v0, 60, v0
	ds_write_b32 v0, v6
.LBB463_32:
	s_or_b64 exec, exec, s[0:1]
	s_waitcnt lgkmcnt(0)
	s_barrier
	ds_read_b32 v0, v18
	s_waitcnt lgkmcnt(0)
	s_nop 0
	v_mov_b32_dpp v6, v0 quad_perm:[1,0,3,2] row_mask:0xf bank_mask:0xf
	v_add_f32_e32 v0, v0, v6
	s_nop 1
	v_mov_b32_dpp v6, v0 quad_perm:[2,3,0,1] row_mask:0xf bank_mask:0xf
	s_and_saveexec_b64 s[0:1], vcc
	s_cbranch_execz .LBB463_17
; %bb.33:
	v_cvt_f32_u32_e32 v7, s16
	v_add_f32_e32 v0, v0, v6
	s_mov_b32 s23, 0x20000
	v_div_scale_f32 v6, s[0:1], v7, v7, v0
	v_rcp_f32_e32 v8, v6
	v_div_scale_f32 v9, vcc, v0, v7, v0
	s_mov_b32 s0, 0x800000
	v_fma_f32 v18, -v6, v8, 1.0
	v_fmac_f32_e32 v8, v18, v8
	v_mul_f32_e32 v18, v9, v8
	v_fma_f32 v19, -v6, v18, v9
	v_fmac_f32_e32 v18, v19, v8
	v_fma_f32 v6, -v6, v18, v9
	v_div_fmas_f32 v6, v6, v8, v18
	v_div_fixup_f32 v0, v6, v7, v0
	v_add_f32_e32 v0, s13, v0
	v_mul_f32_e32 v6, 0x4b800000, v0
	v_cmp_gt_f32_e32 vcc, s0, v0
	v_cndmask_b32_e32 v0, v0, v6, vcc
	v_rsq_f32_e32 v0, v0
	s_waitcnt vmcnt(0)
	v_cvt_f32_f16_sdwa v19, v5 dst_sel:DWORD dst_unused:UNUSED_PAD src0_sel:WORD_1
	v_cvt_f32_f16_e32 v18, v5
	s_mul_hi_i32 s1, s25, s6
	v_mul_f32_e32 v6, 0x45800000, v0
	v_cndmask_b32_e32 v6, v0, v6, vcc
	v_mov_b32_e32 v7, v6
	;;#ASMSTART
	v_pk_mul_f32 v[8:9], v[10:11], v[6:7]
	;;#ASMEND
	;;#ASMSTART
	v_pk_mul_f32 v[10:11], v[16:17], v[6:7]
	;;#ASMEND
	;; [unrolled: 3-line block ×4, first 2 shown]
	v_cvt_f32_f16_sdwa v13, v2 dst_sel:DWORD dst_unused:UNUSED_PAD src0_sel:WORD_1
	v_cvt_f32_f16_e32 v12, v2
	v_cvt_f32_f16_sdwa v17, v3 dst_sel:DWORD dst_unused:UNUSED_PAD src0_sel:WORD_1
	v_cvt_f32_f16_e32 v16, v3
	;; [unrolled: 2-line block ×3, first 2 shown]
	;;#ASMSTART
	v_pk_mul_f32 v[4:5], v[8:9], v[12:13]
	;;#ASMEND
	;;#ASMSTART
	v_pk_mul_f32 v[8:9], v[10:11], v[16:17]
	;;#ASMEND
	;; [unrolled: 3-line block ×4, first 2 shown]
	s_mul_i32 s0, s25, s6
	v_cvt_f16_f32_e32 v0, v4
	v_cvt_f16_f32_e32 v4, v5
	;; [unrolled: 1-line block ×8, first 2 shown]
	s_lshl_b64 s[0:1], s[0:1], 1
	s_add_u32 s20, s14, s0
	s_addc_u32 s0, s15, s1
	s_and_b32 s21, s0, 0xffff
	v_pack_b32_f16 v2, v0, v4
	v_pack_b32_f16 v3, v5, v8
	;; [unrolled: 1-line block ×4, first 2 shown]
	buffer_store_dwordx4 v[2:5], v1, s[20:23], 0 offen
	;;#ASMSTART
	s_nop 0
	;;#ASMEND
	s_endpgm
	.section	.rodata,"a",@progbits
	.p2align	6, 0x0
	.amdhsa_kernel _ZN5aiter35fused_qk_rmsnorm_group_quant_kernelIDF16_N4opus5fp4_tELi256ELi8ELi16ELb1ELb1ELb0ELb1ELb0ELb0EEEvPT0_PvPT_S7_S7_PKS6_S9_S9_S9_S9_ffiiiiiiiiiiiii
		.amdhsa_group_segment_fixed_size 32
		.amdhsa_private_segment_fixed_size 0
		.amdhsa_kernarg_size 400
		.amdhsa_user_sgpr_count 6
		.amdhsa_user_sgpr_private_segment_buffer 1
		.amdhsa_user_sgpr_dispatch_ptr 0
		.amdhsa_user_sgpr_queue_ptr 0
		.amdhsa_user_sgpr_kernarg_segment_ptr 1
		.amdhsa_user_sgpr_dispatch_id 0
		.amdhsa_user_sgpr_flat_scratch_init 0
		.amdhsa_user_sgpr_kernarg_preload_length 0
		.amdhsa_user_sgpr_kernarg_preload_offset 0
		.amdhsa_user_sgpr_private_segment_size 0
		.amdhsa_uses_dynamic_stack 0
		.amdhsa_system_sgpr_private_segment_wavefront_offset 0
		.amdhsa_system_sgpr_workgroup_id_x 1
		.amdhsa_system_sgpr_workgroup_id_y 1
		.amdhsa_system_sgpr_workgroup_id_z 0
		.amdhsa_system_sgpr_workgroup_info 0
		.amdhsa_system_vgpr_workitem_id 0
		.amdhsa_next_free_vgpr 27
		.amdhsa_next_free_sgpr 32
		.amdhsa_accum_offset 28
		.amdhsa_reserve_vcc 1
		.amdhsa_reserve_flat_scratch 0
		.amdhsa_float_round_mode_32 0
		.amdhsa_float_round_mode_16_64 0
		.amdhsa_float_denorm_mode_32 3
		.amdhsa_float_denorm_mode_16_64 3
		.amdhsa_dx10_clamp 1
		.amdhsa_ieee_mode 1
		.amdhsa_fp16_overflow 0
		.amdhsa_tg_split 0
		.amdhsa_exception_fp_ieee_invalid_op 0
		.amdhsa_exception_fp_denorm_src 0
		.amdhsa_exception_fp_ieee_div_zero 0
		.amdhsa_exception_fp_ieee_overflow 0
		.amdhsa_exception_fp_ieee_underflow 0
		.amdhsa_exception_fp_ieee_inexact 0
		.amdhsa_exception_int_div_zero 0
	.end_amdhsa_kernel
	.section	.text._ZN5aiter35fused_qk_rmsnorm_group_quant_kernelIDF16_N4opus5fp4_tELi256ELi8ELi16ELb1ELb1ELb0ELb1ELb0ELb0EEEvPT0_PvPT_S7_S7_PKS6_S9_S9_S9_S9_ffiiiiiiiiiiiii,"axG",@progbits,_ZN5aiter35fused_qk_rmsnorm_group_quant_kernelIDF16_N4opus5fp4_tELi256ELi8ELi16ELb1ELb1ELb0ELb1ELb0ELb0EEEvPT0_PvPT_S7_S7_PKS6_S9_S9_S9_S9_ffiiiiiiiiiiiii,comdat
.Lfunc_end463:
	.size	_ZN5aiter35fused_qk_rmsnorm_group_quant_kernelIDF16_N4opus5fp4_tELi256ELi8ELi16ELb1ELb1ELb0ELb1ELb0ELb0EEEvPT0_PvPT_S7_S7_PKS6_S9_S9_S9_S9_ffiiiiiiiiiiiii, .Lfunc_end463-_ZN5aiter35fused_qk_rmsnorm_group_quant_kernelIDF16_N4opus5fp4_tELi256ELi8ELi16ELb1ELb1ELb0ELb1ELb0ELb0EEEvPT0_PvPT_S7_S7_PKS6_S9_S9_S9_S9_ffiiiiiiiiiiiii
                                        ; -- End function
	.section	.AMDGPU.csdata,"",@progbits
; Kernel info:
; codeLenInByte = 2416
; NumSgprs: 36
; NumVgprs: 27
; NumAgprs: 0
; TotalNumVgprs: 27
; ScratchSize: 0
; MemoryBound: 0
; FloatMode: 240
; IeeeMode: 1
; LDSByteSize: 32 bytes/workgroup (compile time only)
; SGPRBlocks: 4
; VGPRBlocks: 3
; NumSGPRsForWavesPerEU: 36
; NumVGPRsForWavesPerEU: 27
; AccumOffset: 28
; Occupancy: 8
; WaveLimiterHint : 0
; COMPUTE_PGM_RSRC2:SCRATCH_EN: 0
; COMPUTE_PGM_RSRC2:USER_SGPR: 6
; COMPUTE_PGM_RSRC2:TRAP_HANDLER: 0
; COMPUTE_PGM_RSRC2:TGID_X_EN: 1
; COMPUTE_PGM_RSRC2:TGID_Y_EN: 1
; COMPUTE_PGM_RSRC2:TGID_Z_EN: 0
; COMPUTE_PGM_RSRC2:TIDIG_COMP_CNT: 0
; COMPUTE_PGM_RSRC3_GFX90A:ACCUM_OFFSET: 6
; COMPUTE_PGM_RSRC3_GFX90A:TG_SPLIT: 0
	.section	.text._ZN5aiter35fused_qk_rmsnorm_group_quant_kernelItN4opus5fp4_tELi256ELi8ELi16ELb1ELb1ELb0ELb1ELb0ELb0EEEvPT0_PvPT_S7_S7_PKS6_S9_S9_S9_S9_ffiiiiiiiiiiiii,"axG",@progbits,_ZN5aiter35fused_qk_rmsnorm_group_quant_kernelItN4opus5fp4_tELi256ELi8ELi16ELb1ELb1ELb0ELb1ELb0ELb0EEEvPT0_PvPT_S7_S7_PKS6_S9_S9_S9_S9_ffiiiiiiiiiiiii,comdat
	.protected	_ZN5aiter35fused_qk_rmsnorm_group_quant_kernelItN4opus5fp4_tELi256ELi8ELi16ELb1ELb1ELb0ELb1ELb0ELb0EEEvPT0_PvPT_S7_S7_PKS6_S9_S9_S9_S9_ffiiiiiiiiiiiii ; -- Begin function _ZN5aiter35fused_qk_rmsnorm_group_quant_kernelItN4opus5fp4_tELi256ELi8ELi16ELb1ELb1ELb0ELb1ELb0ELb0EEEvPT0_PvPT_S7_S7_PKS6_S9_S9_S9_S9_ffiiiiiiiiiiiii
	.globl	_ZN5aiter35fused_qk_rmsnorm_group_quant_kernelItN4opus5fp4_tELi256ELi8ELi16ELb1ELb1ELb0ELb1ELb0ELb0EEEvPT0_PvPT_S7_S7_PKS6_S9_S9_S9_S9_ffiiiiiiiiiiiii
	.p2align	8
	.type	_ZN5aiter35fused_qk_rmsnorm_group_quant_kernelItN4opus5fp4_tELi256ELi8ELi16ELb1ELb1ELb0ELb1ELb0ELb0EEEvPT0_PvPT_S7_S7_PKS6_S9_S9_S9_S9_ffiiiiiiiiiiiii,@function
_ZN5aiter35fused_qk_rmsnorm_group_quant_kernelItN4opus5fp4_tELi256ELi8ELi16ELb1ELb1ELb0ELb1ELb0ELb0EEEvPT0_PvPT_S7_S7_PKS6_S9_S9_S9_S9_ffiiiiiiiiiiiii: ; @_ZN5aiter35fused_qk_rmsnorm_group_quant_kernelItN4opus5fp4_tELi256ELi8ELi16ELb1ELb1ELb0ELb1ELb0ELb0EEEvPT0_PvPT_S7_S7_PKS6_S9_S9_S9_S9_ffiiiiiiiiiiiii
; %bb.0:
	s_load_dwordx8 s[12:19], s[4:5], 0x50
	s_waitcnt lgkmcnt(0)
	s_cmp_ge_i32 s6, s14
	s_cbranch_scc1 .LBB464_17
; %bb.1:
	s_cmp_lg_u32 s7, 0
	s_cselect_b64 s[22:23], -1, 0
	s_cmp_eq_u32 s7, 0
	s_cselect_b64 s[8:9], -1, 0
	s_and_b64 s[0:1], s[8:9], exec
	s_cselect_b32 s7, s15, s16
	s_load_dwordx2 s[10:11], s[4:5], 0x30
	s_load_dwordx2 s[20:21], s[4:5], 0x48
	s_add_i32 s0, s7, 1
	s_lshr_b32 s1, s0, 31
	s_add_i32 s0, s0, s1
	s_lshl_b32 s0, s0, 1
	v_lshlrev_b32_e32 v1, 3, v0
	s_and_b32 s30, s0, -4
	v_cmp_gt_i32_e64 s[0:1], s7, v1
	v_mov_b32_e32 v10, 0
	v_mov_b32_e32 v11, 0
	;; [unrolled: 1-line block ×8, first 2 shown]
	s_and_saveexec_b64 s[2:3], s[0:1]
	s_cbranch_execz .LBB464_3
; %bb.2:
	s_load_dwordx2 s[14:15], s[4:5], 0x28
	s_load_dwordx2 s[26:27], s[4:5], 0x40
	s_and_b64 s[24:25], s[8:9], exec
	s_cselect_b32 s17, s17, s18
	s_mov_b32 s31, 0x20000
	s_waitcnt lgkmcnt(0)
	s_cselect_b32 s25, s15, s11
	s_cselect_b32 s24, s14, s10
	s_mul_hi_i32 s15, s17, s6
	s_mul_i32 s14, s17, s6
	s_lshl_b64 s[14:15], s[14:15], 1
	s_add_u32 s24, s24, s14
	s_addc_u32 s17, s25, s15
	s_and_b64 s[14:15], s[8:9], exec
	s_cselect_b32 s28, s26, s20
	s_cselect_b32 s14, s27, s21
	v_lshlrev_b32_e32 v2, 4, v0
	s_and_b32 s25, s17, 0xffff
	s_mov_b32 s26, s30
	s_mov_b32 s27, s31
	s_and_b32 s29, s14, 0xffff
	buffer_load_dwordx4 v[14:17], v2, s[24:27], 0 offen glc slc
	buffer_load_dwordx4 v[10:13], v2, s[28:31], 0 offen
.LBB464_3:
	s_or_b64 exec, exec, s[2:3]
	s_load_dwordx4 s[24:27], s[4:5], 0x7c
	s_and_b64 vcc, exec, s[22:23]
	s_cbranch_vccz .LBB464_7
; %bb.4:
	s_mov_b32 s36, 0
	s_mov_b32 s37, s36
	;; [unrolled: 1-line block ×8, first 2 shown]
	v_pk_mov_b32 v[2:3], s[36:37], s[36:37] op_sel:[0,1]
	v_pk_mov_b32 v[4:5], s[38:39], s[38:39] op_sel:[0,1]
	;; [unrolled: 1-line block ×4, first 2 shown]
	s_and_saveexec_b64 s[2:3], s[0:1]
	s_cbranch_execz .LBB464_6
; %bb.5:
	s_waitcnt vmcnt(1)
	v_cvt_f32_u32_sdwa v3, v14 dst_sel:DWORD dst_unused:UNUSED_PAD src0_sel:WORD_1
	v_cvt_f32_u32_sdwa v2, v14 dst_sel:DWORD dst_unused:UNUSED_PAD src0_sel:WORD_0
	v_cvt_f32_u32_sdwa v5, v15 dst_sel:DWORD dst_unused:UNUSED_PAD src0_sel:WORD_1
	v_cvt_f32_u32_sdwa v4, v15 dst_sel:DWORD dst_unused:UNUSED_PAD src0_sel:WORD_0
	;; [unrolled: 2-line block ×4, first 2 shown]
.LBB464_6:
	s_or_b64 exec, exec, s[2:3]
	s_cbranch_execz .LBB464_8
	s_branch .LBB464_11
.LBB464_7:
                                        ; implicit-def: $vgpr2_vgpr3_vgpr4_vgpr5_vgpr6_vgpr7_vgpr8_vgpr9
.LBB464_8:
	s_mov_b32 s36, 0
	s_mov_b32 s37, s36
	s_mov_b32 s38, s36
	s_mov_b32 s39, s36
	s_mov_b32 s40, s36
	s_mov_b32 s41, s36
	s_mov_b32 s42, s36
	s_mov_b32 s43, s36
	v_pk_mov_b32 v[2:3], s[36:37], s[36:37] op_sel:[0,1]
	v_pk_mov_b32 v[4:5], s[38:39], s[38:39] op_sel:[0,1]
	;; [unrolled: 1-line block ×4, first 2 shown]
	s_and_saveexec_b64 s[2:3], s[0:1]
	s_cbranch_execz .LBB464_10
; %bb.9:
	s_load_dwordx2 s[14:15], s[4:5], 0x38
	s_mul_hi_i32 s29, s19, s6
	s_mul_i32 s28, s19, s6
	s_lshl_b64 s[28:29], s[28:29], 1
	s_mov_b32 s31, 0x20000
	s_waitcnt lgkmcnt(0)
	s_add_u32 s28, s14, s28
	s_addc_u32 s14, s15, s29
	s_and_b32 s29, s14, 0xffff
	v_lshlrev_b32_e32 v26, 4, v0
	buffer_load_dwordx4 v[2:5], v26, s[28:31], 0 offen glc slc
	s_load_dwordx2 s[14:15], s[4:5], 0x20
	s_waitcnt vmcnt(2)
	v_cvt_f32_u32_sdwa v7, v14 dst_sel:DWORD dst_unused:UNUSED_PAD src0_sel:WORD_1
	v_cvt_f32_u32_sdwa v6, v14 dst_sel:DWORD dst_unused:UNUSED_PAD src0_sel:WORD_0
	v_cvt_f32_u32_sdwa v9, v15 dst_sel:DWORD dst_unused:UNUSED_PAD src0_sel:WORD_1
	v_cvt_f32_u32_sdwa v8, v15 dst_sel:DWORD dst_unused:UNUSED_PAD src0_sel:WORD_0
	;; [unrolled: 2-line block ×4, first 2 shown]
	s_mul_hi_i32 s27, s26, s6
	s_mul_i32 s26, s26, s6
	s_lshl_b64 s[26:27], s[26:27], 1
	s_waitcnt lgkmcnt(0)
	s_add_u32 s28, s14, s26
	s_mov_b32 s17, 0x7060302
	s_addc_u32 s14, s15, s27
	s_and_b32 s29, s14, 0xffff
	s_waitcnt vmcnt(0)
	v_cvt_f32_u32_sdwa v17, v2 dst_sel:DWORD dst_unused:UNUSED_PAD src0_sel:WORD_1
	v_cvt_f32_u32_sdwa v16, v2 dst_sel:DWORD dst_unused:UNUSED_PAD src0_sel:WORD_0
	v_cvt_f32_u32_sdwa v21, v3 dst_sel:DWORD dst_unused:UNUSED_PAD src0_sel:WORD_1
	v_cvt_f32_u32_sdwa v20, v3 dst_sel:DWORD dst_unused:UNUSED_PAD src0_sel:WORD_0
	;; [unrolled: 2-line block ×4, first 2 shown]
	v_pk_add_f32 v[2:3], v[6:7], v[16:17]
	v_pk_add_f32 v[4:5], v[8:9], v[20:21]
	;; [unrolled: 1-line block ×4, first 2 shown]
	v_perm_b32 v17, v9, v8, s17
	v_perm_b32 v16, v7, v6, s17
	;; [unrolled: 1-line block ×4, first 2 shown]
	buffer_store_dwordx4 v[14:17], v26, s[28:31], 0 offen glc slc
	;;#ASMSTART
	s_nop 0
	;;#ASMEND
.LBB464_10:
	s_or_b64 exec, exec, s[2:3]
.LBB464_11:
	s_waitcnt vmcnt(1)
	v_mul_f32_e32 v14, v3, v3
	v_fmac_f32_e32 v14, v2, v2
	v_fmac_f32_e32 v14, v4, v4
	;; [unrolled: 1-line block ×7, first 2 shown]
	v_and_b32_e32 v16, 63, v0
	v_cmp_eq_u32_e64 s[2:3], 63, v16
	v_mov_b32_dpp v15, v14 quad_perm:[1,0,3,2] row_mask:0xf bank_mask:0xf
	v_add_f32_e32 v14, v14, v15
	s_nop 1
	v_mov_b32_dpp v15, v14 quad_perm:[2,3,0,1] row_mask:0xf bank_mask:0xf
	v_add_f32_e32 v14, v14, v15
	s_nop 1
	v_mov_b32_dpp v15, v14 row_half_mirror row_mask:0xf bank_mask:0xf
	v_add_f32_e32 v14, v14, v15
	s_nop 1
	v_mov_b32_dpp v15, v14 row_mirror row_mask:0xf bank_mask:0xf
	v_add_f32_e32 v14, v14, v15
	s_nop 1
	v_mov_b32_dpp v15, v14 row_bcast:15 row_mask:0xf bank_mask:0xf
	v_add_f32_e32 v14, v14, v15
	s_nop 1
	v_mov_b32_dpp v15, v14 row_bcast:31 row_mask:0xf bank_mask:0xf
	s_and_saveexec_b64 s[14:15], s[2:3]
	s_cbranch_execz .LBB464_13
; %bb.12:
	v_add_f32_e32 v14, v14, v15
	v_lshrrev_b32_e32 v15, 4, v0
	v_and_b32_e32 v15, 60, v15
	ds_write_b32 v15, v14 offset:16
.LBB464_13:
	s_or_b64 exec, exec, s[14:15]
	v_and_b32_e32 v14, 3, v0
	v_lshlrev_b32_e32 v14, 2, v14
	s_waitcnt lgkmcnt(0)
	s_barrier
	ds_read_b32 v15, v14 offset:16
	s_load_dwordx2 s[14:15], s[4:5], 0x18
	s_waitcnt lgkmcnt(0)
	v_mov_b32_dpp v16, v15 quad_perm:[1,0,3,2] row_mask:0xf bank_mask:0xf
	v_add_f32_e32 v15, v15, v16
	s_nop 1
	v_mov_b32_dpp v16, v15 quad_perm:[2,3,0,1] row_mask:0xf bank_mask:0xf
	s_and_saveexec_b64 s[26:27], s[0:1]
	s_cbranch_execnz .LBB464_18
; %bb.14:
	s_or_b64 exec, exec, s[26:27]
	s_mov_b64 s[8:9], -1
	s_and_b64 vcc, exec, s[22:23]
	s_cbranch_vccnz .LBB464_19
.LBB464_15:
	s_andn2_b64 vcc, exec, s[8:9]
	s_cbranch_vccz .LBB464_22
.LBB464_16:
	s_cmp_lt_i32 s16, 1
	s_cbranch_scc0 .LBB464_25
.LBB464_17:
	s_endpgm
.LBB464_18:
	v_cvt_f32_u32_e32 v17, s7
	v_add_f32_e32 v15, v15, v16
	v_mov_b32_e32 v19, s13
	v_mov_b32_e32 v20, s12
	v_div_scale_f32 v16, s[28:29], v17, v17, v15
	v_rcp_f32_e32 v18, v16
	v_cndmask_b32_e64 v19, v19, v20, s[8:9]
	s_mov_b32 s7, 0x800000
	v_fma_f32 v20, -v16, v18, 1.0
	v_fmac_f32_e32 v18, v20, v18
	v_div_scale_f32 v20, vcc, v15, v17, v15
	v_mul_f32_e32 v21, v20, v18
	v_fma_f32 v22, -v16, v21, v20
	v_fmac_f32_e32 v21, v22, v18
	v_fma_f32 v16, -v16, v21, v20
	v_div_fmas_f32 v16, v16, v18, v21
	v_div_fixup_f32 v15, v16, v17, v15
	v_add_f32_e32 v15, v19, v15
	v_mul_f32_e32 v16, 0x4b800000, v15
	v_cmp_gt_f32_e32 vcc, s7, v15
	v_cndmask_b32_e32 v15, v15, v16, vcc
	v_rsq_f32_e32 v15, v15
	s_waitcnt vmcnt(0)
	v_cvt_f32_u32_sdwa v19, v11 dst_sel:DWORD dst_unused:UNUSED_PAD src0_sel:WORD_1
	v_cvt_f32_u32_sdwa v18, v11 dst_sel:DWORD dst_unused:UNUSED_PAD src0_sel:WORD_0
	v_cvt_f32_u32_sdwa v11, v12 dst_sel:DWORD dst_unused:UNUSED_PAD src0_sel:WORD_1
	v_mul_f32_e32 v16, 0x45800000, v15
	v_cndmask_b32_e32 v16, v15, v16, vcc
	v_mov_b32_e32 v17, v16
	;;#ASMSTART
	v_pk_mul_f32 v[2:3], v[2:3], v[16:17]
	;;#ASMEND
	;;#ASMSTART
	v_pk_mul_f32 v[4:5], v[4:5], v[16:17]
	;;#ASMEND
	;; [unrolled: 3-line block ×4, first 2 shown]
	v_cvt_f32_u32_sdwa v17, v10 dst_sel:DWORD dst_unused:UNUSED_PAD src0_sel:WORD_1
	v_cvt_f32_u32_sdwa v16, v10 dst_sel:DWORD dst_unused:UNUSED_PAD src0_sel:WORD_0
	v_cvt_f32_u32_sdwa v10, v12 dst_sel:DWORD dst_unused:UNUSED_PAD src0_sel:WORD_0
	v_cvt_f32_u32_sdwa v21, v13 dst_sel:DWORD dst_unused:UNUSED_PAD src0_sel:WORD_1
	v_cvt_f32_u32_sdwa v20, v13 dst_sel:DWORD dst_unused:UNUSED_PAD src0_sel:WORD_0
	;;#ASMSTART
	v_pk_mul_f32 v[2:3], v[2:3], v[16:17]
	;;#ASMEND
	;;#ASMSTART
	v_pk_mul_f32 v[4:5], v[4:5], v[18:19]
	;;#ASMEND
	;; [unrolled: 3-line block ×4, first 2 shown]
	s_or_b64 exec, exec, s[26:27]
	s_mov_b64 s[8:9], -1
	s_and_b64 vcc, exec, s[22:23]
	s_cbranch_vccz .LBB464_15
.LBB464_19:
	s_and_saveexec_b64 s[8:9], s[0:1]
	s_cbranch_execz .LBB464_21
; %bb.20:
	s_mul_hi_i32 s23, s25, s6
	s_mul_i32 s22, s25, s6
	s_lshl_b64 s[22:23], s[22:23], 1
	s_add_u32 s28, s14, s22
	s_addc_u32 s7, s15, s23
	s_and_b32 s29, s7, 0xffff
	s_mov_b32 s7, 0x7060302
	s_mov_b32 s31, 0x20000
	s_waitcnt vmcnt(0)
	v_perm_b32 v10, v3, v2, s7
	v_perm_b32 v11, v5, v4, s7
	;; [unrolled: 1-line block ×4, first 2 shown]
	v_lshlrev_b32_e32 v15, 4, v0
	buffer_store_dwordx4 v[10:13], v15, s[28:31], 0 offen
	;;#ASMSTART
	s_nop 0
	;;#ASMEND
.LBB464_21:
	s_or_b64 exec, exec, s[8:9]
	s_cbranch_execnz .LBB464_16
.LBB464_22:
	s_and_saveexec_b64 s[8:9], s[0:1]
	s_cbranch_execz .LBB464_24
; %bb.23:
	s_load_dwordx2 s[0:1], s[4:5], 0x10
	s_mul_hi_i32 s23, s24, s6
	s_mul_i32 s22, s24, s6
	s_lshl_b64 s[22:23], s[22:23], 1
	s_mov_b32 s31, 0x20000
	s_waitcnt lgkmcnt(0)
	s_add_u32 s28, s0, s22
	s_addc_u32 s0, s1, s23
	s_and_b32 s29, s0, 0xffff
	s_mov_b32 s0, 0x7060302
	v_perm_b32 v2, v3, v2, s0
	v_perm_b32 v3, v5, v4, s0
	;; [unrolled: 1-line block ×4, first 2 shown]
	v_lshlrev_b32_e32 v6, 4, v0
	buffer_store_dwordx4 v[2:5], v6, s[28:31], 0 offen
	;;#ASMSTART
	s_nop 0
	;;#ASMEND
.LBB464_24:
	s_or_b64 exec, exec, s[8:9]
	s_cmp_lt_i32 s16, 1
	s_cbranch_scc1 .LBB464_17
.LBB464_25:
	s_load_dword s0, s[4:5], 0x94
	s_waitcnt lgkmcnt(0)
	s_cmp_lg_u32 s0, 1
	s_cbranch_scc1 .LBB464_17
; %bb.26:
	s_lshl_b32 s0, s16, 1
	s_add_i32 s0, s0, 2
	v_cmp_gt_u32_e32 vcc, s16, v1
	s_and_b32 s22, s0, -4
	v_mov_b32_e32 v6, 0
	v_lshlrev_b32_e32 v1, 4, v0
	v_mov_b32_e32 v7, 0
	v_mov_b32_e32 v8, 0
	;; [unrolled: 1-line block ×7, first 2 shown]
	s_barrier
	s_and_saveexec_b64 s[0:1], vcc
	s_cbranch_execz .LBB464_28
; %bb.27:
	s_mul_hi_i32 s5, s18, s6
	s_mul_i32 s4, s18, s6
	s_and_b32 s21, s21, 0xffff
	s_lshl_b64 s[4:5], s[4:5], 1
	s_add_u32 s8, s10, s4
	s_mov_b32 s23, 0x20000
	s_addc_u32 s4, s11, s5
	s_and_b32 s9, s4, 0xffff
	s_mov_b32 s10, s22
	s_mov_b32 s11, s23
	buffer_load_dwordx4 v[6:9], v1, s[8:11], 0 offen glc slc
	buffer_load_dwordx4 v[2:5], v1, s[20:23], 0 offen
.LBB464_28:
	s_or_b64 exec, exec, s[0:1]
	s_waitcnt vmcnt(0)
	v_cvt_f32_u32_sdwa v13, v6 dst_sel:DWORD dst_unused:UNUSED_PAD src0_sel:WORD_1
	v_cvt_f32_u32_sdwa v12, v6 dst_sel:DWORD dst_unused:UNUSED_PAD src0_sel:WORD_0
	v_cvt_f32_u32_sdwa v6, v9 dst_sel:DWORD dst_unused:UNUSED_PAD src0_sel:WORD_1
	v_cvt_f32_u32_sdwa v9, v9 dst_sel:DWORD dst_unused:UNUSED_PAD src0_sel:WORD_0
	;; [unrolled: 2-line block ×4, first 2 shown]
	v_cndmask_b32_e32 v13, 0, v13, vcc
	v_cndmask_b32_e32 v7, 0, v6, vcc
	;; [unrolled: 1-line block ×5, first 2 shown]
	v_mul_f32_e32 v15, v13, v13
	v_cndmask_b32_e32 v10, 0, v10, vcc
	v_fmac_f32_e32 v15, v12, v12
	v_cndmask_b32_e32 v11, 0, v11, vcc
	v_fmac_f32_e32 v15, v10, v10
	;; [unrolled: 2-line block ×3, first 2 shown]
	v_fmac_f32_e32 v15, v8, v8
	v_fmac_f32_e32 v15, v9, v9
	;; [unrolled: 1-line block ×4, first 2 shown]
	s_nop 1
	v_mov_b32_dpp v16, v15 quad_perm:[1,0,3,2] row_mask:0xf bank_mask:0xf
	v_add_f32_e32 v15, v15, v16
	s_nop 1
	v_mov_b32_dpp v16, v15 quad_perm:[2,3,0,1] row_mask:0xf bank_mask:0xf
	v_add_f32_e32 v15, v15, v16
	s_nop 1
	v_mov_b32_dpp v16, v15 row_half_mirror row_mask:0xf bank_mask:0xf
	v_add_f32_e32 v15, v15, v16
	s_nop 1
	v_mov_b32_dpp v16, v15 row_mirror row_mask:0xf bank_mask:0xf
	v_add_f32_e32 v15, v15, v16
	s_nop 1
	v_mov_b32_dpp v16, v15 row_bcast:15 row_mask:0xf bank_mask:0xf
	v_add_f32_e32 v15, v15, v16
	s_nop 1
	v_mov_b32_dpp v16, v15 row_bcast:31 row_mask:0xf bank_mask:0xf
	s_and_saveexec_b64 s[0:1], s[2:3]
	s_cbranch_execz .LBB464_30
; %bb.29:
	v_lshrrev_b32_e32 v0, 4, v0
	v_add_f32_e32 v15, v15, v16
	v_and_b32_e32 v0, 60, v0
	ds_write_b32 v0, v15
.LBB464_30:
	s_or_b64 exec, exec, s[0:1]
	s_waitcnt lgkmcnt(0)
	s_barrier
	ds_read_b32 v0, v14
	s_waitcnt lgkmcnt(0)
	s_nop 0
	v_mov_b32_dpp v14, v0 quad_perm:[1,0,3,2] row_mask:0xf bank_mask:0xf
	v_add_f32_e32 v0, v0, v14
	s_nop 1
	v_mov_b32_dpp v14, v0 quad_perm:[2,3,0,1] row_mask:0xf bank_mask:0xf
	s_and_saveexec_b64 s[0:1], vcc
	s_cbranch_execz .LBB464_17
; %bb.31:
	v_cvt_f32_u32_e32 v15, s16
	v_add_f32_e32 v0, v0, v14
	s_mov_b32 s23, 0x20000
	v_div_scale_f32 v14, s[0:1], v15, v15, v0
	v_rcp_f32_e32 v16, v14
	v_div_scale_f32 v17, vcc, v0, v15, v0
	s_mov_b32 s0, 0x800000
	v_fma_f32 v18, -v14, v16, 1.0
	v_fmac_f32_e32 v16, v18, v16
	v_mul_f32_e32 v18, v17, v16
	v_fma_f32 v19, -v14, v18, v17
	v_fmac_f32_e32 v18, v19, v16
	v_fma_f32 v14, -v14, v18, v17
	v_div_fmas_f32 v14, v14, v16, v18
	v_div_fixup_f32 v0, v14, v15, v0
	v_add_f32_e32 v0, s13, v0
	v_mul_f32_e32 v14, 0x4b800000, v0
	v_cmp_gt_f32_e32 vcc, s0, v0
	v_cndmask_b32_e32 v0, v0, v14, vcc
	v_rsq_f32_e32 v0, v0
	s_mul_hi_i32 s1, s25, s6
	s_mul_i32 s0, s25, s6
	s_lshl_b64 s[0:1], s[0:1], 1
	v_mul_f32_e32 v14, 0x45800000, v0
	v_cndmask_b32_e32 v14, v0, v14, vcc
	s_add_u32 s20, s14, s0
	v_mov_b32_e32 v15, v14
	s_addc_u32 s0, s15, s1
	;;#ASMSTART
	v_pk_mul_f32 v[12:13], v[12:13], v[14:15]
	;;#ASMEND
	;;#ASMSTART
	v_pk_mul_f32 v[10:11], v[10:11], v[14:15]
	;;#ASMEND
	;; [unrolled: 3-line block ×4, first 2 shown]
	v_cvt_f32_u32_sdwa v15, v2 dst_sel:DWORD dst_unused:UNUSED_PAD src0_sel:WORD_1
	v_cvt_f32_u32_sdwa v14, v2 dst_sel:DWORD dst_unused:UNUSED_PAD src0_sel:WORD_0
	v_cvt_f32_u32_sdwa v17, v3 dst_sel:DWORD dst_unused:UNUSED_PAD src0_sel:WORD_1
	v_cvt_f32_u32_sdwa v16, v3 dst_sel:DWORD dst_unused:UNUSED_PAD src0_sel:WORD_0
	;; [unrolled: 2-line block ×4, first 2 shown]
	;;#ASMSTART
	v_pk_mul_f32 v[4:5], v[12:13], v[14:15]
	;;#ASMEND
	s_and_b32 s21, s0, 0xffff
	s_mov_b32 s0, 0x7060302
	;;#ASMSTART
	v_pk_mul_f32 v[10:11], v[10:11], v[16:17]
	;;#ASMEND
	;;#ASMSTART
	v_pk_mul_f32 v[8:9], v[8:9], v[2:3]
	;;#ASMEND
	;;#ASMSTART
	v_pk_mul_f32 v[6:7], v[6:7], v[18:19]
	;;#ASMEND
	v_perm_b32 v2, v5, v4, s0
	v_perm_b32 v3, v11, v10, s0
	;; [unrolled: 1-line block ×4, first 2 shown]
	buffer_store_dwordx4 v[2:5], v1, s[20:23], 0 offen
	;;#ASMSTART
	s_nop 0
	;;#ASMEND
	s_endpgm
	.section	.rodata,"a",@progbits
	.p2align	6, 0x0
	.amdhsa_kernel _ZN5aiter35fused_qk_rmsnorm_group_quant_kernelItN4opus5fp4_tELi256ELi8ELi16ELb1ELb1ELb0ELb1ELb0ELb0EEEvPT0_PvPT_S7_S7_PKS6_S9_S9_S9_S9_ffiiiiiiiiiiiii
		.amdhsa_group_segment_fixed_size 32
		.amdhsa_private_segment_fixed_size 0
		.amdhsa_kernarg_size 400
		.amdhsa_user_sgpr_count 6
		.amdhsa_user_sgpr_private_segment_buffer 1
		.amdhsa_user_sgpr_dispatch_ptr 0
		.amdhsa_user_sgpr_queue_ptr 0
		.amdhsa_user_sgpr_kernarg_segment_ptr 1
		.amdhsa_user_sgpr_dispatch_id 0
		.amdhsa_user_sgpr_flat_scratch_init 0
		.amdhsa_user_sgpr_kernarg_preload_length 0
		.amdhsa_user_sgpr_kernarg_preload_offset 0
		.amdhsa_user_sgpr_private_segment_size 0
		.amdhsa_uses_dynamic_stack 0
		.amdhsa_system_sgpr_private_segment_wavefront_offset 0
		.amdhsa_system_sgpr_workgroup_id_x 1
		.amdhsa_system_sgpr_workgroup_id_y 1
		.amdhsa_system_sgpr_workgroup_id_z 0
		.amdhsa_system_sgpr_workgroup_info 0
		.amdhsa_system_vgpr_workitem_id 0
		.amdhsa_next_free_vgpr 27
		.amdhsa_next_free_sgpr 44
		.amdhsa_accum_offset 28
		.amdhsa_reserve_vcc 1
		.amdhsa_reserve_flat_scratch 0
		.amdhsa_float_round_mode_32 0
		.amdhsa_float_round_mode_16_64 0
		.amdhsa_float_denorm_mode_32 3
		.amdhsa_float_denorm_mode_16_64 3
		.amdhsa_dx10_clamp 1
		.amdhsa_ieee_mode 1
		.amdhsa_fp16_overflow 0
		.amdhsa_tg_split 0
		.amdhsa_exception_fp_ieee_invalid_op 0
		.amdhsa_exception_fp_denorm_src 0
		.amdhsa_exception_fp_ieee_div_zero 0
		.amdhsa_exception_fp_ieee_overflow 0
		.amdhsa_exception_fp_ieee_underflow 0
		.amdhsa_exception_fp_ieee_inexact 0
		.amdhsa_exception_int_div_zero 0
	.end_amdhsa_kernel
	.section	.text._ZN5aiter35fused_qk_rmsnorm_group_quant_kernelItN4opus5fp4_tELi256ELi8ELi16ELb1ELb1ELb0ELb1ELb0ELb0EEEvPT0_PvPT_S7_S7_PKS6_S9_S9_S9_S9_ffiiiiiiiiiiiii,"axG",@progbits,_ZN5aiter35fused_qk_rmsnorm_group_quant_kernelItN4opus5fp4_tELi256ELi8ELi16ELb1ELb1ELb0ELb1ELb0ELb0EEEvPT0_PvPT_S7_S7_PKS6_S9_S9_S9_S9_ffiiiiiiiiiiiii,comdat
.Lfunc_end464:
	.size	_ZN5aiter35fused_qk_rmsnorm_group_quant_kernelItN4opus5fp4_tELi256ELi8ELi16ELb1ELb1ELb0ELb1ELb0ELb0EEEvPT0_PvPT_S7_S7_PKS6_S9_S9_S9_S9_ffiiiiiiiiiiiii, .Lfunc_end464-_ZN5aiter35fused_qk_rmsnorm_group_quant_kernelItN4opus5fp4_tELi256ELi8ELi16ELb1ELb1ELb0ELb1ELb0ELb0EEEvPT0_PvPT_S7_S7_PKS6_S9_S9_S9_S9_ffiiiiiiiiiiiii
                                        ; -- End function
	.section	.AMDGPU.csdata,"",@progbits
; Kernel info:
; codeLenInByte = 2452
; NumSgprs: 48
; NumVgprs: 27
; NumAgprs: 0
; TotalNumVgprs: 27
; ScratchSize: 0
; MemoryBound: 0
; FloatMode: 240
; IeeeMode: 1
; LDSByteSize: 32 bytes/workgroup (compile time only)
; SGPRBlocks: 5
; VGPRBlocks: 3
; NumSGPRsForWavesPerEU: 48
; NumVGPRsForWavesPerEU: 27
; AccumOffset: 28
; Occupancy: 8
; WaveLimiterHint : 0
; COMPUTE_PGM_RSRC2:SCRATCH_EN: 0
; COMPUTE_PGM_RSRC2:USER_SGPR: 6
; COMPUTE_PGM_RSRC2:TRAP_HANDLER: 0
; COMPUTE_PGM_RSRC2:TGID_X_EN: 1
; COMPUTE_PGM_RSRC2:TGID_Y_EN: 1
; COMPUTE_PGM_RSRC2:TGID_Z_EN: 0
; COMPUTE_PGM_RSRC2:TIDIG_COMP_CNT: 0
; COMPUTE_PGM_RSRC3_GFX90A:ACCUM_OFFSET: 6
; COMPUTE_PGM_RSRC3_GFX90A:TG_SPLIT: 0
	.section	.text._ZN5aiter35fused_qk_rmsnorm_group_quant_kernelIDF16_DB8_Li256ELi8ELi16ELb0ELb1ELb1ELb1ELb0ELb0EEEvPT0_PvPT_S6_S6_PKS5_S8_S8_S8_S8_ffiiiiiiiiiiiii,"axG",@progbits,_ZN5aiter35fused_qk_rmsnorm_group_quant_kernelIDF16_DB8_Li256ELi8ELi16ELb0ELb1ELb1ELb1ELb0ELb0EEEvPT0_PvPT_S6_S6_PKS5_S8_S8_S8_S8_ffiiiiiiiiiiiii,comdat
	.protected	_ZN5aiter35fused_qk_rmsnorm_group_quant_kernelIDF16_DB8_Li256ELi8ELi16ELb0ELb1ELb1ELb1ELb0ELb0EEEvPT0_PvPT_S6_S6_PKS5_S8_S8_S8_S8_ffiiiiiiiiiiiii ; -- Begin function _ZN5aiter35fused_qk_rmsnorm_group_quant_kernelIDF16_DB8_Li256ELi8ELi16ELb0ELb1ELb1ELb1ELb0ELb0EEEvPT0_PvPT_S6_S6_PKS5_S8_S8_S8_S8_ffiiiiiiiiiiiii
	.globl	_ZN5aiter35fused_qk_rmsnorm_group_quant_kernelIDF16_DB8_Li256ELi8ELi16ELb0ELb1ELb1ELb1ELb0ELb0EEEvPT0_PvPT_S6_S6_PKS5_S8_S8_S8_S8_ffiiiiiiiiiiiii
	.p2align	8
	.type	_ZN5aiter35fused_qk_rmsnorm_group_quant_kernelIDF16_DB8_Li256ELi8ELi16ELb0ELb1ELb1ELb1ELb0ELb0EEEvPT0_PvPT_S6_S6_PKS5_S8_S8_S8_S8_ffiiiiiiiiiiiii,@function
_ZN5aiter35fused_qk_rmsnorm_group_quant_kernelIDF16_DB8_Li256ELi8ELi16ELb0ELb1ELb1ELb1ELb0ELb0EEEvPT0_PvPT_S6_S6_PKS5_S8_S8_S8_S8_ffiiiiiiiiiiiii: ; @_ZN5aiter35fused_qk_rmsnorm_group_quant_kernelIDF16_DB8_Li256ELi8ELi16ELb0ELb1ELb1ELb1ELb0ELb0EEEvPT0_PvPT_S6_S6_PKS5_S8_S8_S8_S8_ffiiiiiiiiiiiii
; %bb.0:
	s_load_dwordx4 s[12:15], s[4:5], 0x50
	s_waitcnt lgkmcnt(0)
	s_cmp_ge_i32 s6, s14
	s_cbranch_scc1 .LBB465_12
; %bb.1:
	s_load_dwordx2 s[24:25], s[4:5], 0x30
	s_load_dwordx2 s[8:9], s[4:5], 0x48
	s_load_dwordx4 s[16:19], s[4:5], 0x60
	s_cmp_lg_u32 s7, 0
	s_cselect_b64 s[10:11], -1, 0
	s_cmp_eq_u32 s7, 0
	s_cselect_b64 vcc, -1, 0
	s_and_b64 s[0:1], vcc, exec
	s_waitcnt lgkmcnt(0)
	s_cselect_b32 s7, s15, s16
	s_add_i32 s0, s7, 1
	s_lshr_b32 s1, s0, 31
	s_add_i32 s0, s0, s1
	s_lshl_b32 s0, s0, 1
	v_lshlrev_b32_e32 v1, 3, v0
	s_and_b32 s22, s0, -4
	v_cmp_gt_i32_e64 s[2:3], s7, v1
	v_mov_b32_e32 v10, 0
	v_mov_b32_e32 v2, 0
	v_mov_b32_e32 v3, 0
	v_mov_b32_e32 v4, 0
	v_mov_b32_e32 v5, 0
	v_mov_b32_e32 v6, 0
	v_mov_b32_e32 v7, 0
	v_mov_b32_e32 v8, 0
	v_mov_b32_e32 v9, 0
	s_and_saveexec_b64 s[0:1], s[2:3]
	s_cbranch_execz .LBB465_3
; %bb.2:
	s_load_dwordx2 s[14:15], s[4:5], 0x28
	s_load_dwordx2 s[20:21], s[4:5], 0x40
	s_and_b64 s[26:27], vcc, exec
	s_cselect_b32 s17, s17, s18
	v_lshlrev_b32_e32 v11, 4, v0
	s_waitcnt lgkmcnt(0)
	s_cselect_b32 s19, s15, s25
	s_cselect_b32 s23, s14, s24
	s_mul_hi_i32 s15, s17, s6
	s_mul_i32 s14, s17, s6
	s_lshl_b64 s[14:15], s[14:15], 1
	s_add_u32 s28, s23, s14
	s_addc_u32 s17, s19, s15
	s_and_b64 s[14:15], vcc, exec
	s_mov_b32 s23, 0x20000
	s_cselect_b32 s20, s20, s8
	s_cselect_b32 s14, s21, s9
	s_and_b32 s29, s17, 0xffff
	s_mov_b32 s30, s22
	s_mov_b32 s31, s23
	s_and_b32 s21, s14, 0xffff
	buffer_load_dwordx4 v[6:9], v11, s[28:31], 0 offen glc slc
	buffer_load_dwordx4 v[2:5], v11, s[20:23], 0 offen
.LBB465_3:
	s_or_b64 exec, exec, s[0:1]
	v_mov_b32_e32 v11, 0
	v_mov_b32_e32 v14, 0
	;; [unrolled: 1-line block ×7, first 2 shown]
	s_and_saveexec_b64 s[0:1], s[2:3]
	s_cbranch_execz .LBB465_5
; %bb.4:
	s_waitcnt vmcnt(1)
	v_cvt_f32_f16_sdwa v11, v6 dst_sel:DWORD dst_unused:UNUSED_PAD src0_sel:WORD_1
	v_cvt_f32_f16_e32 v10, v6
	v_cvt_f32_f16_sdwa v15, v7 dst_sel:DWORD dst_unused:UNUSED_PAD src0_sel:WORD_1
	v_cvt_f32_f16_e32 v14, v7
	;; [unrolled: 2-line block ×4, first 2 shown]
.LBB465_5:
	s_or_b64 exec, exec, s[0:1]
	s_waitcnt vmcnt(1)
	v_mul_f32_e32 v6, v11, v11
	v_fmac_f32_e32 v6, v10, v10
	v_fmac_f32_e32 v6, v14, v14
	;; [unrolled: 1-line block ×7, first 2 shown]
	v_and_b32_e32 v8, 63, v0
	v_cmp_eq_u32_e64 s[0:1], 63, v8
	v_mov_b32_dpp v7, v6 quad_perm:[1,0,3,2] row_mask:0xf bank_mask:0xf
	v_add_f32_e32 v6, v6, v7
	s_nop 1
	v_mov_b32_dpp v7, v6 quad_perm:[2,3,0,1] row_mask:0xf bank_mask:0xf
	v_add_f32_e32 v6, v6, v7
	s_nop 1
	v_mov_b32_dpp v7, v6 row_half_mirror row_mask:0xf bank_mask:0xf
	v_add_f32_e32 v6, v6, v7
	s_nop 1
	v_mov_b32_dpp v7, v6 row_mirror row_mask:0xf bank_mask:0xf
	v_add_f32_e32 v6, v6, v7
	s_nop 1
	v_mov_b32_dpp v7, v6 row_bcast:15 row_mask:0xf bank_mask:0xf
	v_add_f32_e32 v6, v6, v7
	s_nop 1
	v_mov_b32_dpp v7, v6 row_bcast:31 row_mask:0xf bank_mask:0xf
	s_and_saveexec_b64 s[14:15], s[0:1]
	s_cbranch_execz .LBB465_7
; %bb.6:
	v_add_f32_e32 v6, v6, v7
	v_lshrrev_b32_e32 v7, 4, v0
	v_and_b32_e32 v7, 60, v7
	ds_write_b32 v7, v6 offset:16
.LBB465_7:
	s_or_b64 exec, exec, s[14:15]
	v_and_b32_e32 v6, 3, v0
	v_lshlrev_b32_e32 v18, 2, v6
	s_waitcnt lgkmcnt(0)
	s_barrier
	ds_read_b32 v6, v18 offset:16
	s_load_dwordx2 s[14:15], s[4:5], 0x18
	s_waitcnt lgkmcnt(0)
	v_mov_b32_dpp v7, v6 quad_perm:[1,0,3,2] row_mask:0xf bank_mask:0xf
	v_add_f32_e32 v6, v6, v7
	s_nop 1
	v_mov_b32_dpp v7, v6 quad_perm:[2,3,0,1] row_mask:0xf bank_mask:0xf
	s_and_saveexec_b64 s[20:21], s[2:3]
	s_cbranch_execz .LBB465_9
; %bb.8:
	v_cvt_f32_u32_e32 v8, s7
	v_add_f32_e32 v6, v6, v7
	v_mov_b32_e32 v19, s13
	v_mov_b32_e32 v20, s12
	v_div_scale_f32 v7, s[26:27], v8, v8, v6
	v_rcp_f32_e32 v9, v7
	v_cndmask_b32_e32 v19, v19, v20, vcc
	s_mov_b32 s7, 0x800000
	v_fma_f32 v20, -v7, v9, 1.0
	v_fmac_f32_e32 v9, v20, v9
	v_div_scale_f32 v20, vcc, v6, v8, v6
	v_mul_f32_e32 v21, v20, v9
	v_fma_f32 v22, -v7, v21, v20
	v_fmac_f32_e32 v21, v22, v9
	v_fma_f32 v7, -v7, v21, v20
	v_div_fmas_f32 v7, v7, v9, v21
	v_div_fixup_f32 v6, v7, v8, v6
	v_add_f32_e32 v6, v19, v6
	v_mul_f32_e32 v7, 0x4b800000, v6
	v_cmp_gt_f32_e32 vcc, s7, v6
	v_cndmask_b32_e32 v6, v6, v7, vcc
	v_rsq_f32_e32 v6, v6
	s_waitcnt vmcnt(0)
	v_cvt_f32_f16_sdwa v21, v3 dst_sel:DWORD dst_unused:UNUSED_PAD src0_sel:WORD_1
	v_cvt_f32_f16_e32 v20, v3
	v_mul_f32_e32 v7, 0x45800000, v6
	v_cndmask_b32_e32 v6, v6, v7, vcc
	v_mov_b32_e32 v7, v6
	;;#ASMSTART
	v_pk_mul_f32 v[8:9], v[10:11], v[6:7]
	;;#ASMEND
	v_cvt_f32_f16_sdwa v11, v2 dst_sel:DWORD dst_unused:UNUSED_PAD src0_sel:WORD_1
	v_cvt_f32_f16_e32 v10, v2
	;;#ASMSTART
	v_pk_mul_f32 v[14:15], v[14:15], v[6:7]
	;;#ASMEND
	;;#ASMSTART
	v_pk_mul_f32 v[16:17], v[16:17], v[6:7]
	;;#ASMEND
	;; [unrolled: 3-line block ×3, first 2 shown]
	v_pk_add_f32 v[6:7], v[10:11], 1.0 op_sel_hi:[1,0]
	;;#ASMSTART
	v_pk_mul_f32 v[10:11], v[8:9], v[6:7]
	;;#ASMEND
	v_cvt_f32_f16_sdwa v9, v4 dst_sel:DWORD dst_unused:UNUSED_PAD src0_sel:WORD_1
	v_cvt_f32_f16_e32 v8, v4
	v_cvt_f32_f16_sdwa v13, v5 dst_sel:DWORD dst_unused:UNUSED_PAD src0_sel:WORD_1
	v_cvt_f32_f16_e32 v12, v5
	v_pk_add_f32 v[6:7], v[20:21], 1.0 op_sel_hi:[1,0]
	v_pk_add_f32 v[4:5], v[8:9], 1.0 op_sel_hi:[1,0]
	;;#ASMSTART
	v_pk_mul_f32 v[14:15], v[14:15], v[6:7]
	;;#ASMEND
	;;#ASMSTART
	v_pk_mul_f32 v[16:17], v[16:17], v[4:5]
	;;#ASMEND
	v_pk_add_f32 v[4:5], v[12:13], 1.0 op_sel_hi:[1,0]
	;;#ASMSTART
	v_pk_mul_f32 v[12:13], v[2:3], v[4:5]
	;;#ASMEND
.LBB465_9:
	s_or_b64 exec, exec, s[20:21]
	s_load_dwordx2 s[26:27], s[4:5], 0x7c
	s_mov_b64 s[20:21], -1
	s_and_b64 vcc, exec, s[10:11]
	s_cbranch_vccnz .LBB465_13
; %bb.10:
	s_andn2_b64 vcc, exec, s[20:21]
	s_cbranch_vccz .LBB465_16
.LBB465_11:
	s_cmp_lt_i32 s16, 1
	s_cbranch_scc0 .LBB465_19
.LBB465_12:
	s_endpgm
.LBB465_13:
	s_and_saveexec_b64 s[10:11], s[2:3]
	s_cbranch_execz .LBB465_15
; %bb.14:
	s_waitcnt lgkmcnt(0)
	s_mul_hi_i32 s21, s27, s6
	s_mul_i32 s20, s27, s6
	s_waitcnt vmcnt(0)
	v_cvt_f16_f32_e32 v2, v10
	v_cvt_f16_f32_e32 v3, v14
	;; [unrolled: 1-line block ×8, first 2 shown]
	s_lshl_b64 s[20:21], s[20:21], 1
	s_add_u32 s20, s14, s20
	s_addc_u32 s7, s15, s21
	s_and_b32 s21, s7, 0xffff
	s_mov_b32 s23, 0x20000
	v_pack_b32_f16 v5, v5, v6
	v_pack_b32_f16 v4, v4, v7
	;; [unrolled: 1-line block ×4, first 2 shown]
	v_lshlrev_b32_e32 v6, 4, v0
	buffer_store_dwordx4 v[2:5], v6, s[20:23], 0 offen
	;;#ASMSTART
	s_nop 0
	;;#ASMEND
.LBB465_15:
	s_or_b64 exec, exec, s[10:11]
	s_cbranch_execnz .LBB465_11
.LBB465_16:
	s_and_saveexec_b64 s[10:11], s[2:3]
	s_cbranch_execz .LBB465_18
; %bb.17:
	s_load_dwordx2 s[2:3], s[4:5], 0x10
	s_waitcnt lgkmcnt(0)
	s_mul_hi_i32 s21, s26, s6
	s_mul_i32 s20, s26, s6
	s_waitcnt vmcnt(0)
	v_cvt_f16_f32_e32 v2, v10
	v_cvt_f16_f32_e32 v3, v14
	;; [unrolled: 1-line block ×8, first 2 shown]
	s_lshl_b64 s[20:21], s[20:21], 1
	s_add_u32 s20, s2, s20
	s_addc_u32 s2, s3, s21
	s_mov_b32 s23, 0x20000
	s_and_b32 s21, s2, 0xffff
	v_pack_b32_f16 v5, v5, v6
	v_pack_b32_f16 v4, v4, v7
	;; [unrolled: 1-line block ×4, first 2 shown]
	v_lshlrev_b32_e32 v6, 4, v0
	buffer_store_dwordx4 v[2:5], v6, s[20:23], 0 offen
	;;#ASMSTART
	s_nop 0
	;;#ASMEND
.LBB465_18:
	s_or_b64 exec, exec, s[10:11]
	s_cmp_lt_i32 s16, 1
	s_cbranch_scc1 .LBB465_12
.LBB465_19:
	s_load_dword s2, s[4:5], 0x94
	s_waitcnt lgkmcnt(0)
	s_cmp_lg_u32 s2, 1
	s_cbranch_scc1 .LBB465_12
; %bb.20:
	s_lshl_b32 s2, s16, 1
	s_add_i32 s2, s2, 2
	v_cmp_gt_u32_e32 vcc, s16, v1
	s_and_b32 s10, s2, -4
	v_mov_b32_e32 v10, 0
	v_lshlrev_b32_e32 v1, 4, v0
	v_mov_b32_e32 v6, 0
	v_mov_b32_e32 v7, 0
	;; [unrolled: 1-line block ×4, first 2 shown]
	s_waitcnt vmcnt(0)
	v_mov_b32_e32 v2, 0
	v_mov_b32_e32 v3, 0
	;; [unrolled: 1-line block ×4, first 2 shown]
	s_barrier
	s_and_saveexec_b64 s[2:3], vcc
	s_cbranch_execz .LBB465_22
; %bb.21:
	s_mul_hi_i32 s5, s18, s6
	s_mul_i32 s4, s18, s6
	s_and_b32 s9, s9, 0xffff
	s_lshl_b64 s[4:5], s[4:5], 1
	s_add_u32 s20, s24, s4
	s_mov_b32 s11, 0x20000
	s_addc_u32 s4, s25, s5
	s_and_b32 s21, s4, 0xffff
	s_mov_b32 s22, s10
	s_mov_b32 s23, s11
	buffer_load_dwordx4 v[6:9], v1, s[20:23], 0 offen glc slc
	buffer_load_dwordx4 v[2:5], v1, s[8:11], 0 offen
.LBB465_22:
	s_or_b64 exec, exec, s[2:3]
	v_mov_b32_e32 v11, 0
	v_mov_b32_e32 v16, 0
	;; [unrolled: 1-line block ×7, first 2 shown]
	s_and_saveexec_b64 s[2:3], vcc
	s_cbranch_execz .LBB465_24
; %bb.23:
	s_waitcnt vmcnt(1)
	v_cvt_f32_f16_sdwa v11, v6 dst_sel:DWORD dst_unused:UNUSED_PAD src0_sel:WORD_1
	v_cvt_f32_f16_e32 v10, v6
	v_cvt_f32_f16_sdwa v17, v7 dst_sel:DWORD dst_unused:UNUSED_PAD src0_sel:WORD_1
	v_cvt_f32_f16_e32 v16, v7
	;; [unrolled: 2-line block ×4, first 2 shown]
.LBB465_24:
	s_or_b64 exec, exec, s[2:3]
	s_waitcnt vmcnt(1)
	v_mul_f32_e32 v6, v11, v11
	v_fmac_f32_e32 v6, v10, v10
	v_fmac_f32_e32 v6, v16, v16
	;; [unrolled: 1-line block ×7, first 2 shown]
	s_nop 1
	v_mov_b32_dpp v7, v6 quad_perm:[1,0,3,2] row_mask:0xf bank_mask:0xf
	v_add_f32_e32 v6, v6, v7
	s_nop 1
	v_mov_b32_dpp v7, v6 quad_perm:[2,3,0,1] row_mask:0xf bank_mask:0xf
	v_add_f32_e32 v6, v6, v7
	s_nop 1
	v_mov_b32_dpp v7, v6 row_half_mirror row_mask:0xf bank_mask:0xf
	v_add_f32_e32 v6, v6, v7
	s_nop 1
	v_mov_b32_dpp v7, v6 row_mirror row_mask:0xf bank_mask:0xf
	v_add_f32_e32 v6, v6, v7
	s_nop 1
	v_mov_b32_dpp v7, v6 row_bcast:15 row_mask:0xf bank_mask:0xf
	v_add_f32_e32 v6, v6, v7
	s_nop 1
	v_mov_b32_dpp v7, v6 row_bcast:31 row_mask:0xf bank_mask:0xf
	s_and_saveexec_b64 s[2:3], s[0:1]
	s_cbranch_execz .LBB465_26
; %bb.25:
	v_lshrrev_b32_e32 v0, 4, v0
	v_add_f32_e32 v6, v6, v7
	v_and_b32_e32 v0, 60, v0
	ds_write_b32 v0, v6
.LBB465_26:
	s_or_b64 exec, exec, s[2:3]
	s_waitcnt lgkmcnt(0)
	s_barrier
	ds_read_b32 v0, v18
	s_waitcnt lgkmcnt(0)
	s_nop 0
	v_mov_b32_dpp v6, v0 quad_perm:[1,0,3,2] row_mask:0xf bank_mask:0xf
	v_add_f32_e32 v0, v0, v6
	s_nop 1
	v_mov_b32_dpp v6, v0 quad_perm:[2,3,0,1] row_mask:0xf bank_mask:0xf
	s_and_saveexec_b64 s[0:1], vcc
	s_cbranch_execz .LBB465_12
; %bb.27:
	v_cvt_f32_u32_e32 v7, s16
	v_add_f32_e32 v0, v0, v6
	s_mov_b32 s11, 0x20000
	v_div_scale_f32 v6, s[0:1], v7, v7, v0
	v_rcp_f32_e32 v8, v6
	v_div_scale_f32 v9, vcc, v0, v7, v0
	s_mov_b32 s0, 0x800000
	v_fma_f32 v18, -v6, v8, 1.0
	v_fmac_f32_e32 v8, v18, v8
	v_mul_f32_e32 v18, v9, v8
	v_fma_f32 v19, -v6, v18, v9
	v_fmac_f32_e32 v18, v19, v8
	v_fma_f32 v6, -v6, v18, v9
	v_div_fmas_f32 v6, v6, v8, v18
	v_div_fixup_f32 v0, v6, v7, v0
	v_add_f32_e32 v0, s13, v0
	v_mul_f32_e32 v6, 0x4b800000, v0
	v_cmp_gt_f32_e32 vcc, s0, v0
	v_cndmask_b32_e32 v0, v0, v6, vcc
	v_rsq_f32_e32 v0, v0
	s_waitcnt vmcnt(0)
	v_cvt_f32_f16_sdwa v19, v3 dst_sel:DWORD dst_unused:UNUSED_PAD src0_sel:WORD_1
	v_cvt_f32_f16_e32 v18, v3
	s_mul_hi_i32 s1, s27, s6
	v_mul_f32_e32 v6, 0x45800000, v0
	v_cndmask_b32_e32 v6, v0, v6, vcc
	v_mov_b32_e32 v7, v6
	;;#ASMSTART
	v_pk_mul_f32 v[8:9], v[10:11], v[6:7]
	;;#ASMEND
	;;#ASMSTART
	v_pk_mul_f32 v[10:11], v[16:17], v[6:7]
	;;#ASMEND
	v_cvt_f32_f16_sdwa v17, v2 dst_sel:DWORD dst_unused:UNUSED_PAD src0_sel:WORD_1
	v_cvt_f32_f16_e32 v16, v2
	;;#ASMSTART
	v_pk_mul_f32 v[14:15], v[14:15], v[6:7]
	;;#ASMEND
	;;#ASMSTART
	v_pk_mul_f32 v[2:3], v[12:13], v[6:7]
	;;#ASMEND
	v_cvt_f32_f16_sdwa v13, v4 dst_sel:DWORD dst_unused:UNUSED_PAD src0_sel:WORD_1
	v_cvt_f32_f16_e32 v12, v4
	v_pk_add_f32 v[6:7], v[16:17], 1.0 op_sel_hi:[1,0]
	v_cvt_f32_f16_sdwa v17, v5 dst_sel:DWORD dst_unused:UNUSED_PAD src0_sel:WORD_1
	v_cvt_f32_f16_e32 v16, v5
	;;#ASMSTART
	v_pk_mul_f32 v[6:7], v[8:9], v[6:7]
	;;#ASMEND
	v_pk_add_f32 v[8:9], v[18:19], 1.0 op_sel_hi:[1,0]
	;;#ASMSTART
	v_pk_mul_f32 v[4:5], v[10:11], v[8:9]
	;;#ASMEND
	v_pk_add_f32 v[8:9], v[12:13], 1.0 op_sel_hi:[1,0]
	;; [unrolled: 4-line block ×3, first 2 shown]
	;;#ASMSTART
	v_pk_mul_f32 v[2:3], v[2:3], v[10:11]
	;;#ASMEND
	s_mul_i32 s0, s27, s6
	v_cvt_f16_f32_e32 v0, v6
	v_cvt_f16_f32_e32 v6, v7
	;; [unrolled: 1-line block ×8, first 2 shown]
	s_lshl_b64 s[0:1], s[0:1], 1
	s_add_u32 s8, s14, s0
	s_addc_u32 s0, s15, s1
	s_and_b32 s9, s0, 0xffff
	v_pack_b32_f16 v2, v0, v6
	v_pack_b32_f16 v3, v4, v5
	;; [unrolled: 1-line block ×4, first 2 shown]
	buffer_store_dwordx4 v[2:5], v1, s[8:11], 0 offen
	;;#ASMSTART
	s_nop 0
	;;#ASMEND
	s_endpgm
	.section	.rodata,"a",@progbits
	.p2align	6, 0x0
	.amdhsa_kernel _ZN5aiter35fused_qk_rmsnorm_group_quant_kernelIDF16_DB8_Li256ELi8ELi16ELb0ELb1ELb1ELb1ELb0ELb0EEEvPT0_PvPT_S6_S6_PKS5_S8_S8_S8_S8_ffiiiiiiiiiiiii
		.amdhsa_group_segment_fixed_size 32
		.amdhsa_private_segment_fixed_size 0
		.amdhsa_kernarg_size 400
		.amdhsa_user_sgpr_count 6
		.amdhsa_user_sgpr_private_segment_buffer 1
		.amdhsa_user_sgpr_dispatch_ptr 0
		.amdhsa_user_sgpr_queue_ptr 0
		.amdhsa_user_sgpr_kernarg_segment_ptr 1
		.amdhsa_user_sgpr_dispatch_id 0
		.amdhsa_user_sgpr_flat_scratch_init 0
		.amdhsa_user_sgpr_kernarg_preload_length 0
		.amdhsa_user_sgpr_kernarg_preload_offset 0
		.amdhsa_user_sgpr_private_segment_size 0
		.amdhsa_uses_dynamic_stack 0
		.amdhsa_system_sgpr_private_segment_wavefront_offset 0
		.amdhsa_system_sgpr_workgroup_id_x 1
		.amdhsa_system_sgpr_workgroup_id_y 1
		.amdhsa_system_sgpr_workgroup_id_z 0
		.amdhsa_system_sgpr_workgroup_info 0
		.amdhsa_system_vgpr_workitem_id 0
		.amdhsa_next_free_vgpr 23
		.amdhsa_next_free_sgpr 32
		.amdhsa_accum_offset 24
		.amdhsa_reserve_vcc 1
		.amdhsa_reserve_flat_scratch 0
		.amdhsa_float_round_mode_32 0
		.amdhsa_float_round_mode_16_64 0
		.amdhsa_float_denorm_mode_32 3
		.amdhsa_float_denorm_mode_16_64 3
		.amdhsa_dx10_clamp 1
		.amdhsa_ieee_mode 1
		.amdhsa_fp16_overflow 0
		.amdhsa_tg_split 0
		.amdhsa_exception_fp_ieee_invalid_op 0
		.amdhsa_exception_fp_denorm_src 0
		.amdhsa_exception_fp_ieee_div_zero 0
		.amdhsa_exception_fp_ieee_overflow 0
		.amdhsa_exception_fp_ieee_underflow 0
		.amdhsa_exception_fp_ieee_inexact 0
		.amdhsa_exception_int_div_zero 0
	.end_amdhsa_kernel
	.section	.text._ZN5aiter35fused_qk_rmsnorm_group_quant_kernelIDF16_DB8_Li256ELi8ELi16ELb0ELb1ELb1ELb1ELb0ELb0EEEvPT0_PvPT_S6_S6_PKS5_S8_S8_S8_S8_ffiiiiiiiiiiiii,"axG",@progbits,_ZN5aiter35fused_qk_rmsnorm_group_quant_kernelIDF16_DB8_Li256ELi8ELi16ELb0ELb1ELb1ELb1ELb0ELb0EEEvPT0_PvPT_S6_S6_PKS5_S8_S8_S8_S8_ffiiiiiiiiiiiii,comdat
.Lfunc_end465:
	.size	_ZN5aiter35fused_qk_rmsnorm_group_quant_kernelIDF16_DB8_Li256ELi8ELi16ELb0ELb1ELb1ELb1ELb0ELb0EEEvPT0_PvPT_S6_S6_PKS5_S8_S8_S8_S8_ffiiiiiiiiiiiii, .Lfunc_end465-_ZN5aiter35fused_qk_rmsnorm_group_quant_kernelIDF16_DB8_Li256ELi8ELi16ELb0ELb1ELb1ELb1ELb0ELb0EEEvPT0_PvPT_S6_S6_PKS5_S8_S8_S8_S8_ffiiiiiiiiiiiii
                                        ; -- End function
	.section	.AMDGPU.csdata,"",@progbits
; Kernel info:
; codeLenInByte = 2100
; NumSgprs: 36
; NumVgprs: 23
; NumAgprs: 0
; TotalNumVgprs: 23
; ScratchSize: 0
; MemoryBound: 0
; FloatMode: 240
; IeeeMode: 1
; LDSByteSize: 32 bytes/workgroup (compile time only)
; SGPRBlocks: 4
; VGPRBlocks: 2
; NumSGPRsForWavesPerEU: 36
; NumVGPRsForWavesPerEU: 23
; AccumOffset: 24
; Occupancy: 8
; WaveLimiterHint : 0
; COMPUTE_PGM_RSRC2:SCRATCH_EN: 0
; COMPUTE_PGM_RSRC2:USER_SGPR: 6
; COMPUTE_PGM_RSRC2:TRAP_HANDLER: 0
; COMPUTE_PGM_RSRC2:TGID_X_EN: 1
; COMPUTE_PGM_RSRC2:TGID_Y_EN: 1
; COMPUTE_PGM_RSRC2:TGID_Z_EN: 0
; COMPUTE_PGM_RSRC2:TIDIG_COMP_CNT: 0
; COMPUTE_PGM_RSRC3_GFX90A:ACCUM_OFFSET: 5
; COMPUTE_PGM_RSRC3_GFX90A:TG_SPLIT: 0
	.section	.text._ZN5aiter35fused_qk_rmsnorm_group_quant_kernelItDB8_Li256ELi8ELi16ELb0ELb1ELb1ELb1ELb0ELb0EEEvPT0_PvPT_S6_S6_PKS5_S8_S8_S8_S8_ffiiiiiiiiiiiii,"axG",@progbits,_ZN5aiter35fused_qk_rmsnorm_group_quant_kernelItDB8_Li256ELi8ELi16ELb0ELb1ELb1ELb1ELb0ELb0EEEvPT0_PvPT_S6_S6_PKS5_S8_S8_S8_S8_ffiiiiiiiiiiiii,comdat
	.protected	_ZN5aiter35fused_qk_rmsnorm_group_quant_kernelItDB8_Li256ELi8ELi16ELb0ELb1ELb1ELb1ELb0ELb0EEEvPT0_PvPT_S6_S6_PKS5_S8_S8_S8_S8_ffiiiiiiiiiiiii ; -- Begin function _ZN5aiter35fused_qk_rmsnorm_group_quant_kernelItDB8_Li256ELi8ELi16ELb0ELb1ELb1ELb1ELb0ELb0EEEvPT0_PvPT_S6_S6_PKS5_S8_S8_S8_S8_ffiiiiiiiiiiiii
	.globl	_ZN5aiter35fused_qk_rmsnorm_group_quant_kernelItDB8_Li256ELi8ELi16ELb0ELb1ELb1ELb1ELb0ELb0EEEvPT0_PvPT_S6_S6_PKS5_S8_S8_S8_S8_ffiiiiiiiiiiiii
	.p2align	8
	.type	_ZN5aiter35fused_qk_rmsnorm_group_quant_kernelItDB8_Li256ELi8ELi16ELb0ELb1ELb1ELb1ELb0ELb0EEEvPT0_PvPT_S6_S6_PKS5_S8_S8_S8_S8_ffiiiiiiiiiiiii,@function
_ZN5aiter35fused_qk_rmsnorm_group_quant_kernelItDB8_Li256ELi8ELi16ELb0ELb1ELb1ELb1ELb0ELb0EEEvPT0_PvPT_S6_S6_PKS5_S8_S8_S8_S8_ffiiiiiiiiiiiii: ; @_ZN5aiter35fused_qk_rmsnorm_group_quant_kernelItDB8_Li256ELi8ELi16ELb0ELb1ELb1ELb1ELb0ELb0EEEvPT0_PvPT_S6_S6_PKS5_S8_S8_S8_S8_ffiiiiiiiiiiiii
; %bb.0:
	s_load_dwordx4 s[12:15], s[4:5], 0x50
	s_waitcnt lgkmcnt(0)
	s_cmp_ge_i32 s6, s14
	s_cbranch_scc1 .LBB466_10
; %bb.1:
	s_load_dwordx2 s[24:25], s[4:5], 0x30
	s_load_dwordx2 s[8:9], s[4:5], 0x48
	s_load_dwordx4 s[16:19], s[4:5], 0x60
	s_cmp_lg_u32 s7, 0
	s_cselect_b64 s[10:11], -1, 0
	s_cmp_eq_u32 s7, 0
	s_cselect_b64 vcc, -1, 0
	s_and_b64 s[0:1], vcc, exec
	s_waitcnt lgkmcnt(0)
	s_cselect_b32 s7, s15, s16
	s_add_i32 s0, s7, 1
	s_lshr_b32 s1, s0, 31
	s_add_i32 s0, s0, s1
	s_lshl_b32 s0, s0, 1
	v_lshlrev_b32_e32 v1, 3, v0
	s_and_b32 s22, s0, -4
	v_cmp_gt_i32_e64 s[2:3], s7, v1
	v_mov_b32_e32 v2, 0
	v_mov_b32_e32 v3, 0
	v_mov_b32_e32 v4, 0
	v_mov_b32_e32 v5, 0
	v_mov_b32_e32 v6, 0
	v_mov_b32_e32 v7, 0
	v_mov_b32_e32 v8, 0
	v_mov_b32_e32 v9, 0
	s_and_saveexec_b64 s[0:1], s[2:3]
	s_cbranch_execz .LBB466_3
; %bb.2:
	s_load_dwordx2 s[14:15], s[4:5], 0x28
	s_load_dwordx2 s[20:21], s[4:5], 0x40
	s_and_b64 s[26:27], vcc, exec
	s_cselect_b32 s17, s17, s18
	v_lshlrev_b32_e32 v10, 4, v0
	s_waitcnt lgkmcnt(0)
	s_cselect_b32 s19, s15, s25
	s_cselect_b32 s23, s14, s24
	s_mul_hi_i32 s15, s17, s6
	s_mul_i32 s14, s17, s6
	s_lshl_b64 s[14:15], s[14:15], 1
	s_add_u32 s28, s23, s14
	s_addc_u32 s17, s19, s15
	s_and_b64 s[14:15], vcc, exec
	s_mov_b32 s23, 0x20000
	s_cselect_b32 s20, s20, s8
	s_cselect_b32 s14, s21, s9
	s_and_b32 s29, s17, 0xffff
	s_mov_b32 s30, s22
	s_mov_b32 s31, s23
	s_and_b32 s21, s14, 0xffff
	buffer_load_dwordx4 v[6:9], v10, s[28:31], 0 offen glc slc
	buffer_load_dwordx4 v[2:5], v10, s[20:23], 0 offen
.LBB466_3:
	s_or_b64 exec, exec, s[0:1]
	s_waitcnt vmcnt(1)
	v_cvt_f32_u32_sdwa v14, v6 dst_sel:DWORD dst_unused:UNUSED_PAD src0_sel:WORD_0
	v_cvt_f32_u32_sdwa v15, v6 dst_sel:DWORD dst_unused:UNUSED_PAD src0_sel:WORD_1
	v_cvt_f32_u32_sdwa v6, v9 dst_sel:DWORD dst_unused:UNUSED_PAD src0_sel:WORD_1
	v_cvt_f32_u32_sdwa v9, v9 dst_sel:DWORD dst_unused:UNUSED_PAD src0_sel:WORD_0
	v_cvt_f32_u32_sdwa v10, v8 dst_sel:DWORD dst_unused:UNUSED_PAD src0_sel:WORD_1
	v_cvt_f32_u32_sdwa v8, v8 dst_sel:DWORD dst_unused:UNUSED_PAD src0_sel:WORD_0
	v_cvt_f32_u32_sdwa v12, v7 dst_sel:DWORD dst_unused:UNUSED_PAD src0_sel:WORD_0
	v_cvt_f32_u32_sdwa v13, v7 dst_sel:DWORD dst_unused:UNUSED_PAD src0_sel:WORD_1
	v_cndmask_b32_e64 v7, 0, v6, s[2:3]
	v_cndmask_b32_e64 v6, 0, v9, s[2:3]
	;; [unrolled: 1-line block ×6, first 2 shown]
	v_mul_f32_e32 v14, v9, v9
	v_cndmask_b32_e64 v12, 0, v12, s[2:3]
	v_fmac_f32_e32 v14, v8, v8
	v_cndmask_b32_e64 v13, 0, v13, s[2:3]
	v_fmac_f32_e32 v14, v12, v12
	v_fmac_f32_e32 v14, v13, v13
	;; [unrolled: 1-line block ×6, first 2 shown]
	v_and_b32_e32 v16, 63, v0
	v_cmp_eq_u32_e64 s[0:1], 63, v16
	v_mov_b32_dpp v15, v14 quad_perm:[1,0,3,2] row_mask:0xf bank_mask:0xf
	v_add_f32_e32 v14, v14, v15
	s_nop 1
	v_mov_b32_dpp v15, v14 quad_perm:[2,3,0,1] row_mask:0xf bank_mask:0xf
	v_add_f32_e32 v14, v14, v15
	s_nop 1
	v_mov_b32_dpp v15, v14 row_half_mirror row_mask:0xf bank_mask:0xf
	v_add_f32_e32 v14, v14, v15
	s_nop 1
	v_mov_b32_dpp v15, v14 row_mirror row_mask:0xf bank_mask:0xf
	v_add_f32_e32 v14, v14, v15
	s_nop 1
	v_mov_b32_dpp v15, v14 row_bcast:15 row_mask:0xf bank_mask:0xf
	v_add_f32_e32 v14, v14, v15
	s_nop 1
	v_mov_b32_dpp v15, v14 row_bcast:31 row_mask:0xf bank_mask:0xf
	s_and_saveexec_b64 s[14:15], s[0:1]
	s_cbranch_execz .LBB466_5
; %bb.4:
	v_add_f32_e32 v14, v14, v15
	v_lshrrev_b32_e32 v15, 4, v0
	v_and_b32_e32 v15, 60, v15
	ds_write_b32 v15, v14 offset:16
.LBB466_5:
	s_or_b64 exec, exec, s[14:15]
	v_and_b32_e32 v14, 3, v0
	v_lshlrev_b32_e32 v14, 2, v14
	s_waitcnt lgkmcnt(0)
	s_barrier
	ds_read_b32 v15, v14 offset:16
	s_load_dwordx2 s[14:15], s[4:5], 0x18
	s_waitcnt lgkmcnt(0)
	v_mov_b32_dpp v16, v15 quad_perm:[1,0,3,2] row_mask:0xf bank_mask:0xf
	v_add_f32_e32 v15, v15, v16
	s_nop 1
	v_mov_b32_dpp v16, v15 quad_perm:[2,3,0,1] row_mask:0xf bank_mask:0xf
	s_and_saveexec_b64 s[20:21], s[2:3]
	s_cbranch_execz .LBB466_7
; %bb.6:
	v_cvt_f32_u32_e32 v17, s7
	v_add_f32_e32 v15, v15, v16
	v_mov_b32_e32 v19, s13
	v_mov_b32_e32 v20, s12
	v_div_scale_f32 v16, s[26:27], v17, v17, v15
	v_rcp_f32_e32 v18, v16
	v_cndmask_b32_e32 v19, v19, v20, vcc
	s_mov_b32 s7, 0x800000
	v_fma_f32 v20, -v16, v18, 1.0
	v_fmac_f32_e32 v18, v20, v18
	v_div_scale_f32 v20, vcc, v15, v17, v15
	v_mul_f32_e32 v21, v20, v18
	v_fma_f32 v22, -v16, v21, v20
	v_fmac_f32_e32 v21, v22, v18
	v_fma_f32 v16, -v16, v21, v20
	v_div_fmas_f32 v16, v16, v18, v21
	v_div_fixup_f32 v15, v16, v17, v15
	v_add_f32_e32 v15, v19, v15
	v_mul_f32_e32 v16, 0x4b800000, v15
	v_cmp_gt_f32_e32 vcc, s7, v15
	v_cndmask_b32_e32 v15, v15, v16, vcc
	v_rsq_f32_e32 v15, v15
	s_waitcnt vmcnt(0)
	v_cvt_f32_u32_sdwa v19, v2 dst_sel:DWORD dst_unused:UNUSED_PAD src0_sel:WORD_1
	v_cvt_f32_u32_sdwa v18, v2 dst_sel:DWORD dst_unused:UNUSED_PAD src0_sel:WORD_0
	v_cvt_f32_u32_sdwa v21, v3 dst_sel:DWORD dst_unused:UNUSED_PAD src0_sel:WORD_1
	v_mul_f32_e32 v16, 0x45800000, v15
	v_cndmask_b32_e32 v16, v15, v16, vcc
	v_mov_b32_e32 v17, v16
	;;#ASMSTART
	v_pk_mul_f32 v[8:9], v[8:9], v[16:17]
	;;#ASMEND
	;;#ASMSTART
	v_pk_mul_f32 v[12:13], v[12:13], v[16:17]
	;;#ASMEND
	;; [unrolled: 3-line block ×3, first 2 shown]
	v_cvt_f32_u32_sdwa v20, v3 dst_sel:DWORD dst_unused:UNUSED_PAD src0_sel:WORD_0
	;;#ASMSTART
	v_pk_mul_f32 v[2:3], v[6:7], v[16:17]
	;;#ASMEND
	v_cvt_f32_u32_sdwa v17, v4 dst_sel:DWORD dst_unused:UNUSED_PAD src0_sel:WORD_1
	v_cvt_f32_u32_sdwa v16, v4 dst_sel:DWORD dst_unused:UNUSED_PAD src0_sel:WORD_0
	v_pk_add_f32 v[6:7], v[18:19], 1.0 op_sel_hi:[1,0]
	v_cvt_f32_u32_sdwa v19, v5 dst_sel:DWORD dst_unused:UNUSED_PAD src0_sel:WORD_1
	v_cvt_f32_u32_sdwa v18, v5 dst_sel:DWORD dst_unused:UNUSED_PAD src0_sel:WORD_0
	;;#ASMSTART
	v_pk_mul_f32 v[8:9], v[8:9], v[6:7]
	;;#ASMEND
	v_pk_add_f32 v[6:7], v[20:21], 1.0 op_sel_hi:[1,0]
	v_pk_add_f32 v[4:5], v[16:17], 1.0 op_sel_hi:[1,0]
	;;#ASMSTART
	v_pk_mul_f32 v[12:13], v[12:13], v[6:7]
	;;#ASMEND
	;;#ASMSTART
	v_pk_mul_f32 v[10:11], v[10:11], v[4:5]
	;;#ASMEND
	v_pk_add_f32 v[4:5], v[18:19], 1.0 op_sel_hi:[1,0]
	;;#ASMSTART
	v_pk_mul_f32 v[6:7], v[2:3], v[4:5]
	;;#ASMEND
.LBB466_7:
	s_or_b64 exec, exec, s[20:21]
	s_load_dwordx2 s[26:27], s[4:5], 0x7c
	s_mov_b64 s[20:21], -1
	s_and_b64 vcc, exec, s[10:11]
	s_cbranch_vccnz .LBB466_11
; %bb.8:
	s_andn2_b64 vcc, exec, s[20:21]
	s_cbranch_vccz .LBB466_14
.LBB466_9:
	s_cmp_lt_i32 s16, 1
	s_cbranch_scc0 .LBB466_17
.LBB466_10:
	s_endpgm
.LBB466_11:
	s_and_saveexec_b64 s[10:11], s[2:3]
	s_cbranch_execz .LBB466_13
; %bb.12:
	s_waitcnt lgkmcnt(0)
	s_mul_hi_i32 s21, s27, s6
	s_mul_i32 s20, s27, s6
	s_lshl_b64 s[20:21], s[20:21], 1
	s_add_u32 s20, s14, s20
	s_addc_u32 s7, s15, s21
	s_and_b32 s21, s7, 0xffff
	s_mov_b32 s7, 0x7060302
	s_mov_b32 s23, 0x20000
	s_waitcnt vmcnt(0)
	v_perm_b32 v2, v9, v8, s7
	v_perm_b32 v3, v13, v12, s7
	;; [unrolled: 1-line block ×4, first 2 shown]
	v_lshlrev_b32_e32 v15, 4, v0
	buffer_store_dwordx4 v[2:5], v15, s[20:23], 0 offen
	;;#ASMSTART
	s_nop 0
	;;#ASMEND
.LBB466_13:
	s_or_b64 exec, exec, s[10:11]
	s_cbranch_execnz .LBB466_9
.LBB466_14:
	s_and_saveexec_b64 s[10:11], s[2:3]
	s_cbranch_execz .LBB466_16
; %bb.15:
	s_load_dwordx2 s[2:3], s[4:5], 0x10
	s_waitcnt lgkmcnt(0)
	s_mul_hi_i32 s21, s26, s6
	s_mul_i32 s20, s26, s6
	s_lshl_b64 s[20:21], s[20:21], 1
	s_mov_b32 s23, 0x20000
	s_add_u32 s20, s2, s20
	s_addc_u32 s2, s3, s21
	s_and_b32 s21, s2, 0xffff
	s_mov_b32 s2, 0x7060302
	s_waitcnt vmcnt(0)
	v_perm_b32 v2, v9, v8, s2
	v_perm_b32 v3, v13, v12, s2
	;; [unrolled: 1-line block ×4, first 2 shown]
	v_lshlrev_b32_e32 v6, 4, v0
	buffer_store_dwordx4 v[2:5], v6, s[20:23], 0 offen
	;;#ASMSTART
	s_nop 0
	;;#ASMEND
.LBB466_16:
	s_or_b64 exec, exec, s[10:11]
	s_cmp_lt_i32 s16, 1
	s_cbranch_scc1 .LBB466_10
.LBB466_17:
	s_load_dword s2, s[4:5], 0x94
	s_waitcnt lgkmcnt(0)
	s_cmp_lg_u32 s2, 1
	s_cbranch_scc1 .LBB466_10
; %bb.18:
	s_lshl_b32 s2, s16, 1
	s_add_i32 s2, s2, 2
	v_cmp_gt_u32_e32 vcc, s16, v1
	s_and_b32 s10, s2, -4
	v_mov_b32_e32 v6, 0
	v_lshlrev_b32_e32 v1, 4, v0
	v_mov_b32_e32 v7, 0
	v_mov_b32_e32 v8, 0
	;; [unrolled: 1-line block ×3, first 2 shown]
	s_waitcnt vmcnt(0)
	v_mov_b32_e32 v2, 0
	v_mov_b32_e32 v3, 0
	;; [unrolled: 1-line block ×4, first 2 shown]
	s_barrier
	s_and_saveexec_b64 s[2:3], vcc
	s_cbranch_execz .LBB466_20
; %bb.19:
	s_mul_hi_i32 s5, s18, s6
	s_mul_i32 s4, s18, s6
	s_and_b32 s9, s9, 0xffff
	s_lshl_b64 s[4:5], s[4:5], 1
	s_add_u32 s20, s24, s4
	s_mov_b32 s11, 0x20000
	s_addc_u32 s4, s25, s5
	s_and_b32 s21, s4, 0xffff
	s_mov_b32 s22, s10
	s_mov_b32 s23, s11
	buffer_load_dwordx4 v[6:9], v1, s[20:23], 0 offen glc slc
	buffer_load_dwordx4 v[2:5], v1, s[8:11], 0 offen
.LBB466_20:
	s_or_b64 exec, exec, s[2:3]
	s_waitcnt vmcnt(1)
	v_cvt_f32_u32_sdwa v13, v6 dst_sel:DWORD dst_unused:UNUSED_PAD src0_sel:WORD_1
	v_cvt_f32_u32_sdwa v12, v6 dst_sel:DWORD dst_unused:UNUSED_PAD src0_sel:WORD_0
	v_cvt_f32_u32_sdwa v6, v9 dst_sel:DWORD dst_unused:UNUSED_PAD src0_sel:WORD_1
	v_cvt_f32_u32_sdwa v9, v9 dst_sel:DWORD dst_unused:UNUSED_PAD src0_sel:WORD_0
	;; [unrolled: 2-line block ×4, first 2 shown]
	v_cndmask_b32_e32 v13, 0, v13, vcc
	v_cndmask_b32_e32 v7, 0, v6, vcc
	;; [unrolled: 1-line block ×5, first 2 shown]
	v_mul_f32_e32 v15, v13, v13
	v_cndmask_b32_e32 v10, 0, v10, vcc
	v_fmac_f32_e32 v15, v12, v12
	v_cndmask_b32_e32 v11, 0, v11, vcc
	v_fmac_f32_e32 v15, v10, v10
	;; [unrolled: 2-line block ×3, first 2 shown]
	v_fmac_f32_e32 v15, v8, v8
	v_fmac_f32_e32 v15, v9, v9
	;; [unrolled: 1-line block ×4, first 2 shown]
	s_nop 1
	v_mov_b32_dpp v16, v15 quad_perm:[1,0,3,2] row_mask:0xf bank_mask:0xf
	v_add_f32_e32 v15, v15, v16
	s_nop 1
	v_mov_b32_dpp v16, v15 quad_perm:[2,3,0,1] row_mask:0xf bank_mask:0xf
	v_add_f32_e32 v15, v15, v16
	s_nop 1
	v_mov_b32_dpp v16, v15 row_half_mirror row_mask:0xf bank_mask:0xf
	v_add_f32_e32 v15, v15, v16
	s_nop 1
	v_mov_b32_dpp v16, v15 row_mirror row_mask:0xf bank_mask:0xf
	v_add_f32_e32 v15, v15, v16
	s_nop 1
	v_mov_b32_dpp v16, v15 row_bcast:15 row_mask:0xf bank_mask:0xf
	v_add_f32_e32 v15, v15, v16
	s_nop 1
	v_mov_b32_dpp v16, v15 row_bcast:31 row_mask:0xf bank_mask:0xf
	s_and_saveexec_b64 s[2:3], s[0:1]
	s_cbranch_execz .LBB466_22
; %bb.21:
	v_lshrrev_b32_e32 v0, 4, v0
	v_add_f32_e32 v15, v15, v16
	v_and_b32_e32 v0, 60, v0
	ds_write_b32 v0, v15
.LBB466_22:
	s_or_b64 exec, exec, s[2:3]
	s_waitcnt lgkmcnt(0)
	s_barrier
	ds_read_b32 v0, v14
	s_waitcnt lgkmcnt(0)
	s_nop 0
	v_mov_b32_dpp v14, v0 quad_perm:[1,0,3,2] row_mask:0xf bank_mask:0xf
	v_add_f32_e32 v0, v0, v14
	s_nop 1
	v_mov_b32_dpp v14, v0 quad_perm:[2,3,0,1] row_mask:0xf bank_mask:0xf
	s_and_saveexec_b64 s[0:1], vcc
	s_cbranch_execz .LBB466_10
; %bb.23:
	v_cvt_f32_u32_e32 v15, s16
	v_add_f32_e32 v0, v0, v14
	s_mov_b32 s11, 0x20000
	v_div_scale_f32 v14, s[0:1], v15, v15, v0
	v_rcp_f32_e32 v16, v14
	v_div_scale_f32 v17, vcc, v0, v15, v0
	s_mov_b32 s0, 0x800000
	v_fma_f32 v18, -v14, v16, 1.0
	v_fmac_f32_e32 v16, v18, v16
	v_mul_f32_e32 v18, v17, v16
	v_fma_f32 v19, -v14, v18, v17
	v_fmac_f32_e32 v18, v19, v16
	v_fma_f32 v14, -v14, v18, v17
	v_div_fmas_f32 v14, v14, v16, v18
	v_div_fixup_f32 v0, v14, v15, v0
	v_add_f32_e32 v0, s13, v0
	v_mul_f32_e32 v14, 0x4b800000, v0
	v_cmp_gt_f32_e32 vcc, s0, v0
	v_cndmask_b32_e32 v0, v0, v14, vcc
	v_rsq_f32_e32 v0, v0
	s_waitcnt vmcnt(0)
	v_cvt_f32_u32_sdwa v17, v2 dst_sel:DWORD dst_unused:UNUSED_PAD src0_sel:WORD_1
	v_cvt_f32_u32_sdwa v16, v2 dst_sel:DWORD dst_unused:UNUSED_PAD src0_sel:WORD_0
	v_cvt_f32_u32_sdwa v19, v3 dst_sel:DWORD dst_unused:UNUSED_PAD src0_sel:WORD_1
	v_mul_f32_e32 v14, 0x45800000, v0
	v_cndmask_b32_e32 v14, v0, v14, vcc
	v_mov_b32_e32 v15, v14
	;;#ASMSTART
	v_pk_mul_f32 v[12:13], v[12:13], v[14:15]
	;;#ASMEND
	;;#ASMSTART
	v_pk_mul_f32 v[10:11], v[10:11], v[14:15]
	;;#ASMEND
	;; [unrolled: 3-line block ×3, first 2 shown]
	v_cvt_f32_u32_sdwa v18, v3 dst_sel:DWORD dst_unused:UNUSED_PAD src0_sel:WORD_0
	;;#ASMSTART
	v_pk_mul_f32 v[2:3], v[6:7], v[14:15]
	;;#ASMEND
	v_cvt_f32_u32_sdwa v15, v4 dst_sel:DWORD dst_unused:UNUSED_PAD src0_sel:WORD_1
	v_cvt_f32_u32_sdwa v14, v4 dst_sel:DWORD dst_unused:UNUSED_PAD src0_sel:WORD_0
	v_pk_add_f32 v[6:7], v[16:17], 1.0 op_sel_hi:[1,0]
	v_cvt_f32_u32_sdwa v17, v5 dst_sel:DWORD dst_unused:UNUSED_PAD src0_sel:WORD_1
	v_cvt_f32_u32_sdwa v16, v5 dst_sel:DWORD dst_unused:UNUSED_PAD src0_sel:WORD_0
	s_mul_hi_i32 s1, s27, s6
	s_mul_i32 s0, s27, s6
	s_lshl_b64 s[0:1], s[0:1], 1
	s_add_u32 s8, s14, s0
	;;#ASMSTART
	v_pk_mul_f32 v[6:7], v[12:13], v[6:7]
	;;#ASMEND
	v_pk_add_f32 v[12:13], v[18:19], 1.0 op_sel_hi:[1,0]
	;;#ASMSTART
	v_pk_mul_f32 v[4:5], v[10:11], v[12:13]
	;;#ASMEND
	v_pk_add_f32 v[10:11], v[14:15], 1.0 op_sel_hi:[1,0]
	s_addc_u32 s0, s15, s1
	;;#ASMSTART
	v_pk_mul_f32 v[8:9], v[8:9], v[10:11]
	;;#ASMEND
	v_pk_add_f32 v[10:11], v[16:17], 1.0 op_sel_hi:[1,0]
	s_and_b32 s9, s0, 0xffff
	s_mov_b32 s0, 0x7060302
	;;#ASMSTART
	v_pk_mul_f32 v[10:11], v[2:3], v[10:11]
	;;#ASMEND
	v_perm_b32 v2, v7, v6, s0
	v_perm_b32 v3, v5, v4, s0
	;; [unrolled: 1-line block ×4, first 2 shown]
	buffer_store_dwordx4 v[2:5], v1, s[8:11], 0 offen
	;;#ASMSTART
	s_nop 0
	;;#ASMEND
	s_endpgm
	.section	.rodata,"a",@progbits
	.p2align	6, 0x0
	.amdhsa_kernel _ZN5aiter35fused_qk_rmsnorm_group_quant_kernelItDB8_Li256ELi8ELi16ELb0ELb1ELb1ELb1ELb0ELb0EEEvPT0_PvPT_S6_S6_PKS5_S8_S8_S8_S8_ffiiiiiiiiiiiii
		.amdhsa_group_segment_fixed_size 32
		.amdhsa_private_segment_fixed_size 0
		.amdhsa_kernarg_size 400
		.amdhsa_user_sgpr_count 6
		.amdhsa_user_sgpr_private_segment_buffer 1
		.amdhsa_user_sgpr_dispatch_ptr 0
		.amdhsa_user_sgpr_queue_ptr 0
		.amdhsa_user_sgpr_kernarg_segment_ptr 1
		.amdhsa_user_sgpr_dispatch_id 0
		.amdhsa_user_sgpr_flat_scratch_init 0
		.amdhsa_user_sgpr_kernarg_preload_length 0
		.amdhsa_user_sgpr_kernarg_preload_offset 0
		.amdhsa_user_sgpr_private_segment_size 0
		.amdhsa_uses_dynamic_stack 0
		.amdhsa_system_sgpr_private_segment_wavefront_offset 0
		.amdhsa_system_sgpr_workgroup_id_x 1
		.amdhsa_system_sgpr_workgroup_id_y 1
		.amdhsa_system_sgpr_workgroup_id_z 0
		.amdhsa_system_sgpr_workgroup_info 0
		.amdhsa_system_vgpr_workitem_id 0
		.amdhsa_next_free_vgpr 23
		.amdhsa_next_free_sgpr 32
		.amdhsa_accum_offset 24
		.amdhsa_reserve_vcc 1
		.amdhsa_reserve_flat_scratch 0
		.amdhsa_float_round_mode_32 0
		.amdhsa_float_round_mode_16_64 0
		.amdhsa_float_denorm_mode_32 3
		.amdhsa_float_denorm_mode_16_64 3
		.amdhsa_dx10_clamp 1
		.amdhsa_ieee_mode 1
		.amdhsa_fp16_overflow 0
		.amdhsa_tg_split 0
		.amdhsa_exception_fp_ieee_invalid_op 0
		.amdhsa_exception_fp_denorm_src 0
		.amdhsa_exception_fp_ieee_div_zero 0
		.amdhsa_exception_fp_ieee_overflow 0
		.amdhsa_exception_fp_ieee_underflow 0
		.amdhsa_exception_fp_ieee_inexact 0
		.amdhsa_exception_int_div_zero 0
	.end_amdhsa_kernel
	.section	.text._ZN5aiter35fused_qk_rmsnorm_group_quant_kernelItDB8_Li256ELi8ELi16ELb0ELb1ELb1ELb1ELb0ELb0EEEvPT0_PvPT_S6_S6_PKS5_S8_S8_S8_S8_ffiiiiiiiiiiiii,"axG",@progbits,_ZN5aiter35fused_qk_rmsnorm_group_quant_kernelItDB8_Li256ELi8ELi16ELb0ELb1ELb1ELb1ELb0ELb0EEEvPT0_PvPT_S6_S6_PKS5_S8_S8_S8_S8_ffiiiiiiiiiiiii,comdat
.Lfunc_end466:
	.size	_ZN5aiter35fused_qk_rmsnorm_group_quant_kernelItDB8_Li256ELi8ELi16ELb0ELb1ELb1ELb1ELb0ELb0EEEvPT0_PvPT_S6_S6_PKS5_S8_S8_S8_S8_ffiiiiiiiiiiiii, .Lfunc_end466-_ZN5aiter35fused_qk_rmsnorm_group_quant_kernelItDB8_Li256ELi8ELi16ELb0ELb1ELb1ELb1ELb0ELb0EEEvPT0_PvPT_S6_S6_PKS5_S8_S8_S8_S8_ffiiiiiiiiiiiii
                                        ; -- End function
	.section	.AMDGPU.csdata,"",@progbits
; Kernel info:
; codeLenInByte = 2092
; NumSgprs: 36
; NumVgprs: 23
; NumAgprs: 0
; TotalNumVgprs: 23
; ScratchSize: 0
; MemoryBound: 0
; FloatMode: 240
; IeeeMode: 1
; LDSByteSize: 32 bytes/workgroup (compile time only)
; SGPRBlocks: 4
; VGPRBlocks: 2
; NumSGPRsForWavesPerEU: 36
; NumVGPRsForWavesPerEU: 23
; AccumOffset: 24
; Occupancy: 8
; WaveLimiterHint : 0
; COMPUTE_PGM_RSRC2:SCRATCH_EN: 0
; COMPUTE_PGM_RSRC2:USER_SGPR: 6
; COMPUTE_PGM_RSRC2:TRAP_HANDLER: 0
; COMPUTE_PGM_RSRC2:TGID_X_EN: 1
; COMPUTE_PGM_RSRC2:TGID_Y_EN: 1
; COMPUTE_PGM_RSRC2:TGID_Z_EN: 0
; COMPUTE_PGM_RSRC2:TIDIG_COMP_CNT: 0
; COMPUTE_PGM_RSRC3_GFX90A:ACCUM_OFFSET: 5
; COMPUTE_PGM_RSRC3_GFX90A:TG_SPLIT: 0
	.section	.text._ZN5aiter35fused_qk_rmsnorm_group_quant_kernelIDF16_N4opus5fp4_tELi256ELi8ELi16ELb0ELb1ELb1ELb1ELb0ELb0EEEvPT0_PvPT_S7_S7_PKS6_S9_S9_S9_S9_ffiiiiiiiiiiiii,"axG",@progbits,_ZN5aiter35fused_qk_rmsnorm_group_quant_kernelIDF16_N4opus5fp4_tELi256ELi8ELi16ELb0ELb1ELb1ELb1ELb0ELb0EEEvPT0_PvPT_S7_S7_PKS6_S9_S9_S9_S9_ffiiiiiiiiiiiii,comdat
	.protected	_ZN5aiter35fused_qk_rmsnorm_group_quant_kernelIDF16_N4opus5fp4_tELi256ELi8ELi16ELb0ELb1ELb1ELb1ELb0ELb0EEEvPT0_PvPT_S7_S7_PKS6_S9_S9_S9_S9_ffiiiiiiiiiiiii ; -- Begin function _ZN5aiter35fused_qk_rmsnorm_group_quant_kernelIDF16_N4opus5fp4_tELi256ELi8ELi16ELb0ELb1ELb1ELb1ELb0ELb0EEEvPT0_PvPT_S7_S7_PKS6_S9_S9_S9_S9_ffiiiiiiiiiiiii
	.globl	_ZN5aiter35fused_qk_rmsnorm_group_quant_kernelIDF16_N4opus5fp4_tELi256ELi8ELi16ELb0ELb1ELb1ELb1ELb0ELb0EEEvPT0_PvPT_S7_S7_PKS6_S9_S9_S9_S9_ffiiiiiiiiiiiii
	.p2align	8
	.type	_ZN5aiter35fused_qk_rmsnorm_group_quant_kernelIDF16_N4opus5fp4_tELi256ELi8ELi16ELb0ELb1ELb1ELb1ELb0ELb0EEEvPT0_PvPT_S7_S7_PKS6_S9_S9_S9_S9_ffiiiiiiiiiiiii,@function
_ZN5aiter35fused_qk_rmsnorm_group_quant_kernelIDF16_N4opus5fp4_tELi256ELi8ELi16ELb0ELb1ELb1ELb1ELb0ELb0EEEvPT0_PvPT_S7_S7_PKS6_S9_S9_S9_S9_ffiiiiiiiiiiiii: ; @_ZN5aiter35fused_qk_rmsnorm_group_quant_kernelIDF16_N4opus5fp4_tELi256ELi8ELi16ELb0ELb1ELb1ELb1ELb0ELb0EEEvPT0_PvPT_S7_S7_PKS6_S9_S9_S9_S9_ffiiiiiiiiiiiii
; %bb.0:
	s_load_dwordx4 s[12:15], s[4:5], 0x50
	s_waitcnt lgkmcnt(0)
	s_cmp_ge_i32 s6, s14
	s_cbranch_scc1 .LBB467_12
; %bb.1:
	s_load_dwordx2 s[24:25], s[4:5], 0x30
	s_load_dwordx2 s[8:9], s[4:5], 0x48
	s_load_dwordx4 s[16:19], s[4:5], 0x60
	s_cmp_lg_u32 s7, 0
	s_cselect_b64 s[10:11], -1, 0
	s_cmp_eq_u32 s7, 0
	s_cselect_b64 vcc, -1, 0
	s_and_b64 s[0:1], vcc, exec
	s_waitcnt lgkmcnt(0)
	s_cselect_b32 s7, s15, s16
	s_add_i32 s0, s7, 1
	s_lshr_b32 s1, s0, 31
	s_add_i32 s0, s0, s1
	s_lshl_b32 s0, s0, 1
	v_lshlrev_b32_e32 v1, 3, v0
	s_and_b32 s22, s0, -4
	v_cmp_gt_i32_e64 s[2:3], s7, v1
	v_mov_b32_e32 v10, 0
	v_mov_b32_e32 v2, 0
	;; [unrolled: 1-line block ×9, first 2 shown]
	s_and_saveexec_b64 s[0:1], s[2:3]
	s_cbranch_execz .LBB467_3
; %bb.2:
	s_load_dwordx2 s[14:15], s[4:5], 0x28
	s_load_dwordx2 s[20:21], s[4:5], 0x40
	s_and_b64 s[26:27], vcc, exec
	s_cselect_b32 s17, s17, s18
	v_lshlrev_b32_e32 v11, 4, v0
	s_waitcnt lgkmcnt(0)
	s_cselect_b32 s19, s15, s25
	s_cselect_b32 s23, s14, s24
	s_mul_hi_i32 s15, s17, s6
	s_mul_i32 s14, s17, s6
	s_lshl_b64 s[14:15], s[14:15], 1
	s_add_u32 s28, s23, s14
	s_addc_u32 s17, s19, s15
	s_and_b64 s[14:15], vcc, exec
	s_mov_b32 s23, 0x20000
	s_cselect_b32 s20, s20, s8
	s_cselect_b32 s14, s21, s9
	s_and_b32 s29, s17, 0xffff
	s_mov_b32 s30, s22
	s_mov_b32 s31, s23
	s_and_b32 s21, s14, 0xffff
	buffer_load_dwordx4 v[6:9], v11, s[28:31], 0 offen glc slc
	buffer_load_dwordx4 v[2:5], v11, s[20:23], 0 offen
.LBB467_3:
	s_or_b64 exec, exec, s[0:1]
	v_mov_b32_e32 v11, 0
	v_mov_b32_e32 v14, 0
	;; [unrolled: 1-line block ×7, first 2 shown]
	s_and_saveexec_b64 s[0:1], s[2:3]
	s_cbranch_execz .LBB467_5
; %bb.4:
	s_waitcnt vmcnt(1)
	v_cvt_f32_f16_sdwa v11, v6 dst_sel:DWORD dst_unused:UNUSED_PAD src0_sel:WORD_1
	v_cvt_f32_f16_e32 v10, v6
	v_cvt_f32_f16_sdwa v15, v7 dst_sel:DWORD dst_unused:UNUSED_PAD src0_sel:WORD_1
	v_cvt_f32_f16_e32 v14, v7
	;; [unrolled: 2-line block ×4, first 2 shown]
.LBB467_5:
	s_or_b64 exec, exec, s[0:1]
	s_waitcnt vmcnt(1)
	v_mul_f32_e32 v6, v11, v11
	v_fmac_f32_e32 v6, v10, v10
	v_fmac_f32_e32 v6, v14, v14
	;; [unrolled: 1-line block ×7, first 2 shown]
	v_and_b32_e32 v8, 63, v0
	v_cmp_eq_u32_e64 s[0:1], 63, v8
	v_mov_b32_dpp v7, v6 quad_perm:[1,0,3,2] row_mask:0xf bank_mask:0xf
	v_add_f32_e32 v6, v6, v7
	s_nop 1
	v_mov_b32_dpp v7, v6 quad_perm:[2,3,0,1] row_mask:0xf bank_mask:0xf
	v_add_f32_e32 v6, v6, v7
	s_nop 1
	v_mov_b32_dpp v7, v6 row_half_mirror row_mask:0xf bank_mask:0xf
	v_add_f32_e32 v6, v6, v7
	s_nop 1
	v_mov_b32_dpp v7, v6 row_mirror row_mask:0xf bank_mask:0xf
	v_add_f32_e32 v6, v6, v7
	s_nop 1
	v_mov_b32_dpp v7, v6 row_bcast:15 row_mask:0xf bank_mask:0xf
	v_add_f32_e32 v6, v6, v7
	s_nop 1
	v_mov_b32_dpp v7, v6 row_bcast:31 row_mask:0xf bank_mask:0xf
	s_and_saveexec_b64 s[14:15], s[0:1]
	s_cbranch_execz .LBB467_7
; %bb.6:
	v_add_f32_e32 v6, v6, v7
	v_lshrrev_b32_e32 v7, 4, v0
	v_and_b32_e32 v7, 60, v7
	ds_write_b32 v7, v6 offset:16
.LBB467_7:
	s_or_b64 exec, exec, s[14:15]
	v_and_b32_e32 v6, 3, v0
	v_lshlrev_b32_e32 v18, 2, v6
	s_waitcnt lgkmcnt(0)
	s_barrier
	ds_read_b32 v6, v18 offset:16
	s_load_dwordx2 s[14:15], s[4:5], 0x18
	s_waitcnt lgkmcnt(0)
	v_mov_b32_dpp v7, v6 quad_perm:[1,0,3,2] row_mask:0xf bank_mask:0xf
	v_add_f32_e32 v6, v6, v7
	s_nop 1
	v_mov_b32_dpp v7, v6 quad_perm:[2,3,0,1] row_mask:0xf bank_mask:0xf
	s_and_saveexec_b64 s[20:21], s[2:3]
	s_cbranch_execz .LBB467_9
; %bb.8:
	v_cvt_f32_u32_e32 v8, s7
	v_add_f32_e32 v6, v6, v7
	v_mov_b32_e32 v19, s13
	v_mov_b32_e32 v20, s12
	v_div_scale_f32 v7, s[26:27], v8, v8, v6
	v_rcp_f32_e32 v9, v7
	v_cndmask_b32_e32 v19, v19, v20, vcc
	s_mov_b32 s7, 0x800000
	v_fma_f32 v20, -v7, v9, 1.0
	v_fmac_f32_e32 v9, v20, v9
	v_div_scale_f32 v20, vcc, v6, v8, v6
	v_mul_f32_e32 v21, v20, v9
	v_fma_f32 v22, -v7, v21, v20
	v_fmac_f32_e32 v21, v22, v9
	v_fma_f32 v7, -v7, v21, v20
	v_div_fmas_f32 v7, v7, v9, v21
	v_div_fixup_f32 v6, v7, v8, v6
	v_add_f32_e32 v6, v19, v6
	v_mul_f32_e32 v7, 0x4b800000, v6
	v_cmp_gt_f32_e32 vcc, s7, v6
	v_cndmask_b32_e32 v6, v6, v7, vcc
	v_rsq_f32_e32 v6, v6
	s_waitcnt vmcnt(0)
	v_cvt_f32_f16_sdwa v21, v3 dst_sel:DWORD dst_unused:UNUSED_PAD src0_sel:WORD_1
	v_cvt_f32_f16_e32 v20, v3
	v_mul_f32_e32 v7, 0x45800000, v6
	v_cndmask_b32_e32 v6, v6, v7, vcc
	v_mov_b32_e32 v7, v6
	;;#ASMSTART
	v_pk_mul_f32 v[8:9], v[10:11], v[6:7]
	;;#ASMEND
	v_cvt_f32_f16_sdwa v11, v2 dst_sel:DWORD dst_unused:UNUSED_PAD src0_sel:WORD_1
	v_cvt_f32_f16_e32 v10, v2
	;;#ASMSTART
	v_pk_mul_f32 v[14:15], v[14:15], v[6:7]
	;;#ASMEND
	;;#ASMSTART
	v_pk_mul_f32 v[16:17], v[16:17], v[6:7]
	;;#ASMEND
	;; [unrolled: 3-line block ×3, first 2 shown]
	v_pk_add_f32 v[6:7], v[10:11], 1.0 op_sel_hi:[1,0]
	;;#ASMSTART
	v_pk_mul_f32 v[10:11], v[8:9], v[6:7]
	;;#ASMEND
	v_cvt_f32_f16_sdwa v9, v4 dst_sel:DWORD dst_unused:UNUSED_PAD src0_sel:WORD_1
	v_cvt_f32_f16_e32 v8, v4
	v_cvt_f32_f16_sdwa v13, v5 dst_sel:DWORD dst_unused:UNUSED_PAD src0_sel:WORD_1
	v_cvt_f32_f16_e32 v12, v5
	v_pk_add_f32 v[6:7], v[20:21], 1.0 op_sel_hi:[1,0]
	v_pk_add_f32 v[4:5], v[8:9], 1.0 op_sel_hi:[1,0]
	;;#ASMSTART
	v_pk_mul_f32 v[14:15], v[14:15], v[6:7]
	;;#ASMEND
	;;#ASMSTART
	v_pk_mul_f32 v[16:17], v[16:17], v[4:5]
	;;#ASMEND
	v_pk_add_f32 v[4:5], v[12:13], 1.0 op_sel_hi:[1,0]
	;;#ASMSTART
	v_pk_mul_f32 v[12:13], v[2:3], v[4:5]
	;;#ASMEND
.LBB467_9:
	s_or_b64 exec, exec, s[20:21]
	s_load_dwordx2 s[26:27], s[4:5], 0x7c
	s_mov_b64 s[20:21], -1
	s_and_b64 vcc, exec, s[10:11]
	s_cbranch_vccnz .LBB467_13
; %bb.10:
	s_andn2_b64 vcc, exec, s[20:21]
	s_cbranch_vccz .LBB467_16
.LBB467_11:
	s_cmp_lt_i32 s16, 1
	s_cbranch_scc0 .LBB467_19
.LBB467_12:
	s_endpgm
.LBB467_13:
	s_and_saveexec_b64 s[10:11], s[2:3]
	s_cbranch_execz .LBB467_15
; %bb.14:
	s_waitcnt lgkmcnt(0)
	s_mul_hi_i32 s21, s27, s6
	s_mul_i32 s20, s27, s6
	s_waitcnt vmcnt(0)
	v_cvt_f16_f32_e32 v2, v10
	v_cvt_f16_f32_e32 v3, v14
	;; [unrolled: 1-line block ×8, first 2 shown]
	s_lshl_b64 s[20:21], s[20:21], 1
	s_add_u32 s20, s14, s20
	s_addc_u32 s7, s15, s21
	s_and_b32 s21, s7, 0xffff
	s_mov_b32 s23, 0x20000
	v_pack_b32_f16 v5, v5, v6
	v_pack_b32_f16 v4, v4, v7
	;; [unrolled: 1-line block ×4, first 2 shown]
	v_lshlrev_b32_e32 v6, 4, v0
	buffer_store_dwordx4 v[2:5], v6, s[20:23], 0 offen
	;;#ASMSTART
	s_nop 0
	;;#ASMEND
.LBB467_15:
	s_or_b64 exec, exec, s[10:11]
	s_cbranch_execnz .LBB467_11
.LBB467_16:
	s_and_saveexec_b64 s[10:11], s[2:3]
	s_cbranch_execz .LBB467_18
; %bb.17:
	s_load_dwordx2 s[2:3], s[4:5], 0x10
	s_waitcnt lgkmcnt(0)
	s_mul_hi_i32 s21, s26, s6
	s_mul_i32 s20, s26, s6
	s_waitcnt vmcnt(0)
	v_cvt_f16_f32_e32 v2, v10
	v_cvt_f16_f32_e32 v3, v14
	;; [unrolled: 1-line block ×8, first 2 shown]
	s_lshl_b64 s[20:21], s[20:21], 1
	s_add_u32 s20, s2, s20
	s_addc_u32 s2, s3, s21
	s_mov_b32 s23, 0x20000
	s_and_b32 s21, s2, 0xffff
	v_pack_b32_f16 v5, v5, v6
	v_pack_b32_f16 v4, v4, v7
	;; [unrolled: 1-line block ×4, first 2 shown]
	v_lshlrev_b32_e32 v6, 4, v0
	buffer_store_dwordx4 v[2:5], v6, s[20:23], 0 offen
	;;#ASMSTART
	s_nop 0
	;;#ASMEND
.LBB467_18:
	s_or_b64 exec, exec, s[10:11]
	s_cmp_lt_i32 s16, 1
	s_cbranch_scc1 .LBB467_12
.LBB467_19:
	s_load_dword s2, s[4:5], 0x94
	s_waitcnt lgkmcnt(0)
	s_cmp_lg_u32 s2, 1
	s_cbranch_scc1 .LBB467_12
; %bb.20:
	s_lshl_b32 s2, s16, 1
	s_add_i32 s2, s2, 2
	v_cmp_gt_u32_e32 vcc, s16, v1
	s_and_b32 s10, s2, -4
	v_mov_b32_e32 v10, 0
	v_lshlrev_b32_e32 v1, 4, v0
	v_mov_b32_e32 v6, 0
	v_mov_b32_e32 v7, 0
	;; [unrolled: 1-line block ×4, first 2 shown]
	s_waitcnt vmcnt(0)
	v_mov_b32_e32 v2, 0
	v_mov_b32_e32 v3, 0
	;; [unrolled: 1-line block ×4, first 2 shown]
	s_barrier
	s_and_saveexec_b64 s[2:3], vcc
	s_cbranch_execz .LBB467_22
; %bb.21:
	s_mul_hi_i32 s5, s18, s6
	s_mul_i32 s4, s18, s6
	s_and_b32 s9, s9, 0xffff
	s_lshl_b64 s[4:5], s[4:5], 1
	s_add_u32 s20, s24, s4
	s_mov_b32 s11, 0x20000
	s_addc_u32 s4, s25, s5
	s_and_b32 s21, s4, 0xffff
	s_mov_b32 s22, s10
	s_mov_b32 s23, s11
	buffer_load_dwordx4 v[6:9], v1, s[20:23], 0 offen glc slc
	buffer_load_dwordx4 v[2:5], v1, s[8:11], 0 offen
.LBB467_22:
	s_or_b64 exec, exec, s[2:3]
	v_mov_b32_e32 v11, 0
	v_mov_b32_e32 v16, 0
	;; [unrolled: 1-line block ×7, first 2 shown]
	s_and_saveexec_b64 s[2:3], vcc
	s_cbranch_execz .LBB467_24
; %bb.23:
	s_waitcnt vmcnt(1)
	v_cvt_f32_f16_sdwa v11, v6 dst_sel:DWORD dst_unused:UNUSED_PAD src0_sel:WORD_1
	v_cvt_f32_f16_e32 v10, v6
	v_cvt_f32_f16_sdwa v17, v7 dst_sel:DWORD dst_unused:UNUSED_PAD src0_sel:WORD_1
	v_cvt_f32_f16_e32 v16, v7
	;; [unrolled: 2-line block ×4, first 2 shown]
.LBB467_24:
	s_or_b64 exec, exec, s[2:3]
	s_waitcnt vmcnt(1)
	v_mul_f32_e32 v6, v11, v11
	v_fmac_f32_e32 v6, v10, v10
	v_fmac_f32_e32 v6, v16, v16
	;; [unrolled: 1-line block ×7, first 2 shown]
	s_nop 1
	v_mov_b32_dpp v7, v6 quad_perm:[1,0,3,2] row_mask:0xf bank_mask:0xf
	v_add_f32_e32 v6, v6, v7
	s_nop 1
	v_mov_b32_dpp v7, v6 quad_perm:[2,3,0,1] row_mask:0xf bank_mask:0xf
	v_add_f32_e32 v6, v6, v7
	s_nop 1
	v_mov_b32_dpp v7, v6 row_half_mirror row_mask:0xf bank_mask:0xf
	v_add_f32_e32 v6, v6, v7
	s_nop 1
	v_mov_b32_dpp v7, v6 row_mirror row_mask:0xf bank_mask:0xf
	v_add_f32_e32 v6, v6, v7
	s_nop 1
	v_mov_b32_dpp v7, v6 row_bcast:15 row_mask:0xf bank_mask:0xf
	v_add_f32_e32 v6, v6, v7
	s_nop 1
	v_mov_b32_dpp v7, v6 row_bcast:31 row_mask:0xf bank_mask:0xf
	s_and_saveexec_b64 s[2:3], s[0:1]
	s_cbranch_execz .LBB467_26
; %bb.25:
	v_lshrrev_b32_e32 v0, 4, v0
	v_add_f32_e32 v6, v6, v7
	v_and_b32_e32 v0, 60, v0
	ds_write_b32 v0, v6
.LBB467_26:
	s_or_b64 exec, exec, s[2:3]
	s_waitcnt lgkmcnt(0)
	s_barrier
	ds_read_b32 v0, v18
	s_waitcnt lgkmcnt(0)
	s_nop 0
	v_mov_b32_dpp v6, v0 quad_perm:[1,0,3,2] row_mask:0xf bank_mask:0xf
	v_add_f32_e32 v0, v0, v6
	s_nop 1
	v_mov_b32_dpp v6, v0 quad_perm:[2,3,0,1] row_mask:0xf bank_mask:0xf
	s_and_saveexec_b64 s[0:1], vcc
	s_cbranch_execz .LBB467_12
; %bb.27:
	v_cvt_f32_u32_e32 v7, s16
	v_add_f32_e32 v0, v0, v6
	s_mov_b32 s11, 0x20000
	v_div_scale_f32 v6, s[0:1], v7, v7, v0
	v_rcp_f32_e32 v8, v6
	v_div_scale_f32 v9, vcc, v0, v7, v0
	s_mov_b32 s0, 0x800000
	v_fma_f32 v18, -v6, v8, 1.0
	v_fmac_f32_e32 v8, v18, v8
	v_mul_f32_e32 v18, v9, v8
	v_fma_f32 v19, -v6, v18, v9
	v_fmac_f32_e32 v18, v19, v8
	v_fma_f32 v6, -v6, v18, v9
	v_div_fmas_f32 v6, v6, v8, v18
	v_div_fixup_f32 v0, v6, v7, v0
	v_add_f32_e32 v0, s13, v0
	v_mul_f32_e32 v6, 0x4b800000, v0
	v_cmp_gt_f32_e32 vcc, s0, v0
	v_cndmask_b32_e32 v0, v0, v6, vcc
	v_rsq_f32_e32 v0, v0
	s_waitcnt vmcnt(0)
	v_cvt_f32_f16_sdwa v19, v3 dst_sel:DWORD dst_unused:UNUSED_PAD src0_sel:WORD_1
	v_cvt_f32_f16_e32 v18, v3
	s_mul_hi_i32 s1, s27, s6
	v_mul_f32_e32 v6, 0x45800000, v0
	v_cndmask_b32_e32 v6, v0, v6, vcc
	v_mov_b32_e32 v7, v6
	;;#ASMSTART
	v_pk_mul_f32 v[8:9], v[10:11], v[6:7]
	;;#ASMEND
	;;#ASMSTART
	v_pk_mul_f32 v[10:11], v[16:17], v[6:7]
	;;#ASMEND
	v_cvt_f32_f16_sdwa v17, v2 dst_sel:DWORD dst_unused:UNUSED_PAD src0_sel:WORD_1
	v_cvt_f32_f16_e32 v16, v2
	;;#ASMSTART
	v_pk_mul_f32 v[14:15], v[14:15], v[6:7]
	;;#ASMEND
	;;#ASMSTART
	v_pk_mul_f32 v[2:3], v[12:13], v[6:7]
	;;#ASMEND
	v_cvt_f32_f16_sdwa v13, v4 dst_sel:DWORD dst_unused:UNUSED_PAD src0_sel:WORD_1
	v_cvt_f32_f16_e32 v12, v4
	v_pk_add_f32 v[6:7], v[16:17], 1.0 op_sel_hi:[1,0]
	v_cvt_f32_f16_sdwa v17, v5 dst_sel:DWORD dst_unused:UNUSED_PAD src0_sel:WORD_1
	v_cvt_f32_f16_e32 v16, v5
	;;#ASMSTART
	v_pk_mul_f32 v[6:7], v[8:9], v[6:7]
	;;#ASMEND
	v_pk_add_f32 v[8:9], v[18:19], 1.0 op_sel_hi:[1,0]
	;;#ASMSTART
	v_pk_mul_f32 v[4:5], v[10:11], v[8:9]
	;;#ASMEND
	v_pk_add_f32 v[8:9], v[12:13], 1.0 op_sel_hi:[1,0]
	;; [unrolled: 4-line block ×3, first 2 shown]
	;;#ASMSTART
	v_pk_mul_f32 v[2:3], v[2:3], v[10:11]
	;;#ASMEND
	s_mul_i32 s0, s27, s6
	v_cvt_f16_f32_e32 v0, v6
	v_cvt_f16_f32_e32 v6, v7
	;; [unrolled: 1-line block ×8, first 2 shown]
	s_lshl_b64 s[0:1], s[0:1], 1
	s_add_u32 s8, s14, s0
	s_addc_u32 s0, s15, s1
	s_and_b32 s9, s0, 0xffff
	v_pack_b32_f16 v2, v0, v6
	v_pack_b32_f16 v3, v4, v5
	;; [unrolled: 1-line block ×4, first 2 shown]
	buffer_store_dwordx4 v[2:5], v1, s[8:11], 0 offen
	;;#ASMSTART
	s_nop 0
	;;#ASMEND
	s_endpgm
	.section	.rodata,"a",@progbits
	.p2align	6, 0x0
	.amdhsa_kernel _ZN5aiter35fused_qk_rmsnorm_group_quant_kernelIDF16_N4opus5fp4_tELi256ELi8ELi16ELb0ELb1ELb1ELb1ELb0ELb0EEEvPT0_PvPT_S7_S7_PKS6_S9_S9_S9_S9_ffiiiiiiiiiiiii
		.amdhsa_group_segment_fixed_size 32
		.amdhsa_private_segment_fixed_size 0
		.amdhsa_kernarg_size 400
		.amdhsa_user_sgpr_count 6
		.amdhsa_user_sgpr_private_segment_buffer 1
		.amdhsa_user_sgpr_dispatch_ptr 0
		.amdhsa_user_sgpr_queue_ptr 0
		.amdhsa_user_sgpr_kernarg_segment_ptr 1
		.amdhsa_user_sgpr_dispatch_id 0
		.amdhsa_user_sgpr_flat_scratch_init 0
		.amdhsa_user_sgpr_kernarg_preload_length 0
		.amdhsa_user_sgpr_kernarg_preload_offset 0
		.amdhsa_user_sgpr_private_segment_size 0
		.amdhsa_uses_dynamic_stack 0
		.amdhsa_system_sgpr_private_segment_wavefront_offset 0
		.amdhsa_system_sgpr_workgroup_id_x 1
		.amdhsa_system_sgpr_workgroup_id_y 1
		.amdhsa_system_sgpr_workgroup_id_z 0
		.amdhsa_system_sgpr_workgroup_info 0
		.amdhsa_system_vgpr_workitem_id 0
		.amdhsa_next_free_vgpr 23
		.amdhsa_next_free_sgpr 32
		.amdhsa_accum_offset 24
		.amdhsa_reserve_vcc 1
		.amdhsa_reserve_flat_scratch 0
		.amdhsa_float_round_mode_32 0
		.amdhsa_float_round_mode_16_64 0
		.amdhsa_float_denorm_mode_32 3
		.amdhsa_float_denorm_mode_16_64 3
		.amdhsa_dx10_clamp 1
		.amdhsa_ieee_mode 1
		.amdhsa_fp16_overflow 0
		.amdhsa_tg_split 0
		.amdhsa_exception_fp_ieee_invalid_op 0
		.amdhsa_exception_fp_denorm_src 0
		.amdhsa_exception_fp_ieee_div_zero 0
		.amdhsa_exception_fp_ieee_overflow 0
		.amdhsa_exception_fp_ieee_underflow 0
		.amdhsa_exception_fp_ieee_inexact 0
		.amdhsa_exception_int_div_zero 0
	.end_amdhsa_kernel
	.section	.text._ZN5aiter35fused_qk_rmsnorm_group_quant_kernelIDF16_N4opus5fp4_tELi256ELi8ELi16ELb0ELb1ELb1ELb1ELb0ELb0EEEvPT0_PvPT_S7_S7_PKS6_S9_S9_S9_S9_ffiiiiiiiiiiiii,"axG",@progbits,_ZN5aiter35fused_qk_rmsnorm_group_quant_kernelIDF16_N4opus5fp4_tELi256ELi8ELi16ELb0ELb1ELb1ELb1ELb0ELb0EEEvPT0_PvPT_S7_S7_PKS6_S9_S9_S9_S9_ffiiiiiiiiiiiii,comdat
.Lfunc_end467:
	.size	_ZN5aiter35fused_qk_rmsnorm_group_quant_kernelIDF16_N4opus5fp4_tELi256ELi8ELi16ELb0ELb1ELb1ELb1ELb0ELb0EEEvPT0_PvPT_S7_S7_PKS6_S9_S9_S9_S9_ffiiiiiiiiiiiii, .Lfunc_end467-_ZN5aiter35fused_qk_rmsnorm_group_quant_kernelIDF16_N4opus5fp4_tELi256ELi8ELi16ELb0ELb1ELb1ELb1ELb0ELb0EEEvPT0_PvPT_S7_S7_PKS6_S9_S9_S9_S9_ffiiiiiiiiiiiii
                                        ; -- End function
	.section	.AMDGPU.csdata,"",@progbits
; Kernel info:
; codeLenInByte = 2100
; NumSgprs: 36
; NumVgprs: 23
; NumAgprs: 0
; TotalNumVgprs: 23
; ScratchSize: 0
; MemoryBound: 0
; FloatMode: 240
; IeeeMode: 1
; LDSByteSize: 32 bytes/workgroup (compile time only)
; SGPRBlocks: 4
; VGPRBlocks: 2
; NumSGPRsForWavesPerEU: 36
; NumVGPRsForWavesPerEU: 23
; AccumOffset: 24
; Occupancy: 8
; WaveLimiterHint : 0
; COMPUTE_PGM_RSRC2:SCRATCH_EN: 0
; COMPUTE_PGM_RSRC2:USER_SGPR: 6
; COMPUTE_PGM_RSRC2:TRAP_HANDLER: 0
; COMPUTE_PGM_RSRC2:TGID_X_EN: 1
; COMPUTE_PGM_RSRC2:TGID_Y_EN: 1
; COMPUTE_PGM_RSRC2:TGID_Z_EN: 0
; COMPUTE_PGM_RSRC2:TIDIG_COMP_CNT: 0
; COMPUTE_PGM_RSRC3_GFX90A:ACCUM_OFFSET: 5
; COMPUTE_PGM_RSRC3_GFX90A:TG_SPLIT: 0
	.section	.text._ZN5aiter35fused_qk_rmsnorm_group_quant_kernelItN4opus5fp4_tELi256ELi8ELi16ELb0ELb1ELb1ELb1ELb0ELb0EEEvPT0_PvPT_S7_S7_PKS6_S9_S9_S9_S9_ffiiiiiiiiiiiii,"axG",@progbits,_ZN5aiter35fused_qk_rmsnorm_group_quant_kernelItN4opus5fp4_tELi256ELi8ELi16ELb0ELb1ELb1ELb1ELb0ELb0EEEvPT0_PvPT_S7_S7_PKS6_S9_S9_S9_S9_ffiiiiiiiiiiiii,comdat
	.protected	_ZN5aiter35fused_qk_rmsnorm_group_quant_kernelItN4opus5fp4_tELi256ELi8ELi16ELb0ELb1ELb1ELb1ELb0ELb0EEEvPT0_PvPT_S7_S7_PKS6_S9_S9_S9_S9_ffiiiiiiiiiiiii ; -- Begin function _ZN5aiter35fused_qk_rmsnorm_group_quant_kernelItN4opus5fp4_tELi256ELi8ELi16ELb0ELb1ELb1ELb1ELb0ELb0EEEvPT0_PvPT_S7_S7_PKS6_S9_S9_S9_S9_ffiiiiiiiiiiiii
	.globl	_ZN5aiter35fused_qk_rmsnorm_group_quant_kernelItN4opus5fp4_tELi256ELi8ELi16ELb0ELb1ELb1ELb1ELb0ELb0EEEvPT0_PvPT_S7_S7_PKS6_S9_S9_S9_S9_ffiiiiiiiiiiiii
	.p2align	8
	.type	_ZN5aiter35fused_qk_rmsnorm_group_quant_kernelItN4opus5fp4_tELi256ELi8ELi16ELb0ELb1ELb1ELb1ELb0ELb0EEEvPT0_PvPT_S7_S7_PKS6_S9_S9_S9_S9_ffiiiiiiiiiiiii,@function
_ZN5aiter35fused_qk_rmsnorm_group_quant_kernelItN4opus5fp4_tELi256ELi8ELi16ELb0ELb1ELb1ELb1ELb0ELb0EEEvPT0_PvPT_S7_S7_PKS6_S9_S9_S9_S9_ffiiiiiiiiiiiii: ; @_ZN5aiter35fused_qk_rmsnorm_group_quant_kernelItN4opus5fp4_tELi256ELi8ELi16ELb0ELb1ELb1ELb1ELb0ELb0EEEvPT0_PvPT_S7_S7_PKS6_S9_S9_S9_S9_ffiiiiiiiiiiiii
; %bb.0:
	s_load_dwordx4 s[12:15], s[4:5], 0x50
	s_waitcnt lgkmcnt(0)
	s_cmp_ge_i32 s6, s14
	s_cbranch_scc1 .LBB468_10
; %bb.1:
	s_load_dwordx2 s[24:25], s[4:5], 0x30
	s_load_dwordx2 s[8:9], s[4:5], 0x48
	s_load_dwordx4 s[16:19], s[4:5], 0x60
	s_cmp_lg_u32 s7, 0
	s_cselect_b64 s[10:11], -1, 0
	s_cmp_eq_u32 s7, 0
	s_cselect_b64 vcc, -1, 0
	s_and_b64 s[0:1], vcc, exec
	s_waitcnt lgkmcnt(0)
	s_cselect_b32 s7, s15, s16
	s_add_i32 s0, s7, 1
	s_lshr_b32 s1, s0, 31
	s_add_i32 s0, s0, s1
	s_lshl_b32 s0, s0, 1
	v_lshlrev_b32_e32 v1, 3, v0
	s_and_b32 s22, s0, -4
	v_cmp_gt_i32_e64 s[2:3], s7, v1
	v_mov_b32_e32 v2, 0
	v_mov_b32_e32 v3, 0
	;; [unrolled: 1-line block ×8, first 2 shown]
	s_and_saveexec_b64 s[0:1], s[2:3]
	s_cbranch_execz .LBB468_3
; %bb.2:
	s_load_dwordx2 s[14:15], s[4:5], 0x28
	s_load_dwordx2 s[20:21], s[4:5], 0x40
	s_and_b64 s[26:27], vcc, exec
	s_cselect_b32 s17, s17, s18
	v_lshlrev_b32_e32 v10, 4, v0
	s_waitcnt lgkmcnt(0)
	s_cselect_b32 s19, s15, s25
	s_cselect_b32 s23, s14, s24
	s_mul_hi_i32 s15, s17, s6
	s_mul_i32 s14, s17, s6
	s_lshl_b64 s[14:15], s[14:15], 1
	s_add_u32 s28, s23, s14
	s_addc_u32 s17, s19, s15
	s_and_b64 s[14:15], vcc, exec
	s_mov_b32 s23, 0x20000
	s_cselect_b32 s20, s20, s8
	s_cselect_b32 s14, s21, s9
	s_and_b32 s29, s17, 0xffff
	s_mov_b32 s30, s22
	s_mov_b32 s31, s23
	s_and_b32 s21, s14, 0xffff
	buffer_load_dwordx4 v[6:9], v10, s[28:31], 0 offen glc slc
	buffer_load_dwordx4 v[2:5], v10, s[20:23], 0 offen
.LBB468_3:
	s_or_b64 exec, exec, s[0:1]
	s_waitcnt vmcnt(1)
	v_cvt_f32_u32_sdwa v14, v6 dst_sel:DWORD dst_unused:UNUSED_PAD src0_sel:WORD_0
	v_cvt_f32_u32_sdwa v15, v6 dst_sel:DWORD dst_unused:UNUSED_PAD src0_sel:WORD_1
	v_cvt_f32_u32_sdwa v6, v9 dst_sel:DWORD dst_unused:UNUSED_PAD src0_sel:WORD_1
	v_cvt_f32_u32_sdwa v9, v9 dst_sel:DWORD dst_unused:UNUSED_PAD src0_sel:WORD_0
	v_cvt_f32_u32_sdwa v10, v8 dst_sel:DWORD dst_unused:UNUSED_PAD src0_sel:WORD_1
	v_cvt_f32_u32_sdwa v8, v8 dst_sel:DWORD dst_unused:UNUSED_PAD src0_sel:WORD_0
	v_cvt_f32_u32_sdwa v12, v7 dst_sel:DWORD dst_unused:UNUSED_PAD src0_sel:WORD_0
	v_cvt_f32_u32_sdwa v13, v7 dst_sel:DWORD dst_unused:UNUSED_PAD src0_sel:WORD_1
	v_cndmask_b32_e64 v7, 0, v6, s[2:3]
	v_cndmask_b32_e64 v6, 0, v9, s[2:3]
	;; [unrolled: 1-line block ×6, first 2 shown]
	v_mul_f32_e32 v14, v9, v9
	v_cndmask_b32_e64 v12, 0, v12, s[2:3]
	v_fmac_f32_e32 v14, v8, v8
	v_cndmask_b32_e64 v13, 0, v13, s[2:3]
	v_fmac_f32_e32 v14, v12, v12
	v_fmac_f32_e32 v14, v13, v13
	;; [unrolled: 1-line block ×6, first 2 shown]
	v_and_b32_e32 v16, 63, v0
	v_cmp_eq_u32_e64 s[0:1], 63, v16
	v_mov_b32_dpp v15, v14 quad_perm:[1,0,3,2] row_mask:0xf bank_mask:0xf
	v_add_f32_e32 v14, v14, v15
	s_nop 1
	v_mov_b32_dpp v15, v14 quad_perm:[2,3,0,1] row_mask:0xf bank_mask:0xf
	v_add_f32_e32 v14, v14, v15
	s_nop 1
	v_mov_b32_dpp v15, v14 row_half_mirror row_mask:0xf bank_mask:0xf
	v_add_f32_e32 v14, v14, v15
	s_nop 1
	v_mov_b32_dpp v15, v14 row_mirror row_mask:0xf bank_mask:0xf
	v_add_f32_e32 v14, v14, v15
	s_nop 1
	v_mov_b32_dpp v15, v14 row_bcast:15 row_mask:0xf bank_mask:0xf
	v_add_f32_e32 v14, v14, v15
	s_nop 1
	v_mov_b32_dpp v15, v14 row_bcast:31 row_mask:0xf bank_mask:0xf
	s_and_saveexec_b64 s[14:15], s[0:1]
	s_cbranch_execz .LBB468_5
; %bb.4:
	v_add_f32_e32 v14, v14, v15
	v_lshrrev_b32_e32 v15, 4, v0
	v_and_b32_e32 v15, 60, v15
	ds_write_b32 v15, v14 offset:16
.LBB468_5:
	s_or_b64 exec, exec, s[14:15]
	v_and_b32_e32 v14, 3, v0
	v_lshlrev_b32_e32 v14, 2, v14
	s_waitcnt lgkmcnt(0)
	s_barrier
	ds_read_b32 v15, v14 offset:16
	s_load_dwordx2 s[14:15], s[4:5], 0x18
	s_waitcnt lgkmcnt(0)
	v_mov_b32_dpp v16, v15 quad_perm:[1,0,3,2] row_mask:0xf bank_mask:0xf
	v_add_f32_e32 v15, v15, v16
	s_nop 1
	v_mov_b32_dpp v16, v15 quad_perm:[2,3,0,1] row_mask:0xf bank_mask:0xf
	s_and_saveexec_b64 s[20:21], s[2:3]
	s_cbranch_execz .LBB468_7
; %bb.6:
	v_cvt_f32_u32_e32 v17, s7
	v_add_f32_e32 v15, v15, v16
	v_mov_b32_e32 v19, s13
	v_mov_b32_e32 v20, s12
	v_div_scale_f32 v16, s[26:27], v17, v17, v15
	v_rcp_f32_e32 v18, v16
	v_cndmask_b32_e32 v19, v19, v20, vcc
	s_mov_b32 s7, 0x800000
	v_fma_f32 v20, -v16, v18, 1.0
	v_fmac_f32_e32 v18, v20, v18
	v_div_scale_f32 v20, vcc, v15, v17, v15
	v_mul_f32_e32 v21, v20, v18
	v_fma_f32 v22, -v16, v21, v20
	v_fmac_f32_e32 v21, v22, v18
	v_fma_f32 v16, -v16, v21, v20
	v_div_fmas_f32 v16, v16, v18, v21
	v_div_fixup_f32 v15, v16, v17, v15
	v_add_f32_e32 v15, v19, v15
	v_mul_f32_e32 v16, 0x4b800000, v15
	v_cmp_gt_f32_e32 vcc, s7, v15
	v_cndmask_b32_e32 v15, v15, v16, vcc
	v_rsq_f32_e32 v15, v15
	s_waitcnt vmcnt(0)
	v_cvt_f32_u32_sdwa v19, v2 dst_sel:DWORD dst_unused:UNUSED_PAD src0_sel:WORD_1
	v_cvt_f32_u32_sdwa v18, v2 dst_sel:DWORD dst_unused:UNUSED_PAD src0_sel:WORD_0
	v_cvt_f32_u32_sdwa v21, v3 dst_sel:DWORD dst_unused:UNUSED_PAD src0_sel:WORD_1
	v_mul_f32_e32 v16, 0x45800000, v15
	v_cndmask_b32_e32 v16, v15, v16, vcc
	v_mov_b32_e32 v17, v16
	;;#ASMSTART
	v_pk_mul_f32 v[8:9], v[8:9], v[16:17]
	;;#ASMEND
	;;#ASMSTART
	v_pk_mul_f32 v[12:13], v[12:13], v[16:17]
	;;#ASMEND
	;; [unrolled: 3-line block ×3, first 2 shown]
	v_cvt_f32_u32_sdwa v20, v3 dst_sel:DWORD dst_unused:UNUSED_PAD src0_sel:WORD_0
	;;#ASMSTART
	v_pk_mul_f32 v[2:3], v[6:7], v[16:17]
	;;#ASMEND
	v_cvt_f32_u32_sdwa v17, v4 dst_sel:DWORD dst_unused:UNUSED_PAD src0_sel:WORD_1
	v_cvt_f32_u32_sdwa v16, v4 dst_sel:DWORD dst_unused:UNUSED_PAD src0_sel:WORD_0
	v_pk_add_f32 v[6:7], v[18:19], 1.0 op_sel_hi:[1,0]
	v_cvt_f32_u32_sdwa v19, v5 dst_sel:DWORD dst_unused:UNUSED_PAD src0_sel:WORD_1
	v_cvt_f32_u32_sdwa v18, v5 dst_sel:DWORD dst_unused:UNUSED_PAD src0_sel:WORD_0
	;;#ASMSTART
	v_pk_mul_f32 v[8:9], v[8:9], v[6:7]
	;;#ASMEND
	v_pk_add_f32 v[6:7], v[20:21], 1.0 op_sel_hi:[1,0]
	v_pk_add_f32 v[4:5], v[16:17], 1.0 op_sel_hi:[1,0]
	;;#ASMSTART
	v_pk_mul_f32 v[12:13], v[12:13], v[6:7]
	;;#ASMEND
	;;#ASMSTART
	v_pk_mul_f32 v[10:11], v[10:11], v[4:5]
	;;#ASMEND
	v_pk_add_f32 v[4:5], v[18:19], 1.0 op_sel_hi:[1,0]
	;;#ASMSTART
	v_pk_mul_f32 v[6:7], v[2:3], v[4:5]
	;;#ASMEND
.LBB468_7:
	s_or_b64 exec, exec, s[20:21]
	s_load_dwordx2 s[26:27], s[4:5], 0x7c
	s_mov_b64 s[20:21], -1
	s_and_b64 vcc, exec, s[10:11]
	s_cbranch_vccnz .LBB468_11
; %bb.8:
	s_andn2_b64 vcc, exec, s[20:21]
	s_cbranch_vccz .LBB468_14
.LBB468_9:
	s_cmp_lt_i32 s16, 1
	s_cbranch_scc0 .LBB468_17
.LBB468_10:
	s_endpgm
.LBB468_11:
	s_and_saveexec_b64 s[10:11], s[2:3]
	s_cbranch_execz .LBB468_13
; %bb.12:
	s_waitcnt lgkmcnt(0)
	s_mul_hi_i32 s21, s27, s6
	s_mul_i32 s20, s27, s6
	s_lshl_b64 s[20:21], s[20:21], 1
	s_add_u32 s20, s14, s20
	s_addc_u32 s7, s15, s21
	s_and_b32 s21, s7, 0xffff
	s_mov_b32 s7, 0x7060302
	s_mov_b32 s23, 0x20000
	s_waitcnt vmcnt(0)
	v_perm_b32 v2, v9, v8, s7
	v_perm_b32 v3, v13, v12, s7
	;; [unrolled: 1-line block ×4, first 2 shown]
	v_lshlrev_b32_e32 v15, 4, v0
	buffer_store_dwordx4 v[2:5], v15, s[20:23], 0 offen
	;;#ASMSTART
	s_nop 0
	;;#ASMEND
.LBB468_13:
	s_or_b64 exec, exec, s[10:11]
	s_cbranch_execnz .LBB468_9
.LBB468_14:
	s_and_saveexec_b64 s[10:11], s[2:3]
	s_cbranch_execz .LBB468_16
; %bb.15:
	s_load_dwordx2 s[2:3], s[4:5], 0x10
	s_waitcnt lgkmcnt(0)
	s_mul_hi_i32 s21, s26, s6
	s_mul_i32 s20, s26, s6
	s_lshl_b64 s[20:21], s[20:21], 1
	s_mov_b32 s23, 0x20000
	s_add_u32 s20, s2, s20
	s_addc_u32 s2, s3, s21
	s_and_b32 s21, s2, 0xffff
	s_mov_b32 s2, 0x7060302
	s_waitcnt vmcnt(0)
	v_perm_b32 v2, v9, v8, s2
	v_perm_b32 v3, v13, v12, s2
	;; [unrolled: 1-line block ×4, first 2 shown]
	v_lshlrev_b32_e32 v6, 4, v0
	buffer_store_dwordx4 v[2:5], v6, s[20:23], 0 offen
	;;#ASMSTART
	s_nop 0
	;;#ASMEND
.LBB468_16:
	s_or_b64 exec, exec, s[10:11]
	s_cmp_lt_i32 s16, 1
	s_cbranch_scc1 .LBB468_10
.LBB468_17:
	s_load_dword s2, s[4:5], 0x94
	s_waitcnt lgkmcnt(0)
	s_cmp_lg_u32 s2, 1
	s_cbranch_scc1 .LBB468_10
; %bb.18:
	s_lshl_b32 s2, s16, 1
	s_add_i32 s2, s2, 2
	v_cmp_gt_u32_e32 vcc, s16, v1
	s_and_b32 s10, s2, -4
	v_mov_b32_e32 v6, 0
	v_lshlrev_b32_e32 v1, 4, v0
	v_mov_b32_e32 v7, 0
	v_mov_b32_e32 v8, 0
	v_mov_b32_e32 v9, 0
	s_waitcnt vmcnt(0)
	v_mov_b32_e32 v2, 0
	v_mov_b32_e32 v3, 0
	v_mov_b32_e32 v4, 0
	v_mov_b32_e32 v5, 0
	s_barrier
	s_and_saveexec_b64 s[2:3], vcc
	s_cbranch_execz .LBB468_20
; %bb.19:
	s_mul_hi_i32 s5, s18, s6
	s_mul_i32 s4, s18, s6
	s_and_b32 s9, s9, 0xffff
	s_lshl_b64 s[4:5], s[4:5], 1
	s_add_u32 s20, s24, s4
	s_mov_b32 s11, 0x20000
	s_addc_u32 s4, s25, s5
	s_and_b32 s21, s4, 0xffff
	s_mov_b32 s22, s10
	s_mov_b32 s23, s11
	buffer_load_dwordx4 v[6:9], v1, s[20:23], 0 offen glc slc
	buffer_load_dwordx4 v[2:5], v1, s[8:11], 0 offen
.LBB468_20:
	s_or_b64 exec, exec, s[2:3]
	s_waitcnt vmcnt(1)
	v_cvt_f32_u32_sdwa v13, v6 dst_sel:DWORD dst_unused:UNUSED_PAD src0_sel:WORD_1
	v_cvt_f32_u32_sdwa v12, v6 dst_sel:DWORD dst_unused:UNUSED_PAD src0_sel:WORD_0
	v_cvt_f32_u32_sdwa v6, v9 dst_sel:DWORD dst_unused:UNUSED_PAD src0_sel:WORD_1
	v_cvt_f32_u32_sdwa v9, v9 dst_sel:DWORD dst_unused:UNUSED_PAD src0_sel:WORD_0
	;; [unrolled: 2-line block ×4, first 2 shown]
	v_cndmask_b32_e32 v13, 0, v13, vcc
	v_cndmask_b32_e32 v7, 0, v6, vcc
	;; [unrolled: 1-line block ×5, first 2 shown]
	v_mul_f32_e32 v15, v13, v13
	v_cndmask_b32_e32 v10, 0, v10, vcc
	v_fmac_f32_e32 v15, v12, v12
	v_cndmask_b32_e32 v11, 0, v11, vcc
	v_fmac_f32_e32 v15, v10, v10
	v_cndmask_b32_e32 v8, 0, v8, vcc
	v_fmac_f32_e32 v15, v11, v11
	v_fmac_f32_e32 v15, v8, v8
	v_fmac_f32_e32 v15, v9, v9
	;; [unrolled: 1-line block ×4, first 2 shown]
	s_nop 1
	v_mov_b32_dpp v16, v15 quad_perm:[1,0,3,2] row_mask:0xf bank_mask:0xf
	v_add_f32_e32 v15, v15, v16
	s_nop 1
	v_mov_b32_dpp v16, v15 quad_perm:[2,3,0,1] row_mask:0xf bank_mask:0xf
	v_add_f32_e32 v15, v15, v16
	s_nop 1
	v_mov_b32_dpp v16, v15 row_half_mirror row_mask:0xf bank_mask:0xf
	v_add_f32_e32 v15, v15, v16
	s_nop 1
	v_mov_b32_dpp v16, v15 row_mirror row_mask:0xf bank_mask:0xf
	v_add_f32_e32 v15, v15, v16
	s_nop 1
	v_mov_b32_dpp v16, v15 row_bcast:15 row_mask:0xf bank_mask:0xf
	v_add_f32_e32 v15, v15, v16
	s_nop 1
	v_mov_b32_dpp v16, v15 row_bcast:31 row_mask:0xf bank_mask:0xf
	s_and_saveexec_b64 s[2:3], s[0:1]
	s_cbranch_execz .LBB468_22
; %bb.21:
	v_lshrrev_b32_e32 v0, 4, v0
	v_add_f32_e32 v15, v15, v16
	v_and_b32_e32 v0, 60, v0
	ds_write_b32 v0, v15
.LBB468_22:
	s_or_b64 exec, exec, s[2:3]
	s_waitcnt lgkmcnt(0)
	s_barrier
	ds_read_b32 v0, v14
	s_waitcnt lgkmcnt(0)
	s_nop 0
	v_mov_b32_dpp v14, v0 quad_perm:[1,0,3,2] row_mask:0xf bank_mask:0xf
	v_add_f32_e32 v0, v0, v14
	s_nop 1
	v_mov_b32_dpp v14, v0 quad_perm:[2,3,0,1] row_mask:0xf bank_mask:0xf
	s_and_saveexec_b64 s[0:1], vcc
	s_cbranch_execz .LBB468_10
; %bb.23:
	v_cvt_f32_u32_e32 v15, s16
	v_add_f32_e32 v0, v0, v14
	s_mov_b32 s11, 0x20000
	v_div_scale_f32 v14, s[0:1], v15, v15, v0
	v_rcp_f32_e32 v16, v14
	v_div_scale_f32 v17, vcc, v0, v15, v0
	s_mov_b32 s0, 0x800000
	v_fma_f32 v18, -v14, v16, 1.0
	v_fmac_f32_e32 v16, v18, v16
	v_mul_f32_e32 v18, v17, v16
	v_fma_f32 v19, -v14, v18, v17
	v_fmac_f32_e32 v18, v19, v16
	v_fma_f32 v14, -v14, v18, v17
	v_div_fmas_f32 v14, v14, v16, v18
	v_div_fixup_f32 v0, v14, v15, v0
	v_add_f32_e32 v0, s13, v0
	v_mul_f32_e32 v14, 0x4b800000, v0
	v_cmp_gt_f32_e32 vcc, s0, v0
	v_cndmask_b32_e32 v0, v0, v14, vcc
	v_rsq_f32_e32 v0, v0
	s_waitcnt vmcnt(0)
	v_cvt_f32_u32_sdwa v17, v2 dst_sel:DWORD dst_unused:UNUSED_PAD src0_sel:WORD_1
	v_cvt_f32_u32_sdwa v16, v2 dst_sel:DWORD dst_unused:UNUSED_PAD src0_sel:WORD_0
	v_cvt_f32_u32_sdwa v19, v3 dst_sel:DWORD dst_unused:UNUSED_PAD src0_sel:WORD_1
	v_mul_f32_e32 v14, 0x45800000, v0
	v_cndmask_b32_e32 v14, v0, v14, vcc
	v_mov_b32_e32 v15, v14
	;;#ASMSTART
	v_pk_mul_f32 v[12:13], v[12:13], v[14:15]
	;;#ASMEND
	;;#ASMSTART
	v_pk_mul_f32 v[10:11], v[10:11], v[14:15]
	;;#ASMEND
	;; [unrolled: 3-line block ×3, first 2 shown]
	v_cvt_f32_u32_sdwa v18, v3 dst_sel:DWORD dst_unused:UNUSED_PAD src0_sel:WORD_0
	;;#ASMSTART
	v_pk_mul_f32 v[2:3], v[6:7], v[14:15]
	;;#ASMEND
	v_cvt_f32_u32_sdwa v15, v4 dst_sel:DWORD dst_unused:UNUSED_PAD src0_sel:WORD_1
	v_cvt_f32_u32_sdwa v14, v4 dst_sel:DWORD dst_unused:UNUSED_PAD src0_sel:WORD_0
	v_pk_add_f32 v[6:7], v[16:17], 1.0 op_sel_hi:[1,0]
	v_cvt_f32_u32_sdwa v17, v5 dst_sel:DWORD dst_unused:UNUSED_PAD src0_sel:WORD_1
	v_cvt_f32_u32_sdwa v16, v5 dst_sel:DWORD dst_unused:UNUSED_PAD src0_sel:WORD_0
	s_mul_hi_i32 s1, s27, s6
	s_mul_i32 s0, s27, s6
	s_lshl_b64 s[0:1], s[0:1], 1
	s_add_u32 s8, s14, s0
	;;#ASMSTART
	v_pk_mul_f32 v[6:7], v[12:13], v[6:7]
	;;#ASMEND
	v_pk_add_f32 v[12:13], v[18:19], 1.0 op_sel_hi:[1,0]
	;;#ASMSTART
	v_pk_mul_f32 v[4:5], v[10:11], v[12:13]
	;;#ASMEND
	v_pk_add_f32 v[10:11], v[14:15], 1.0 op_sel_hi:[1,0]
	s_addc_u32 s0, s15, s1
	;;#ASMSTART
	v_pk_mul_f32 v[8:9], v[8:9], v[10:11]
	;;#ASMEND
	v_pk_add_f32 v[10:11], v[16:17], 1.0 op_sel_hi:[1,0]
	s_and_b32 s9, s0, 0xffff
	s_mov_b32 s0, 0x7060302
	;;#ASMSTART
	v_pk_mul_f32 v[10:11], v[2:3], v[10:11]
	;;#ASMEND
	v_perm_b32 v2, v7, v6, s0
	v_perm_b32 v3, v5, v4, s0
	;; [unrolled: 1-line block ×4, first 2 shown]
	buffer_store_dwordx4 v[2:5], v1, s[8:11], 0 offen
	;;#ASMSTART
	s_nop 0
	;;#ASMEND
	s_endpgm
	.section	.rodata,"a",@progbits
	.p2align	6, 0x0
	.amdhsa_kernel _ZN5aiter35fused_qk_rmsnorm_group_quant_kernelItN4opus5fp4_tELi256ELi8ELi16ELb0ELb1ELb1ELb1ELb0ELb0EEEvPT0_PvPT_S7_S7_PKS6_S9_S9_S9_S9_ffiiiiiiiiiiiii
		.amdhsa_group_segment_fixed_size 32
		.amdhsa_private_segment_fixed_size 0
		.amdhsa_kernarg_size 400
		.amdhsa_user_sgpr_count 6
		.amdhsa_user_sgpr_private_segment_buffer 1
		.amdhsa_user_sgpr_dispatch_ptr 0
		.amdhsa_user_sgpr_queue_ptr 0
		.amdhsa_user_sgpr_kernarg_segment_ptr 1
		.amdhsa_user_sgpr_dispatch_id 0
		.amdhsa_user_sgpr_flat_scratch_init 0
		.amdhsa_user_sgpr_kernarg_preload_length 0
		.amdhsa_user_sgpr_kernarg_preload_offset 0
		.amdhsa_user_sgpr_private_segment_size 0
		.amdhsa_uses_dynamic_stack 0
		.amdhsa_system_sgpr_private_segment_wavefront_offset 0
		.amdhsa_system_sgpr_workgroup_id_x 1
		.amdhsa_system_sgpr_workgroup_id_y 1
		.amdhsa_system_sgpr_workgroup_id_z 0
		.amdhsa_system_sgpr_workgroup_info 0
		.amdhsa_system_vgpr_workitem_id 0
		.amdhsa_next_free_vgpr 23
		.amdhsa_next_free_sgpr 32
		.amdhsa_accum_offset 24
		.amdhsa_reserve_vcc 1
		.amdhsa_reserve_flat_scratch 0
		.amdhsa_float_round_mode_32 0
		.amdhsa_float_round_mode_16_64 0
		.amdhsa_float_denorm_mode_32 3
		.amdhsa_float_denorm_mode_16_64 3
		.amdhsa_dx10_clamp 1
		.amdhsa_ieee_mode 1
		.amdhsa_fp16_overflow 0
		.amdhsa_tg_split 0
		.amdhsa_exception_fp_ieee_invalid_op 0
		.amdhsa_exception_fp_denorm_src 0
		.amdhsa_exception_fp_ieee_div_zero 0
		.amdhsa_exception_fp_ieee_overflow 0
		.amdhsa_exception_fp_ieee_underflow 0
		.amdhsa_exception_fp_ieee_inexact 0
		.amdhsa_exception_int_div_zero 0
	.end_amdhsa_kernel
	.section	.text._ZN5aiter35fused_qk_rmsnorm_group_quant_kernelItN4opus5fp4_tELi256ELi8ELi16ELb0ELb1ELb1ELb1ELb0ELb0EEEvPT0_PvPT_S7_S7_PKS6_S9_S9_S9_S9_ffiiiiiiiiiiiii,"axG",@progbits,_ZN5aiter35fused_qk_rmsnorm_group_quant_kernelItN4opus5fp4_tELi256ELi8ELi16ELb0ELb1ELb1ELb1ELb0ELb0EEEvPT0_PvPT_S7_S7_PKS6_S9_S9_S9_S9_ffiiiiiiiiiiiii,comdat
.Lfunc_end468:
	.size	_ZN5aiter35fused_qk_rmsnorm_group_quant_kernelItN4opus5fp4_tELi256ELi8ELi16ELb0ELb1ELb1ELb1ELb0ELb0EEEvPT0_PvPT_S7_S7_PKS6_S9_S9_S9_S9_ffiiiiiiiiiiiii, .Lfunc_end468-_ZN5aiter35fused_qk_rmsnorm_group_quant_kernelItN4opus5fp4_tELi256ELi8ELi16ELb0ELb1ELb1ELb1ELb0ELb0EEEvPT0_PvPT_S7_S7_PKS6_S9_S9_S9_S9_ffiiiiiiiiiiiii
                                        ; -- End function
	.section	.AMDGPU.csdata,"",@progbits
; Kernel info:
; codeLenInByte = 2092
; NumSgprs: 36
; NumVgprs: 23
; NumAgprs: 0
; TotalNumVgprs: 23
; ScratchSize: 0
; MemoryBound: 0
; FloatMode: 240
; IeeeMode: 1
; LDSByteSize: 32 bytes/workgroup (compile time only)
; SGPRBlocks: 4
; VGPRBlocks: 2
; NumSGPRsForWavesPerEU: 36
; NumVGPRsForWavesPerEU: 23
; AccumOffset: 24
; Occupancy: 8
; WaveLimiterHint : 0
; COMPUTE_PGM_RSRC2:SCRATCH_EN: 0
; COMPUTE_PGM_RSRC2:USER_SGPR: 6
; COMPUTE_PGM_RSRC2:TRAP_HANDLER: 0
; COMPUTE_PGM_RSRC2:TGID_X_EN: 1
; COMPUTE_PGM_RSRC2:TGID_Y_EN: 1
; COMPUTE_PGM_RSRC2:TGID_Z_EN: 0
; COMPUTE_PGM_RSRC2:TIDIG_COMP_CNT: 0
; COMPUTE_PGM_RSRC3_GFX90A:ACCUM_OFFSET: 5
; COMPUTE_PGM_RSRC3_GFX90A:TG_SPLIT: 0
	.section	.text._ZN5aiter35fused_qk_rmsnorm_group_quant_kernelIDF16_DB8_Li256ELi8ELi16ELb0ELb1ELb0ELb1ELb0ELb0EEEvPT0_PvPT_S6_S6_PKS5_S8_S8_S8_S8_ffiiiiiiiiiiiii,"axG",@progbits,_ZN5aiter35fused_qk_rmsnorm_group_quant_kernelIDF16_DB8_Li256ELi8ELi16ELb0ELb1ELb0ELb1ELb0ELb0EEEvPT0_PvPT_S6_S6_PKS5_S8_S8_S8_S8_ffiiiiiiiiiiiii,comdat
	.protected	_ZN5aiter35fused_qk_rmsnorm_group_quant_kernelIDF16_DB8_Li256ELi8ELi16ELb0ELb1ELb0ELb1ELb0ELb0EEEvPT0_PvPT_S6_S6_PKS5_S8_S8_S8_S8_ffiiiiiiiiiiiii ; -- Begin function _ZN5aiter35fused_qk_rmsnorm_group_quant_kernelIDF16_DB8_Li256ELi8ELi16ELb0ELb1ELb0ELb1ELb0ELb0EEEvPT0_PvPT_S6_S6_PKS5_S8_S8_S8_S8_ffiiiiiiiiiiiii
	.globl	_ZN5aiter35fused_qk_rmsnorm_group_quant_kernelIDF16_DB8_Li256ELi8ELi16ELb0ELb1ELb0ELb1ELb0ELb0EEEvPT0_PvPT_S6_S6_PKS5_S8_S8_S8_S8_ffiiiiiiiiiiiii
	.p2align	8
	.type	_ZN5aiter35fused_qk_rmsnorm_group_quant_kernelIDF16_DB8_Li256ELi8ELi16ELb0ELb1ELb0ELb1ELb0ELb0EEEvPT0_PvPT_S6_S6_PKS5_S8_S8_S8_S8_ffiiiiiiiiiiiii,@function
_ZN5aiter35fused_qk_rmsnorm_group_quant_kernelIDF16_DB8_Li256ELi8ELi16ELb0ELb1ELb0ELb1ELb0ELb0EEEvPT0_PvPT_S6_S6_PKS5_S8_S8_S8_S8_ffiiiiiiiiiiiii: ; @_ZN5aiter35fused_qk_rmsnorm_group_quant_kernelIDF16_DB8_Li256ELi8ELi16ELb0ELb1ELb0ELb1ELb0ELb0EEEvPT0_PvPT_S6_S6_PKS5_S8_S8_S8_S8_ffiiiiiiiiiiiii
; %bb.0:
	s_load_dwordx4 s[12:15], s[4:5], 0x50
	s_waitcnt lgkmcnt(0)
	s_cmp_ge_i32 s6, s14
	s_cbranch_scc1 .LBB469_12
; %bb.1:
	s_load_dwordx2 s[24:25], s[4:5], 0x30
	s_load_dwordx2 s[8:9], s[4:5], 0x48
	s_load_dwordx4 s[16:19], s[4:5], 0x60
	s_cmp_lg_u32 s7, 0
	s_cselect_b64 s[10:11], -1, 0
	s_cmp_eq_u32 s7, 0
	s_cselect_b64 vcc, -1, 0
	s_and_b64 s[0:1], vcc, exec
	s_waitcnt lgkmcnt(0)
	s_cselect_b32 s7, s15, s16
	s_add_i32 s0, s7, 1
	s_lshr_b32 s1, s0, 31
	s_add_i32 s0, s0, s1
	s_lshl_b32 s0, s0, 1
	v_lshlrev_b32_e32 v1, 3, v0
	s_and_b32 s22, s0, -4
	v_cmp_gt_i32_e64 s[2:3], s7, v1
	v_mov_b32_e32 v10, 0
	v_mov_b32_e32 v2, 0
	;; [unrolled: 1-line block ×9, first 2 shown]
	s_and_saveexec_b64 s[0:1], s[2:3]
	s_cbranch_execz .LBB469_3
; %bb.2:
	s_load_dwordx2 s[14:15], s[4:5], 0x28
	s_load_dwordx2 s[20:21], s[4:5], 0x40
	s_and_b64 s[26:27], vcc, exec
	s_cselect_b32 s17, s17, s18
	v_lshlrev_b32_e32 v11, 4, v0
	s_waitcnt lgkmcnt(0)
	s_cselect_b32 s19, s15, s25
	s_cselect_b32 s23, s14, s24
	s_mul_hi_i32 s15, s17, s6
	s_mul_i32 s14, s17, s6
	s_lshl_b64 s[14:15], s[14:15], 1
	s_add_u32 s28, s23, s14
	s_addc_u32 s17, s19, s15
	s_and_b64 s[14:15], vcc, exec
	s_mov_b32 s23, 0x20000
	s_cselect_b32 s20, s20, s8
	s_cselect_b32 s14, s21, s9
	s_and_b32 s29, s17, 0xffff
	s_mov_b32 s30, s22
	s_mov_b32 s31, s23
	s_and_b32 s21, s14, 0xffff
	buffer_load_dwordx4 v[6:9], v11, s[28:31], 0 offen glc slc
	buffer_load_dwordx4 v[2:5], v11, s[20:23], 0 offen
.LBB469_3:
	s_or_b64 exec, exec, s[0:1]
	v_mov_b32_e32 v11, 0
	v_mov_b32_e32 v12, 0
	;; [unrolled: 1-line block ×7, first 2 shown]
	s_and_saveexec_b64 s[0:1], s[2:3]
	s_cbranch_execz .LBB469_5
; %bb.4:
	s_waitcnt vmcnt(1)
	v_cvt_f32_f16_sdwa v11, v6 dst_sel:DWORD dst_unused:UNUSED_PAD src0_sel:WORD_1
	v_cvt_f32_f16_e32 v10, v6
	v_cvt_f32_f16_sdwa v13, v7 dst_sel:DWORD dst_unused:UNUSED_PAD src0_sel:WORD_1
	v_cvt_f32_f16_e32 v12, v7
	;; [unrolled: 2-line block ×4, first 2 shown]
.LBB469_5:
	s_or_b64 exec, exec, s[0:1]
	s_waitcnt vmcnt(1)
	v_mul_f32_e32 v6, v11, v11
	v_fmac_f32_e32 v6, v10, v10
	v_fmac_f32_e32 v6, v12, v12
	;; [unrolled: 1-line block ×7, first 2 shown]
	v_and_b32_e32 v8, 63, v0
	v_cmp_eq_u32_e64 s[0:1], 63, v8
	v_mov_b32_dpp v7, v6 quad_perm:[1,0,3,2] row_mask:0xf bank_mask:0xf
	v_add_f32_e32 v6, v6, v7
	s_nop 1
	v_mov_b32_dpp v7, v6 quad_perm:[2,3,0,1] row_mask:0xf bank_mask:0xf
	v_add_f32_e32 v6, v6, v7
	s_nop 1
	v_mov_b32_dpp v7, v6 row_half_mirror row_mask:0xf bank_mask:0xf
	v_add_f32_e32 v6, v6, v7
	s_nop 1
	v_mov_b32_dpp v7, v6 row_mirror row_mask:0xf bank_mask:0xf
	v_add_f32_e32 v6, v6, v7
	s_nop 1
	v_mov_b32_dpp v7, v6 row_bcast:15 row_mask:0xf bank_mask:0xf
	v_add_f32_e32 v6, v6, v7
	s_nop 1
	v_mov_b32_dpp v7, v6 row_bcast:31 row_mask:0xf bank_mask:0xf
	s_and_saveexec_b64 s[14:15], s[0:1]
	s_cbranch_execz .LBB469_7
; %bb.6:
	v_add_f32_e32 v6, v6, v7
	v_lshrrev_b32_e32 v7, 4, v0
	v_and_b32_e32 v7, 60, v7
	ds_write_b32 v7, v6 offset:16
.LBB469_7:
	s_or_b64 exec, exec, s[14:15]
	v_and_b32_e32 v6, 3, v0
	v_lshlrev_b32_e32 v18, 2, v6
	s_waitcnt lgkmcnt(0)
	s_barrier
	ds_read_b32 v6, v18 offset:16
	s_load_dwordx2 s[14:15], s[4:5], 0x18
	s_waitcnt lgkmcnt(0)
	v_mov_b32_dpp v7, v6 quad_perm:[1,0,3,2] row_mask:0xf bank_mask:0xf
	v_add_f32_e32 v6, v6, v7
	s_nop 1
	v_mov_b32_dpp v7, v6 quad_perm:[2,3,0,1] row_mask:0xf bank_mask:0xf
	s_and_saveexec_b64 s[20:21], s[2:3]
	s_cbranch_execz .LBB469_9
; %bb.8:
	v_cvt_f32_u32_e32 v8, s7
	v_add_f32_e32 v6, v6, v7
	v_mov_b32_e32 v19, s13
	v_mov_b32_e32 v20, s12
	v_div_scale_f32 v7, s[26:27], v8, v8, v6
	v_rcp_f32_e32 v9, v7
	v_cndmask_b32_e32 v19, v19, v20, vcc
	s_mov_b32 s7, 0x800000
	v_fma_f32 v20, -v7, v9, 1.0
	v_fmac_f32_e32 v9, v20, v9
	v_div_scale_f32 v20, vcc, v6, v8, v6
	v_mul_f32_e32 v21, v20, v9
	v_fma_f32 v22, -v7, v21, v20
	v_fmac_f32_e32 v21, v22, v9
	v_fma_f32 v7, -v7, v21, v20
	v_div_fmas_f32 v7, v7, v9, v21
	v_div_fixup_f32 v6, v7, v8, v6
	v_add_f32_e32 v6, v19, v6
	v_mul_f32_e32 v7, 0x4b800000, v6
	v_cmp_gt_f32_e32 vcc, s7, v6
	v_cndmask_b32_e32 v6, v6, v7, vcc
	v_rsq_f32_e32 v6, v6
	s_waitcnt vmcnt(0)
	v_cvt_f32_f16_sdwa v21, v5 dst_sel:DWORD dst_unused:UNUSED_PAD src0_sel:WORD_1
	v_cvt_f32_f16_e32 v20, v5
	v_mul_f32_e32 v7, 0x45800000, v6
	v_cndmask_b32_e32 v6, v6, v7, vcc
	v_mov_b32_e32 v7, v6
	;;#ASMSTART
	v_pk_mul_f32 v[8:9], v[10:11], v[6:7]
	;;#ASMEND
	;;#ASMSTART
	v_pk_mul_f32 v[12:13], v[12:13], v[6:7]
	;;#ASMEND
	;; [unrolled: 3-line block ×4, first 2 shown]
	v_cvt_f32_f16_sdwa v11, v2 dst_sel:DWORD dst_unused:UNUSED_PAD src0_sel:WORD_1
	v_cvt_f32_f16_e32 v10, v2
	v_cvt_f32_f16_sdwa v17, v3 dst_sel:DWORD dst_unused:UNUSED_PAD src0_sel:WORD_1
	v_cvt_f32_f16_e32 v16, v3
	;; [unrolled: 2-line block ×3, first 2 shown]
	;;#ASMSTART
	v_pk_mul_f32 v[10:11], v[8:9], v[10:11]
	;;#ASMEND
	;;#ASMSTART
	v_pk_mul_f32 v[12:13], v[12:13], v[16:17]
	;;#ASMEND
	;; [unrolled: 3-line block ×4, first 2 shown]
.LBB469_9:
	s_or_b64 exec, exec, s[20:21]
	s_load_dwordx2 s[26:27], s[4:5], 0x7c
	s_mov_b64 s[20:21], -1
	s_and_b64 vcc, exec, s[10:11]
	s_cbranch_vccnz .LBB469_13
; %bb.10:
	s_andn2_b64 vcc, exec, s[20:21]
	s_cbranch_vccz .LBB469_16
.LBB469_11:
	s_cmp_lt_i32 s16, 1
	s_cbranch_scc0 .LBB469_19
.LBB469_12:
	s_endpgm
.LBB469_13:
	s_and_saveexec_b64 s[10:11], s[2:3]
	s_cbranch_execz .LBB469_15
; %bb.14:
	s_waitcnt lgkmcnt(0)
	s_mul_hi_i32 s21, s27, s6
	s_mul_i32 s20, s27, s6
	s_waitcnt vmcnt(0)
	v_cvt_f16_f32_e32 v2, v10
	v_cvt_f16_f32_e32 v3, v12
	;; [unrolled: 1-line block ×8, first 2 shown]
	s_lshl_b64 s[20:21], s[20:21], 1
	s_add_u32 s20, s14, s20
	s_addc_u32 s7, s15, s21
	s_and_b32 s21, s7, 0xffff
	s_mov_b32 s23, 0x20000
	v_pack_b32_f16 v5, v5, v6
	v_pack_b32_f16 v4, v4, v7
	;; [unrolled: 1-line block ×4, first 2 shown]
	v_lshlrev_b32_e32 v6, 4, v0
	buffer_store_dwordx4 v[2:5], v6, s[20:23], 0 offen
	;;#ASMSTART
	s_nop 0
	;;#ASMEND
.LBB469_15:
	s_or_b64 exec, exec, s[10:11]
	s_cbranch_execnz .LBB469_11
.LBB469_16:
	s_and_saveexec_b64 s[10:11], s[2:3]
	s_cbranch_execz .LBB469_18
; %bb.17:
	s_load_dwordx2 s[2:3], s[4:5], 0x10
	s_waitcnt lgkmcnt(0)
	s_mul_hi_i32 s21, s26, s6
	s_mul_i32 s20, s26, s6
	s_waitcnt vmcnt(0)
	v_cvt_f16_f32_e32 v2, v10
	v_cvt_f16_f32_e32 v3, v12
	v_cvt_f16_f32_e32 v4, v14
	v_cvt_f16_f32_e32 v5, v16
	v_cvt_f16_f32_e32 v6, v17
	v_cvt_f16_f32_e32 v7, v15
	v_cvt_f16_f32_e32 v8, v13
	v_cvt_f16_f32_e32 v9, v11
	s_lshl_b64 s[20:21], s[20:21], 1
	s_add_u32 s20, s2, s20
	s_addc_u32 s2, s3, s21
	s_mov_b32 s23, 0x20000
	s_and_b32 s21, s2, 0xffff
	v_pack_b32_f16 v5, v5, v6
	v_pack_b32_f16 v4, v4, v7
	;; [unrolled: 1-line block ×4, first 2 shown]
	v_lshlrev_b32_e32 v6, 4, v0
	buffer_store_dwordx4 v[2:5], v6, s[20:23], 0 offen
	;;#ASMSTART
	s_nop 0
	;;#ASMEND
.LBB469_18:
	s_or_b64 exec, exec, s[10:11]
	s_cmp_lt_i32 s16, 1
	s_cbranch_scc1 .LBB469_12
.LBB469_19:
	s_load_dword s2, s[4:5], 0x94
	s_waitcnt lgkmcnt(0)
	s_cmp_lg_u32 s2, 1
	s_cbranch_scc1 .LBB469_12
; %bb.20:
	s_lshl_b32 s2, s16, 1
	s_add_i32 s2, s2, 2
	v_cmp_gt_u32_e32 vcc, s16, v1
	s_and_b32 s10, s2, -4
	v_mov_b32_e32 v10, 0
	v_lshlrev_b32_e32 v1, 4, v0
	v_mov_b32_e32 v6, 0
	v_mov_b32_e32 v7, 0
	;; [unrolled: 1-line block ×4, first 2 shown]
	s_waitcnt vmcnt(0)
	v_mov_b32_e32 v2, 0
	v_mov_b32_e32 v3, 0
	;; [unrolled: 1-line block ×4, first 2 shown]
	s_barrier
	s_and_saveexec_b64 s[2:3], vcc
	s_cbranch_execz .LBB469_22
; %bb.21:
	s_mul_hi_i32 s5, s18, s6
	s_mul_i32 s4, s18, s6
	s_and_b32 s9, s9, 0xffff
	s_lshl_b64 s[4:5], s[4:5], 1
	s_add_u32 s20, s24, s4
	s_mov_b32 s11, 0x20000
	s_addc_u32 s4, s25, s5
	s_and_b32 s21, s4, 0xffff
	s_mov_b32 s22, s10
	s_mov_b32 s23, s11
	buffer_load_dwordx4 v[6:9], v1, s[20:23], 0 offen glc slc
	buffer_load_dwordx4 v[2:5], v1, s[8:11], 0 offen
.LBB469_22:
	s_or_b64 exec, exec, s[2:3]
	v_mov_b32_e32 v11, 0
	v_mov_b32_e32 v16, 0
	;; [unrolled: 1-line block ×7, first 2 shown]
	s_and_saveexec_b64 s[2:3], vcc
	s_cbranch_execz .LBB469_24
; %bb.23:
	s_waitcnt vmcnt(1)
	v_cvt_f32_f16_sdwa v11, v6 dst_sel:DWORD dst_unused:UNUSED_PAD src0_sel:WORD_1
	v_cvt_f32_f16_e32 v10, v6
	v_cvt_f32_f16_sdwa v17, v7 dst_sel:DWORD dst_unused:UNUSED_PAD src0_sel:WORD_1
	v_cvt_f32_f16_e32 v16, v7
	;; [unrolled: 2-line block ×4, first 2 shown]
.LBB469_24:
	s_or_b64 exec, exec, s[2:3]
	s_waitcnt vmcnt(1)
	v_mul_f32_e32 v6, v11, v11
	v_fmac_f32_e32 v6, v10, v10
	v_fmac_f32_e32 v6, v16, v16
	;; [unrolled: 1-line block ×7, first 2 shown]
	s_nop 1
	v_mov_b32_dpp v7, v6 quad_perm:[1,0,3,2] row_mask:0xf bank_mask:0xf
	v_add_f32_e32 v6, v6, v7
	s_nop 1
	v_mov_b32_dpp v7, v6 quad_perm:[2,3,0,1] row_mask:0xf bank_mask:0xf
	v_add_f32_e32 v6, v6, v7
	s_nop 1
	v_mov_b32_dpp v7, v6 row_half_mirror row_mask:0xf bank_mask:0xf
	v_add_f32_e32 v6, v6, v7
	s_nop 1
	v_mov_b32_dpp v7, v6 row_mirror row_mask:0xf bank_mask:0xf
	v_add_f32_e32 v6, v6, v7
	s_nop 1
	v_mov_b32_dpp v7, v6 row_bcast:15 row_mask:0xf bank_mask:0xf
	v_add_f32_e32 v6, v6, v7
	s_nop 1
	v_mov_b32_dpp v7, v6 row_bcast:31 row_mask:0xf bank_mask:0xf
	s_and_saveexec_b64 s[2:3], s[0:1]
	s_cbranch_execz .LBB469_26
; %bb.25:
	v_lshrrev_b32_e32 v0, 4, v0
	v_add_f32_e32 v6, v6, v7
	v_and_b32_e32 v0, 60, v0
	ds_write_b32 v0, v6
.LBB469_26:
	s_or_b64 exec, exec, s[2:3]
	s_waitcnt lgkmcnt(0)
	s_barrier
	ds_read_b32 v0, v18
	s_waitcnt lgkmcnt(0)
	s_nop 0
	v_mov_b32_dpp v6, v0 quad_perm:[1,0,3,2] row_mask:0xf bank_mask:0xf
	v_add_f32_e32 v0, v0, v6
	s_nop 1
	v_mov_b32_dpp v6, v0 quad_perm:[2,3,0,1] row_mask:0xf bank_mask:0xf
	s_and_saveexec_b64 s[0:1], vcc
	s_cbranch_execz .LBB469_12
; %bb.27:
	v_cvt_f32_u32_e32 v7, s16
	v_add_f32_e32 v0, v0, v6
	s_mov_b32 s11, 0x20000
	v_div_scale_f32 v6, s[0:1], v7, v7, v0
	v_rcp_f32_e32 v8, v6
	v_div_scale_f32 v9, vcc, v0, v7, v0
	s_mov_b32 s0, 0x800000
	v_fma_f32 v18, -v6, v8, 1.0
	v_fmac_f32_e32 v8, v18, v8
	v_mul_f32_e32 v18, v9, v8
	v_fma_f32 v19, -v6, v18, v9
	v_fmac_f32_e32 v18, v19, v8
	v_fma_f32 v6, -v6, v18, v9
	v_div_fmas_f32 v6, v6, v8, v18
	v_div_fixup_f32 v0, v6, v7, v0
	v_add_f32_e32 v0, s13, v0
	v_mul_f32_e32 v6, 0x4b800000, v0
	v_cmp_gt_f32_e32 vcc, s0, v0
	v_cndmask_b32_e32 v0, v0, v6, vcc
	v_rsq_f32_e32 v0, v0
	s_waitcnt vmcnt(0)
	v_cvt_f32_f16_sdwa v19, v5 dst_sel:DWORD dst_unused:UNUSED_PAD src0_sel:WORD_1
	v_cvt_f32_f16_e32 v18, v5
	s_mul_hi_i32 s1, s27, s6
	v_mul_f32_e32 v6, 0x45800000, v0
	v_cndmask_b32_e32 v6, v0, v6, vcc
	v_mov_b32_e32 v7, v6
	;;#ASMSTART
	v_pk_mul_f32 v[8:9], v[10:11], v[6:7]
	;;#ASMEND
	;;#ASMSTART
	v_pk_mul_f32 v[10:11], v[16:17], v[6:7]
	;;#ASMEND
	;; [unrolled: 3-line block ×4, first 2 shown]
	v_cvt_f32_f16_sdwa v13, v2 dst_sel:DWORD dst_unused:UNUSED_PAD src0_sel:WORD_1
	v_cvt_f32_f16_e32 v12, v2
	v_cvt_f32_f16_sdwa v17, v3 dst_sel:DWORD dst_unused:UNUSED_PAD src0_sel:WORD_1
	v_cvt_f32_f16_e32 v16, v3
	;; [unrolled: 2-line block ×3, first 2 shown]
	;;#ASMSTART
	v_pk_mul_f32 v[4:5], v[8:9], v[12:13]
	;;#ASMEND
	;;#ASMSTART
	v_pk_mul_f32 v[8:9], v[10:11], v[16:17]
	;;#ASMEND
	;; [unrolled: 3-line block ×4, first 2 shown]
	s_mul_i32 s0, s27, s6
	v_cvt_f16_f32_e32 v0, v4
	v_cvt_f16_f32_e32 v4, v5
	;; [unrolled: 1-line block ×8, first 2 shown]
	s_lshl_b64 s[0:1], s[0:1], 1
	s_add_u32 s8, s14, s0
	s_addc_u32 s0, s15, s1
	s_and_b32 s9, s0, 0xffff
	v_pack_b32_f16 v2, v0, v4
	v_pack_b32_f16 v3, v5, v8
	;; [unrolled: 1-line block ×4, first 2 shown]
	buffer_store_dwordx4 v[2:5], v1, s[8:11], 0 offen
	;;#ASMSTART
	s_nop 0
	;;#ASMEND
	s_endpgm
	.section	.rodata,"a",@progbits
	.p2align	6, 0x0
	.amdhsa_kernel _ZN5aiter35fused_qk_rmsnorm_group_quant_kernelIDF16_DB8_Li256ELi8ELi16ELb0ELb1ELb0ELb1ELb0ELb0EEEvPT0_PvPT_S6_S6_PKS5_S8_S8_S8_S8_ffiiiiiiiiiiiii
		.amdhsa_group_segment_fixed_size 32
		.amdhsa_private_segment_fixed_size 0
		.amdhsa_kernarg_size 400
		.amdhsa_user_sgpr_count 6
		.amdhsa_user_sgpr_private_segment_buffer 1
		.amdhsa_user_sgpr_dispatch_ptr 0
		.amdhsa_user_sgpr_queue_ptr 0
		.amdhsa_user_sgpr_kernarg_segment_ptr 1
		.amdhsa_user_sgpr_dispatch_id 0
		.amdhsa_user_sgpr_flat_scratch_init 0
		.amdhsa_user_sgpr_kernarg_preload_length 0
		.amdhsa_user_sgpr_kernarg_preload_offset 0
		.amdhsa_user_sgpr_private_segment_size 0
		.amdhsa_uses_dynamic_stack 0
		.amdhsa_system_sgpr_private_segment_wavefront_offset 0
		.amdhsa_system_sgpr_workgroup_id_x 1
		.amdhsa_system_sgpr_workgroup_id_y 1
		.amdhsa_system_sgpr_workgroup_id_z 0
		.amdhsa_system_sgpr_workgroup_info 0
		.amdhsa_system_vgpr_workitem_id 0
		.amdhsa_next_free_vgpr 23
		.amdhsa_next_free_sgpr 32
		.amdhsa_accum_offset 24
		.amdhsa_reserve_vcc 1
		.amdhsa_reserve_flat_scratch 0
		.amdhsa_float_round_mode_32 0
		.amdhsa_float_round_mode_16_64 0
		.amdhsa_float_denorm_mode_32 3
		.amdhsa_float_denorm_mode_16_64 3
		.amdhsa_dx10_clamp 1
		.amdhsa_ieee_mode 1
		.amdhsa_fp16_overflow 0
		.amdhsa_tg_split 0
		.amdhsa_exception_fp_ieee_invalid_op 0
		.amdhsa_exception_fp_denorm_src 0
		.amdhsa_exception_fp_ieee_div_zero 0
		.amdhsa_exception_fp_ieee_overflow 0
		.amdhsa_exception_fp_ieee_underflow 0
		.amdhsa_exception_fp_ieee_inexact 0
		.amdhsa_exception_int_div_zero 0
	.end_amdhsa_kernel
	.section	.text._ZN5aiter35fused_qk_rmsnorm_group_quant_kernelIDF16_DB8_Li256ELi8ELi16ELb0ELb1ELb0ELb1ELb0ELb0EEEvPT0_PvPT_S6_S6_PKS5_S8_S8_S8_S8_ffiiiiiiiiiiiii,"axG",@progbits,_ZN5aiter35fused_qk_rmsnorm_group_quant_kernelIDF16_DB8_Li256ELi8ELi16ELb0ELb1ELb0ELb1ELb0ELb0EEEvPT0_PvPT_S6_S6_PKS5_S8_S8_S8_S8_ffiiiiiiiiiiiii,comdat
.Lfunc_end469:
	.size	_ZN5aiter35fused_qk_rmsnorm_group_quant_kernelIDF16_DB8_Li256ELi8ELi16ELb0ELb1ELb0ELb1ELb0ELb0EEEvPT0_PvPT_S6_S6_PKS5_S8_S8_S8_S8_ffiiiiiiiiiiiii, .Lfunc_end469-_ZN5aiter35fused_qk_rmsnorm_group_quant_kernelIDF16_DB8_Li256ELi8ELi16ELb0ELb1ELb0ELb1ELb0ELb0EEEvPT0_PvPT_S6_S6_PKS5_S8_S8_S8_S8_ffiiiiiiiiiiiii
                                        ; -- End function
	.section	.AMDGPU.csdata,"",@progbits
; Kernel info:
; codeLenInByte = 2036
; NumSgprs: 36
; NumVgprs: 23
; NumAgprs: 0
; TotalNumVgprs: 23
; ScratchSize: 0
; MemoryBound: 0
; FloatMode: 240
; IeeeMode: 1
; LDSByteSize: 32 bytes/workgroup (compile time only)
; SGPRBlocks: 4
; VGPRBlocks: 2
; NumSGPRsForWavesPerEU: 36
; NumVGPRsForWavesPerEU: 23
; AccumOffset: 24
; Occupancy: 8
; WaveLimiterHint : 0
; COMPUTE_PGM_RSRC2:SCRATCH_EN: 0
; COMPUTE_PGM_RSRC2:USER_SGPR: 6
; COMPUTE_PGM_RSRC2:TRAP_HANDLER: 0
; COMPUTE_PGM_RSRC2:TGID_X_EN: 1
; COMPUTE_PGM_RSRC2:TGID_Y_EN: 1
; COMPUTE_PGM_RSRC2:TGID_Z_EN: 0
; COMPUTE_PGM_RSRC2:TIDIG_COMP_CNT: 0
; COMPUTE_PGM_RSRC3_GFX90A:ACCUM_OFFSET: 5
; COMPUTE_PGM_RSRC3_GFX90A:TG_SPLIT: 0
	.section	.text._ZN5aiter35fused_qk_rmsnorm_group_quant_kernelItDB8_Li256ELi8ELi16ELb0ELb1ELb0ELb1ELb0ELb0EEEvPT0_PvPT_S6_S6_PKS5_S8_S8_S8_S8_ffiiiiiiiiiiiii,"axG",@progbits,_ZN5aiter35fused_qk_rmsnorm_group_quant_kernelItDB8_Li256ELi8ELi16ELb0ELb1ELb0ELb1ELb0ELb0EEEvPT0_PvPT_S6_S6_PKS5_S8_S8_S8_S8_ffiiiiiiiiiiiii,comdat
	.protected	_ZN5aiter35fused_qk_rmsnorm_group_quant_kernelItDB8_Li256ELi8ELi16ELb0ELb1ELb0ELb1ELb0ELb0EEEvPT0_PvPT_S6_S6_PKS5_S8_S8_S8_S8_ffiiiiiiiiiiiii ; -- Begin function _ZN5aiter35fused_qk_rmsnorm_group_quant_kernelItDB8_Li256ELi8ELi16ELb0ELb1ELb0ELb1ELb0ELb0EEEvPT0_PvPT_S6_S6_PKS5_S8_S8_S8_S8_ffiiiiiiiiiiiii
	.globl	_ZN5aiter35fused_qk_rmsnorm_group_quant_kernelItDB8_Li256ELi8ELi16ELb0ELb1ELb0ELb1ELb0ELb0EEEvPT0_PvPT_S6_S6_PKS5_S8_S8_S8_S8_ffiiiiiiiiiiiii
	.p2align	8
	.type	_ZN5aiter35fused_qk_rmsnorm_group_quant_kernelItDB8_Li256ELi8ELi16ELb0ELb1ELb0ELb1ELb0ELb0EEEvPT0_PvPT_S6_S6_PKS5_S8_S8_S8_S8_ffiiiiiiiiiiiii,@function
_ZN5aiter35fused_qk_rmsnorm_group_quant_kernelItDB8_Li256ELi8ELi16ELb0ELb1ELb0ELb1ELb0ELb0EEEvPT0_PvPT_S6_S6_PKS5_S8_S8_S8_S8_ffiiiiiiiiiiiii: ; @_ZN5aiter35fused_qk_rmsnorm_group_quant_kernelItDB8_Li256ELi8ELi16ELb0ELb1ELb0ELb1ELb0ELb0EEEvPT0_PvPT_S6_S6_PKS5_S8_S8_S8_S8_ffiiiiiiiiiiiii
; %bb.0:
	s_load_dwordx4 s[12:15], s[4:5], 0x50
	s_waitcnt lgkmcnt(0)
	s_cmp_ge_i32 s6, s14
	s_cbranch_scc1 .LBB470_10
; %bb.1:
	s_load_dwordx2 s[24:25], s[4:5], 0x30
	s_load_dwordx2 s[8:9], s[4:5], 0x48
	s_load_dwordx4 s[16:19], s[4:5], 0x60
	s_cmp_lg_u32 s7, 0
	s_cselect_b64 s[10:11], -1, 0
	s_cmp_eq_u32 s7, 0
	s_cselect_b64 vcc, -1, 0
	s_and_b64 s[0:1], vcc, exec
	s_waitcnt lgkmcnt(0)
	s_cselect_b32 s7, s15, s16
	s_add_i32 s0, s7, 1
	s_lshr_b32 s1, s0, 31
	s_add_i32 s0, s0, s1
	s_lshl_b32 s0, s0, 1
	v_lshlrev_b32_e32 v1, 3, v0
	s_and_b32 s22, s0, -4
	v_cmp_gt_i32_e64 s[2:3], s7, v1
	v_mov_b32_e32 v2, 0
	v_mov_b32_e32 v3, 0
	;; [unrolled: 1-line block ×8, first 2 shown]
	s_and_saveexec_b64 s[0:1], s[2:3]
	s_cbranch_execz .LBB470_3
; %bb.2:
	s_load_dwordx2 s[14:15], s[4:5], 0x28
	s_load_dwordx2 s[20:21], s[4:5], 0x40
	s_and_b64 s[26:27], vcc, exec
	s_cselect_b32 s17, s17, s18
	v_lshlrev_b32_e32 v10, 4, v0
	s_waitcnt lgkmcnt(0)
	s_cselect_b32 s19, s15, s25
	s_cselect_b32 s23, s14, s24
	s_mul_hi_i32 s15, s17, s6
	s_mul_i32 s14, s17, s6
	s_lshl_b64 s[14:15], s[14:15], 1
	s_add_u32 s28, s23, s14
	s_addc_u32 s17, s19, s15
	s_and_b64 s[14:15], vcc, exec
	s_mov_b32 s23, 0x20000
	s_cselect_b32 s20, s20, s8
	s_cselect_b32 s14, s21, s9
	s_and_b32 s29, s17, 0xffff
	s_mov_b32 s30, s22
	s_mov_b32 s31, s23
	s_and_b32 s21, s14, 0xffff
	buffer_load_dwordx4 v[6:9], v10, s[28:31], 0 offen glc slc
	buffer_load_dwordx4 v[2:5], v10, s[20:23], 0 offen
.LBB470_3:
	s_or_b64 exec, exec, s[0:1]
	s_waitcnt vmcnt(1)
	v_cvt_f32_u32_sdwa v13, v6 dst_sel:DWORD dst_unused:UNUSED_PAD src0_sel:WORD_1
	v_cvt_f32_u32_sdwa v12, v6 dst_sel:DWORD dst_unused:UNUSED_PAD src0_sel:WORD_0
	v_cvt_f32_u32_sdwa v6, v9 dst_sel:DWORD dst_unused:UNUSED_PAD src0_sel:WORD_1
	v_cvt_f32_u32_sdwa v9, v9 dst_sel:DWORD dst_unused:UNUSED_PAD src0_sel:WORD_0
	;; [unrolled: 2-line block ×4, first 2 shown]
	v_cndmask_b32_e64 v13, 0, v13, s[2:3]
	v_cndmask_b32_e64 v7, 0, v6, s[2:3]
	;; [unrolled: 1-line block ×5, first 2 shown]
	v_mul_f32_e32 v14, v13, v13
	v_cndmask_b32_e64 v10, 0, v10, s[2:3]
	v_fmac_f32_e32 v14, v12, v12
	v_cndmask_b32_e64 v11, 0, v11, s[2:3]
	v_fmac_f32_e32 v14, v10, v10
	;; [unrolled: 2-line block ×3, first 2 shown]
	v_fmac_f32_e32 v14, v8, v8
	v_fmac_f32_e32 v14, v9, v9
	;; [unrolled: 1-line block ×4, first 2 shown]
	v_and_b32_e32 v16, 63, v0
	v_cmp_eq_u32_e64 s[0:1], 63, v16
	v_mov_b32_dpp v15, v14 quad_perm:[1,0,3,2] row_mask:0xf bank_mask:0xf
	v_add_f32_e32 v14, v14, v15
	s_nop 1
	v_mov_b32_dpp v15, v14 quad_perm:[2,3,0,1] row_mask:0xf bank_mask:0xf
	v_add_f32_e32 v14, v14, v15
	s_nop 1
	v_mov_b32_dpp v15, v14 row_half_mirror row_mask:0xf bank_mask:0xf
	v_add_f32_e32 v14, v14, v15
	s_nop 1
	v_mov_b32_dpp v15, v14 row_mirror row_mask:0xf bank_mask:0xf
	v_add_f32_e32 v14, v14, v15
	s_nop 1
	v_mov_b32_dpp v15, v14 row_bcast:15 row_mask:0xf bank_mask:0xf
	v_add_f32_e32 v14, v14, v15
	s_nop 1
	v_mov_b32_dpp v15, v14 row_bcast:31 row_mask:0xf bank_mask:0xf
	s_and_saveexec_b64 s[14:15], s[0:1]
	s_cbranch_execz .LBB470_5
; %bb.4:
	v_add_f32_e32 v14, v14, v15
	v_lshrrev_b32_e32 v15, 4, v0
	v_and_b32_e32 v15, 60, v15
	ds_write_b32 v15, v14 offset:16
.LBB470_5:
	s_or_b64 exec, exec, s[14:15]
	v_and_b32_e32 v14, 3, v0
	v_lshlrev_b32_e32 v14, 2, v14
	s_waitcnt lgkmcnt(0)
	s_barrier
	ds_read_b32 v15, v14 offset:16
	s_load_dwordx2 s[14:15], s[4:5], 0x18
	s_waitcnt lgkmcnt(0)
	v_mov_b32_dpp v16, v15 quad_perm:[1,0,3,2] row_mask:0xf bank_mask:0xf
	v_add_f32_e32 v15, v15, v16
	s_nop 1
	v_mov_b32_dpp v16, v15 quad_perm:[2,3,0,1] row_mask:0xf bank_mask:0xf
	s_and_saveexec_b64 s[20:21], s[2:3]
	s_cbranch_execz .LBB470_7
; %bb.6:
	v_cvt_f32_u32_e32 v17, s7
	v_add_f32_e32 v15, v15, v16
	v_mov_b32_e32 v19, s13
	v_mov_b32_e32 v20, s12
	v_div_scale_f32 v16, s[26:27], v17, v17, v15
	v_rcp_f32_e32 v18, v16
	v_cndmask_b32_e32 v19, v19, v20, vcc
	s_mov_b32 s7, 0x800000
	v_fma_f32 v20, -v16, v18, 1.0
	v_fmac_f32_e32 v18, v20, v18
	v_div_scale_f32 v20, vcc, v15, v17, v15
	v_mul_f32_e32 v21, v20, v18
	v_fma_f32 v22, -v16, v21, v20
	v_fmac_f32_e32 v21, v22, v18
	v_fma_f32 v16, -v16, v21, v20
	v_div_fmas_f32 v16, v16, v18, v21
	v_div_fixup_f32 v15, v16, v17, v15
	v_add_f32_e32 v15, v19, v15
	v_mul_f32_e32 v16, 0x4b800000, v15
	v_cmp_gt_f32_e32 vcc, s7, v15
	v_cndmask_b32_e32 v15, v15, v16, vcc
	v_rsq_f32_e32 v15, v15
	s_waitcnt vmcnt(0)
	v_cvt_f32_u32_sdwa v19, v3 dst_sel:DWORD dst_unused:UNUSED_PAD src0_sel:WORD_1
	v_cvt_f32_u32_sdwa v18, v3 dst_sel:DWORD dst_unused:UNUSED_PAD src0_sel:WORD_0
	v_cvt_f32_u32_sdwa v3, v4 dst_sel:DWORD dst_unused:UNUSED_PAD src0_sel:WORD_1
	v_mul_f32_e32 v16, 0x45800000, v15
	v_cndmask_b32_e32 v16, v15, v16, vcc
	v_mov_b32_e32 v17, v16
	;;#ASMSTART
	v_pk_mul_f32 v[12:13], v[12:13], v[16:17]
	;;#ASMEND
	;;#ASMSTART
	v_pk_mul_f32 v[10:11], v[10:11], v[16:17]
	;;#ASMEND
	;; [unrolled: 3-line block ×4, first 2 shown]
	v_cvt_f32_u32_sdwa v17, v2 dst_sel:DWORD dst_unused:UNUSED_PAD src0_sel:WORD_1
	v_cvt_f32_u32_sdwa v16, v2 dst_sel:DWORD dst_unused:UNUSED_PAD src0_sel:WORD_0
	v_cvt_f32_u32_sdwa v2, v4 dst_sel:DWORD dst_unused:UNUSED_PAD src0_sel:WORD_0
	v_cvt_f32_u32_sdwa v21, v5 dst_sel:DWORD dst_unused:UNUSED_PAD src0_sel:WORD_1
	v_cvt_f32_u32_sdwa v20, v5 dst_sel:DWORD dst_unused:UNUSED_PAD src0_sel:WORD_0
	;;#ASMSTART
	v_pk_mul_f32 v[12:13], v[12:13], v[16:17]
	;;#ASMEND
	;;#ASMSTART
	v_pk_mul_f32 v[10:11], v[10:11], v[18:19]
	;;#ASMEND
	;; [unrolled: 3-line block ×4, first 2 shown]
.LBB470_7:
	s_or_b64 exec, exec, s[20:21]
	s_load_dwordx2 s[26:27], s[4:5], 0x7c
	s_mov_b64 s[20:21], -1
	s_and_b64 vcc, exec, s[10:11]
	s_cbranch_vccnz .LBB470_11
; %bb.8:
	s_andn2_b64 vcc, exec, s[20:21]
	s_cbranch_vccz .LBB470_14
.LBB470_9:
	s_cmp_lt_i32 s16, 1
	s_cbranch_scc0 .LBB470_17
.LBB470_10:
	s_endpgm
.LBB470_11:
	s_and_saveexec_b64 s[10:11], s[2:3]
	s_cbranch_execz .LBB470_13
; %bb.12:
	s_waitcnt lgkmcnt(0)
	s_mul_hi_i32 s21, s27, s6
	s_mul_i32 s20, s27, s6
	s_lshl_b64 s[20:21], s[20:21], 1
	s_add_u32 s20, s14, s20
	s_addc_u32 s7, s15, s21
	s_and_b32 s21, s7, 0xffff
	s_mov_b32 s7, 0x7060302
	s_mov_b32 s23, 0x20000
	s_waitcnt vmcnt(0)
	v_perm_b32 v2, v13, v12, s7
	v_perm_b32 v3, v11, v10, s7
	;; [unrolled: 1-line block ×4, first 2 shown]
	v_lshlrev_b32_e32 v15, 4, v0
	buffer_store_dwordx4 v[2:5], v15, s[20:23], 0 offen
	;;#ASMSTART
	s_nop 0
	;;#ASMEND
.LBB470_13:
	s_or_b64 exec, exec, s[10:11]
	s_cbranch_execnz .LBB470_9
.LBB470_14:
	s_and_saveexec_b64 s[10:11], s[2:3]
	s_cbranch_execz .LBB470_16
; %bb.15:
	s_load_dwordx2 s[2:3], s[4:5], 0x10
	s_waitcnt lgkmcnt(0)
	s_mul_hi_i32 s21, s26, s6
	s_mul_i32 s20, s26, s6
	s_lshl_b64 s[20:21], s[20:21], 1
	s_mov_b32 s23, 0x20000
	s_add_u32 s20, s2, s20
	s_addc_u32 s2, s3, s21
	s_and_b32 s21, s2, 0xffff
	s_mov_b32 s2, 0x7060302
	s_waitcnt vmcnt(0)
	v_perm_b32 v2, v13, v12, s2
	v_perm_b32 v3, v11, v10, s2
	;; [unrolled: 1-line block ×4, first 2 shown]
	v_lshlrev_b32_e32 v6, 4, v0
	buffer_store_dwordx4 v[2:5], v6, s[20:23], 0 offen
	;;#ASMSTART
	s_nop 0
	;;#ASMEND
.LBB470_16:
	s_or_b64 exec, exec, s[10:11]
	s_cmp_lt_i32 s16, 1
	s_cbranch_scc1 .LBB470_10
.LBB470_17:
	s_load_dword s2, s[4:5], 0x94
	s_waitcnt lgkmcnt(0)
	s_cmp_lg_u32 s2, 1
	s_cbranch_scc1 .LBB470_10
; %bb.18:
	s_lshl_b32 s2, s16, 1
	s_add_i32 s2, s2, 2
	v_cmp_gt_u32_e32 vcc, s16, v1
	s_and_b32 s10, s2, -4
	v_mov_b32_e32 v6, 0
	v_lshlrev_b32_e32 v1, 4, v0
	v_mov_b32_e32 v7, 0
	v_mov_b32_e32 v8, 0
	;; [unrolled: 1-line block ×3, first 2 shown]
	s_waitcnt vmcnt(0)
	v_mov_b32_e32 v2, 0
	v_mov_b32_e32 v3, 0
	;; [unrolled: 1-line block ×4, first 2 shown]
	s_barrier
	s_and_saveexec_b64 s[2:3], vcc
	s_cbranch_execz .LBB470_20
; %bb.19:
	s_mul_hi_i32 s5, s18, s6
	s_mul_i32 s4, s18, s6
	s_and_b32 s9, s9, 0xffff
	s_lshl_b64 s[4:5], s[4:5], 1
	s_add_u32 s20, s24, s4
	s_mov_b32 s11, 0x20000
	s_addc_u32 s4, s25, s5
	s_and_b32 s21, s4, 0xffff
	s_mov_b32 s22, s10
	s_mov_b32 s23, s11
	buffer_load_dwordx4 v[6:9], v1, s[20:23], 0 offen glc slc
	buffer_load_dwordx4 v[2:5], v1, s[8:11], 0 offen
.LBB470_20:
	s_or_b64 exec, exec, s[2:3]
	s_waitcnt vmcnt(1)
	v_cvt_f32_u32_sdwa v13, v6 dst_sel:DWORD dst_unused:UNUSED_PAD src0_sel:WORD_1
	v_cvt_f32_u32_sdwa v12, v6 dst_sel:DWORD dst_unused:UNUSED_PAD src0_sel:WORD_0
	v_cvt_f32_u32_sdwa v6, v9 dst_sel:DWORD dst_unused:UNUSED_PAD src0_sel:WORD_1
	v_cvt_f32_u32_sdwa v9, v9 dst_sel:DWORD dst_unused:UNUSED_PAD src0_sel:WORD_0
	;; [unrolled: 2-line block ×4, first 2 shown]
	v_cndmask_b32_e32 v13, 0, v13, vcc
	v_cndmask_b32_e32 v7, 0, v6, vcc
	;; [unrolled: 1-line block ×5, first 2 shown]
	v_mul_f32_e32 v15, v13, v13
	v_cndmask_b32_e32 v10, 0, v10, vcc
	v_fmac_f32_e32 v15, v12, v12
	v_cndmask_b32_e32 v11, 0, v11, vcc
	v_fmac_f32_e32 v15, v10, v10
	;; [unrolled: 2-line block ×3, first 2 shown]
	v_fmac_f32_e32 v15, v8, v8
	v_fmac_f32_e32 v15, v9, v9
	;; [unrolled: 1-line block ×4, first 2 shown]
	s_nop 1
	v_mov_b32_dpp v16, v15 quad_perm:[1,0,3,2] row_mask:0xf bank_mask:0xf
	v_add_f32_e32 v15, v15, v16
	s_nop 1
	v_mov_b32_dpp v16, v15 quad_perm:[2,3,0,1] row_mask:0xf bank_mask:0xf
	v_add_f32_e32 v15, v15, v16
	s_nop 1
	v_mov_b32_dpp v16, v15 row_half_mirror row_mask:0xf bank_mask:0xf
	v_add_f32_e32 v15, v15, v16
	s_nop 1
	v_mov_b32_dpp v16, v15 row_mirror row_mask:0xf bank_mask:0xf
	v_add_f32_e32 v15, v15, v16
	s_nop 1
	v_mov_b32_dpp v16, v15 row_bcast:15 row_mask:0xf bank_mask:0xf
	v_add_f32_e32 v15, v15, v16
	s_nop 1
	v_mov_b32_dpp v16, v15 row_bcast:31 row_mask:0xf bank_mask:0xf
	s_and_saveexec_b64 s[2:3], s[0:1]
	s_cbranch_execz .LBB470_22
; %bb.21:
	v_lshrrev_b32_e32 v0, 4, v0
	v_add_f32_e32 v15, v15, v16
	v_and_b32_e32 v0, 60, v0
	ds_write_b32 v0, v15
.LBB470_22:
	s_or_b64 exec, exec, s[2:3]
	s_waitcnt lgkmcnt(0)
	s_barrier
	ds_read_b32 v0, v14
	s_waitcnt lgkmcnt(0)
	s_nop 0
	v_mov_b32_dpp v14, v0 quad_perm:[1,0,3,2] row_mask:0xf bank_mask:0xf
	v_add_f32_e32 v0, v0, v14
	s_nop 1
	v_mov_b32_dpp v14, v0 quad_perm:[2,3,0,1] row_mask:0xf bank_mask:0xf
	s_and_saveexec_b64 s[0:1], vcc
	s_cbranch_execz .LBB470_10
; %bb.23:
	v_cvt_f32_u32_e32 v15, s16
	v_add_f32_e32 v0, v0, v14
	s_mov_b32 s11, 0x20000
	v_div_scale_f32 v14, s[0:1], v15, v15, v0
	v_rcp_f32_e32 v16, v14
	v_div_scale_f32 v17, vcc, v0, v15, v0
	s_mov_b32 s0, 0x800000
	v_fma_f32 v18, -v14, v16, 1.0
	v_fmac_f32_e32 v16, v18, v16
	v_mul_f32_e32 v18, v17, v16
	v_fma_f32 v19, -v14, v18, v17
	v_fmac_f32_e32 v18, v19, v16
	v_fma_f32 v14, -v14, v18, v17
	v_div_fmas_f32 v14, v14, v16, v18
	v_div_fixup_f32 v0, v14, v15, v0
	v_add_f32_e32 v0, s13, v0
	v_mul_f32_e32 v14, 0x4b800000, v0
	v_cmp_gt_f32_e32 vcc, s0, v0
	v_cndmask_b32_e32 v0, v0, v14, vcc
	v_rsq_f32_e32 v0, v0
	s_mul_hi_i32 s1, s27, s6
	s_mul_i32 s0, s27, s6
	s_lshl_b64 s[0:1], s[0:1], 1
	v_mul_f32_e32 v14, 0x45800000, v0
	v_cndmask_b32_e32 v14, v0, v14, vcc
	s_add_u32 s8, s14, s0
	v_mov_b32_e32 v15, v14
	s_addc_u32 s0, s15, s1
	;;#ASMSTART
	v_pk_mul_f32 v[12:13], v[12:13], v[14:15]
	;;#ASMEND
	;;#ASMSTART
	v_pk_mul_f32 v[10:11], v[10:11], v[14:15]
	;;#ASMEND
	;; [unrolled: 3-line block ×4, first 2 shown]
	s_waitcnt vmcnt(0)
	v_cvt_f32_u32_sdwa v15, v2 dst_sel:DWORD dst_unused:UNUSED_PAD src0_sel:WORD_1
	v_cvt_f32_u32_sdwa v14, v2 dst_sel:DWORD dst_unused:UNUSED_PAD src0_sel:WORD_0
	v_cvt_f32_u32_sdwa v17, v3 dst_sel:DWORD dst_unused:UNUSED_PAD src0_sel:WORD_1
	v_cvt_f32_u32_sdwa v16, v3 dst_sel:DWORD dst_unused:UNUSED_PAD src0_sel:WORD_0
	;; [unrolled: 2-line block ×4, first 2 shown]
	;;#ASMSTART
	v_pk_mul_f32 v[4:5], v[12:13], v[14:15]
	;;#ASMEND
	s_and_b32 s9, s0, 0xffff
	s_mov_b32 s0, 0x7060302
	;;#ASMSTART
	v_pk_mul_f32 v[10:11], v[10:11], v[16:17]
	;;#ASMEND
	;;#ASMSTART
	v_pk_mul_f32 v[8:9], v[8:9], v[2:3]
	;;#ASMEND
	;; [unrolled: 3-line block ×3, first 2 shown]
	v_perm_b32 v2, v5, v4, s0
	v_perm_b32 v3, v11, v10, s0
	;; [unrolled: 1-line block ×4, first 2 shown]
	buffer_store_dwordx4 v[2:5], v1, s[8:11], 0 offen
	;;#ASMSTART
	s_nop 0
	;;#ASMEND
	s_endpgm
	.section	.rodata,"a",@progbits
	.p2align	6, 0x0
	.amdhsa_kernel _ZN5aiter35fused_qk_rmsnorm_group_quant_kernelItDB8_Li256ELi8ELi16ELb0ELb1ELb0ELb1ELb0ELb0EEEvPT0_PvPT_S6_S6_PKS5_S8_S8_S8_S8_ffiiiiiiiiiiiii
		.amdhsa_group_segment_fixed_size 32
		.amdhsa_private_segment_fixed_size 0
		.amdhsa_kernarg_size 400
		.amdhsa_user_sgpr_count 6
		.amdhsa_user_sgpr_private_segment_buffer 1
		.amdhsa_user_sgpr_dispatch_ptr 0
		.amdhsa_user_sgpr_queue_ptr 0
		.amdhsa_user_sgpr_kernarg_segment_ptr 1
		.amdhsa_user_sgpr_dispatch_id 0
		.amdhsa_user_sgpr_flat_scratch_init 0
		.amdhsa_user_sgpr_kernarg_preload_length 0
		.amdhsa_user_sgpr_kernarg_preload_offset 0
		.amdhsa_user_sgpr_private_segment_size 0
		.amdhsa_uses_dynamic_stack 0
		.amdhsa_system_sgpr_private_segment_wavefront_offset 0
		.amdhsa_system_sgpr_workgroup_id_x 1
		.amdhsa_system_sgpr_workgroup_id_y 1
		.amdhsa_system_sgpr_workgroup_id_z 0
		.amdhsa_system_sgpr_workgroup_info 0
		.amdhsa_system_vgpr_workitem_id 0
		.amdhsa_next_free_vgpr 23
		.amdhsa_next_free_sgpr 32
		.amdhsa_accum_offset 24
		.amdhsa_reserve_vcc 1
		.amdhsa_reserve_flat_scratch 0
		.amdhsa_float_round_mode_32 0
		.amdhsa_float_round_mode_16_64 0
		.amdhsa_float_denorm_mode_32 3
		.amdhsa_float_denorm_mode_16_64 3
		.amdhsa_dx10_clamp 1
		.amdhsa_ieee_mode 1
		.amdhsa_fp16_overflow 0
		.amdhsa_tg_split 0
		.amdhsa_exception_fp_ieee_invalid_op 0
		.amdhsa_exception_fp_denorm_src 0
		.amdhsa_exception_fp_ieee_div_zero 0
		.amdhsa_exception_fp_ieee_overflow 0
		.amdhsa_exception_fp_ieee_underflow 0
		.amdhsa_exception_fp_ieee_inexact 0
		.amdhsa_exception_int_div_zero 0
	.end_amdhsa_kernel
	.section	.text._ZN5aiter35fused_qk_rmsnorm_group_quant_kernelItDB8_Li256ELi8ELi16ELb0ELb1ELb0ELb1ELb0ELb0EEEvPT0_PvPT_S6_S6_PKS5_S8_S8_S8_S8_ffiiiiiiiiiiiii,"axG",@progbits,_ZN5aiter35fused_qk_rmsnorm_group_quant_kernelItDB8_Li256ELi8ELi16ELb0ELb1ELb0ELb1ELb0ELb0EEEvPT0_PvPT_S6_S6_PKS5_S8_S8_S8_S8_ffiiiiiiiiiiiii,comdat
.Lfunc_end470:
	.size	_ZN5aiter35fused_qk_rmsnorm_group_quant_kernelItDB8_Li256ELi8ELi16ELb0ELb1ELb0ELb1ELb0ELb0EEEvPT0_PvPT_S6_S6_PKS5_S8_S8_S8_S8_ffiiiiiiiiiiiii, .Lfunc_end470-_ZN5aiter35fused_qk_rmsnorm_group_quant_kernelItDB8_Li256ELi8ELi16ELb0ELb1ELb0ELb1ELb0ELb0EEEvPT0_PvPT_S6_S6_PKS5_S8_S8_S8_S8_ffiiiiiiiiiiiii
                                        ; -- End function
	.section	.AMDGPU.csdata,"",@progbits
; Kernel info:
; codeLenInByte = 2028
; NumSgprs: 36
; NumVgprs: 23
; NumAgprs: 0
; TotalNumVgprs: 23
; ScratchSize: 0
; MemoryBound: 0
; FloatMode: 240
; IeeeMode: 1
; LDSByteSize: 32 bytes/workgroup (compile time only)
; SGPRBlocks: 4
; VGPRBlocks: 2
; NumSGPRsForWavesPerEU: 36
; NumVGPRsForWavesPerEU: 23
; AccumOffset: 24
; Occupancy: 8
; WaveLimiterHint : 0
; COMPUTE_PGM_RSRC2:SCRATCH_EN: 0
; COMPUTE_PGM_RSRC2:USER_SGPR: 6
; COMPUTE_PGM_RSRC2:TRAP_HANDLER: 0
; COMPUTE_PGM_RSRC2:TGID_X_EN: 1
; COMPUTE_PGM_RSRC2:TGID_Y_EN: 1
; COMPUTE_PGM_RSRC2:TGID_Z_EN: 0
; COMPUTE_PGM_RSRC2:TIDIG_COMP_CNT: 0
; COMPUTE_PGM_RSRC3_GFX90A:ACCUM_OFFSET: 5
; COMPUTE_PGM_RSRC3_GFX90A:TG_SPLIT: 0
	.section	.text._ZN5aiter35fused_qk_rmsnorm_group_quant_kernelIDF16_N4opus5fp4_tELi256ELi8ELi16ELb0ELb1ELb0ELb1ELb0ELb0EEEvPT0_PvPT_S7_S7_PKS6_S9_S9_S9_S9_ffiiiiiiiiiiiii,"axG",@progbits,_ZN5aiter35fused_qk_rmsnorm_group_quant_kernelIDF16_N4opus5fp4_tELi256ELi8ELi16ELb0ELb1ELb0ELb1ELb0ELb0EEEvPT0_PvPT_S7_S7_PKS6_S9_S9_S9_S9_ffiiiiiiiiiiiii,comdat
	.protected	_ZN5aiter35fused_qk_rmsnorm_group_quant_kernelIDF16_N4opus5fp4_tELi256ELi8ELi16ELb0ELb1ELb0ELb1ELb0ELb0EEEvPT0_PvPT_S7_S7_PKS6_S9_S9_S9_S9_ffiiiiiiiiiiiii ; -- Begin function _ZN5aiter35fused_qk_rmsnorm_group_quant_kernelIDF16_N4opus5fp4_tELi256ELi8ELi16ELb0ELb1ELb0ELb1ELb0ELb0EEEvPT0_PvPT_S7_S7_PKS6_S9_S9_S9_S9_ffiiiiiiiiiiiii
	.globl	_ZN5aiter35fused_qk_rmsnorm_group_quant_kernelIDF16_N4opus5fp4_tELi256ELi8ELi16ELb0ELb1ELb0ELb1ELb0ELb0EEEvPT0_PvPT_S7_S7_PKS6_S9_S9_S9_S9_ffiiiiiiiiiiiii
	.p2align	8
	.type	_ZN5aiter35fused_qk_rmsnorm_group_quant_kernelIDF16_N4opus5fp4_tELi256ELi8ELi16ELb0ELb1ELb0ELb1ELb0ELb0EEEvPT0_PvPT_S7_S7_PKS6_S9_S9_S9_S9_ffiiiiiiiiiiiii,@function
_ZN5aiter35fused_qk_rmsnorm_group_quant_kernelIDF16_N4opus5fp4_tELi256ELi8ELi16ELb0ELb1ELb0ELb1ELb0ELb0EEEvPT0_PvPT_S7_S7_PKS6_S9_S9_S9_S9_ffiiiiiiiiiiiii: ; @_ZN5aiter35fused_qk_rmsnorm_group_quant_kernelIDF16_N4opus5fp4_tELi256ELi8ELi16ELb0ELb1ELb0ELb1ELb0ELb0EEEvPT0_PvPT_S7_S7_PKS6_S9_S9_S9_S9_ffiiiiiiiiiiiii
; %bb.0:
	s_load_dwordx4 s[12:15], s[4:5], 0x50
	s_waitcnt lgkmcnt(0)
	s_cmp_ge_i32 s6, s14
	s_cbranch_scc1 .LBB471_12
; %bb.1:
	s_load_dwordx2 s[24:25], s[4:5], 0x30
	s_load_dwordx2 s[8:9], s[4:5], 0x48
	s_load_dwordx4 s[16:19], s[4:5], 0x60
	s_cmp_lg_u32 s7, 0
	s_cselect_b64 s[10:11], -1, 0
	s_cmp_eq_u32 s7, 0
	s_cselect_b64 vcc, -1, 0
	s_and_b64 s[0:1], vcc, exec
	s_waitcnt lgkmcnt(0)
	s_cselect_b32 s7, s15, s16
	s_add_i32 s0, s7, 1
	s_lshr_b32 s1, s0, 31
	s_add_i32 s0, s0, s1
	s_lshl_b32 s0, s0, 1
	v_lshlrev_b32_e32 v1, 3, v0
	s_and_b32 s22, s0, -4
	v_cmp_gt_i32_e64 s[2:3], s7, v1
	v_mov_b32_e32 v10, 0
	v_mov_b32_e32 v2, 0
	;; [unrolled: 1-line block ×9, first 2 shown]
	s_and_saveexec_b64 s[0:1], s[2:3]
	s_cbranch_execz .LBB471_3
; %bb.2:
	s_load_dwordx2 s[14:15], s[4:5], 0x28
	s_load_dwordx2 s[20:21], s[4:5], 0x40
	s_and_b64 s[26:27], vcc, exec
	s_cselect_b32 s17, s17, s18
	v_lshlrev_b32_e32 v11, 4, v0
	s_waitcnt lgkmcnt(0)
	s_cselect_b32 s19, s15, s25
	s_cselect_b32 s23, s14, s24
	s_mul_hi_i32 s15, s17, s6
	s_mul_i32 s14, s17, s6
	s_lshl_b64 s[14:15], s[14:15], 1
	s_add_u32 s28, s23, s14
	s_addc_u32 s17, s19, s15
	s_and_b64 s[14:15], vcc, exec
	s_mov_b32 s23, 0x20000
	s_cselect_b32 s20, s20, s8
	s_cselect_b32 s14, s21, s9
	s_and_b32 s29, s17, 0xffff
	s_mov_b32 s30, s22
	s_mov_b32 s31, s23
	s_and_b32 s21, s14, 0xffff
	buffer_load_dwordx4 v[6:9], v11, s[28:31], 0 offen glc slc
	buffer_load_dwordx4 v[2:5], v11, s[20:23], 0 offen
.LBB471_3:
	s_or_b64 exec, exec, s[0:1]
	v_mov_b32_e32 v11, 0
	v_mov_b32_e32 v12, 0
	;; [unrolled: 1-line block ×7, first 2 shown]
	s_and_saveexec_b64 s[0:1], s[2:3]
	s_cbranch_execz .LBB471_5
; %bb.4:
	s_waitcnt vmcnt(1)
	v_cvt_f32_f16_sdwa v11, v6 dst_sel:DWORD dst_unused:UNUSED_PAD src0_sel:WORD_1
	v_cvt_f32_f16_e32 v10, v6
	v_cvt_f32_f16_sdwa v13, v7 dst_sel:DWORD dst_unused:UNUSED_PAD src0_sel:WORD_1
	v_cvt_f32_f16_e32 v12, v7
	;; [unrolled: 2-line block ×4, first 2 shown]
.LBB471_5:
	s_or_b64 exec, exec, s[0:1]
	s_waitcnt vmcnt(1)
	v_mul_f32_e32 v6, v11, v11
	v_fmac_f32_e32 v6, v10, v10
	v_fmac_f32_e32 v6, v12, v12
	;; [unrolled: 1-line block ×7, first 2 shown]
	v_and_b32_e32 v8, 63, v0
	v_cmp_eq_u32_e64 s[0:1], 63, v8
	v_mov_b32_dpp v7, v6 quad_perm:[1,0,3,2] row_mask:0xf bank_mask:0xf
	v_add_f32_e32 v6, v6, v7
	s_nop 1
	v_mov_b32_dpp v7, v6 quad_perm:[2,3,0,1] row_mask:0xf bank_mask:0xf
	v_add_f32_e32 v6, v6, v7
	s_nop 1
	v_mov_b32_dpp v7, v6 row_half_mirror row_mask:0xf bank_mask:0xf
	v_add_f32_e32 v6, v6, v7
	s_nop 1
	v_mov_b32_dpp v7, v6 row_mirror row_mask:0xf bank_mask:0xf
	v_add_f32_e32 v6, v6, v7
	s_nop 1
	v_mov_b32_dpp v7, v6 row_bcast:15 row_mask:0xf bank_mask:0xf
	v_add_f32_e32 v6, v6, v7
	s_nop 1
	v_mov_b32_dpp v7, v6 row_bcast:31 row_mask:0xf bank_mask:0xf
	s_and_saveexec_b64 s[14:15], s[0:1]
	s_cbranch_execz .LBB471_7
; %bb.6:
	v_add_f32_e32 v6, v6, v7
	v_lshrrev_b32_e32 v7, 4, v0
	v_and_b32_e32 v7, 60, v7
	ds_write_b32 v7, v6 offset:16
.LBB471_7:
	s_or_b64 exec, exec, s[14:15]
	v_and_b32_e32 v6, 3, v0
	v_lshlrev_b32_e32 v18, 2, v6
	s_waitcnt lgkmcnt(0)
	s_barrier
	ds_read_b32 v6, v18 offset:16
	s_load_dwordx2 s[14:15], s[4:5], 0x18
	s_waitcnt lgkmcnt(0)
	v_mov_b32_dpp v7, v6 quad_perm:[1,0,3,2] row_mask:0xf bank_mask:0xf
	v_add_f32_e32 v6, v6, v7
	s_nop 1
	v_mov_b32_dpp v7, v6 quad_perm:[2,3,0,1] row_mask:0xf bank_mask:0xf
	s_and_saveexec_b64 s[20:21], s[2:3]
	s_cbranch_execz .LBB471_9
; %bb.8:
	v_cvt_f32_u32_e32 v8, s7
	v_add_f32_e32 v6, v6, v7
	v_mov_b32_e32 v19, s13
	v_mov_b32_e32 v20, s12
	v_div_scale_f32 v7, s[26:27], v8, v8, v6
	v_rcp_f32_e32 v9, v7
	v_cndmask_b32_e32 v19, v19, v20, vcc
	s_mov_b32 s7, 0x800000
	v_fma_f32 v20, -v7, v9, 1.0
	v_fmac_f32_e32 v9, v20, v9
	v_div_scale_f32 v20, vcc, v6, v8, v6
	v_mul_f32_e32 v21, v20, v9
	v_fma_f32 v22, -v7, v21, v20
	v_fmac_f32_e32 v21, v22, v9
	v_fma_f32 v7, -v7, v21, v20
	v_div_fmas_f32 v7, v7, v9, v21
	v_div_fixup_f32 v6, v7, v8, v6
	v_add_f32_e32 v6, v19, v6
	v_mul_f32_e32 v7, 0x4b800000, v6
	v_cmp_gt_f32_e32 vcc, s7, v6
	v_cndmask_b32_e32 v6, v6, v7, vcc
	v_rsq_f32_e32 v6, v6
	s_waitcnt vmcnt(0)
	v_cvt_f32_f16_sdwa v21, v5 dst_sel:DWORD dst_unused:UNUSED_PAD src0_sel:WORD_1
	v_cvt_f32_f16_e32 v20, v5
	v_mul_f32_e32 v7, 0x45800000, v6
	v_cndmask_b32_e32 v6, v6, v7, vcc
	v_mov_b32_e32 v7, v6
	;;#ASMSTART
	v_pk_mul_f32 v[8:9], v[10:11], v[6:7]
	;;#ASMEND
	;;#ASMSTART
	v_pk_mul_f32 v[12:13], v[12:13], v[6:7]
	;;#ASMEND
	;; [unrolled: 3-line block ×4, first 2 shown]
	v_cvt_f32_f16_sdwa v11, v2 dst_sel:DWORD dst_unused:UNUSED_PAD src0_sel:WORD_1
	v_cvt_f32_f16_e32 v10, v2
	v_cvt_f32_f16_sdwa v17, v3 dst_sel:DWORD dst_unused:UNUSED_PAD src0_sel:WORD_1
	v_cvt_f32_f16_e32 v16, v3
	;; [unrolled: 2-line block ×3, first 2 shown]
	;;#ASMSTART
	v_pk_mul_f32 v[10:11], v[8:9], v[10:11]
	;;#ASMEND
	;;#ASMSTART
	v_pk_mul_f32 v[12:13], v[12:13], v[16:17]
	;;#ASMEND
	;; [unrolled: 3-line block ×4, first 2 shown]
.LBB471_9:
	s_or_b64 exec, exec, s[20:21]
	s_load_dwordx2 s[26:27], s[4:5], 0x7c
	s_mov_b64 s[20:21], -1
	s_and_b64 vcc, exec, s[10:11]
	s_cbranch_vccnz .LBB471_13
; %bb.10:
	s_andn2_b64 vcc, exec, s[20:21]
	s_cbranch_vccz .LBB471_16
.LBB471_11:
	s_cmp_lt_i32 s16, 1
	s_cbranch_scc0 .LBB471_19
.LBB471_12:
	s_endpgm
.LBB471_13:
	s_and_saveexec_b64 s[10:11], s[2:3]
	s_cbranch_execz .LBB471_15
; %bb.14:
	s_waitcnt lgkmcnt(0)
	s_mul_hi_i32 s21, s27, s6
	s_mul_i32 s20, s27, s6
	s_waitcnt vmcnt(0)
	v_cvt_f16_f32_e32 v2, v10
	v_cvt_f16_f32_e32 v3, v12
	;; [unrolled: 1-line block ×8, first 2 shown]
	s_lshl_b64 s[20:21], s[20:21], 1
	s_add_u32 s20, s14, s20
	s_addc_u32 s7, s15, s21
	s_and_b32 s21, s7, 0xffff
	s_mov_b32 s23, 0x20000
	v_pack_b32_f16 v5, v5, v6
	v_pack_b32_f16 v4, v4, v7
	;; [unrolled: 1-line block ×4, first 2 shown]
	v_lshlrev_b32_e32 v6, 4, v0
	buffer_store_dwordx4 v[2:5], v6, s[20:23], 0 offen
	;;#ASMSTART
	s_nop 0
	;;#ASMEND
.LBB471_15:
	s_or_b64 exec, exec, s[10:11]
	s_cbranch_execnz .LBB471_11
.LBB471_16:
	s_and_saveexec_b64 s[10:11], s[2:3]
	s_cbranch_execz .LBB471_18
; %bb.17:
	s_load_dwordx2 s[2:3], s[4:5], 0x10
	s_waitcnt lgkmcnt(0)
	s_mul_hi_i32 s21, s26, s6
	s_mul_i32 s20, s26, s6
	s_waitcnt vmcnt(0)
	v_cvt_f16_f32_e32 v2, v10
	v_cvt_f16_f32_e32 v3, v12
	;; [unrolled: 1-line block ×8, first 2 shown]
	s_lshl_b64 s[20:21], s[20:21], 1
	s_add_u32 s20, s2, s20
	s_addc_u32 s2, s3, s21
	s_mov_b32 s23, 0x20000
	s_and_b32 s21, s2, 0xffff
	v_pack_b32_f16 v5, v5, v6
	v_pack_b32_f16 v4, v4, v7
	;; [unrolled: 1-line block ×4, first 2 shown]
	v_lshlrev_b32_e32 v6, 4, v0
	buffer_store_dwordx4 v[2:5], v6, s[20:23], 0 offen
	;;#ASMSTART
	s_nop 0
	;;#ASMEND
.LBB471_18:
	s_or_b64 exec, exec, s[10:11]
	s_cmp_lt_i32 s16, 1
	s_cbranch_scc1 .LBB471_12
.LBB471_19:
	s_load_dword s2, s[4:5], 0x94
	s_waitcnt lgkmcnt(0)
	s_cmp_lg_u32 s2, 1
	s_cbranch_scc1 .LBB471_12
; %bb.20:
	s_lshl_b32 s2, s16, 1
	s_add_i32 s2, s2, 2
	v_cmp_gt_u32_e32 vcc, s16, v1
	s_and_b32 s10, s2, -4
	v_mov_b32_e32 v10, 0
	v_lshlrev_b32_e32 v1, 4, v0
	v_mov_b32_e32 v6, 0
	v_mov_b32_e32 v7, 0
	;; [unrolled: 1-line block ×4, first 2 shown]
	s_waitcnt vmcnt(0)
	v_mov_b32_e32 v2, 0
	v_mov_b32_e32 v3, 0
	;; [unrolled: 1-line block ×4, first 2 shown]
	s_barrier
	s_and_saveexec_b64 s[2:3], vcc
	s_cbranch_execz .LBB471_22
; %bb.21:
	s_mul_hi_i32 s5, s18, s6
	s_mul_i32 s4, s18, s6
	s_and_b32 s9, s9, 0xffff
	s_lshl_b64 s[4:5], s[4:5], 1
	s_add_u32 s20, s24, s4
	s_mov_b32 s11, 0x20000
	s_addc_u32 s4, s25, s5
	s_and_b32 s21, s4, 0xffff
	s_mov_b32 s22, s10
	s_mov_b32 s23, s11
	buffer_load_dwordx4 v[6:9], v1, s[20:23], 0 offen glc slc
	buffer_load_dwordx4 v[2:5], v1, s[8:11], 0 offen
.LBB471_22:
	s_or_b64 exec, exec, s[2:3]
	v_mov_b32_e32 v11, 0
	v_mov_b32_e32 v16, 0
	;; [unrolled: 1-line block ×7, first 2 shown]
	s_and_saveexec_b64 s[2:3], vcc
	s_cbranch_execz .LBB471_24
; %bb.23:
	s_waitcnt vmcnt(1)
	v_cvt_f32_f16_sdwa v11, v6 dst_sel:DWORD dst_unused:UNUSED_PAD src0_sel:WORD_1
	v_cvt_f32_f16_e32 v10, v6
	v_cvt_f32_f16_sdwa v17, v7 dst_sel:DWORD dst_unused:UNUSED_PAD src0_sel:WORD_1
	v_cvt_f32_f16_e32 v16, v7
	;; [unrolled: 2-line block ×4, first 2 shown]
.LBB471_24:
	s_or_b64 exec, exec, s[2:3]
	s_waitcnt vmcnt(1)
	v_mul_f32_e32 v6, v11, v11
	v_fmac_f32_e32 v6, v10, v10
	v_fmac_f32_e32 v6, v16, v16
	;; [unrolled: 1-line block ×7, first 2 shown]
	s_nop 1
	v_mov_b32_dpp v7, v6 quad_perm:[1,0,3,2] row_mask:0xf bank_mask:0xf
	v_add_f32_e32 v6, v6, v7
	s_nop 1
	v_mov_b32_dpp v7, v6 quad_perm:[2,3,0,1] row_mask:0xf bank_mask:0xf
	v_add_f32_e32 v6, v6, v7
	s_nop 1
	v_mov_b32_dpp v7, v6 row_half_mirror row_mask:0xf bank_mask:0xf
	v_add_f32_e32 v6, v6, v7
	s_nop 1
	v_mov_b32_dpp v7, v6 row_mirror row_mask:0xf bank_mask:0xf
	v_add_f32_e32 v6, v6, v7
	s_nop 1
	v_mov_b32_dpp v7, v6 row_bcast:15 row_mask:0xf bank_mask:0xf
	v_add_f32_e32 v6, v6, v7
	s_nop 1
	v_mov_b32_dpp v7, v6 row_bcast:31 row_mask:0xf bank_mask:0xf
	s_and_saveexec_b64 s[2:3], s[0:1]
	s_cbranch_execz .LBB471_26
; %bb.25:
	v_lshrrev_b32_e32 v0, 4, v0
	v_add_f32_e32 v6, v6, v7
	v_and_b32_e32 v0, 60, v0
	ds_write_b32 v0, v6
.LBB471_26:
	s_or_b64 exec, exec, s[2:3]
	s_waitcnt lgkmcnt(0)
	s_barrier
	ds_read_b32 v0, v18
	s_waitcnt lgkmcnt(0)
	s_nop 0
	v_mov_b32_dpp v6, v0 quad_perm:[1,0,3,2] row_mask:0xf bank_mask:0xf
	v_add_f32_e32 v0, v0, v6
	s_nop 1
	v_mov_b32_dpp v6, v0 quad_perm:[2,3,0,1] row_mask:0xf bank_mask:0xf
	s_and_saveexec_b64 s[0:1], vcc
	s_cbranch_execz .LBB471_12
; %bb.27:
	v_cvt_f32_u32_e32 v7, s16
	v_add_f32_e32 v0, v0, v6
	s_mov_b32 s11, 0x20000
	v_div_scale_f32 v6, s[0:1], v7, v7, v0
	v_rcp_f32_e32 v8, v6
	v_div_scale_f32 v9, vcc, v0, v7, v0
	s_mov_b32 s0, 0x800000
	v_fma_f32 v18, -v6, v8, 1.0
	v_fmac_f32_e32 v8, v18, v8
	v_mul_f32_e32 v18, v9, v8
	v_fma_f32 v19, -v6, v18, v9
	v_fmac_f32_e32 v18, v19, v8
	v_fma_f32 v6, -v6, v18, v9
	v_div_fmas_f32 v6, v6, v8, v18
	v_div_fixup_f32 v0, v6, v7, v0
	v_add_f32_e32 v0, s13, v0
	v_mul_f32_e32 v6, 0x4b800000, v0
	v_cmp_gt_f32_e32 vcc, s0, v0
	v_cndmask_b32_e32 v0, v0, v6, vcc
	v_rsq_f32_e32 v0, v0
	s_waitcnt vmcnt(0)
	v_cvt_f32_f16_sdwa v19, v5 dst_sel:DWORD dst_unused:UNUSED_PAD src0_sel:WORD_1
	v_cvt_f32_f16_e32 v18, v5
	s_mul_hi_i32 s1, s27, s6
	v_mul_f32_e32 v6, 0x45800000, v0
	v_cndmask_b32_e32 v6, v0, v6, vcc
	v_mov_b32_e32 v7, v6
	;;#ASMSTART
	v_pk_mul_f32 v[8:9], v[10:11], v[6:7]
	;;#ASMEND
	;;#ASMSTART
	v_pk_mul_f32 v[10:11], v[16:17], v[6:7]
	;;#ASMEND
	;; [unrolled: 3-line block ×4, first 2 shown]
	v_cvt_f32_f16_sdwa v13, v2 dst_sel:DWORD dst_unused:UNUSED_PAD src0_sel:WORD_1
	v_cvt_f32_f16_e32 v12, v2
	v_cvt_f32_f16_sdwa v17, v3 dst_sel:DWORD dst_unused:UNUSED_PAD src0_sel:WORD_1
	v_cvt_f32_f16_e32 v16, v3
	;; [unrolled: 2-line block ×3, first 2 shown]
	;;#ASMSTART
	v_pk_mul_f32 v[4:5], v[8:9], v[12:13]
	;;#ASMEND
	;;#ASMSTART
	v_pk_mul_f32 v[8:9], v[10:11], v[16:17]
	;;#ASMEND
	;; [unrolled: 3-line block ×4, first 2 shown]
	s_mul_i32 s0, s27, s6
	v_cvt_f16_f32_e32 v0, v4
	v_cvt_f16_f32_e32 v4, v5
	;; [unrolled: 1-line block ×8, first 2 shown]
	s_lshl_b64 s[0:1], s[0:1], 1
	s_add_u32 s8, s14, s0
	s_addc_u32 s0, s15, s1
	s_and_b32 s9, s0, 0xffff
	v_pack_b32_f16 v2, v0, v4
	v_pack_b32_f16 v3, v5, v8
	;; [unrolled: 1-line block ×4, first 2 shown]
	buffer_store_dwordx4 v[2:5], v1, s[8:11], 0 offen
	;;#ASMSTART
	s_nop 0
	;;#ASMEND
	s_endpgm
	.section	.rodata,"a",@progbits
	.p2align	6, 0x0
	.amdhsa_kernel _ZN5aiter35fused_qk_rmsnorm_group_quant_kernelIDF16_N4opus5fp4_tELi256ELi8ELi16ELb0ELb1ELb0ELb1ELb0ELb0EEEvPT0_PvPT_S7_S7_PKS6_S9_S9_S9_S9_ffiiiiiiiiiiiii
		.amdhsa_group_segment_fixed_size 32
		.amdhsa_private_segment_fixed_size 0
		.amdhsa_kernarg_size 400
		.amdhsa_user_sgpr_count 6
		.amdhsa_user_sgpr_private_segment_buffer 1
		.amdhsa_user_sgpr_dispatch_ptr 0
		.amdhsa_user_sgpr_queue_ptr 0
		.amdhsa_user_sgpr_kernarg_segment_ptr 1
		.amdhsa_user_sgpr_dispatch_id 0
		.amdhsa_user_sgpr_flat_scratch_init 0
		.amdhsa_user_sgpr_kernarg_preload_length 0
		.amdhsa_user_sgpr_kernarg_preload_offset 0
		.amdhsa_user_sgpr_private_segment_size 0
		.amdhsa_uses_dynamic_stack 0
		.amdhsa_system_sgpr_private_segment_wavefront_offset 0
		.amdhsa_system_sgpr_workgroup_id_x 1
		.amdhsa_system_sgpr_workgroup_id_y 1
		.amdhsa_system_sgpr_workgroup_id_z 0
		.amdhsa_system_sgpr_workgroup_info 0
		.amdhsa_system_vgpr_workitem_id 0
		.amdhsa_next_free_vgpr 23
		.amdhsa_next_free_sgpr 32
		.amdhsa_accum_offset 24
		.amdhsa_reserve_vcc 1
		.amdhsa_reserve_flat_scratch 0
		.amdhsa_float_round_mode_32 0
		.amdhsa_float_round_mode_16_64 0
		.amdhsa_float_denorm_mode_32 3
		.amdhsa_float_denorm_mode_16_64 3
		.amdhsa_dx10_clamp 1
		.amdhsa_ieee_mode 1
		.amdhsa_fp16_overflow 0
		.amdhsa_tg_split 0
		.amdhsa_exception_fp_ieee_invalid_op 0
		.amdhsa_exception_fp_denorm_src 0
		.amdhsa_exception_fp_ieee_div_zero 0
		.amdhsa_exception_fp_ieee_overflow 0
		.amdhsa_exception_fp_ieee_underflow 0
		.amdhsa_exception_fp_ieee_inexact 0
		.amdhsa_exception_int_div_zero 0
	.end_amdhsa_kernel
	.section	.text._ZN5aiter35fused_qk_rmsnorm_group_quant_kernelIDF16_N4opus5fp4_tELi256ELi8ELi16ELb0ELb1ELb0ELb1ELb0ELb0EEEvPT0_PvPT_S7_S7_PKS6_S9_S9_S9_S9_ffiiiiiiiiiiiii,"axG",@progbits,_ZN5aiter35fused_qk_rmsnorm_group_quant_kernelIDF16_N4opus5fp4_tELi256ELi8ELi16ELb0ELb1ELb0ELb1ELb0ELb0EEEvPT0_PvPT_S7_S7_PKS6_S9_S9_S9_S9_ffiiiiiiiiiiiii,comdat
.Lfunc_end471:
	.size	_ZN5aiter35fused_qk_rmsnorm_group_quant_kernelIDF16_N4opus5fp4_tELi256ELi8ELi16ELb0ELb1ELb0ELb1ELb0ELb0EEEvPT0_PvPT_S7_S7_PKS6_S9_S9_S9_S9_ffiiiiiiiiiiiii, .Lfunc_end471-_ZN5aiter35fused_qk_rmsnorm_group_quant_kernelIDF16_N4opus5fp4_tELi256ELi8ELi16ELb0ELb1ELb0ELb1ELb0ELb0EEEvPT0_PvPT_S7_S7_PKS6_S9_S9_S9_S9_ffiiiiiiiiiiiii
                                        ; -- End function
	.section	.AMDGPU.csdata,"",@progbits
; Kernel info:
; codeLenInByte = 2036
; NumSgprs: 36
; NumVgprs: 23
; NumAgprs: 0
; TotalNumVgprs: 23
; ScratchSize: 0
; MemoryBound: 0
; FloatMode: 240
; IeeeMode: 1
; LDSByteSize: 32 bytes/workgroup (compile time only)
; SGPRBlocks: 4
; VGPRBlocks: 2
; NumSGPRsForWavesPerEU: 36
; NumVGPRsForWavesPerEU: 23
; AccumOffset: 24
; Occupancy: 8
; WaveLimiterHint : 0
; COMPUTE_PGM_RSRC2:SCRATCH_EN: 0
; COMPUTE_PGM_RSRC2:USER_SGPR: 6
; COMPUTE_PGM_RSRC2:TRAP_HANDLER: 0
; COMPUTE_PGM_RSRC2:TGID_X_EN: 1
; COMPUTE_PGM_RSRC2:TGID_Y_EN: 1
; COMPUTE_PGM_RSRC2:TGID_Z_EN: 0
; COMPUTE_PGM_RSRC2:TIDIG_COMP_CNT: 0
; COMPUTE_PGM_RSRC3_GFX90A:ACCUM_OFFSET: 5
; COMPUTE_PGM_RSRC3_GFX90A:TG_SPLIT: 0
	.section	.text._ZN5aiter35fused_qk_rmsnorm_group_quant_kernelItN4opus5fp4_tELi256ELi8ELi16ELb0ELb1ELb0ELb1ELb0ELb0EEEvPT0_PvPT_S7_S7_PKS6_S9_S9_S9_S9_ffiiiiiiiiiiiii,"axG",@progbits,_ZN5aiter35fused_qk_rmsnorm_group_quant_kernelItN4opus5fp4_tELi256ELi8ELi16ELb0ELb1ELb0ELb1ELb0ELb0EEEvPT0_PvPT_S7_S7_PKS6_S9_S9_S9_S9_ffiiiiiiiiiiiii,comdat
	.protected	_ZN5aiter35fused_qk_rmsnorm_group_quant_kernelItN4opus5fp4_tELi256ELi8ELi16ELb0ELb1ELb0ELb1ELb0ELb0EEEvPT0_PvPT_S7_S7_PKS6_S9_S9_S9_S9_ffiiiiiiiiiiiii ; -- Begin function _ZN5aiter35fused_qk_rmsnorm_group_quant_kernelItN4opus5fp4_tELi256ELi8ELi16ELb0ELb1ELb0ELb1ELb0ELb0EEEvPT0_PvPT_S7_S7_PKS6_S9_S9_S9_S9_ffiiiiiiiiiiiii
	.globl	_ZN5aiter35fused_qk_rmsnorm_group_quant_kernelItN4opus5fp4_tELi256ELi8ELi16ELb0ELb1ELb0ELb1ELb0ELb0EEEvPT0_PvPT_S7_S7_PKS6_S9_S9_S9_S9_ffiiiiiiiiiiiii
	.p2align	8
	.type	_ZN5aiter35fused_qk_rmsnorm_group_quant_kernelItN4opus5fp4_tELi256ELi8ELi16ELb0ELb1ELb0ELb1ELb0ELb0EEEvPT0_PvPT_S7_S7_PKS6_S9_S9_S9_S9_ffiiiiiiiiiiiii,@function
_ZN5aiter35fused_qk_rmsnorm_group_quant_kernelItN4opus5fp4_tELi256ELi8ELi16ELb0ELb1ELb0ELb1ELb0ELb0EEEvPT0_PvPT_S7_S7_PKS6_S9_S9_S9_S9_ffiiiiiiiiiiiii: ; @_ZN5aiter35fused_qk_rmsnorm_group_quant_kernelItN4opus5fp4_tELi256ELi8ELi16ELb0ELb1ELb0ELb1ELb0ELb0EEEvPT0_PvPT_S7_S7_PKS6_S9_S9_S9_S9_ffiiiiiiiiiiiii
; %bb.0:
	s_load_dwordx4 s[12:15], s[4:5], 0x50
	s_waitcnt lgkmcnt(0)
	s_cmp_ge_i32 s6, s14
	s_cbranch_scc1 .LBB472_10
; %bb.1:
	s_load_dwordx2 s[24:25], s[4:5], 0x30
	s_load_dwordx2 s[8:9], s[4:5], 0x48
	s_load_dwordx4 s[16:19], s[4:5], 0x60
	s_cmp_lg_u32 s7, 0
	s_cselect_b64 s[10:11], -1, 0
	s_cmp_eq_u32 s7, 0
	s_cselect_b64 vcc, -1, 0
	s_and_b64 s[0:1], vcc, exec
	s_waitcnt lgkmcnt(0)
	s_cselect_b32 s7, s15, s16
	s_add_i32 s0, s7, 1
	s_lshr_b32 s1, s0, 31
	s_add_i32 s0, s0, s1
	s_lshl_b32 s0, s0, 1
	v_lshlrev_b32_e32 v1, 3, v0
	s_and_b32 s22, s0, -4
	v_cmp_gt_i32_e64 s[2:3], s7, v1
	v_mov_b32_e32 v2, 0
	v_mov_b32_e32 v3, 0
	;; [unrolled: 1-line block ×8, first 2 shown]
	s_and_saveexec_b64 s[0:1], s[2:3]
	s_cbranch_execz .LBB472_3
; %bb.2:
	s_load_dwordx2 s[14:15], s[4:5], 0x28
	s_load_dwordx2 s[20:21], s[4:5], 0x40
	s_and_b64 s[26:27], vcc, exec
	s_cselect_b32 s17, s17, s18
	v_lshlrev_b32_e32 v10, 4, v0
	s_waitcnt lgkmcnt(0)
	s_cselect_b32 s19, s15, s25
	s_cselect_b32 s23, s14, s24
	s_mul_hi_i32 s15, s17, s6
	s_mul_i32 s14, s17, s6
	s_lshl_b64 s[14:15], s[14:15], 1
	s_add_u32 s28, s23, s14
	s_addc_u32 s17, s19, s15
	s_and_b64 s[14:15], vcc, exec
	s_mov_b32 s23, 0x20000
	s_cselect_b32 s20, s20, s8
	s_cselect_b32 s14, s21, s9
	s_and_b32 s29, s17, 0xffff
	s_mov_b32 s30, s22
	s_mov_b32 s31, s23
	s_and_b32 s21, s14, 0xffff
	buffer_load_dwordx4 v[6:9], v10, s[28:31], 0 offen glc slc
	buffer_load_dwordx4 v[2:5], v10, s[20:23], 0 offen
.LBB472_3:
	s_or_b64 exec, exec, s[0:1]
	s_waitcnt vmcnt(1)
	v_cvt_f32_u32_sdwa v13, v6 dst_sel:DWORD dst_unused:UNUSED_PAD src0_sel:WORD_1
	v_cvt_f32_u32_sdwa v12, v6 dst_sel:DWORD dst_unused:UNUSED_PAD src0_sel:WORD_0
	v_cvt_f32_u32_sdwa v6, v9 dst_sel:DWORD dst_unused:UNUSED_PAD src0_sel:WORD_1
	v_cvt_f32_u32_sdwa v9, v9 dst_sel:DWORD dst_unused:UNUSED_PAD src0_sel:WORD_0
	;; [unrolled: 2-line block ×4, first 2 shown]
	v_cndmask_b32_e64 v13, 0, v13, s[2:3]
	v_cndmask_b32_e64 v7, 0, v6, s[2:3]
	v_cndmask_b32_e64 v6, 0, v9, s[2:3]
	v_cndmask_b32_e64 v9, 0, v14, s[2:3]
	v_cndmask_b32_e64 v12, 0, v12, s[2:3]
	v_mul_f32_e32 v14, v13, v13
	v_cndmask_b32_e64 v10, 0, v10, s[2:3]
	v_fmac_f32_e32 v14, v12, v12
	v_cndmask_b32_e64 v11, 0, v11, s[2:3]
	v_fmac_f32_e32 v14, v10, v10
	;; [unrolled: 2-line block ×3, first 2 shown]
	v_fmac_f32_e32 v14, v8, v8
	v_fmac_f32_e32 v14, v9, v9
	;; [unrolled: 1-line block ×4, first 2 shown]
	v_and_b32_e32 v16, 63, v0
	v_cmp_eq_u32_e64 s[0:1], 63, v16
	v_mov_b32_dpp v15, v14 quad_perm:[1,0,3,2] row_mask:0xf bank_mask:0xf
	v_add_f32_e32 v14, v14, v15
	s_nop 1
	v_mov_b32_dpp v15, v14 quad_perm:[2,3,0,1] row_mask:0xf bank_mask:0xf
	v_add_f32_e32 v14, v14, v15
	s_nop 1
	v_mov_b32_dpp v15, v14 row_half_mirror row_mask:0xf bank_mask:0xf
	v_add_f32_e32 v14, v14, v15
	s_nop 1
	v_mov_b32_dpp v15, v14 row_mirror row_mask:0xf bank_mask:0xf
	v_add_f32_e32 v14, v14, v15
	s_nop 1
	v_mov_b32_dpp v15, v14 row_bcast:15 row_mask:0xf bank_mask:0xf
	v_add_f32_e32 v14, v14, v15
	s_nop 1
	v_mov_b32_dpp v15, v14 row_bcast:31 row_mask:0xf bank_mask:0xf
	s_and_saveexec_b64 s[14:15], s[0:1]
	s_cbranch_execz .LBB472_5
; %bb.4:
	v_add_f32_e32 v14, v14, v15
	v_lshrrev_b32_e32 v15, 4, v0
	v_and_b32_e32 v15, 60, v15
	ds_write_b32 v15, v14 offset:16
.LBB472_5:
	s_or_b64 exec, exec, s[14:15]
	v_and_b32_e32 v14, 3, v0
	v_lshlrev_b32_e32 v14, 2, v14
	s_waitcnt lgkmcnt(0)
	s_barrier
	ds_read_b32 v15, v14 offset:16
	s_load_dwordx2 s[14:15], s[4:5], 0x18
	s_waitcnt lgkmcnt(0)
	v_mov_b32_dpp v16, v15 quad_perm:[1,0,3,2] row_mask:0xf bank_mask:0xf
	v_add_f32_e32 v15, v15, v16
	s_nop 1
	v_mov_b32_dpp v16, v15 quad_perm:[2,3,0,1] row_mask:0xf bank_mask:0xf
	s_and_saveexec_b64 s[20:21], s[2:3]
	s_cbranch_execz .LBB472_7
; %bb.6:
	v_cvt_f32_u32_e32 v17, s7
	v_add_f32_e32 v15, v15, v16
	v_mov_b32_e32 v19, s13
	v_mov_b32_e32 v20, s12
	v_div_scale_f32 v16, s[26:27], v17, v17, v15
	v_rcp_f32_e32 v18, v16
	v_cndmask_b32_e32 v19, v19, v20, vcc
	s_mov_b32 s7, 0x800000
	v_fma_f32 v20, -v16, v18, 1.0
	v_fmac_f32_e32 v18, v20, v18
	v_div_scale_f32 v20, vcc, v15, v17, v15
	v_mul_f32_e32 v21, v20, v18
	v_fma_f32 v22, -v16, v21, v20
	v_fmac_f32_e32 v21, v22, v18
	v_fma_f32 v16, -v16, v21, v20
	v_div_fmas_f32 v16, v16, v18, v21
	v_div_fixup_f32 v15, v16, v17, v15
	v_add_f32_e32 v15, v19, v15
	v_mul_f32_e32 v16, 0x4b800000, v15
	v_cmp_gt_f32_e32 vcc, s7, v15
	v_cndmask_b32_e32 v15, v15, v16, vcc
	v_rsq_f32_e32 v15, v15
	s_waitcnt vmcnt(0)
	v_cvt_f32_u32_sdwa v19, v3 dst_sel:DWORD dst_unused:UNUSED_PAD src0_sel:WORD_1
	v_cvt_f32_u32_sdwa v18, v3 dst_sel:DWORD dst_unused:UNUSED_PAD src0_sel:WORD_0
	v_cvt_f32_u32_sdwa v3, v4 dst_sel:DWORD dst_unused:UNUSED_PAD src0_sel:WORD_1
	v_mul_f32_e32 v16, 0x45800000, v15
	v_cndmask_b32_e32 v16, v15, v16, vcc
	v_mov_b32_e32 v17, v16
	;;#ASMSTART
	v_pk_mul_f32 v[12:13], v[12:13], v[16:17]
	;;#ASMEND
	;;#ASMSTART
	v_pk_mul_f32 v[10:11], v[10:11], v[16:17]
	;;#ASMEND
	;; [unrolled: 3-line block ×4, first 2 shown]
	v_cvt_f32_u32_sdwa v17, v2 dst_sel:DWORD dst_unused:UNUSED_PAD src0_sel:WORD_1
	v_cvt_f32_u32_sdwa v16, v2 dst_sel:DWORD dst_unused:UNUSED_PAD src0_sel:WORD_0
	v_cvt_f32_u32_sdwa v2, v4 dst_sel:DWORD dst_unused:UNUSED_PAD src0_sel:WORD_0
	v_cvt_f32_u32_sdwa v21, v5 dst_sel:DWORD dst_unused:UNUSED_PAD src0_sel:WORD_1
	v_cvt_f32_u32_sdwa v20, v5 dst_sel:DWORD dst_unused:UNUSED_PAD src0_sel:WORD_0
	;;#ASMSTART
	v_pk_mul_f32 v[12:13], v[12:13], v[16:17]
	;;#ASMEND
	;;#ASMSTART
	v_pk_mul_f32 v[10:11], v[10:11], v[18:19]
	;;#ASMEND
	;; [unrolled: 3-line block ×4, first 2 shown]
.LBB472_7:
	s_or_b64 exec, exec, s[20:21]
	s_load_dwordx2 s[26:27], s[4:5], 0x7c
	s_mov_b64 s[20:21], -1
	s_and_b64 vcc, exec, s[10:11]
	s_cbranch_vccnz .LBB472_11
; %bb.8:
	s_andn2_b64 vcc, exec, s[20:21]
	s_cbranch_vccz .LBB472_14
.LBB472_9:
	s_cmp_lt_i32 s16, 1
	s_cbranch_scc0 .LBB472_17
.LBB472_10:
	s_endpgm
.LBB472_11:
	s_and_saveexec_b64 s[10:11], s[2:3]
	s_cbranch_execz .LBB472_13
; %bb.12:
	s_waitcnt lgkmcnt(0)
	s_mul_hi_i32 s21, s27, s6
	s_mul_i32 s20, s27, s6
	s_lshl_b64 s[20:21], s[20:21], 1
	s_add_u32 s20, s14, s20
	s_addc_u32 s7, s15, s21
	s_and_b32 s21, s7, 0xffff
	s_mov_b32 s7, 0x7060302
	s_mov_b32 s23, 0x20000
	s_waitcnt vmcnt(0)
	v_perm_b32 v2, v13, v12, s7
	v_perm_b32 v3, v11, v10, s7
	;; [unrolled: 1-line block ×4, first 2 shown]
	v_lshlrev_b32_e32 v15, 4, v0
	buffer_store_dwordx4 v[2:5], v15, s[20:23], 0 offen
	;;#ASMSTART
	s_nop 0
	;;#ASMEND
.LBB472_13:
	s_or_b64 exec, exec, s[10:11]
	s_cbranch_execnz .LBB472_9
.LBB472_14:
	s_and_saveexec_b64 s[10:11], s[2:3]
	s_cbranch_execz .LBB472_16
; %bb.15:
	s_load_dwordx2 s[2:3], s[4:5], 0x10
	s_waitcnt lgkmcnt(0)
	s_mul_hi_i32 s21, s26, s6
	s_mul_i32 s20, s26, s6
	s_lshl_b64 s[20:21], s[20:21], 1
	s_mov_b32 s23, 0x20000
	s_add_u32 s20, s2, s20
	s_addc_u32 s2, s3, s21
	s_and_b32 s21, s2, 0xffff
	s_mov_b32 s2, 0x7060302
	s_waitcnt vmcnt(0)
	v_perm_b32 v2, v13, v12, s2
	v_perm_b32 v3, v11, v10, s2
	;; [unrolled: 1-line block ×4, first 2 shown]
	v_lshlrev_b32_e32 v6, 4, v0
	buffer_store_dwordx4 v[2:5], v6, s[20:23], 0 offen
	;;#ASMSTART
	s_nop 0
	;;#ASMEND
.LBB472_16:
	s_or_b64 exec, exec, s[10:11]
	s_cmp_lt_i32 s16, 1
	s_cbranch_scc1 .LBB472_10
.LBB472_17:
	s_load_dword s2, s[4:5], 0x94
	s_waitcnt lgkmcnt(0)
	s_cmp_lg_u32 s2, 1
	s_cbranch_scc1 .LBB472_10
; %bb.18:
	s_lshl_b32 s2, s16, 1
	s_add_i32 s2, s2, 2
	v_cmp_gt_u32_e32 vcc, s16, v1
	s_and_b32 s10, s2, -4
	v_mov_b32_e32 v6, 0
	v_lshlrev_b32_e32 v1, 4, v0
	v_mov_b32_e32 v7, 0
	v_mov_b32_e32 v8, 0
	;; [unrolled: 1-line block ×3, first 2 shown]
	s_waitcnt vmcnt(0)
	v_mov_b32_e32 v2, 0
	v_mov_b32_e32 v3, 0
	;; [unrolled: 1-line block ×4, first 2 shown]
	s_barrier
	s_and_saveexec_b64 s[2:3], vcc
	s_cbranch_execz .LBB472_20
; %bb.19:
	s_mul_hi_i32 s5, s18, s6
	s_mul_i32 s4, s18, s6
	s_and_b32 s9, s9, 0xffff
	s_lshl_b64 s[4:5], s[4:5], 1
	s_add_u32 s20, s24, s4
	s_mov_b32 s11, 0x20000
	s_addc_u32 s4, s25, s5
	s_and_b32 s21, s4, 0xffff
	s_mov_b32 s22, s10
	s_mov_b32 s23, s11
	buffer_load_dwordx4 v[6:9], v1, s[20:23], 0 offen glc slc
	buffer_load_dwordx4 v[2:5], v1, s[8:11], 0 offen
.LBB472_20:
	s_or_b64 exec, exec, s[2:3]
	s_waitcnt vmcnt(1)
	v_cvt_f32_u32_sdwa v13, v6 dst_sel:DWORD dst_unused:UNUSED_PAD src0_sel:WORD_1
	v_cvt_f32_u32_sdwa v12, v6 dst_sel:DWORD dst_unused:UNUSED_PAD src0_sel:WORD_0
	v_cvt_f32_u32_sdwa v6, v9 dst_sel:DWORD dst_unused:UNUSED_PAD src0_sel:WORD_1
	v_cvt_f32_u32_sdwa v9, v9 dst_sel:DWORD dst_unused:UNUSED_PAD src0_sel:WORD_0
	;; [unrolled: 2-line block ×4, first 2 shown]
	v_cndmask_b32_e32 v13, 0, v13, vcc
	v_cndmask_b32_e32 v7, 0, v6, vcc
	;; [unrolled: 1-line block ×5, first 2 shown]
	v_mul_f32_e32 v15, v13, v13
	v_cndmask_b32_e32 v10, 0, v10, vcc
	v_fmac_f32_e32 v15, v12, v12
	v_cndmask_b32_e32 v11, 0, v11, vcc
	v_fmac_f32_e32 v15, v10, v10
	;; [unrolled: 2-line block ×3, first 2 shown]
	v_fmac_f32_e32 v15, v8, v8
	v_fmac_f32_e32 v15, v9, v9
	;; [unrolled: 1-line block ×4, first 2 shown]
	s_nop 1
	v_mov_b32_dpp v16, v15 quad_perm:[1,0,3,2] row_mask:0xf bank_mask:0xf
	v_add_f32_e32 v15, v15, v16
	s_nop 1
	v_mov_b32_dpp v16, v15 quad_perm:[2,3,0,1] row_mask:0xf bank_mask:0xf
	v_add_f32_e32 v15, v15, v16
	s_nop 1
	v_mov_b32_dpp v16, v15 row_half_mirror row_mask:0xf bank_mask:0xf
	v_add_f32_e32 v15, v15, v16
	s_nop 1
	v_mov_b32_dpp v16, v15 row_mirror row_mask:0xf bank_mask:0xf
	v_add_f32_e32 v15, v15, v16
	s_nop 1
	v_mov_b32_dpp v16, v15 row_bcast:15 row_mask:0xf bank_mask:0xf
	v_add_f32_e32 v15, v15, v16
	s_nop 1
	v_mov_b32_dpp v16, v15 row_bcast:31 row_mask:0xf bank_mask:0xf
	s_and_saveexec_b64 s[2:3], s[0:1]
	s_cbranch_execz .LBB472_22
; %bb.21:
	v_lshrrev_b32_e32 v0, 4, v0
	v_add_f32_e32 v15, v15, v16
	v_and_b32_e32 v0, 60, v0
	ds_write_b32 v0, v15
.LBB472_22:
	s_or_b64 exec, exec, s[2:3]
	s_waitcnt lgkmcnt(0)
	s_barrier
	ds_read_b32 v0, v14
	s_waitcnt lgkmcnt(0)
	s_nop 0
	v_mov_b32_dpp v14, v0 quad_perm:[1,0,3,2] row_mask:0xf bank_mask:0xf
	v_add_f32_e32 v0, v0, v14
	s_nop 1
	v_mov_b32_dpp v14, v0 quad_perm:[2,3,0,1] row_mask:0xf bank_mask:0xf
	s_and_saveexec_b64 s[0:1], vcc
	s_cbranch_execz .LBB472_10
; %bb.23:
	v_cvt_f32_u32_e32 v15, s16
	v_add_f32_e32 v0, v0, v14
	s_mov_b32 s11, 0x20000
	v_div_scale_f32 v14, s[0:1], v15, v15, v0
	v_rcp_f32_e32 v16, v14
	v_div_scale_f32 v17, vcc, v0, v15, v0
	s_mov_b32 s0, 0x800000
	v_fma_f32 v18, -v14, v16, 1.0
	v_fmac_f32_e32 v16, v18, v16
	v_mul_f32_e32 v18, v17, v16
	v_fma_f32 v19, -v14, v18, v17
	v_fmac_f32_e32 v18, v19, v16
	v_fma_f32 v14, -v14, v18, v17
	v_div_fmas_f32 v14, v14, v16, v18
	v_div_fixup_f32 v0, v14, v15, v0
	v_add_f32_e32 v0, s13, v0
	v_mul_f32_e32 v14, 0x4b800000, v0
	v_cmp_gt_f32_e32 vcc, s0, v0
	v_cndmask_b32_e32 v0, v0, v14, vcc
	v_rsq_f32_e32 v0, v0
	s_mul_hi_i32 s1, s27, s6
	s_mul_i32 s0, s27, s6
	s_lshl_b64 s[0:1], s[0:1], 1
	v_mul_f32_e32 v14, 0x45800000, v0
	v_cndmask_b32_e32 v14, v0, v14, vcc
	s_add_u32 s8, s14, s0
	v_mov_b32_e32 v15, v14
	s_addc_u32 s0, s15, s1
	;;#ASMSTART
	v_pk_mul_f32 v[12:13], v[12:13], v[14:15]
	;;#ASMEND
	;;#ASMSTART
	v_pk_mul_f32 v[10:11], v[10:11], v[14:15]
	;;#ASMEND
	;; [unrolled: 3-line block ×4, first 2 shown]
	s_waitcnt vmcnt(0)
	v_cvt_f32_u32_sdwa v15, v2 dst_sel:DWORD dst_unused:UNUSED_PAD src0_sel:WORD_1
	v_cvt_f32_u32_sdwa v14, v2 dst_sel:DWORD dst_unused:UNUSED_PAD src0_sel:WORD_0
	v_cvt_f32_u32_sdwa v17, v3 dst_sel:DWORD dst_unused:UNUSED_PAD src0_sel:WORD_1
	v_cvt_f32_u32_sdwa v16, v3 dst_sel:DWORD dst_unused:UNUSED_PAD src0_sel:WORD_0
	;; [unrolled: 2-line block ×4, first 2 shown]
	;;#ASMSTART
	v_pk_mul_f32 v[4:5], v[12:13], v[14:15]
	;;#ASMEND
	s_and_b32 s9, s0, 0xffff
	s_mov_b32 s0, 0x7060302
	;;#ASMSTART
	v_pk_mul_f32 v[10:11], v[10:11], v[16:17]
	;;#ASMEND
	;;#ASMSTART
	v_pk_mul_f32 v[8:9], v[8:9], v[2:3]
	;;#ASMEND
	;; [unrolled: 3-line block ×3, first 2 shown]
	v_perm_b32 v2, v5, v4, s0
	v_perm_b32 v3, v11, v10, s0
	v_perm_b32 v4, v9, v8, s0
	v_perm_b32 v5, v7, v6, s0
	buffer_store_dwordx4 v[2:5], v1, s[8:11], 0 offen
	;;#ASMSTART
	s_nop 0
	;;#ASMEND
	s_endpgm
	.section	.rodata,"a",@progbits
	.p2align	6, 0x0
	.amdhsa_kernel _ZN5aiter35fused_qk_rmsnorm_group_quant_kernelItN4opus5fp4_tELi256ELi8ELi16ELb0ELb1ELb0ELb1ELb0ELb0EEEvPT0_PvPT_S7_S7_PKS6_S9_S9_S9_S9_ffiiiiiiiiiiiii
		.amdhsa_group_segment_fixed_size 32
		.amdhsa_private_segment_fixed_size 0
		.amdhsa_kernarg_size 400
		.amdhsa_user_sgpr_count 6
		.amdhsa_user_sgpr_private_segment_buffer 1
		.amdhsa_user_sgpr_dispatch_ptr 0
		.amdhsa_user_sgpr_queue_ptr 0
		.amdhsa_user_sgpr_kernarg_segment_ptr 1
		.amdhsa_user_sgpr_dispatch_id 0
		.amdhsa_user_sgpr_flat_scratch_init 0
		.amdhsa_user_sgpr_kernarg_preload_length 0
		.amdhsa_user_sgpr_kernarg_preload_offset 0
		.amdhsa_user_sgpr_private_segment_size 0
		.amdhsa_uses_dynamic_stack 0
		.amdhsa_system_sgpr_private_segment_wavefront_offset 0
		.amdhsa_system_sgpr_workgroup_id_x 1
		.amdhsa_system_sgpr_workgroup_id_y 1
		.amdhsa_system_sgpr_workgroup_id_z 0
		.amdhsa_system_sgpr_workgroup_info 0
		.amdhsa_system_vgpr_workitem_id 0
		.amdhsa_next_free_vgpr 23
		.amdhsa_next_free_sgpr 32
		.amdhsa_accum_offset 24
		.amdhsa_reserve_vcc 1
		.amdhsa_reserve_flat_scratch 0
		.amdhsa_float_round_mode_32 0
		.amdhsa_float_round_mode_16_64 0
		.amdhsa_float_denorm_mode_32 3
		.amdhsa_float_denorm_mode_16_64 3
		.amdhsa_dx10_clamp 1
		.amdhsa_ieee_mode 1
		.amdhsa_fp16_overflow 0
		.amdhsa_tg_split 0
		.amdhsa_exception_fp_ieee_invalid_op 0
		.amdhsa_exception_fp_denorm_src 0
		.amdhsa_exception_fp_ieee_div_zero 0
		.amdhsa_exception_fp_ieee_overflow 0
		.amdhsa_exception_fp_ieee_underflow 0
		.amdhsa_exception_fp_ieee_inexact 0
		.amdhsa_exception_int_div_zero 0
	.end_amdhsa_kernel
	.section	.text._ZN5aiter35fused_qk_rmsnorm_group_quant_kernelItN4opus5fp4_tELi256ELi8ELi16ELb0ELb1ELb0ELb1ELb0ELb0EEEvPT0_PvPT_S7_S7_PKS6_S9_S9_S9_S9_ffiiiiiiiiiiiii,"axG",@progbits,_ZN5aiter35fused_qk_rmsnorm_group_quant_kernelItN4opus5fp4_tELi256ELi8ELi16ELb0ELb1ELb0ELb1ELb0ELb0EEEvPT0_PvPT_S7_S7_PKS6_S9_S9_S9_S9_ffiiiiiiiiiiiii,comdat
.Lfunc_end472:
	.size	_ZN5aiter35fused_qk_rmsnorm_group_quant_kernelItN4opus5fp4_tELi256ELi8ELi16ELb0ELb1ELb0ELb1ELb0ELb0EEEvPT0_PvPT_S7_S7_PKS6_S9_S9_S9_S9_ffiiiiiiiiiiiii, .Lfunc_end472-_ZN5aiter35fused_qk_rmsnorm_group_quant_kernelItN4opus5fp4_tELi256ELi8ELi16ELb0ELb1ELb0ELb1ELb0ELb0EEEvPT0_PvPT_S7_S7_PKS6_S9_S9_S9_S9_ffiiiiiiiiiiiii
                                        ; -- End function
	.section	.AMDGPU.csdata,"",@progbits
; Kernel info:
; codeLenInByte = 2028
; NumSgprs: 36
; NumVgprs: 23
; NumAgprs: 0
; TotalNumVgprs: 23
; ScratchSize: 0
; MemoryBound: 0
; FloatMode: 240
; IeeeMode: 1
; LDSByteSize: 32 bytes/workgroup (compile time only)
; SGPRBlocks: 4
; VGPRBlocks: 2
; NumSGPRsForWavesPerEU: 36
; NumVGPRsForWavesPerEU: 23
; AccumOffset: 24
; Occupancy: 8
; WaveLimiterHint : 0
; COMPUTE_PGM_RSRC2:SCRATCH_EN: 0
; COMPUTE_PGM_RSRC2:USER_SGPR: 6
; COMPUTE_PGM_RSRC2:TRAP_HANDLER: 0
; COMPUTE_PGM_RSRC2:TGID_X_EN: 1
; COMPUTE_PGM_RSRC2:TGID_Y_EN: 1
; COMPUTE_PGM_RSRC2:TGID_Z_EN: 0
; COMPUTE_PGM_RSRC2:TIDIG_COMP_CNT: 0
; COMPUTE_PGM_RSRC3_GFX90A:ACCUM_OFFSET: 5
; COMPUTE_PGM_RSRC3_GFX90A:TG_SPLIT: 0
	.section	.text._ZN5aiter35fused_qk_rmsnorm_group_quant_kernelIDF16_DB8_Li256ELi8ELi16ELb1ELb1ELb1ELb0ELb0ELb0EEEvPT0_PvPT_S6_S6_PKS5_S8_S8_S8_S8_ffiiiiiiiiiiiii,"axG",@progbits,_ZN5aiter35fused_qk_rmsnorm_group_quant_kernelIDF16_DB8_Li256ELi8ELi16ELb1ELb1ELb1ELb0ELb0ELb0EEEvPT0_PvPT_S6_S6_PKS5_S8_S8_S8_S8_ffiiiiiiiiiiiii,comdat
	.protected	_ZN5aiter35fused_qk_rmsnorm_group_quant_kernelIDF16_DB8_Li256ELi8ELi16ELb1ELb1ELb1ELb0ELb0ELb0EEEvPT0_PvPT_S6_S6_PKS5_S8_S8_S8_S8_ffiiiiiiiiiiiii ; -- Begin function _ZN5aiter35fused_qk_rmsnorm_group_quant_kernelIDF16_DB8_Li256ELi8ELi16ELb1ELb1ELb1ELb0ELb0ELb0EEEvPT0_PvPT_S6_S6_PKS5_S8_S8_S8_S8_ffiiiiiiiiiiiii
	.globl	_ZN5aiter35fused_qk_rmsnorm_group_quant_kernelIDF16_DB8_Li256ELi8ELi16ELb1ELb1ELb1ELb0ELb0ELb0EEEvPT0_PvPT_S6_S6_PKS5_S8_S8_S8_S8_ffiiiiiiiiiiiii
	.p2align	8
	.type	_ZN5aiter35fused_qk_rmsnorm_group_quant_kernelIDF16_DB8_Li256ELi8ELi16ELb1ELb1ELb1ELb0ELb0ELb0EEEvPT0_PvPT_S6_S6_PKS5_S8_S8_S8_S8_ffiiiiiiiiiiiii,@function
_ZN5aiter35fused_qk_rmsnorm_group_quant_kernelIDF16_DB8_Li256ELi8ELi16ELb1ELb1ELb1ELb0ELb0ELb0EEEvPT0_PvPT_S6_S6_PKS5_S8_S8_S8_S8_ffiiiiiiiiiiiii: ; @_ZN5aiter35fused_qk_rmsnorm_group_quant_kernelIDF16_DB8_Li256ELi8ELi16ELb1ELb1ELb1ELb0ELb0ELb0EEEvPT0_PvPT_S6_S6_PKS5_S8_S8_S8_S8_ffiiiiiiiiiiiii
; %bb.0:
	s_load_dwordx8 s[20:27], s[4:5], 0x50
	s_waitcnt lgkmcnt(0)
	s_cmp_ge_i32 s6, s22
	s_cbranch_scc1 .LBB473_17
; %bb.1:
	s_cmp_lg_u32 s7, 0
	s_cselect_b64 s[10:11], -1, 0
	s_cmp_eq_u32 s7, 0
	s_cselect_b64 s[8:9], -1, 0
	s_and_b64 s[0:1], s[8:9], exec
	s_load_dwordx2 s[28:29], s[4:5], 0x48
	s_load_dwordx2 s[34:35], s[4:5], 0x30
	s_load_dwordx8 s[12:19], s[4:5], 0x70
	s_cselect_b32 s7, s23, s24
	s_add_i32 s0, s7, 1
	s_lshr_b32 s1, s0, 31
	s_add_i32 s0, s0, s1
	s_lshl_b32 s0, s0, 1
	v_lshlrev_b32_e32 v1, 3, v0
	s_and_b32 s38, s0, -4
	v_cmp_gt_i32_e64 s[0:1], s7, v1
	v_mov_b32_e32 v20, 0
	v_mov_b32_e32 v21, 0
	;; [unrolled: 1-line block ×8, first 2 shown]
	s_and_saveexec_b64 s[2:3], s[0:1]
	s_cbranch_execz .LBB473_3
; %bb.2:
	s_waitcnt lgkmcnt(0)
	s_load_dwordx2 s[18:19], s[4:5], 0x28
	s_load_dwordx2 s[30:31], s[4:5], 0x40
	s_and_b64 s[36:37], s[8:9], exec
	s_cselect_b32 s22, s25, s26
	s_mov_b32 s39, 0x20000
	s_waitcnt lgkmcnt(0)
	s_cselect_b32 s25, s19, s35
	s_cselect_b32 s33, s18, s34
	s_mul_hi_i32 s19, s22, s6
	s_mul_i32 s18, s22, s6
	s_lshl_b64 s[18:19], s[18:19], 1
	s_add_u32 s40, s33, s18
	s_addc_u32 s22, s25, s19
	s_and_b64 s[18:19], s[8:9], exec
	s_cselect_b32 s36, s30, s28
	s_cselect_b32 s18, s31, s29
	v_lshlrev_b32_e32 v2, 4, v0
	s_and_b32 s41, s22, 0xffff
	s_mov_b32 s42, s38
	s_mov_b32 s43, s39
	s_and_b32 s37, s18, 0xffff
	buffer_load_dwordx4 v[24:27], v2, s[40:43], 0 offen glc slc
	buffer_load_dwordx4 v[20:23], v2, s[36:39], 0 offen
.LBB473_3:
	s_or_b64 exec, exec, s[2:3]
	s_and_b64 vcc, exec, s[10:11]
	s_cbranch_vccz .LBB473_7
; %bb.4:
	v_mov_b32_e32 v29, 0
	v_mov_b32_e32 v28, 0
	;; [unrolled: 1-line block ×8, first 2 shown]
	s_and_saveexec_b64 s[2:3], s[0:1]
	s_cbranch_execz .LBB473_6
; %bb.5:
	s_waitcnt vmcnt(1)
	v_cvt_f32_f16_sdwa v11, v24 dst_sel:DWORD dst_unused:UNUSED_PAD src0_sel:WORD_1
	v_cvt_f32_f16_e32 v10, v24
	v_cvt_f32_f16_sdwa v15, v25 dst_sel:DWORD dst_unused:UNUSED_PAD src0_sel:WORD_1
	v_cvt_f32_f16_e32 v14, v25
	;; [unrolled: 2-line block ×4, first 2 shown]
.LBB473_6:
	s_or_b64 exec, exec, s[2:3]
	s_cbranch_execz .LBB473_8
	s_branch .LBB473_11
.LBB473_7:
                                        ; implicit-def: $vgpr10_vgpr11_vgpr12_vgpr13_vgpr14_vgpr15_vgpr16_vgpr17
                                        ; implicit-def: $vgpr29
                                        ; implicit-def: $vgpr12_vgpr13_vgpr14_vgpr15_vgpr16_vgpr17_vgpr18_vgpr19
                                        ; implicit-def: $vgpr2_vgpr3_vgpr4_vgpr5_vgpr6_vgpr7_vgpr8_vgpr9
.LBB473_8:
	v_mov_b32_e32 v29, 0
	v_mov_b32_e32 v28, 0
	;; [unrolled: 1-line block ×8, first 2 shown]
	s_and_saveexec_b64 s[2:3], s[0:1]
	s_cbranch_execz .LBB473_10
; %bb.9:
	s_waitcnt lgkmcnt(0)
	s_load_dwordx2 s[18:19], s[4:5], 0x38
	s_mul_hi_i32 s31, s27, s6
	s_mul_i32 s30, s27, s6
	s_lshl_b64 s[30:31], s[30:31], 1
	s_mov_b32 s39, 0x20000
	s_waitcnt lgkmcnt(0)
	s_add_u32 s36, s18, s30
	s_addc_u32 s18, s19, s31
	s_and_b32 s37, s18, 0xffff
	v_lshlrev_b32_e32 v30, 4, v0
	buffer_load_dwordx4 v[2:5], v30, s[36:39], 0 offen glc slc
	s_waitcnt vmcnt(2)
	v_cvt_f32_f16_sdwa v7, v24 dst_sel:DWORD dst_unused:UNUSED_PAD src0_sel:WORD_1
	v_cvt_f32_f16_e32 v6, v24
	v_cvt_f32_f16_sdwa v9, v25 dst_sel:DWORD dst_unused:UNUSED_PAD src0_sel:WORD_1
	v_cvt_f32_f16_e32 v8, v25
	;; [unrolled: 2-line block ×4, first 2 shown]
	s_load_dwordx2 s[18:19], s[4:5], 0x20
	s_mul_hi_i32 s31, s17, s6
	s_mul_i32 s30, s17, s6
	s_lshl_b64 s[30:31], s[30:31], 1
	s_waitcnt lgkmcnt(0)
	s_add_u32 s36, s18, s30
	s_addc_u32 s17, s19, s31
	s_and_b32 s37, s17, 0xffff
	s_waitcnt vmcnt(0)
	v_cvt_f32_f16_e32 v10, v2
	v_cvt_f32_f16_sdwa v11, v2 dst_sel:DWORD dst_unused:UNUSED_PAD src0_sel:WORD_1
	v_cvt_f32_f16_e32 v2, v3
	v_cvt_f32_f16_sdwa v3, v3 dst_sel:DWORD dst_unused:UNUSED_PAD src0_sel:WORD_1
	;; [unrolled: 2-line block ×4, first 2 shown]
	v_pk_add_f32 v[10:11], v[6:7], v[10:11]
	v_pk_add_f32 v[14:15], v[8:9], v[2:3]
	;; [unrolled: 1-line block ×4, first 2 shown]
	v_cvt_f16_f32_e32 v2, v11
	v_cvt_f16_f32_e32 v3, v15
	;; [unrolled: 1-line block ×8, first 2 shown]
	v_pack_b32_f16 v5, v8, v5
	v_pack_b32_f16 v4, v9, v4
	;; [unrolled: 1-line block ×4, first 2 shown]
	buffer_store_dwordx4 v[2:5], v30, s[36:39], 0 offen glc slc
	;;#ASMSTART
	s_nop 0
	;;#ASMEND
.LBB473_10:
	s_or_b64 exec, exec, s[2:3]
.LBB473_11:
	v_mul_f32_e32 v2, v11, v11
	v_fmac_f32_e32 v2, v10, v10
	v_fmac_f32_e32 v2, v14, v14
	;; [unrolled: 1-line block ×7, first 2 shown]
	v_and_b32_e32 v4, 63, v0
	v_cmp_eq_u32_e64 s[2:3], 63, v4
	v_mov_b32_dpp v3, v2 quad_perm:[1,0,3,2] row_mask:0xf bank_mask:0xf
	v_add_f32_e32 v2, v2, v3
	s_nop 1
	v_mov_b32_dpp v3, v2 quad_perm:[2,3,0,1] row_mask:0xf bank_mask:0xf
	v_add_f32_e32 v2, v2, v3
	s_nop 1
	v_mov_b32_dpp v3, v2 row_half_mirror row_mask:0xf bank_mask:0xf
	v_add_f32_e32 v2, v2, v3
	s_nop 1
	v_mov_b32_dpp v3, v2 row_mirror row_mask:0xf bank_mask:0xf
	v_add_f32_e32 v2, v2, v3
	s_nop 1
	v_mov_b32_dpp v3, v2 row_bcast:15 row_mask:0xf bank_mask:0xf
	v_add_f32_e32 v2, v2, v3
	s_nop 1
	v_mov_b32_dpp v3, v2 row_bcast:31 row_mask:0xf bank_mask:0xf
	s_waitcnt lgkmcnt(0)
	s_and_saveexec_b64 s[18:19], s[2:3]
	s_cbranch_execz .LBB473_13
; %bb.12:
	v_add_f32_e32 v2, v2, v3
	v_lshrrev_b32_e32 v3, 4, v0
	v_and_b32_e32 v3, 60, v3
	ds_write_b32 v3, v2 offset:16
.LBB473_13:
	s_or_b64 exec, exec, s[18:19]
	v_and_b32_e32 v2, 3, v0
	v_lshlrev_b32_e32 v18, 2, v2
	s_waitcnt lgkmcnt(0)
	s_barrier
	ds_read_b32 v2, v18 offset:16
	s_load_dwordx2 s[18:19], s[4:5], 0x18
	s_waitcnt lgkmcnt(0)
	v_mov_b32_dpp v3, v2 quad_perm:[1,0,3,2] row_mask:0xf bank_mask:0xf
	v_add_f32_e32 v2, v2, v3
	s_nop 1
	v_mov_b32_dpp v3, v2 quad_perm:[2,3,0,1] row_mask:0xf bank_mask:0xf
	s_and_saveexec_b64 s[30:31], s[0:1]
	s_cbranch_execnz .LBB473_18
; %bb.14:
	s_or_b64 exec, exec, s[30:31]
	s_mov_b64 s[8:9], -1
	s_and_b64 vcc, exec, s[10:11]
	s_cbranch_vccnz .LBB473_19
.LBB473_15:
	s_andn2_b64 vcc, exec, s[8:9]
	s_cbranch_vccz .LBB473_22
.LBB473_16:
	s_cmp_lt_i32 s24, 1
	s_cbranch_scc0 .LBB473_31
.LBB473_17:
	s_endpgm
.LBB473_18:
	v_cvt_f32_u32_e32 v4, s7
	v_add_f32_e32 v2, v2, v3
	v_mov_b32_e32 v8, s21
	v_mov_b32_e32 v9, s20
	v_div_scale_f32 v3, s[36:37], v4, v4, v2
	v_rcp_f32_e32 v5, v3
	v_cndmask_b32_e64 v8, v8, v9, s[8:9]
	s_mov_b32 s7, 0x800000
	s_waitcnt vmcnt(0)
	v_cvt_f32_f16_sdwa v17, v23 dst_sel:DWORD dst_unused:UNUSED_PAD src0_sel:WORD_1
	v_fma_f32 v9, -v3, v5, 1.0
	v_fmac_f32_e32 v5, v9, v5
	v_div_scale_f32 v9, vcc, v2, v4, v2
	v_mul_f32_e32 v12, v9, v5
	v_fma_f32 v13, -v3, v12, v9
	v_fmac_f32_e32 v12, v13, v5
	v_fma_f32 v3, -v3, v12, v9
	v_div_fmas_f32 v3, v3, v5, v12
	v_div_fixup_f32 v2, v3, v4, v2
	v_add_f32_e32 v2, v8, v2
	v_mul_f32_e32 v3, 0x4b800000, v2
	v_cmp_gt_f32_e32 vcc, s7, v2
	v_cndmask_b32_e32 v2, v2, v3, vcc
	v_rsq_f32_e32 v2, v2
	v_cvt_f32_f16_sdwa v13, v21 dst_sel:DWORD dst_unused:UNUSED_PAD src0_sel:WORD_1
	v_cvt_f32_f16_e32 v12, v21
	v_cvt_f32_f16_e32 v16, v23
	v_mul_f32_e32 v3, 0x45800000, v2
	v_cndmask_b32_e32 v2, v2, v3, vcc
	v_mov_b32_e32 v3, v2
	;;#ASMSTART
	v_pk_mul_f32 v[4:5], v[10:11], v[2:3]
	;;#ASMEND
	v_cvt_f32_f16_sdwa v11, v20 dst_sel:DWORD dst_unused:UNUSED_PAD src0_sel:WORD_1
	v_cvt_f32_f16_e32 v10, v20
	;;#ASMSTART
	v_pk_mul_f32 v[8:9], v[14:15], v[2:3]
	;;#ASMEND
	;;#ASMSTART
	v_pk_mul_f32 v[6:7], v[6:7], v[2:3]
	;;#ASMEND
	;; [unrolled: 3-line block ×3, first 2 shown]
	v_pk_add_f32 v[10:11], v[10:11], 1.0 op_sel_hi:[1,0]
	;;#ASMSTART
	v_pk_mul_f32 v[10:11], v[4:5], v[10:11]
	;;#ASMEND
	v_pk_add_f32 v[4:5], v[12:13], 1.0 op_sel_hi:[1,0]
	v_cvt_f32_f16_sdwa v13, v22 dst_sel:DWORD dst_unused:UNUSED_PAD src0_sel:WORD_1
	v_cvt_f32_f16_e32 v12, v22
	;;#ASMSTART
	v_pk_mul_f32 v[14:15], v[8:9], v[4:5]
	;;#ASMEND
	v_pk_add_f32 v[4:5], v[12:13], 1.0 op_sel_hi:[1,0]
	;;#ASMSTART
	v_pk_mul_f32 v[6:7], v[6:7], v[4:5]
	;;#ASMEND
	v_pk_add_f32 v[4:5], v[16:17], 1.0 op_sel_hi:[1,0]
	;;#ASMSTART
	v_pk_mul_f32 v[28:29], v[2:3], v[4:5]
	;;#ASMEND
	s_or_b64 exec, exec, s[30:31]
	s_mov_b64 s[8:9], -1
	s_and_b64 vcc, exec, s[10:11]
	s_cbranch_vccz .LBB473_15
.LBB473_19:
	s_and_saveexec_b64 s[8:9], s[0:1]
	s_cbranch_execz .LBB473_21
; %bb.20:
	s_mul_hi_i32 s11, s16, s6
	s_mul_i32 s10, s16, s6
	v_cvt_f16_f32_e32 v2, v10
	v_cvt_f16_f32_e32 v3, v14
	;; [unrolled: 1-line block ×8, first 2 shown]
	s_lshl_b64 s[10:11], s[10:11], 1
	s_add_u32 s36, s18, s10
	s_addc_u32 s7, s19, s11
	s_and_b32 s37, s7, 0xffff
	s_mov_b32 s39, 0x20000
	v_pack_b32_f16 v5, v5, v8
	v_pack_b32_f16 v4, v4, v9
	;; [unrolled: 1-line block ×4, first 2 shown]
	v_lshlrev_b32_e32 v8, 4, v0
	buffer_store_dwordx4 v[2:5], v8, s[36:39], 0 offen
	;;#ASMSTART
	s_nop 0
	;;#ASMEND
.LBB473_21:
	s_or_b64 exec, exec, s[8:9]
	s_cbranch_execnz .LBB473_16
.LBB473_22:
	v_mov_b32_e32 v2, 0
	s_and_saveexec_b64 s[8:9], s[0:1]
	s_cbranch_execz .LBB473_24
; %bb.23:
	s_load_dwordx2 s[10:11], s[4:5], 0x10
	s_mul_hi_i32 s31, s15, s6
	s_mul_i32 s30, s15, s6
	v_cvt_f16_f32_e32 v2, v10
	v_cvt_f16_f32_e32 v3, v14
	;; [unrolled: 1-line block ×8, first 2 shown]
	s_lshl_b64 s[30:31], s[30:31], 1
	s_waitcnt lgkmcnt(0)
	s_add_u32 s36, s10, s30
	s_addc_u32 s7, s11, s31
	s_mov_b32 s39, 0x20000
	s_and_b32 s37, s7, 0xffff
	v_pack_b32_f16 v5, v5, v8
	v_pack_b32_f16 v4, v4, v9
	;; [unrolled: 1-line block ×4, first 2 shown]
	v_lshlrev_b32_e32 v8, 4, v0
	buffer_store_dwordx4 v[2:5], v8, s[36:39], 0 offen
	;;#ASMSTART
	s_nop 0
	;;#ASMEND
	s_nop 0
	v_mov_b32_e32 v2, 0x2edbe6ff
.LBB473_24:
	s_or_b64 exec, exec, s[8:9]
	s_and_saveexec_b64 s[8:9], s[0:1]
	s_cbranch_execz .LBB473_26
; %bb.25:
	v_and_b32_e32 v3, 0x7fffffff, v10
	v_and_b32_e32 v4, 0x7fffffff, v11
	;;#ASMSTART
	v_max3_f32 v2, v2, v3, v4

	;;#ASMEND
	v_and_b32_e32 v3, 0x7fffffff, v14
	v_and_b32_e32 v4, 0x7fffffff, v15
	;;#ASMSTART
	v_max3_f32 v2, v2, v3, v4

	;;#ASMEND
	;; [unrolled: 6-line block ×4, first 2 shown]
.LBB473_26:
	s_or_b64 exec, exec, s[8:9]
	;;#ASMSTART
	v_max_f32 v3, v2, v2 quad_perm:[1,0,3,2] row_mask:0xf bank_mask:0xf bound_ctrl:1
	;;#ASMEND
	;;#ASMSTART
	v_max_f32 v2, v3, v3 quad_perm:[2,3,0,1] row_mask:0xf bank_mask:0xf bound_ctrl:1
	;;#ASMEND
	;;#ASMSTART
	v_max_f32 v3, v2, v2 row_half_mirror row_mask:0xf bank_mask:0xf bound_ctrl:1
	;;#ASMEND
	;;#ASMSTART
	v_max_f32 v2, v3, v3 row_mirror row_mask:0xf bank_mask:0xf bound_ctrl:1
	;;#ASMEND
	v_and_b32_e32 v3, 15, v0
	v_cmp_eq_u32_e32 vcc, 0, v3
	v_cmp_gt_i32_e64 s[8:9], s23, v1
	v_mul_f32_e32 v2, 0x3b124925, v2
	s_and_b64 s[10:11], vcc, s[8:9]
	s_and_saveexec_b64 s[8:9], s[10:11]
	s_cbranch_execz .LBB473_28
; %bb.27:
	s_load_dwordx2 s[10:11], s[4:5], 0x8
	v_lshrrev_b32_e32 v3, 4, v0
	s_mul_hi_i32 s31, s13, s6
	s_mul_i32 s30, s13, s6
	v_mad_i64_i32 v[4:5], s[14:15], s14, v3, 0
	s_lshl_b64 s[14:15], s[30:31], 2
	s_waitcnt lgkmcnt(0)
	s_add_u32 s7, s10, s14
	s_addc_u32 s10, s11, s15
	v_lshlrev_b64 v[4:5], 2, v[4:5]
	v_mov_b32_e32 v3, s10
	v_add_co_u32_e32 v4, vcc, s7, v4
	v_addc_co_u32_e32 v5, vcc, v3, v5, vcc
	global_store_dword v[4:5], v2, off
.LBB473_28:
	s_or_b64 exec, exec, s[8:9]
	;;#ASMSTART
	v_rcp_f32 v2, v2
	;;#ASMEND
	s_and_saveexec_b64 s[14:15], s[0:1]
	s_cbranch_execz .LBB473_30
; %bb.29:
	s_load_dwordx2 s[0:1], s[4:5], 0x0
	s_mul_i32 s8, s12, s6
	v_mov_b32_e32 v3, v2
	;;#ASMSTART
	v_pk_mul_f32 v[4:5], v[10:11], v[2:3]
	;;#ASMEND
	s_mul_hi_i32 s7, s12, s6
	s_waitcnt lgkmcnt(0)
	s_add_u32 s8, s0, s8
	v_mov_b32_e32 v8, 0xc3e00000
	v_mov_b32_e32 v9, 0x43e00000
	;;#ASMSTART
	v_med3_f32 v4, v4, v8, v9
v_med3_f32 v5, v5, v8, v9
v_cvt_pk_fp8_f32 v10, v4, v5
	;;#ASMEND
	s_addc_u32 s0, s1, s7
	;;#ASMSTART
	v_pk_mul_f32 v[4:5], v[14:15], v[2:3]
	;;#ASMEND
	s_and_b32 s9, s0, 0xffff
	;;#ASMSTART
	v_med3_f32 v4, v4, v8, v9
v_med3_f32 v5, v5, v8, v9
v_cvt_pk_fp8_f32 v11, v4, v5
	;;#ASMEND
	s_mov_b32 s0, 0x5040100
	v_perm_b32 v5, v11, v10, s0
	s_movk_i32 s0, 0xff
	v_and_b32_e32 v4, 0xffffff00, v11
	v_and_b32_sdwa v10, v5, s0 dst_sel:DWORD dst_unused:UNUSED_PAD src0_sel:WORD_1 src1_sel:DWORD
	s_mov_b32 s12, 0xffff
	v_or_b32_sdwa v4, v10, v4 dst_sel:WORD_1 dst_unused:UNUSED_PAD src0_sel:DWORD src1_sel:DWORD
	s_add_i32 s1, s23, 3
	v_and_or_b32 v4, v5, s12, v4
	;;#ASMSTART
	v_pk_mul_f32 v[6:7], v[6:7], v[2:3]
	;;#ASMEND
	v_mov_b32_e32 v5, v7
	s_ashr_i32 s7, s1, 31
	;;#ASMSTART
	v_med3_f32 v6, v6, v8, v9
v_med3_f32 v5, v5, v8, v9
v_cvt_pk_fp8_f32 v7, v6, v5
	;;#ASMEND
	;;#ASMSTART
	v_pk_mul_f32 v[2:3], v[28:29], v[2:3]
	;;#ASMEND
	s_lshr_b32 s7, s7, 30
	;;#ASMSTART
	v_med3_f32 v2, v2, v8, v9
v_med3_f32 v3, v3, v8, v9
v_cvt_pk_fp8_f32 v5, v2, v3
	;;#ASMEND
	s_add_i32 s1, s1, s7
	v_lshlrev_b32_e32 v2, 16, v5
	s_and_b32 s10, s1, -4
	s_mov_b32 s11, 0x20000
	v_and_or_b32 v5, v7, s12, v2
	buffer_store_dwordx2 v[4:5], v1, s[8:11], 0 offen
	;;#ASMSTART
	s_nop 0
	;;#ASMEND
.LBB473_30:
	s_or_b64 exec, exec, s[14:15]
	s_cmp_lt_i32 s24, 1
	s_cbranch_scc1 .LBB473_17
.LBB473_31:
	s_load_dword s0, s[4:5], 0x94
	s_waitcnt lgkmcnt(0)
	s_cmp_lg_u32 s0, 1
	s_cbranch_scc1 .LBB473_17
; %bb.32:
	s_lshl_b32 s0, s24, 1
	s_add_i32 s0, s0, 2
	v_cmp_gt_u32_e32 vcc, s24, v1
	s_and_b32 s30, s0, -4
	v_mov_b32_e32 v10, 0
	v_lshlrev_b32_e32 v1, 4, v0
	v_mov_b32_e32 v6, 0
	v_mov_b32_e32 v7, 0
	;; [unrolled: 1-line block ×8, first 2 shown]
	s_barrier
	s_and_saveexec_b64 s[0:1], vcc
	s_cbranch_execz .LBB473_34
; %bb.33:
	s_mul_hi_i32 s5, s26, s6
	s_mul_i32 s4, s26, s6
	s_and_b32 s29, s29, 0xffff
	s_lshl_b64 s[4:5], s[4:5], 1
	s_add_u32 s8, s34, s4
	s_mov_b32 s31, 0x20000
	s_addc_u32 s4, s35, s5
	s_and_b32 s9, s4, 0xffff
	s_mov_b32 s10, s30
	s_mov_b32 s11, s31
	buffer_load_dwordx4 v[6:9], v1, s[8:11], 0 offen glc slc
	buffer_load_dwordx4 v[2:5], v1, s[28:31], 0 offen
.LBB473_34:
	s_or_b64 exec, exec, s[0:1]
	v_mov_b32_e32 v11, 0
	v_mov_b32_e32 v16, 0
	;; [unrolled: 1-line block ×7, first 2 shown]
	s_and_saveexec_b64 s[0:1], vcc
	s_cbranch_execz .LBB473_36
; %bb.35:
	s_waitcnt vmcnt(1)
	v_cvt_f32_f16_sdwa v11, v6 dst_sel:DWORD dst_unused:UNUSED_PAD src0_sel:WORD_1
	v_cvt_f32_f16_e32 v10, v6
	v_cvt_f32_f16_sdwa v17, v7 dst_sel:DWORD dst_unused:UNUSED_PAD src0_sel:WORD_1
	v_cvt_f32_f16_e32 v16, v7
	;; [unrolled: 2-line block ×4, first 2 shown]
.LBB473_36:
	s_or_b64 exec, exec, s[0:1]
	s_waitcnt vmcnt(1)
	v_mul_f32_e32 v6, v11, v11
	v_fmac_f32_e32 v6, v10, v10
	v_fmac_f32_e32 v6, v16, v16
	;; [unrolled: 1-line block ×7, first 2 shown]
	s_nop 1
	v_mov_b32_dpp v7, v6 quad_perm:[1,0,3,2] row_mask:0xf bank_mask:0xf
	v_add_f32_e32 v6, v6, v7
	s_nop 1
	v_mov_b32_dpp v7, v6 quad_perm:[2,3,0,1] row_mask:0xf bank_mask:0xf
	v_add_f32_e32 v6, v6, v7
	s_nop 1
	v_mov_b32_dpp v7, v6 row_half_mirror row_mask:0xf bank_mask:0xf
	v_add_f32_e32 v6, v6, v7
	s_nop 1
	v_mov_b32_dpp v7, v6 row_mirror row_mask:0xf bank_mask:0xf
	v_add_f32_e32 v6, v6, v7
	s_nop 1
	v_mov_b32_dpp v7, v6 row_bcast:15 row_mask:0xf bank_mask:0xf
	v_add_f32_e32 v6, v6, v7
	s_nop 1
	v_mov_b32_dpp v7, v6 row_bcast:31 row_mask:0xf bank_mask:0xf
	s_and_saveexec_b64 s[0:1], s[2:3]
	s_cbranch_execz .LBB473_38
; %bb.37:
	v_lshrrev_b32_e32 v0, 4, v0
	v_add_f32_e32 v6, v6, v7
	v_and_b32_e32 v0, 60, v0
	ds_write_b32 v0, v6
.LBB473_38:
	s_or_b64 exec, exec, s[0:1]
	s_waitcnt lgkmcnt(0)
	s_barrier
	ds_read_b32 v0, v18
	s_waitcnt lgkmcnt(0)
	s_nop 0
	v_mov_b32_dpp v6, v0 quad_perm:[1,0,3,2] row_mask:0xf bank_mask:0xf
	v_add_f32_e32 v0, v0, v6
	s_nop 1
	v_mov_b32_dpp v6, v0 quad_perm:[2,3,0,1] row_mask:0xf bank_mask:0xf
	s_and_saveexec_b64 s[0:1], vcc
	s_cbranch_execz .LBB473_17
; %bb.39:
	v_cvt_f32_u32_e32 v7, s24
	v_add_f32_e32 v0, v0, v6
	s_mov_b32 s31, 0x20000
	v_div_scale_f32 v6, s[0:1], v7, v7, v0
	v_rcp_f32_e32 v8, v6
	v_div_scale_f32 v9, vcc, v0, v7, v0
	s_mov_b32 s0, 0x800000
	v_fma_f32 v18, -v6, v8, 1.0
	v_fmac_f32_e32 v8, v18, v8
	v_mul_f32_e32 v18, v9, v8
	v_fma_f32 v19, -v6, v18, v9
	v_fmac_f32_e32 v18, v19, v8
	v_fma_f32 v6, -v6, v18, v9
	v_div_fmas_f32 v6, v6, v8, v18
	v_div_fixup_f32 v0, v6, v7, v0
	v_add_f32_e32 v0, s21, v0
	v_mul_f32_e32 v6, 0x4b800000, v0
	v_cmp_gt_f32_e32 vcc, s0, v0
	v_cndmask_b32_e32 v0, v0, v6, vcc
	v_rsq_f32_e32 v0, v0
	s_waitcnt vmcnt(0)
	v_cvt_f32_f16_sdwa v19, v3 dst_sel:DWORD dst_unused:UNUSED_PAD src0_sel:WORD_1
	v_cvt_f32_f16_e32 v18, v3
	s_mul_hi_i32 s1, s16, s6
	v_mul_f32_e32 v6, 0x45800000, v0
	v_cndmask_b32_e32 v6, v0, v6, vcc
	v_mov_b32_e32 v7, v6
	;;#ASMSTART
	v_pk_mul_f32 v[8:9], v[10:11], v[6:7]
	;;#ASMEND
	;;#ASMSTART
	v_pk_mul_f32 v[10:11], v[16:17], v[6:7]
	;;#ASMEND
	v_cvt_f32_f16_sdwa v17, v2 dst_sel:DWORD dst_unused:UNUSED_PAD src0_sel:WORD_1
	v_cvt_f32_f16_e32 v16, v2
	;;#ASMSTART
	v_pk_mul_f32 v[14:15], v[14:15], v[6:7]
	;;#ASMEND
	;;#ASMSTART
	v_pk_mul_f32 v[2:3], v[12:13], v[6:7]
	;;#ASMEND
	v_cvt_f32_f16_sdwa v13, v4 dst_sel:DWORD dst_unused:UNUSED_PAD src0_sel:WORD_1
	v_cvt_f32_f16_e32 v12, v4
	v_pk_add_f32 v[6:7], v[16:17], 1.0 op_sel_hi:[1,0]
	v_cvt_f32_f16_sdwa v17, v5 dst_sel:DWORD dst_unused:UNUSED_PAD src0_sel:WORD_1
	v_cvt_f32_f16_e32 v16, v5
	;;#ASMSTART
	v_pk_mul_f32 v[6:7], v[8:9], v[6:7]
	;;#ASMEND
	v_pk_add_f32 v[8:9], v[18:19], 1.0 op_sel_hi:[1,0]
	;;#ASMSTART
	v_pk_mul_f32 v[4:5], v[10:11], v[8:9]
	;;#ASMEND
	v_pk_add_f32 v[8:9], v[12:13], 1.0 op_sel_hi:[1,0]
	;; [unrolled: 4-line block ×3, first 2 shown]
	;;#ASMSTART
	v_pk_mul_f32 v[2:3], v[2:3], v[10:11]
	;;#ASMEND
	s_mul_i32 s0, s16, s6
	v_cvt_f16_f32_e32 v0, v6
	v_cvt_f16_f32_e32 v6, v7
	;; [unrolled: 1-line block ×8, first 2 shown]
	s_lshl_b64 s[0:1], s[0:1], 1
	s_add_u32 s28, s18, s0
	s_addc_u32 s0, s19, s1
	s_and_b32 s29, s0, 0xffff
	v_pack_b32_f16 v2, v0, v6
	v_pack_b32_f16 v3, v4, v5
	;; [unrolled: 1-line block ×4, first 2 shown]
	buffer_store_dwordx4 v[2:5], v1, s[28:31], 0 offen
	;;#ASMSTART
	s_nop 0
	;;#ASMEND
	s_endpgm
	.section	.rodata,"a",@progbits
	.p2align	6, 0x0
	.amdhsa_kernel _ZN5aiter35fused_qk_rmsnorm_group_quant_kernelIDF16_DB8_Li256ELi8ELi16ELb1ELb1ELb1ELb0ELb0ELb0EEEvPT0_PvPT_S6_S6_PKS5_S8_S8_S8_S8_ffiiiiiiiiiiiii
		.amdhsa_group_segment_fixed_size 32
		.amdhsa_private_segment_fixed_size 0
		.amdhsa_kernarg_size 400
		.amdhsa_user_sgpr_count 6
		.amdhsa_user_sgpr_private_segment_buffer 1
		.amdhsa_user_sgpr_dispatch_ptr 0
		.amdhsa_user_sgpr_queue_ptr 0
		.amdhsa_user_sgpr_kernarg_segment_ptr 1
		.amdhsa_user_sgpr_dispatch_id 0
		.amdhsa_user_sgpr_flat_scratch_init 0
		.amdhsa_user_sgpr_kernarg_preload_length 0
		.amdhsa_user_sgpr_kernarg_preload_offset 0
		.amdhsa_user_sgpr_private_segment_size 0
		.amdhsa_uses_dynamic_stack 0
		.amdhsa_system_sgpr_private_segment_wavefront_offset 0
		.amdhsa_system_sgpr_workgroup_id_x 1
		.amdhsa_system_sgpr_workgroup_id_y 1
		.amdhsa_system_sgpr_workgroup_id_z 0
		.amdhsa_system_sgpr_workgroup_info 0
		.amdhsa_system_vgpr_workitem_id 0
		.amdhsa_next_free_vgpr 31
		.amdhsa_next_free_sgpr 44
		.amdhsa_accum_offset 32
		.amdhsa_reserve_vcc 1
		.amdhsa_reserve_flat_scratch 0
		.amdhsa_float_round_mode_32 0
		.amdhsa_float_round_mode_16_64 0
		.amdhsa_float_denorm_mode_32 3
		.amdhsa_float_denorm_mode_16_64 3
		.amdhsa_dx10_clamp 1
		.amdhsa_ieee_mode 1
		.amdhsa_fp16_overflow 0
		.amdhsa_tg_split 0
		.amdhsa_exception_fp_ieee_invalid_op 0
		.amdhsa_exception_fp_denorm_src 0
		.amdhsa_exception_fp_ieee_div_zero 0
		.amdhsa_exception_fp_ieee_overflow 0
		.amdhsa_exception_fp_ieee_underflow 0
		.amdhsa_exception_fp_ieee_inexact 0
		.amdhsa_exception_int_div_zero 0
	.end_amdhsa_kernel
	.section	.text._ZN5aiter35fused_qk_rmsnorm_group_quant_kernelIDF16_DB8_Li256ELi8ELi16ELb1ELb1ELb1ELb0ELb0ELb0EEEvPT0_PvPT_S6_S6_PKS5_S8_S8_S8_S8_ffiiiiiiiiiiiii,"axG",@progbits,_ZN5aiter35fused_qk_rmsnorm_group_quant_kernelIDF16_DB8_Li256ELi8ELi16ELb1ELb1ELb1ELb0ELb0ELb0EEEvPT0_PvPT_S6_S6_PKS5_S8_S8_S8_S8_ffiiiiiiiiiiiii,comdat
.Lfunc_end473:
	.size	_ZN5aiter35fused_qk_rmsnorm_group_quant_kernelIDF16_DB8_Li256ELi8ELi16ELb1ELb1ELb1ELb0ELb0ELb0EEEvPT0_PvPT_S6_S6_PKS5_S8_S8_S8_S8_ffiiiiiiiiiiiii, .Lfunc_end473-_ZN5aiter35fused_qk_rmsnorm_group_quant_kernelIDF16_DB8_Li256ELi8ELi16ELb1ELb1ELb1ELb0ELb0ELb0EEEvPT0_PvPT_S6_S6_PKS5_S8_S8_S8_S8_ffiiiiiiiiiiiii
                                        ; -- End function
	.section	.AMDGPU.csdata,"",@progbits
; Kernel info:
; codeLenInByte = 3068
; NumSgprs: 48
; NumVgprs: 31
; NumAgprs: 0
; TotalNumVgprs: 31
; ScratchSize: 0
; MemoryBound: 0
; FloatMode: 240
; IeeeMode: 1
; LDSByteSize: 32 bytes/workgroup (compile time only)
; SGPRBlocks: 5
; VGPRBlocks: 3
; NumSGPRsForWavesPerEU: 48
; NumVGPRsForWavesPerEU: 31
; AccumOffset: 32
; Occupancy: 8
; WaveLimiterHint : 0
; COMPUTE_PGM_RSRC2:SCRATCH_EN: 0
; COMPUTE_PGM_RSRC2:USER_SGPR: 6
; COMPUTE_PGM_RSRC2:TRAP_HANDLER: 0
; COMPUTE_PGM_RSRC2:TGID_X_EN: 1
; COMPUTE_PGM_RSRC2:TGID_Y_EN: 1
; COMPUTE_PGM_RSRC2:TGID_Z_EN: 0
; COMPUTE_PGM_RSRC2:TIDIG_COMP_CNT: 0
; COMPUTE_PGM_RSRC3_GFX90A:ACCUM_OFFSET: 7
; COMPUTE_PGM_RSRC3_GFX90A:TG_SPLIT: 0
	.section	.text._ZN5aiter35fused_qk_rmsnorm_group_quant_kernelItDB8_Li256ELi8ELi16ELb1ELb1ELb1ELb0ELb0ELb0EEEvPT0_PvPT_S6_S6_PKS5_S8_S8_S8_S8_ffiiiiiiiiiiiii,"axG",@progbits,_ZN5aiter35fused_qk_rmsnorm_group_quant_kernelItDB8_Li256ELi8ELi16ELb1ELb1ELb1ELb0ELb0ELb0EEEvPT0_PvPT_S6_S6_PKS5_S8_S8_S8_S8_ffiiiiiiiiiiiii,comdat
	.protected	_ZN5aiter35fused_qk_rmsnorm_group_quant_kernelItDB8_Li256ELi8ELi16ELb1ELb1ELb1ELb0ELb0ELb0EEEvPT0_PvPT_S6_S6_PKS5_S8_S8_S8_S8_ffiiiiiiiiiiiii ; -- Begin function _ZN5aiter35fused_qk_rmsnorm_group_quant_kernelItDB8_Li256ELi8ELi16ELb1ELb1ELb1ELb0ELb0ELb0EEEvPT0_PvPT_S6_S6_PKS5_S8_S8_S8_S8_ffiiiiiiiiiiiii
	.globl	_ZN5aiter35fused_qk_rmsnorm_group_quant_kernelItDB8_Li256ELi8ELi16ELb1ELb1ELb1ELb0ELb0ELb0EEEvPT0_PvPT_S6_S6_PKS5_S8_S8_S8_S8_ffiiiiiiiiiiiii
	.p2align	8
	.type	_ZN5aiter35fused_qk_rmsnorm_group_quant_kernelItDB8_Li256ELi8ELi16ELb1ELb1ELb1ELb0ELb0ELb0EEEvPT0_PvPT_S6_S6_PKS5_S8_S8_S8_S8_ffiiiiiiiiiiiii,@function
_ZN5aiter35fused_qk_rmsnorm_group_quant_kernelItDB8_Li256ELi8ELi16ELb1ELb1ELb1ELb0ELb0ELb0EEEvPT0_PvPT_S6_S6_PKS5_S8_S8_S8_S8_ffiiiiiiiiiiiii: ; @_ZN5aiter35fused_qk_rmsnorm_group_quant_kernelItDB8_Li256ELi8ELi16ELb1ELb1ELb1ELb0ELb0ELb0EEEvPT0_PvPT_S6_S6_PKS5_S8_S8_S8_S8_ffiiiiiiiiiiiii
; %bb.0:
	s_load_dwordx8 s[20:27], s[4:5], 0x50
	s_waitcnt lgkmcnt(0)
	s_cmp_ge_i32 s6, s22
	s_cbranch_scc1 .LBB474_17
; %bb.1:
	s_cmp_lg_u32 s7, 0
	s_cselect_b64 s[10:11], -1, 0
	s_cmp_eq_u32 s7, 0
	s_cselect_b64 s[8:9], -1, 0
	s_and_b64 s[0:1], s[8:9], exec
	s_load_dwordx2 s[28:29], s[4:5], 0x48
	s_load_dwordx2 s[34:35], s[4:5], 0x30
	s_load_dwordx8 s[12:19], s[4:5], 0x70
	s_cselect_b32 s7, s23, s24
	s_add_i32 s0, s7, 1
	s_lshr_b32 s1, s0, 31
	s_add_i32 s0, s0, s1
	s_lshl_b32 s0, s0, 1
	v_lshlrev_b32_e32 v1, 3, v0
	s_and_b32 s38, s0, -4
	v_cmp_gt_i32_e64 s[0:1], s7, v1
	v_mov_b32_e32 v10, 0
	v_mov_b32_e32 v11, 0
	;; [unrolled: 1-line block ×8, first 2 shown]
	s_and_saveexec_b64 s[2:3], s[0:1]
	s_cbranch_execz .LBB474_3
; %bb.2:
	s_waitcnt lgkmcnt(0)
	s_load_dwordx2 s[18:19], s[4:5], 0x28
	s_load_dwordx2 s[30:31], s[4:5], 0x40
	s_and_b64 s[36:37], s[8:9], exec
	s_cselect_b32 s22, s25, s26
	s_mov_b32 s39, 0x20000
	s_waitcnt lgkmcnt(0)
	s_cselect_b32 s25, s19, s35
	s_cselect_b32 s33, s18, s34
	s_mul_hi_i32 s19, s22, s6
	s_mul_i32 s18, s22, s6
	s_lshl_b64 s[18:19], s[18:19], 1
	s_add_u32 s40, s33, s18
	s_addc_u32 s22, s25, s19
	s_and_b64 s[18:19], s[8:9], exec
	s_cselect_b32 s36, s30, s28
	s_cselect_b32 s18, s31, s29
	v_lshlrev_b32_e32 v2, 4, v0
	s_and_b32 s41, s22, 0xffff
	s_mov_b32 s42, s38
	s_mov_b32 s43, s39
	s_and_b32 s37, s18, 0xffff
	buffer_load_dwordx4 v[14:17], v2, s[40:43], 0 offen glc slc
	buffer_load_dwordx4 v[10:13], v2, s[36:39], 0 offen
.LBB474_3:
	s_or_b64 exec, exec, s[2:3]
	s_and_b64 vcc, exec, s[10:11]
	s_cbranch_vccz .LBB474_7
; %bb.4:
	s_mov_b32 s40, 0
	s_mov_b32 s41, s40
	s_mov_b32 s42, s40
	s_mov_b32 s43, s40
	s_mov_b32 s44, s40
	s_mov_b32 s45, s40
	s_mov_b32 s46, s40
	s_mov_b32 s47, s40
	v_pk_mov_b32 v[2:3], s[40:41], s[40:41] op_sel:[0,1]
	v_pk_mov_b32 v[4:5], s[42:43], s[42:43] op_sel:[0,1]
	;; [unrolled: 1-line block ×4, first 2 shown]
	s_and_saveexec_b64 s[2:3], s[0:1]
	s_cbranch_execz .LBB474_6
; %bb.5:
	s_waitcnt vmcnt(1)
	v_cvt_f32_u32_sdwa v3, v14 dst_sel:DWORD dst_unused:UNUSED_PAD src0_sel:WORD_1
	v_cvt_f32_u32_sdwa v2, v14 dst_sel:DWORD dst_unused:UNUSED_PAD src0_sel:WORD_0
	v_cvt_f32_u32_sdwa v5, v15 dst_sel:DWORD dst_unused:UNUSED_PAD src0_sel:WORD_1
	v_cvt_f32_u32_sdwa v4, v15 dst_sel:DWORD dst_unused:UNUSED_PAD src0_sel:WORD_0
	;; [unrolled: 2-line block ×4, first 2 shown]
.LBB474_6:
	s_or_b64 exec, exec, s[2:3]
	s_cbranch_execz .LBB474_8
	s_branch .LBB474_11
.LBB474_7:
                                        ; implicit-def: $vgpr2_vgpr3_vgpr4_vgpr5_vgpr6_vgpr7_vgpr8_vgpr9
.LBB474_8:
	s_mov_b32 s40, 0
	s_mov_b32 s41, s40
	;; [unrolled: 1-line block ×8, first 2 shown]
	v_pk_mov_b32 v[2:3], s[40:41], s[40:41] op_sel:[0,1]
	v_pk_mov_b32 v[4:5], s[42:43], s[42:43] op_sel:[0,1]
	;; [unrolled: 1-line block ×4, first 2 shown]
	s_and_saveexec_b64 s[2:3], s[0:1]
	s_cbranch_execz .LBB474_10
; %bb.9:
	s_waitcnt lgkmcnt(0)
	s_load_dwordx2 s[18:19], s[4:5], 0x38
	s_mul_hi_i32 s31, s27, s6
	s_mul_i32 s30, s27, s6
	s_lshl_b64 s[30:31], s[30:31], 1
	s_mov_b32 s39, 0x20000
	s_waitcnt lgkmcnt(0)
	s_add_u32 s36, s18, s30
	s_addc_u32 s18, s19, s31
	s_and_b32 s37, s18, 0xffff
	v_lshlrev_b32_e32 v26, 4, v0
	buffer_load_dwordx4 v[2:5], v26, s[36:39], 0 offen glc slc
	s_load_dwordx2 s[18:19], s[4:5], 0x20
	s_waitcnt vmcnt(2)
	v_cvt_f32_u32_sdwa v7, v14 dst_sel:DWORD dst_unused:UNUSED_PAD src0_sel:WORD_1
	v_cvt_f32_u32_sdwa v6, v14 dst_sel:DWORD dst_unused:UNUSED_PAD src0_sel:WORD_0
	v_cvt_f32_u32_sdwa v9, v15 dst_sel:DWORD dst_unused:UNUSED_PAD src0_sel:WORD_1
	v_cvt_f32_u32_sdwa v8, v15 dst_sel:DWORD dst_unused:UNUSED_PAD src0_sel:WORD_0
	;; [unrolled: 2-line block ×4, first 2 shown]
	s_mul_hi_i32 s31, s17, s6
	s_mul_i32 s30, s17, s6
	s_lshl_b64 s[30:31], s[30:31], 1
	s_waitcnt lgkmcnt(0)
	s_add_u32 s36, s18, s30
	s_mov_b32 s17, 0x7060302
	s_addc_u32 s18, s19, s31
	s_and_b32 s37, s18, 0xffff
	s_waitcnt vmcnt(0)
	v_cvt_f32_u32_sdwa v17, v2 dst_sel:DWORD dst_unused:UNUSED_PAD src0_sel:WORD_1
	v_cvt_f32_u32_sdwa v16, v2 dst_sel:DWORD dst_unused:UNUSED_PAD src0_sel:WORD_0
	v_cvt_f32_u32_sdwa v21, v3 dst_sel:DWORD dst_unused:UNUSED_PAD src0_sel:WORD_1
	v_cvt_f32_u32_sdwa v20, v3 dst_sel:DWORD dst_unused:UNUSED_PAD src0_sel:WORD_0
	;; [unrolled: 2-line block ×4, first 2 shown]
	v_pk_add_f32 v[2:3], v[6:7], v[16:17]
	v_pk_add_f32 v[4:5], v[8:9], v[20:21]
	;; [unrolled: 1-line block ×4, first 2 shown]
	v_perm_b32 v17, v9, v8, s17
	v_perm_b32 v16, v7, v6, s17
	;; [unrolled: 1-line block ×4, first 2 shown]
	buffer_store_dwordx4 v[14:17], v26, s[36:39], 0 offen glc slc
	;;#ASMSTART
	s_nop 0
	;;#ASMEND
.LBB474_10:
	s_or_b64 exec, exec, s[2:3]
.LBB474_11:
	s_waitcnt vmcnt(1)
	v_mul_f32_e32 v14, v3, v3
	v_fmac_f32_e32 v14, v2, v2
	v_fmac_f32_e32 v14, v4, v4
	;; [unrolled: 1-line block ×7, first 2 shown]
	v_and_b32_e32 v16, 63, v0
	v_cmp_eq_u32_e64 s[2:3], 63, v16
	v_mov_b32_dpp v15, v14 quad_perm:[1,0,3,2] row_mask:0xf bank_mask:0xf
	v_add_f32_e32 v14, v14, v15
	s_nop 1
	v_mov_b32_dpp v15, v14 quad_perm:[2,3,0,1] row_mask:0xf bank_mask:0xf
	v_add_f32_e32 v14, v14, v15
	s_nop 1
	v_mov_b32_dpp v15, v14 row_half_mirror row_mask:0xf bank_mask:0xf
	v_add_f32_e32 v14, v14, v15
	s_nop 1
	v_mov_b32_dpp v15, v14 row_mirror row_mask:0xf bank_mask:0xf
	v_add_f32_e32 v14, v14, v15
	s_nop 1
	v_mov_b32_dpp v15, v14 row_bcast:15 row_mask:0xf bank_mask:0xf
	v_add_f32_e32 v14, v14, v15
	s_nop 1
	v_mov_b32_dpp v15, v14 row_bcast:31 row_mask:0xf bank_mask:0xf
	s_waitcnt lgkmcnt(0)
	s_and_saveexec_b64 s[18:19], s[2:3]
	s_cbranch_execz .LBB474_13
; %bb.12:
	v_add_f32_e32 v14, v14, v15
	v_lshrrev_b32_e32 v15, 4, v0
	v_and_b32_e32 v15, 60, v15
	ds_write_b32 v15, v14 offset:16
.LBB474_13:
	s_or_b64 exec, exec, s[18:19]
	v_and_b32_e32 v14, 3, v0
	v_lshlrev_b32_e32 v14, 2, v14
	s_waitcnt lgkmcnt(0)
	s_barrier
	ds_read_b32 v15, v14 offset:16
	s_load_dwordx2 s[18:19], s[4:5], 0x18
	s_waitcnt lgkmcnt(0)
	v_mov_b32_dpp v16, v15 quad_perm:[1,0,3,2] row_mask:0xf bank_mask:0xf
	v_add_f32_e32 v15, v15, v16
	s_nop 1
	v_mov_b32_dpp v16, v15 quad_perm:[2,3,0,1] row_mask:0xf bank_mask:0xf
	s_and_saveexec_b64 s[30:31], s[0:1]
	s_cbranch_execnz .LBB474_18
; %bb.14:
	s_or_b64 exec, exec, s[30:31]
	s_mov_b64 s[8:9], -1
	s_and_b64 vcc, exec, s[10:11]
	s_cbranch_vccnz .LBB474_19
.LBB474_15:
	s_andn2_b64 vcc, exec, s[8:9]
	s_cbranch_vccz .LBB474_22
.LBB474_16:
	s_cmp_lt_i32 s24, 1
	s_cbranch_scc0 .LBB474_31
.LBB474_17:
	s_endpgm
.LBB474_18:
	v_cvt_f32_u32_e32 v17, s7
	v_add_f32_e32 v15, v15, v16
	v_mov_b32_e32 v19, s21
	v_mov_b32_e32 v20, s20
	v_div_scale_f32 v16, s[36:37], v17, v17, v15
	v_rcp_f32_e32 v18, v16
	v_cndmask_b32_e64 v19, v19, v20, s[8:9]
	s_mov_b32 s7, 0x800000
	v_fma_f32 v20, -v16, v18, 1.0
	v_fmac_f32_e32 v18, v20, v18
	v_div_scale_f32 v20, vcc, v15, v17, v15
	v_mul_f32_e32 v21, v20, v18
	v_fma_f32 v22, -v16, v21, v20
	v_fmac_f32_e32 v21, v22, v18
	v_fma_f32 v16, -v16, v21, v20
	v_div_fmas_f32 v16, v16, v18, v21
	v_div_fixup_f32 v15, v16, v17, v15
	v_add_f32_e32 v15, v19, v15
	v_mul_f32_e32 v16, 0x4b800000, v15
	v_cmp_gt_f32_e32 vcc, s7, v15
	v_cndmask_b32_e32 v15, v15, v16, vcc
	v_rsq_f32_e32 v15, v15
	s_waitcnt vmcnt(0)
	v_cvt_f32_u32_sdwa v19, v10 dst_sel:DWORD dst_unused:UNUSED_PAD src0_sel:WORD_1
	v_cvt_f32_u32_sdwa v18, v10 dst_sel:DWORD dst_unused:UNUSED_PAD src0_sel:WORD_0
	v_cvt_f32_u32_sdwa v21, v11 dst_sel:DWORD dst_unused:UNUSED_PAD src0_sel:WORD_1
	v_mul_f32_e32 v16, 0x45800000, v15
	v_cndmask_b32_e32 v16, v15, v16, vcc
	v_mov_b32_e32 v17, v16
	v_cvt_f32_u32_sdwa v20, v11 dst_sel:DWORD dst_unused:UNUSED_PAD src0_sel:WORD_0
	;;#ASMSTART
	v_pk_mul_f32 v[2:3], v[2:3], v[16:17]
	;;#ASMEND
	;;#ASMSTART
	v_pk_mul_f32 v[4:5], v[4:5], v[16:17]
	;;#ASMEND
	;; [unrolled: 3-line block ×4, first 2 shown]
	v_cvt_f32_u32_sdwa v17, v12 dst_sel:DWORD dst_unused:UNUSED_PAD src0_sel:WORD_1
	v_cvt_f32_u32_sdwa v16, v12 dst_sel:DWORD dst_unused:UNUSED_PAD src0_sel:WORD_0
	v_pk_add_f32 v[10:11], v[18:19], 1.0 op_sel_hi:[1,0]
	v_cvt_f32_u32_sdwa v19, v13 dst_sel:DWORD dst_unused:UNUSED_PAD src0_sel:WORD_1
	v_cvt_f32_u32_sdwa v18, v13 dst_sel:DWORD dst_unused:UNUSED_PAD src0_sel:WORD_0
	;;#ASMSTART
	v_pk_mul_f32 v[2:3], v[2:3], v[10:11]
	;;#ASMEND
	v_pk_add_f32 v[10:11], v[20:21], 1.0 op_sel_hi:[1,0]
	;;#ASMSTART
	v_pk_mul_f32 v[4:5], v[4:5], v[10:11]
	;;#ASMEND
	v_pk_add_f32 v[10:11], v[16:17], 1.0 op_sel_hi:[1,0]
	;; [unrolled: 4-line block ×3, first 2 shown]
	;;#ASMSTART
	v_pk_mul_f32 v[8:9], v[8:9], v[10:11]
	;;#ASMEND
	s_or_b64 exec, exec, s[30:31]
	s_mov_b64 s[8:9], -1
	s_and_b64 vcc, exec, s[10:11]
	s_cbranch_vccz .LBB474_15
.LBB474_19:
	s_and_saveexec_b64 s[8:9], s[0:1]
	s_cbranch_execz .LBB474_21
; %bb.20:
	s_mul_hi_i32 s11, s16, s6
	s_mul_i32 s10, s16, s6
	s_lshl_b64 s[10:11], s[10:11], 1
	s_add_u32 s36, s18, s10
	s_addc_u32 s7, s19, s11
	s_and_b32 s37, s7, 0xffff
	s_mov_b32 s7, 0x7060302
	s_mov_b32 s39, 0x20000
	s_waitcnt vmcnt(0)
	v_perm_b32 v10, v3, v2, s7
	v_perm_b32 v11, v5, v4, s7
	;; [unrolled: 1-line block ×4, first 2 shown]
	v_lshlrev_b32_e32 v15, 4, v0
	buffer_store_dwordx4 v[10:13], v15, s[36:39], 0 offen
	;;#ASMSTART
	s_nop 0
	;;#ASMEND
.LBB474_21:
	s_or_b64 exec, exec, s[8:9]
	s_cbranch_execnz .LBB474_16
.LBB474_22:
	s_waitcnt vmcnt(0)
	v_mov_b32_e32 v10, 0
	s_and_saveexec_b64 s[8:9], s[0:1]
	s_cbranch_execz .LBB474_24
; %bb.23:
	s_load_dwordx2 s[10:11], s[4:5], 0x10
	s_mul_hi_i32 s31, s15, s6
	s_mul_i32 s30, s15, s6
	s_lshl_b64 s[30:31], s[30:31], 1
	s_mov_b32 s39, 0x20000
	s_waitcnt lgkmcnt(0)
	s_add_u32 s36, s10, s30
	s_addc_u32 s7, s11, s31
	s_and_b32 s37, s7, 0xffff
	s_mov_b32 s7, 0x7060302
	v_perm_b32 v10, v3, v2, s7
	v_perm_b32 v11, v5, v4, s7
	v_perm_b32 v12, v7, v6, s7
	v_perm_b32 v13, v9, v8, s7
	v_lshlrev_b32_e32 v15, 4, v0
	buffer_store_dwordx4 v[10:13], v15, s[36:39], 0 offen
	;;#ASMSTART
	s_nop 0
	;;#ASMEND
	s_nop 0
	v_mov_b32_e32 v10, 0x2edbe6ff
.LBB474_24:
	s_or_b64 exec, exec, s[8:9]
	s_and_saveexec_b64 s[8:9], s[0:1]
	s_cbranch_execz .LBB474_26
; %bb.25:
	v_and_b32_e32 v11, 0x7fffffff, v2
	v_and_b32_e32 v12, 0x7fffffff, v3
	;;#ASMSTART
	v_max3_f32 v10, v10, v11, v12

	;;#ASMEND
	v_and_b32_e32 v11, 0x7fffffff, v4
	v_and_b32_e32 v12, 0x7fffffff, v5
	;;#ASMSTART
	v_max3_f32 v10, v10, v11, v12

	;;#ASMEND
	;; [unrolled: 6-line block ×4, first 2 shown]
.LBB474_26:
	s_or_b64 exec, exec, s[8:9]
	;;#ASMSTART
	v_max_f32 v11, v10, v10 quad_perm:[1,0,3,2] row_mask:0xf bank_mask:0xf bound_ctrl:1
	;;#ASMEND
	;;#ASMSTART
	v_max_f32 v10, v11, v11 quad_perm:[2,3,0,1] row_mask:0xf bank_mask:0xf bound_ctrl:1
	;;#ASMEND
	;;#ASMSTART
	v_max_f32 v11, v10, v10 row_half_mirror row_mask:0xf bank_mask:0xf bound_ctrl:1
	;;#ASMEND
	;;#ASMSTART
	v_max_f32 v10, v11, v11 row_mirror row_mask:0xf bank_mask:0xf bound_ctrl:1
	;;#ASMEND
	v_and_b32_e32 v11, 15, v0
	v_cmp_eq_u32_e32 vcc, 0, v11
	v_cmp_gt_i32_e64 s[8:9], s23, v1
	v_mul_f32_e32 v10, 0x3b124925, v10
	s_and_b64 s[10:11], vcc, s[8:9]
	s_and_saveexec_b64 s[8:9], s[10:11]
	s_cbranch_execz .LBB474_28
; %bb.27:
	s_load_dwordx2 s[10:11], s[4:5], 0x8
	v_lshrrev_b32_e32 v11, 4, v0
	s_mul_hi_i32 s31, s13, s6
	s_mul_i32 s30, s13, s6
	v_mad_i64_i32 v[12:13], s[14:15], s14, v11, 0
	s_lshl_b64 s[14:15], s[30:31], 2
	s_waitcnt lgkmcnt(0)
	s_add_u32 s7, s10, s14
	s_addc_u32 s10, s11, s15
	v_lshlrev_b64 v[12:13], 2, v[12:13]
	v_mov_b32_e32 v11, s10
	v_add_co_u32_e32 v12, vcc, s7, v12
	v_addc_co_u32_e32 v13, vcc, v11, v13, vcc
	global_store_dword v[12:13], v10, off
.LBB474_28:
	s_or_b64 exec, exec, s[8:9]
	;;#ASMSTART
	v_rcp_f32 v10, v10
	;;#ASMEND
	s_and_saveexec_b64 s[14:15], s[0:1]
	s_cbranch_execz .LBB474_30
; %bb.29:
	s_load_dwordx2 s[0:1], s[4:5], 0x0
	s_mul_i32 s8, s12, s6
	v_mov_b32_e32 v11, v10
	;;#ASMSTART
	v_pk_mul_f32 v[2:3], v[2:3], v[10:11]
	;;#ASMEND
	s_mul_hi_i32 s7, s12, s6
	s_waitcnt lgkmcnt(0)
	s_add_u32 s8, s0, s8
	v_mov_b32_e32 v12, 0xc3e00000
	v_mov_b32_e32 v13, 0x43e00000
	;;#ASMSTART
	v_med3_f32 v2, v2, v12, v13
v_med3_f32 v3, v3, v12, v13
v_cvt_pk_fp8_f32 v15, v2, v3
	;;#ASMEND
	s_addc_u32 s0, s1, s7
	;;#ASMSTART
	v_pk_mul_f32 v[2:3], v[4:5], v[10:11]
	;;#ASMEND
	s_and_b32 s9, s0, 0xffff
	;;#ASMSTART
	v_med3_f32 v2, v2, v12, v13
v_med3_f32 v3, v3, v12, v13
v_cvt_pk_fp8_f32 v4, v2, v3
	;;#ASMEND
	s_mov_b32 s0, 0x5040100
	v_perm_b32 v3, v4, v15, s0
	s_movk_i32 s0, 0xff
	v_and_b32_e32 v2, 0xffffff00, v4
	v_and_b32_sdwa v4, v3, s0 dst_sel:DWORD dst_unused:UNUSED_PAD src0_sel:WORD_1 src1_sel:DWORD
	s_mov_b32 s12, 0xffff
	v_or_b32_sdwa v2, v4, v2 dst_sel:WORD_1 dst_unused:UNUSED_PAD src0_sel:DWORD src1_sel:DWORD
	v_and_or_b32 v2, v3, s12, v2
	;;#ASMSTART
	v_pk_mul_f32 v[4:5], v[6:7], v[10:11]
	;;#ASMEND
	v_mov_b32_e32 v3, v4
	s_add_i32 s1, s23, 3
	;;#ASMSTART
	v_med3_f32 v3, v3, v12, v13
v_med3_f32 v5, v5, v12, v13
v_cvt_pk_fp8_f32 v6, v3, v5
	;;#ASMEND
	s_ashr_i32 s7, s1, 31
	;;#ASMSTART
	v_pk_mul_f32 v[4:5], v[8:9], v[10:11]
	;;#ASMEND
	v_mov_b32_e32 v3, v5
	s_lshr_b32 s7, s7, 30
	;;#ASMSTART
	v_med3_f32 v4, v4, v12, v13
v_med3_f32 v3, v3, v12, v13
v_cvt_pk_fp8_f32 v5, v4, v3
	;;#ASMEND
	s_add_i32 s1, s1, s7
	v_lshlrev_b32_e32 v3, 16, v5
	s_and_b32 s10, s1, -4
	s_mov_b32 s11, 0x20000
	v_and_or_b32 v3, v6, s12, v3
	buffer_store_dwordx2 v[2:3], v1, s[8:11], 0 offen
	;;#ASMSTART
	s_nop 0
	;;#ASMEND
.LBB474_30:
	s_or_b64 exec, exec, s[14:15]
	s_cmp_lt_i32 s24, 1
	s_cbranch_scc1 .LBB474_17
.LBB474_31:
	s_load_dword s0, s[4:5], 0x94
	s_waitcnt lgkmcnt(0)
	s_cmp_lg_u32 s0, 1
	s_cbranch_scc1 .LBB474_17
; %bb.32:
	s_lshl_b32 s0, s24, 1
	s_add_i32 s0, s0, 2
	v_cmp_gt_u32_e32 vcc, s24, v1
	s_and_b32 s30, s0, -4
	v_mov_b32_e32 v6, 0
	v_lshlrev_b32_e32 v1, 4, v0
	v_mov_b32_e32 v7, 0
	v_mov_b32_e32 v8, 0
	;; [unrolled: 1-line block ×7, first 2 shown]
	s_barrier
	s_and_saveexec_b64 s[0:1], vcc
	s_cbranch_execz .LBB474_34
; %bb.33:
	s_mul_hi_i32 s5, s26, s6
	s_mul_i32 s4, s26, s6
	s_and_b32 s29, s29, 0xffff
	s_lshl_b64 s[4:5], s[4:5], 1
	s_add_u32 s8, s34, s4
	s_mov_b32 s31, 0x20000
	s_addc_u32 s4, s35, s5
	s_and_b32 s9, s4, 0xffff
	s_mov_b32 s10, s30
	s_mov_b32 s11, s31
	buffer_load_dwordx4 v[6:9], v1, s[8:11], 0 offen glc slc
	buffer_load_dwordx4 v[2:5], v1, s[28:31], 0 offen
.LBB474_34:
	s_or_b64 exec, exec, s[0:1]
	s_waitcnt vmcnt(0)
	v_cvt_f32_u32_sdwa v13, v6 dst_sel:DWORD dst_unused:UNUSED_PAD src0_sel:WORD_1
	v_cvt_f32_u32_sdwa v12, v6 dst_sel:DWORD dst_unused:UNUSED_PAD src0_sel:WORD_0
	v_cvt_f32_u32_sdwa v6, v9 dst_sel:DWORD dst_unused:UNUSED_PAD src0_sel:WORD_1
	v_cvt_f32_u32_sdwa v9, v9 dst_sel:DWORD dst_unused:UNUSED_PAD src0_sel:WORD_0
	;; [unrolled: 2-line block ×4, first 2 shown]
	v_cndmask_b32_e32 v13, 0, v13, vcc
	v_cndmask_b32_e32 v7, 0, v6, vcc
	;; [unrolled: 1-line block ×5, first 2 shown]
	v_mul_f32_e32 v15, v13, v13
	v_cndmask_b32_e32 v10, 0, v10, vcc
	v_fmac_f32_e32 v15, v12, v12
	v_cndmask_b32_e32 v11, 0, v11, vcc
	v_fmac_f32_e32 v15, v10, v10
	;; [unrolled: 2-line block ×3, first 2 shown]
	v_fmac_f32_e32 v15, v8, v8
	v_fmac_f32_e32 v15, v9, v9
	;; [unrolled: 1-line block ×4, first 2 shown]
	s_nop 1
	v_mov_b32_dpp v16, v15 quad_perm:[1,0,3,2] row_mask:0xf bank_mask:0xf
	v_add_f32_e32 v15, v15, v16
	s_nop 1
	v_mov_b32_dpp v16, v15 quad_perm:[2,3,0,1] row_mask:0xf bank_mask:0xf
	v_add_f32_e32 v15, v15, v16
	s_nop 1
	v_mov_b32_dpp v16, v15 row_half_mirror row_mask:0xf bank_mask:0xf
	v_add_f32_e32 v15, v15, v16
	s_nop 1
	v_mov_b32_dpp v16, v15 row_mirror row_mask:0xf bank_mask:0xf
	v_add_f32_e32 v15, v15, v16
	s_nop 1
	v_mov_b32_dpp v16, v15 row_bcast:15 row_mask:0xf bank_mask:0xf
	v_add_f32_e32 v15, v15, v16
	s_nop 1
	v_mov_b32_dpp v16, v15 row_bcast:31 row_mask:0xf bank_mask:0xf
	s_and_saveexec_b64 s[0:1], s[2:3]
	s_cbranch_execz .LBB474_36
; %bb.35:
	v_lshrrev_b32_e32 v0, 4, v0
	v_add_f32_e32 v15, v15, v16
	v_and_b32_e32 v0, 60, v0
	ds_write_b32 v0, v15
.LBB474_36:
	s_or_b64 exec, exec, s[0:1]
	s_waitcnt lgkmcnt(0)
	s_barrier
	ds_read_b32 v0, v14
	s_waitcnt lgkmcnt(0)
	s_nop 0
	v_mov_b32_dpp v14, v0 quad_perm:[1,0,3,2] row_mask:0xf bank_mask:0xf
	v_add_f32_e32 v0, v0, v14
	s_nop 1
	v_mov_b32_dpp v14, v0 quad_perm:[2,3,0,1] row_mask:0xf bank_mask:0xf
	s_and_saveexec_b64 s[0:1], vcc
	s_cbranch_execz .LBB474_17
; %bb.37:
	v_cvt_f32_u32_e32 v15, s24
	v_add_f32_e32 v0, v0, v14
	s_mov_b32 s31, 0x20000
	v_div_scale_f32 v14, s[0:1], v15, v15, v0
	v_rcp_f32_e32 v16, v14
	v_div_scale_f32 v17, vcc, v0, v15, v0
	s_mov_b32 s0, 0x800000
	v_fma_f32 v18, -v14, v16, 1.0
	v_fmac_f32_e32 v16, v18, v16
	v_mul_f32_e32 v18, v17, v16
	v_fma_f32 v19, -v14, v18, v17
	v_fmac_f32_e32 v18, v19, v16
	v_fma_f32 v14, -v14, v18, v17
	v_div_fmas_f32 v14, v14, v16, v18
	v_div_fixup_f32 v0, v14, v15, v0
	v_add_f32_e32 v0, s21, v0
	v_mul_f32_e32 v14, 0x4b800000, v0
	v_cmp_gt_f32_e32 vcc, s0, v0
	v_cndmask_b32_e32 v0, v0, v14, vcc
	v_rsq_f32_e32 v0, v0
	v_cvt_f32_u32_sdwa v17, v2 dst_sel:DWORD dst_unused:UNUSED_PAD src0_sel:WORD_1
	v_cvt_f32_u32_sdwa v16, v2 dst_sel:DWORD dst_unused:UNUSED_PAD src0_sel:WORD_0
	v_cvt_f32_u32_sdwa v19, v3 dst_sel:DWORD dst_unused:UNUSED_PAD src0_sel:WORD_1
	v_mul_f32_e32 v14, 0x45800000, v0
	v_cndmask_b32_e32 v14, v0, v14, vcc
	v_mov_b32_e32 v15, v14
	;;#ASMSTART
	v_pk_mul_f32 v[12:13], v[12:13], v[14:15]
	;;#ASMEND
	;;#ASMSTART
	v_pk_mul_f32 v[10:11], v[10:11], v[14:15]
	;;#ASMEND
	;; [unrolled: 3-line block ×3, first 2 shown]
	v_cvt_f32_u32_sdwa v18, v3 dst_sel:DWORD dst_unused:UNUSED_PAD src0_sel:WORD_0
	;;#ASMSTART
	v_pk_mul_f32 v[2:3], v[6:7], v[14:15]
	;;#ASMEND
	v_cvt_f32_u32_sdwa v15, v4 dst_sel:DWORD dst_unused:UNUSED_PAD src0_sel:WORD_1
	v_cvt_f32_u32_sdwa v14, v4 dst_sel:DWORD dst_unused:UNUSED_PAD src0_sel:WORD_0
	v_pk_add_f32 v[6:7], v[16:17], 1.0 op_sel_hi:[1,0]
	v_cvt_f32_u32_sdwa v17, v5 dst_sel:DWORD dst_unused:UNUSED_PAD src0_sel:WORD_1
	v_cvt_f32_u32_sdwa v16, v5 dst_sel:DWORD dst_unused:UNUSED_PAD src0_sel:WORD_0
	s_mul_hi_i32 s1, s16, s6
	s_mul_i32 s0, s16, s6
	s_lshl_b64 s[0:1], s[0:1], 1
	s_add_u32 s28, s18, s0
	;;#ASMSTART
	v_pk_mul_f32 v[6:7], v[12:13], v[6:7]
	;;#ASMEND
	v_pk_add_f32 v[12:13], v[18:19], 1.0 op_sel_hi:[1,0]
	;;#ASMSTART
	v_pk_mul_f32 v[4:5], v[10:11], v[12:13]
	;;#ASMEND
	v_pk_add_f32 v[10:11], v[14:15], 1.0 op_sel_hi:[1,0]
	s_addc_u32 s0, s19, s1
	;;#ASMSTART
	v_pk_mul_f32 v[8:9], v[8:9], v[10:11]
	;;#ASMEND
	v_pk_add_f32 v[10:11], v[16:17], 1.0 op_sel_hi:[1,0]
	s_and_b32 s29, s0, 0xffff
	s_mov_b32 s0, 0x7060302
	;;#ASMSTART
	v_pk_mul_f32 v[10:11], v[2:3], v[10:11]
	;;#ASMEND
	v_perm_b32 v2, v7, v6, s0
	v_perm_b32 v3, v5, v4, s0
	;; [unrolled: 1-line block ×4, first 2 shown]
	buffer_store_dwordx4 v[2:5], v1, s[28:31], 0 offen
	;;#ASMSTART
	s_nop 0
	;;#ASMEND
	s_endpgm
	.section	.rodata,"a",@progbits
	.p2align	6, 0x0
	.amdhsa_kernel _ZN5aiter35fused_qk_rmsnorm_group_quant_kernelItDB8_Li256ELi8ELi16ELb1ELb1ELb1ELb0ELb0ELb0EEEvPT0_PvPT_S6_S6_PKS5_S8_S8_S8_S8_ffiiiiiiiiiiiii
		.amdhsa_group_segment_fixed_size 32
		.amdhsa_private_segment_fixed_size 0
		.amdhsa_kernarg_size 400
		.amdhsa_user_sgpr_count 6
		.amdhsa_user_sgpr_private_segment_buffer 1
		.amdhsa_user_sgpr_dispatch_ptr 0
		.amdhsa_user_sgpr_queue_ptr 0
		.amdhsa_user_sgpr_kernarg_segment_ptr 1
		.amdhsa_user_sgpr_dispatch_id 0
		.amdhsa_user_sgpr_flat_scratch_init 0
		.amdhsa_user_sgpr_kernarg_preload_length 0
		.amdhsa_user_sgpr_kernarg_preload_offset 0
		.amdhsa_user_sgpr_private_segment_size 0
		.amdhsa_uses_dynamic_stack 0
		.amdhsa_system_sgpr_private_segment_wavefront_offset 0
		.amdhsa_system_sgpr_workgroup_id_x 1
		.amdhsa_system_sgpr_workgroup_id_y 1
		.amdhsa_system_sgpr_workgroup_id_z 0
		.amdhsa_system_sgpr_workgroup_info 0
		.amdhsa_system_vgpr_workitem_id 0
		.amdhsa_next_free_vgpr 27
		.amdhsa_next_free_sgpr 48
		.amdhsa_accum_offset 28
		.amdhsa_reserve_vcc 1
		.amdhsa_reserve_flat_scratch 0
		.amdhsa_float_round_mode_32 0
		.amdhsa_float_round_mode_16_64 0
		.amdhsa_float_denorm_mode_32 3
		.amdhsa_float_denorm_mode_16_64 3
		.amdhsa_dx10_clamp 1
		.amdhsa_ieee_mode 1
		.amdhsa_fp16_overflow 0
		.amdhsa_tg_split 0
		.amdhsa_exception_fp_ieee_invalid_op 0
		.amdhsa_exception_fp_denorm_src 0
		.amdhsa_exception_fp_ieee_div_zero 0
		.amdhsa_exception_fp_ieee_overflow 0
		.amdhsa_exception_fp_ieee_underflow 0
		.amdhsa_exception_fp_ieee_inexact 0
		.amdhsa_exception_int_div_zero 0
	.end_amdhsa_kernel
	.section	.text._ZN5aiter35fused_qk_rmsnorm_group_quant_kernelItDB8_Li256ELi8ELi16ELb1ELb1ELb1ELb0ELb0ELb0EEEvPT0_PvPT_S6_S6_PKS5_S8_S8_S8_S8_ffiiiiiiiiiiiii,"axG",@progbits,_ZN5aiter35fused_qk_rmsnorm_group_quant_kernelItDB8_Li256ELi8ELi16ELb1ELb1ELb1ELb0ELb0ELb0EEEvPT0_PvPT_S6_S6_PKS5_S8_S8_S8_S8_ffiiiiiiiiiiiii,comdat
.Lfunc_end474:
	.size	_ZN5aiter35fused_qk_rmsnorm_group_quant_kernelItDB8_Li256ELi8ELi16ELb1ELb1ELb1ELb0ELb0ELb0EEEvPT0_PvPT_S6_S6_PKS5_S8_S8_S8_S8_ffiiiiiiiiiiiii, .Lfunc_end474-_ZN5aiter35fused_qk_rmsnorm_group_quant_kernelItDB8_Li256ELi8ELi16ELb1ELb1ELb1ELb0ELb0ELb0EEEvPT0_PvPT_S6_S6_PKS5_S8_S8_S8_S8_ffiiiiiiiiiiiii
                                        ; -- End function
	.section	.AMDGPU.csdata,"",@progbits
; Kernel info:
; codeLenInByte = 3128
; NumSgprs: 52
; NumVgprs: 27
; NumAgprs: 0
; TotalNumVgprs: 27
; ScratchSize: 0
; MemoryBound: 0
; FloatMode: 240
; IeeeMode: 1
; LDSByteSize: 32 bytes/workgroup (compile time only)
; SGPRBlocks: 6
; VGPRBlocks: 3
; NumSGPRsForWavesPerEU: 52
; NumVGPRsForWavesPerEU: 27
; AccumOffset: 28
; Occupancy: 8
; WaveLimiterHint : 0
; COMPUTE_PGM_RSRC2:SCRATCH_EN: 0
; COMPUTE_PGM_RSRC2:USER_SGPR: 6
; COMPUTE_PGM_RSRC2:TRAP_HANDLER: 0
; COMPUTE_PGM_RSRC2:TGID_X_EN: 1
; COMPUTE_PGM_RSRC2:TGID_Y_EN: 1
; COMPUTE_PGM_RSRC2:TGID_Z_EN: 0
; COMPUTE_PGM_RSRC2:TIDIG_COMP_CNT: 0
; COMPUTE_PGM_RSRC3_GFX90A:ACCUM_OFFSET: 6
; COMPUTE_PGM_RSRC3_GFX90A:TG_SPLIT: 0
	.section	.text._ZN5aiter35fused_qk_rmsnorm_group_quant_kernelIDF16_N4opus5fp4_tELi256ELi8ELi16ELb1ELb1ELb1ELb0ELb0ELb0EEEvPT0_PvPT_S7_S7_PKS6_S9_S9_S9_S9_ffiiiiiiiiiiiii,"axG",@progbits,_ZN5aiter35fused_qk_rmsnorm_group_quant_kernelIDF16_N4opus5fp4_tELi256ELi8ELi16ELb1ELb1ELb1ELb0ELb0ELb0EEEvPT0_PvPT_S7_S7_PKS6_S9_S9_S9_S9_ffiiiiiiiiiiiii,comdat
	.protected	_ZN5aiter35fused_qk_rmsnorm_group_quant_kernelIDF16_N4opus5fp4_tELi256ELi8ELi16ELb1ELb1ELb1ELb0ELb0ELb0EEEvPT0_PvPT_S7_S7_PKS6_S9_S9_S9_S9_ffiiiiiiiiiiiii ; -- Begin function _ZN5aiter35fused_qk_rmsnorm_group_quant_kernelIDF16_N4opus5fp4_tELi256ELi8ELi16ELb1ELb1ELb1ELb0ELb0ELb0EEEvPT0_PvPT_S7_S7_PKS6_S9_S9_S9_S9_ffiiiiiiiiiiiii
	.globl	_ZN5aiter35fused_qk_rmsnorm_group_quant_kernelIDF16_N4opus5fp4_tELi256ELi8ELi16ELb1ELb1ELb1ELb0ELb0ELb0EEEvPT0_PvPT_S7_S7_PKS6_S9_S9_S9_S9_ffiiiiiiiiiiiii
	.p2align	8
	.type	_ZN5aiter35fused_qk_rmsnorm_group_quant_kernelIDF16_N4opus5fp4_tELi256ELi8ELi16ELb1ELb1ELb1ELb0ELb0ELb0EEEvPT0_PvPT_S7_S7_PKS6_S9_S9_S9_S9_ffiiiiiiiiiiiii,@function
_ZN5aiter35fused_qk_rmsnorm_group_quant_kernelIDF16_N4opus5fp4_tELi256ELi8ELi16ELb1ELb1ELb1ELb0ELb0ELb0EEEvPT0_PvPT_S7_S7_PKS6_S9_S9_S9_S9_ffiiiiiiiiiiiii: ; @_ZN5aiter35fused_qk_rmsnorm_group_quant_kernelIDF16_N4opus5fp4_tELi256ELi8ELi16ELb1ELb1ELb1ELb0ELb0ELb0EEEvPT0_PvPT_S7_S7_PKS6_S9_S9_S9_S9_ffiiiiiiiiiiiii
; %bb.0:
	s_load_dwordx8 s[20:27], s[4:5], 0x50
	s_waitcnt lgkmcnt(0)
	s_cmp_ge_i32 s6, s22
	s_cbranch_scc1 .LBB475_17
; %bb.1:
	s_cmp_lg_u32 s7, 0
	s_cselect_b64 s[30:31], -1, 0
	s_cmp_eq_u32 s7, 0
	s_cselect_b64 s[8:9], -1, 0
	s_and_b64 s[0:1], s[8:9], exec
	s_load_dwordx2 s[28:29], s[4:5], 0x48
	s_load_dwordx2 s[10:11], s[4:5], 0x30
	s_load_dwordx8 s[12:19], s[4:5], 0x70
	s_cselect_b32 s7, s23, s24
	s_add_i32 s0, s7, 1
	s_lshr_b32 s1, s0, 31
	s_add_i32 s0, s0, s1
	s_lshl_b32 s0, s0, 1
	v_lshlrev_b32_e32 v1, 3, v0
	s_and_b32 s38, s0, -4
	v_cmp_gt_i32_e64 s[0:1], s7, v1
	v_mov_b32_e32 v2, 0
	v_mov_b32_e32 v3, 0
	;; [unrolled: 1-line block ×8, first 2 shown]
	s_and_saveexec_b64 s[2:3], s[0:1]
	s_cbranch_execz .LBB475_3
; %bb.2:
	s_waitcnt lgkmcnt(0)
	s_load_dwordx2 s[18:19], s[4:5], 0x28
	s_load_dwordx2 s[34:35], s[4:5], 0x40
	s_and_b64 s[36:37], s[8:9], exec
	s_cselect_b32 s22, s25, s26
	s_mov_b32 s39, 0x20000
	s_waitcnt lgkmcnt(0)
	s_cselect_b32 s25, s19, s11
	s_cselect_b32 s33, s18, s10
	s_mul_hi_i32 s19, s22, s6
	s_mul_i32 s18, s22, s6
	s_lshl_b64 s[18:19], s[18:19], 1
	s_add_u32 s40, s33, s18
	s_addc_u32 s22, s25, s19
	s_and_b64 s[18:19], s[8:9], exec
	s_cselect_b32 s36, s34, s28
	s_cselect_b32 s18, s35, s29
	v_lshlrev_b32_e32 v10, 4, v0
	s_and_b32 s41, s22, 0xffff
	s_mov_b32 s42, s38
	s_mov_b32 s43, s39
	s_and_b32 s37, s18, 0xffff
	buffer_load_dwordx4 v[6:9], v10, s[40:43], 0 offen glc slc
	buffer_load_dwordx4 v[2:5], v10, s[36:39], 0 offen
.LBB475_3:
	s_or_b64 exec, exec, s[2:3]
	s_and_b64 vcc, exec, s[30:31]
	s_cbranch_vccz .LBB475_7
; %bb.4:
	v_mov_b32_e32 v11, 0
	v_mov_b32_e32 v10, 0
	;; [unrolled: 1-line block ×8, first 2 shown]
	s_and_saveexec_b64 s[2:3], s[0:1]
	s_cbranch_execz .LBB475_6
; %bb.5:
	s_waitcnt vmcnt(1)
	v_cvt_f32_f16_sdwa v15, v6 dst_sel:DWORD dst_unused:UNUSED_PAD src0_sel:WORD_1
	v_cvt_f32_f16_e32 v14, v6
	v_cvt_f32_f16_sdwa v17, v7 dst_sel:DWORD dst_unused:UNUSED_PAD src0_sel:WORD_1
	v_cvt_f32_f16_e32 v16, v7
	;; [unrolled: 2-line block ×4, first 2 shown]
.LBB475_6:
	s_or_b64 exec, exec, s[2:3]
	s_cbranch_execz .LBB475_8
	s_branch .LBB475_11
.LBB475_7:
                                        ; implicit-def: $vgpr11
                                        ; implicit-def: $vgpr13
                                        ; implicit-def: $vgpr17
                                        ; implicit-def: $vgpr15
.LBB475_8:
	v_mov_b32_e32 v11, 0
	v_mov_b32_e32 v10, 0
	;; [unrolled: 1-line block ×8, first 2 shown]
	s_and_saveexec_b64 s[2:3], s[0:1]
	s_cbranch_execz .LBB475_10
; %bb.9:
	s_waitcnt lgkmcnt(0)
	s_load_dwordx2 s[18:19], s[4:5], 0x38
	s_mul_hi_i32 s35, s27, s6
	s_mul_i32 s34, s27, s6
	s_lshl_b64 s[34:35], s[34:35], 1
	s_mov_b32 s39, 0x20000
	s_waitcnt lgkmcnt(0)
	s_add_u32 s36, s18, s34
	s_addc_u32 s18, s19, s35
	s_and_b32 s37, s18, 0xffff
	v_lshlrev_b32_e32 v24, 4, v0
	buffer_load_dwordx4 v[10:13], v24, s[36:39], 0 offen glc slc
	s_waitcnt vmcnt(2)
	v_cvt_f32_f16_sdwa v15, v6 dst_sel:DWORD dst_unused:UNUSED_PAD src0_sel:WORD_1
	v_cvt_f32_f16_e32 v14, v6
	v_cvt_f32_f16_sdwa v17, v7 dst_sel:DWORD dst_unused:UNUSED_PAD src0_sel:WORD_1
	v_cvt_f32_f16_e32 v16, v7
	;; [unrolled: 2-line block ×4, first 2 shown]
	s_load_dwordx2 s[18:19], s[4:5], 0x20
	s_mul_hi_i32 s35, s17, s6
	s_mul_i32 s34, s17, s6
	s_lshl_b64 s[34:35], s[34:35], 1
	s_waitcnt lgkmcnt(0)
	s_add_u32 s36, s18, s34
	s_addc_u32 s17, s19, s35
	s_and_b32 s37, s17, 0xffff
	s_waitcnt vmcnt(0)
	v_cvt_f32_f16_e32 v8, v10
	v_cvt_f32_f16_sdwa v9, v10 dst_sel:DWORD dst_unused:UNUSED_PAD src0_sel:WORD_1
	v_cvt_f32_f16_e32 v10, v11
	v_cvt_f32_f16_sdwa v11, v11 dst_sel:DWORD dst_unused:UNUSED_PAD src0_sel:WORD_1
	;; [unrolled: 2-line block ×4, first 2 shown]
	v_pk_add_f32 v[14:15], v[14:15], v[8:9]
	v_pk_add_f32 v[16:17], v[16:17], v[10:11]
	;; [unrolled: 1-line block ×4, first 2 shown]
	v_cvt_f16_f32_e32 v6, v15
	v_cvt_f16_f32_e32 v7, v17
	;; [unrolled: 1-line block ×8, first 2 shown]
	v_pack_b32_f16 v9, v18, v9
	v_pack_b32_f16 v8, v19, v8
	;; [unrolled: 1-line block ×4, first 2 shown]
	buffer_store_dwordx4 v[6:9], v24, s[36:39], 0 offen glc slc
	;;#ASMSTART
	s_nop 0
	;;#ASMEND
.LBB475_10:
	s_or_b64 exec, exec, s[2:3]
.LBB475_11:
	s_waitcnt vmcnt(1)
	v_mul_f32_e32 v6, v15, v15
	v_fmac_f32_e32 v6, v14, v14
	v_fmac_f32_e32 v6, v16, v16
	v_fmac_f32_e32 v6, v17, v17
	v_fmac_f32_e32 v6, v12, v12
	v_fmac_f32_e32 v6, v13, v13
	v_fmac_f32_e32 v6, v10, v10
	v_fmac_f32_e32 v6, v11, v11
	v_and_b32_e32 v8, 63, v0
	v_cmp_eq_u32_e64 s[2:3], 63, v8
	v_mov_b32_dpp v7, v6 quad_perm:[1,0,3,2] row_mask:0xf bank_mask:0xf
	v_add_f32_e32 v6, v6, v7
	s_nop 1
	v_mov_b32_dpp v7, v6 quad_perm:[2,3,0,1] row_mask:0xf bank_mask:0xf
	v_add_f32_e32 v6, v6, v7
	s_nop 1
	v_mov_b32_dpp v7, v6 row_half_mirror row_mask:0xf bank_mask:0xf
	v_add_f32_e32 v6, v6, v7
	s_nop 1
	v_mov_b32_dpp v7, v6 row_mirror row_mask:0xf bank_mask:0xf
	v_add_f32_e32 v6, v6, v7
	s_nop 1
	v_mov_b32_dpp v7, v6 row_bcast:15 row_mask:0xf bank_mask:0xf
	v_add_f32_e32 v6, v6, v7
	s_nop 1
	v_mov_b32_dpp v7, v6 row_bcast:31 row_mask:0xf bank_mask:0xf
	s_waitcnt lgkmcnt(0)
	s_and_saveexec_b64 s[18:19], s[2:3]
	s_cbranch_execz .LBB475_13
; %bb.12:
	v_add_f32_e32 v6, v6, v7
	v_lshrrev_b32_e32 v7, 4, v0
	v_and_b32_e32 v7, 60, v7
	ds_write_b32 v7, v6 offset:16
.LBB475_13:
	s_or_b64 exec, exec, s[18:19]
	v_and_b32_e32 v6, 3, v0
	v_lshlrev_b32_e32 v18, 2, v6
	s_waitcnt lgkmcnt(0)
	s_barrier
	ds_read_b32 v6, v18 offset:16
	s_load_dwordx2 s[18:19], s[4:5], 0x18
	s_waitcnt lgkmcnt(0)
	v_mov_b32_dpp v7, v6 quad_perm:[1,0,3,2] row_mask:0xf bank_mask:0xf
	v_add_f32_e32 v6, v6, v7
	s_nop 1
	v_mov_b32_dpp v7, v6 quad_perm:[2,3,0,1] row_mask:0xf bank_mask:0xf
	s_and_saveexec_b64 s[34:35], s[0:1]
	s_cbranch_execnz .LBB475_18
; %bb.14:
	s_or_b64 exec, exec, s[34:35]
	s_mov_b64 s[8:9], -1
	s_and_b64 vcc, exec, s[30:31]
	s_cbranch_vccnz .LBB475_19
.LBB475_15:
	s_andn2_b64 vcc, exec, s[8:9]
	s_cbranch_vccz .LBB475_22
.LBB475_16:
	s_cmp_lt_i32 s24, 1
	s_cbranch_scc0 .LBB475_31
.LBB475_17:
	s_endpgm
.LBB475_18:
	v_cvt_f32_u32_e32 v8, s7
	v_add_f32_e32 v6, v6, v7
	v_mov_b32_e32 v19, s21
	v_mov_b32_e32 v20, s20
	v_div_scale_f32 v7, s[36:37], v8, v8, v6
	v_rcp_f32_e32 v9, v7
	v_cndmask_b32_e64 v19, v19, v20, s[8:9]
	s_mov_b32 s7, 0x800000
	v_fma_f32 v20, -v7, v9, 1.0
	v_fmac_f32_e32 v9, v20, v9
	v_div_scale_f32 v20, vcc, v6, v8, v6
	v_mul_f32_e32 v21, v20, v9
	v_fma_f32 v22, -v7, v21, v20
	v_fmac_f32_e32 v21, v22, v9
	v_fma_f32 v7, -v7, v21, v20
	v_div_fmas_f32 v7, v7, v9, v21
	v_div_fixup_f32 v6, v7, v8, v6
	v_add_f32_e32 v6, v19, v6
	v_mul_f32_e32 v7, 0x4b800000, v6
	v_cmp_gt_f32_e32 vcc, s7, v6
	v_cndmask_b32_e32 v6, v6, v7, vcc
	v_rsq_f32_e32 v6, v6
	s_waitcnt vmcnt(0)
	v_cvt_f32_f16_sdwa v21, v3 dst_sel:DWORD dst_unused:UNUSED_PAD src0_sel:WORD_1
	v_cvt_f32_f16_e32 v20, v3
	v_mul_f32_e32 v7, 0x45800000, v6
	v_cndmask_b32_e32 v6, v6, v7, vcc
	v_mov_b32_e32 v7, v6
	;;#ASMSTART
	v_pk_mul_f32 v[8:9], v[14:15], v[6:7]
	;;#ASMEND
	v_cvt_f32_f16_sdwa v15, v2 dst_sel:DWORD dst_unused:UNUSED_PAD src0_sel:WORD_1
	v_cvt_f32_f16_e32 v14, v2
	;;#ASMSTART
	v_pk_mul_f32 v[16:17], v[16:17], v[6:7]
	;;#ASMEND
	;;#ASMSTART
	v_pk_mul_f32 v[12:13], v[12:13], v[6:7]
	;;#ASMEND
	;; [unrolled: 3-line block ×3, first 2 shown]
	v_pk_add_f32 v[6:7], v[14:15], 1.0 op_sel_hi:[1,0]
	;;#ASMSTART
	v_pk_mul_f32 v[14:15], v[8:9], v[6:7]
	;;#ASMEND
	v_cvt_f32_f16_sdwa v9, v4 dst_sel:DWORD dst_unused:UNUSED_PAD src0_sel:WORD_1
	v_cvt_f32_f16_e32 v8, v4
	v_cvt_f32_f16_sdwa v11, v5 dst_sel:DWORD dst_unused:UNUSED_PAD src0_sel:WORD_1
	v_cvt_f32_f16_e32 v10, v5
	v_pk_add_f32 v[6:7], v[20:21], 1.0 op_sel_hi:[1,0]
	v_pk_add_f32 v[4:5], v[8:9], 1.0 op_sel_hi:[1,0]
	;;#ASMSTART
	v_pk_mul_f32 v[16:17], v[16:17], v[6:7]
	;;#ASMEND
	;;#ASMSTART
	v_pk_mul_f32 v[12:13], v[12:13], v[4:5]
	;;#ASMEND
	v_pk_add_f32 v[4:5], v[10:11], 1.0 op_sel_hi:[1,0]
	;;#ASMSTART
	v_pk_mul_f32 v[10:11], v[2:3], v[4:5]
	;;#ASMEND
	s_or_b64 exec, exec, s[34:35]
	s_mov_b64 s[8:9], -1
	s_and_b64 vcc, exec, s[30:31]
	s_cbranch_vccz .LBB475_15
.LBB475_19:
	s_and_saveexec_b64 s[8:9], s[0:1]
	s_cbranch_execz .LBB475_21
; %bb.20:
	s_mul_hi_i32 s31, s16, s6
	s_mul_i32 s30, s16, s6
	s_waitcnt vmcnt(0)
	v_cvt_f16_f32_e32 v2, v14
	v_cvt_f16_f32_e32 v3, v16
	;; [unrolled: 1-line block ×8, first 2 shown]
	s_lshl_b64 s[30:31], s[30:31], 1
	s_add_u32 s36, s18, s30
	s_addc_u32 s7, s19, s31
	s_and_b32 s37, s7, 0xffff
	s_mov_b32 s39, 0x20000
	v_pack_b32_f16 v5, v5, v6
	v_pack_b32_f16 v4, v4, v7
	;; [unrolled: 1-line block ×4, first 2 shown]
	v_lshlrev_b32_e32 v6, 4, v0
	buffer_store_dwordx4 v[2:5], v6, s[36:39], 0 offen
	;;#ASMSTART
	s_nop 0
	;;#ASMEND
.LBB475_21:
	s_or_b64 exec, exec, s[8:9]
	s_cbranch_execnz .LBB475_16
.LBB475_22:
	s_waitcnt vmcnt(0)
	v_mov_b32_e32 v2, 0
	s_and_saveexec_b64 s[8:9], s[0:1]
	s_cbranch_execz .LBB475_24
; %bb.23:
	s_load_dwordx2 s[30:31], s[4:5], 0x10
	s_mul_hi_i32 s35, s15, s6
	s_mul_i32 s34, s15, s6
	v_cvt_f16_f32_e32 v2, v14
	v_cvt_f16_f32_e32 v3, v16
	;; [unrolled: 1-line block ×8, first 2 shown]
	s_lshl_b64 s[34:35], s[34:35], 1
	s_waitcnt lgkmcnt(0)
	s_add_u32 s36, s30, s34
	s_addc_u32 s7, s31, s35
	s_mov_b32 s39, 0x20000
	s_and_b32 s37, s7, 0xffff
	v_pack_b32_f16 v5, v5, v6
	v_pack_b32_f16 v4, v4, v7
	;; [unrolled: 1-line block ×4, first 2 shown]
	v_lshlrev_b32_e32 v6, 4, v0
	buffer_store_dwordx4 v[2:5], v6, s[36:39], 0 offen
	;;#ASMSTART
	s_nop 0
	;;#ASMEND
	s_nop 0
	v_mov_b32_e32 v2, 0x2edbe6ff
.LBB475_24:
	s_or_b64 exec, exec, s[8:9]
	s_and_saveexec_b64 s[8:9], s[0:1]
	s_cbranch_execz .LBB475_26
; %bb.25:
	v_and_b32_e32 v3, 0x7fffffff, v14
	v_and_b32_e32 v4, 0x7fffffff, v15
	;;#ASMSTART
	v_max3_f32 v2, v2, v3, v4

	;;#ASMEND
	v_and_b32_e32 v3, 0x7fffffff, v16
	v_and_b32_e32 v4, 0x7fffffff, v17
	;;#ASMSTART
	v_max3_f32 v2, v2, v3, v4

	;;#ASMEND
	v_and_b32_e32 v3, 0x7fffffff, v12
	v_and_b32_e32 v4, 0x7fffffff, v13
	;;#ASMSTART
	v_max3_f32 v2, v2, v3, v4

	;;#ASMEND
	v_and_b32_e32 v3, 0x7fffffff, v10
	v_and_b32_e32 v4, 0x7fffffff, v11
	;;#ASMSTART
	v_max3_f32 v2, v2, v3, v4

	;;#ASMEND
.LBB475_26:
	s_or_b64 exec, exec, s[8:9]
	;;#ASMSTART
	v_max_f32 v3, v2, v2 quad_perm:[1,0,3,2] row_mask:0xf bank_mask:0xf bound_ctrl:1
	;;#ASMEND
	;;#ASMSTART
	v_max_f32 v2, v3, v3 quad_perm:[2,3,0,1] row_mask:0xf bank_mask:0xf bound_ctrl:1
	;;#ASMEND
	;;#ASMSTART
	v_max_f32 v3, v2, v2 row_half_mirror row_mask:0xf bank_mask:0xf bound_ctrl:1
	;;#ASMEND
	;;#ASMSTART
	v_max_f32 v2, v3, v3 row_mirror row_mask:0xf bank_mask:0xf bound_ctrl:1
	;;#ASMEND
	v_and_b32_e32 v3, 15, v0
	v_cmp_eq_u32_e32 vcc, 0, v3
	v_cmp_gt_i32_e64 s[8:9], s23, v1
	s_and_b64 s[30:31], vcc, s[8:9]
	s_and_saveexec_b64 s[8:9], s[30:31]
	s_cbranch_execz .LBB475_28
; %bb.27:
	s_load_dwordx2 s[30:31], s[4:5], 0x8
	v_mul_f32_e32 v2, 0x3e2aaaab, v2
	v_lshrrev_b32_e32 v3, 23, v2
	v_and_b32_e32 v4, 0x7f800000, v2
	v_and_b32_e32 v2, 0x7fffff, v2
	v_cmp_ne_u32_e32 vcc, 0, v2
	s_mul_hi_i32 s15, s13, s6
	s_mul_i32 s13, s13, s6
	s_mov_b32 s7, 0x7f800000
	v_addc_co_u32_e32 v2, vcc, 0, v3, vcc
	s_waitcnt lgkmcnt(0)
	s_add_u32 s30, s30, s13
	v_cmp_ne_u32_e32 vcc, s7, v4
	s_addc_u32 s31, s31, s15
	v_lshrrev_b32_e32 v5, 4, v0
	v_cndmask_b32_e32 v4, -1, v2, vcc
	v_pk_mov_b32 v[2:3], s[30:31], s[30:31] op_sel:[0,1]
	v_mad_i64_i32 v[2:3], s[14:15], s14, v5, v[2:3]
	global_store_byte v[2:3], v4, off
.LBB475_28:
	s_or_b64 exec, exec, s[8:9]
	s_and_saveexec_b64 s[8:9], s[0:1]
	s_cbranch_execz .LBB475_30
; %bb.29:
	s_load_dwordx2 s[0:1], s[4:5], 0x0
	s_mul_hi_i32 s7, s12, s6
	s_mul_i32 s12, s12, s6
	v_lshlrev_b32_e32 v2, 2, v0
	s_mov_b32 s15, 0x20000
	s_waitcnt lgkmcnt(0)
	s_add_u32 s12, s0, s12
	s_addc_u32 s0, s1, s7
	s_lshr_b32 s1, s23, 31
	s_add_i32 s1, s23, s1
	s_ashr_i32 s1, s1, 1
	s_add_i32 s1, s1, 3
	s_ashr_i32 s7, s1, 31
	s_lshr_b32 s7, s7, 30
	s_add_i32 s1, s1, s7
	s_and_b32 s14, s1, -4
	s_and_b32 s13, s0, 0xffff
	v_mov_b32_e32 v3, 0
	buffer_store_dword v3, v2, s[12:15], 0 offen
	;;#ASMSTART
	s_nop 0
	;;#ASMEND
.LBB475_30:
	s_or_b64 exec, exec, s[8:9]
	s_cmp_lt_i32 s24, 1
	s_cbranch_scc1 .LBB475_17
.LBB475_31:
	s_load_dword s0, s[4:5], 0x94
	s_waitcnt lgkmcnt(0)
	s_cmp_lg_u32 s0, 1
	s_cbranch_scc1 .LBB475_17
; %bb.32:
	s_lshl_b32 s0, s24, 1
	s_add_i32 s0, s0, 2
	v_cmp_gt_u32_e32 vcc, s24, v1
	s_and_b32 s30, s0, -4
	v_mov_b32_e32 v10, 0
	v_lshlrev_b32_e32 v1, 4, v0
	v_mov_b32_e32 v6, 0
	v_mov_b32_e32 v7, 0
	;; [unrolled: 1-line block ×4, first 2 shown]
	s_waitcnt vmcnt(0)
	v_mov_b32_e32 v2, 0
	v_mov_b32_e32 v3, 0
	;; [unrolled: 1-line block ×4, first 2 shown]
	s_barrier
	s_and_saveexec_b64 s[0:1], vcc
	s_cbranch_execz .LBB475_34
; %bb.33:
	s_mul_hi_i32 s5, s26, s6
	s_mul_i32 s4, s26, s6
	s_and_b32 s29, s29, 0xffff
	s_lshl_b64 s[4:5], s[4:5], 1
	s_add_u32 s8, s10, s4
	s_mov_b32 s31, 0x20000
	s_addc_u32 s4, s11, s5
	s_and_b32 s9, s4, 0xffff
	s_mov_b32 s10, s30
	s_mov_b32 s11, s31
	buffer_load_dwordx4 v[6:9], v1, s[8:11], 0 offen glc slc
	buffer_load_dwordx4 v[2:5], v1, s[28:31], 0 offen
.LBB475_34:
	s_or_b64 exec, exec, s[0:1]
	v_mov_b32_e32 v11, 0
	v_mov_b32_e32 v16, 0
	;; [unrolled: 1-line block ×7, first 2 shown]
	s_and_saveexec_b64 s[0:1], vcc
	s_cbranch_execz .LBB475_36
; %bb.35:
	s_waitcnt vmcnt(1)
	v_cvt_f32_f16_sdwa v11, v6 dst_sel:DWORD dst_unused:UNUSED_PAD src0_sel:WORD_1
	v_cvt_f32_f16_e32 v10, v6
	v_cvt_f32_f16_sdwa v17, v7 dst_sel:DWORD dst_unused:UNUSED_PAD src0_sel:WORD_1
	v_cvt_f32_f16_e32 v16, v7
	;; [unrolled: 2-line block ×4, first 2 shown]
.LBB475_36:
	s_or_b64 exec, exec, s[0:1]
	s_waitcnt vmcnt(1)
	v_mul_f32_e32 v6, v11, v11
	v_fmac_f32_e32 v6, v10, v10
	v_fmac_f32_e32 v6, v16, v16
	;; [unrolled: 1-line block ×7, first 2 shown]
	s_nop 1
	v_mov_b32_dpp v7, v6 quad_perm:[1,0,3,2] row_mask:0xf bank_mask:0xf
	v_add_f32_e32 v6, v6, v7
	s_nop 1
	v_mov_b32_dpp v7, v6 quad_perm:[2,3,0,1] row_mask:0xf bank_mask:0xf
	v_add_f32_e32 v6, v6, v7
	s_nop 1
	v_mov_b32_dpp v7, v6 row_half_mirror row_mask:0xf bank_mask:0xf
	v_add_f32_e32 v6, v6, v7
	s_nop 1
	v_mov_b32_dpp v7, v6 row_mirror row_mask:0xf bank_mask:0xf
	v_add_f32_e32 v6, v6, v7
	s_nop 1
	v_mov_b32_dpp v7, v6 row_bcast:15 row_mask:0xf bank_mask:0xf
	v_add_f32_e32 v6, v6, v7
	s_nop 1
	v_mov_b32_dpp v7, v6 row_bcast:31 row_mask:0xf bank_mask:0xf
	s_and_saveexec_b64 s[0:1], s[2:3]
	s_cbranch_execz .LBB475_38
; %bb.37:
	v_lshrrev_b32_e32 v0, 4, v0
	v_add_f32_e32 v6, v6, v7
	v_and_b32_e32 v0, 60, v0
	ds_write_b32 v0, v6
.LBB475_38:
	s_or_b64 exec, exec, s[0:1]
	s_waitcnt lgkmcnt(0)
	s_barrier
	ds_read_b32 v0, v18
	s_waitcnt lgkmcnt(0)
	s_nop 0
	v_mov_b32_dpp v6, v0 quad_perm:[1,0,3,2] row_mask:0xf bank_mask:0xf
	v_add_f32_e32 v0, v0, v6
	s_nop 1
	v_mov_b32_dpp v6, v0 quad_perm:[2,3,0,1] row_mask:0xf bank_mask:0xf
	s_and_saveexec_b64 s[0:1], vcc
	s_cbranch_execz .LBB475_17
; %bb.39:
	v_cvt_f32_u32_e32 v7, s24
	v_add_f32_e32 v0, v0, v6
	s_mov_b32 s31, 0x20000
	v_div_scale_f32 v6, s[0:1], v7, v7, v0
	v_rcp_f32_e32 v8, v6
	v_div_scale_f32 v9, vcc, v0, v7, v0
	s_mov_b32 s0, 0x800000
	v_fma_f32 v18, -v6, v8, 1.0
	v_fmac_f32_e32 v8, v18, v8
	v_mul_f32_e32 v18, v9, v8
	v_fma_f32 v19, -v6, v18, v9
	v_fmac_f32_e32 v18, v19, v8
	v_fma_f32 v6, -v6, v18, v9
	v_div_fmas_f32 v6, v6, v8, v18
	v_div_fixup_f32 v0, v6, v7, v0
	v_add_f32_e32 v0, s21, v0
	v_mul_f32_e32 v6, 0x4b800000, v0
	v_cmp_gt_f32_e32 vcc, s0, v0
	v_cndmask_b32_e32 v0, v0, v6, vcc
	v_rsq_f32_e32 v0, v0
	s_waitcnt vmcnt(0)
	v_cvt_f32_f16_sdwa v19, v3 dst_sel:DWORD dst_unused:UNUSED_PAD src0_sel:WORD_1
	v_cvt_f32_f16_e32 v18, v3
	s_mul_hi_i32 s1, s16, s6
	v_mul_f32_e32 v6, 0x45800000, v0
	v_cndmask_b32_e32 v6, v0, v6, vcc
	v_mov_b32_e32 v7, v6
	;;#ASMSTART
	v_pk_mul_f32 v[8:9], v[10:11], v[6:7]
	;;#ASMEND
	;;#ASMSTART
	v_pk_mul_f32 v[10:11], v[16:17], v[6:7]
	;;#ASMEND
	v_cvt_f32_f16_sdwa v17, v2 dst_sel:DWORD dst_unused:UNUSED_PAD src0_sel:WORD_1
	v_cvt_f32_f16_e32 v16, v2
	;;#ASMSTART
	v_pk_mul_f32 v[14:15], v[14:15], v[6:7]
	;;#ASMEND
	;;#ASMSTART
	v_pk_mul_f32 v[2:3], v[12:13], v[6:7]
	;;#ASMEND
	v_cvt_f32_f16_sdwa v13, v4 dst_sel:DWORD dst_unused:UNUSED_PAD src0_sel:WORD_1
	v_cvt_f32_f16_e32 v12, v4
	v_pk_add_f32 v[6:7], v[16:17], 1.0 op_sel_hi:[1,0]
	v_cvt_f32_f16_sdwa v17, v5 dst_sel:DWORD dst_unused:UNUSED_PAD src0_sel:WORD_1
	v_cvt_f32_f16_e32 v16, v5
	;;#ASMSTART
	v_pk_mul_f32 v[6:7], v[8:9], v[6:7]
	;;#ASMEND
	v_pk_add_f32 v[8:9], v[18:19], 1.0 op_sel_hi:[1,0]
	;;#ASMSTART
	v_pk_mul_f32 v[4:5], v[10:11], v[8:9]
	;;#ASMEND
	v_pk_add_f32 v[8:9], v[12:13], 1.0 op_sel_hi:[1,0]
	;; [unrolled: 4-line block ×3, first 2 shown]
	;;#ASMSTART
	v_pk_mul_f32 v[2:3], v[2:3], v[10:11]
	;;#ASMEND
	s_mul_i32 s0, s16, s6
	v_cvt_f16_f32_e32 v0, v6
	v_cvt_f16_f32_e32 v6, v7
	v_cvt_f16_f32_e32 v4, v4
	v_cvt_f16_f32_e32 v5, v5
	v_cvt_f16_f32_e32 v7, v8
	v_cvt_f16_f32_e32 v8, v9
	v_cvt_f16_f32_e32 v9, v2
	v_cvt_f16_f32_e32 v10, v3
	s_lshl_b64 s[0:1], s[0:1], 1
	s_add_u32 s28, s18, s0
	s_addc_u32 s0, s19, s1
	s_and_b32 s29, s0, 0xffff
	v_pack_b32_f16 v2, v0, v6
	v_pack_b32_f16 v3, v4, v5
	;; [unrolled: 1-line block ×4, first 2 shown]
	buffer_store_dwordx4 v[2:5], v1, s[28:31], 0 offen
	;;#ASMSTART
	s_nop 0
	;;#ASMEND
	s_endpgm
	.section	.rodata,"a",@progbits
	.p2align	6, 0x0
	.amdhsa_kernel _ZN5aiter35fused_qk_rmsnorm_group_quant_kernelIDF16_N4opus5fp4_tELi256ELi8ELi16ELb1ELb1ELb1ELb0ELb0ELb0EEEvPT0_PvPT_S7_S7_PKS6_S9_S9_S9_S9_ffiiiiiiiiiiiii
		.amdhsa_group_segment_fixed_size 32
		.amdhsa_private_segment_fixed_size 0
		.amdhsa_kernarg_size 400
		.amdhsa_user_sgpr_count 6
		.amdhsa_user_sgpr_private_segment_buffer 1
		.amdhsa_user_sgpr_dispatch_ptr 0
		.amdhsa_user_sgpr_queue_ptr 0
		.amdhsa_user_sgpr_kernarg_segment_ptr 1
		.amdhsa_user_sgpr_dispatch_id 0
		.amdhsa_user_sgpr_flat_scratch_init 0
		.amdhsa_user_sgpr_kernarg_preload_length 0
		.amdhsa_user_sgpr_kernarg_preload_offset 0
		.amdhsa_user_sgpr_private_segment_size 0
		.amdhsa_uses_dynamic_stack 0
		.amdhsa_system_sgpr_private_segment_wavefront_offset 0
		.amdhsa_system_sgpr_workgroup_id_x 1
		.amdhsa_system_sgpr_workgroup_id_y 1
		.amdhsa_system_sgpr_workgroup_id_z 0
		.amdhsa_system_sgpr_workgroup_info 0
		.amdhsa_system_vgpr_workitem_id 0
		.amdhsa_next_free_vgpr 25
		.amdhsa_next_free_sgpr 44
		.amdhsa_accum_offset 28
		.amdhsa_reserve_vcc 1
		.amdhsa_reserve_flat_scratch 0
		.amdhsa_float_round_mode_32 0
		.amdhsa_float_round_mode_16_64 0
		.amdhsa_float_denorm_mode_32 3
		.amdhsa_float_denorm_mode_16_64 3
		.amdhsa_dx10_clamp 1
		.amdhsa_ieee_mode 1
		.amdhsa_fp16_overflow 0
		.amdhsa_tg_split 0
		.amdhsa_exception_fp_ieee_invalid_op 0
		.amdhsa_exception_fp_denorm_src 0
		.amdhsa_exception_fp_ieee_div_zero 0
		.amdhsa_exception_fp_ieee_overflow 0
		.amdhsa_exception_fp_ieee_underflow 0
		.amdhsa_exception_fp_ieee_inexact 0
		.amdhsa_exception_int_div_zero 0
	.end_amdhsa_kernel
	.section	.text._ZN5aiter35fused_qk_rmsnorm_group_quant_kernelIDF16_N4opus5fp4_tELi256ELi8ELi16ELb1ELb1ELb1ELb0ELb0ELb0EEEvPT0_PvPT_S7_S7_PKS6_S9_S9_S9_S9_ffiiiiiiiiiiiii,"axG",@progbits,_ZN5aiter35fused_qk_rmsnorm_group_quant_kernelIDF16_N4opus5fp4_tELi256ELi8ELi16ELb1ELb1ELb1ELb0ELb0ELb0EEEvPT0_PvPT_S7_S7_PKS6_S9_S9_S9_S9_ffiiiiiiiiiiiii,comdat
.Lfunc_end475:
	.size	_ZN5aiter35fused_qk_rmsnorm_group_quant_kernelIDF16_N4opus5fp4_tELi256ELi8ELi16ELb1ELb1ELb1ELb0ELb0ELb0EEEvPT0_PvPT_S7_S7_PKS6_S9_S9_S9_S9_ffiiiiiiiiiiiii, .Lfunc_end475-_ZN5aiter35fused_qk_rmsnorm_group_quant_kernelIDF16_N4opus5fp4_tELi256ELi8ELi16ELb1ELb1ELb1ELb0ELb0ELb0EEEvPT0_PvPT_S7_S7_PKS6_S9_S9_S9_S9_ffiiiiiiiiiiiii
                                        ; -- End function
	.section	.AMDGPU.csdata,"",@progbits
; Kernel info:
; codeLenInByte = 2900
; NumSgprs: 48
; NumVgprs: 25
; NumAgprs: 0
; TotalNumVgprs: 25
; ScratchSize: 0
; MemoryBound: 0
; FloatMode: 240
; IeeeMode: 1
; LDSByteSize: 32 bytes/workgroup (compile time only)
; SGPRBlocks: 5
; VGPRBlocks: 3
; NumSGPRsForWavesPerEU: 48
; NumVGPRsForWavesPerEU: 25
; AccumOffset: 28
; Occupancy: 8
; WaveLimiterHint : 0
; COMPUTE_PGM_RSRC2:SCRATCH_EN: 0
; COMPUTE_PGM_RSRC2:USER_SGPR: 6
; COMPUTE_PGM_RSRC2:TRAP_HANDLER: 0
; COMPUTE_PGM_RSRC2:TGID_X_EN: 1
; COMPUTE_PGM_RSRC2:TGID_Y_EN: 1
; COMPUTE_PGM_RSRC2:TGID_Z_EN: 0
; COMPUTE_PGM_RSRC2:TIDIG_COMP_CNT: 0
; COMPUTE_PGM_RSRC3_GFX90A:ACCUM_OFFSET: 6
; COMPUTE_PGM_RSRC3_GFX90A:TG_SPLIT: 0
	.section	.text._ZN5aiter35fused_qk_rmsnorm_group_quant_kernelItN4opus5fp4_tELi256ELi8ELi16ELb1ELb1ELb1ELb0ELb0ELb0EEEvPT0_PvPT_S7_S7_PKS6_S9_S9_S9_S9_ffiiiiiiiiiiiii,"axG",@progbits,_ZN5aiter35fused_qk_rmsnorm_group_quant_kernelItN4opus5fp4_tELi256ELi8ELi16ELb1ELb1ELb1ELb0ELb0ELb0EEEvPT0_PvPT_S7_S7_PKS6_S9_S9_S9_S9_ffiiiiiiiiiiiii,comdat
	.protected	_ZN5aiter35fused_qk_rmsnorm_group_quant_kernelItN4opus5fp4_tELi256ELi8ELi16ELb1ELb1ELb1ELb0ELb0ELb0EEEvPT0_PvPT_S7_S7_PKS6_S9_S9_S9_S9_ffiiiiiiiiiiiii ; -- Begin function _ZN5aiter35fused_qk_rmsnorm_group_quant_kernelItN4opus5fp4_tELi256ELi8ELi16ELb1ELb1ELb1ELb0ELb0ELb0EEEvPT0_PvPT_S7_S7_PKS6_S9_S9_S9_S9_ffiiiiiiiiiiiii
	.globl	_ZN5aiter35fused_qk_rmsnorm_group_quant_kernelItN4opus5fp4_tELi256ELi8ELi16ELb1ELb1ELb1ELb0ELb0ELb0EEEvPT0_PvPT_S7_S7_PKS6_S9_S9_S9_S9_ffiiiiiiiiiiiii
	.p2align	8
	.type	_ZN5aiter35fused_qk_rmsnorm_group_quant_kernelItN4opus5fp4_tELi256ELi8ELi16ELb1ELb1ELb1ELb0ELb0ELb0EEEvPT0_PvPT_S7_S7_PKS6_S9_S9_S9_S9_ffiiiiiiiiiiiii,@function
_ZN5aiter35fused_qk_rmsnorm_group_quant_kernelItN4opus5fp4_tELi256ELi8ELi16ELb1ELb1ELb1ELb0ELb0ELb0EEEvPT0_PvPT_S7_S7_PKS6_S9_S9_S9_S9_ffiiiiiiiiiiiii: ; @_ZN5aiter35fused_qk_rmsnorm_group_quant_kernelItN4opus5fp4_tELi256ELi8ELi16ELb1ELb1ELb1ELb0ELb0ELb0EEEvPT0_PvPT_S7_S7_PKS6_S9_S9_S9_S9_ffiiiiiiiiiiiii
; %bb.0:
	s_load_dwordx8 s[20:27], s[4:5], 0x50
	s_waitcnt lgkmcnt(0)
	s_cmp_ge_i32 s6, s22
	s_cbranch_scc1 .LBB476_17
; %bb.1:
	s_cmp_lg_u32 s7, 0
	s_cselect_b64 s[30:31], -1, 0
	s_cmp_eq_u32 s7, 0
	s_cselect_b64 s[8:9], -1, 0
	s_and_b64 s[0:1], s[8:9], exec
	s_load_dwordx2 s[28:29], s[4:5], 0x48
	s_load_dwordx2 s[10:11], s[4:5], 0x30
	s_load_dwordx8 s[12:19], s[4:5], 0x70
	s_cselect_b32 s7, s23, s24
	s_add_i32 s0, s7, 1
	s_lshr_b32 s1, s0, 31
	s_add_i32 s0, s0, s1
	s_lshl_b32 s0, s0, 1
	v_lshlrev_b32_e32 v1, 3, v0
	s_and_b32 s38, s0, -4
	v_cmp_gt_i32_e64 s[0:1], s7, v1
	v_mov_b32_e32 v10, 0
	v_mov_b32_e32 v11, 0
	;; [unrolled: 1-line block ×8, first 2 shown]
	s_and_saveexec_b64 s[2:3], s[0:1]
	s_cbranch_execz .LBB476_3
; %bb.2:
	s_waitcnt lgkmcnt(0)
	s_load_dwordx2 s[18:19], s[4:5], 0x28
	s_load_dwordx2 s[34:35], s[4:5], 0x40
	s_and_b64 s[36:37], s[8:9], exec
	s_cselect_b32 s22, s25, s26
	s_mov_b32 s39, 0x20000
	s_waitcnt lgkmcnt(0)
	s_cselect_b32 s25, s19, s11
	s_cselect_b32 s33, s18, s10
	s_mul_hi_i32 s19, s22, s6
	s_mul_i32 s18, s22, s6
	s_lshl_b64 s[18:19], s[18:19], 1
	s_add_u32 s40, s33, s18
	s_addc_u32 s22, s25, s19
	s_and_b64 s[18:19], s[8:9], exec
	s_cselect_b32 s36, s34, s28
	s_cselect_b32 s18, s35, s29
	v_lshlrev_b32_e32 v2, 4, v0
	s_and_b32 s41, s22, 0xffff
	s_mov_b32 s42, s38
	s_mov_b32 s43, s39
	s_and_b32 s37, s18, 0xffff
	buffer_load_dwordx4 v[14:17], v2, s[40:43], 0 offen glc slc
	buffer_load_dwordx4 v[10:13], v2, s[36:39], 0 offen
.LBB476_3:
	s_or_b64 exec, exec, s[2:3]
	s_and_b64 vcc, exec, s[30:31]
	s_cbranch_vccz .LBB476_7
; %bb.4:
	s_mov_b32 s40, 0
	s_mov_b32 s41, s40
	;; [unrolled: 1-line block ×8, first 2 shown]
	v_pk_mov_b32 v[2:3], s[40:41], s[40:41] op_sel:[0,1]
	v_pk_mov_b32 v[4:5], s[42:43], s[42:43] op_sel:[0,1]
	;; [unrolled: 1-line block ×4, first 2 shown]
	s_and_saveexec_b64 s[2:3], s[0:1]
	s_cbranch_execz .LBB476_6
; %bb.5:
	s_waitcnt vmcnt(1)
	v_cvt_f32_u32_sdwa v3, v14 dst_sel:DWORD dst_unused:UNUSED_PAD src0_sel:WORD_1
	v_cvt_f32_u32_sdwa v2, v14 dst_sel:DWORD dst_unused:UNUSED_PAD src0_sel:WORD_0
	v_cvt_f32_u32_sdwa v5, v15 dst_sel:DWORD dst_unused:UNUSED_PAD src0_sel:WORD_1
	v_cvt_f32_u32_sdwa v4, v15 dst_sel:DWORD dst_unused:UNUSED_PAD src0_sel:WORD_0
	;; [unrolled: 2-line block ×4, first 2 shown]
.LBB476_6:
	s_or_b64 exec, exec, s[2:3]
	s_cbranch_execz .LBB476_8
	s_branch .LBB476_11
.LBB476_7:
                                        ; implicit-def: $vgpr2_vgpr3_vgpr4_vgpr5_vgpr6_vgpr7_vgpr8_vgpr9
.LBB476_8:
	s_mov_b32 s40, 0
	s_mov_b32 s41, s40
	;; [unrolled: 1-line block ×8, first 2 shown]
	v_pk_mov_b32 v[2:3], s[40:41], s[40:41] op_sel:[0,1]
	v_pk_mov_b32 v[4:5], s[42:43], s[42:43] op_sel:[0,1]
	;; [unrolled: 1-line block ×4, first 2 shown]
	s_and_saveexec_b64 s[2:3], s[0:1]
	s_cbranch_execz .LBB476_10
; %bb.9:
	s_waitcnt lgkmcnt(0)
	s_load_dwordx2 s[18:19], s[4:5], 0x38
	s_mul_hi_i32 s35, s27, s6
	s_mul_i32 s34, s27, s6
	s_lshl_b64 s[34:35], s[34:35], 1
	s_mov_b32 s39, 0x20000
	s_waitcnt lgkmcnt(0)
	s_add_u32 s36, s18, s34
	s_addc_u32 s18, s19, s35
	s_and_b32 s37, s18, 0xffff
	v_lshlrev_b32_e32 v26, 4, v0
	buffer_load_dwordx4 v[2:5], v26, s[36:39], 0 offen glc slc
	s_load_dwordx2 s[18:19], s[4:5], 0x20
	s_waitcnt vmcnt(2)
	v_cvt_f32_u32_sdwa v7, v14 dst_sel:DWORD dst_unused:UNUSED_PAD src0_sel:WORD_1
	v_cvt_f32_u32_sdwa v6, v14 dst_sel:DWORD dst_unused:UNUSED_PAD src0_sel:WORD_0
	v_cvt_f32_u32_sdwa v9, v15 dst_sel:DWORD dst_unused:UNUSED_PAD src0_sel:WORD_1
	v_cvt_f32_u32_sdwa v8, v15 dst_sel:DWORD dst_unused:UNUSED_PAD src0_sel:WORD_0
	;; [unrolled: 2-line block ×4, first 2 shown]
	s_mul_hi_i32 s35, s17, s6
	s_mul_i32 s34, s17, s6
	s_lshl_b64 s[34:35], s[34:35], 1
	s_waitcnt lgkmcnt(0)
	s_add_u32 s36, s18, s34
	s_mov_b32 s17, 0x7060302
	s_addc_u32 s18, s19, s35
	s_and_b32 s37, s18, 0xffff
	s_waitcnt vmcnt(0)
	v_cvt_f32_u32_sdwa v17, v2 dst_sel:DWORD dst_unused:UNUSED_PAD src0_sel:WORD_1
	v_cvt_f32_u32_sdwa v16, v2 dst_sel:DWORD dst_unused:UNUSED_PAD src0_sel:WORD_0
	v_cvt_f32_u32_sdwa v21, v3 dst_sel:DWORD dst_unused:UNUSED_PAD src0_sel:WORD_1
	v_cvt_f32_u32_sdwa v20, v3 dst_sel:DWORD dst_unused:UNUSED_PAD src0_sel:WORD_0
	;; [unrolled: 2-line block ×4, first 2 shown]
	v_pk_add_f32 v[2:3], v[6:7], v[16:17]
	v_pk_add_f32 v[4:5], v[8:9], v[20:21]
	;; [unrolled: 1-line block ×4, first 2 shown]
	v_perm_b32 v17, v9, v8, s17
	v_perm_b32 v16, v7, v6, s17
	;; [unrolled: 1-line block ×4, first 2 shown]
	buffer_store_dwordx4 v[14:17], v26, s[36:39], 0 offen glc slc
	;;#ASMSTART
	s_nop 0
	;;#ASMEND
.LBB476_10:
	s_or_b64 exec, exec, s[2:3]
.LBB476_11:
	s_waitcnt vmcnt(1)
	v_mul_f32_e32 v14, v3, v3
	v_fmac_f32_e32 v14, v2, v2
	v_fmac_f32_e32 v14, v4, v4
	;; [unrolled: 1-line block ×7, first 2 shown]
	v_and_b32_e32 v16, 63, v0
	v_cmp_eq_u32_e64 s[2:3], 63, v16
	v_mov_b32_dpp v15, v14 quad_perm:[1,0,3,2] row_mask:0xf bank_mask:0xf
	v_add_f32_e32 v14, v14, v15
	s_nop 1
	v_mov_b32_dpp v15, v14 quad_perm:[2,3,0,1] row_mask:0xf bank_mask:0xf
	v_add_f32_e32 v14, v14, v15
	s_nop 1
	v_mov_b32_dpp v15, v14 row_half_mirror row_mask:0xf bank_mask:0xf
	v_add_f32_e32 v14, v14, v15
	s_nop 1
	v_mov_b32_dpp v15, v14 row_mirror row_mask:0xf bank_mask:0xf
	v_add_f32_e32 v14, v14, v15
	s_nop 1
	v_mov_b32_dpp v15, v14 row_bcast:15 row_mask:0xf bank_mask:0xf
	v_add_f32_e32 v14, v14, v15
	s_nop 1
	v_mov_b32_dpp v15, v14 row_bcast:31 row_mask:0xf bank_mask:0xf
	s_waitcnt lgkmcnt(0)
	s_and_saveexec_b64 s[18:19], s[2:3]
	s_cbranch_execz .LBB476_13
; %bb.12:
	v_add_f32_e32 v14, v14, v15
	v_lshrrev_b32_e32 v15, 4, v0
	v_and_b32_e32 v15, 60, v15
	ds_write_b32 v15, v14 offset:16
.LBB476_13:
	s_or_b64 exec, exec, s[18:19]
	v_and_b32_e32 v14, 3, v0
	v_lshlrev_b32_e32 v14, 2, v14
	s_waitcnt lgkmcnt(0)
	s_barrier
	ds_read_b32 v15, v14 offset:16
	s_load_dwordx2 s[18:19], s[4:5], 0x18
	s_waitcnt lgkmcnt(0)
	v_mov_b32_dpp v16, v15 quad_perm:[1,0,3,2] row_mask:0xf bank_mask:0xf
	v_add_f32_e32 v15, v15, v16
	s_nop 1
	v_mov_b32_dpp v16, v15 quad_perm:[2,3,0,1] row_mask:0xf bank_mask:0xf
	s_and_saveexec_b64 s[34:35], s[0:1]
	s_cbranch_execnz .LBB476_18
; %bb.14:
	s_or_b64 exec, exec, s[34:35]
	s_mov_b64 s[8:9], -1
	s_and_b64 vcc, exec, s[30:31]
	s_cbranch_vccnz .LBB476_19
.LBB476_15:
	s_andn2_b64 vcc, exec, s[8:9]
	s_cbranch_vccz .LBB476_22
.LBB476_16:
	s_cmp_lt_i32 s24, 1
	s_cbranch_scc0 .LBB476_31
.LBB476_17:
	s_endpgm
.LBB476_18:
	v_cvt_f32_u32_e32 v17, s7
	v_add_f32_e32 v15, v15, v16
	v_mov_b32_e32 v19, s21
	v_mov_b32_e32 v20, s20
	v_div_scale_f32 v16, s[36:37], v17, v17, v15
	v_rcp_f32_e32 v18, v16
	v_cndmask_b32_e64 v19, v19, v20, s[8:9]
	s_mov_b32 s7, 0x800000
	v_fma_f32 v20, -v16, v18, 1.0
	v_fmac_f32_e32 v18, v20, v18
	v_div_scale_f32 v20, vcc, v15, v17, v15
	v_mul_f32_e32 v21, v20, v18
	v_fma_f32 v22, -v16, v21, v20
	v_fmac_f32_e32 v21, v22, v18
	v_fma_f32 v16, -v16, v21, v20
	v_div_fmas_f32 v16, v16, v18, v21
	v_div_fixup_f32 v15, v16, v17, v15
	v_add_f32_e32 v15, v19, v15
	v_mul_f32_e32 v16, 0x4b800000, v15
	v_cmp_gt_f32_e32 vcc, s7, v15
	v_cndmask_b32_e32 v15, v15, v16, vcc
	v_rsq_f32_e32 v15, v15
	s_waitcnt vmcnt(0)
	v_cvt_f32_u32_sdwa v19, v10 dst_sel:DWORD dst_unused:UNUSED_PAD src0_sel:WORD_1
	v_cvt_f32_u32_sdwa v18, v10 dst_sel:DWORD dst_unused:UNUSED_PAD src0_sel:WORD_0
	v_cvt_f32_u32_sdwa v21, v11 dst_sel:DWORD dst_unused:UNUSED_PAD src0_sel:WORD_1
	v_mul_f32_e32 v16, 0x45800000, v15
	v_cndmask_b32_e32 v16, v15, v16, vcc
	v_mov_b32_e32 v17, v16
	v_cvt_f32_u32_sdwa v20, v11 dst_sel:DWORD dst_unused:UNUSED_PAD src0_sel:WORD_0
	;;#ASMSTART
	v_pk_mul_f32 v[2:3], v[2:3], v[16:17]
	;;#ASMEND
	;;#ASMSTART
	v_pk_mul_f32 v[4:5], v[4:5], v[16:17]
	;;#ASMEND
	;; [unrolled: 3-line block ×4, first 2 shown]
	v_cvt_f32_u32_sdwa v17, v12 dst_sel:DWORD dst_unused:UNUSED_PAD src0_sel:WORD_1
	v_cvt_f32_u32_sdwa v16, v12 dst_sel:DWORD dst_unused:UNUSED_PAD src0_sel:WORD_0
	v_pk_add_f32 v[10:11], v[18:19], 1.0 op_sel_hi:[1,0]
	v_cvt_f32_u32_sdwa v19, v13 dst_sel:DWORD dst_unused:UNUSED_PAD src0_sel:WORD_1
	v_cvt_f32_u32_sdwa v18, v13 dst_sel:DWORD dst_unused:UNUSED_PAD src0_sel:WORD_0
	;;#ASMSTART
	v_pk_mul_f32 v[2:3], v[2:3], v[10:11]
	;;#ASMEND
	v_pk_add_f32 v[10:11], v[20:21], 1.0 op_sel_hi:[1,0]
	;;#ASMSTART
	v_pk_mul_f32 v[4:5], v[4:5], v[10:11]
	;;#ASMEND
	v_pk_add_f32 v[10:11], v[16:17], 1.0 op_sel_hi:[1,0]
	;; [unrolled: 4-line block ×3, first 2 shown]
	;;#ASMSTART
	v_pk_mul_f32 v[8:9], v[8:9], v[10:11]
	;;#ASMEND
	s_or_b64 exec, exec, s[34:35]
	s_mov_b64 s[8:9], -1
	s_and_b64 vcc, exec, s[30:31]
	s_cbranch_vccz .LBB476_15
.LBB476_19:
	s_and_saveexec_b64 s[8:9], s[0:1]
	s_cbranch_execz .LBB476_21
; %bb.20:
	s_mul_hi_i32 s31, s16, s6
	s_mul_i32 s30, s16, s6
	s_lshl_b64 s[30:31], s[30:31], 1
	s_add_u32 s36, s18, s30
	s_addc_u32 s7, s19, s31
	s_and_b32 s37, s7, 0xffff
	s_mov_b32 s7, 0x7060302
	s_mov_b32 s39, 0x20000
	s_waitcnt vmcnt(0)
	v_perm_b32 v10, v3, v2, s7
	v_perm_b32 v11, v5, v4, s7
	;; [unrolled: 1-line block ×4, first 2 shown]
	v_lshlrev_b32_e32 v15, 4, v0
	buffer_store_dwordx4 v[10:13], v15, s[36:39], 0 offen
	;;#ASMSTART
	s_nop 0
	;;#ASMEND
.LBB476_21:
	s_or_b64 exec, exec, s[8:9]
	s_cbranch_execnz .LBB476_16
.LBB476_22:
	s_waitcnt vmcnt(0)
	v_mov_b32_e32 v10, 0
	s_and_saveexec_b64 s[8:9], s[0:1]
	s_cbranch_execz .LBB476_24
; %bb.23:
	s_load_dwordx2 s[30:31], s[4:5], 0x10
	s_mul_hi_i32 s35, s15, s6
	s_mul_i32 s34, s15, s6
	s_lshl_b64 s[34:35], s[34:35], 1
	s_mov_b32 s39, 0x20000
	s_waitcnt lgkmcnt(0)
	s_add_u32 s36, s30, s34
	s_addc_u32 s7, s31, s35
	s_and_b32 s37, s7, 0xffff
	s_mov_b32 s7, 0x7060302
	v_perm_b32 v10, v3, v2, s7
	v_perm_b32 v11, v5, v4, s7
	;; [unrolled: 1-line block ×4, first 2 shown]
	v_lshlrev_b32_e32 v15, 4, v0
	buffer_store_dwordx4 v[10:13], v15, s[36:39], 0 offen
	;;#ASMSTART
	s_nop 0
	;;#ASMEND
	s_nop 0
	v_mov_b32_e32 v10, 0x2edbe6ff
.LBB476_24:
	s_or_b64 exec, exec, s[8:9]
	s_and_saveexec_b64 s[8:9], s[0:1]
	s_cbranch_execz .LBB476_26
; %bb.25:
	v_and_b32_e32 v2, 0x7fffffff, v2
	v_and_b32_e32 v3, 0x7fffffff, v3
	;;#ASMSTART
	v_max3_f32 v2, v10, v2, v3

	;;#ASMEND
	v_and_b32_e32 v3, 0x7fffffff, v4
	v_and_b32_e32 v4, 0x7fffffff, v5
	;;#ASMSTART
	v_max3_f32 v2, v2, v3, v4

	;;#ASMEND
	;; [unrolled: 6-line block ×4, first 2 shown]
.LBB476_26:
	s_or_b64 exec, exec, s[8:9]
	;;#ASMSTART
	v_max_f32 v2, v10, v10 quad_perm:[1,0,3,2] row_mask:0xf bank_mask:0xf bound_ctrl:1
	;;#ASMEND
	;;#ASMSTART
	v_max_f32 v3, v2, v2 quad_perm:[2,3,0,1] row_mask:0xf bank_mask:0xf bound_ctrl:1
	;;#ASMEND
	;;#ASMSTART
	v_max_f32 v4, v3, v3 row_half_mirror row_mask:0xf bank_mask:0xf bound_ctrl:1
	;;#ASMEND
	v_and_b32_e32 v3, 15, v0
	v_cmp_eq_u32_e32 vcc, 0, v3
	v_cmp_gt_i32_e64 s[8:9], s23, v1
	s_and_b64 s[30:31], vcc, s[8:9]
	;;#ASMSTART
	v_max_f32 v2, v4, v4 row_mirror row_mask:0xf bank_mask:0xf bound_ctrl:1
	;;#ASMEND
	s_and_saveexec_b64 s[8:9], s[30:31]
	s_cbranch_execz .LBB476_28
; %bb.27:
	s_load_dwordx2 s[30:31], s[4:5], 0x8
	v_mul_f32_e32 v2, 0x3e2aaaab, v2
	v_lshrrev_b32_e32 v3, 23, v2
	v_and_b32_e32 v4, 0x7f800000, v2
	v_and_b32_e32 v2, 0x7fffff, v2
	v_cmp_ne_u32_e32 vcc, 0, v2
	s_mul_hi_i32 s15, s13, s6
	s_mul_i32 s13, s13, s6
	s_mov_b32 s7, 0x7f800000
	v_addc_co_u32_e32 v2, vcc, 0, v3, vcc
	s_waitcnt lgkmcnt(0)
	s_add_u32 s30, s30, s13
	v_cmp_ne_u32_e32 vcc, s7, v4
	s_addc_u32 s31, s31, s15
	v_lshrrev_b32_e32 v5, 4, v0
	v_cndmask_b32_e32 v4, -1, v2, vcc
	v_pk_mov_b32 v[2:3], s[30:31], s[30:31] op_sel:[0,1]
	v_mad_i64_i32 v[2:3], s[14:15], s14, v5, v[2:3]
	global_store_byte v[2:3], v4, off
.LBB476_28:
	s_or_b64 exec, exec, s[8:9]
	s_and_saveexec_b64 s[8:9], s[0:1]
	s_cbranch_execz .LBB476_30
; %bb.29:
	s_load_dwordx2 s[0:1], s[4:5], 0x0
	s_mul_hi_i32 s7, s12, s6
	s_mul_i32 s12, s12, s6
	v_lshlrev_b32_e32 v2, 2, v0
	s_mov_b32 s15, 0x20000
	s_waitcnt lgkmcnt(0)
	s_add_u32 s12, s0, s12
	s_addc_u32 s0, s1, s7
	s_lshr_b32 s1, s23, 31
	s_add_i32 s1, s23, s1
	s_ashr_i32 s1, s1, 1
	s_add_i32 s1, s1, 3
	s_ashr_i32 s7, s1, 31
	s_lshr_b32 s7, s7, 30
	s_add_i32 s1, s1, s7
	s_and_b32 s14, s1, -4
	s_and_b32 s13, s0, 0xffff
	v_mov_b32_e32 v3, 0
	buffer_store_dword v3, v2, s[12:15], 0 offen
	;;#ASMSTART
	s_nop 0
	;;#ASMEND
.LBB476_30:
	s_or_b64 exec, exec, s[8:9]
	s_cmp_lt_i32 s24, 1
	s_cbranch_scc1 .LBB476_17
.LBB476_31:
	s_load_dword s0, s[4:5], 0x94
	s_waitcnt lgkmcnt(0)
	s_cmp_lg_u32 s0, 1
	s_cbranch_scc1 .LBB476_17
; %bb.32:
	s_lshl_b32 s0, s24, 1
	s_add_i32 s0, s0, 2
	v_cmp_gt_u32_e32 vcc, s24, v1
	s_and_b32 s30, s0, -4
	v_mov_b32_e32 v6, 0
	v_lshlrev_b32_e32 v1, 4, v0
	v_mov_b32_e32 v7, 0
	v_mov_b32_e32 v8, 0
	;; [unrolled: 1-line block ×7, first 2 shown]
	s_barrier
	s_and_saveexec_b64 s[0:1], vcc
	s_cbranch_execz .LBB476_34
; %bb.33:
	s_mul_hi_i32 s5, s26, s6
	s_mul_i32 s4, s26, s6
	s_and_b32 s29, s29, 0xffff
	s_lshl_b64 s[4:5], s[4:5], 1
	s_add_u32 s8, s10, s4
	s_mov_b32 s31, 0x20000
	s_addc_u32 s4, s11, s5
	s_and_b32 s9, s4, 0xffff
	s_mov_b32 s10, s30
	s_mov_b32 s11, s31
	buffer_load_dwordx4 v[6:9], v1, s[8:11], 0 offen glc slc
	buffer_load_dwordx4 v[2:5], v1, s[28:31], 0 offen
.LBB476_34:
	s_or_b64 exec, exec, s[0:1]
	s_waitcnt vmcnt(0)
	v_cvt_f32_u32_sdwa v13, v6 dst_sel:DWORD dst_unused:UNUSED_PAD src0_sel:WORD_1
	v_cvt_f32_u32_sdwa v12, v6 dst_sel:DWORD dst_unused:UNUSED_PAD src0_sel:WORD_0
	v_cvt_f32_u32_sdwa v6, v9 dst_sel:DWORD dst_unused:UNUSED_PAD src0_sel:WORD_1
	v_cvt_f32_u32_sdwa v9, v9 dst_sel:DWORD dst_unused:UNUSED_PAD src0_sel:WORD_0
	;; [unrolled: 2-line block ×4, first 2 shown]
	v_cndmask_b32_e32 v13, 0, v13, vcc
	v_cndmask_b32_e32 v7, 0, v6, vcc
	;; [unrolled: 1-line block ×5, first 2 shown]
	v_mul_f32_e32 v15, v13, v13
	v_cndmask_b32_e32 v10, 0, v10, vcc
	v_fmac_f32_e32 v15, v12, v12
	v_cndmask_b32_e32 v11, 0, v11, vcc
	v_fmac_f32_e32 v15, v10, v10
	;; [unrolled: 2-line block ×3, first 2 shown]
	v_fmac_f32_e32 v15, v8, v8
	v_fmac_f32_e32 v15, v9, v9
	;; [unrolled: 1-line block ×4, first 2 shown]
	s_nop 1
	v_mov_b32_dpp v16, v15 quad_perm:[1,0,3,2] row_mask:0xf bank_mask:0xf
	v_add_f32_e32 v15, v15, v16
	s_nop 1
	v_mov_b32_dpp v16, v15 quad_perm:[2,3,0,1] row_mask:0xf bank_mask:0xf
	v_add_f32_e32 v15, v15, v16
	s_nop 1
	v_mov_b32_dpp v16, v15 row_half_mirror row_mask:0xf bank_mask:0xf
	v_add_f32_e32 v15, v15, v16
	s_nop 1
	v_mov_b32_dpp v16, v15 row_mirror row_mask:0xf bank_mask:0xf
	v_add_f32_e32 v15, v15, v16
	s_nop 1
	v_mov_b32_dpp v16, v15 row_bcast:15 row_mask:0xf bank_mask:0xf
	v_add_f32_e32 v15, v15, v16
	s_nop 1
	v_mov_b32_dpp v16, v15 row_bcast:31 row_mask:0xf bank_mask:0xf
	s_and_saveexec_b64 s[0:1], s[2:3]
	s_cbranch_execz .LBB476_36
; %bb.35:
	v_lshrrev_b32_e32 v0, 4, v0
	v_add_f32_e32 v15, v15, v16
	v_and_b32_e32 v0, 60, v0
	ds_write_b32 v0, v15
.LBB476_36:
	s_or_b64 exec, exec, s[0:1]
	s_waitcnt lgkmcnt(0)
	s_barrier
	ds_read_b32 v0, v14
	s_waitcnt lgkmcnt(0)
	s_nop 0
	v_mov_b32_dpp v14, v0 quad_perm:[1,0,3,2] row_mask:0xf bank_mask:0xf
	v_add_f32_e32 v0, v0, v14
	s_nop 1
	v_mov_b32_dpp v14, v0 quad_perm:[2,3,0,1] row_mask:0xf bank_mask:0xf
	s_and_saveexec_b64 s[0:1], vcc
	s_cbranch_execz .LBB476_17
; %bb.37:
	v_cvt_f32_u32_e32 v15, s24
	v_add_f32_e32 v0, v0, v14
	s_mov_b32 s31, 0x20000
	v_div_scale_f32 v14, s[0:1], v15, v15, v0
	v_rcp_f32_e32 v16, v14
	v_div_scale_f32 v17, vcc, v0, v15, v0
	s_mov_b32 s0, 0x800000
	v_fma_f32 v18, -v14, v16, 1.0
	v_fmac_f32_e32 v16, v18, v16
	v_mul_f32_e32 v18, v17, v16
	v_fma_f32 v19, -v14, v18, v17
	v_fmac_f32_e32 v18, v19, v16
	v_fma_f32 v14, -v14, v18, v17
	v_div_fmas_f32 v14, v14, v16, v18
	v_div_fixup_f32 v0, v14, v15, v0
	v_add_f32_e32 v0, s21, v0
	v_mul_f32_e32 v14, 0x4b800000, v0
	v_cmp_gt_f32_e32 vcc, s0, v0
	v_cndmask_b32_e32 v0, v0, v14, vcc
	v_rsq_f32_e32 v0, v0
	v_cvt_f32_u32_sdwa v17, v2 dst_sel:DWORD dst_unused:UNUSED_PAD src0_sel:WORD_1
	v_cvt_f32_u32_sdwa v16, v2 dst_sel:DWORD dst_unused:UNUSED_PAD src0_sel:WORD_0
	v_cvt_f32_u32_sdwa v19, v3 dst_sel:DWORD dst_unused:UNUSED_PAD src0_sel:WORD_1
	v_mul_f32_e32 v14, 0x45800000, v0
	v_cndmask_b32_e32 v14, v0, v14, vcc
	v_mov_b32_e32 v15, v14
	;;#ASMSTART
	v_pk_mul_f32 v[12:13], v[12:13], v[14:15]
	;;#ASMEND
	;;#ASMSTART
	v_pk_mul_f32 v[10:11], v[10:11], v[14:15]
	;;#ASMEND
	;; [unrolled: 3-line block ×3, first 2 shown]
	v_cvt_f32_u32_sdwa v18, v3 dst_sel:DWORD dst_unused:UNUSED_PAD src0_sel:WORD_0
	;;#ASMSTART
	v_pk_mul_f32 v[2:3], v[6:7], v[14:15]
	;;#ASMEND
	v_cvt_f32_u32_sdwa v15, v4 dst_sel:DWORD dst_unused:UNUSED_PAD src0_sel:WORD_1
	v_cvt_f32_u32_sdwa v14, v4 dst_sel:DWORD dst_unused:UNUSED_PAD src0_sel:WORD_0
	v_pk_add_f32 v[6:7], v[16:17], 1.0 op_sel_hi:[1,0]
	v_cvt_f32_u32_sdwa v17, v5 dst_sel:DWORD dst_unused:UNUSED_PAD src0_sel:WORD_1
	v_cvt_f32_u32_sdwa v16, v5 dst_sel:DWORD dst_unused:UNUSED_PAD src0_sel:WORD_0
	s_mul_hi_i32 s1, s16, s6
	s_mul_i32 s0, s16, s6
	s_lshl_b64 s[0:1], s[0:1], 1
	s_add_u32 s28, s18, s0
	;;#ASMSTART
	v_pk_mul_f32 v[6:7], v[12:13], v[6:7]
	;;#ASMEND
	v_pk_add_f32 v[12:13], v[18:19], 1.0 op_sel_hi:[1,0]
	;;#ASMSTART
	v_pk_mul_f32 v[4:5], v[10:11], v[12:13]
	;;#ASMEND
	v_pk_add_f32 v[10:11], v[14:15], 1.0 op_sel_hi:[1,0]
	s_addc_u32 s0, s19, s1
	;;#ASMSTART
	v_pk_mul_f32 v[8:9], v[8:9], v[10:11]
	;;#ASMEND
	v_pk_add_f32 v[10:11], v[16:17], 1.0 op_sel_hi:[1,0]
	s_and_b32 s29, s0, 0xffff
	s_mov_b32 s0, 0x7060302
	;;#ASMSTART
	v_pk_mul_f32 v[10:11], v[2:3], v[10:11]
	;;#ASMEND
	v_perm_b32 v2, v7, v6, s0
	v_perm_b32 v3, v5, v4, s0
	;; [unrolled: 1-line block ×4, first 2 shown]
	buffer_store_dwordx4 v[2:5], v1, s[28:31], 0 offen
	;;#ASMSTART
	s_nop 0
	;;#ASMEND
	s_endpgm
	.section	.rodata,"a",@progbits
	.p2align	6, 0x0
	.amdhsa_kernel _ZN5aiter35fused_qk_rmsnorm_group_quant_kernelItN4opus5fp4_tELi256ELi8ELi16ELb1ELb1ELb1ELb0ELb0ELb0EEEvPT0_PvPT_S7_S7_PKS6_S9_S9_S9_S9_ffiiiiiiiiiiiii
		.amdhsa_group_segment_fixed_size 32
		.amdhsa_private_segment_fixed_size 0
		.amdhsa_kernarg_size 400
		.amdhsa_user_sgpr_count 6
		.amdhsa_user_sgpr_private_segment_buffer 1
		.amdhsa_user_sgpr_dispatch_ptr 0
		.amdhsa_user_sgpr_queue_ptr 0
		.amdhsa_user_sgpr_kernarg_segment_ptr 1
		.amdhsa_user_sgpr_dispatch_id 0
		.amdhsa_user_sgpr_flat_scratch_init 0
		.amdhsa_user_sgpr_kernarg_preload_length 0
		.amdhsa_user_sgpr_kernarg_preload_offset 0
		.amdhsa_user_sgpr_private_segment_size 0
		.amdhsa_uses_dynamic_stack 0
		.amdhsa_system_sgpr_private_segment_wavefront_offset 0
		.amdhsa_system_sgpr_workgroup_id_x 1
		.amdhsa_system_sgpr_workgroup_id_y 1
		.amdhsa_system_sgpr_workgroup_id_z 0
		.amdhsa_system_sgpr_workgroup_info 0
		.amdhsa_system_vgpr_workitem_id 0
		.amdhsa_next_free_vgpr 27
		.amdhsa_next_free_sgpr 48
		.amdhsa_accum_offset 28
		.amdhsa_reserve_vcc 1
		.amdhsa_reserve_flat_scratch 0
		.amdhsa_float_round_mode_32 0
		.amdhsa_float_round_mode_16_64 0
		.amdhsa_float_denorm_mode_32 3
		.amdhsa_float_denorm_mode_16_64 3
		.amdhsa_dx10_clamp 1
		.amdhsa_ieee_mode 1
		.amdhsa_fp16_overflow 0
		.amdhsa_tg_split 0
		.amdhsa_exception_fp_ieee_invalid_op 0
		.amdhsa_exception_fp_denorm_src 0
		.amdhsa_exception_fp_ieee_div_zero 0
		.amdhsa_exception_fp_ieee_overflow 0
		.amdhsa_exception_fp_ieee_underflow 0
		.amdhsa_exception_fp_ieee_inexact 0
		.amdhsa_exception_int_div_zero 0
	.end_amdhsa_kernel
	.section	.text._ZN5aiter35fused_qk_rmsnorm_group_quant_kernelItN4opus5fp4_tELi256ELi8ELi16ELb1ELb1ELb1ELb0ELb0ELb0EEEvPT0_PvPT_S7_S7_PKS6_S9_S9_S9_S9_ffiiiiiiiiiiiii,"axG",@progbits,_ZN5aiter35fused_qk_rmsnorm_group_quant_kernelItN4opus5fp4_tELi256ELi8ELi16ELb1ELb1ELb1ELb0ELb0ELb0EEEvPT0_PvPT_S7_S7_PKS6_S9_S9_S9_S9_ffiiiiiiiiiiiii,comdat
.Lfunc_end476:
	.size	_ZN5aiter35fused_qk_rmsnorm_group_quant_kernelItN4opus5fp4_tELi256ELi8ELi16ELb1ELb1ELb1ELb0ELb0ELb0EEEvPT0_PvPT_S7_S7_PKS6_S9_S9_S9_S9_ffiiiiiiiiiiiii, .Lfunc_end476-_ZN5aiter35fused_qk_rmsnorm_group_quant_kernelItN4opus5fp4_tELi256ELi8ELi16ELb1ELb1ELb1ELb0ELb0ELb0EEEvPT0_PvPT_S7_S7_PKS6_S9_S9_S9_S9_ffiiiiiiiiiiiii
                                        ; -- End function
	.section	.AMDGPU.csdata,"",@progbits
; Kernel info:
; codeLenInByte = 2940
; NumSgprs: 52
; NumVgprs: 27
; NumAgprs: 0
; TotalNumVgprs: 27
; ScratchSize: 0
; MemoryBound: 0
; FloatMode: 240
; IeeeMode: 1
; LDSByteSize: 32 bytes/workgroup (compile time only)
; SGPRBlocks: 6
; VGPRBlocks: 3
; NumSGPRsForWavesPerEU: 52
; NumVGPRsForWavesPerEU: 27
; AccumOffset: 28
; Occupancy: 8
; WaveLimiterHint : 0
; COMPUTE_PGM_RSRC2:SCRATCH_EN: 0
; COMPUTE_PGM_RSRC2:USER_SGPR: 6
; COMPUTE_PGM_RSRC2:TRAP_HANDLER: 0
; COMPUTE_PGM_RSRC2:TGID_X_EN: 1
; COMPUTE_PGM_RSRC2:TGID_Y_EN: 1
; COMPUTE_PGM_RSRC2:TGID_Z_EN: 0
; COMPUTE_PGM_RSRC2:TIDIG_COMP_CNT: 0
; COMPUTE_PGM_RSRC3_GFX90A:ACCUM_OFFSET: 6
; COMPUTE_PGM_RSRC3_GFX90A:TG_SPLIT: 0
	.section	.text._ZN5aiter35fused_qk_rmsnorm_group_quant_kernelIDF16_DB8_Li256ELi8ELi16ELb1ELb1ELb0ELb0ELb0ELb0EEEvPT0_PvPT_S6_S6_PKS5_S8_S8_S8_S8_ffiiiiiiiiiiiii,"axG",@progbits,_ZN5aiter35fused_qk_rmsnorm_group_quant_kernelIDF16_DB8_Li256ELi8ELi16ELb1ELb1ELb0ELb0ELb0ELb0EEEvPT0_PvPT_S6_S6_PKS5_S8_S8_S8_S8_ffiiiiiiiiiiiii,comdat
	.protected	_ZN5aiter35fused_qk_rmsnorm_group_quant_kernelIDF16_DB8_Li256ELi8ELi16ELb1ELb1ELb0ELb0ELb0ELb0EEEvPT0_PvPT_S6_S6_PKS5_S8_S8_S8_S8_ffiiiiiiiiiiiii ; -- Begin function _ZN5aiter35fused_qk_rmsnorm_group_quant_kernelIDF16_DB8_Li256ELi8ELi16ELb1ELb1ELb0ELb0ELb0ELb0EEEvPT0_PvPT_S6_S6_PKS5_S8_S8_S8_S8_ffiiiiiiiiiiiii
	.globl	_ZN5aiter35fused_qk_rmsnorm_group_quant_kernelIDF16_DB8_Li256ELi8ELi16ELb1ELb1ELb0ELb0ELb0ELb0EEEvPT0_PvPT_S6_S6_PKS5_S8_S8_S8_S8_ffiiiiiiiiiiiii
	.p2align	8
	.type	_ZN5aiter35fused_qk_rmsnorm_group_quant_kernelIDF16_DB8_Li256ELi8ELi16ELb1ELb1ELb0ELb0ELb0ELb0EEEvPT0_PvPT_S6_S6_PKS5_S8_S8_S8_S8_ffiiiiiiiiiiiii,@function
_ZN5aiter35fused_qk_rmsnorm_group_quant_kernelIDF16_DB8_Li256ELi8ELi16ELb1ELb1ELb0ELb0ELb0ELb0EEEvPT0_PvPT_S6_S6_PKS5_S8_S8_S8_S8_ffiiiiiiiiiiiii: ; @_ZN5aiter35fused_qk_rmsnorm_group_quant_kernelIDF16_DB8_Li256ELi8ELi16ELb1ELb1ELb0ELb0ELb0ELb0EEEvPT0_PvPT_S6_S6_PKS5_S8_S8_S8_S8_ffiiiiiiiiiiiii
; %bb.0:
	s_load_dwordx8 s[20:27], s[4:5], 0x50
	s_waitcnt lgkmcnt(0)
	s_cmp_ge_i32 s6, s22
	s_cbranch_scc1 .LBB477_17
; %bb.1:
	s_cmp_lg_u32 s7, 0
	s_cselect_b64 s[10:11], -1, 0
	s_cmp_eq_u32 s7, 0
	s_cselect_b64 s[8:9], -1, 0
	s_and_b64 s[0:1], s[8:9], exec
	s_load_dwordx2 s[28:29], s[4:5], 0x48
	s_load_dwordx2 s[34:35], s[4:5], 0x30
	s_load_dwordx8 s[12:19], s[4:5], 0x70
	s_cselect_b32 s7, s23, s24
	s_add_i32 s0, s7, 1
	s_lshr_b32 s1, s0, 31
	s_add_i32 s0, s0, s1
	s_lshl_b32 s0, s0, 1
	v_lshlrev_b32_e32 v1, 3, v0
	s_and_b32 s38, s0, -4
	v_cmp_gt_i32_e64 s[0:1], s7, v1
	v_mov_b32_e32 v24, 0
	v_mov_b32_e32 v25, 0
	;; [unrolled: 1-line block ×8, first 2 shown]
	s_and_saveexec_b64 s[2:3], s[0:1]
	s_cbranch_execz .LBB477_3
; %bb.2:
	s_waitcnt lgkmcnt(0)
	s_load_dwordx2 s[18:19], s[4:5], 0x28
	s_load_dwordx2 s[30:31], s[4:5], 0x40
	s_and_b64 s[36:37], s[8:9], exec
	s_cselect_b32 s22, s25, s26
	s_mov_b32 s39, 0x20000
	s_waitcnt lgkmcnt(0)
	s_cselect_b32 s25, s19, s35
	s_cselect_b32 s33, s18, s34
	s_mul_hi_i32 s19, s22, s6
	s_mul_i32 s18, s22, s6
	s_lshl_b64 s[18:19], s[18:19], 1
	s_add_u32 s40, s33, s18
	s_addc_u32 s22, s25, s19
	s_and_b64 s[18:19], s[8:9], exec
	s_cselect_b32 s36, s30, s28
	s_cselect_b32 s18, s31, s29
	v_lshlrev_b32_e32 v2, 4, v0
	s_and_b32 s41, s22, 0xffff
	s_mov_b32 s42, s38
	s_mov_b32 s43, s39
	s_and_b32 s37, s18, 0xffff
	buffer_load_dwordx4 v[28:31], v2, s[40:43], 0 offen glc slc
	buffer_load_dwordx4 v[24:27], v2, s[36:39], 0 offen
.LBB477_3:
	s_or_b64 exec, exec, s[2:3]
	s_and_b64 vcc, exec, s[10:11]
	s_cbranch_vccz .LBB477_7
; %bb.4:
	v_mov_b32_e32 v33, 0
	v_mov_b32_e32 v32, 0
	;; [unrolled: 1-line block ×8, first 2 shown]
	s_and_saveexec_b64 s[2:3], s[0:1]
	s_cbranch_execz .LBB477_6
; %bb.5:
	s_waitcnt vmcnt(1)
	v_cvt_f32_f16_sdwa v17, v28 dst_sel:DWORD dst_unused:UNUSED_PAD src0_sel:WORD_1
	v_cvt_f32_f16_e32 v16, v28
	v_cvt_f32_f16_sdwa v11, v29 dst_sel:DWORD dst_unused:UNUSED_PAD src0_sel:WORD_1
	v_cvt_f32_f16_e32 v10, v29
	v_cvt_f32_f16_sdwa v7, v30 dst_sel:DWORD dst_unused:UNUSED_PAD src0_sel:WORD_1
	v_cvt_f32_f16_e32 v6, v30
	v_cvt_f32_f16_sdwa v33, v31 dst_sel:DWORD dst_unused:UNUSED_PAD src0_sel:WORD_1
	v_cvt_f32_f16_e32 v32, v31
.LBB477_6:
	s_or_b64 exec, exec, s[2:3]
	s_cbranch_execz .LBB477_8
	s_branch .LBB477_11
.LBB477_7:
                                        ; implicit-def: $vgpr8_vgpr9_vgpr10_vgpr11_vgpr12_vgpr13_vgpr14_vgpr15
                                        ; implicit-def: $vgpr33
                                        ; implicit-def: $vgpr16_vgpr17_vgpr18_vgpr19_vgpr20_vgpr21_vgpr22_vgpr23
                                        ; implicit-def: $vgpr2_vgpr3_vgpr4_vgpr5_vgpr6_vgpr7_vgpr8_vgpr9
.LBB477_8:
	v_mov_b32_e32 v33, 0
	v_mov_b32_e32 v32, 0
	v_mov_b32_e32 v7, 0
	v_mov_b32_e32 v6, 0
	v_mov_b32_e32 v11, 0
	v_mov_b32_e32 v10, 0
	v_mov_b32_e32 v17, 0
	v_mov_b32_e32 v16, 0
	s_and_saveexec_b64 s[2:3], s[0:1]
	s_cbranch_execz .LBB477_10
; %bb.9:
	s_waitcnt lgkmcnt(0)
	s_load_dwordx2 s[18:19], s[4:5], 0x38
	s_mul_hi_i32 s31, s27, s6
	s_mul_i32 s30, s27, s6
	s_lshl_b64 s[30:31], s[30:31], 1
	s_mov_b32 s39, 0x20000
	s_waitcnt lgkmcnt(0)
	s_add_u32 s36, s18, s30
	s_addc_u32 s18, s19, s31
	s_and_b32 s37, s18, 0xffff
	v_lshlrev_b32_e32 v20, 4, v0
	buffer_load_dwordx4 v[2:5], v20, s[36:39], 0 offen glc slc
	s_waitcnt vmcnt(2)
	v_cvt_f32_f16_sdwa v7, v28 dst_sel:DWORD dst_unused:UNUSED_PAD src0_sel:WORD_1
	v_cvt_f32_f16_e32 v6, v28
	v_cvt_f32_f16_sdwa v9, v29 dst_sel:DWORD dst_unused:UNUSED_PAD src0_sel:WORD_1
	v_cvt_f32_f16_e32 v8, v29
	;; [unrolled: 2-line block ×4, first 2 shown]
	s_load_dwordx2 s[18:19], s[4:5], 0x20
	s_mul_hi_i32 s31, s17, s6
	s_mul_i32 s30, s17, s6
	s_lshl_b64 s[30:31], s[30:31], 1
	s_waitcnt lgkmcnt(0)
	s_add_u32 s36, s18, s30
	s_addc_u32 s17, s19, s31
	s_and_b32 s37, s17, 0xffff
	s_waitcnt vmcnt(0)
	v_cvt_f32_f16_e32 v10, v2
	v_cvt_f32_f16_sdwa v11, v2 dst_sel:DWORD dst_unused:UNUSED_PAD src0_sel:WORD_1
	v_cvt_f32_f16_e32 v2, v3
	v_cvt_f32_f16_sdwa v3, v3 dst_sel:DWORD dst_unused:UNUSED_PAD src0_sel:WORD_1
	v_cvt_f32_f16_e32 v18, v4
	v_cvt_f32_f16_sdwa v19, v4 dst_sel:DWORD dst_unused:UNUSED_PAD src0_sel:WORD_1
	v_cvt_f32_f16_e32 v4, v5
	v_cvt_f32_f16_sdwa v5, v5 dst_sel:DWORD dst_unused:UNUSED_PAD src0_sel:WORD_1
	v_pk_add_f32 v[16:17], v[6:7], v[10:11]
	v_pk_add_f32 v[10:11], v[8:9], v[2:3]
	;; [unrolled: 1-line block ×4, first 2 shown]
	v_cvt_f16_f32_e32 v2, v17
	v_cvt_f16_f32_e32 v3, v11
	;; [unrolled: 1-line block ×8, first 2 shown]
	v_pack_b32_f16 v5, v8, v5
	v_pack_b32_f16 v4, v9, v4
	;; [unrolled: 1-line block ×4, first 2 shown]
	buffer_store_dwordx4 v[2:5], v20, s[36:39], 0 offen glc slc
	;;#ASMSTART
	s_nop 0
	;;#ASMEND
.LBB477_10:
	s_or_b64 exec, exec, s[2:3]
.LBB477_11:
	v_mul_f32_e32 v2, v17, v17
	v_fmac_f32_e32 v2, v16, v16
	v_fmac_f32_e32 v2, v10, v10
	;; [unrolled: 1-line block ×7, first 2 shown]
	v_and_b32_e32 v4, 63, v0
	v_cmp_eq_u32_e64 s[2:3], 63, v4
	v_mov_b32_dpp v3, v2 quad_perm:[1,0,3,2] row_mask:0xf bank_mask:0xf
	v_add_f32_e32 v2, v2, v3
	s_nop 1
	v_mov_b32_dpp v3, v2 quad_perm:[2,3,0,1] row_mask:0xf bank_mask:0xf
	v_add_f32_e32 v2, v2, v3
	s_nop 1
	v_mov_b32_dpp v3, v2 row_half_mirror row_mask:0xf bank_mask:0xf
	v_add_f32_e32 v2, v2, v3
	s_nop 1
	v_mov_b32_dpp v3, v2 row_mirror row_mask:0xf bank_mask:0xf
	v_add_f32_e32 v2, v2, v3
	s_nop 1
	v_mov_b32_dpp v3, v2 row_bcast:15 row_mask:0xf bank_mask:0xf
	v_add_f32_e32 v2, v2, v3
	s_nop 1
	v_mov_b32_dpp v3, v2 row_bcast:31 row_mask:0xf bank_mask:0xf
	s_waitcnt lgkmcnt(0)
	s_and_saveexec_b64 s[18:19], s[2:3]
	s_cbranch_execz .LBB477_13
; %bb.12:
	v_add_f32_e32 v2, v2, v3
	v_lshrrev_b32_e32 v3, 4, v0
	v_and_b32_e32 v3, 60, v3
	ds_write_b32 v3, v2 offset:16
.LBB477_13:
	s_or_b64 exec, exec, s[18:19]
	v_and_b32_e32 v2, 3, v0
	v_lshlrev_b32_e32 v18, 2, v2
	s_waitcnt lgkmcnt(0)
	s_barrier
	ds_read_b32 v2, v18 offset:16
	s_load_dwordx2 s[18:19], s[4:5], 0x18
	s_waitcnt lgkmcnt(0)
	v_mov_b32_dpp v3, v2 quad_perm:[1,0,3,2] row_mask:0xf bank_mask:0xf
	v_add_f32_e32 v2, v2, v3
	s_nop 1
	v_mov_b32_dpp v3, v2 quad_perm:[2,3,0,1] row_mask:0xf bank_mask:0xf
	s_and_saveexec_b64 s[30:31], s[0:1]
	s_cbranch_execnz .LBB477_18
; %bb.14:
	s_or_b64 exec, exec, s[30:31]
	s_mov_b64 s[8:9], -1
	s_and_b64 vcc, exec, s[10:11]
	s_cbranch_vccnz .LBB477_19
.LBB477_15:
	s_andn2_b64 vcc, exec, s[8:9]
	s_cbranch_vccz .LBB477_22
.LBB477_16:
	s_cmp_lt_i32 s24, 1
	s_cbranch_scc0 .LBB477_31
.LBB477_17:
	s_endpgm
.LBB477_18:
	v_cvt_f32_u32_e32 v4, s7
	v_add_f32_e32 v2, v2, v3
	v_mov_b32_e32 v8, s21
	v_mov_b32_e32 v9, s20
	v_div_scale_f32 v3, s[36:37], v4, v4, v2
	v_rcp_f32_e32 v5, v3
	v_cndmask_b32_e64 v8, v8, v9, s[8:9]
	s_mov_b32 s7, 0x800000
	s_waitcnt vmcnt(0)
	v_cvt_f32_f16_sdwa v15, v26 dst_sel:DWORD dst_unused:UNUSED_PAD src0_sel:WORD_1
	v_fma_f32 v9, -v3, v5, 1.0
	v_fmac_f32_e32 v5, v9, v5
	v_div_scale_f32 v9, vcc, v2, v4, v2
	v_mul_f32_e32 v12, v9, v5
	v_fma_f32 v13, -v3, v12, v9
	v_fmac_f32_e32 v12, v13, v5
	v_fma_f32 v3, -v3, v12, v9
	v_div_fmas_f32 v3, v3, v5, v12
	v_div_fixup_f32 v2, v3, v4, v2
	v_add_f32_e32 v2, v8, v2
	v_mul_f32_e32 v3, 0x4b800000, v2
	v_cmp_gt_f32_e32 vcc, s7, v2
	v_cndmask_b32_e32 v2, v2, v3, vcc
	v_rsq_f32_e32 v2, v2
	v_cvt_f32_f16_sdwa v13, v25 dst_sel:DWORD dst_unused:UNUSED_PAD src0_sel:WORD_1
	v_cvt_f32_f16_e32 v12, v25
	v_cvt_f32_f16_e32 v14, v26
	v_mul_f32_e32 v3, 0x45800000, v2
	v_cndmask_b32_e32 v2, v2, v3, vcc
	v_mov_b32_e32 v3, v2
	;;#ASMSTART
	v_pk_mul_f32 v[4:5], v[16:17], v[2:3]
	;;#ASMEND
	;;#ASMSTART
	v_pk_mul_f32 v[8:9], v[10:11], v[2:3]
	;;#ASMEND
	;; [unrolled: 3-line block ×3, first 2 shown]
	v_cvt_f32_f16_sdwa v11, v24 dst_sel:DWORD dst_unused:UNUSED_PAD src0_sel:WORD_1
	v_cvt_f32_f16_e32 v10, v24
	;;#ASMSTART
	v_pk_mul_f32 v[2:3], v[32:33], v[2:3]
	;;#ASMEND
	v_cvt_f32_f16_sdwa v21, v27 dst_sel:DWORD dst_unused:UNUSED_PAD src0_sel:WORD_1
	v_cvt_f32_f16_e32 v20, v27
	;;#ASMSTART
	v_pk_mul_f32 v[16:17], v[4:5], v[10:11]
	;;#ASMEND
	;;#ASMSTART
	v_pk_mul_f32 v[10:11], v[8:9], v[12:13]
	;;#ASMEND
	;; [unrolled: 3-line block ×4, first 2 shown]
	s_or_b64 exec, exec, s[30:31]
	s_mov_b64 s[8:9], -1
	s_and_b64 vcc, exec, s[10:11]
	s_cbranch_vccz .LBB477_15
.LBB477_19:
	s_and_saveexec_b64 s[8:9], s[0:1]
	s_cbranch_execz .LBB477_21
; %bb.20:
	s_mul_hi_i32 s11, s16, s6
	s_mul_i32 s10, s16, s6
	v_cvt_f16_f32_e32 v2, v16
	v_cvt_f16_f32_e32 v3, v10
	;; [unrolled: 1-line block ×8, first 2 shown]
	s_lshl_b64 s[10:11], s[10:11], 1
	s_add_u32 s36, s18, s10
	s_addc_u32 s7, s19, s11
	s_and_b32 s37, s7, 0xffff
	s_mov_b32 s39, 0x20000
	v_pack_b32_f16 v5, v5, v8
	v_pack_b32_f16 v4, v4, v9
	;; [unrolled: 1-line block ×4, first 2 shown]
	v_lshlrev_b32_e32 v8, 4, v0
	buffer_store_dwordx4 v[2:5], v8, s[36:39], 0 offen
	;;#ASMSTART
	s_nop 0
	;;#ASMEND
.LBB477_21:
	s_or_b64 exec, exec, s[8:9]
	s_cbranch_execnz .LBB477_16
.LBB477_22:
	v_mov_b32_e32 v2, 0
	s_and_saveexec_b64 s[8:9], s[0:1]
	s_cbranch_execz .LBB477_24
; %bb.23:
	s_load_dwordx2 s[10:11], s[4:5], 0x10
	s_mul_hi_i32 s31, s15, s6
	s_mul_i32 s30, s15, s6
	v_cvt_f16_f32_e32 v2, v16
	v_cvt_f16_f32_e32 v3, v10
	;; [unrolled: 1-line block ×8, first 2 shown]
	s_lshl_b64 s[30:31], s[30:31], 1
	s_waitcnt lgkmcnt(0)
	s_add_u32 s36, s10, s30
	s_addc_u32 s7, s11, s31
	s_mov_b32 s39, 0x20000
	s_and_b32 s37, s7, 0xffff
	v_pack_b32_f16 v5, v5, v8
	v_pack_b32_f16 v4, v4, v9
	;; [unrolled: 1-line block ×4, first 2 shown]
	v_lshlrev_b32_e32 v8, 4, v0
	buffer_store_dwordx4 v[2:5], v8, s[36:39], 0 offen
	;;#ASMSTART
	s_nop 0
	;;#ASMEND
	s_nop 0
	v_mov_b32_e32 v2, 0x2edbe6ff
.LBB477_24:
	s_or_b64 exec, exec, s[8:9]
	s_and_saveexec_b64 s[8:9], s[0:1]
	s_cbranch_execz .LBB477_26
; %bb.25:
	v_and_b32_e32 v3, 0x7fffffff, v16
	v_and_b32_e32 v4, 0x7fffffff, v17
	;;#ASMSTART
	v_max3_f32 v2, v2, v3, v4

	;;#ASMEND
	v_and_b32_e32 v3, 0x7fffffff, v10
	v_and_b32_e32 v4, 0x7fffffff, v11
	;;#ASMSTART
	v_max3_f32 v2, v2, v3, v4

	;;#ASMEND
	;; [unrolled: 6-line block ×4, first 2 shown]
.LBB477_26:
	s_or_b64 exec, exec, s[8:9]
	;;#ASMSTART
	v_max_f32 v3, v2, v2 quad_perm:[1,0,3,2] row_mask:0xf bank_mask:0xf bound_ctrl:1
	;;#ASMEND
	;;#ASMSTART
	v_max_f32 v2, v3, v3 quad_perm:[2,3,0,1] row_mask:0xf bank_mask:0xf bound_ctrl:1
	;;#ASMEND
	;;#ASMSTART
	v_max_f32 v3, v2, v2 row_half_mirror row_mask:0xf bank_mask:0xf bound_ctrl:1
	;;#ASMEND
	;;#ASMSTART
	v_max_f32 v2, v3, v3 row_mirror row_mask:0xf bank_mask:0xf bound_ctrl:1
	;;#ASMEND
	v_and_b32_e32 v3, 15, v0
	v_cmp_eq_u32_e32 vcc, 0, v3
	v_cmp_gt_i32_e64 s[8:9], s23, v1
	v_mul_f32_e32 v2, 0x3b124925, v2
	s_and_b64 s[10:11], vcc, s[8:9]
	s_and_saveexec_b64 s[8:9], s[10:11]
	s_cbranch_execz .LBB477_28
; %bb.27:
	s_load_dwordx2 s[10:11], s[4:5], 0x8
	v_lshrrev_b32_e32 v3, 4, v0
	s_mul_hi_i32 s31, s13, s6
	s_mul_i32 s30, s13, s6
	v_mad_i64_i32 v[4:5], s[14:15], s14, v3, 0
	s_lshl_b64 s[14:15], s[30:31], 2
	s_waitcnt lgkmcnt(0)
	s_add_u32 s7, s10, s14
	s_addc_u32 s10, s11, s15
	v_lshlrev_b64 v[4:5], 2, v[4:5]
	v_mov_b32_e32 v3, s10
	v_add_co_u32_e32 v4, vcc, s7, v4
	v_addc_co_u32_e32 v5, vcc, v3, v5, vcc
	global_store_dword v[4:5], v2, off
.LBB477_28:
	s_or_b64 exec, exec, s[8:9]
	;;#ASMSTART
	v_rcp_f32 v2, v2
	;;#ASMEND
	s_and_saveexec_b64 s[14:15], s[0:1]
	s_cbranch_execz .LBB477_30
; %bb.29:
	s_load_dwordx2 s[0:1], s[4:5], 0x0
	s_mul_i32 s8, s12, s6
	v_mov_b32_e32 v3, v2
	;;#ASMSTART
	v_pk_mul_f32 v[4:5], v[16:17], v[2:3]
	;;#ASMEND
	s_mul_hi_i32 s7, s12, s6
	s_waitcnt lgkmcnt(0)
	s_add_u32 s8, s0, s8
	v_mov_b32_e32 v8, 0xc3e00000
	v_mov_b32_e32 v9, 0x43e00000
	;;#ASMSTART
	v_med3_f32 v4, v4, v8, v9
v_med3_f32 v5, v5, v8, v9
v_cvt_pk_fp8_f32 v12, v4, v5
	;;#ASMEND
	s_addc_u32 s0, s1, s7
	;;#ASMSTART
	v_pk_mul_f32 v[4:5], v[10:11], v[2:3]
	;;#ASMEND
	s_and_b32 s9, s0, 0xffff
	;;#ASMSTART
	v_med3_f32 v4, v4, v8, v9
v_med3_f32 v5, v5, v8, v9
v_cvt_pk_fp8_f32 v10, v4, v5
	;;#ASMEND
	s_mov_b32 s0, 0x5040100
	v_perm_b32 v5, v10, v12, s0
	s_movk_i32 s0, 0xff
	v_and_b32_e32 v4, 0xffffff00, v10
	v_and_b32_sdwa v10, v5, s0 dst_sel:DWORD dst_unused:UNUSED_PAD src0_sel:WORD_1 src1_sel:DWORD
	s_mov_b32 s12, 0xffff
	v_or_b32_sdwa v4, v10, v4 dst_sel:WORD_1 dst_unused:UNUSED_PAD src0_sel:DWORD src1_sel:DWORD
	s_add_i32 s1, s23, 3
	v_and_or_b32 v4, v5, s12, v4
	;;#ASMSTART
	v_pk_mul_f32 v[6:7], v[6:7], v[2:3]
	;;#ASMEND
	v_mov_b32_e32 v5, v7
	s_ashr_i32 s7, s1, 31
	;;#ASMSTART
	v_med3_f32 v6, v6, v8, v9
v_med3_f32 v5, v5, v8, v9
v_cvt_pk_fp8_f32 v7, v6, v5
	;;#ASMEND
	;;#ASMSTART
	v_pk_mul_f32 v[2:3], v[32:33], v[2:3]
	;;#ASMEND
	s_lshr_b32 s7, s7, 30
	;;#ASMSTART
	v_med3_f32 v2, v2, v8, v9
v_med3_f32 v3, v3, v8, v9
v_cvt_pk_fp8_f32 v5, v2, v3
	;;#ASMEND
	s_add_i32 s1, s1, s7
	v_lshlrev_b32_e32 v2, 16, v5
	s_and_b32 s10, s1, -4
	s_mov_b32 s11, 0x20000
	v_and_or_b32 v5, v7, s12, v2
	buffer_store_dwordx2 v[4:5], v1, s[8:11], 0 offen
	;;#ASMSTART
	s_nop 0
	;;#ASMEND
.LBB477_30:
	s_or_b64 exec, exec, s[14:15]
	s_cmp_lt_i32 s24, 1
	s_cbranch_scc1 .LBB477_17
.LBB477_31:
	s_load_dword s0, s[4:5], 0x94
	s_waitcnt lgkmcnt(0)
	s_cmp_lg_u32 s0, 1
	s_cbranch_scc1 .LBB477_17
; %bb.32:
	s_lshl_b32 s0, s24, 1
	s_add_i32 s0, s0, 2
	v_cmp_gt_u32_e32 vcc, s24, v1
	s_and_b32 s30, s0, -4
	v_mov_b32_e32 v10, 0
	v_lshlrev_b32_e32 v1, 4, v0
	v_mov_b32_e32 v6, 0
	v_mov_b32_e32 v7, 0
	;; [unrolled: 1-line block ×8, first 2 shown]
	s_barrier
	s_and_saveexec_b64 s[0:1], vcc
	s_cbranch_execz .LBB477_34
; %bb.33:
	s_mul_hi_i32 s5, s26, s6
	s_mul_i32 s4, s26, s6
	s_and_b32 s29, s29, 0xffff
	s_lshl_b64 s[4:5], s[4:5], 1
	s_add_u32 s8, s34, s4
	s_mov_b32 s31, 0x20000
	s_addc_u32 s4, s35, s5
	s_and_b32 s9, s4, 0xffff
	s_mov_b32 s10, s30
	s_mov_b32 s11, s31
	buffer_load_dwordx4 v[6:9], v1, s[8:11], 0 offen glc slc
	buffer_load_dwordx4 v[2:5], v1, s[28:31], 0 offen
.LBB477_34:
	s_or_b64 exec, exec, s[0:1]
	v_mov_b32_e32 v11, 0
	v_mov_b32_e32 v16, 0
	;; [unrolled: 1-line block ×7, first 2 shown]
	s_and_saveexec_b64 s[0:1], vcc
	s_cbranch_execz .LBB477_36
; %bb.35:
	s_waitcnt vmcnt(1)
	v_cvt_f32_f16_sdwa v11, v6 dst_sel:DWORD dst_unused:UNUSED_PAD src0_sel:WORD_1
	v_cvt_f32_f16_e32 v10, v6
	v_cvt_f32_f16_sdwa v17, v7 dst_sel:DWORD dst_unused:UNUSED_PAD src0_sel:WORD_1
	v_cvt_f32_f16_e32 v16, v7
	;; [unrolled: 2-line block ×4, first 2 shown]
.LBB477_36:
	s_or_b64 exec, exec, s[0:1]
	s_waitcnt vmcnt(1)
	v_mul_f32_e32 v6, v11, v11
	v_fmac_f32_e32 v6, v10, v10
	v_fmac_f32_e32 v6, v16, v16
	;; [unrolled: 1-line block ×7, first 2 shown]
	s_nop 1
	v_mov_b32_dpp v7, v6 quad_perm:[1,0,3,2] row_mask:0xf bank_mask:0xf
	v_add_f32_e32 v6, v6, v7
	s_nop 1
	v_mov_b32_dpp v7, v6 quad_perm:[2,3,0,1] row_mask:0xf bank_mask:0xf
	v_add_f32_e32 v6, v6, v7
	s_nop 1
	v_mov_b32_dpp v7, v6 row_half_mirror row_mask:0xf bank_mask:0xf
	v_add_f32_e32 v6, v6, v7
	s_nop 1
	v_mov_b32_dpp v7, v6 row_mirror row_mask:0xf bank_mask:0xf
	v_add_f32_e32 v6, v6, v7
	s_nop 1
	v_mov_b32_dpp v7, v6 row_bcast:15 row_mask:0xf bank_mask:0xf
	v_add_f32_e32 v6, v6, v7
	s_nop 1
	v_mov_b32_dpp v7, v6 row_bcast:31 row_mask:0xf bank_mask:0xf
	s_and_saveexec_b64 s[0:1], s[2:3]
	s_cbranch_execz .LBB477_38
; %bb.37:
	v_lshrrev_b32_e32 v0, 4, v0
	v_add_f32_e32 v6, v6, v7
	v_and_b32_e32 v0, 60, v0
	ds_write_b32 v0, v6
.LBB477_38:
	s_or_b64 exec, exec, s[0:1]
	s_waitcnt lgkmcnt(0)
	s_barrier
	ds_read_b32 v0, v18
	s_waitcnt lgkmcnt(0)
	s_nop 0
	v_mov_b32_dpp v6, v0 quad_perm:[1,0,3,2] row_mask:0xf bank_mask:0xf
	v_add_f32_e32 v0, v0, v6
	s_nop 1
	v_mov_b32_dpp v6, v0 quad_perm:[2,3,0,1] row_mask:0xf bank_mask:0xf
	s_and_saveexec_b64 s[0:1], vcc
	s_cbranch_execz .LBB477_17
; %bb.39:
	v_cvt_f32_u32_e32 v7, s24
	v_add_f32_e32 v0, v0, v6
	s_mov_b32 s31, 0x20000
	v_div_scale_f32 v6, s[0:1], v7, v7, v0
	v_rcp_f32_e32 v8, v6
	v_div_scale_f32 v9, vcc, v0, v7, v0
	s_mov_b32 s0, 0x800000
	v_fma_f32 v18, -v6, v8, 1.0
	v_fmac_f32_e32 v8, v18, v8
	v_mul_f32_e32 v18, v9, v8
	v_fma_f32 v19, -v6, v18, v9
	v_fmac_f32_e32 v18, v19, v8
	v_fma_f32 v6, -v6, v18, v9
	v_div_fmas_f32 v6, v6, v8, v18
	v_div_fixup_f32 v0, v6, v7, v0
	v_add_f32_e32 v0, s21, v0
	v_mul_f32_e32 v6, 0x4b800000, v0
	v_cmp_gt_f32_e32 vcc, s0, v0
	v_cndmask_b32_e32 v0, v0, v6, vcc
	v_rsq_f32_e32 v0, v0
	s_waitcnt vmcnt(0)
	v_cvt_f32_f16_sdwa v19, v5 dst_sel:DWORD dst_unused:UNUSED_PAD src0_sel:WORD_1
	v_cvt_f32_f16_e32 v18, v5
	s_mul_hi_i32 s1, s16, s6
	v_mul_f32_e32 v6, 0x45800000, v0
	v_cndmask_b32_e32 v6, v0, v6, vcc
	v_mov_b32_e32 v7, v6
	;;#ASMSTART
	v_pk_mul_f32 v[8:9], v[10:11], v[6:7]
	;;#ASMEND
	;;#ASMSTART
	v_pk_mul_f32 v[10:11], v[16:17], v[6:7]
	;;#ASMEND
	;; [unrolled: 3-line block ×4, first 2 shown]
	v_cvt_f32_f16_sdwa v13, v2 dst_sel:DWORD dst_unused:UNUSED_PAD src0_sel:WORD_1
	v_cvt_f32_f16_e32 v12, v2
	v_cvt_f32_f16_sdwa v17, v3 dst_sel:DWORD dst_unused:UNUSED_PAD src0_sel:WORD_1
	v_cvt_f32_f16_e32 v16, v3
	;; [unrolled: 2-line block ×3, first 2 shown]
	;;#ASMSTART
	v_pk_mul_f32 v[4:5], v[8:9], v[12:13]
	;;#ASMEND
	;;#ASMSTART
	v_pk_mul_f32 v[8:9], v[10:11], v[16:17]
	;;#ASMEND
	;; [unrolled: 3-line block ×4, first 2 shown]
	s_mul_i32 s0, s16, s6
	v_cvt_f16_f32_e32 v0, v4
	v_cvt_f16_f32_e32 v4, v5
	;; [unrolled: 1-line block ×8, first 2 shown]
	s_lshl_b64 s[0:1], s[0:1], 1
	s_add_u32 s28, s18, s0
	s_addc_u32 s0, s19, s1
	s_and_b32 s29, s0, 0xffff
	v_pack_b32_f16 v2, v0, v4
	v_pack_b32_f16 v3, v5, v8
	;; [unrolled: 1-line block ×4, first 2 shown]
	buffer_store_dwordx4 v[2:5], v1, s[28:31], 0 offen
	;;#ASMSTART
	s_nop 0
	;;#ASMEND
	s_endpgm
	.section	.rodata,"a",@progbits
	.p2align	6, 0x0
	.amdhsa_kernel _ZN5aiter35fused_qk_rmsnorm_group_quant_kernelIDF16_DB8_Li256ELi8ELi16ELb1ELb1ELb0ELb0ELb0ELb0EEEvPT0_PvPT_S6_S6_PKS5_S8_S8_S8_S8_ffiiiiiiiiiiiii
		.amdhsa_group_segment_fixed_size 32
		.amdhsa_private_segment_fixed_size 0
		.amdhsa_kernarg_size 400
		.amdhsa_user_sgpr_count 6
		.amdhsa_user_sgpr_private_segment_buffer 1
		.amdhsa_user_sgpr_dispatch_ptr 0
		.amdhsa_user_sgpr_queue_ptr 0
		.amdhsa_user_sgpr_kernarg_segment_ptr 1
		.amdhsa_user_sgpr_dispatch_id 0
		.amdhsa_user_sgpr_flat_scratch_init 0
		.amdhsa_user_sgpr_kernarg_preload_length 0
		.amdhsa_user_sgpr_kernarg_preload_offset 0
		.amdhsa_user_sgpr_private_segment_size 0
		.amdhsa_uses_dynamic_stack 0
		.amdhsa_system_sgpr_private_segment_wavefront_offset 0
		.amdhsa_system_sgpr_workgroup_id_x 1
		.amdhsa_system_sgpr_workgroup_id_y 1
		.amdhsa_system_sgpr_workgroup_id_z 0
		.amdhsa_system_sgpr_workgroup_info 0
		.amdhsa_system_vgpr_workitem_id 0
		.amdhsa_next_free_vgpr 34
		.amdhsa_next_free_sgpr 44
		.amdhsa_accum_offset 36
		.amdhsa_reserve_vcc 1
		.amdhsa_reserve_flat_scratch 0
		.amdhsa_float_round_mode_32 0
		.amdhsa_float_round_mode_16_64 0
		.amdhsa_float_denorm_mode_32 3
		.amdhsa_float_denorm_mode_16_64 3
		.amdhsa_dx10_clamp 1
		.amdhsa_ieee_mode 1
		.amdhsa_fp16_overflow 0
		.amdhsa_tg_split 0
		.amdhsa_exception_fp_ieee_invalid_op 0
		.amdhsa_exception_fp_denorm_src 0
		.amdhsa_exception_fp_ieee_div_zero 0
		.amdhsa_exception_fp_ieee_overflow 0
		.amdhsa_exception_fp_ieee_underflow 0
		.amdhsa_exception_fp_ieee_inexact 0
		.amdhsa_exception_int_div_zero 0
	.end_amdhsa_kernel
	.section	.text._ZN5aiter35fused_qk_rmsnorm_group_quant_kernelIDF16_DB8_Li256ELi8ELi16ELb1ELb1ELb0ELb0ELb0ELb0EEEvPT0_PvPT_S6_S6_PKS5_S8_S8_S8_S8_ffiiiiiiiiiiiii,"axG",@progbits,_ZN5aiter35fused_qk_rmsnorm_group_quant_kernelIDF16_DB8_Li256ELi8ELi16ELb1ELb1ELb0ELb0ELb0ELb0EEEvPT0_PvPT_S6_S6_PKS5_S8_S8_S8_S8_ffiiiiiiiiiiiii,comdat
.Lfunc_end477:
	.size	_ZN5aiter35fused_qk_rmsnorm_group_quant_kernelIDF16_DB8_Li256ELi8ELi16ELb1ELb1ELb0ELb0ELb0ELb0EEEvPT0_PvPT_S6_S6_PKS5_S8_S8_S8_S8_ffiiiiiiiiiiiii, .Lfunc_end477-_ZN5aiter35fused_qk_rmsnorm_group_quant_kernelIDF16_DB8_Li256ELi8ELi16ELb1ELb1ELb0ELb0ELb0ELb0EEEvPT0_PvPT_S6_S6_PKS5_S8_S8_S8_S8_ffiiiiiiiiiiiii
                                        ; -- End function
	.section	.AMDGPU.csdata,"",@progbits
; Kernel info:
; codeLenInByte = 3004
; NumSgprs: 48
; NumVgprs: 34
; NumAgprs: 0
; TotalNumVgprs: 34
; ScratchSize: 0
; MemoryBound: 0
; FloatMode: 240
; IeeeMode: 1
; LDSByteSize: 32 bytes/workgroup (compile time only)
; SGPRBlocks: 5
; VGPRBlocks: 4
; NumSGPRsForWavesPerEU: 48
; NumVGPRsForWavesPerEU: 34
; AccumOffset: 36
; Occupancy: 8
; WaveLimiterHint : 0
; COMPUTE_PGM_RSRC2:SCRATCH_EN: 0
; COMPUTE_PGM_RSRC2:USER_SGPR: 6
; COMPUTE_PGM_RSRC2:TRAP_HANDLER: 0
; COMPUTE_PGM_RSRC2:TGID_X_EN: 1
; COMPUTE_PGM_RSRC2:TGID_Y_EN: 1
; COMPUTE_PGM_RSRC2:TGID_Z_EN: 0
; COMPUTE_PGM_RSRC2:TIDIG_COMP_CNT: 0
; COMPUTE_PGM_RSRC3_GFX90A:ACCUM_OFFSET: 8
; COMPUTE_PGM_RSRC3_GFX90A:TG_SPLIT: 0
	.section	.text._ZN5aiter35fused_qk_rmsnorm_group_quant_kernelItDB8_Li256ELi8ELi16ELb1ELb1ELb0ELb0ELb0ELb0EEEvPT0_PvPT_S6_S6_PKS5_S8_S8_S8_S8_ffiiiiiiiiiiiii,"axG",@progbits,_ZN5aiter35fused_qk_rmsnorm_group_quant_kernelItDB8_Li256ELi8ELi16ELb1ELb1ELb0ELb0ELb0ELb0EEEvPT0_PvPT_S6_S6_PKS5_S8_S8_S8_S8_ffiiiiiiiiiiiii,comdat
	.protected	_ZN5aiter35fused_qk_rmsnorm_group_quant_kernelItDB8_Li256ELi8ELi16ELb1ELb1ELb0ELb0ELb0ELb0EEEvPT0_PvPT_S6_S6_PKS5_S8_S8_S8_S8_ffiiiiiiiiiiiii ; -- Begin function _ZN5aiter35fused_qk_rmsnorm_group_quant_kernelItDB8_Li256ELi8ELi16ELb1ELb1ELb0ELb0ELb0ELb0EEEvPT0_PvPT_S6_S6_PKS5_S8_S8_S8_S8_ffiiiiiiiiiiiii
	.globl	_ZN5aiter35fused_qk_rmsnorm_group_quant_kernelItDB8_Li256ELi8ELi16ELb1ELb1ELb0ELb0ELb0ELb0EEEvPT0_PvPT_S6_S6_PKS5_S8_S8_S8_S8_ffiiiiiiiiiiiii
	.p2align	8
	.type	_ZN5aiter35fused_qk_rmsnorm_group_quant_kernelItDB8_Li256ELi8ELi16ELb1ELb1ELb0ELb0ELb0ELb0EEEvPT0_PvPT_S6_S6_PKS5_S8_S8_S8_S8_ffiiiiiiiiiiiii,@function
_ZN5aiter35fused_qk_rmsnorm_group_quant_kernelItDB8_Li256ELi8ELi16ELb1ELb1ELb0ELb0ELb0ELb0EEEvPT0_PvPT_S6_S6_PKS5_S8_S8_S8_S8_ffiiiiiiiiiiiii: ; @_ZN5aiter35fused_qk_rmsnorm_group_quant_kernelItDB8_Li256ELi8ELi16ELb1ELb1ELb0ELb0ELb0ELb0EEEvPT0_PvPT_S6_S6_PKS5_S8_S8_S8_S8_ffiiiiiiiiiiiii
; %bb.0:
	s_load_dwordx8 s[20:27], s[4:5], 0x50
	s_waitcnt lgkmcnt(0)
	s_cmp_ge_i32 s6, s22
	s_cbranch_scc1 .LBB478_17
; %bb.1:
	s_cmp_lg_u32 s7, 0
	s_cselect_b64 s[10:11], -1, 0
	s_cmp_eq_u32 s7, 0
	s_cselect_b64 s[8:9], -1, 0
	s_and_b64 s[0:1], s[8:9], exec
	s_load_dwordx2 s[28:29], s[4:5], 0x48
	s_load_dwordx2 s[34:35], s[4:5], 0x30
	s_load_dwordx8 s[12:19], s[4:5], 0x70
	s_cselect_b32 s7, s23, s24
	s_add_i32 s0, s7, 1
	s_lshr_b32 s1, s0, 31
	s_add_i32 s0, s0, s1
	s_lshl_b32 s0, s0, 1
	v_lshlrev_b32_e32 v1, 3, v0
	s_and_b32 s38, s0, -4
	v_cmp_gt_i32_e64 s[0:1], s7, v1
	v_mov_b32_e32 v10, 0
	v_mov_b32_e32 v11, 0
	;; [unrolled: 1-line block ×8, first 2 shown]
	s_and_saveexec_b64 s[2:3], s[0:1]
	s_cbranch_execz .LBB478_3
; %bb.2:
	s_waitcnt lgkmcnt(0)
	s_load_dwordx2 s[18:19], s[4:5], 0x28
	s_load_dwordx2 s[30:31], s[4:5], 0x40
	s_and_b64 s[36:37], s[8:9], exec
	s_cselect_b32 s22, s25, s26
	s_mov_b32 s39, 0x20000
	s_waitcnt lgkmcnt(0)
	s_cselect_b32 s25, s19, s35
	s_cselect_b32 s33, s18, s34
	s_mul_hi_i32 s19, s22, s6
	s_mul_i32 s18, s22, s6
	s_lshl_b64 s[18:19], s[18:19], 1
	s_add_u32 s40, s33, s18
	s_addc_u32 s22, s25, s19
	s_and_b64 s[18:19], s[8:9], exec
	s_cselect_b32 s36, s30, s28
	s_cselect_b32 s18, s31, s29
	v_lshlrev_b32_e32 v2, 4, v0
	s_and_b32 s41, s22, 0xffff
	s_mov_b32 s42, s38
	s_mov_b32 s43, s39
	s_and_b32 s37, s18, 0xffff
	buffer_load_dwordx4 v[14:17], v2, s[40:43], 0 offen glc slc
	buffer_load_dwordx4 v[10:13], v2, s[36:39], 0 offen
.LBB478_3:
	s_or_b64 exec, exec, s[2:3]
	s_and_b64 vcc, exec, s[10:11]
	s_cbranch_vccz .LBB478_7
; %bb.4:
	s_mov_b32 s40, 0
	s_mov_b32 s41, s40
	;; [unrolled: 1-line block ×8, first 2 shown]
	v_pk_mov_b32 v[2:3], s[40:41], s[40:41] op_sel:[0,1]
	v_pk_mov_b32 v[4:5], s[42:43], s[42:43] op_sel:[0,1]
	;; [unrolled: 1-line block ×4, first 2 shown]
	s_and_saveexec_b64 s[2:3], s[0:1]
	s_cbranch_execz .LBB478_6
; %bb.5:
	s_waitcnt vmcnt(1)
	v_cvt_f32_u32_sdwa v3, v14 dst_sel:DWORD dst_unused:UNUSED_PAD src0_sel:WORD_1
	v_cvt_f32_u32_sdwa v2, v14 dst_sel:DWORD dst_unused:UNUSED_PAD src0_sel:WORD_0
	v_cvt_f32_u32_sdwa v5, v15 dst_sel:DWORD dst_unused:UNUSED_PAD src0_sel:WORD_1
	v_cvt_f32_u32_sdwa v4, v15 dst_sel:DWORD dst_unused:UNUSED_PAD src0_sel:WORD_0
	;; [unrolled: 2-line block ×4, first 2 shown]
.LBB478_6:
	s_or_b64 exec, exec, s[2:3]
	s_cbranch_execz .LBB478_8
	s_branch .LBB478_11
.LBB478_7:
                                        ; implicit-def: $vgpr2_vgpr3_vgpr4_vgpr5_vgpr6_vgpr7_vgpr8_vgpr9
.LBB478_8:
	s_mov_b32 s40, 0
	s_mov_b32 s41, s40
	;; [unrolled: 1-line block ×8, first 2 shown]
	v_pk_mov_b32 v[2:3], s[40:41], s[40:41] op_sel:[0,1]
	v_pk_mov_b32 v[4:5], s[42:43], s[42:43] op_sel:[0,1]
	;; [unrolled: 1-line block ×4, first 2 shown]
	s_and_saveexec_b64 s[2:3], s[0:1]
	s_cbranch_execz .LBB478_10
; %bb.9:
	s_waitcnt lgkmcnt(0)
	s_load_dwordx2 s[18:19], s[4:5], 0x38
	s_mul_hi_i32 s31, s27, s6
	s_mul_i32 s30, s27, s6
	s_lshl_b64 s[30:31], s[30:31], 1
	s_mov_b32 s39, 0x20000
	s_waitcnt lgkmcnt(0)
	s_add_u32 s36, s18, s30
	s_addc_u32 s18, s19, s31
	s_and_b32 s37, s18, 0xffff
	v_lshlrev_b32_e32 v26, 4, v0
	buffer_load_dwordx4 v[2:5], v26, s[36:39], 0 offen glc slc
	s_load_dwordx2 s[18:19], s[4:5], 0x20
	s_waitcnt vmcnt(2)
	v_cvt_f32_u32_sdwa v7, v14 dst_sel:DWORD dst_unused:UNUSED_PAD src0_sel:WORD_1
	v_cvt_f32_u32_sdwa v6, v14 dst_sel:DWORD dst_unused:UNUSED_PAD src0_sel:WORD_0
	v_cvt_f32_u32_sdwa v9, v15 dst_sel:DWORD dst_unused:UNUSED_PAD src0_sel:WORD_1
	v_cvt_f32_u32_sdwa v8, v15 dst_sel:DWORD dst_unused:UNUSED_PAD src0_sel:WORD_0
	;; [unrolled: 2-line block ×4, first 2 shown]
	s_mul_hi_i32 s31, s17, s6
	s_mul_i32 s30, s17, s6
	s_lshl_b64 s[30:31], s[30:31], 1
	s_waitcnt lgkmcnt(0)
	s_add_u32 s36, s18, s30
	s_mov_b32 s17, 0x7060302
	s_addc_u32 s18, s19, s31
	s_and_b32 s37, s18, 0xffff
	s_waitcnt vmcnt(0)
	v_cvt_f32_u32_sdwa v17, v2 dst_sel:DWORD dst_unused:UNUSED_PAD src0_sel:WORD_1
	v_cvt_f32_u32_sdwa v16, v2 dst_sel:DWORD dst_unused:UNUSED_PAD src0_sel:WORD_0
	v_cvt_f32_u32_sdwa v21, v3 dst_sel:DWORD dst_unused:UNUSED_PAD src0_sel:WORD_1
	v_cvt_f32_u32_sdwa v20, v3 dst_sel:DWORD dst_unused:UNUSED_PAD src0_sel:WORD_0
	v_cvt_f32_u32_sdwa v23, v4 dst_sel:DWORD dst_unused:UNUSED_PAD src0_sel:WORD_1
	v_cvt_f32_u32_sdwa v22, v4 dst_sel:DWORD dst_unused:UNUSED_PAD src0_sel:WORD_0
	v_cvt_f32_u32_sdwa v25, v5 dst_sel:DWORD dst_unused:UNUSED_PAD src0_sel:WORD_1
	v_cvt_f32_u32_sdwa v24, v5 dst_sel:DWORD dst_unused:UNUSED_PAD src0_sel:WORD_0
	v_pk_add_f32 v[2:3], v[6:7], v[16:17]
	v_pk_add_f32 v[4:5], v[8:9], v[20:21]
	;; [unrolled: 1-line block ×4, first 2 shown]
	v_perm_b32 v17, v9, v8, s17
	v_perm_b32 v16, v7, v6, s17
	;; [unrolled: 1-line block ×4, first 2 shown]
	buffer_store_dwordx4 v[14:17], v26, s[36:39], 0 offen glc slc
	;;#ASMSTART
	s_nop 0
	;;#ASMEND
.LBB478_10:
	s_or_b64 exec, exec, s[2:3]
.LBB478_11:
	s_waitcnt vmcnt(1)
	v_mul_f32_e32 v14, v3, v3
	v_fmac_f32_e32 v14, v2, v2
	v_fmac_f32_e32 v14, v4, v4
	;; [unrolled: 1-line block ×7, first 2 shown]
	v_and_b32_e32 v16, 63, v0
	v_cmp_eq_u32_e64 s[2:3], 63, v16
	v_mov_b32_dpp v15, v14 quad_perm:[1,0,3,2] row_mask:0xf bank_mask:0xf
	v_add_f32_e32 v14, v14, v15
	s_nop 1
	v_mov_b32_dpp v15, v14 quad_perm:[2,3,0,1] row_mask:0xf bank_mask:0xf
	v_add_f32_e32 v14, v14, v15
	s_nop 1
	v_mov_b32_dpp v15, v14 row_half_mirror row_mask:0xf bank_mask:0xf
	v_add_f32_e32 v14, v14, v15
	s_nop 1
	v_mov_b32_dpp v15, v14 row_mirror row_mask:0xf bank_mask:0xf
	v_add_f32_e32 v14, v14, v15
	s_nop 1
	v_mov_b32_dpp v15, v14 row_bcast:15 row_mask:0xf bank_mask:0xf
	v_add_f32_e32 v14, v14, v15
	s_nop 1
	v_mov_b32_dpp v15, v14 row_bcast:31 row_mask:0xf bank_mask:0xf
	s_waitcnt lgkmcnt(0)
	s_and_saveexec_b64 s[18:19], s[2:3]
	s_cbranch_execz .LBB478_13
; %bb.12:
	v_add_f32_e32 v14, v14, v15
	v_lshrrev_b32_e32 v15, 4, v0
	v_and_b32_e32 v15, 60, v15
	ds_write_b32 v15, v14 offset:16
.LBB478_13:
	s_or_b64 exec, exec, s[18:19]
	v_and_b32_e32 v14, 3, v0
	v_lshlrev_b32_e32 v14, 2, v14
	s_waitcnt lgkmcnt(0)
	s_barrier
	ds_read_b32 v15, v14 offset:16
	s_load_dwordx2 s[18:19], s[4:5], 0x18
	s_waitcnt lgkmcnt(0)
	v_mov_b32_dpp v16, v15 quad_perm:[1,0,3,2] row_mask:0xf bank_mask:0xf
	v_add_f32_e32 v15, v15, v16
	s_nop 1
	v_mov_b32_dpp v16, v15 quad_perm:[2,3,0,1] row_mask:0xf bank_mask:0xf
	s_and_saveexec_b64 s[30:31], s[0:1]
	s_cbranch_execnz .LBB478_18
; %bb.14:
	s_or_b64 exec, exec, s[30:31]
	s_mov_b64 s[8:9], -1
	s_and_b64 vcc, exec, s[10:11]
	s_cbranch_vccnz .LBB478_19
.LBB478_15:
	s_andn2_b64 vcc, exec, s[8:9]
	s_cbranch_vccz .LBB478_22
.LBB478_16:
	s_cmp_lt_i32 s24, 1
	s_cbranch_scc0 .LBB478_31
.LBB478_17:
	s_endpgm
.LBB478_18:
	v_cvt_f32_u32_e32 v17, s7
	v_add_f32_e32 v15, v15, v16
	v_mov_b32_e32 v19, s21
	v_mov_b32_e32 v20, s20
	v_div_scale_f32 v16, s[36:37], v17, v17, v15
	v_rcp_f32_e32 v18, v16
	v_cndmask_b32_e64 v19, v19, v20, s[8:9]
	s_mov_b32 s7, 0x800000
	v_fma_f32 v20, -v16, v18, 1.0
	v_fmac_f32_e32 v18, v20, v18
	v_div_scale_f32 v20, vcc, v15, v17, v15
	v_mul_f32_e32 v21, v20, v18
	v_fma_f32 v22, -v16, v21, v20
	v_fmac_f32_e32 v21, v22, v18
	v_fma_f32 v16, -v16, v21, v20
	v_div_fmas_f32 v16, v16, v18, v21
	v_div_fixup_f32 v15, v16, v17, v15
	v_add_f32_e32 v15, v19, v15
	v_mul_f32_e32 v16, 0x4b800000, v15
	v_cmp_gt_f32_e32 vcc, s7, v15
	v_cndmask_b32_e32 v15, v15, v16, vcc
	v_rsq_f32_e32 v15, v15
	s_waitcnt vmcnt(0)
	v_cvt_f32_u32_sdwa v19, v11 dst_sel:DWORD dst_unused:UNUSED_PAD src0_sel:WORD_1
	v_cvt_f32_u32_sdwa v18, v11 dst_sel:DWORD dst_unused:UNUSED_PAD src0_sel:WORD_0
	v_cvt_f32_u32_sdwa v11, v12 dst_sel:DWORD dst_unused:UNUSED_PAD src0_sel:WORD_1
	v_mul_f32_e32 v16, 0x45800000, v15
	v_cndmask_b32_e32 v16, v15, v16, vcc
	v_mov_b32_e32 v17, v16
	;;#ASMSTART
	v_pk_mul_f32 v[2:3], v[2:3], v[16:17]
	;;#ASMEND
	;;#ASMSTART
	v_pk_mul_f32 v[4:5], v[4:5], v[16:17]
	;;#ASMEND
	;;#ASMSTART
	v_pk_mul_f32 v[6:7], v[6:7], v[16:17]
	;;#ASMEND
	;;#ASMSTART
	v_pk_mul_f32 v[8:9], v[8:9], v[16:17]
	;;#ASMEND
	v_cvt_f32_u32_sdwa v17, v10 dst_sel:DWORD dst_unused:UNUSED_PAD src0_sel:WORD_1
	v_cvt_f32_u32_sdwa v16, v10 dst_sel:DWORD dst_unused:UNUSED_PAD src0_sel:WORD_0
	v_cvt_f32_u32_sdwa v10, v12 dst_sel:DWORD dst_unused:UNUSED_PAD src0_sel:WORD_0
	v_cvt_f32_u32_sdwa v21, v13 dst_sel:DWORD dst_unused:UNUSED_PAD src0_sel:WORD_1
	v_cvt_f32_u32_sdwa v20, v13 dst_sel:DWORD dst_unused:UNUSED_PAD src0_sel:WORD_0
	;;#ASMSTART
	v_pk_mul_f32 v[2:3], v[2:3], v[16:17]
	;;#ASMEND
	;;#ASMSTART
	v_pk_mul_f32 v[4:5], v[4:5], v[18:19]
	;;#ASMEND
	;; [unrolled: 3-line block ×4, first 2 shown]
	s_or_b64 exec, exec, s[30:31]
	s_mov_b64 s[8:9], -1
	s_and_b64 vcc, exec, s[10:11]
	s_cbranch_vccz .LBB478_15
.LBB478_19:
	s_and_saveexec_b64 s[8:9], s[0:1]
	s_cbranch_execz .LBB478_21
; %bb.20:
	s_mul_hi_i32 s11, s16, s6
	s_mul_i32 s10, s16, s6
	s_lshl_b64 s[10:11], s[10:11], 1
	s_add_u32 s36, s18, s10
	s_addc_u32 s7, s19, s11
	s_and_b32 s37, s7, 0xffff
	s_mov_b32 s7, 0x7060302
	s_mov_b32 s39, 0x20000
	s_waitcnt vmcnt(0)
	v_perm_b32 v10, v3, v2, s7
	v_perm_b32 v11, v5, v4, s7
	;; [unrolled: 1-line block ×4, first 2 shown]
	v_lshlrev_b32_e32 v15, 4, v0
	buffer_store_dwordx4 v[10:13], v15, s[36:39], 0 offen
	;;#ASMSTART
	s_nop 0
	;;#ASMEND
.LBB478_21:
	s_or_b64 exec, exec, s[8:9]
	s_cbranch_execnz .LBB478_16
.LBB478_22:
	s_waitcnt vmcnt(0)
	v_mov_b32_e32 v10, 0
	s_and_saveexec_b64 s[8:9], s[0:1]
	s_cbranch_execz .LBB478_24
; %bb.23:
	s_load_dwordx2 s[10:11], s[4:5], 0x10
	s_mul_hi_i32 s31, s15, s6
	s_mul_i32 s30, s15, s6
	s_lshl_b64 s[30:31], s[30:31], 1
	s_mov_b32 s39, 0x20000
	s_waitcnt lgkmcnt(0)
	s_add_u32 s36, s10, s30
	s_addc_u32 s7, s11, s31
	s_and_b32 s37, s7, 0xffff
	s_mov_b32 s7, 0x7060302
	v_perm_b32 v10, v3, v2, s7
	v_perm_b32 v11, v5, v4, s7
	;; [unrolled: 1-line block ×4, first 2 shown]
	v_lshlrev_b32_e32 v15, 4, v0
	buffer_store_dwordx4 v[10:13], v15, s[36:39], 0 offen
	;;#ASMSTART
	s_nop 0
	;;#ASMEND
	s_nop 0
	v_mov_b32_e32 v10, 0x2edbe6ff
.LBB478_24:
	s_or_b64 exec, exec, s[8:9]
	s_and_saveexec_b64 s[8:9], s[0:1]
	s_cbranch_execz .LBB478_26
; %bb.25:
	v_and_b32_e32 v11, 0x7fffffff, v2
	v_and_b32_e32 v12, 0x7fffffff, v3
	;;#ASMSTART
	v_max3_f32 v10, v10, v11, v12

	;;#ASMEND
	v_and_b32_e32 v11, 0x7fffffff, v4
	v_and_b32_e32 v12, 0x7fffffff, v5
	;;#ASMSTART
	v_max3_f32 v10, v10, v11, v12

	;;#ASMEND
	v_and_b32_e32 v11, 0x7fffffff, v6
	v_and_b32_e32 v12, 0x7fffffff, v7
	;;#ASMSTART
	v_max3_f32 v10, v10, v11, v12

	;;#ASMEND
	v_and_b32_e32 v11, 0x7fffffff, v8
	v_and_b32_e32 v12, 0x7fffffff, v9
	;;#ASMSTART
	v_max3_f32 v10, v10, v11, v12

	;;#ASMEND
.LBB478_26:
	s_or_b64 exec, exec, s[8:9]
	;;#ASMSTART
	v_max_f32 v11, v10, v10 quad_perm:[1,0,3,2] row_mask:0xf bank_mask:0xf bound_ctrl:1
	;;#ASMEND
	;;#ASMSTART
	v_max_f32 v10, v11, v11 quad_perm:[2,3,0,1] row_mask:0xf bank_mask:0xf bound_ctrl:1
	;;#ASMEND
	;;#ASMSTART
	v_max_f32 v11, v10, v10 row_half_mirror row_mask:0xf bank_mask:0xf bound_ctrl:1
	;;#ASMEND
	;;#ASMSTART
	v_max_f32 v10, v11, v11 row_mirror row_mask:0xf bank_mask:0xf bound_ctrl:1
	;;#ASMEND
	v_and_b32_e32 v11, 15, v0
	v_cmp_eq_u32_e32 vcc, 0, v11
	v_cmp_gt_i32_e64 s[8:9], s23, v1
	v_mul_f32_e32 v10, 0x3b124925, v10
	s_and_b64 s[10:11], vcc, s[8:9]
	s_and_saveexec_b64 s[8:9], s[10:11]
	s_cbranch_execz .LBB478_28
; %bb.27:
	s_load_dwordx2 s[10:11], s[4:5], 0x8
	v_lshrrev_b32_e32 v11, 4, v0
	s_mul_hi_i32 s31, s13, s6
	s_mul_i32 s30, s13, s6
	v_mad_i64_i32 v[12:13], s[14:15], s14, v11, 0
	s_lshl_b64 s[14:15], s[30:31], 2
	s_waitcnt lgkmcnt(0)
	s_add_u32 s7, s10, s14
	s_addc_u32 s10, s11, s15
	v_lshlrev_b64 v[12:13], 2, v[12:13]
	v_mov_b32_e32 v11, s10
	v_add_co_u32_e32 v12, vcc, s7, v12
	v_addc_co_u32_e32 v13, vcc, v11, v13, vcc
	global_store_dword v[12:13], v10, off
.LBB478_28:
	s_or_b64 exec, exec, s[8:9]
	;;#ASMSTART
	v_rcp_f32 v10, v10
	;;#ASMEND
	s_and_saveexec_b64 s[14:15], s[0:1]
	s_cbranch_execz .LBB478_30
; %bb.29:
	s_load_dwordx2 s[0:1], s[4:5], 0x0
	s_mul_i32 s8, s12, s6
	v_mov_b32_e32 v11, v10
	;;#ASMSTART
	v_pk_mul_f32 v[2:3], v[2:3], v[10:11]
	;;#ASMEND
	s_mul_hi_i32 s7, s12, s6
	s_waitcnt lgkmcnt(0)
	s_add_u32 s8, s0, s8
	v_mov_b32_e32 v12, 0xc3e00000
	v_mov_b32_e32 v13, 0x43e00000
	;;#ASMSTART
	v_med3_f32 v2, v2, v12, v13
v_med3_f32 v3, v3, v12, v13
v_cvt_pk_fp8_f32 v15, v2, v3
	;;#ASMEND
	s_addc_u32 s0, s1, s7
	;;#ASMSTART
	v_pk_mul_f32 v[2:3], v[4:5], v[10:11]
	;;#ASMEND
	s_and_b32 s9, s0, 0xffff
	;;#ASMSTART
	v_med3_f32 v2, v2, v12, v13
v_med3_f32 v3, v3, v12, v13
v_cvt_pk_fp8_f32 v4, v2, v3
	;;#ASMEND
	s_mov_b32 s0, 0x5040100
	v_perm_b32 v3, v4, v15, s0
	s_movk_i32 s0, 0xff
	v_and_b32_e32 v2, 0xffffff00, v4
	v_and_b32_sdwa v4, v3, s0 dst_sel:DWORD dst_unused:UNUSED_PAD src0_sel:WORD_1 src1_sel:DWORD
	s_mov_b32 s12, 0xffff
	v_or_b32_sdwa v2, v4, v2 dst_sel:WORD_1 dst_unused:UNUSED_PAD src0_sel:DWORD src1_sel:DWORD
	v_and_or_b32 v2, v3, s12, v2
	;;#ASMSTART
	v_pk_mul_f32 v[4:5], v[6:7], v[10:11]
	;;#ASMEND
	v_mov_b32_e32 v3, v4
	s_add_i32 s1, s23, 3
	;;#ASMSTART
	v_med3_f32 v3, v3, v12, v13
v_med3_f32 v5, v5, v12, v13
v_cvt_pk_fp8_f32 v6, v3, v5
	;;#ASMEND
	s_ashr_i32 s7, s1, 31
	;;#ASMSTART
	v_pk_mul_f32 v[4:5], v[8:9], v[10:11]
	;;#ASMEND
	v_mov_b32_e32 v3, v5
	s_lshr_b32 s7, s7, 30
	;;#ASMSTART
	v_med3_f32 v4, v4, v12, v13
v_med3_f32 v3, v3, v12, v13
v_cvt_pk_fp8_f32 v5, v4, v3
	;;#ASMEND
	s_add_i32 s1, s1, s7
	v_lshlrev_b32_e32 v3, 16, v5
	s_and_b32 s10, s1, -4
	s_mov_b32 s11, 0x20000
	v_and_or_b32 v3, v6, s12, v3
	buffer_store_dwordx2 v[2:3], v1, s[8:11], 0 offen
	;;#ASMSTART
	s_nop 0
	;;#ASMEND
.LBB478_30:
	s_or_b64 exec, exec, s[14:15]
	s_cmp_lt_i32 s24, 1
	s_cbranch_scc1 .LBB478_17
.LBB478_31:
	s_load_dword s0, s[4:5], 0x94
	s_waitcnt lgkmcnt(0)
	s_cmp_lg_u32 s0, 1
	s_cbranch_scc1 .LBB478_17
; %bb.32:
	s_lshl_b32 s0, s24, 1
	s_add_i32 s0, s0, 2
	v_cmp_gt_u32_e32 vcc, s24, v1
	s_and_b32 s30, s0, -4
	v_mov_b32_e32 v6, 0
	v_lshlrev_b32_e32 v1, 4, v0
	v_mov_b32_e32 v7, 0
	v_mov_b32_e32 v8, 0
	;; [unrolled: 1-line block ×7, first 2 shown]
	s_barrier
	s_and_saveexec_b64 s[0:1], vcc
	s_cbranch_execz .LBB478_34
; %bb.33:
	s_mul_hi_i32 s5, s26, s6
	s_mul_i32 s4, s26, s6
	s_and_b32 s29, s29, 0xffff
	s_lshl_b64 s[4:5], s[4:5], 1
	s_add_u32 s8, s34, s4
	s_mov_b32 s31, 0x20000
	s_addc_u32 s4, s35, s5
	s_and_b32 s9, s4, 0xffff
	s_mov_b32 s10, s30
	s_mov_b32 s11, s31
	buffer_load_dwordx4 v[6:9], v1, s[8:11], 0 offen glc slc
	buffer_load_dwordx4 v[2:5], v1, s[28:31], 0 offen
.LBB478_34:
	s_or_b64 exec, exec, s[0:1]
	s_waitcnt vmcnt(0)
	v_cvt_f32_u32_sdwa v13, v6 dst_sel:DWORD dst_unused:UNUSED_PAD src0_sel:WORD_1
	v_cvt_f32_u32_sdwa v12, v6 dst_sel:DWORD dst_unused:UNUSED_PAD src0_sel:WORD_0
	v_cvt_f32_u32_sdwa v6, v9 dst_sel:DWORD dst_unused:UNUSED_PAD src0_sel:WORD_1
	v_cvt_f32_u32_sdwa v9, v9 dst_sel:DWORD dst_unused:UNUSED_PAD src0_sel:WORD_0
	;; [unrolled: 2-line block ×4, first 2 shown]
	v_cndmask_b32_e32 v13, 0, v13, vcc
	v_cndmask_b32_e32 v7, 0, v6, vcc
	;; [unrolled: 1-line block ×5, first 2 shown]
	v_mul_f32_e32 v15, v13, v13
	v_cndmask_b32_e32 v10, 0, v10, vcc
	v_fmac_f32_e32 v15, v12, v12
	v_cndmask_b32_e32 v11, 0, v11, vcc
	v_fmac_f32_e32 v15, v10, v10
	v_cndmask_b32_e32 v8, 0, v8, vcc
	v_fmac_f32_e32 v15, v11, v11
	v_fmac_f32_e32 v15, v8, v8
	v_fmac_f32_e32 v15, v9, v9
	;; [unrolled: 1-line block ×4, first 2 shown]
	s_nop 1
	v_mov_b32_dpp v16, v15 quad_perm:[1,0,3,2] row_mask:0xf bank_mask:0xf
	v_add_f32_e32 v15, v15, v16
	s_nop 1
	v_mov_b32_dpp v16, v15 quad_perm:[2,3,0,1] row_mask:0xf bank_mask:0xf
	v_add_f32_e32 v15, v15, v16
	s_nop 1
	v_mov_b32_dpp v16, v15 row_half_mirror row_mask:0xf bank_mask:0xf
	v_add_f32_e32 v15, v15, v16
	s_nop 1
	v_mov_b32_dpp v16, v15 row_mirror row_mask:0xf bank_mask:0xf
	v_add_f32_e32 v15, v15, v16
	s_nop 1
	v_mov_b32_dpp v16, v15 row_bcast:15 row_mask:0xf bank_mask:0xf
	v_add_f32_e32 v15, v15, v16
	s_nop 1
	v_mov_b32_dpp v16, v15 row_bcast:31 row_mask:0xf bank_mask:0xf
	s_and_saveexec_b64 s[0:1], s[2:3]
	s_cbranch_execz .LBB478_36
; %bb.35:
	v_lshrrev_b32_e32 v0, 4, v0
	v_add_f32_e32 v15, v15, v16
	v_and_b32_e32 v0, 60, v0
	ds_write_b32 v0, v15
.LBB478_36:
	s_or_b64 exec, exec, s[0:1]
	s_waitcnt lgkmcnt(0)
	s_barrier
	ds_read_b32 v0, v14
	s_waitcnt lgkmcnt(0)
	s_nop 0
	v_mov_b32_dpp v14, v0 quad_perm:[1,0,3,2] row_mask:0xf bank_mask:0xf
	v_add_f32_e32 v0, v0, v14
	s_nop 1
	v_mov_b32_dpp v14, v0 quad_perm:[2,3,0,1] row_mask:0xf bank_mask:0xf
	s_and_saveexec_b64 s[0:1], vcc
	s_cbranch_execz .LBB478_17
; %bb.37:
	v_cvt_f32_u32_e32 v15, s24
	v_add_f32_e32 v0, v0, v14
	s_mov_b32 s31, 0x20000
	v_div_scale_f32 v14, s[0:1], v15, v15, v0
	v_rcp_f32_e32 v16, v14
	v_div_scale_f32 v17, vcc, v0, v15, v0
	s_mov_b32 s0, 0x800000
	v_fma_f32 v18, -v14, v16, 1.0
	v_fmac_f32_e32 v16, v18, v16
	v_mul_f32_e32 v18, v17, v16
	v_fma_f32 v19, -v14, v18, v17
	v_fmac_f32_e32 v18, v19, v16
	v_fma_f32 v14, -v14, v18, v17
	v_div_fmas_f32 v14, v14, v16, v18
	v_div_fixup_f32 v0, v14, v15, v0
	v_add_f32_e32 v0, s21, v0
	v_mul_f32_e32 v14, 0x4b800000, v0
	v_cmp_gt_f32_e32 vcc, s0, v0
	v_cndmask_b32_e32 v0, v0, v14, vcc
	v_rsq_f32_e32 v0, v0
	s_mul_hi_i32 s1, s16, s6
	s_mul_i32 s0, s16, s6
	s_lshl_b64 s[0:1], s[0:1], 1
	v_mul_f32_e32 v14, 0x45800000, v0
	v_cndmask_b32_e32 v14, v0, v14, vcc
	s_add_u32 s28, s18, s0
	v_mov_b32_e32 v15, v14
	s_addc_u32 s0, s19, s1
	;;#ASMSTART
	v_pk_mul_f32 v[12:13], v[12:13], v[14:15]
	;;#ASMEND
	;;#ASMSTART
	v_pk_mul_f32 v[10:11], v[10:11], v[14:15]
	;;#ASMEND
	;; [unrolled: 3-line block ×4, first 2 shown]
	v_cvt_f32_u32_sdwa v15, v2 dst_sel:DWORD dst_unused:UNUSED_PAD src0_sel:WORD_1
	v_cvt_f32_u32_sdwa v14, v2 dst_sel:DWORD dst_unused:UNUSED_PAD src0_sel:WORD_0
	v_cvt_f32_u32_sdwa v17, v3 dst_sel:DWORD dst_unused:UNUSED_PAD src0_sel:WORD_1
	v_cvt_f32_u32_sdwa v16, v3 dst_sel:DWORD dst_unused:UNUSED_PAD src0_sel:WORD_0
	;; [unrolled: 2-line block ×4, first 2 shown]
	;;#ASMSTART
	v_pk_mul_f32 v[4:5], v[12:13], v[14:15]
	;;#ASMEND
	s_and_b32 s29, s0, 0xffff
	s_mov_b32 s0, 0x7060302
	;;#ASMSTART
	v_pk_mul_f32 v[10:11], v[10:11], v[16:17]
	;;#ASMEND
	;;#ASMSTART
	v_pk_mul_f32 v[8:9], v[8:9], v[2:3]
	;;#ASMEND
	;; [unrolled: 3-line block ×3, first 2 shown]
	v_perm_b32 v2, v5, v4, s0
	v_perm_b32 v3, v11, v10, s0
	;; [unrolled: 1-line block ×4, first 2 shown]
	buffer_store_dwordx4 v[2:5], v1, s[28:31], 0 offen
	;;#ASMSTART
	s_nop 0
	;;#ASMEND
	s_endpgm
	.section	.rodata,"a",@progbits
	.p2align	6, 0x0
	.amdhsa_kernel _ZN5aiter35fused_qk_rmsnorm_group_quant_kernelItDB8_Li256ELi8ELi16ELb1ELb1ELb0ELb0ELb0ELb0EEEvPT0_PvPT_S6_S6_PKS5_S8_S8_S8_S8_ffiiiiiiiiiiiii
		.amdhsa_group_segment_fixed_size 32
		.amdhsa_private_segment_fixed_size 0
		.amdhsa_kernarg_size 400
		.amdhsa_user_sgpr_count 6
		.amdhsa_user_sgpr_private_segment_buffer 1
		.amdhsa_user_sgpr_dispatch_ptr 0
		.amdhsa_user_sgpr_queue_ptr 0
		.amdhsa_user_sgpr_kernarg_segment_ptr 1
		.amdhsa_user_sgpr_dispatch_id 0
		.amdhsa_user_sgpr_flat_scratch_init 0
		.amdhsa_user_sgpr_kernarg_preload_length 0
		.amdhsa_user_sgpr_kernarg_preload_offset 0
		.amdhsa_user_sgpr_private_segment_size 0
		.amdhsa_uses_dynamic_stack 0
		.amdhsa_system_sgpr_private_segment_wavefront_offset 0
		.amdhsa_system_sgpr_workgroup_id_x 1
		.amdhsa_system_sgpr_workgroup_id_y 1
		.amdhsa_system_sgpr_workgroup_id_z 0
		.amdhsa_system_sgpr_workgroup_info 0
		.amdhsa_system_vgpr_workitem_id 0
		.amdhsa_next_free_vgpr 27
		.amdhsa_next_free_sgpr 48
		.amdhsa_accum_offset 28
		.amdhsa_reserve_vcc 1
		.amdhsa_reserve_flat_scratch 0
		.amdhsa_float_round_mode_32 0
		.amdhsa_float_round_mode_16_64 0
		.amdhsa_float_denorm_mode_32 3
		.amdhsa_float_denorm_mode_16_64 3
		.amdhsa_dx10_clamp 1
		.amdhsa_ieee_mode 1
		.amdhsa_fp16_overflow 0
		.amdhsa_tg_split 0
		.amdhsa_exception_fp_ieee_invalid_op 0
		.amdhsa_exception_fp_denorm_src 0
		.amdhsa_exception_fp_ieee_div_zero 0
		.amdhsa_exception_fp_ieee_overflow 0
		.amdhsa_exception_fp_ieee_underflow 0
		.amdhsa_exception_fp_ieee_inexact 0
		.amdhsa_exception_int_div_zero 0
	.end_amdhsa_kernel
	.section	.text._ZN5aiter35fused_qk_rmsnorm_group_quant_kernelItDB8_Li256ELi8ELi16ELb1ELb1ELb0ELb0ELb0ELb0EEEvPT0_PvPT_S6_S6_PKS5_S8_S8_S8_S8_ffiiiiiiiiiiiii,"axG",@progbits,_ZN5aiter35fused_qk_rmsnorm_group_quant_kernelItDB8_Li256ELi8ELi16ELb1ELb1ELb0ELb0ELb0ELb0EEEvPT0_PvPT_S6_S6_PKS5_S8_S8_S8_S8_ffiiiiiiiiiiiii,comdat
.Lfunc_end478:
	.size	_ZN5aiter35fused_qk_rmsnorm_group_quant_kernelItDB8_Li256ELi8ELi16ELb1ELb1ELb0ELb0ELb0ELb0EEEvPT0_PvPT_S6_S6_PKS5_S8_S8_S8_S8_ffiiiiiiiiiiiii, .Lfunc_end478-_ZN5aiter35fused_qk_rmsnorm_group_quant_kernelItDB8_Li256ELi8ELi16ELb1ELb1ELb0ELb0ELb0ELb0EEEvPT0_PvPT_S6_S6_PKS5_S8_S8_S8_S8_ffiiiiiiiiiiiii
                                        ; -- End function
	.section	.AMDGPU.csdata,"",@progbits
; Kernel info:
; codeLenInByte = 3064
; NumSgprs: 52
; NumVgprs: 27
; NumAgprs: 0
; TotalNumVgprs: 27
; ScratchSize: 0
; MemoryBound: 0
; FloatMode: 240
; IeeeMode: 1
; LDSByteSize: 32 bytes/workgroup (compile time only)
; SGPRBlocks: 6
; VGPRBlocks: 3
; NumSGPRsForWavesPerEU: 52
; NumVGPRsForWavesPerEU: 27
; AccumOffset: 28
; Occupancy: 8
; WaveLimiterHint : 0
; COMPUTE_PGM_RSRC2:SCRATCH_EN: 0
; COMPUTE_PGM_RSRC2:USER_SGPR: 6
; COMPUTE_PGM_RSRC2:TRAP_HANDLER: 0
; COMPUTE_PGM_RSRC2:TGID_X_EN: 1
; COMPUTE_PGM_RSRC2:TGID_Y_EN: 1
; COMPUTE_PGM_RSRC2:TGID_Z_EN: 0
; COMPUTE_PGM_RSRC2:TIDIG_COMP_CNT: 0
; COMPUTE_PGM_RSRC3_GFX90A:ACCUM_OFFSET: 6
; COMPUTE_PGM_RSRC3_GFX90A:TG_SPLIT: 0
	.section	.text._ZN5aiter35fused_qk_rmsnorm_group_quant_kernelIDF16_N4opus5fp4_tELi256ELi8ELi16ELb1ELb1ELb0ELb0ELb0ELb0EEEvPT0_PvPT_S7_S7_PKS6_S9_S9_S9_S9_ffiiiiiiiiiiiii,"axG",@progbits,_ZN5aiter35fused_qk_rmsnorm_group_quant_kernelIDF16_N4opus5fp4_tELi256ELi8ELi16ELb1ELb1ELb0ELb0ELb0ELb0EEEvPT0_PvPT_S7_S7_PKS6_S9_S9_S9_S9_ffiiiiiiiiiiiii,comdat
	.protected	_ZN5aiter35fused_qk_rmsnorm_group_quant_kernelIDF16_N4opus5fp4_tELi256ELi8ELi16ELb1ELb1ELb0ELb0ELb0ELb0EEEvPT0_PvPT_S7_S7_PKS6_S9_S9_S9_S9_ffiiiiiiiiiiiii ; -- Begin function _ZN5aiter35fused_qk_rmsnorm_group_quant_kernelIDF16_N4opus5fp4_tELi256ELi8ELi16ELb1ELb1ELb0ELb0ELb0ELb0EEEvPT0_PvPT_S7_S7_PKS6_S9_S9_S9_S9_ffiiiiiiiiiiiii
	.globl	_ZN5aiter35fused_qk_rmsnorm_group_quant_kernelIDF16_N4opus5fp4_tELi256ELi8ELi16ELb1ELb1ELb0ELb0ELb0ELb0EEEvPT0_PvPT_S7_S7_PKS6_S9_S9_S9_S9_ffiiiiiiiiiiiii
	.p2align	8
	.type	_ZN5aiter35fused_qk_rmsnorm_group_quant_kernelIDF16_N4opus5fp4_tELi256ELi8ELi16ELb1ELb1ELb0ELb0ELb0ELb0EEEvPT0_PvPT_S7_S7_PKS6_S9_S9_S9_S9_ffiiiiiiiiiiiii,@function
_ZN5aiter35fused_qk_rmsnorm_group_quant_kernelIDF16_N4opus5fp4_tELi256ELi8ELi16ELb1ELb1ELb0ELb0ELb0ELb0EEEvPT0_PvPT_S7_S7_PKS6_S9_S9_S9_S9_ffiiiiiiiiiiiii: ; @_ZN5aiter35fused_qk_rmsnorm_group_quant_kernelIDF16_N4opus5fp4_tELi256ELi8ELi16ELb1ELb1ELb0ELb0ELb0ELb0EEEvPT0_PvPT_S7_S7_PKS6_S9_S9_S9_S9_ffiiiiiiiiiiiii
; %bb.0:
	s_load_dwordx8 s[20:27], s[4:5], 0x50
	s_waitcnt lgkmcnt(0)
	s_cmp_ge_i32 s6, s22
	s_cbranch_scc1 .LBB479_17
; %bb.1:
	s_cmp_lg_u32 s7, 0
	s_cselect_b64 s[30:31], -1, 0
	s_cmp_eq_u32 s7, 0
	s_cselect_b64 s[8:9], -1, 0
	s_and_b64 s[0:1], s[8:9], exec
	s_load_dwordx2 s[28:29], s[4:5], 0x48
	s_load_dwordx2 s[10:11], s[4:5], 0x30
	s_load_dwordx8 s[12:19], s[4:5], 0x70
	s_cselect_b32 s7, s23, s24
	s_add_i32 s0, s7, 1
	s_lshr_b32 s1, s0, 31
	s_add_i32 s0, s0, s1
	s_lshl_b32 s0, s0, 1
	v_lshlrev_b32_e32 v1, 3, v0
	s_and_b32 s38, s0, -4
	v_cmp_gt_i32_e64 s[0:1], s7, v1
	v_mov_b32_e32 v2, 0
	v_mov_b32_e32 v3, 0
	;; [unrolled: 1-line block ×8, first 2 shown]
	s_and_saveexec_b64 s[2:3], s[0:1]
	s_cbranch_execz .LBB479_3
; %bb.2:
	s_waitcnt lgkmcnt(0)
	s_load_dwordx2 s[18:19], s[4:5], 0x28
	s_load_dwordx2 s[34:35], s[4:5], 0x40
	s_and_b64 s[36:37], s[8:9], exec
	s_cselect_b32 s22, s25, s26
	s_mov_b32 s39, 0x20000
	s_waitcnt lgkmcnt(0)
	s_cselect_b32 s25, s19, s11
	s_cselect_b32 s33, s18, s10
	s_mul_hi_i32 s19, s22, s6
	s_mul_i32 s18, s22, s6
	s_lshl_b64 s[18:19], s[18:19], 1
	s_add_u32 s40, s33, s18
	s_addc_u32 s22, s25, s19
	s_and_b64 s[18:19], s[8:9], exec
	s_cselect_b32 s36, s34, s28
	s_cselect_b32 s18, s35, s29
	v_lshlrev_b32_e32 v10, 4, v0
	s_and_b32 s41, s22, 0xffff
	s_mov_b32 s42, s38
	s_mov_b32 s43, s39
	s_and_b32 s37, s18, 0xffff
	buffer_load_dwordx4 v[6:9], v10, s[40:43], 0 offen glc slc
	buffer_load_dwordx4 v[2:5], v10, s[36:39], 0 offen
.LBB479_3:
	s_or_b64 exec, exec, s[2:3]
	s_and_b64 vcc, exec, s[30:31]
	s_cbranch_vccz .LBB479_7
; %bb.4:
	v_mov_b32_e32 v11, 0
	v_mov_b32_e32 v10, 0
	;; [unrolled: 1-line block ×8, first 2 shown]
	s_and_saveexec_b64 s[2:3], s[0:1]
	s_cbranch_execz .LBB479_6
; %bb.5:
	s_waitcnt vmcnt(1)
	v_cvt_f32_f16_sdwa v17, v6 dst_sel:DWORD dst_unused:UNUSED_PAD src0_sel:WORD_1
	v_cvt_f32_f16_e32 v16, v6
	v_cvt_f32_f16_sdwa v15, v7 dst_sel:DWORD dst_unused:UNUSED_PAD src0_sel:WORD_1
	v_cvt_f32_f16_e32 v14, v7
	;; [unrolled: 2-line block ×4, first 2 shown]
.LBB479_6:
	s_or_b64 exec, exec, s[2:3]
	s_cbranch_execz .LBB479_8
	s_branch .LBB479_11
.LBB479_7:
                                        ; implicit-def: $vgpr11
                                        ; implicit-def: $vgpr13
                                        ; implicit-def: $vgpr15
                                        ; implicit-def: $vgpr17
.LBB479_8:
	v_mov_b32_e32 v11, 0
	v_mov_b32_e32 v10, 0
	;; [unrolled: 1-line block ×8, first 2 shown]
	s_and_saveexec_b64 s[2:3], s[0:1]
	s_cbranch_execz .LBB479_10
; %bb.9:
	s_waitcnt lgkmcnt(0)
	s_load_dwordx2 s[18:19], s[4:5], 0x38
	s_mul_hi_i32 s35, s27, s6
	s_mul_i32 s34, s27, s6
	s_lshl_b64 s[34:35], s[34:35], 1
	s_mov_b32 s39, 0x20000
	s_waitcnt lgkmcnt(0)
	s_add_u32 s36, s18, s34
	s_addc_u32 s18, s19, s35
	s_and_b32 s37, s18, 0xffff
	v_lshlrev_b32_e32 v26, 4, v0
	buffer_load_dwordx4 v[10:13], v26, s[36:39], 0 offen glc slc
	s_waitcnt vmcnt(2)
	v_cvt_f32_f16_sdwa v15, v6 dst_sel:DWORD dst_unused:UNUSED_PAD src0_sel:WORD_1
	v_cvt_f32_f16_e32 v14, v6
	v_cvt_f32_f16_sdwa v19, v7 dst_sel:DWORD dst_unused:UNUSED_PAD src0_sel:WORD_1
	v_cvt_f32_f16_e32 v18, v7
	;; [unrolled: 2-line block ×4, first 2 shown]
	s_load_dwordx2 s[18:19], s[4:5], 0x20
	s_mul_hi_i32 s35, s17, s6
	s_mul_i32 s34, s17, s6
	s_lshl_b64 s[34:35], s[34:35], 1
	s_waitcnt lgkmcnt(0)
	s_add_u32 s36, s18, s34
	s_addc_u32 s17, s19, s35
	s_and_b32 s37, s17, 0xffff
	s_waitcnt vmcnt(0)
	v_cvt_f32_f16_e32 v8, v10
	v_cvt_f32_f16_sdwa v9, v10 dst_sel:DWORD dst_unused:UNUSED_PAD src0_sel:WORD_1
	v_cvt_f32_f16_e32 v10, v11
	v_cvt_f32_f16_sdwa v11, v11 dst_sel:DWORD dst_unused:UNUSED_PAD src0_sel:WORD_1
	;; [unrolled: 2-line block ×4, first 2 shown]
	v_pk_add_f32 v[16:17], v[14:15], v[8:9]
	v_pk_add_f32 v[14:15], v[18:19], v[10:11]
	;; [unrolled: 1-line block ×4, first 2 shown]
	v_cvt_f16_f32_e32 v6, v17
	v_cvt_f16_f32_e32 v7, v15
	;; [unrolled: 1-line block ×8, first 2 shown]
	v_pack_b32_f16 v9, v18, v9
	v_pack_b32_f16 v8, v19, v8
	v_pack_b32_f16 v7, v20, v7
	v_pack_b32_f16 v6, v21, v6
	buffer_store_dwordx4 v[6:9], v26, s[36:39], 0 offen glc slc
	;;#ASMSTART
	s_nop 0
	;;#ASMEND
.LBB479_10:
	s_or_b64 exec, exec, s[2:3]
.LBB479_11:
	s_waitcnt vmcnt(1)
	v_mul_f32_e32 v6, v17, v17
	v_fmac_f32_e32 v6, v16, v16
	v_fmac_f32_e32 v6, v14, v14
	;; [unrolled: 1-line block ×7, first 2 shown]
	v_and_b32_e32 v8, 63, v0
	v_cmp_eq_u32_e64 s[2:3], 63, v8
	v_mov_b32_dpp v7, v6 quad_perm:[1,0,3,2] row_mask:0xf bank_mask:0xf
	v_add_f32_e32 v6, v6, v7
	s_nop 1
	v_mov_b32_dpp v7, v6 quad_perm:[2,3,0,1] row_mask:0xf bank_mask:0xf
	v_add_f32_e32 v6, v6, v7
	s_nop 1
	v_mov_b32_dpp v7, v6 row_half_mirror row_mask:0xf bank_mask:0xf
	v_add_f32_e32 v6, v6, v7
	s_nop 1
	v_mov_b32_dpp v7, v6 row_mirror row_mask:0xf bank_mask:0xf
	v_add_f32_e32 v6, v6, v7
	s_nop 1
	v_mov_b32_dpp v7, v6 row_bcast:15 row_mask:0xf bank_mask:0xf
	v_add_f32_e32 v6, v6, v7
	s_nop 1
	v_mov_b32_dpp v7, v6 row_bcast:31 row_mask:0xf bank_mask:0xf
	s_waitcnt lgkmcnt(0)
	s_and_saveexec_b64 s[18:19], s[2:3]
	s_cbranch_execz .LBB479_13
; %bb.12:
	v_add_f32_e32 v6, v6, v7
	v_lshrrev_b32_e32 v7, 4, v0
	v_and_b32_e32 v7, 60, v7
	ds_write_b32 v7, v6 offset:16
.LBB479_13:
	s_or_b64 exec, exec, s[18:19]
	v_and_b32_e32 v6, 3, v0
	v_lshlrev_b32_e32 v18, 2, v6
	s_waitcnt lgkmcnt(0)
	s_barrier
	ds_read_b32 v6, v18 offset:16
	s_load_dwordx2 s[18:19], s[4:5], 0x18
	s_waitcnt lgkmcnt(0)
	v_mov_b32_dpp v7, v6 quad_perm:[1,0,3,2] row_mask:0xf bank_mask:0xf
	v_add_f32_e32 v6, v6, v7
	s_nop 1
	v_mov_b32_dpp v7, v6 quad_perm:[2,3,0,1] row_mask:0xf bank_mask:0xf
	s_and_saveexec_b64 s[34:35], s[0:1]
	s_cbranch_execnz .LBB479_18
; %bb.14:
	s_or_b64 exec, exec, s[34:35]
	s_mov_b64 s[8:9], -1
	s_and_b64 vcc, exec, s[30:31]
	s_cbranch_vccnz .LBB479_19
.LBB479_15:
	s_andn2_b64 vcc, exec, s[8:9]
	s_cbranch_vccz .LBB479_22
.LBB479_16:
	s_cmp_lt_i32 s24, 1
	s_cbranch_scc0 .LBB479_31
.LBB479_17:
	s_endpgm
.LBB479_18:
	v_cvt_f32_u32_e32 v8, s7
	v_add_f32_e32 v6, v6, v7
	v_mov_b32_e32 v19, s21
	v_mov_b32_e32 v20, s20
	v_div_scale_f32 v7, s[36:37], v8, v8, v6
	v_rcp_f32_e32 v9, v7
	v_cndmask_b32_e64 v19, v19, v20, s[8:9]
	s_mov_b32 s7, 0x800000
	s_waitcnt vmcnt(0)
	v_cvt_f32_f16_sdwa v23, v5 dst_sel:DWORD dst_unused:UNUSED_PAD src0_sel:WORD_1
	v_fma_f32 v20, -v7, v9, 1.0
	v_fmac_f32_e32 v9, v20, v9
	v_div_scale_f32 v20, vcc, v6, v8, v6
	v_mul_f32_e32 v21, v20, v9
	v_fma_f32 v22, -v7, v21, v20
	v_fmac_f32_e32 v21, v22, v9
	v_fma_f32 v7, -v7, v21, v20
	v_div_fmas_f32 v7, v7, v9, v21
	v_div_fixup_f32 v6, v7, v8, v6
	v_add_f32_e32 v6, v19, v6
	v_mul_f32_e32 v7, 0x4b800000, v6
	v_cmp_gt_f32_e32 vcc, s7, v6
	v_cndmask_b32_e32 v6, v6, v7, vcc
	v_rsq_f32_e32 v6, v6
	v_cvt_f32_f16_sdwa v21, v3 dst_sel:DWORD dst_unused:UNUSED_PAD src0_sel:WORD_1
	v_cvt_f32_f16_e32 v20, v3
	v_cvt_f32_f16_sdwa v3, v4 dst_sel:DWORD dst_unused:UNUSED_PAD src0_sel:WORD_1
	v_mul_f32_e32 v7, 0x45800000, v6
	v_cndmask_b32_e32 v6, v6, v7, vcc
	v_mov_b32_e32 v7, v6
	;;#ASMSTART
	v_pk_mul_f32 v[8:9], v[16:17], v[6:7]
	;;#ASMEND
	;;#ASMSTART
	v_pk_mul_f32 v[14:15], v[14:15], v[6:7]
	;;#ASMEND
	;; [unrolled: 3-line block ×4, first 2 shown]
	v_cvt_f32_f16_sdwa v11, v2 dst_sel:DWORD dst_unused:UNUSED_PAD src0_sel:WORD_1
	v_cvt_f32_f16_e32 v10, v2
	v_cvt_f32_f16_e32 v2, v4
	;; [unrolled: 1-line block ×3, first 2 shown]
	;;#ASMSTART
	v_pk_mul_f32 v[16:17], v[8:9], v[10:11]
	;;#ASMEND
	;;#ASMSTART
	v_pk_mul_f32 v[14:15], v[14:15], v[20:21]
	;;#ASMEND
	;; [unrolled: 3-line block ×4, first 2 shown]
	s_or_b64 exec, exec, s[34:35]
	s_mov_b64 s[8:9], -1
	s_and_b64 vcc, exec, s[30:31]
	s_cbranch_vccz .LBB479_15
.LBB479_19:
	s_and_saveexec_b64 s[8:9], s[0:1]
	s_cbranch_execz .LBB479_21
; %bb.20:
	s_mul_hi_i32 s31, s16, s6
	s_mul_i32 s30, s16, s6
	s_waitcnt vmcnt(0)
	v_cvt_f16_f32_e32 v2, v16
	v_cvt_f16_f32_e32 v3, v14
	;; [unrolled: 1-line block ×8, first 2 shown]
	s_lshl_b64 s[30:31], s[30:31], 1
	s_add_u32 s36, s18, s30
	s_addc_u32 s7, s19, s31
	s_and_b32 s37, s7, 0xffff
	s_mov_b32 s39, 0x20000
	v_pack_b32_f16 v5, v5, v6
	v_pack_b32_f16 v4, v4, v7
	;; [unrolled: 1-line block ×4, first 2 shown]
	v_lshlrev_b32_e32 v6, 4, v0
	buffer_store_dwordx4 v[2:5], v6, s[36:39], 0 offen
	;;#ASMSTART
	s_nop 0
	;;#ASMEND
.LBB479_21:
	s_or_b64 exec, exec, s[8:9]
	s_cbranch_execnz .LBB479_16
.LBB479_22:
	s_waitcnt vmcnt(0)
	v_mov_b32_e32 v2, 0
	s_and_saveexec_b64 s[8:9], s[0:1]
	s_cbranch_execz .LBB479_24
; %bb.23:
	s_load_dwordx2 s[30:31], s[4:5], 0x10
	s_mul_hi_i32 s35, s15, s6
	s_mul_i32 s34, s15, s6
	v_cvt_f16_f32_e32 v2, v16
	v_cvt_f16_f32_e32 v3, v14
	;; [unrolled: 1-line block ×8, first 2 shown]
	s_lshl_b64 s[34:35], s[34:35], 1
	s_waitcnt lgkmcnt(0)
	s_add_u32 s36, s30, s34
	s_addc_u32 s7, s31, s35
	s_mov_b32 s39, 0x20000
	s_and_b32 s37, s7, 0xffff
	v_pack_b32_f16 v5, v5, v6
	v_pack_b32_f16 v4, v4, v7
	;; [unrolled: 1-line block ×4, first 2 shown]
	v_lshlrev_b32_e32 v6, 4, v0
	buffer_store_dwordx4 v[2:5], v6, s[36:39], 0 offen
	;;#ASMSTART
	s_nop 0
	;;#ASMEND
	s_nop 0
	v_mov_b32_e32 v2, 0x2edbe6ff
.LBB479_24:
	s_or_b64 exec, exec, s[8:9]
	s_and_saveexec_b64 s[8:9], s[0:1]
	s_cbranch_execz .LBB479_26
; %bb.25:
	v_and_b32_e32 v3, 0x7fffffff, v16
	v_and_b32_e32 v4, 0x7fffffff, v17
	;;#ASMSTART
	v_max3_f32 v2, v2, v3, v4

	;;#ASMEND
	v_and_b32_e32 v3, 0x7fffffff, v14
	v_and_b32_e32 v4, 0x7fffffff, v15
	;;#ASMSTART
	v_max3_f32 v2, v2, v3, v4

	;;#ASMEND
	;; [unrolled: 6-line block ×4, first 2 shown]
.LBB479_26:
	s_or_b64 exec, exec, s[8:9]
	;;#ASMSTART
	v_max_f32 v3, v2, v2 quad_perm:[1,0,3,2] row_mask:0xf bank_mask:0xf bound_ctrl:1
	;;#ASMEND
	;;#ASMSTART
	v_max_f32 v2, v3, v3 quad_perm:[2,3,0,1] row_mask:0xf bank_mask:0xf bound_ctrl:1
	;;#ASMEND
	;;#ASMSTART
	v_max_f32 v3, v2, v2 row_half_mirror row_mask:0xf bank_mask:0xf bound_ctrl:1
	;;#ASMEND
	;;#ASMSTART
	v_max_f32 v2, v3, v3 row_mirror row_mask:0xf bank_mask:0xf bound_ctrl:1
	;;#ASMEND
	v_and_b32_e32 v3, 15, v0
	v_cmp_eq_u32_e32 vcc, 0, v3
	v_cmp_gt_i32_e64 s[8:9], s23, v1
	s_and_b64 s[30:31], vcc, s[8:9]
	s_and_saveexec_b64 s[8:9], s[30:31]
	s_cbranch_execz .LBB479_28
; %bb.27:
	s_load_dwordx2 s[30:31], s[4:5], 0x8
	v_mul_f32_e32 v2, 0x3e2aaaab, v2
	v_lshrrev_b32_e32 v3, 23, v2
	v_and_b32_e32 v4, 0x7f800000, v2
	v_and_b32_e32 v2, 0x7fffff, v2
	v_cmp_ne_u32_e32 vcc, 0, v2
	s_mul_hi_i32 s15, s13, s6
	s_mul_i32 s13, s13, s6
	s_mov_b32 s7, 0x7f800000
	v_addc_co_u32_e32 v2, vcc, 0, v3, vcc
	s_waitcnt lgkmcnt(0)
	s_add_u32 s30, s30, s13
	v_cmp_ne_u32_e32 vcc, s7, v4
	s_addc_u32 s31, s31, s15
	v_lshrrev_b32_e32 v5, 4, v0
	v_cndmask_b32_e32 v4, -1, v2, vcc
	v_pk_mov_b32 v[2:3], s[30:31], s[30:31] op_sel:[0,1]
	v_mad_i64_i32 v[2:3], s[14:15], s14, v5, v[2:3]
	global_store_byte v[2:3], v4, off
.LBB479_28:
	s_or_b64 exec, exec, s[8:9]
	s_and_saveexec_b64 s[8:9], s[0:1]
	s_cbranch_execz .LBB479_30
; %bb.29:
	s_load_dwordx2 s[0:1], s[4:5], 0x0
	s_mul_hi_i32 s7, s12, s6
	s_mul_i32 s12, s12, s6
	v_lshlrev_b32_e32 v2, 2, v0
	s_mov_b32 s15, 0x20000
	s_waitcnt lgkmcnt(0)
	s_add_u32 s12, s0, s12
	s_addc_u32 s0, s1, s7
	s_lshr_b32 s1, s23, 31
	s_add_i32 s1, s23, s1
	s_ashr_i32 s1, s1, 1
	s_add_i32 s1, s1, 3
	s_ashr_i32 s7, s1, 31
	s_lshr_b32 s7, s7, 30
	s_add_i32 s1, s1, s7
	s_and_b32 s14, s1, -4
	s_and_b32 s13, s0, 0xffff
	v_mov_b32_e32 v3, 0
	buffer_store_dword v3, v2, s[12:15], 0 offen
	;;#ASMSTART
	s_nop 0
	;;#ASMEND
.LBB479_30:
	s_or_b64 exec, exec, s[8:9]
	s_cmp_lt_i32 s24, 1
	s_cbranch_scc1 .LBB479_17
.LBB479_31:
	s_load_dword s0, s[4:5], 0x94
	s_waitcnt lgkmcnt(0)
	s_cmp_lg_u32 s0, 1
	s_cbranch_scc1 .LBB479_17
; %bb.32:
	s_lshl_b32 s0, s24, 1
	s_add_i32 s0, s0, 2
	v_cmp_gt_u32_e32 vcc, s24, v1
	s_and_b32 s30, s0, -4
	v_mov_b32_e32 v10, 0
	v_lshlrev_b32_e32 v1, 4, v0
	v_mov_b32_e32 v6, 0
	v_mov_b32_e32 v7, 0
	;; [unrolled: 1-line block ×4, first 2 shown]
	s_waitcnt vmcnt(0)
	v_mov_b32_e32 v2, 0
	v_mov_b32_e32 v3, 0
	;; [unrolled: 1-line block ×4, first 2 shown]
	s_barrier
	s_and_saveexec_b64 s[0:1], vcc
	s_cbranch_execz .LBB479_34
; %bb.33:
	s_mul_hi_i32 s5, s26, s6
	s_mul_i32 s4, s26, s6
	s_and_b32 s29, s29, 0xffff
	s_lshl_b64 s[4:5], s[4:5], 1
	s_add_u32 s8, s10, s4
	s_mov_b32 s31, 0x20000
	s_addc_u32 s4, s11, s5
	s_and_b32 s9, s4, 0xffff
	s_mov_b32 s10, s30
	s_mov_b32 s11, s31
	buffer_load_dwordx4 v[6:9], v1, s[8:11], 0 offen glc slc
	buffer_load_dwordx4 v[2:5], v1, s[28:31], 0 offen
.LBB479_34:
	s_or_b64 exec, exec, s[0:1]
	v_mov_b32_e32 v11, 0
	v_mov_b32_e32 v16, 0
	;; [unrolled: 1-line block ×7, first 2 shown]
	s_and_saveexec_b64 s[0:1], vcc
	s_cbranch_execz .LBB479_36
; %bb.35:
	s_waitcnt vmcnt(1)
	v_cvt_f32_f16_sdwa v11, v6 dst_sel:DWORD dst_unused:UNUSED_PAD src0_sel:WORD_1
	v_cvt_f32_f16_e32 v10, v6
	v_cvt_f32_f16_sdwa v17, v7 dst_sel:DWORD dst_unused:UNUSED_PAD src0_sel:WORD_1
	v_cvt_f32_f16_e32 v16, v7
	;; [unrolled: 2-line block ×4, first 2 shown]
.LBB479_36:
	s_or_b64 exec, exec, s[0:1]
	s_waitcnt vmcnt(1)
	v_mul_f32_e32 v6, v11, v11
	v_fmac_f32_e32 v6, v10, v10
	v_fmac_f32_e32 v6, v16, v16
	;; [unrolled: 1-line block ×7, first 2 shown]
	s_nop 1
	v_mov_b32_dpp v7, v6 quad_perm:[1,0,3,2] row_mask:0xf bank_mask:0xf
	v_add_f32_e32 v6, v6, v7
	s_nop 1
	v_mov_b32_dpp v7, v6 quad_perm:[2,3,0,1] row_mask:0xf bank_mask:0xf
	v_add_f32_e32 v6, v6, v7
	s_nop 1
	v_mov_b32_dpp v7, v6 row_half_mirror row_mask:0xf bank_mask:0xf
	v_add_f32_e32 v6, v6, v7
	s_nop 1
	v_mov_b32_dpp v7, v6 row_mirror row_mask:0xf bank_mask:0xf
	v_add_f32_e32 v6, v6, v7
	s_nop 1
	v_mov_b32_dpp v7, v6 row_bcast:15 row_mask:0xf bank_mask:0xf
	v_add_f32_e32 v6, v6, v7
	s_nop 1
	v_mov_b32_dpp v7, v6 row_bcast:31 row_mask:0xf bank_mask:0xf
	s_and_saveexec_b64 s[0:1], s[2:3]
	s_cbranch_execz .LBB479_38
; %bb.37:
	v_lshrrev_b32_e32 v0, 4, v0
	v_add_f32_e32 v6, v6, v7
	v_and_b32_e32 v0, 60, v0
	ds_write_b32 v0, v6
.LBB479_38:
	s_or_b64 exec, exec, s[0:1]
	s_waitcnt lgkmcnt(0)
	s_barrier
	ds_read_b32 v0, v18
	s_waitcnt lgkmcnt(0)
	s_nop 0
	v_mov_b32_dpp v6, v0 quad_perm:[1,0,3,2] row_mask:0xf bank_mask:0xf
	v_add_f32_e32 v0, v0, v6
	s_nop 1
	v_mov_b32_dpp v6, v0 quad_perm:[2,3,0,1] row_mask:0xf bank_mask:0xf
	s_and_saveexec_b64 s[0:1], vcc
	s_cbranch_execz .LBB479_17
; %bb.39:
	v_cvt_f32_u32_e32 v7, s24
	v_add_f32_e32 v0, v0, v6
	s_mov_b32 s31, 0x20000
	v_div_scale_f32 v6, s[0:1], v7, v7, v0
	v_rcp_f32_e32 v8, v6
	v_div_scale_f32 v9, vcc, v0, v7, v0
	s_mov_b32 s0, 0x800000
	v_fma_f32 v18, -v6, v8, 1.0
	v_fmac_f32_e32 v8, v18, v8
	v_mul_f32_e32 v18, v9, v8
	v_fma_f32 v19, -v6, v18, v9
	v_fmac_f32_e32 v18, v19, v8
	v_fma_f32 v6, -v6, v18, v9
	v_div_fmas_f32 v6, v6, v8, v18
	v_div_fixup_f32 v0, v6, v7, v0
	v_add_f32_e32 v0, s21, v0
	v_mul_f32_e32 v6, 0x4b800000, v0
	v_cmp_gt_f32_e32 vcc, s0, v0
	v_cndmask_b32_e32 v0, v0, v6, vcc
	v_rsq_f32_e32 v0, v0
	s_waitcnt vmcnt(0)
	v_cvt_f32_f16_sdwa v19, v5 dst_sel:DWORD dst_unused:UNUSED_PAD src0_sel:WORD_1
	v_cvt_f32_f16_e32 v18, v5
	s_mul_hi_i32 s1, s16, s6
	v_mul_f32_e32 v6, 0x45800000, v0
	v_cndmask_b32_e32 v6, v0, v6, vcc
	v_mov_b32_e32 v7, v6
	;;#ASMSTART
	v_pk_mul_f32 v[8:9], v[10:11], v[6:7]
	;;#ASMEND
	;;#ASMSTART
	v_pk_mul_f32 v[10:11], v[16:17], v[6:7]
	;;#ASMEND
	;; [unrolled: 3-line block ×4, first 2 shown]
	v_cvt_f32_f16_sdwa v13, v2 dst_sel:DWORD dst_unused:UNUSED_PAD src0_sel:WORD_1
	v_cvt_f32_f16_e32 v12, v2
	v_cvt_f32_f16_sdwa v17, v3 dst_sel:DWORD dst_unused:UNUSED_PAD src0_sel:WORD_1
	v_cvt_f32_f16_e32 v16, v3
	;; [unrolled: 2-line block ×3, first 2 shown]
	;;#ASMSTART
	v_pk_mul_f32 v[4:5], v[8:9], v[12:13]
	;;#ASMEND
	;;#ASMSTART
	v_pk_mul_f32 v[8:9], v[10:11], v[16:17]
	;;#ASMEND
	;; [unrolled: 3-line block ×4, first 2 shown]
	s_mul_i32 s0, s16, s6
	v_cvt_f16_f32_e32 v0, v4
	v_cvt_f16_f32_e32 v4, v5
	;; [unrolled: 1-line block ×8, first 2 shown]
	s_lshl_b64 s[0:1], s[0:1], 1
	s_add_u32 s28, s18, s0
	s_addc_u32 s0, s19, s1
	s_and_b32 s29, s0, 0xffff
	v_pack_b32_f16 v2, v0, v4
	v_pack_b32_f16 v3, v5, v8
	;; [unrolled: 1-line block ×4, first 2 shown]
	buffer_store_dwordx4 v[2:5], v1, s[28:31], 0 offen
	;;#ASMSTART
	s_nop 0
	;;#ASMEND
	s_endpgm
	.section	.rodata,"a",@progbits
	.p2align	6, 0x0
	.amdhsa_kernel _ZN5aiter35fused_qk_rmsnorm_group_quant_kernelIDF16_N4opus5fp4_tELi256ELi8ELi16ELb1ELb1ELb0ELb0ELb0ELb0EEEvPT0_PvPT_S7_S7_PKS6_S9_S9_S9_S9_ffiiiiiiiiiiiii
		.amdhsa_group_segment_fixed_size 32
		.amdhsa_private_segment_fixed_size 0
		.amdhsa_kernarg_size 400
		.amdhsa_user_sgpr_count 6
		.amdhsa_user_sgpr_private_segment_buffer 1
		.amdhsa_user_sgpr_dispatch_ptr 0
		.amdhsa_user_sgpr_queue_ptr 0
		.amdhsa_user_sgpr_kernarg_segment_ptr 1
		.amdhsa_user_sgpr_dispatch_id 0
		.amdhsa_user_sgpr_flat_scratch_init 0
		.amdhsa_user_sgpr_kernarg_preload_length 0
		.amdhsa_user_sgpr_kernarg_preload_offset 0
		.amdhsa_user_sgpr_private_segment_size 0
		.amdhsa_uses_dynamic_stack 0
		.amdhsa_system_sgpr_private_segment_wavefront_offset 0
		.amdhsa_system_sgpr_workgroup_id_x 1
		.amdhsa_system_sgpr_workgroup_id_y 1
		.amdhsa_system_sgpr_workgroup_id_z 0
		.amdhsa_system_sgpr_workgroup_info 0
		.amdhsa_system_vgpr_workitem_id 0
		.amdhsa_next_free_vgpr 27
		.amdhsa_next_free_sgpr 44
		.amdhsa_accum_offset 28
		.amdhsa_reserve_vcc 1
		.amdhsa_reserve_flat_scratch 0
		.amdhsa_float_round_mode_32 0
		.amdhsa_float_round_mode_16_64 0
		.amdhsa_float_denorm_mode_32 3
		.amdhsa_float_denorm_mode_16_64 3
		.amdhsa_dx10_clamp 1
		.amdhsa_ieee_mode 1
		.amdhsa_fp16_overflow 0
		.amdhsa_tg_split 0
		.amdhsa_exception_fp_ieee_invalid_op 0
		.amdhsa_exception_fp_denorm_src 0
		.amdhsa_exception_fp_ieee_div_zero 0
		.amdhsa_exception_fp_ieee_overflow 0
		.amdhsa_exception_fp_ieee_underflow 0
		.amdhsa_exception_fp_ieee_inexact 0
		.amdhsa_exception_int_div_zero 0
	.end_amdhsa_kernel
	.section	.text._ZN5aiter35fused_qk_rmsnorm_group_quant_kernelIDF16_N4opus5fp4_tELi256ELi8ELi16ELb1ELb1ELb0ELb0ELb0ELb0EEEvPT0_PvPT_S7_S7_PKS6_S9_S9_S9_S9_ffiiiiiiiiiiiii,"axG",@progbits,_ZN5aiter35fused_qk_rmsnorm_group_quant_kernelIDF16_N4opus5fp4_tELi256ELi8ELi16ELb1ELb1ELb0ELb0ELb0ELb0EEEvPT0_PvPT_S7_S7_PKS6_S9_S9_S9_S9_ffiiiiiiiiiiiii,comdat
.Lfunc_end479:
	.size	_ZN5aiter35fused_qk_rmsnorm_group_quant_kernelIDF16_N4opus5fp4_tELi256ELi8ELi16ELb1ELb1ELb0ELb0ELb0ELb0EEEvPT0_PvPT_S7_S7_PKS6_S9_S9_S9_S9_ffiiiiiiiiiiiii, .Lfunc_end479-_ZN5aiter35fused_qk_rmsnorm_group_quant_kernelIDF16_N4opus5fp4_tELi256ELi8ELi16ELb1ELb1ELb0ELb0ELb0ELb0EEEvPT0_PvPT_S7_S7_PKS6_S9_S9_S9_S9_ffiiiiiiiiiiiii
                                        ; -- End function
	.section	.AMDGPU.csdata,"",@progbits
; Kernel info:
; codeLenInByte = 2836
; NumSgprs: 48
; NumVgprs: 27
; NumAgprs: 0
; TotalNumVgprs: 27
; ScratchSize: 0
; MemoryBound: 0
; FloatMode: 240
; IeeeMode: 1
; LDSByteSize: 32 bytes/workgroup (compile time only)
; SGPRBlocks: 5
; VGPRBlocks: 3
; NumSGPRsForWavesPerEU: 48
; NumVGPRsForWavesPerEU: 27
; AccumOffset: 28
; Occupancy: 8
; WaveLimiterHint : 0
; COMPUTE_PGM_RSRC2:SCRATCH_EN: 0
; COMPUTE_PGM_RSRC2:USER_SGPR: 6
; COMPUTE_PGM_RSRC2:TRAP_HANDLER: 0
; COMPUTE_PGM_RSRC2:TGID_X_EN: 1
; COMPUTE_PGM_RSRC2:TGID_Y_EN: 1
; COMPUTE_PGM_RSRC2:TGID_Z_EN: 0
; COMPUTE_PGM_RSRC2:TIDIG_COMP_CNT: 0
; COMPUTE_PGM_RSRC3_GFX90A:ACCUM_OFFSET: 6
; COMPUTE_PGM_RSRC3_GFX90A:TG_SPLIT: 0
	.section	.text._ZN5aiter35fused_qk_rmsnorm_group_quant_kernelItN4opus5fp4_tELi256ELi8ELi16ELb1ELb1ELb0ELb0ELb0ELb0EEEvPT0_PvPT_S7_S7_PKS6_S9_S9_S9_S9_ffiiiiiiiiiiiii,"axG",@progbits,_ZN5aiter35fused_qk_rmsnorm_group_quant_kernelItN4opus5fp4_tELi256ELi8ELi16ELb1ELb1ELb0ELb0ELb0ELb0EEEvPT0_PvPT_S7_S7_PKS6_S9_S9_S9_S9_ffiiiiiiiiiiiii,comdat
	.protected	_ZN5aiter35fused_qk_rmsnorm_group_quant_kernelItN4opus5fp4_tELi256ELi8ELi16ELb1ELb1ELb0ELb0ELb0ELb0EEEvPT0_PvPT_S7_S7_PKS6_S9_S9_S9_S9_ffiiiiiiiiiiiii ; -- Begin function _ZN5aiter35fused_qk_rmsnorm_group_quant_kernelItN4opus5fp4_tELi256ELi8ELi16ELb1ELb1ELb0ELb0ELb0ELb0EEEvPT0_PvPT_S7_S7_PKS6_S9_S9_S9_S9_ffiiiiiiiiiiiii
	.globl	_ZN5aiter35fused_qk_rmsnorm_group_quant_kernelItN4opus5fp4_tELi256ELi8ELi16ELb1ELb1ELb0ELb0ELb0ELb0EEEvPT0_PvPT_S7_S7_PKS6_S9_S9_S9_S9_ffiiiiiiiiiiiii
	.p2align	8
	.type	_ZN5aiter35fused_qk_rmsnorm_group_quant_kernelItN4opus5fp4_tELi256ELi8ELi16ELb1ELb1ELb0ELb0ELb0ELb0EEEvPT0_PvPT_S7_S7_PKS6_S9_S9_S9_S9_ffiiiiiiiiiiiii,@function
_ZN5aiter35fused_qk_rmsnorm_group_quant_kernelItN4opus5fp4_tELi256ELi8ELi16ELb1ELb1ELb0ELb0ELb0ELb0EEEvPT0_PvPT_S7_S7_PKS6_S9_S9_S9_S9_ffiiiiiiiiiiiii: ; @_ZN5aiter35fused_qk_rmsnorm_group_quant_kernelItN4opus5fp4_tELi256ELi8ELi16ELb1ELb1ELb0ELb0ELb0ELb0EEEvPT0_PvPT_S7_S7_PKS6_S9_S9_S9_S9_ffiiiiiiiiiiiii
; %bb.0:
	s_load_dwordx8 s[20:27], s[4:5], 0x50
	s_waitcnt lgkmcnt(0)
	s_cmp_ge_i32 s6, s22
	s_cbranch_scc1 .LBB480_17
; %bb.1:
	s_cmp_lg_u32 s7, 0
	s_cselect_b64 s[30:31], -1, 0
	s_cmp_eq_u32 s7, 0
	s_cselect_b64 s[8:9], -1, 0
	s_and_b64 s[0:1], s[8:9], exec
	s_load_dwordx2 s[28:29], s[4:5], 0x48
	s_load_dwordx2 s[10:11], s[4:5], 0x30
	s_load_dwordx8 s[12:19], s[4:5], 0x70
	s_cselect_b32 s7, s23, s24
	s_add_i32 s0, s7, 1
	s_lshr_b32 s1, s0, 31
	s_add_i32 s0, s0, s1
	s_lshl_b32 s0, s0, 1
	v_lshlrev_b32_e32 v1, 3, v0
	s_and_b32 s38, s0, -4
	v_cmp_gt_i32_e64 s[0:1], s7, v1
	v_mov_b32_e32 v10, 0
	v_mov_b32_e32 v11, 0
	;; [unrolled: 1-line block ×8, first 2 shown]
	s_and_saveexec_b64 s[2:3], s[0:1]
	s_cbranch_execz .LBB480_3
; %bb.2:
	s_waitcnt lgkmcnt(0)
	s_load_dwordx2 s[18:19], s[4:5], 0x28
	s_load_dwordx2 s[34:35], s[4:5], 0x40
	s_and_b64 s[36:37], s[8:9], exec
	s_cselect_b32 s22, s25, s26
	s_mov_b32 s39, 0x20000
	s_waitcnt lgkmcnt(0)
	s_cselect_b32 s25, s19, s11
	s_cselect_b32 s33, s18, s10
	s_mul_hi_i32 s19, s22, s6
	s_mul_i32 s18, s22, s6
	s_lshl_b64 s[18:19], s[18:19], 1
	s_add_u32 s40, s33, s18
	s_addc_u32 s22, s25, s19
	s_and_b64 s[18:19], s[8:9], exec
	s_cselect_b32 s36, s34, s28
	s_cselect_b32 s18, s35, s29
	v_lshlrev_b32_e32 v2, 4, v0
	s_and_b32 s41, s22, 0xffff
	s_mov_b32 s42, s38
	s_mov_b32 s43, s39
	s_and_b32 s37, s18, 0xffff
	buffer_load_dwordx4 v[14:17], v2, s[40:43], 0 offen glc slc
	buffer_load_dwordx4 v[10:13], v2, s[36:39], 0 offen
.LBB480_3:
	s_or_b64 exec, exec, s[2:3]
	s_and_b64 vcc, exec, s[30:31]
	s_cbranch_vccz .LBB480_7
; %bb.4:
	s_mov_b32 s40, 0
	s_mov_b32 s41, s40
	;; [unrolled: 1-line block ×8, first 2 shown]
	v_pk_mov_b32 v[2:3], s[40:41], s[40:41] op_sel:[0,1]
	v_pk_mov_b32 v[4:5], s[42:43], s[42:43] op_sel:[0,1]
	;; [unrolled: 1-line block ×4, first 2 shown]
	s_and_saveexec_b64 s[2:3], s[0:1]
	s_cbranch_execz .LBB480_6
; %bb.5:
	s_waitcnt vmcnt(1)
	v_cvt_f32_u32_sdwa v3, v14 dst_sel:DWORD dst_unused:UNUSED_PAD src0_sel:WORD_1
	v_cvt_f32_u32_sdwa v2, v14 dst_sel:DWORD dst_unused:UNUSED_PAD src0_sel:WORD_0
	v_cvt_f32_u32_sdwa v5, v15 dst_sel:DWORD dst_unused:UNUSED_PAD src0_sel:WORD_1
	v_cvt_f32_u32_sdwa v4, v15 dst_sel:DWORD dst_unused:UNUSED_PAD src0_sel:WORD_0
	v_cvt_f32_u32_sdwa v7, v16 dst_sel:DWORD dst_unused:UNUSED_PAD src0_sel:WORD_1
	v_cvt_f32_u32_sdwa v6, v16 dst_sel:DWORD dst_unused:UNUSED_PAD src0_sel:WORD_0
	v_cvt_f32_u32_sdwa v9, v17 dst_sel:DWORD dst_unused:UNUSED_PAD src0_sel:WORD_1
	v_cvt_f32_u32_sdwa v8, v17 dst_sel:DWORD dst_unused:UNUSED_PAD src0_sel:WORD_0
.LBB480_6:
	s_or_b64 exec, exec, s[2:3]
	s_cbranch_execz .LBB480_8
	s_branch .LBB480_11
.LBB480_7:
                                        ; implicit-def: $vgpr2_vgpr3_vgpr4_vgpr5_vgpr6_vgpr7_vgpr8_vgpr9
.LBB480_8:
	s_mov_b32 s40, 0
	s_mov_b32 s41, s40
	;; [unrolled: 1-line block ×8, first 2 shown]
	v_pk_mov_b32 v[2:3], s[40:41], s[40:41] op_sel:[0,1]
	v_pk_mov_b32 v[4:5], s[42:43], s[42:43] op_sel:[0,1]
	;; [unrolled: 1-line block ×4, first 2 shown]
	s_and_saveexec_b64 s[2:3], s[0:1]
	s_cbranch_execz .LBB480_10
; %bb.9:
	s_waitcnt lgkmcnt(0)
	s_load_dwordx2 s[18:19], s[4:5], 0x38
	s_mul_hi_i32 s35, s27, s6
	s_mul_i32 s34, s27, s6
	s_lshl_b64 s[34:35], s[34:35], 1
	s_mov_b32 s39, 0x20000
	s_waitcnt lgkmcnt(0)
	s_add_u32 s36, s18, s34
	s_addc_u32 s18, s19, s35
	s_and_b32 s37, s18, 0xffff
	v_lshlrev_b32_e32 v26, 4, v0
	buffer_load_dwordx4 v[2:5], v26, s[36:39], 0 offen glc slc
	s_load_dwordx2 s[18:19], s[4:5], 0x20
	s_waitcnt vmcnt(2)
	v_cvt_f32_u32_sdwa v7, v14 dst_sel:DWORD dst_unused:UNUSED_PAD src0_sel:WORD_1
	v_cvt_f32_u32_sdwa v6, v14 dst_sel:DWORD dst_unused:UNUSED_PAD src0_sel:WORD_0
	v_cvt_f32_u32_sdwa v9, v15 dst_sel:DWORD dst_unused:UNUSED_PAD src0_sel:WORD_1
	v_cvt_f32_u32_sdwa v8, v15 dst_sel:DWORD dst_unused:UNUSED_PAD src0_sel:WORD_0
	;; [unrolled: 2-line block ×4, first 2 shown]
	s_mul_hi_i32 s35, s17, s6
	s_mul_i32 s34, s17, s6
	s_lshl_b64 s[34:35], s[34:35], 1
	s_waitcnt lgkmcnt(0)
	s_add_u32 s36, s18, s34
	s_mov_b32 s17, 0x7060302
	s_addc_u32 s18, s19, s35
	s_and_b32 s37, s18, 0xffff
	s_waitcnt vmcnt(0)
	v_cvt_f32_u32_sdwa v17, v2 dst_sel:DWORD dst_unused:UNUSED_PAD src0_sel:WORD_1
	v_cvt_f32_u32_sdwa v16, v2 dst_sel:DWORD dst_unused:UNUSED_PAD src0_sel:WORD_0
	v_cvt_f32_u32_sdwa v21, v3 dst_sel:DWORD dst_unused:UNUSED_PAD src0_sel:WORD_1
	v_cvt_f32_u32_sdwa v20, v3 dst_sel:DWORD dst_unused:UNUSED_PAD src0_sel:WORD_0
	;; [unrolled: 2-line block ×4, first 2 shown]
	v_pk_add_f32 v[2:3], v[6:7], v[16:17]
	v_pk_add_f32 v[4:5], v[8:9], v[20:21]
	;; [unrolled: 1-line block ×4, first 2 shown]
	v_perm_b32 v17, v9, v8, s17
	v_perm_b32 v16, v7, v6, s17
	;; [unrolled: 1-line block ×4, first 2 shown]
	buffer_store_dwordx4 v[14:17], v26, s[36:39], 0 offen glc slc
	;;#ASMSTART
	s_nop 0
	;;#ASMEND
.LBB480_10:
	s_or_b64 exec, exec, s[2:3]
.LBB480_11:
	s_waitcnt vmcnt(1)
	v_mul_f32_e32 v14, v3, v3
	v_fmac_f32_e32 v14, v2, v2
	v_fmac_f32_e32 v14, v4, v4
	;; [unrolled: 1-line block ×7, first 2 shown]
	v_and_b32_e32 v16, 63, v0
	v_cmp_eq_u32_e64 s[2:3], 63, v16
	v_mov_b32_dpp v15, v14 quad_perm:[1,0,3,2] row_mask:0xf bank_mask:0xf
	v_add_f32_e32 v14, v14, v15
	s_nop 1
	v_mov_b32_dpp v15, v14 quad_perm:[2,3,0,1] row_mask:0xf bank_mask:0xf
	v_add_f32_e32 v14, v14, v15
	s_nop 1
	v_mov_b32_dpp v15, v14 row_half_mirror row_mask:0xf bank_mask:0xf
	v_add_f32_e32 v14, v14, v15
	s_nop 1
	v_mov_b32_dpp v15, v14 row_mirror row_mask:0xf bank_mask:0xf
	v_add_f32_e32 v14, v14, v15
	s_nop 1
	v_mov_b32_dpp v15, v14 row_bcast:15 row_mask:0xf bank_mask:0xf
	v_add_f32_e32 v14, v14, v15
	s_nop 1
	v_mov_b32_dpp v15, v14 row_bcast:31 row_mask:0xf bank_mask:0xf
	s_waitcnt lgkmcnt(0)
	s_and_saveexec_b64 s[18:19], s[2:3]
	s_cbranch_execz .LBB480_13
; %bb.12:
	v_add_f32_e32 v14, v14, v15
	v_lshrrev_b32_e32 v15, 4, v0
	v_and_b32_e32 v15, 60, v15
	ds_write_b32 v15, v14 offset:16
.LBB480_13:
	s_or_b64 exec, exec, s[18:19]
	v_and_b32_e32 v14, 3, v0
	v_lshlrev_b32_e32 v14, 2, v14
	s_waitcnt lgkmcnt(0)
	s_barrier
	ds_read_b32 v15, v14 offset:16
	s_load_dwordx2 s[18:19], s[4:5], 0x18
	s_waitcnt lgkmcnt(0)
	v_mov_b32_dpp v16, v15 quad_perm:[1,0,3,2] row_mask:0xf bank_mask:0xf
	v_add_f32_e32 v15, v15, v16
	s_nop 1
	v_mov_b32_dpp v16, v15 quad_perm:[2,3,0,1] row_mask:0xf bank_mask:0xf
	s_and_saveexec_b64 s[34:35], s[0:1]
	s_cbranch_execnz .LBB480_18
; %bb.14:
	s_or_b64 exec, exec, s[34:35]
	s_mov_b64 s[8:9], -1
	s_and_b64 vcc, exec, s[30:31]
	s_cbranch_vccnz .LBB480_19
.LBB480_15:
	s_andn2_b64 vcc, exec, s[8:9]
	s_cbranch_vccz .LBB480_22
.LBB480_16:
	s_cmp_lt_i32 s24, 1
	s_cbranch_scc0 .LBB480_31
.LBB480_17:
	s_endpgm
.LBB480_18:
	v_cvt_f32_u32_e32 v17, s7
	v_add_f32_e32 v15, v15, v16
	v_mov_b32_e32 v19, s21
	v_mov_b32_e32 v20, s20
	v_div_scale_f32 v16, s[36:37], v17, v17, v15
	v_rcp_f32_e32 v18, v16
	v_cndmask_b32_e64 v19, v19, v20, s[8:9]
	s_mov_b32 s7, 0x800000
	v_fma_f32 v20, -v16, v18, 1.0
	v_fmac_f32_e32 v18, v20, v18
	v_div_scale_f32 v20, vcc, v15, v17, v15
	v_mul_f32_e32 v21, v20, v18
	v_fma_f32 v22, -v16, v21, v20
	v_fmac_f32_e32 v21, v22, v18
	v_fma_f32 v16, -v16, v21, v20
	v_div_fmas_f32 v16, v16, v18, v21
	v_div_fixup_f32 v15, v16, v17, v15
	v_add_f32_e32 v15, v19, v15
	v_mul_f32_e32 v16, 0x4b800000, v15
	v_cmp_gt_f32_e32 vcc, s7, v15
	v_cndmask_b32_e32 v15, v15, v16, vcc
	v_rsq_f32_e32 v15, v15
	s_waitcnt vmcnt(0)
	v_cvt_f32_u32_sdwa v19, v11 dst_sel:DWORD dst_unused:UNUSED_PAD src0_sel:WORD_1
	v_cvt_f32_u32_sdwa v18, v11 dst_sel:DWORD dst_unused:UNUSED_PAD src0_sel:WORD_0
	v_cvt_f32_u32_sdwa v11, v12 dst_sel:DWORD dst_unused:UNUSED_PAD src0_sel:WORD_1
	v_mul_f32_e32 v16, 0x45800000, v15
	v_cndmask_b32_e32 v16, v15, v16, vcc
	v_mov_b32_e32 v17, v16
	;;#ASMSTART
	v_pk_mul_f32 v[2:3], v[2:3], v[16:17]
	;;#ASMEND
	;;#ASMSTART
	v_pk_mul_f32 v[4:5], v[4:5], v[16:17]
	;;#ASMEND
	;; [unrolled: 3-line block ×4, first 2 shown]
	v_cvt_f32_u32_sdwa v17, v10 dst_sel:DWORD dst_unused:UNUSED_PAD src0_sel:WORD_1
	v_cvt_f32_u32_sdwa v16, v10 dst_sel:DWORD dst_unused:UNUSED_PAD src0_sel:WORD_0
	v_cvt_f32_u32_sdwa v10, v12 dst_sel:DWORD dst_unused:UNUSED_PAD src0_sel:WORD_0
	v_cvt_f32_u32_sdwa v21, v13 dst_sel:DWORD dst_unused:UNUSED_PAD src0_sel:WORD_1
	v_cvt_f32_u32_sdwa v20, v13 dst_sel:DWORD dst_unused:UNUSED_PAD src0_sel:WORD_0
	;;#ASMSTART
	v_pk_mul_f32 v[2:3], v[2:3], v[16:17]
	;;#ASMEND
	;;#ASMSTART
	v_pk_mul_f32 v[4:5], v[4:5], v[18:19]
	;;#ASMEND
	;; [unrolled: 3-line block ×4, first 2 shown]
	s_or_b64 exec, exec, s[34:35]
	s_mov_b64 s[8:9], -1
	s_and_b64 vcc, exec, s[30:31]
	s_cbranch_vccz .LBB480_15
.LBB480_19:
	s_and_saveexec_b64 s[8:9], s[0:1]
	s_cbranch_execz .LBB480_21
; %bb.20:
	s_mul_hi_i32 s31, s16, s6
	s_mul_i32 s30, s16, s6
	s_lshl_b64 s[30:31], s[30:31], 1
	s_add_u32 s36, s18, s30
	s_addc_u32 s7, s19, s31
	s_and_b32 s37, s7, 0xffff
	s_mov_b32 s7, 0x7060302
	s_mov_b32 s39, 0x20000
	s_waitcnt vmcnt(0)
	v_perm_b32 v10, v3, v2, s7
	v_perm_b32 v11, v5, v4, s7
	;; [unrolled: 1-line block ×4, first 2 shown]
	v_lshlrev_b32_e32 v15, 4, v0
	buffer_store_dwordx4 v[10:13], v15, s[36:39], 0 offen
	;;#ASMSTART
	s_nop 0
	;;#ASMEND
.LBB480_21:
	s_or_b64 exec, exec, s[8:9]
	s_cbranch_execnz .LBB480_16
.LBB480_22:
	s_waitcnt vmcnt(0)
	v_mov_b32_e32 v10, 0
	s_and_saveexec_b64 s[8:9], s[0:1]
	s_cbranch_execz .LBB480_24
; %bb.23:
	s_load_dwordx2 s[30:31], s[4:5], 0x10
	s_mul_hi_i32 s35, s15, s6
	s_mul_i32 s34, s15, s6
	s_lshl_b64 s[34:35], s[34:35], 1
	s_mov_b32 s39, 0x20000
	s_waitcnt lgkmcnt(0)
	s_add_u32 s36, s30, s34
	s_addc_u32 s7, s31, s35
	s_and_b32 s37, s7, 0xffff
	s_mov_b32 s7, 0x7060302
	v_perm_b32 v10, v3, v2, s7
	v_perm_b32 v11, v5, v4, s7
	;; [unrolled: 1-line block ×4, first 2 shown]
	v_lshlrev_b32_e32 v15, 4, v0
	buffer_store_dwordx4 v[10:13], v15, s[36:39], 0 offen
	;;#ASMSTART
	s_nop 0
	;;#ASMEND
	s_nop 0
	v_mov_b32_e32 v10, 0x2edbe6ff
.LBB480_24:
	s_or_b64 exec, exec, s[8:9]
	s_and_saveexec_b64 s[8:9], s[0:1]
	s_cbranch_execz .LBB480_26
; %bb.25:
	v_and_b32_e32 v2, 0x7fffffff, v2
	v_and_b32_e32 v3, 0x7fffffff, v3
	;;#ASMSTART
	v_max3_f32 v2, v10, v2, v3

	;;#ASMEND
	v_and_b32_e32 v3, 0x7fffffff, v4
	v_and_b32_e32 v4, 0x7fffffff, v5
	;;#ASMSTART
	v_max3_f32 v2, v2, v3, v4

	;;#ASMEND
	;; [unrolled: 6-line block ×4, first 2 shown]
.LBB480_26:
	s_or_b64 exec, exec, s[8:9]
	;;#ASMSTART
	v_max_f32 v2, v10, v10 quad_perm:[1,0,3,2] row_mask:0xf bank_mask:0xf bound_ctrl:1
	;;#ASMEND
	;;#ASMSTART
	v_max_f32 v3, v2, v2 quad_perm:[2,3,0,1] row_mask:0xf bank_mask:0xf bound_ctrl:1
	;;#ASMEND
	;;#ASMSTART
	v_max_f32 v4, v3, v3 row_half_mirror row_mask:0xf bank_mask:0xf bound_ctrl:1
	;;#ASMEND
	v_and_b32_e32 v3, 15, v0
	v_cmp_eq_u32_e32 vcc, 0, v3
	v_cmp_gt_i32_e64 s[8:9], s23, v1
	s_and_b64 s[30:31], vcc, s[8:9]
	;;#ASMSTART
	v_max_f32 v2, v4, v4 row_mirror row_mask:0xf bank_mask:0xf bound_ctrl:1
	;;#ASMEND
	s_and_saveexec_b64 s[8:9], s[30:31]
	s_cbranch_execz .LBB480_28
; %bb.27:
	s_load_dwordx2 s[30:31], s[4:5], 0x8
	v_mul_f32_e32 v2, 0x3e2aaaab, v2
	v_lshrrev_b32_e32 v3, 23, v2
	v_and_b32_e32 v4, 0x7f800000, v2
	v_and_b32_e32 v2, 0x7fffff, v2
	v_cmp_ne_u32_e32 vcc, 0, v2
	s_mul_hi_i32 s15, s13, s6
	s_mul_i32 s13, s13, s6
	s_mov_b32 s7, 0x7f800000
	v_addc_co_u32_e32 v2, vcc, 0, v3, vcc
	s_waitcnt lgkmcnt(0)
	s_add_u32 s30, s30, s13
	v_cmp_ne_u32_e32 vcc, s7, v4
	s_addc_u32 s31, s31, s15
	v_lshrrev_b32_e32 v5, 4, v0
	v_cndmask_b32_e32 v4, -1, v2, vcc
	v_pk_mov_b32 v[2:3], s[30:31], s[30:31] op_sel:[0,1]
	v_mad_i64_i32 v[2:3], s[14:15], s14, v5, v[2:3]
	global_store_byte v[2:3], v4, off
.LBB480_28:
	s_or_b64 exec, exec, s[8:9]
	s_and_saveexec_b64 s[8:9], s[0:1]
	s_cbranch_execz .LBB480_30
; %bb.29:
	s_load_dwordx2 s[0:1], s[4:5], 0x0
	s_mul_hi_i32 s7, s12, s6
	s_mul_i32 s12, s12, s6
	v_lshlrev_b32_e32 v2, 2, v0
	s_mov_b32 s15, 0x20000
	s_waitcnt lgkmcnt(0)
	s_add_u32 s12, s0, s12
	s_addc_u32 s0, s1, s7
	s_lshr_b32 s1, s23, 31
	s_add_i32 s1, s23, s1
	s_ashr_i32 s1, s1, 1
	s_add_i32 s1, s1, 3
	s_ashr_i32 s7, s1, 31
	s_lshr_b32 s7, s7, 30
	s_add_i32 s1, s1, s7
	s_and_b32 s14, s1, -4
	s_and_b32 s13, s0, 0xffff
	v_mov_b32_e32 v3, 0
	buffer_store_dword v3, v2, s[12:15], 0 offen
	;;#ASMSTART
	s_nop 0
	;;#ASMEND
.LBB480_30:
	s_or_b64 exec, exec, s[8:9]
	s_cmp_lt_i32 s24, 1
	s_cbranch_scc1 .LBB480_17
.LBB480_31:
	s_load_dword s0, s[4:5], 0x94
	s_waitcnt lgkmcnt(0)
	s_cmp_lg_u32 s0, 1
	s_cbranch_scc1 .LBB480_17
; %bb.32:
	s_lshl_b32 s0, s24, 1
	s_add_i32 s0, s0, 2
	v_cmp_gt_u32_e32 vcc, s24, v1
	s_and_b32 s30, s0, -4
	v_mov_b32_e32 v6, 0
	v_lshlrev_b32_e32 v1, 4, v0
	v_mov_b32_e32 v7, 0
	v_mov_b32_e32 v8, 0
	;; [unrolled: 1-line block ×7, first 2 shown]
	s_barrier
	s_and_saveexec_b64 s[0:1], vcc
	s_cbranch_execz .LBB480_34
; %bb.33:
	s_mul_hi_i32 s5, s26, s6
	s_mul_i32 s4, s26, s6
	s_and_b32 s29, s29, 0xffff
	s_lshl_b64 s[4:5], s[4:5], 1
	s_add_u32 s8, s10, s4
	s_mov_b32 s31, 0x20000
	s_addc_u32 s4, s11, s5
	s_and_b32 s9, s4, 0xffff
	s_mov_b32 s10, s30
	s_mov_b32 s11, s31
	buffer_load_dwordx4 v[6:9], v1, s[8:11], 0 offen glc slc
	buffer_load_dwordx4 v[2:5], v1, s[28:31], 0 offen
.LBB480_34:
	s_or_b64 exec, exec, s[0:1]
	s_waitcnt vmcnt(0)
	v_cvt_f32_u32_sdwa v13, v6 dst_sel:DWORD dst_unused:UNUSED_PAD src0_sel:WORD_1
	v_cvt_f32_u32_sdwa v12, v6 dst_sel:DWORD dst_unused:UNUSED_PAD src0_sel:WORD_0
	v_cvt_f32_u32_sdwa v6, v9 dst_sel:DWORD dst_unused:UNUSED_PAD src0_sel:WORD_1
	v_cvt_f32_u32_sdwa v9, v9 dst_sel:DWORD dst_unused:UNUSED_PAD src0_sel:WORD_0
	;; [unrolled: 2-line block ×4, first 2 shown]
	v_cndmask_b32_e32 v13, 0, v13, vcc
	v_cndmask_b32_e32 v7, 0, v6, vcc
	;; [unrolled: 1-line block ×5, first 2 shown]
	v_mul_f32_e32 v15, v13, v13
	v_cndmask_b32_e32 v10, 0, v10, vcc
	v_fmac_f32_e32 v15, v12, v12
	v_cndmask_b32_e32 v11, 0, v11, vcc
	v_fmac_f32_e32 v15, v10, v10
	;; [unrolled: 2-line block ×3, first 2 shown]
	v_fmac_f32_e32 v15, v8, v8
	v_fmac_f32_e32 v15, v9, v9
	;; [unrolled: 1-line block ×4, first 2 shown]
	s_nop 1
	v_mov_b32_dpp v16, v15 quad_perm:[1,0,3,2] row_mask:0xf bank_mask:0xf
	v_add_f32_e32 v15, v15, v16
	s_nop 1
	v_mov_b32_dpp v16, v15 quad_perm:[2,3,0,1] row_mask:0xf bank_mask:0xf
	v_add_f32_e32 v15, v15, v16
	s_nop 1
	v_mov_b32_dpp v16, v15 row_half_mirror row_mask:0xf bank_mask:0xf
	v_add_f32_e32 v15, v15, v16
	s_nop 1
	v_mov_b32_dpp v16, v15 row_mirror row_mask:0xf bank_mask:0xf
	v_add_f32_e32 v15, v15, v16
	s_nop 1
	v_mov_b32_dpp v16, v15 row_bcast:15 row_mask:0xf bank_mask:0xf
	v_add_f32_e32 v15, v15, v16
	s_nop 1
	v_mov_b32_dpp v16, v15 row_bcast:31 row_mask:0xf bank_mask:0xf
	s_and_saveexec_b64 s[0:1], s[2:3]
	s_cbranch_execz .LBB480_36
; %bb.35:
	v_lshrrev_b32_e32 v0, 4, v0
	v_add_f32_e32 v15, v15, v16
	v_and_b32_e32 v0, 60, v0
	ds_write_b32 v0, v15
.LBB480_36:
	s_or_b64 exec, exec, s[0:1]
	s_waitcnt lgkmcnt(0)
	s_barrier
	ds_read_b32 v0, v14
	s_waitcnt lgkmcnt(0)
	s_nop 0
	v_mov_b32_dpp v14, v0 quad_perm:[1,0,3,2] row_mask:0xf bank_mask:0xf
	v_add_f32_e32 v0, v0, v14
	s_nop 1
	v_mov_b32_dpp v14, v0 quad_perm:[2,3,0,1] row_mask:0xf bank_mask:0xf
	s_and_saveexec_b64 s[0:1], vcc
	s_cbranch_execz .LBB480_17
; %bb.37:
	v_cvt_f32_u32_e32 v15, s24
	v_add_f32_e32 v0, v0, v14
	s_mov_b32 s31, 0x20000
	v_div_scale_f32 v14, s[0:1], v15, v15, v0
	v_rcp_f32_e32 v16, v14
	v_div_scale_f32 v17, vcc, v0, v15, v0
	s_mov_b32 s0, 0x800000
	v_fma_f32 v18, -v14, v16, 1.0
	v_fmac_f32_e32 v16, v18, v16
	v_mul_f32_e32 v18, v17, v16
	v_fma_f32 v19, -v14, v18, v17
	v_fmac_f32_e32 v18, v19, v16
	v_fma_f32 v14, -v14, v18, v17
	v_div_fmas_f32 v14, v14, v16, v18
	v_div_fixup_f32 v0, v14, v15, v0
	v_add_f32_e32 v0, s21, v0
	v_mul_f32_e32 v14, 0x4b800000, v0
	v_cmp_gt_f32_e32 vcc, s0, v0
	v_cndmask_b32_e32 v0, v0, v14, vcc
	v_rsq_f32_e32 v0, v0
	s_mul_hi_i32 s1, s16, s6
	s_mul_i32 s0, s16, s6
	s_lshl_b64 s[0:1], s[0:1], 1
	v_mul_f32_e32 v14, 0x45800000, v0
	v_cndmask_b32_e32 v14, v0, v14, vcc
	s_add_u32 s28, s18, s0
	v_mov_b32_e32 v15, v14
	s_addc_u32 s0, s19, s1
	;;#ASMSTART
	v_pk_mul_f32 v[12:13], v[12:13], v[14:15]
	;;#ASMEND
	;;#ASMSTART
	v_pk_mul_f32 v[10:11], v[10:11], v[14:15]
	;;#ASMEND
	;; [unrolled: 3-line block ×4, first 2 shown]
	v_cvt_f32_u32_sdwa v15, v2 dst_sel:DWORD dst_unused:UNUSED_PAD src0_sel:WORD_1
	v_cvt_f32_u32_sdwa v14, v2 dst_sel:DWORD dst_unused:UNUSED_PAD src0_sel:WORD_0
	v_cvt_f32_u32_sdwa v17, v3 dst_sel:DWORD dst_unused:UNUSED_PAD src0_sel:WORD_1
	v_cvt_f32_u32_sdwa v16, v3 dst_sel:DWORD dst_unused:UNUSED_PAD src0_sel:WORD_0
	;; [unrolled: 2-line block ×4, first 2 shown]
	;;#ASMSTART
	v_pk_mul_f32 v[4:5], v[12:13], v[14:15]
	;;#ASMEND
	s_and_b32 s29, s0, 0xffff
	s_mov_b32 s0, 0x7060302
	;;#ASMSTART
	v_pk_mul_f32 v[10:11], v[10:11], v[16:17]
	;;#ASMEND
	;;#ASMSTART
	v_pk_mul_f32 v[8:9], v[8:9], v[2:3]
	;;#ASMEND
	;;#ASMSTART
	v_pk_mul_f32 v[6:7], v[6:7], v[18:19]
	;;#ASMEND
	v_perm_b32 v2, v5, v4, s0
	v_perm_b32 v3, v11, v10, s0
	;; [unrolled: 1-line block ×4, first 2 shown]
	buffer_store_dwordx4 v[2:5], v1, s[28:31], 0 offen
	;;#ASMSTART
	s_nop 0
	;;#ASMEND
	s_endpgm
	.section	.rodata,"a",@progbits
	.p2align	6, 0x0
	.amdhsa_kernel _ZN5aiter35fused_qk_rmsnorm_group_quant_kernelItN4opus5fp4_tELi256ELi8ELi16ELb1ELb1ELb0ELb0ELb0ELb0EEEvPT0_PvPT_S7_S7_PKS6_S9_S9_S9_S9_ffiiiiiiiiiiiii
		.amdhsa_group_segment_fixed_size 32
		.amdhsa_private_segment_fixed_size 0
		.amdhsa_kernarg_size 400
		.amdhsa_user_sgpr_count 6
		.amdhsa_user_sgpr_private_segment_buffer 1
		.amdhsa_user_sgpr_dispatch_ptr 0
		.amdhsa_user_sgpr_queue_ptr 0
		.amdhsa_user_sgpr_kernarg_segment_ptr 1
		.amdhsa_user_sgpr_dispatch_id 0
		.amdhsa_user_sgpr_flat_scratch_init 0
		.amdhsa_user_sgpr_kernarg_preload_length 0
		.amdhsa_user_sgpr_kernarg_preload_offset 0
		.amdhsa_user_sgpr_private_segment_size 0
		.amdhsa_uses_dynamic_stack 0
		.amdhsa_system_sgpr_private_segment_wavefront_offset 0
		.amdhsa_system_sgpr_workgroup_id_x 1
		.amdhsa_system_sgpr_workgroup_id_y 1
		.amdhsa_system_sgpr_workgroup_id_z 0
		.amdhsa_system_sgpr_workgroup_info 0
		.amdhsa_system_vgpr_workitem_id 0
		.amdhsa_next_free_vgpr 27
		.amdhsa_next_free_sgpr 48
		.amdhsa_accum_offset 28
		.amdhsa_reserve_vcc 1
		.amdhsa_reserve_flat_scratch 0
		.amdhsa_float_round_mode_32 0
		.amdhsa_float_round_mode_16_64 0
		.amdhsa_float_denorm_mode_32 3
		.amdhsa_float_denorm_mode_16_64 3
		.amdhsa_dx10_clamp 1
		.amdhsa_ieee_mode 1
		.amdhsa_fp16_overflow 0
		.amdhsa_tg_split 0
		.amdhsa_exception_fp_ieee_invalid_op 0
		.amdhsa_exception_fp_denorm_src 0
		.amdhsa_exception_fp_ieee_div_zero 0
		.amdhsa_exception_fp_ieee_overflow 0
		.amdhsa_exception_fp_ieee_underflow 0
		.amdhsa_exception_fp_ieee_inexact 0
		.amdhsa_exception_int_div_zero 0
	.end_amdhsa_kernel
	.section	.text._ZN5aiter35fused_qk_rmsnorm_group_quant_kernelItN4opus5fp4_tELi256ELi8ELi16ELb1ELb1ELb0ELb0ELb0ELb0EEEvPT0_PvPT_S7_S7_PKS6_S9_S9_S9_S9_ffiiiiiiiiiiiii,"axG",@progbits,_ZN5aiter35fused_qk_rmsnorm_group_quant_kernelItN4opus5fp4_tELi256ELi8ELi16ELb1ELb1ELb0ELb0ELb0ELb0EEEvPT0_PvPT_S7_S7_PKS6_S9_S9_S9_S9_ffiiiiiiiiiiiii,comdat
.Lfunc_end480:
	.size	_ZN5aiter35fused_qk_rmsnorm_group_quant_kernelItN4opus5fp4_tELi256ELi8ELi16ELb1ELb1ELb0ELb0ELb0ELb0EEEvPT0_PvPT_S7_S7_PKS6_S9_S9_S9_S9_ffiiiiiiiiiiiii, .Lfunc_end480-_ZN5aiter35fused_qk_rmsnorm_group_quant_kernelItN4opus5fp4_tELi256ELi8ELi16ELb1ELb1ELb0ELb0ELb0ELb0EEEvPT0_PvPT_S7_S7_PKS6_S9_S9_S9_S9_ffiiiiiiiiiiiii
                                        ; -- End function
	.section	.AMDGPU.csdata,"",@progbits
; Kernel info:
; codeLenInByte = 2876
; NumSgprs: 52
; NumVgprs: 27
; NumAgprs: 0
; TotalNumVgprs: 27
; ScratchSize: 0
; MemoryBound: 0
; FloatMode: 240
; IeeeMode: 1
; LDSByteSize: 32 bytes/workgroup (compile time only)
; SGPRBlocks: 6
; VGPRBlocks: 3
; NumSGPRsForWavesPerEU: 52
; NumVGPRsForWavesPerEU: 27
; AccumOffset: 28
; Occupancy: 8
; WaveLimiterHint : 0
; COMPUTE_PGM_RSRC2:SCRATCH_EN: 0
; COMPUTE_PGM_RSRC2:USER_SGPR: 6
; COMPUTE_PGM_RSRC2:TRAP_HANDLER: 0
; COMPUTE_PGM_RSRC2:TGID_X_EN: 1
; COMPUTE_PGM_RSRC2:TGID_Y_EN: 1
; COMPUTE_PGM_RSRC2:TGID_Z_EN: 0
; COMPUTE_PGM_RSRC2:TIDIG_COMP_CNT: 0
; COMPUTE_PGM_RSRC3_GFX90A:ACCUM_OFFSET: 6
; COMPUTE_PGM_RSRC3_GFX90A:TG_SPLIT: 0
	.section	.text._ZN5aiter35fused_qk_rmsnorm_group_quant_kernelIDF16_DB8_Li256ELi8ELi16ELb1ELb0ELb1ELb0ELb0ELb0EEEvPT0_PvPT_S6_S6_PKS5_S8_S8_S8_S8_ffiiiiiiiiiiiii,"axG",@progbits,_ZN5aiter35fused_qk_rmsnorm_group_quant_kernelIDF16_DB8_Li256ELi8ELi16ELb1ELb0ELb1ELb0ELb0ELb0EEEvPT0_PvPT_S6_S6_PKS5_S8_S8_S8_S8_ffiiiiiiiiiiiii,comdat
	.protected	_ZN5aiter35fused_qk_rmsnorm_group_quant_kernelIDF16_DB8_Li256ELi8ELi16ELb1ELb0ELb1ELb0ELb0ELb0EEEvPT0_PvPT_S6_S6_PKS5_S8_S8_S8_S8_ffiiiiiiiiiiiii ; -- Begin function _ZN5aiter35fused_qk_rmsnorm_group_quant_kernelIDF16_DB8_Li256ELi8ELi16ELb1ELb0ELb1ELb0ELb0ELb0EEEvPT0_PvPT_S6_S6_PKS5_S8_S8_S8_S8_ffiiiiiiiiiiiii
	.globl	_ZN5aiter35fused_qk_rmsnorm_group_quant_kernelIDF16_DB8_Li256ELi8ELi16ELb1ELb0ELb1ELb0ELb0ELb0EEEvPT0_PvPT_S6_S6_PKS5_S8_S8_S8_S8_ffiiiiiiiiiiiii
	.p2align	8
	.type	_ZN5aiter35fused_qk_rmsnorm_group_quant_kernelIDF16_DB8_Li256ELi8ELi16ELb1ELb0ELb1ELb0ELb0ELb0EEEvPT0_PvPT_S6_S6_PKS5_S8_S8_S8_S8_ffiiiiiiiiiiiii,@function
_ZN5aiter35fused_qk_rmsnorm_group_quant_kernelIDF16_DB8_Li256ELi8ELi16ELb1ELb0ELb1ELb0ELb0ELb0EEEvPT0_PvPT_S6_S6_PKS5_S8_S8_S8_S8_ffiiiiiiiiiiiii: ; @_ZN5aiter35fused_qk_rmsnorm_group_quant_kernelIDF16_DB8_Li256ELi8ELi16ELb1ELb0ELb1ELb0ELb0ELb0EEEvPT0_PvPT_S6_S6_PKS5_S8_S8_S8_S8_ffiiiiiiiiiiiii
; %bb.0:
	s_load_dwordx8 s[12:19], s[4:5], 0x50
	s_waitcnt lgkmcnt(0)
	s_cmp_ge_i32 s6, s14
	s_cbranch_scc1 .LBB481_17
; %bb.1:
	s_cmp_lg_u32 s7, 0
	s_cselect_b64 s[10:11], -1, 0
	s_cmp_eq_u32 s7, 0
	s_cselect_b64 s[8:9], -1, 0
	s_and_b64 s[0:1], s[8:9], exec
	s_load_dwordx2 s[20:21], s[4:5], 0x48
	s_load_dwordx2 s[36:37], s[4:5], 0x30
	s_load_dwordx4 s[24:27], s[4:5], 0x70
	s_cselect_b32 s7, s15, s16
	s_add_i32 s0, s7, 1
	s_lshr_b32 s1, s0, 31
	s_add_i32 s0, s0, s1
	s_lshl_b32 s0, s0, 1
	v_lshlrev_b32_e32 v1, 3, v0
	s_and_b32 s30, s0, -4
	v_cmp_gt_i32_e64 s[0:1], s7, v1
	v_mov_b32_e32 v20, 0
	v_mov_b32_e32 v21, 0
	;; [unrolled: 1-line block ×8, first 2 shown]
	s_and_saveexec_b64 s[2:3], s[0:1]
	s_cbranch_execz .LBB481_3
; %bb.2:
	s_load_dwordx2 s[22:23], s[4:5], 0x28
	s_load_dwordx2 s[28:29], s[4:5], 0x40
	s_and_b64 s[34:35], s[8:9], exec
	s_cselect_b32 s14, s17, s18
	s_mov_b32 s31, 0x20000
	s_waitcnt lgkmcnt(0)
	s_cselect_b32 s17, s23, s37
	s_cselect_b32 s27, s22, s36
	s_mul_hi_i32 s23, s14, s6
	s_mul_i32 s22, s14, s6
	s_lshl_b64 s[22:23], s[22:23], 1
	s_add_u32 s40, s27, s22
	s_addc_u32 s14, s17, s23
	s_and_b64 s[22:23], s[8:9], exec
	s_cselect_b32 s28, s28, s20
	s_cselect_b32 s17, s29, s21
	v_lshlrev_b32_e32 v2, 4, v0
	s_and_b32 s41, s14, 0xffff
	s_mov_b32 s42, s30
	s_mov_b32 s43, s31
	s_and_b32 s29, s17, 0xffff
	buffer_load_dwordx4 v[24:27], v2, s[40:43], 0 offen glc slc
	buffer_load_dwordx4 v[20:23], v2, s[28:31], 0 offen
.LBB481_3:
	s_or_b64 exec, exec, s[2:3]
	s_load_dwordx2 s[34:35], s[4:5], 0x80
	s_and_b64 vcc, exec, s[10:11]
	s_cbranch_vccz .LBB481_7
; %bb.4:
	v_mov_b32_e32 v29, 0
	v_mov_b32_e32 v28, 0
	;; [unrolled: 1-line block ×8, first 2 shown]
	s_and_saveexec_b64 s[2:3], s[0:1]
	s_cbranch_execz .LBB481_6
; %bb.5:
	s_waitcnt vmcnt(1)
	v_cvt_f32_f16_sdwa v11, v24 dst_sel:DWORD dst_unused:UNUSED_PAD src0_sel:WORD_1
	v_cvt_f32_f16_e32 v10, v24
	v_cvt_f32_f16_sdwa v15, v25 dst_sel:DWORD dst_unused:UNUSED_PAD src0_sel:WORD_1
	v_cvt_f32_f16_e32 v14, v25
	;; [unrolled: 2-line block ×4, first 2 shown]
.LBB481_6:
	s_or_b64 exec, exec, s[2:3]
	s_cbranch_execz .LBB481_8
	s_branch .LBB481_11
.LBB481_7:
                                        ; implicit-def: $vgpr10_vgpr11_vgpr12_vgpr13_vgpr14_vgpr15_vgpr16_vgpr17
                                        ; implicit-def: $vgpr29
                                        ; implicit-def: $vgpr12_vgpr13_vgpr14_vgpr15_vgpr16_vgpr17_vgpr18_vgpr19
                                        ; implicit-def: $vgpr2_vgpr3_vgpr4_vgpr5_vgpr6_vgpr7_vgpr8_vgpr9
.LBB481_8:
	v_mov_b32_e32 v29, 0
	v_mov_b32_e32 v28, 0
	;; [unrolled: 1-line block ×8, first 2 shown]
	s_and_saveexec_b64 s[2:3], s[0:1]
	s_cbranch_execz .LBB481_10
; %bb.9:
	s_load_dwordx2 s[22:23], s[4:5], 0x38
	s_mul_hi_i32 s29, s19, s6
	s_mul_i32 s28, s19, s6
	s_lshl_b64 s[28:29], s[28:29], 1
	s_mov_b32 s31, 0x20000
	s_waitcnt lgkmcnt(0)
	s_add_u32 s28, s22, s28
	s_addc_u32 s14, s23, s29
	s_and_b32 s29, s14, 0xffff
	v_lshlrev_b32_e32 v30, 4, v0
	buffer_load_dwordx4 v[2:5], v30, s[28:31], 0 offen glc slc
	s_waitcnt vmcnt(2)
	v_cvt_f32_f16_sdwa v7, v24 dst_sel:DWORD dst_unused:UNUSED_PAD src0_sel:WORD_1
	v_cvt_f32_f16_e32 v6, v24
	v_cvt_f32_f16_sdwa v9, v25 dst_sel:DWORD dst_unused:UNUSED_PAD src0_sel:WORD_1
	v_cvt_f32_f16_e32 v8, v25
	;; [unrolled: 2-line block ×4, first 2 shown]
	s_load_dwordx2 s[22:23], s[4:5], 0x20
	s_mul_hi_i32 s29, s35, s6
	s_mul_i32 s28, s35, s6
	s_lshl_b64 s[28:29], s[28:29], 1
	s_waitcnt lgkmcnt(0)
	s_add_u32 s28, s22, s28
	s_addc_u32 s14, s23, s29
	s_and_b32 s29, s14, 0xffff
	s_waitcnt vmcnt(0)
	v_cvt_f32_f16_e32 v10, v2
	v_cvt_f32_f16_sdwa v11, v2 dst_sel:DWORD dst_unused:UNUSED_PAD src0_sel:WORD_1
	v_cvt_f32_f16_e32 v2, v3
	v_cvt_f32_f16_sdwa v3, v3 dst_sel:DWORD dst_unused:UNUSED_PAD src0_sel:WORD_1
	;; [unrolled: 2-line block ×4, first 2 shown]
	v_pk_add_f32 v[10:11], v[6:7], v[10:11]
	v_pk_add_f32 v[14:15], v[8:9], v[2:3]
	v_pk_add_f32 v[6:7], v[12:13], v[18:19]
	v_pk_add_f32 v[28:29], v[16:17], v[4:5]
	v_cvt_f16_f32_e32 v2, v11
	v_cvt_f16_f32_e32 v3, v15
	;; [unrolled: 1-line block ×8, first 2 shown]
	v_pack_b32_f16 v5, v8, v5
	v_pack_b32_f16 v4, v9, v4
	;; [unrolled: 1-line block ×4, first 2 shown]
	buffer_store_dwordx4 v[2:5], v30, s[28:31], 0 offen glc slc
	;;#ASMSTART
	s_nop 0
	;;#ASMEND
.LBB481_10:
	s_or_b64 exec, exec, s[2:3]
.LBB481_11:
	v_mul_f32_e32 v2, v11, v11
	v_fmac_f32_e32 v2, v10, v10
	v_fmac_f32_e32 v2, v14, v14
	;; [unrolled: 1-line block ×7, first 2 shown]
	v_and_b32_e32 v4, 63, v0
	v_cmp_eq_u32_e64 s[2:3], 63, v4
	v_mov_b32_dpp v3, v2 quad_perm:[1,0,3,2] row_mask:0xf bank_mask:0xf
	v_add_f32_e32 v2, v2, v3
	s_nop 1
	v_mov_b32_dpp v3, v2 quad_perm:[2,3,0,1] row_mask:0xf bank_mask:0xf
	v_add_f32_e32 v2, v2, v3
	s_nop 1
	v_mov_b32_dpp v3, v2 row_half_mirror row_mask:0xf bank_mask:0xf
	v_add_f32_e32 v2, v2, v3
	s_nop 1
	v_mov_b32_dpp v3, v2 row_mirror row_mask:0xf bank_mask:0xf
	v_add_f32_e32 v2, v2, v3
	s_nop 1
	v_mov_b32_dpp v3, v2 row_bcast:15 row_mask:0xf bank_mask:0xf
	v_add_f32_e32 v2, v2, v3
	s_nop 1
	v_mov_b32_dpp v3, v2 row_bcast:31 row_mask:0xf bank_mask:0xf
	s_and_saveexec_b64 s[22:23], s[2:3]
	s_cbranch_execz .LBB481_13
; %bb.12:
	v_add_f32_e32 v2, v2, v3
	v_lshrrev_b32_e32 v3, 4, v0
	v_and_b32_e32 v3, 60, v3
	ds_write_b32 v3, v2 offset:16
.LBB481_13:
	s_or_b64 exec, exec, s[22:23]
	v_and_b32_e32 v2, 3, v0
	v_lshlrev_b32_e32 v18, 2, v2
	s_waitcnt lgkmcnt(0)
	s_barrier
	ds_read_b32 v2, v18 offset:16
	s_load_dwordx2 s[38:39], s[4:5], 0x18
	s_waitcnt lgkmcnt(0)
	v_mov_b32_dpp v3, v2 quad_perm:[1,0,3,2] row_mask:0xf bank_mask:0xf
	v_add_f32_e32 v2, v2, v3
	s_nop 1
	v_mov_b32_dpp v3, v2 quad_perm:[2,3,0,1] row_mask:0xf bank_mask:0xf
	s_and_saveexec_b64 s[22:23], s[0:1]
	s_cbranch_execnz .LBB481_18
; %bb.14:
	s_or_b64 exec, exec, s[22:23]
	s_mov_b64 s[8:9], -1
	s_and_b64 vcc, exec, s[10:11]
	s_cbranch_vccnz .LBB481_19
.LBB481_15:
	s_andn2_b64 vcc, exec, s[8:9]
	s_cbranch_vccz .LBB481_22
.LBB481_16:
	s_cmp_lt_i32 s16, 1
	s_cbranch_scc0 .LBB481_29
.LBB481_17:
	s_endpgm
.LBB481_18:
	v_cvt_f32_u32_e32 v4, s7
	v_add_f32_e32 v2, v2, v3
	v_mov_b32_e32 v8, s13
	v_mov_b32_e32 v9, s12
	v_div_scale_f32 v3, s[28:29], v4, v4, v2
	v_rcp_f32_e32 v5, v3
	v_cndmask_b32_e64 v8, v8, v9, s[8:9]
	s_mov_b32 s7, 0x800000
	s_waitcnt vmcnt(0)
	v_cvt_f32_f16_sdwa v17, v23 dst_sel:DWORD dst_unused:UNUSED_PAD src0_sel:WORD_1
	v_fma_f32 v9, -v3, v5, 1.0
	v_fmac_f32_e32 v5, v9, v5
	v_div_scale_f32 v9, vcc, v2, v4, v2
	v_mul_f32_e32 v12, v9, v5
	v_fma_f32 v13, -v3, v12, v9
	v_fmac_f32_e32 v12, v13, v5
	v_fma_f32 v3, -v3, v12, v9
	v_div_fmas_f32 v3, v3, v5, v12
	v_div_fixup_f32 v2, v3, v4, v2
	v_add_f32_e32 v2, v8, v2
	v_mul_f32_e32 v3, 0x4b800000, v2
	v_cmp_gt_f32_e32 vcc, s7, v2
	v_cndmask_b32_e32 v2, v2, v3, vcc
	v_rsq_f32_e32 v2, v2
	v_cvt_f32_f16_sdwa v13, v21 dst_sel:DWORD dst_unused:UNUSED_PAD src0_sel:WORD_1
	v_cvt_f32_f16_e32 v12, v21
	v_cvt_f32_f16_e32 v16, v23
	v_mul_f32_e32 v3, 0x45800000, v2
	v_cndmask_b32_e32 v2, v2, v3, vcc
	v_mov_b32_e32 v3, v2
	;;#ASMSTART
	v_pk_mul_f32 v[4:5], v[10:11], v[2:3]
	;;#ASMEND
	v_cvt_f32_f16_sdwa v11, v20 dst_sel:DWORD dst_unused:UNUSED_PAD src0_sel:WORD_1
	v_cvt_f32_f16_e32 v10, v20
	;;#ASMSTART
	v_pk_mul_f32 v[8:9], v[14:15], v[2:3]
	;;#ASMEND
	;;#ASMSTART
	v_pk_mul_f32 v[6:7], v[6:7], v[2:3]
	;;#ASMEND
	;; [unrolled: 3-line block ×3, first 2 shown]
	v_pk_add_f32 v[10:11], v[10:11], 1.0 op_sel_hi:[1,0]
	;;#ASMSTART
	v_pk_mul_f32 v[10:11], v[4:5], v[10:11]
	;;#ASMEND
	v_pk_add_f32 v[4:5], v[12:13], 1.0 op_sel_hi:[1,0]
	v_cvt_f32_f16_sdwa v13, v22 dst_sel:DWORD dst_unused:UNUSED_PAD src0_sel:WORD_1
	v_cvt_f32_f16_e32 v12, v22
	;;#ASMSTART
	v_pk_mul_f32 v[14:15], v[8:9], v[4:5]
	;;#ASMEND
	v_pk_add_f32 v[4:5], v[12:13], 1.0 op_sel_hi:[1,0]
	;;#ASMSTART
	v_pk_mul_f32 v[6:7], v[6:7], v[4:5]
	;;#ASMEND
	v_pk_add_f32 v[4:5], v[16:17], 1.0 op_sel_hi:[1,0]
	;;#ASMSTART
	v_pk_mul_f32 v[28:29], v[2:3], v[4:5]
	;;#ASMEND
	s_or_b64 exec, exec, s[22:23]
	s_mov_b64 s[8:9], -1
	s_and_b64 vcc, exec, s[10:11]
	s_cbranch_vccz .LBB481_15
.LBB481_19:
	s_and_saveexec_b64 s[8:9], s[0:1]
	s_cbranch_execz .LBB481_21
; %bb.20:
	s_mul_hi_i32 s11, s34, s6
	s_mul_i32 s10, s34, s6
	v_cvt_f16_f32_e32 v2, v10
	v_cvt_f16_f32_e32 v3, v14
	;; [unrolled: 1-line block ×8, first 2 shown]
	s_lshl_b64 s[10:11], s[10:11], 1
	s_add_u32 s28, s38, s10
	s_addc_u32 s7, s39, s11
	s_and_b32 s29, s7, 0xffff
	s_mov_b32 s31, 0x20000
	v_pack_b32_f16 v5, v5, v8
	v_pack_b32_f16 v4, v4, v9
	v_pack_b32_f16 v3, v3, v12
	v_pack_b32_f16 v2, v2, v13
	v_lshlrev_b32_e32 v8, 4, v0
	buffer_store_dwordx4 v[2:5], v8, s[28:31], 0 offen
	;;#ASMSTART
	s_nop 0
	;;#ASMEND
.LBB481_21:
	s_or_b64 exec, exec, s[8:9]
	s_cbranch_execnz .LBB481_16
.LBB481_22:
	v_mov_b32_e32 v2, 0
	s_and_saveexec_b64 s[8:9], s[0:1]
	s_cbranch_execz .LBB481_24
; %bb.23:
	v_and_b32_e32 v2, 0x7fffffff, v10
	v_and_b32_e32 v3, 0x7fffffff, v11
	v_mov_b32_e32 v4, 0x2edbe6ff
	;;#ASMSTART
	v_max3_f32 v2, v4, v2, v3

	;;#ASMEND
	v_and_b32_e32 v3, 0x7fffffff, v14
	v_and_b32_e32 v4, 0x7fffffff, v15
	;;#ASMSTART
	v_max3_f32 v2, v2, v3, v4

	;;#ASMEND
	v_and_b32_e32 v3, 0x7fffffff, v6
	v_and_b32_e32 v4, 0x7fffffff, v7
	;; [unrolled: 6-line block ×3, first 2 shown]
	;;#ASMSTART
	v_max3_f32 v2, v2, v3, v4

	;;#ASMEND
.LBB481_24:
	s_or_b64 exec, exec, s[8:9]
	;;#ASMSTART
	v_max_f32 v3, v2, v2 quad_perm:[1,0,3,2] row_mask:0xf bank_mask:0xf bound_ctrl:1
	;;#ASMEND
	;;#ASMSTART
	v_max_f32 v2, v3, v3 quad_perm:[2,3,0,1] row_mask:0xf bank_mask:0xf bound_ctrl:1
	;;#ASMEND
	;;#ASMSTART
	v_max_f32 v3, v2, v2 row_half_mirror row_mask:0xf bank_mask:0xf bound_ctrl:1
	;;#ASMEND
	;;#ASMSTART
	v_max_f32 v2, v3, v3 row_mirror row_mask:0xf bank_mask:0xf bound_ctrl:1
	;;#ASMEND
	v_and_b32_e32 v3, 15, v0
	v_cmp_eq_u32_e32 vcc, 0, v3
	v_cmp_gt_i32_e64 s[8:9], s15, v1
	v_mul_f32_e32 v2, 0x3b124925, v2
	s_and_b64 s[10:11], vcc, s[8:9]
	s_and_saveexec_b64 s[8:9], s[10:11]
	s_cbranch_execz .LBB481_26
; %bb.25:
	s_load_dwordx2 s[10:11], s[4:5], 0x8
	s_mul_hi_i32 s23, s25, s6
	s_mul_i32 s22, s25, s6
	v_lshrrev_b32_e32 v3, 4, v0
	s_lshl_b64 s[22:23], s[22:23], 2
	v_mad_i64_i32 v[4:5], s[26:27], s26, v3, 0
	s_waitcnt lgkmcnt(0)
	s_add_u32 s7, s10, s22
	s_addc_u32 s10, s11, s23
	v_lshlrev_b64 v[4:5], 2, v[4:5]
	v_mov_b32_e32 v3, s10
	v_add_co_u32_e32 v4, vcc, s7, v4
	v_addc_co_u32_e32 v5, vcc, v3, v5, vcc
	global_store_dword v[4:5], v2, off
.LBB481_26:
	s_or_b64 exec, exec, s[8:9]
	;;#ASMSTART
	v_rcp_f32 v2, v2
	;;#ASMEND
	s_and_saveexec_b64 s[22:23], s[0:1]
	s_cbranch_execz .LBB481_28
; %bb.27:
	s_load_dwordx2 s[0:1], s[4:5], 0x0
	s_mul_i32 s8, s24, s6
	v_mov_b32_e32 v3, v2
	;;#ASMSTART
	v_pk_mul_f32 v[4:5], v[10:11], v[2:3]
	;;#ASMEND
	s_mul_hi_i32 s7, s24, s6
	s_waitcnt lgkmcnt(0)
	s_add_u32 s8, s0, s8
	v_mov_b32_e32 v8, 0xc3e00000
	v_mov_b32_e32 v9, 0x43e00000
	;;#ASMSTART
	v_med3_f32 v4, v4, v8, v9
v_med3_f32 v5, v5, v8, v9
v_cvt_pk_fp8_f32 v10, v4, v5
	;;#ASMEND
	s_addc_u32 s0, s1, s7
	;;#ASMSTART
	v_pk_mul_f32 v[4:5], v[14:15], v[2:3]
	;;#ASMEND
	s_and_b32 s9, s0, 0xffff
	;;#ASMSTART
	v_med3_f32 v4, v4, v8, v9
v_med3_f32 v5, v5, v8, v9
v_cvt_pk_fp8_f32 v11, v4, v5
	;;#ASMEND
	s_mov_b32 s0, 0x5040100
	v_perm_b32 v5, v11, v10, s0
	s_movk_i32 s0, 0xff
	v_and_b32_e32 v4, 0xffffff00, v11
	v_and_b32_sdwa v10, v5, s0 dst_sel:DWORD dst_unused:UNUSED_PAD src0_sel:WORD_1 src1_sel:DWORD
	s_mov_b32 s12, 0xffff
	v_or_b32_sdwa v4, v10, v4 dst_sel:WORD_1 dst_unused:UNUSED_PAD src0_sel:DWORD src1_sel:DWORD
	s_add_i32 s1, s15, 3
	v_and_or_b32 v4, v5, s12, v4
	;;#ASMSTART
	v_pk_mul_f32 v[6:7], v[6:7], v[2:3]
	;;#ASMEND
	v_mov_b32_e32 v5, v7
	s_ashr_i32 s7, s1, 31
	;;#ASMSTART
	v_med3_f32 v6, v6, v8, v9
v_med3_f32 v5, v5, v8, v9
v_cvt_pk_fp8_f32 v7, v6, v5
	;;#ASMEND
	;;#ASMSTART
	v_pk_mul_f32 v[2:3], v[28:29], v[2:3]
	;;#ASMEND
	s_lshr_b32 s7, s7, 30
	;;#ASMSTART
	v_med3_f32 v2, v2, v8, v9
v_med3_f32 v3, v3, v8, v9
v_cvt_pk_fp8_f32 v5, v2, v3
	;;#ASMEND
	s_add_i32 s1, s1, s7
	v_lshlrev_b32_e32 v2, 16, v5
	s_and_b32 s10, s1, -4
	s_mov_b32 s11, 0x20000
	v_and_or_b32 v5, v7, s12, v2
	buffer_store_dwordx2 v[4:5], v1, s[8:11], 0 offen
	;;#ASMSTART
	s_nop 0
	;;#ASMEND
.LBB481_28:
	s_or_b64 exec, exec, s[22:23]
	s_cmp_lt_i32 s16, 1
	s_cbranch_scc1 .LBB481_17
.LBB481_29:
	s_load_dword s0, s[4:5], 0x94
	s_waitcnt lgkmcnt(0)
	s_cmp_lg_u32 s0, 1
	s_cbranch_scc1 .LBB481_17
; %bb.30:
	s_lshl_b32 s0, s16, 1
	s_add_i32 s0, s0, 2
	v_cmp_gt_u32_e32 vcc, s16, v1
	s_and_b32 s22, s0, -4
	v_mov_b32_e32 v10, 0
	v_lshlrev_b32_e32 v1, 4, v0
	v_mov_b32_e32 v6, 0
	v_mov_b32_e32 v7, 0
	v_mov_b32_e32 v8, 0
	v_mov_b32_e32 v9, 0
	v_mov_b32_e32 v2, 0
	v_mov_b32_e32 v3, 0
	v_mov_b32_e32 v4, 0
	v_mov_b32_e32 v5, 0
	s_barrier
	s_and_saveexec_b64 s[0:1], vcc
	s_cbranch_execz .LBB481_32
; %bb.31:
	s_mul_hi_i32 s5, s18, s6
	s_mul_i32 s4, s18, s6
	s_and_b32 s21, s21, 0xffff
	s_lshl_b64 s[4:5], s[4:5], 1
	s_add_u32 s8, s36, s4
	s_mov_b32 s23, 0x20000
	s_addc_u32 s4, s37, s5
	s_and_b32 s9, s4, 0xffff
	s_mov_b32 s10, s22
	s_mov_b32 s11, s23
	buffer_load_dwordx4 v[6:9], v1, s[8:11], 0 offen glc slc
	buffer_load_dwordx4 v[2:5], v1, s[20:23], 0 offen
.LBB481_32:
	s_or_b64 exec, exec, s[0:1]
	v_mov_b32_e32 v11, 0
	v_mov_b32_e32 v16, 0
	;; [unrolled: 1-line block ×7, first 2 shown]
	s_and_saveexec_b64 s[0:1], vcc
	s_cbranch_execz .LBB481_34
; %bb.33:
	s_waitcnt vmcnt(1)
	v_cvt_f32_f16_sdwa v11, v6 dst_sel:DWORD dst_unused:UNUSED_PAD src0_sel:WORD_1
	v_cvt_f32_f16_e32 v10, v6
	v_cvt_f32_f16_sdwa v17, v7 dst_sel:DWORD dst_unused:UNUSED_PAD src0_sel:WORD_1
	v_cvt_f32_f16_e32 v16, v7
	;; [unrolled: 2-line block ×4, first 2 shown]
.LBB481_34:
	s_or_b64 exec, exec, s[0:1]
	s_waitcnt vmcnt(1)
	v_mul_f32_e32 v6, v11, v11
	v_fmac_f32_e32 v6, v10, v10
	v_fmac_f32_e32 v6, v16, v16
	;; [unrolled: 1-line block ×7, first 2 shown]
	s_nop 1
	v_mov_b32_dpp v7, v6 quad_perm:[1,0,3,2] row_mask:0xf bank_mask:0xf
	v_add_f32_e32 v6, v6, v7
	s_nop 1
	v_mov_b32_dpp v7, v6 quad_perm:[2,3,0,1] row_mask:0xf bank_mask:0xf
	v_add_f32_e32 v6, v6, v7
	s_nop 1
	v_mov_b32_dpp v7, v6 row_half_mirror row_mask:0xf bank_mask:0xf
	v_add_f32_e32 v6, v6, v7
	s_nop 1
	v_mov_b32_dpp v7, v6 row_mirror row_mask:0xf bank_mask:0xf
	v_add_f32_e32 v6, v6, v7
	s_nop 1
	v_mov_b32_dpp v7, v6 row_bcast:15 row_mask:0xf bank_mask:0xf
	v_add_f32_e32 v6, v6, v7
	s_nop 1
	v_mov_b32_dpp v7, v6 row_bcast:31 row_mask:0xf bank_mask:0xf
	s_and_saveexec_b64 s[0:1], s[2:3]
	s_cbranch_execz .LBB481_36
; %bb.35:
	v_lshrrev_b32_e32 v0, 4, v0
	v_add_f32_e32 v6, v6, v7
	v_and_b32_e32 v0, 60, v0
	ds_write_b32 v0, v6
.LBB481_36:
	s_or_b64 exec, exec, s[0:1]
	s_waitcnt lgkmcnt(0)
	s_barrier
	ds_read_b32 v0, v18
	s_waitcnt lgkmcnt(0)
	s_nop 0
	v_mov_b32_dpp v6, v0 quad_perm:[1,0,3,2] row_mask:0xf bank_mask:0xf
	v_add_f32_e32 v0, v0, v6
	s_nop 1
	v_mov_b32_dpp v6, v0 quad_perm:[2,3,0,1] row_mask:0xf bank_mask:0xf
	s_and_saveexec_b64 s[0:1], vcc
	s_cbranch_execz .LBB481_17
; %bb.37:
	v_cvt_f32_u32_e32 v7, s16
	v_add_f32_e32 v0, v0, v6
	s_mov_b32 s23, 0x20000
	v_div_scale_f32 v6, s[0:1], v7, v7, v0
	v_rcp_f32_e32 v8, v6
	v_div_scale_f32 v9, vcc, v0, v7, v0
	s_mov_b32 s0, 0x800000
	v_fma_f32 v18, -v6, v8, 1.0
	v_fmac_f32_e32 v8, v18, v8
	v_mul_f32_e32 v18, v9, v8
	v_fma_f32 v19, -v6, v18, v9
	v_fmac_f32_e32 v18, v19, v8
	v_fma_f32 v6, -v6, v18, v9
	v_div_fmas_f32 v6, v6, v8, v18
	v_div_fixup_f32 v0, v6, v7, v0
	v_add_f32_e32 v0, s13, v0
	v_mul_f32_e32 v6, 0x4b800000, v0
	v_cmp_gt_f32_e32 vcc, s0, v0
	v_cndmask_b32_e32 v0, v0, v6, vcc
	v_rsq_f32_e32 v0, v0
	s_waitcnt vmcnt(0)
	v_cvt_f32_f16_sdwa v19, v3 dst_sel:DWORD dst_unused:UNUSED_PAD src0_sel:WORD_1
	v_cvt_f32_f16_e32 v18, v3
	s_mul_hi_i32 s1, s34, s6
	v_mul_f32_e32 v6, 0x45800000, v0
	v_cndmask_b32_e32 v6, v0, v6, vcc
	v_mov_b32_e32 v7, v6
	;;#ASMSTART
	v_pk_mul_f32 v[8:9], v[10:11], v[6:7]
	;;#ASMEND
	;;#ASMSTART
	v_pk_mul_f32 v[10:11], v[16:17], v[6:7]
	;;#ASMEND
	v_cvt_f32_f16_sdwa v17, v2 dst_sel:DWORD dst_unused:UNUSED_PAD src0_sel:WORD_1
	v_cvt_f32_f16_e32 v16, v2
	;;#ASMSTART
	v_pk_mul_f32 v[14:15], v[14:15], v[6:7]
	;;#ASMEND
	;;#ASMSTART
	v_pk_mul_f32 v[2:3], v[12:13], v[6:7]
	;;#ASMEND
	v_cvt_f32_f16_sdwa v13, v4 dst_sel:DWORD dst_unused:UNUSED_PAD src0_sel:WORD_1
	v_cvt_f32_f16_e32 v12, v4
	v_pk_add_f32 v[6:7], v[16:17], 1.0 op_sel_hi:[1,0]
	v_cvt_f32_f16_sdwa v17, v5 dst_sel:DWORD dst_unused:UNUSED_PAD src0_sel:WORD_1
	v_cvt_f32_f16_e32 v16, v5
	;;#ASMSTART
	v_pk_mul_f32 v[6:7], v[8:9], v[6:7]
	;;#ASMEND
	v_pk_add_f32 v[8:9], v[18:19], 1.0 op_sel_hi:[1,0]
	;;#ASMSTART
	v_pk_mul_f32 v[4:5], v[10:11], v[8:9]
	;;#ASMEND
	v_pk_add_f32 v[8:9], v[12:13], 1.0 op_sel_hi:[1,0]
	;; [unrolled: 4-line block ×3, first 2 shown]
	;;#ASMSTART
	v_pk_mul_f32 v[2:3], v[2:3], v[10:11]
	;;#ASMEND
	s_mul_i32 s0, s34, s6
	v_cvt_f16_f32_e32 v0, v6
	v_cvt_f16_f32_e32 v6, v7
	;; [unrolled: 1-line block ×8, first 2 shown]
	s_lshl_b64 s[0:1], s[0:1], 1
	s_add_u32 s20, s38, s0
	s_addc_u32 s0, s39, s1
	s_and_b32 s21, s0, 0xffff
	v_pack_b32_f16 v2, v0, v6
	v_pack_b32_f16 v3, v4, v5
	;; [unrolled: 1-line block ×4, first 2 shown]
	buffer_store_dwordx4 v[2:5], v1, s[20:23], 0 offen
	;;#ASMSTART
	s_nop 0
	;;#ASMEND
	s_endpgm
	.section	.rodata,"a",@progbits
	.p2align	6, 0x0
	.amdhsa_kernel _ZN5aiter35fused_qk_rmsnorm_group_quant_kernelIDF16_DB8_Li256ELi8ELi16ELb1ELb0ELb1ELb0ELb0ELb0EEEvPT0_PvPT_S6_S6_PKS5_S8_S8_S8_S8_ffiiiiiiiiiiiii
		.amdhsa_group_segment_fixed_size 32
		.amdhsa_private_segment_fixed_size 0
		.amdhsa_kernarg_size 400
		.amdhsa_user_sgpr_count 6
		.amdhsa_user_sgpr_private_segment_buffer 1
		.amdhsa_user_sgpr_dispatch_ptr 0
		.amdhsa_user_sgpr_queue_ptr 0
		.amdhsa_user_sgpr_kernarg_segment_ptr 1
		.amdhsa_user_sgpr_dispatch_id 0
		.amdhsa_user_sgpr_flat_scratch_init 0
		.amdhsa_user_sgpr_kernarg_preload_length 0
		.amdhsa_user_sgpr_kernarg_preload_offset 0
		.amdhsa_user_sgpr_private_segment_size 0
		.amdhsa_uses_dynamic_stack 0
		.amdhsa_system_sgpr_private_segment_wavefront_offset 0
		.amdhsa_system_sgpr_workgroup_id_x 1
		.amdhsa_system_sgpr_workgroup_id_y 1
		.amdhsa_system_sgpr_workgroup_id_z 0
		.amdhsa_system_sgpr_workgroup_info 0
		.amdhsa_system_vgpr_workitem_id 0
		.amdhsa_next_free_vgpr 31
		.amdhsa_next_free_sgpr 44
		.amdhsa_accum_offset 32
		.amdhsa_reserve_vcc 1
		.amdhsa_reserve_flat_scratch 0
		.amdhsa_float_round_mode_32 0
		.amdhsa_float_round_mode_16_64 0
		.amdhsa_float_denorm_mode_32 3
		.amdhsa_float_denorm_mode_16_64 3
		.amdhsa_dx10_clamp 1
		.amdhsa_ieee_mode 1
		.amdhsa_fp16_overflow 0
		.amdhsa_tg_split 0
		.amdhsa_exception_fp_ieee_invalid_op 0
		.amdhsa_exception_fp_denorm_src 0
		.amdhsa_exception_fp_ieee_div_zero 0
		.amdhsa_exception_fp_ieee_overflow 0
		.amdhsa_exception_fp_ieee_underflow 0
		.amdhsa_exception_fp_ieee_inexact 0
		.amdhsa_exception_int_div_zero 0
	.end_amdhsa_kernel
	.section	.text._ZN5aiter35fused_qk_rmsnorm_group_quant_kernelIDF16_DB8_Li256ELi8ELi16ELb1ELb0ELb1ELb0ELb0ELb0EEEvPT0_PvPT_S6_S6_PKS5_S8_S8_S8_S8_ffiiiiiiiiiiiii,"axG",@progbits,_ZN5aiter35fused_qk_rmsnorm_group_quant_kernelIDF16_DB8_Li256ELi8ELi16ELb1ELb0ELb1ELb0ELb0ELb0EEEvPT0_PvPT_S6_S6_PKS5_S8_S8_S8_S8_ffiiiiiiiiiiiii,comdat
.Lfunc_end481:
	.size	_ZN5aiter35fused_qk_rmsnorm_group_quant_kernelIDF16_DB8_Li256ELi8ELi16ELb1ELb0ELb1ELb0ELb0ELb0EEEvPT0_PvPT_S6_S6_PKS5_S8_S8_S8_S8_ffiiiiiiiiiiiii, .Lfunc_end481-_ZN5aiter35fused_qk_rmsnorm_group_quant_kernelIDF16_DB8_Li256ELi8ELi16ELb1ELb0ELb1ELb0ELb0ELb0EEEvPT0_PvPT_S6_S6_PKS5_S8_S8_S8_S8_ffiiiiiiiiiiiii
                                        ; -- End function
	.section	.AMDGPU.csdata,"",@progbits
; Kernel info:
; codeLenInByte = 2916
; NumSgprs: 48
; NumVgprs: 31
; NumAgprs: 0
; TotalNumVgprs: 31
; ScratchSize: 0
; MemoryBound: 0
; FloatMode: 240
; IeeeMode: 1
; LDSByteSize: 32 bytes/workgroup (compile time only)
; SGPRBlocks: 5
; VGPRBlocks: 3
; NumSGPRsForWavesPerEU: 48
; NumVGPRsForWavesPerEU: 31
; AccumOffset: 32
; Occupancy: 8
; WaveLimiterHint : 0
; COMPUTE_PGM_RSRC2:SCRATCH_EN: 0
; COMPUTE_PGM_RSRC2:USER_SGPR: 6
; COMPUTE_PGM_RSRC2:TRAP_HANDLER: 0
; COMPUTE_PGM_RSRC2:TGID_X_EN: 1
; COMPUTE_PGM_RSRC2:TGID_Y_EN: 1
; COMPUTE_PGM_RSRC2:TGID_Z_EN: 0
; COMPUTE_PGM_RSRC2:TIDIG_COMP_CNT: 0
; COMPUTE_PGM_RSRC3_GFX90A:ACCUM_OFFSET: 7
; COMPUTE_PGM_RSRC3_GFX90A:TG_SPLIT: 0
	.section	.text._ZN5aiter35fused_qk_rmsnorm_group_quant_kernelItDB8_Li256ELi8ELi16ELb1ELb0ELb1ELb0ELb0ELb0EEEvPT0_PvPT_S6_S6_PKS5_S8_S8_S8_S8_ffiiiiiiiiiiiii,"axG",@progbits,_ZN5aiter35fused_qk_rmsnorm_group_quant_kernelItDB8_Li256ELi8ELi16ELb1ELb0ELb1ELb0ELb0ELb0EEEvPT0_PvPT_S6_S6_PKS5_S8_S8_S8_S8_ffiiiiiiiiiiiii,comdat
	.protected	_ZN5aiter35fused_qk_rmsnorm_group_quant_kernelItDB8_Li256ELi8ELi16ELb1ELb0ELb1ELb0ELb0ELb0EEEvPT0_PvPT_S6_S6_PKS5_S8_S8_S8_S8_ffiiiiiiiiiiiii ; -- Begin function _ZN5aiter35fused_qk_rmsnorm_group_quant_kernelItDB8_Li256ELi8ELi16ELb1ELb0ELb1ELb0ELb0ELb0EEEvPT0_PvPT_S6_S6_PKS5_S8_S8_S8_S8_ffiiiiiiiiiiiii
	.globl	_ZN5aiter35fused_qk_rmsnorm_group_quant_kernelItDB8_Li256ELi8ELi16ELb1ELb0ELb1ELb0ELb0ELb0EEEvPT0_PvPT_S6_S6_PKS5_S8_S8_S8_S8_ffiiiiiiiiiiiii
	.p2align	8
	.type	_ZN5aiter35fused_qk_rmsnorm_group_quant_kernelItDB8_Li256ELi8ELi16ELb1ELb0ELb1ELb0ELb0ELb0EEEvPT0_PvPT_S6_S6_PKS5_S8_S8_S8_S8_ffiiiiiiiiiiiii,@function
_ZN5aiter35fused_qk_rmsnorm_group_quant_kernelItDB8_Li256ELi8ELi16ELb1ELb0ELb1ELb0ELb0ELb0EEEvPT0_PvPT_S6_S6_PKS5_S8_S8_S8_S8_ffiiiiiiiiiiiii: ; @_ZN5aiter35fused_qk_rmsnorm_group_quant_kernelItDB8_Li256ELi8ELi16ELb1ELb0ELb1ELb0ELb0ELb0EEEvPT0_PvPT_S6_S6_PKS5_S8_S8_S8_S8_ffiiiiiiiiiiiii
; %bb.0:
	s_load_dwordx8 s[12:19], s[4:5], 0x50
	s_waitcnt lgkmcnt(0)
	s_cmp_ge_i32 s6, s14
	s_cbranch_scc1 .LBB482_17
; %bb.1:
	s_cmp_lg_u32 s7, 0
	s_cselect_b64 s[10:11], -1, 0
	s_cmp_eq_u32 s7, 0
	s_cselect_b64 s[8:9], -1, 0
	s_and_b64 s[0:1], s[8:9], exec
	s_load_dwordx2 s[20:21], s[4:5], 0x48
	s_load_dwordx2 s[36:37], s[4:5], 0x30
	s_load_dwordx4 s[24:27], s[4:5], 0x70
	s_cselect_b32 s7, s15, s16
	s_add_i32 s0, s7, 1
	s_lshr_b32 s1, s0, 31
	s_add_i32 s0, s0, s1
	s_lshl_b32 s0, s0, 1
	v_lshlrev_b32_e32 v1, 3, v0
	s_and_b32 s30, s0, -4
	v_cmp_gt_i32_e64 s[0:1], s7, v1
	v_mov_b32_e32 v10, 0
	v_mov_b32_e32 v11, 0
	;; [unrolled: 1-line block ×8, first 2 shown]
	s_and_saveexec_b64 s[2:3], s[0:1]
	s_cbranch_execz .LBB482_3
; %bb.2:
	s_load_dwordx2 s[22:23], s[4:5], 0x28
	s_load_dwordx2 s[28:29], s[4:5], 0x40
	s_and_b64 s[34:35], s[8:9], exec
	s_cselect_b32 s14, s17, s18
	s_mov_b32 s31, 0x20000
	s_waitcnt lgkmcnt(0)
	s_cselect_b32 s17, s23, s37
	s_cselect_b32 s27, s22, s36
	s_mul_hi_i32 s23, s14, s6
	s_mul_i32 s22, s14, s6
	s_lshl_b64 s[22:23], s[22:23], 1
	s_add_u32 s40, s27, s22
	s_addc_u32 s14, s17, s23
	s_and_b64 s[22:23], s[8:9], exec
	s_cselect_b32 s28, s28, s20
	s_cselect_b32 s17, s29, s21
	v_lshlrev_b32_e32 v2, 4, v0
	s_and_b32 s41, s14, 0xffff
	s_mov_b32 s42, s30
	s_mov_b32 s43, s31
	s_and_b32 s29, s17, 0xffff
	buffer_load_dwordx4 v[14:17], v2, s[40:43], 0 offen glc slc
	buffer_load_dwordx4 v[10:13], v2, s[28:31], 0 offen
.LBB482_3:
	s_or_b64 exec, exec, s[2:3]
	s_load_dwordx2 s[34:35], s[4:5], 0x80
	s_and_b64 vcc, exec, s[10:11]
	s_cbranch_vccz .LBB482_7
; %bb.4:
	s_mov_b32 s40, 0
	s_mov_b32 s41, s40
	;; [unrolled: 1-line block ×8, first 2 shown]
	v_pk_mov_b32 v[2:3], s[40:41], s[40:41] op_sel:[0,1]
	v_pk_mov_b32 v[4:5], s[42:43], s[42:43] op_sel:[0,1]
	;; [unrolled: 1-line block ×4, first 2 shown]
	s_and_saveexec_b64 s[2:3], s[0:1]
	s_cbranch_execz .LBB482_6
; %bb.5:
	s_waitcnt vmcnt(1)
	v_cvt_f32_u32_sdwa v3, v14 dst_sel:DWORD dst_unused:UNUSED_PAD src0_sel:WORD_1
	v_cvt_f32_u32_sdwa v2, v14 dst_sel:DWORD dst_unused:UNUSED_PAD src0_sel:WORD_0
	v_cvt_f32_u32_sdwa v5, v15 dst_sel:DWORD dst_unused:UNUSED_PAD src0_sel:WORD_1
	v_cvt_f32_u32_sdwa v4, v15 dst_sel:DWORD dst_unused:UNUSED_PAD src0_sel:WORD_0
	;; [unrolled: 2-line block ×4, first 2 shown]
.LBB482_6:
	s_or_b64 exec, exec, s[2:3]
	s_cbranch_execz .LBB482_8
	s_branch .LBB482_11
.LBB482_7:
                                        ; implicit-def: $vgpr2_vgpr3_vgpr4_vgpr5_vgpr6_vgpr7_vgpr8_vgpr9
.LBB482_8:
	s_mov_b32 s40, 0
	s_mov_b32 s41, s40
	;; [unrolled: 1-line block ×8, first 2 shown]
	v_pk_mov_b32 v[2:3], s[40:41], s[40:41] op_sel:[0,1]
	v_pk_mov_b32 v[4:5], s[42:43], s[42:43] op_sel:[0,1]
	;; [unrolled: 1-line block ×4, first 2 shown]
	s_and_saveexec_b64 s[2:3], s[0:1]
	s_cbranch_execz .LBB482_10
; %bb.9:
	s_load_dwordx2 s[22:23], s[4:5], 0x38
	s_mul_hi_i32 s29, s19, s6
	s_mul_i32 s28, s19, s6
	s_lshl_b64 s[28:29], s[28:29], 1
	s_mov_b32 s31, 0x20000
	s_waitcnt lgkmcnt(0)
	s_add_u32 s28, s22, s28
	s_addc_u32 s14, s23, s29
	s_and_b32 s29, s14, 0xffff
	v_lshlrev_b32_e32 v26, 4, v0
	buffer_load_dwordx4 v[2:5], v26, s[28:31], 0 offen glc slc
	s_load_dwordx2 s[22:23], s[4:5], 0x20
	s_waitcnt vmcnt(2)
	v_cvt_f32_u32_sdwa v7, v14 dst_sel:DWORD dst_unused:UNUSED_PAD src0_sel:WORD_1
	v_cvt_f32_u32_sdwa v6, v14 dst_sel:DWORD dst_unused:UNUSED_PAD src0_sel:WORD_0
	v_cvt_f32_u32_sdwa v9, v15 dst_sel:DWORD dst_unused:UNUSED_PAD src0_sel:WORD_1
	v_cvt_f32_u32_sdwa v8, v15 dst_sel:DWORD dst_unused:UNUSED_PAD src0_sel:WORD_0
	;; [unrolled: 2-line block ×4, first 2 shown]
	s_mul_hi_i32 s29, s35, s6
	s_mul_i32 s28, s35, s6
	s_lshl_b64 s[28:29], s[28:29], 1
	s_waitcnt lgkmcnt(0)
	s_add_u32 s28, s22, s28
	s_mov_b32 s14, 0x7060302
	s_addc_u32 s17, s23, s29
	s_and_b32 s29, s17, 0xffff
	s_waitcnt vmcnt(0)
	v_cvt_f32_u32_sdwa v17, v2 dst_sel:DWORD dst_unused:UNUSED_PAD src0_sel:WORD_1
	v_cvt_f32_u32_sdwa v16, v2 dst_sel:DWORD dst_unused:UNUSED_PAD src0_sel:WORD_0
	v_cvt_f32_u32_sdwa v21, v3 dst_sel:DWORD dst_unused:UNUSED_PAD src0_sel:WORD_1
	v_cvt_f32_u32_sdwa v20, v3 dst_sel:DWORD dst_unused:UNUSED_PAD src0_sel:WORD_0
	;; [unrolled: 2-line block ×4, first 2 shown]
	v_pk_add_f32 v[2:3], v[6:7], v[16:17]
	v_pk_add_f32 v[4:5], v[8:9], v[20:21]
	v_pk_add_f32 v[6:7], v[14:15], v[22:23]
	v_pk_add_f32 v[8:9], v[18:19], v[24:25]
	v_perm_b32 v17, v9, v8, s14
	v_perm_b32 v16, v7, v6, s14
	;; [unrolled: 1-line block ×4, first 2 shown]
	buffer_store_dwordx4 v[14:17], v26, s[28:31], 0 offen glc slc
	;;#ASMSTART
	s_nop 0
	;;#ASMEND
.LBB482_10:
	s_or_b64 exec, exec, s[2:3]
.LBB482_11:
	s_waitcnt vmcnt(1)
	v_mul_f32_e32 v14, v3, v3
	v_fmac_f32_e32 v14, v2, v2
	v_fmac_f32_e32 v14, v4, v4
	v_fmac_f32_e32 v14, v5, v5
	v_fmac_f32_e32 v14, v6, v6
	v_fmac_f32_e32 v14, v7, v7
	v_fmac_f32_e32 v14, v8, v8
	v_fmac_f32_e32 v14, v9, v9
	v_and_b32_e32 v16, 63, v0
	v_cmp_eq_u32_e64 s[2:3], 63, v16
	v_mov_b32_dpp v15, v14 quad_perm:[1,0,3,2] row_mask:0xf bank_mask:0xf
	v_add_f32_e32 v14, v14, v15
	s_nop 1
	v_mov_b32_dpp v15, v14 quad_perm:[2,3,0,1] row_mask:0xf bank_mask:0xf
	v_add_f32_e32 v14, v14, v15
	s_nop 1
	v_mov_b32_dpp v15, v14 row_half_mirror row_mask:0xf bank_mask:0xf
	v_add_f32_e32 v14, v14, v15
	s_nop 1
	v_mov_b32_dpp v15, v14 row_mirror row_mask:0xf bank_mask:0xf
	v_add_f32_e32 v14, v14, v15
	s_nop 1
	v_mov_b32_dpp v15, v14 row_bcast:15 row_mask:0xf bank_mask:0xf
	v_add_f32_e32 v14, v14, v15
	s_nop 1
	v_mov_b32_dpp v15, v14 row_bcast:31 row_mask:0xf bank_mask:0xf
	s_and_saveexec_b64 s[22:23], s[2:3]
	s_cbranch_execz .LBB482_13
; %bb.12:
	v_add_f32_e32 v14, v14, v15
	v_lshrrev_b32_e32 v15, 4, v0
	v_and_b32_e32 v15, 60, v15
	ds_write_b32 v15, v14 offset:16
.LBB482_13:
	s_or_b64 exec, exec, s[22:23]
	v_and_b32_e32 v14, 3, v0
	v_lshlrev_b32_e32 v14, 2, v14
	s_waitcnt lgkmcnt(0)
	s_barrier
	ds_read_b32 v15, v14 offset:16
	s_load_dwordx2 s[38:39], s[4:5], 0x18
	s_waitcnt lgkmcnt(0)
	v_mov_b32_dpp v16, v15 quad_perm:[1,0,3,2] row_mask:0xf bank_mask:0xf
	v_add_f32_e32 v15, v15, v16
	s_nop 1
	v_mov_b32_dpp v16, v15 quad_perm:[2,3,0,1] row_mask:0xf bank_mask:0xf
	s_and_saveexec_b64 s[22:23], s[0:1]
	s_cbranch_execnz .LBB482_18
; %bb.14:
	s_or_b64 exec, exec, s[22:23]
	s_mov_b64 s[8:9], -1
	s_and_b64 vcc, exec, s[10:11]
	s_cbranch_vccnz .LBB482_19
.LBB482_15:
	s_andn2_b64 vcc, exec, s[8:9]
	s_cbranch_vccz .LBB482_22
.LBB482_16:
	s_cmp_lt_i32 s16, 1
	s_cbranch_scc0 .LBB482_29
.LBB482_17:
	s_endpgm
.LBB482_18:
	v_cvt_f32_u32_e32 v17, s7
	v_add_f32_e32 v15, v15, v16
	v_mov_b32_e32 v19, s13
	v_mov_b32_e32 v20, s12
	v_div_scale_f32 v16, s[28:29], v17, v17, v15
	v_rcp_f32_e32 v18, v16
	v_cndmask_b32_e64 v19, v19, v20, s[8:9]
	s_mov_b32 s7, 0x800000
	v_fma_f32 v20, -v16, v18, 1.0
	v_fmac_f32_e32 v18, v20, v18
	v_div_scale_f32 v20, vcc, v15, v17, v15
	v_mul_f32_e32 v21, v20, v18
	v_fma_f32 v22, -v16, v21, v20
	v_fmac_f32_e32 v21, v22, v18
	v_fma_f32 v16, -v16, v21, v20
	v_div_fmas_f32 v16, v16, v18, v21
	v_div_fixup_f32 v15, v16, v17, v15
	v_add_f32_e32 v15, v19, v15
	v_mul_f32_e32 v16, 0x4b800000, v15
	v_cmp_gt_f32_e32 vcc, s7, v15
	v_cndmask_b32_e32 v15, v15, v16, vcc
	v_rsq_f32_e32 v15, v15
	s_waitcnt vmcnt(0)
	v_cvt_f32_u32_sdwa v19, v10 dst_sel:DWORD dst_unused:UNUSED_PAD src0_sel:WORD_1
	v_cvt_f32_u32_sdwa v18, v10 dst_sel:DWORD dst_unused:UNUSED_PAD src0_sel:WORD_0
	v_cvt_f32_u32_sdwa v21, v11 dst_sel:DWORD dst_unused:UNUSED_PAD src0_sel:WORD_1
	v_mul_f32_e32 v16, 0x45800000, v15
	v_cndmask_b32_e32 v16, v15, v16, vcc
	v_mov_b32_e32 v17, v16
	v_cvt_f32_u32_sdwa v20, v11 dst_sel:DWORD dst_unused:UNUSED_PAD src0_sel:WORD_0
	;;#ASMSTART
	v_pk_mul_f32 v[2:3], v[2:3], v[16:17]
	;;#ASMEND
	;;#ASMSTART
	v_pk_mul_f32 v[4:5], v[4:5], v[16:17]
	;;#ASMEND
	;; [unrolled: 3-line block ×4, first 2 shown]
	v_cvt_f32_u32_sdwa v17, v12 dst_sel:DWORD dst_unused:UNUSED_PAD src0_sel:WORD_1
	v_cvt_f32_u32_sdwa v16, v12 dst_sel:DWORD dst_unused:UNUSED_PAD src0_sel:WORD_0
	v_pk_add_f32 v[10:11], v[18:19], 1.0 op_sel_hi:[1,0]
	v_cvt_f32_u32_sdwa v19, v13 dst_sel:DWORD dst_unused:UNUSED_PAD src0_sel:WORD_1
	v_cvt_f32_u32_sdwa v18, v13 dst_sel:DWORD dst_unused:UNUSED_PAD src0_sel:WORD_0
	;;#ASMSTART
	v_pk_mul_f32 v[2:3], v[2:3], v[10:11]
	;;#ASMEND
	v_pk_add_f32 v[10:11], v[20:21], 1.0 op_sel_hi:[1,0]
	;;#ASMSTART
	v_pk_mul_f32 v[4:5], v[4:5], v[10:11]
	;;#ASMEND
	v_pk_add_f32 v[10:11], v[16:17], 1.0 op_sel_hi:[1,0]
	;; [unrolled: 4-line block ×3, first 2 shown]
	;;#ASMSTART
	v_pk_mul_f32 v[8:9], v[8:9], v[10:11]
	;;#ASMEND
	s_or_b64 exec, exec, s[22:23]
	s_mov_b64 s[8:9], -1
	s_and_b64 vcc, exec, s[10:11]
	s_cbranch_vccz .LBB482_15
.LBB482_19:
	s_and_saveexec_b64 s[8:9], s[0:1]
	s_cbranch_execz .LBB482_21
; %bb.20:
	s_mul_hi_i32 s11, s34, s6
	s_mul_i32 s10, s34, s6
	s_lshl_b64 s[10:11], s[10:11], 1
	s_add_u32 s28, s38, s10
	s_addc_u32 s7, s39, s11
	s_and_b32 s29, s7, 0xffff
	s_mov_b32 s7, 0x7060302
	s_mov_b32 s31, 0x20000
	s_waitcnt vmcnt(0)
	v_perm_b32 v10, v3, v2, s7
	v_perm_b32 v11, v5, v4, s7
	;; [unrolled: 1-line block ×4, first 2 shown]
	v_lshlrev_b32_e32 v15, 4, v0
	buffer_store_dwordx4 v[10:13], v15, s[28:31], 0 offen
	;;#ASMSTART
	s_nop 0
	;;#ASMEND
.LBB482_21:
	s_or_b64 exec, exec, s[8:9]
	s_cbranch_execnz .LBB482_16
.LBB482_22:
	s_waitcnt vmcnt(0)
	v_mov_b32_e32 v10, 0
	s_and_saveexec_b64 s[8:9], s[0:1]
	s_cbranch_execz .LBB482_24
; %bb.23:
	v_and_b32_e32 v10, 0x7fffffff, v2
	v_and_b32_e32 v11, 0x7fffffff, v3
	v_mov_b32_e32 v12, 0x2edbe6ff
	;;#ASMSTART
	v_max3_f32 v10, v12, v10, v11

	;;#ASMEND
	v_and_b32_e32 v11, 0x7fffffff, v4
	v_and_b32_e32 v12, 0x7fffffff, v5
	;;#ASMSTART
	v_max3_f32 v10, v10, v11, v12

	;;#ASMEND
	v_and_b32_e32 v11, 0x7fffffff, v6
	v_and_b32_e32 v12, 0x7fffffff, v7
	;; [unrolled: 6-line block ×3, first 2 shown]
	;;#ASMSTART
	v_max3_f32 v10, v10, v11, v12

	;;#ASMEND
.LBB482_24:
	s_or_b64 exec, exec, s[8:9]
	;;#ASMSTART
	v_max_f32 v11, v10, v10 quad_perm:[1,0,3,2] row_mask:0xf bank_mask:0xf bound_ctrl:1
	;;#ASMEND
	;;#ASMSTART
	v_max_f32 v10, v11, v11 quad_perm:[2,3,0,1] row_mask:0xf bank_mask:0xf bound_ctrl:1
	;;#ASMEND
	;;#ASMSTART
	v_max_f32 v11, v10, v10 row_half_mirror row_mask:0xf bank_mask:0xf bound_ctrl:1
	;;#ASMEND
	;;#ASMSTART
	v_max_f32 v10, v11, v11 row_mirror row_mask:0xf bank_mask:0xf bound_ctrl:1
	;;#ASMEND
	v_and_b32_e32 v11, 15, v0
	v_cmp_eq_u32_e32 vcc, 0, v11
	v_cmp_gt_i32_e64 s[8:9], s15, v1
	v_mul_f32_e32 v10, 0x3b124925, v10
	s_and_b64 s[10:11], vcc, s[8:9]
	s_and_saveexec_b64 s[8:9], s[10:11]
	s_cbranch_execz .LBB482_26
; %bb.25:
	s_load_dwordx2 s[10:11], s[4:5], 0x8
	s_mul_hi_i32 s23, s25, s6
	s_mul_i32 s22, s25, s6
	v_lshrrev_b32_e32 v11, 4, v0
	s_lshl_b64 s[22:23], s[22:23], 2
	v_mad_i64_i32 v[12:13], s[26:27], s26, v11, 0
	s_waitcnt lgkmcnt(0)
	s_add_u32 s7, s10, s22
	s_addc_u32 s10, s11, s23
	v_lshlrev_b64 v[12:13], 2, v[12:13]
	v_mov_b32_e32 v11, s10
	v_add_co_u32_e32 v12, vcc, s7, v12
	v_addc_co_u32_e32 v13, vcc, v11, v13, vcc
	global_store_dword v[12:13], v10, off
.LBB482_26:
	s_or_b64 exec, exec, s[8:9]
	;;#ASMSTART
	v_rcp_f32 v10, v10
	;;#ASMEND
	s_and_saveexec_b64 s[22:23], s[0:1]
	s_cbranch_execz .LBB482_28
; %bb.27:
	s_load_dwordx2 s[0:1], s[4:5], 0x0
	s_mul_i32 s8, s24, s6
	v_mov_b32_e32 v11, v10
	;;#ASMSTART
	v_pk_mul_f32 v[2:3], v[2:3], v[10:11]
	;;#ASMEND
	s_mul_hi_i32 s7, s24, s6
	s_waitcnt lgkmcnt(0)
	s_add_u32 s8, s0, s8
	v_mov_b32_e32 v12, 0xc3e00000
	v_mov_b32_e32 v13, 0x43e00000
	;;#ASMSTART
	v_med3_f32 v2, v2, v12, v13
v_med3_f32 v3, v3, v12, v13
v_cvt_pk_fp8_f32 v15, v2, v3
	;;#ASMEND
	s_addc_u32 s0, s1, s7
	;;#ASMSTART
	v_pk_mul_f32 v[2:3], v[4:5], v[10:11]
	;;#ASMEND
	s_and_b32 s9, s0, 0xffff
	;;#ASMSTART
	v_med3_f32 v2, v2, v12, v13
v_med3_f32 v3, v3, v12, v13
v_cvt_pk_fp8_f32 v4, v2, v3
	;;#ASMEND
	s_mov_b32 s0, 0x5040100
	v_perm_b32 v3, v4, v15, s0
	s_movk_i32 s0, 0xff
	v_and_b32_e32 v2, 0xffffff00, v4
	v_and_b32_sdwa v4, v3, s0 dst_sel:DWORD dst_unused:UNUSED_PAD src0_sel:WORD_1 src1_sel:DWORD
	s_mov_b32 s12, 0xffff
	v_or_b32_sdwa v2, v4, v2 dst_sel:WORD_1 dst_unused:UNUSED_PAD src0_sel:DWORD src1_sel:DWORD
	v_and_or_b32 v2, v3, s12, v2
	;;#ASMSTART
	v_pk_mul_f32 v[4:5], v[6:7], v[10:11]
	;;#ASMEND
	v_mov_b32_e32 v3, v5
	s_add_i32 s1, s15, 3
	;;#ASMSTART
	v_med3_f32 v4, v4, v12, v13
v_med3_f32 v3, v3, v12, v13
v_cvt_pk_fp8_f32 v6, v4, v3
	;;#ASMEND
	s_ashr_i32 s7, s1, 31
	;;#ASMSTART
	v_pk_mul_f32 v[4:5], v[8:9], v[10:11]
	;;#ASMEND
	v_mov_b32_e32 v3, v4
	s_lshr_b32 s7, s7, 30
	;;#ASMSTART
	v_med3_f32 v3, v3, v12, v13
v_med3_f32 v5, v5, v12, v13
v_cvt_pk_fp8_f32 v4, v3, v5
	;;#ASMEND
	s_add_i32 s1, s1, s7
	v_lshlrev_b32_e32 v3, 16, v4
	s_and_b32 s10, s1, -4
	s_mov_b32 s11, 0x20000
	v_and_or_b32 v3, v6, s12, v3
	buffer_store_dwordx2 v[2:3], v1, s[8:11], 0 offen
	;;#ASMSTART
	s_nop 0
	;;#ASMEND
.LBB482_28:
	s_or_b64 exec, exec, s[22:23]
	s_cmp_lt_i32 s16, 1
	s_cbranch_scc1 .LBB482_17
.LBB482_29:
	s_load_dword s0, s[4:5], 0x94
	s_waitcnt lgkmcnt(0)
	s_cmp_lg_u32 s0, 1
	s_cbranch_scc1 .LBB482_17
; %bb.30:
	s_lshl_b32 s0, s16, 1
	s_add_i32 s0, s0, 2
	v_cmp_gt_u32_e32 vcc, s16, v1
	s_and_b32 s22, s0, -4
	v_mov_b32_e32 v6, 0
	v_lshlrev_b32_e32 v1, 4, v0
	v_mov_b32_e32 v7, 0
	v_mov_b32_e32 v8, 0
	;; [unrolled: 1-line block ×7, first 2 shown]
	s_barrier
	s_and_saveexec_b64 s[0:1], vcc
	s_cbranch_execz .LBB482_32
; %bb.31:
	s_mul_hi_i32 s5, s18, s6
	s_mul_i32 s4, s18, s6
	s_and_b32 s21, s21, 0xffff
	s_lshl_b64 s[4:5], s[4:5], 1
	s_add_u32 s8, s36, s4
	s_mov_b32 s23, 0x20000
	s_addc_u32 s4, s37, s5
	s_and_b32 s9, s4, 0xffff
	s_mov_b32 s10, s22
	s_mov_b32 s11, s23
	buffer_load_dwordx4 v[6:9], v1, s[8:11], 0 offen glc slc
	buffer_load_dwordx4 v[2:5], v1, s[20:23], 0 offen
.LBB482_32:
	s_or_b64 exec, exec, s[0:1]
	s_waitcnt vmcnt(0)
	v_cvt_f32_u32_sdwa v13, v6 dst_sel:DWORD dst_unused:UNUSED_PAD src0_sel:WORD_1
	v_cvt_f32_u32_sdwa v12, v6 dst_sel:DWORD dst_unused:UNUSED_PAD src0_sel:WORD_0
	v_cvt_f32_u32_sdwa v6, v9 dst_sel:DWORD dst_unused:UNUSED_PAD src0_sel:WORD_1
	v_cvt_f32_u32_sdwa v9, v9 dst_sel:DWORD dst_unused:UNUSED_PAD src0_sel:WORD_0
	;; [unrolled: 2-line block ×4, first 2 shown]
	v_cndmask_b32_e32 v13, 0, v13, vcc
	v_cndmask_b32_e32 v7, 0, v6, vcc
	;; [unrolled: 1-line block ×5, first 2 shown]
	v_mul_f32_e32 v15, v13, v13
	v_cndmask_b32_e32 v10, 0, v10, vcc
	v_fmac_f32_e32 v15, v12, v12
	v_cndmask_b32_e32 v11, 0, v11, vcc
	v_fmac_f32_e32 v15, v10, v10
	;; [unrolled: 2-line block ×3, first 2 shown]
	v_fmac_f32_e32 v15, v8, v8
	v_fmac_f32_e32 v15, v9, v9
	;; [unrolled: 1-line block ×4, first 2 shown]
	s_nop 1
	v_mov_b32_dpp v16, v15 quad_perm:[1,0,3,2] row_mask:0xf bank_mask:0xf
	v_add_f32_e32 v15, v15, v16
	s_nop 1
	v_mov_b32_dpp v16, v15 quad_perm:[2,3,0,1] row_mask:0xf bank_mask:0xf
	v_add_f32_e32 v15, v15, v16
	s_nop 1
	v_mov_b32_dpp v16, v15 row_half_mirror row_mask:0xf bank_mask:0xf
	v_add_f32_e32 v15, v15, v16
	s_nop 1
	v_mov_b32_dpp v16, v15 row_mirror row_mask:0xf bank_mask:0xf
	v_add_f32_e32 v15, v15, v16
	s_nop 1
	v_mov_b32_dpp v16, v15 row_bcast:15 row_mask:0xf bank_mask:0xf
	v_add_f32_e32 v15, v15, v16
	s_nop 1
	v_mov_b32_dpp v16, v15 row_bcast:31 row_mask:0xf bank_mask:0xf
	s_and_saveexec_b64 s[0:1], s[2:3]
	s_cbranch_execz .LBB482_34
; %bb.33:
	v_lshrrev_b32_e32 v0, 4, v0
	v_add_f32_e32 v15, v15, v16
	v_and_b32_e32 v0, 60, v0
	ds_write_b32 v0, v15
.LBB482_34:
	s_or_b64 exec, exec, s[0:1]
	s_waitcnt lgkmcnt(0)
	s_barrier
	ds_read_b32 v0, v14
	s_waitcnt lgkmcnt(0)
	s_nop 0
	v_mov_b32_dpp v14, v0 quad_perm:[1,0,3,2] row_mask:0xf bank_mask:0xf
	v_add_f32_e32 v0, v0, v14
	s_nop 1
	v_mov_b32_dpp v14, v0 quad_perm:[2,3,0,1] row_mask:0xf bank_mask:0xf
	s_and_saveexec_b64 s[0:1], vcc
	s_cbranch_execz .LBB482_17
; %bb.35:
	v_cvt_f32_u32_e32 v15, s16
	v_add_f32_e32 v0, v0, v14
	s_mov_b32 s23, 0x20000
	v_div_scale_f32 v14, s[0:1], v15, v15, v0
	v_rcp_f32_e32 v16, v14
	v_div_scale_f32 v17, vcc, v0, v15, v0
	s_mov_b32 s0, 0x800000
	v_fma_f32 v18, -v14, v16, 1.0
	v_fmac_f32_e32 v16, v18, v16
	v_mul_f32_e32 v18, v17, v16
	v_fma_f32 v19, -v14, v18, v17
	v_fmac_f32_e32 v18, v19, v16
	v_fma_f32 v14, -v14, v18, v17
	v_div_fmas_f32 v14, v14, v16, v18
	v_div_fixup_f32 v0, v14, v15, v0
	v_add_f32_e32 v0, s13, v0
	v_mul_f32_e32 v14, 0x4b800000, v0
	v_cmp_gt_f32_e32 vcc, s0, v0
	v_cndmask_b32_e32 v0, v0, v14, vcc
	v_rsq_f32_e32 v0, v0
	v_cvt_f32_u32_sdwa v17, v2 dst_sel:DWORD dst_unused:UNUSED_PAD src0_sel:WORD_1
	v_cvt_f32_u32_sdwa v16, v2 dst_sel:DWORD dst_unused:UNUSED_PAD src0_sel:WORD_0
	v_cvt_f32_u32_sdwa v19, v3 dst_sel:DWORD dst_unused:UNUSED_PAD src0_sel:WORD_1
	v_mul_f32_e32 v14, 0x45800000, v0
	v_cndmask_b32_e32 v14, v0, v14, vcc
	v_mov_b32_e32 v15, v14
	;;#ASMSTART
	v_pk_mul_f32 v[12:13], v[12:13], v[14:15]
	;;#ASMEND
	;;#ASMSTART
	v_pk_mul_f32 v[10:11], v[10:11], v[14:15]
	;;#ASMEND
	;; [unrolled: 3-line block ×3, first 2 shown]
	v_cvt_f32_u32_sdwa v18, v3 dst_sel:DWORD dst_unused:UNUSED_PAD src0_sel:WORD_0
	;;#ASMSTART
	v_pk_mul_f32 v[2:3], v[6:7], v[14:15]
	;;#ASMEND
	v_cvt_f32_u32_sdwa v15, v4 dst_sel:DWORD dst_unused:UNUSED_PAD src0_sel:WORD_1
	v_cvt_f32_u32_sdwa v14, v4 dst_sel:DWORD dst_unused:UNUSED_PAD src0_sel:WORD_0
	v_pk_add_f32 v[6:7], v[16:17], 1.0 op_sel_hi:[1,0]
	v_cvt_f32_u32_sdwa v17, v5 dst_sel:DWORD dst_unused:UNUSED_PAD src0_sel:WORD_1
	v_cvt_f32_u32_sdwa v16, v5 dst_sel:DWORD dst_unused:UNUSED_PAD src0_sel:WORD_0
	s_mul_hi_i32 s1, s34, s6
	s_mul_i32 s0, s34, s6
	s_lshl_b64 s[0:1], s[0:1], 1
	s_add_u32 s20, s38, s0
	;;#ASMSTART
	v_pk_mul_f32 v[6:7], v[12:13], v[6:7]
	;;#ASMEND
	v_pk_add_f32 v[12:13], v[18:19], 1.0 op_sel_hi:[1,0]
	;;#ASMSTART
	v_pk_mul_f32 v[4:5], v[10:11], v[12:13]
	;;#ASMEND
	v_pk_add_f32 v[10:11], v[14:15], 1.0 op_sel_hi:[1,0]
	s_addc_u32 s0, s39, s1
	;;#ASMSTART
	v_pk_mul_f32 v[8:9], v[8:9], v[10:11]
	;;#ASMEND
	v_pk_add_f32 v[10:11], v[16:17], 1.0 op_sel_hi:[1,0]
	s_and_b32 s21, s0, 0xffff
	s_mov_b32 s0, 0x7060302
	;;#ASMSTART
	v_pk_mul_f32 v[10:11], v[2:3], v[10:11]
	;;#ASMEND
	v_perm_b32 v2, v7, v6, s0
	v_perm_b32 v3, v5, v4, s0
	;; [unrolled: 1-line block ×4, first 2 shown]
	buffer_store_dwordx4 v[2:5], v1, s[20:23], 0 offen
	;;#ASMSTART
	s_nop 0
	;;#ASMEND
	s_endpgm
	.section	.rodata,"a",@progbits
	.p2align	6, 0x0
	.amdhsa_kernel _ZN5aiter35fused_qk_rmsnorm_group_quant_kernelItDB8_Li256ELi8ELi16ELb1ELb0ELb1ELb0ELb0ELb0EEEvPT0_PvPT_S6_S6_PKS5_S8_S8_S8_S8_ffiiiiiiiiiiiii
		.amdhsa_group_segment_fixed_size 32
		.amdhsa_private_segment_fixed_size 0
		.amdhsa_kernarg_size 400
		.amdhsa_user_sgpr_count 6
		.amdhsa_user_sgpr_private_segment_buffer 1
		.amdhsa_user_sgpr_dispatch_ptr 0
		.amdhsa_user_sgpr_queue_ptr 0
		.amdhsa_user_sgpr_kernarg_segment_ptr 1
		.amdhsa_user_sgpr_dispatch_id 0
		.amdhsa_user_sgpr_flat_scratch_init 0
		.amdhsa_user_sgpr_kernarg_preload_length 0
		.amdhsa_user_sgpr_kernarg_preload_offset 0
		.amdhsa_user_sgpr_private_segment_size 0
		.amdhsa_uses_dynamic_stack 0
		.amdhsa_system_sgpr_private_segment_wavefront_offset 0
		.amdhsa_system_sgpr_workgroup_id_x 1
		.amdhsa_system_sgpr_workgroup_id_y 1
		.amdhsa_system_sgpr_workgroup_id_z 0
		.amdhsa_system_sgpr_workgroup_info 0
		.amdhsa_system_vgpr_workitem_id 0
		.amdhsa_next_free_vgpr 27
		.amdhsa_next_free_sgpr 48
		.amdhsa_accum_offset 28
		.amdhsa_reserve_vcc 1
		.amdhsa_reserve_flat_scratch 0
		.amdhsa_float_round_mode_32 0
		.amdhsa_float_round_mode_16_64 0
		.amdhsa_float_denorm_mode_32 3
		.amdhsa_float_denorm_mode_16_64 3
		.amdhsa_dx10_clamp 1
		.amdhsa_ieee_mode 1
		.amdhsa_fp16_overflow 0
		.amdhsa_tg_split 0
		.amdhsa_exception_fp_ieee_invalid_op 0
		.amdhsa_exception_fp_denorm_src 0
		.amdhsa_exception_fp_ieee_div_zero 0
		.amdhsa_exception_fp_ieee_overflow 0
		.amdhsa_exception_fp_ieee_underflow 0
		.amdhsa_exception_fp_ieee_inexact 0
		.amdhsa_exception_int_div_zero 0
	.end_amdhsa_kernel
	.section	.text._ZN5aiter35fused_qk_rmsnorm_group_quant_kernelItDB8_Li256ELi8ELi16ELb1ELb0ELb1ELb0ELb0ELb0EEEvPT0_PvPT_S6_S6_PKS5_S8_S8_S8_S8_ffiiiiiiiiiiiii,"axG",@progbits,_ZN5aiter35fused_qk_rmsnorm_group_quant_kernelItDB8_Li256ELi8ELi16ELb1ELb0ELb1ELb0ELb0ELb0EEEvPT0_PvPT_S6_S6_PKS5_S8_S8_S8_S8_ffiiiiiiiiiiiii,comdat
.Lfunc_end482:
	.size	_ZN5aiter35fused_qk_rmsnorm_group_quant_kernelItDB8_Li256ELi8ELi16ELb1ELb0ELb1ELb0ELb0ELb0EEEvPT0_PvPT_S6_S6_PKS5_S8_S8_S8_S8_ffiiiiiiiiiiiii, .Lfunc_end482-_ZN5aiter35fused_qk_rmsnorm_group_quant_kernelItDB8_Li256ELi8ELi16ELb1ELb0ELb1ELb0ELb0ELb0EEEvPT0_PvPT_S6_S6_PKS5_S8_S8_S8_S8_ffiiiiiiiiiiiii
                                        ; -- End function
	.section	.AMDGPU.csdata,"",@progbits
; Kernel info:
; codeLenInByte = 3000
; NumSgprs: 52
; NumVgprs: 27
; NumAgprs: 0
; TotalNumVgprs: 27
; ScratchSize: 0
; MemoryBound: 0
; FloatMode: 240
; IeeeMode: 1
; LDSByteSize: 32 bytes/workgroup (compile time only)
; SGPRBlocks: 6
; VGPRBlocks: 3
; NumSGPRsForWavesPerEU: 52
; NumVGPRsForWavesPerEU: 27
; AccumOffset: 28
; Occupancy: 8
; WaveLimiterHint : 0
; COMPUTE_PGM_RSRC2:SCRATCH_EN: 0
; COMPUTE_PGM_RSRC2:USER_SGPR: 6
; COMPUTE_PGM_RSRC2:TRAP_HANDLER: 0
; COMPUTE_PGM_RSRC2:TGID_X_EN: 1
; COMPUTE_PGM_RSRC2:TGID_Y_EN: 1
; COMPUTE_PGM_RSRC2:TGID_Z_EN: 0
; COMPUTE_PGM_RSRC2:TIDIG_COMP_CNT: 0
; COMPUTE_PGM_RSRC3_GFX90A:ACCUM_OFFSET: 6
; COMPUTE_PGM_RSRC3_GFX90A:TG_SPLIT: 0
	.section	.text._ZN5aiter35fused_qk_rmsnorm_group_quant_kernelIDF16_N4opus5fp4_tELi256ELi8ELi16ELb1ELb0ELb1ELb0ELb0ELb0EEEvPT0_PvPT_S7_S7_PKS6_S9_S9_S9_S9_ffiiiiiiiiiiiii,"axG",@progbits,_ZN5aiter35fused_qk_rmsnorm_group_quant_kernelIDF16_N4opus5fp4_tELi256ELi8ELi16ELb1ELb0ELb1ELb0ELb0ELb0EEEvPT0_PvPT_S7_S7_PKS6_S9_S9_S9_S9_ffiiiiiiiiiiiii,comdat
	.protected	_ZN5aiter35fused_qk_rmsnorm_group_quant_kernelIDF16_N4opus5fp4_tELi256ELi8ELi16ELb1ELb0ELb1ELb0ELb0ELb0EEEvPT0_PvPT_S7_S7_PKS6_S9_S9_S9_S9_ffiiiiiiiiiiiii ; -- Begin function _ZN5aiter35fused_qk_rmsnorm_group_quant_kernelIDF16_N4opus5fp4_tELi256ELi8ELi16ELb1ELb0ELb1ELb0ELb0ELb0EEEvPT0_PvPT_S7_S7_PKS6_S9_S9_S9_S9_ffiiiiiiiiiiiii
	.globl	_ZN5aiter35fused_qk_rmsnorm_group_quant_kernelIDF16_N4opus5fp4_tELi256ELi8ELi16ELb1ELb0ELb1ELb0ELb0ELb0EEEvPT0_PvPT_S7_S7_PKS6_S9_S9_S9_S9_ffiiiiiiiiiiiii
	.p2align	8
	.type	_ZN5aiter35fused_qk_rmsnorm_group_quant_kernelIDF16_N4opus5fp4_tELi256ELi8ELi16ELb1ELb0ELb1ELb0ELb0ELb0EEEvPT0_PvPT_S7_S7_PKS6_S9_S9_S9_S9_ffiiiiiiiiiiiii,@function
_ZN5aiter35fused_qk_rmsnorm_group_quant_kernelIDF16_N4opus5fp4_tELi256ELi8ELi16ELb1ELb0ELb1ELb0ELb0ELb0EEEvPT0_PvPT_S7_S7_PKS6_S9_S9_S9_S9_ffiiiiiiiiiiiii: ; @_ZN5aiter35fused_qk_rmsnorm_group_quant_kernelIDF16_N4opus5fp4_tELi256ELi8ELi16ELb1ELb0ELb1ELb0ELb0ELb0EEEvPT0_PvPT_S7_S7_PKS6_S9_S9_S9_S9_ffiiiiiiiiiiiii
; %bb.0:
	s_load_dwordx8 s[12:19], s[4:5], 0x50
	s_waitcnt lgkmcnt(0)
	s_cmp_ge_i32 s6, s14
	s_cbranch_scc1 .LBB483_17
; %bb.1:
	s_cmp_lg_u32 s7, 0
	s_cselect_b64 s[22:23], -1, 0
	s_cmp_eq_u32 s7, 0
	s_cselect_b64 s[8:9], -1, 0
	s_and_b64 s[0:1], s[8:9], exec
	s_load_dwordx2 s[20:21], s[4:5], 0x48
	s_load_dwordx2 s[34:35], s[4:5], 0x30
	s_load_dwordx4 s[24:27], s[4:5], 0x70
	s_cselect_b32 s7, s15, s16
	s_add_i32 s0, s7, 1
	s_lshr_b32 s1, s0, 31
	s_add_i32 s0, s0, s1
	s_lshl_b32 s0, s0, 1
	v_lshlrev_b32_e32 v1, 3, v0
	s_and_b32 s30, s0, -4
	v_cmp_gt_i32_e64 s[0:1], s7, v1
	v_mov_b32_e32 v2, 0
	v_mov_b32_e32 v3, 0
	;; [unrolled: 1-line block ×8, first 2 shown]
	s_and_saveexec_b64 s[2:3], s[0:1]
	s_cbranch_execz .LBB483_3
; %bb.2:
	s_load_dwordx2 s[10:11], s[4:5], 0x28
	s_load_dwordx2 s[28:29], s[4:5], 0x40
	s_and_b64 s[36:37], s[8:9], exec
	s_cselect_b32 s14, s17, s18
	s_mov_b32 s31, 0x20000
	s_waitcnt lgkmcnt(0)
	s_cselect_b32 s17, s11, s35
	s_cselect_b32 s27, s10, s34
	s_mul_hi_i32 s11, s14, s6
	s_mul_i32 s10, s14, s6
	s_lshl_b64 s[10:11], s[10:11], 1
	s_add_u32 s36, s27, s10
	s_addc_u32 s14, s17, s11
	s_and_b64 s[10:11], s[8:9], exec
	s_cselect_b32 s28, s28, s20
	s_cselect_b32 s10, s29, s21
	v_lshlrev_b32_e32 v10, 4, v0
	s_and_b32 s37, s14, 0xffff
	s_mov_b32 s38, s30
	s_mov_b32 s39, s31
	s_and_b32 s29, s10, 0xffff
	buffer_load_dwordx4 v[6:9], v10, s[36:39], 0 offen glc slc
	buffer_load_dwordx4 v[2:5], v10, s[28:31], 0 offen
.LBB483_3:
	s_or_b64 exec, exec, s[2:3]
	s_load_dwordx2 s[10:11], s[4:5], 0x80
	s_and_b64 vcc, exec, s[22:23]
	s_cbranch_vccz .LBB483_7
; %bb.4:
	v_mov_b32_e32 v11, 0
	v_mov_b32_e32 v10, 0
	;; [unrolled: 1-line block ×8, first 2 shown]
	s_and_saveexec_b64 s[2:3], s[0:1]
	s_cbranch_execz .LBB483_6
; %bb.5:
	s_waitcnt vmcnt(1)
	v_cvt_f32_f16_sdwa v15, v6 dst_sel:DWORD dst_unused:UNUSED_PAD src0_sel:WORD_1
	v_cvt_f32_f16_e32 v14, v6
	v_cvt_f32_f16_sdwa v17, v7 dst_sel:DWORD dst_unused:UNUSED_PAD src0_sel:WORD_1
	v_cvt_f32_f16_e32 v16, v7
	;; [unrolled: 2-line block ×4, first 2 shown]
.LBB483_6:
	s_or_b64 exec, exec, s[2:3]
	s_cbranch_execz .LBB483_8
	s_branch .LBB483_11
.LBB483_7:
                                        ; implicit-def: $vgpr11
                                        ; implicit-def: $vgpr13
                                        ; implicit-def: $vgpr17
                                        ; implicit-def: $vgpr15
.LBB483_8:
	v_mov_b32_e32 v11, 0
	v_mov_b32_e32 v10, 0
	;; [unrolled: 1-line block ×8, first 2 shown]
	s_and_saveexec_b64 s[2:3], s[0:1]
	s_cbranch_execz .LBB483_10
; %bb.9:
	s_load_dwordx2 s[28:29], s[4:5], 0x38
	s_mul_hi_i32 s37, s19, s6
	s_mul_i32 s36, s19, s6
	s_lshl_b64 s[36:37], s[36:37], 1
	s_mov_b32 s31, 0x20000
	s_waitcnt lgkmcnt(0)
	s_add_u32 s28, s28, s36
	s_addc_u32 s14, s29, s37
	s_and_b32 s29, s14, 0xffff
	v_lshlrev_b32_e32 v24, 4, v0
	buffer_load_dwordx4 v[10:13], v24, s[28:31], 0 offen glc slc
	s_waitcnt vmcnt(2)
	v_cvt_f32_f16_sdwa v15, v6 dst_sel:DWORD dst_unused:UNUSED_PAD src0_sel:WORD_1
	v_cvt_f32_f16_e32 v14, v6
	v_cvt_f32_f16_sdwa v17, v7 dst_sel:DWORD dst_unused:UNUSED_PAD src0_sel:WORD_1
	v_cvt_f32_f16_e32 v16, v7
	;; [unrolled: 2-line block ×4, first 2 shown]
	s_load_dwordx2 s[28:29], s[4:5], 0x20
	s_mul_hi_i32 s37, s11, s6
	s_mul_i32 s36, s11, s6
	s_lshl_b64 s[36:37], s[36:37], 1
	s_waitcnt lgkmcnt(0)
	s_add_u32 s28, s28, s36
	s_addc_u32 s11, s29, s37
	s_and_b32 s29, s11, 0xffff
	s_waitcnt vmcnt(0)
	v_cvt_f32_f16_e32 v8, v10
	v_cvt_f32_f16_sdwa v9, v10 dst_sel:DWORD dst_unused:UNUSED_PAD src0_sel:WORD_1
	v_cvt_f32_f16_e32 v10, v11
	v_cvt_f32_f16_sdwa v11, v11 dst_sel:DWORD dst_unused:UNUSED_PAD src0_sel:WORD_1
	;; [unrolled: 2-line block ×4, first 2 shown]
	v_pk_add_f32 v[14:15], v[14:15], v[8:9]
	v_pk_add_f32 v[16:17], v[16:17], v[10:11]
	;; [unrolled: 1-line block ×4, first 2 shown]
	v_cvt_f16_f32_e32 v6, v15
	v_cvt_f16_f32_e32 v7, v17
	;; [unrolled: 1-line block ×8, first 2 shown]
	v_pack_b32_f16 v9, v18, v9
	v_pack_b32_f16 v8, v19, v8
	;; [unrolled: 1-line block ×4, first 2 shown]
	buffer_store_dwordx4 v[6:9], v24, s[28:31], 0 offen glc slc
	;;#ASMSTART
	s_nop 0
	;;#ASMEND
.LBB483_10:
	s_or_b64 exec, exec, s[2:3]
.LBB483_11:
	s_waitcnt vmcnt(1)
	v_mul_f32_e32 v6, v15, v15
	v_fmac_f32_e32 v6, v14, v14
	v_fmac_f32_e32 v6, v16, v16
	;; [unrolled: 1-line block ×7, first 2 shown]
	v_and_b32_e32 v8, 63, v0
	v_cmp_eq_u32_e64 s[2:3], 63, v8
	v_mov_b32_dpp v7, v6 quad_perm:[1,0,3,2] row_mask:0xf bank_mask:0xf
	v_add_f32_e32 v6, v6, v7
	s_nop 1
	v_mov_b32_dpp v7, v6 quad_perm:[2,3,0,1] row_mask:0xf bank_mask:0xf
	v_add_f32_e32 v6, v6, v7
	s_nop 1
	v_mov_b32_dpp v7, v6 row_half_mirror row_mask:0xf bank_mask:0xf
	v_add_f32_e32 v6, v6, v7
	s_nop 1
	v_mov_b32_dpp v7, v6 row_mirror row_mask:0xf bank_mask:0xf
	v_add_f32_e32 v6, v6, v7
	s_nop 1
	v_mov_b32_dpp v7, v6 row_bcast:15 row_mask:0xf bank_mask:0xf
	v_add_f32_e32 v6, v6, v7
	s_nop 1
	v_mov_b32_dpp v7, v6 row_bcast:31 row_mask:0xf bank_mask:0xf
	s_and_saveexec_b64 s[28:29], s[2:3]
	s_cbranch_execz .LBB483_13
; %bb.12:
	v_add_f32_e32 v6, v6, v7
	v_lshrrev_b32_e32 v7, 4, v0
	v_and_b32_e32 v7, 60, v7
	ds_write_b32 v7, v6 offset:16
.LBB483_13:
	s_or_b64 exec, exec, s[28:29]
	v_and_b32_e32 v6, 3, v0
	v_lshlrev_b32_e32 v18, 2, v6
	s_waitcnt lgkmcnt(0)
	s_barrier
	ds_read_b32 v6, v18 offset:16
	s_load_dwordx2 s[36:37], s[4:5], 0x18
	s_waitcnt lgkmcnt(0)
	v_mov_b32_dpp v7, v6 quad_perm:[1,0,3,2] row_mask:0xf bank_mask:0xf
	v_add_f32_e32 v6, v6, v7
	s_nop 1
	v_mov_b32_dpp v7, v6 quad_perm:[2,3,0,1] row_mask:0xf bank_mask:0xf
	s_and_saveexec_b64 s[28:29], s[0:1]
	s_cbranch_execnz .LBB483_18
; %bb.14:
	s_or_b64 exec, exec, s[28:29]
	s_mov_b64 s[8:9], -1
	s_and_b64 vcc, exec, s[22:23]
	s_cbranch_vccnz .LBB483_19
.LBB483_15:
	s_andn2_b64 vcc, exec, s[8:9]
	s_cbranch_vccz .LBB483_22
.LBB483_16:
	s_cmp_lt_i32 s16, 1
	s_cbranch_scc0 .LBB483_29
.LBB483_17:
	s_endpgm
.LBB483_18:
	v_cvt_f32_u32_e32 v8, s7
	v_add_f32_e32 v6, v6, v7
	v_mov_b32_e32 v19, s13
	v_mov_b32_e32 v20, s12
	v_div_scale_f32 v7, s[38:39], v8, v8, v6
	v_rcp_f32_e32 v9, v7
	v_cndmask_b32_e64 v19, v19, v20, s[8:9]
	s_mov_b32 s7, 0x800000
	v_fma_f32 v20, -v7, v9, 1.0
	v_fmac_f32_e32 v9, v20, v9
	v_div_scale_f32 v20, vcc, v6, v8, v6
	v_mul_f32_e32 v21, v20, v9
	v_fma_f32 v22, -v7, v21, v20
	v_fmac_f32_e32 v21, v22, v9
	v_fma_f32 v7, -v7, v21, v20
	v_div_fmas_f32 v7, v7, v9, v21
	v_div_fixup_f32 v6, v7, v8, v6
	v_add_f32_e32 v6, v19, v6
	v_mul_f32_e32 v7, 0x4b800000, v6
	v_cmp_gt_f32_e32 vcc, s7, v6
	v_cndmask_b32_e32 v6, v6, v7, vcc
	v_rsq_f32_e32 v6, v6
	s_waitcnt vmcnt(0)
	v_cvt_f32_f16_sdwa v21, v3 dst_sel:DWORD dst_unused:UNUSED_PAD src0_sel:WORD_1
	v_cvt_f32_f16_e32 v20, v3
	v_mul_f32_e32 v7, 0x45800000, v6
	v_cndmask_b32_e32 v6, v6, v7, vcc
	v_mov_b32_e32 v7, v6
	;;#ASMSTART
	v_pk_mul_f32 v[8:9], v[14:15], v[6:7]
	;;#ASMEND
	v_cvt_f32_f16_sdwa v15, v2 dst_sel:DWORD dst_unused:UNUSED_PAD src0_sel:WORD_1
	v_cvt_f32_f16_e32 v14, v2
	;;#ASMSTART
	v_pk_mul_f32 v[16:17], v[16:17], v[6:7]
	;;#ASMEND
	;;#ASMSTART
	v_pk_mul_f32 v[12:13], v[12:13], v[6:7]
	;;#ASMEND
	;; [unrolled: 3-line block ×3, first 2 shown]
	v_pk_add_f32 v[6:7], v[14:15], 1.0 op_sel_hi:[1,0]
	;;#ASMSTART
	v_pk_mul_f32 v[14:15], v[8:9], v[6:7]
	;;#ASMEND
	v_cvt_f32_f16_sdwa v9, v4 dst_sel:DWORD dst_unused:UNUSED_PAD src0_sel:WORD_1
	v_cvt_f32_f16_e32 v8, v4
	v_cvt_f32_f16_sdwa v11, v5 dst_sel:DWORD dst_unused:UNUSED_PAD src0_sel:WORD_1
	v_cvt_f32_f16_e32 v10, v5
	v_pk_add_f32 v[6:7], v[20:21], 1.0 op_sel_hi:[1,0]
	v_pk_add_f32 v[4:5], v[8:9], 1.0 op_sel_hi:[1,0]
	;;#ASMSTART
	v_pk_mul_f32 v[16:17], v[16:17], v[6:7]
	;;#ASMEND
	;;#ASMSTART
	v_pk_mul_f32 v[12:13], v[12:13], v[4:5]
	;;#ASMEND
	v_pk_add_f32 v[4:5], v[10:11], 1.0 op_sel_hi:[1,0]
	;;#ASMSTART
	v_pk_mul_f32 v[10:11], v[2:3], v[4:5]
	;;#ASMEND
	s_or_b64 exec, exec, s[28:29]
	s_mov_b64 s[8:9], -1
	s_and_b64 vcc, exec, s[22:23]
	s_cbranch_vccz .LBB483_15
.LBB483_19:
	s_and_saveexec_b64 s[8:9], s[0:1]
	s_cbranch_execz .LBB483_21
; %bb.20:
	s_mul_hi_i32 s23, s10, s6
	s_mul_i32 s22, s10, s6
	s_waitcnt vmcnt(0)
	v_cvt_f16_f32_e32 v2, v14
	v_cvt_f16_f32_e32 v3, v16
	;; [unrolled: 1-line block ×8, first 2 shown]
	s_lshl_b64 s[22:23], s[22:23], 1
	s_add_u32 s28, s36, s22
	s_addc_u32 s7, s37, s23
	s_and_b32 s29, s7, 0xffff
	s_mov_b32 s31, 0x20000
	v_pack_b32_f16 v5, v5, v6
	v_pack_b32_f16 v4, v4, v7
	;; [unrolled: 1-line block ×4, first 2 shown]
	v_lshlrev_b32_e32 v6, 4, v0
	buffer_store_dwordx4 v[2:5], v6, s[28:31], 0 offen
	;;#ASMSTART
	s_nop 0
	;;#ASMEND
.LBB483_21:
	s_or_b64 exec, exec, s[8:9]
	s_cbranch_execnz .LBB483_16
.LBB483_22:
	s_waitcnt vmcnt(0)
	v_mov_b32_e32 v2, 0
	s_and_saveexec_b64 s[8:9], s[0:1]
	s_cbranch_execz .LBB483_24
; %bb.23:
	v_and_b32_e32 v2, 0x7fffffff, v14
	v_and_b32_e32 v3, 0x7fffffff, v15
	v_mov_b32_e32 v4, 0x2edbe6ff
	;;#ASMSTART
	v_max3_f32 v2, v4, v2, v3

	;;#ASMEND
	v_and_b32_e32 v3, 0x7fffffff, v16
	v_and_b32_e32 v4, 0x7fffffff, v17
	;;#ASMSTART
	v_max3_f32 v2, v2, v3, v4

	;;#ASMEND
	v_and_b32_e32 v3, 0x7fffffff, v12
	v_and_b32_e32 v4, 0x7fffffff, v13
	;; [unrolled: 6-line block ×3, first 2 shown]
	;;#ASMSTART
	v_max3_f32 v2, v2, v3, v4

	;;#ASMEND
.LBB483_24:
	s_or_b64 exec, exec, s[8:9]
	;;#ASMSTART
	v_max_f32 v3, v2, v2 quad_perm:[1,0,3,2] row_mask:0xf bank_mask:0xf bound_ctrl:1
	;;#ASMEND
	;;#ASMSTART
	v_max_f32 v2, v3, v3 quad_perm:[2,3,0,1] row_mask:0xf bank_mask:0xf bound_ctrl:1
	;;#ASMEND
	;;#ASMSTART
	v_max_f32 v3, v2, v2 row_half_mirror row_mask:0xf bank_mask:0xf bound_ctrl:1
	;;#ASMEND
	;;#ASMSTART
	v_max_f32 v2, v3, v3 row_mirror row_mask:0xf bank_mask:0xf bound_ctrl:1
	;;#ASMEND
	v_and_b32_e32 v3, 15, v0
	v_cmp_eq_u32_e32 vcc, 0, v3
	v_cmp_gt_i32_e64 s[8:9], s15, v1
	s_and_b64 s[22:23], vcc, s[8:9]
	s_and_saveexec_b64 s[8:9], s[22:23]
	s_cbranch_execz .LBB483_26
; %bb.25:
	s_load_dwordx2 s[22:23], s[4:5], 0x8
	v_mul_f32_e32 v2, 0x3e2aaaab, v2
	v_lshrrev_b32_e32 v3, 23, v2
	v_and_b32_e32 v4, 0x7f800000, v2
	v_and_b32_e32 v2, 0x7fffff, v2
	v_cmp_ne_u32_e32 vcc, 0, v2
	s_mul_i32 s12, s25, s6
	s_mov_b32 s7, 0x7f800000
	v_addc_co_u32_e32 v2, vcc, 0, v3, vcc
	s_mul_hi_i32 s11, s25, s6
	s_waitcnt lgkmcnt(0)
	s_add_u32 s22, s22, s12
	v_cmp_ne_u32_e32 vcc, s7, v4
	s_addc_u32 s23, s23, s11
	v_lshrrev_b32_e32 v5, 4, v0
	v_cndmask_b32_e32 v4, -1, v2, vcc
	v_pk_mov_b32 v[2:3], s[22:23], s[22:23] op_sel:[0,1]
	v_mad_i64_i32 v[2:3], s[22:23], s26, v5, v[2:3]
	global_store_byte v[2:3], v4, off
.LBB483_26:
	s_or_b64 exec, exec, s[8:9]
	s_and_saveexec_b64 s[8:9], s[0:1]
	s_cbranch_execz .LBB483_28
; %bb.27:
	s_load_dwordx2 s[0:1], s[4:5], 0x0
	s_mul_i32 s11, s24, s6
	s_mul_hi_i32 s7, s24, s6
	v_lshlrev_b32_e32 v2, 2, v0
	s_mov_b32 s27, 0x20000
	s_waitcnt lgkmcnt(0)
	s_add_u32 s24, s0, s11
	s_addc_u32 s0, s1, s7
	s_lshr_b32 s1, s15, 31
	s_add_i32 s1, s15, s1
	s_ashr_i32 s1, s1, 1
	s_add_i32 s1, s1, 3
	s_ashr_i32 s7, s1, 31
	s_lshr_b32 s7, s7, 30
	s_add_i32 s1, s1, s7
	s_and_b32 s26, s1, -4
	s_and_b32 s25, s0, 0xffff
	v_mov_b32_e32 v3, 0
	buffer_store_dword v3, v2, s[24:27], 0 offen
	;;#ASMSTART
	s_nop 0
	;;#ASMEND
.LBB483_28:
	s_or_b64 exec, exec, s[8:9]
	s_cmp_lt_i32 s16, 1
	s_cbranch_scc1 .LBB483_17
.LBB483_29:
	s_load_dword s0, s[4:5], 0x94
	s_waitcnt lgkmcnt(0)
	s_cmp_lg_u32 s0, 1
	s_cbranch_scc1 .LBB483_17
; %bb.30:
	s_lshl_b32 s0, s16, 1
	s_add_i32 s0, s0, 2
	v_cmp_gt_u32_e32 vcc, s16, v1
	s_and_b32 s22, s0, -4
	v_mov_b32_e32 v10, 0
	v_lshlrev_b32_e32 v1, 4, v0
	v_mov_b32_e32 v6, 0
	v_mov_b32_e32 v7, 0
	;; [unrolled: 1-line block ×4, first 2 shown]
	s_waitcnt vmcnt(0)
	v_mov_b32_e32 v2, 0
	v_mov_b32_e32 v3, 0
	;; [unrolled: 1-line block ×4, first 2 shown]
	s_barrier
	s_and_saveexec_b64 s[0:1], vcc
	s_cbranch_execz .LBB483_32
; %bb.31:
	s_mul_hi_i32 s5, s18, s6
	s_mul_i32 s4, s18, s6
	s_and_b32 s21, s21, 0xffff
	s_lshl_b64 s[4:5], s[4:5], 1
	s_add_u32 s24, s34, s4
	s_mov_b32 s23, 0x20000
	s_addc_u32 s4, s35, s5
	s_and_b32 s25, s4, 0xffff
	s_mov_b32 s26, s22
	s_mov_b32 s27, s23
	buffer_load_dwordx4 v[6:9], v1, s[24:27], 0 offen glc slc
	buffer_load_dwordx4 v[2:5], v1, s[20:23], 0 offen
.LBB483_32:
	s_or_b64 exec, exec, s[0:1]
	v_mov_b32_e32 v11, 0
	v_mov_b32_e32 v16, 0
	;; [unrolled: 1-line block ×7, first 2 shown]
	s_and_saveexec_b64 s[0:1], vcc
	s_cbranch_execz .LBB483_34
; %bb.33:
	s_waitcnt vmcnt(1)
	v_cvt_f32_f16_sdwa v11, v6 dst_sel:DWORD dst_unused:UNUSED_PAD src0_sel:WORD_1
	v_cvt_f32_f16_e32 v10, v6
	v_cvt_f32_f16_sdwa v17, v7 dst_sel:DWORD dst_unused:UNUSED_PAD src0_sel:WORD_1
	v_cvt_f32_f16_e32 v16, v7
	;; [unrolled: 2-line block ×4, first 2 shown]
.LBB483_34:
	s_or_b64 exec, exec, s[0:1]
	s_waitcnt vmcnt(1)
	v_mul_f32_e32 v6, v11, v11
	v_fmac_f32_e32 v6, v10, v10
	v_fmac_f32_e32 v6, v16, v16
	;; [unrolled: 1-line block ×7, first 2 shown]
	s_nop 1
	v_mov_b32_dpp v7, v6 quad_perm:[1,0,3,2] row_mask:0xf bank_mask:0xf
	v_add_f32_e32 v6, v6, v7
	s_nop 1
	v_mov_b32_dpp v7, v6 quad_perm:[2,3,0,1] row_mask:0xf bank_mask:0xf
	v_add_f32_e32 v6, v6, v7
	s_nop 1
	v_mov_b32_dpp v7, v6 row_half_mirror row_mask:0xf bank_mask:0xf
	v_add_f32_e32 v6, v6, v7
	s_nop 1
	v_mov_b32_dpp v7, v6 row_mirror row_mask:0xf bank_mask:0xf
	v_add_f32_e32 v6, v6, v7
	s_nop 1
	v_mov_b32_dpp v7, v6 row_bcast:15 row_mask:0xf bank_mask:0xf
	v_add_f32_e32 v6, v6, v7
	s_nop 1
	v_mov_b32_dpp v7, v6 row_bcast:31 row_mask:0xf bank_mask:0xf
	s_and_saveexec_b64 s[0:1], s[2:3]
	s_cbranch_execz .LBB483_36
; %bb.35:
	v_lshrrev_b32_e32 v0, 4, v0
	v_add_f32_e32 v6, v6, v7
	v_and_b32_e32 v0, 60, v0
	ds_write_b32 v0, v6
.LBB483_36:
	s_or_b64 exec, exec, s[0:1]
	s_waitcnt lgkmcnt(0)
	s_barrier
	ds_read_b32 v0, v18
	s_waitcnt lgkmcnt(0)
	s_nop 0
	v_mov_b32_dpp v6, v0 quad_perm:[1,0,3,2] row_mask:0xf bank_mask:0xf
	v_add_f32_e32 v0, v0, v6
	s_nop 1
	v_mov_b32_dpp v6, v0 quad_perm:[2,3,0,1] row_mask:0xf bank_mask:0xf
	s_and_saveexec_b64 s[0:1], vcc
	s_cbranch_execz .LBB483_17
; %bb.37:
	v_cvt_f32_u32_e32 v7, s16
	v_add_f32_e32 v0, v0, v6
	s_mov_b32 s23, 0x20000
	v_div_scale_f32 v6, s[0:1], v7, v7, v0
	v_rcp_f32_e32 v8, v6
	v_div_scale_f32 v9, vcc, v0, v7, v0
	s_mov_b32 s0, 0x800000
	v_fma_f32 v18, -v6, v8, 1.0
	v_fmac_f32_e32 v8, v18, v8
	v_mul_f32_e32 v18, v9, v8
	v_fma_f32 v19, -v6, v18, v9
	v_fmac_f32_e32 v18, v19, v8
	v_fma_f32 v6, -v6, v18, v9
	v_div_fmas_f32 v6, v6, v8, v18
	v_div_fixup_f32 v0, v6, v7, v0
	v_add_f32_e32 v0, s13, v0
	v_mul_f32_e32 v6, 0x4b800000, v0
	v_cmp_gt_f32_e32 vcc, s0, v0
	v_cndmask_b32_e32 v0, v0, v6, vcc
	v_rsq_f32_e32 v0, v0
	s_waitcnt vmcnt(0)
	v_cvt_f32_f16_sdwa v19, v3 dst_sel:DWORD dst_unused:UNUSED_PAD src0_sel:WORD_1
	v_cvt_f32_f16_e32 v18, v3
	s_mul_hi_i32 s1, s10, s6
	v_mul_f32_e32 v6, 0x45800000, v0
	v_cndmask_b32_e32 v6, v0, v6, vcc
	v_mov_b32_e32 v7, v6
	;;#ASMSTART
	v_pk_mul_f32 v[8:9], v[10:11], v[6:7]
	;;#ASMEND
	;;#ASMSTART
	v_pk_mul_f32 v[10:11], v[16:17], v[6:7]
	;;#ASMEND
	v_cvt_f32_f16_sdwa v17, v2 dst_sel:DWORD dst_unused:UNUSED_PAD src0_sel:WORD_1
	v_cvt_f32_f16_e32 v16, v2
	;;#ASMSTART
	v_pk_mul_f32 v[14:15], v[14:15], v[6:7]
	;;#ASMEND
	;;#ASMSTART
	v_pk_mul_f32 v[2:3], v[12:13], v[6:7]
	;;#ASMEND
	v_cvt_f32_f16_sdwa v13, v4 dst_sel:DWORD dst_unused:UNUSED_PAD src0_sel:WORD_1
	v_cvt_f32_f16_e32 v12, v4
	v_pk_add_f32 v[6:7], v[16:17], 1.0 op_sel_hi:[1,0]
	v_cvt_f32_f16_sdwa v17, v5 dst_sel:DWORD dst_unused:UNUSED_PAD src0_sel:WORD_1
	v_cvt_f32_f16_e32 v16, v5
	;;#ASMSTART
	v_pk_mul_f32 v[6:7], v[8:9], v[6:7]
	;;#ASMEND
	v_pk_add_f32 v[8:9], v[18:19], 1.0 op_sel_hi:[1,0]
	;;#ASMSTART
	v_pk_mul_f32 v[4:5], v[10:11], v[8:9]
	;;#ASMEND
	v_pk_add_f32 v[8:9], v[12:13], 1.0 op_sel_hi:[1,0]
	;; [unrolled: 4-line block ×3, first 2 shown]
	;;#ASMSTART
	v_pk_mul_f32 v[2:3], v[2:3], v[10:11]
	;;#ASMEND
	s_mul_i32 s0, s10, s6
	v_cvt_f16_f32_e32 v0, v6
	v_cvt_f16_f32_e32 v6, v7
	;; [unrolled: 1-line block ×8, first 2 shown]
	s_lshl_b64 s[0:1], s[0:1], 1
	s_add_u32 s20, s36, s0
	s_addc_u32 s0, s37, s1
	s_and_b32 s21, s0, 0xffff
	v_pack_b32_f16 v2, v0, v6
	v_pack_b32_f16 v3, v4, v5
	;; [unrolled: 1-line block ×4, first 2 shown]
	buffer_store_dwordx4 v[2:5], v1, s[20:23], 0 offen
	;;#ASMSTART
	s_nop 0
	;;#ASMEND
	s_endpgm
	.section	.rodata,"a",@progbits
	.p2align	6, 0x0
	.amdhsa_kernel _ZN5aiter35fused_qk_rmsnorm_group_quant_kernelIDF16_N4opus5fp4_tELi256ELi8ELi16ELb1ELb0ELb1ELb0ELb0ELb0EEEvPT0_PvPT_S7_S7_PKS6_S9_S9_S9_S9_ffiiiiiiiiiiiii
		.amdhsa_group_segment_fixed_size 32
		.amdhsa_private_segment_fixed_size 0
		.amdhsa_kernarg_size 400
		.amdhsa_user_sgpr_count 6
		.amdhsa_user_sgpr_private_segment_buffer 1
		.amdhsa_user_sgpr_dispatch_ptr 0
		.amdhsa_user_sgpr_queue_ptr 0
		.amdhsa_user_sgpr_kernarg_segment_ptr 1
		.amdhsa_user_sgpr_dispatch_id 0
		.amdhsa_user_sgpr_flat_scratch_init 0
		.amdhsa_user_sgpr_kernarg_preload_length 0
		.amdhsa_user_sgpr_kernarg_preload_offset 0
		.amdhsa_user_sgpr_private_segment_size 0
		.amdhsa_uses_dynamic_stack 0
		.amdhsa_system_sgpr_private_segment_wavefront_offset 0
		.amdhsa_system_sgpr_workgroup_id_x 1
		.amdhsa_system_sgpr_workgroup_id_y 1
		.amdhsa_system_sgpr_workgroup_id_z 0
		.amdhsa_system_sgpr_workgroup_info 0
		.amdhsa_system_vgpr_workitem_id 0
		.amdhsa_next_free_vgpr 25
		.amdhsa_next_free_sgpr 40
		.amdhsa_accum_offset 28
		.amdhsa_reserve_vcc 1
		.amdhsa_reserve_flat_scratch 0
		.amdhsa_float_round_mode_32 0
		.amdhsa_float_round_mode_16_64 0
		.amdhsa_float_denorm_mode_32 3
		.amdhsa_float_denorm_mode_16_64 3
		.amdhsa_dx10_clamp 1
		.amdhsa_ieee_mode 1
		.amdhsa_fp16_overflow 0
		.amdhsa_tg_split 0
		.amdhsa_exception_fp_ieee_invalid_op 0
		.amdhsa_exception_fp_denorm_src 0
		.amdhsa_exception_fp_ieee_div_zero 0
		.amdhsa_exception_fp_ieee_overflow 0
		.amdhsa_exception_fp_ieee_underflow 0
		.amdhsa_exception_fp_ieee_inexact 0
		.amdhsa_exception_int_div_zero 0
	.end_amdhsa_kernel
	.section	.text._ZN5aiter35fused_qk_rmsnorm_group_quant_kernelIDF16_N4opus5fp4_tELi256ELi8ELi16ELb1ELb0ELb1ELb0ELb0ELb0EEEvPT0_PvPT_S7_S7_PKS6_S9_S9_S9_S9_ffiiiiiiiiiiiii,"axG",@progbits,_ZN5aiter35fused_qk_rmsnorm_group_quant_kernelIDF16_N4opus5fp4_tELi256ELi8ELi16ELb1ELb0ELb1ELb0ELb0ELb0EEEvPT0_PvPT_S7_S7_PKS6_S9_S9_S9_S9_ffiiiiiiiiiiiii,comdat
.Lfunc_end483:
	.size	_ZN5aiter35fused_qk_rmsnorm_group_quant_kernelIDF16_N4opus5fp4_tELi256ELi8ELi16ELb1ELb0ELb1ELb0ELb0ELb0EEEvPT0_PvPT_S7_S7_PKS6_S9_S9_S9_S9_ffiiiiiiiiiiiii, .Lfunc_end483-_ZN5aiter35fused_qk_rmsnorm_group_quant_kernelIDF16_N4opus5fp4_tELi256ELi8ELi16ELb1ELb0ELb1ELb0ELb0ELb0EEEvPT0_PvPT_S7_S7_PKS6_S9_S9_S9_S9_ffiiiiiiiiiiiii
                                        ; -- End function
	.section	.AMDGPU.csdata,"",@progbits
; Kernel info:
; codeLenInByte = 2748
; NumSgprs: 44
; NumVgprs: 25
; NumAgprs: 0
; TotalNumVgprs: 25
; ScratchSize: 0
; MemoryBound: 0
; FloatMode: 240
; IeeeMode: 1
; LDSByteSize: 32 bytes/workgroup (compile time only)
; SGPRBlocks: 5
; VGPRBlocks: 3
; NumSGPRsForWavesPerEU: 44
; NumVGPRsForWavesPerEU: 25
; AccumOffset: 28
; Occupancy: 8
; WaveLimiterHint : 0
; COMPUTE_PGM_RSRC2:SCRATCH_EN: 0
; COMPUTE_PGM_RSRC2:USER_SGPR: 6
; COMPUTE_PGM_RSRC2:TRAP_HANDLER: 0
; COMPUTE_PGM_RSRC2:TGID_X_EN: 1
; COMPUTE_PGM_RSRC2:TGID_Y_EN: 1
; COMPUTE_PGM_RSRC2:TGID_Z_EN: 0
; COMPUTE_PGM_RSRC2:TIDIG_COMP_CNT: 0
; COMPUTE_PGM_RSRC3_GFX90A:ACCUM_OFFSET: 6
; COMPUTE_PGM_RSRC3_GFX90A:TG_SPLIT: 0
	.section	.text._ZN5aiter35fused_qk_rmsnorm_group_quant_kernelItN4opus5fp4_tELi256ELi8ELi16ELb1ELb0ELb1ELb0ELb0ELb0EEEvPT0_PvPT_S7_S7_PKS6_S9_S9_S9_S9_ffiiiiiiiiiiiii,"axG",@progbits,_ZN5aiter35fused_qk_rmsnorm_group_quant_kernelItN4opus5fp4_tELi256ELi8ELi16ELb1ELb0ELb1ELb0ELb0ELb0EEEvPT0_PvPT_S7_S7_PKS6_S9_S9_S9_S9_ffiiiiiiiiiiiii,comdat
	.protected	_ZN5aiter35fused_qk_rmsnorm_group_quant_kernelItN4opus5fp4_tELi256ELi8ELi16ELb1ELb0ELb1ELb0ELb0ELb0EEEvPT0_PvPT_S7_S7_PKS6_S9_S9_S9_S9_ffiiiiiiiiiiiii ; -- Begin function _ZN5aiter35fused_qk_rmsnorm_group_quant_kernelItN4opus5fp4_tELi256ELi8ELi16ELb1ELb0ELb1ELb0ELb0ELb0EEEvPT0_PvPT_S7_S7_PKS6_S9_S9_S9_S9_ffiiiiiiiiiiiii
	.globl	_ZN5aiter35fused_qk_rmsnorm_group_quant_kernelItN4opus5fp4_tELi256ELi8ELi16ELb1ELb0ELb1ELb0ELb0ELb0EEEvPT0_PvPT_S7_S7_PKS6_S9_S9_S9_S9_ffiiiiiiiiiiiii
	.p2align	8
	.type	_ZN5aiter35fused_qk_rmsnorm_group_quant_kernelItN4opus5fp4_tELi256ELi8ELi16ELb1ELb0ELb1ELb0ELb0ELb0EEEvPT0_PvPT_S7_S7_PKS6_S9_S9_S9_S9_ffiiiiiiiiiiiii,@function
_ZN5aiter35fused_qk_rmsnorm_group_quant_kernelItN4opus5fp4_tELi256ELi8ELi16ELb1ELb0ELb1ELb0ELb0ELb0EEEvPT0_PvPT_S7_S7_PKS6_S9_S9_S9_S9_ffiiiiiiiiiiiii: ; @_ZN5aiter35fused_qk_rmsnorm_group_quant_kernelItN4opus5fp4_tELi256ELi8ELi16ELb1ELb0ELb1ELb0ELb0ELb0EEEvPT0_PvPT_S7_S7_PKS6_S9_S9_S9_S9_ffiiiiiiiiiiiii
; %bb.0:
	s_load_dwordx8 s[12:19], s[4:5], 0x50
	s_waitcnt lgkmcnt(0)
	s_cmp_ge_i32 s6, s14
	s_cbranch_scc1 .LBB484_17
; %bb.1:
	s_cmp_lg_u32 s7, 0
	s_cselect_b64 s[22:23], -1, 0
	s_cmp_eq_u32 s7, 0
	s_cselect_b64 s[8:9], -1, 0
	s_and_b64 s[0:1], s[8:9], exec
	s_load_dwordx2 s[20:21], s[4:5], 0x48
	s_load_dwordx2 s[34:35], s[4:5], 0x30
	s_load_dwordx4 s[24:27], s[4:5], 0x70
	s_cselect_b32 s7, s15, s16
	s_add_i32 s0, s7, 1
	s_lshr_b32 s1, s0, 31
	s_add_i32 s0, s0, s1
	s_lshl_b32 s0, s0, 1
	v_lshlrev_b32_e32 v1, 3, v0
	s_and_b32 s30, s0, -4
	v_cmp_gt_i32_e64 s[0:1], s7, v1
	v_mov_b32_e32 v10, 0
	v_mov_b32_e32 v11, 0
	;; [unrolled: 1-line block ×8, first 2 shown]
	s_and_saveexec_b64 s[2:3], s[0:1]
	s_cbranch_execz .LBB484_3
; %bb.2:
	s_load_dwordx2 s[10:11], s[4:5], 0x28
	s_load_dwordx2 s[28:29], s[4:5], 0x40
	s_and_b64 s[36:37], s[8:9], exec
	s_cselect_b32 s14, s17, s18
	s_mov_b32 s31, 0x20000
	s_waitcnt lgkmcnt(0)
	s_cselect_b32 s17, s11, s35
	s_cselect_b32 s27, s10, s34
	s_mul_hi_i32 s11, s14, s6
	s_mul_i32 s10, s14, s6
	s_lshl_b64 s[10:11], s[10:11], 1
	s_add_u32 s36, s27, s10
	s_addc_u32 s14, s17, s11
	s_and_b64 s[10:11], s[8:9], exec
	s_cselect_b32 s28, s28, s20
	s_cselect_b32 s10, s29, s21
	v_lshlrev_b32_e32 v2, 4, v0
	s_and_b32 s37, s14, 0xffff
	s_mov_b32 s38, s30
	s_mov_b32 s39, s31
	s_and_b32 s29, s10, 0xffff
	buffer_load_dwordx4 v[14:17], v2, s[36:39], 0 offen glc slc
	buffer_load_dwordx4 v[10:13], v2, s[28:31], 0 offen
.LBB484_3:
	s_or_b64 exec, exec, s[2:3]
	s_load_dwordx2 s[10:11], s[4:5], 0x80
	s_and_b64 vcc, exec, s[22:23]
	s_cbranch_vccz .LBB484_7
; %bb.4:
	s_mov_b32 s36, 0
	s_mov_b32 s37, s36
	;; [unrolled: 1-line block ×8, first 2 shown]
	v_pk_mov_b32 v[2:3], s[36:37], s[36:37] op_sel:[0,1]
	v_pk_mov_b32 v[4:5], s[38:39], s[38:39] op_sel:[0,1]
	;; [unrolled: 1-line block ×4, first 2 shown]
	s_and_saveexec_b64 s[2:3], s[0:1]
	s_cbranch_execz .LBB484_6
; %bb.5:
	s_waitcnt vmcnt(1)
	v_cvt_f32_u32_sdwa v3, v14 dst_sel:DWORD dst_unused:UNUSED_PAD src0_sel:WORD_1
	v_cvt_f32_u32_sdwa v2, v14 dst_sel:DWORD dst_unused:UNUSED_PAD src0_sel:WORD_0
	v_cvt_f32_u32_sdwa v5, v15 dst_sel:DWORD dst_unused:UNUSED_PAD src0_sel:WORD_1
	v_cvt_f32_u32_sdwa v4, v15 dst_sel:DWORD dst_unused:UNUSED_PAD src0_sel:WORD_0
	;; [unrolled: 2-line block ×4, first 2 shown]
.LBB484_6:
	s_or_b64 exec, exec, s[2:3]
	s_cbranch_execz .LBB484_8
	s_branch .LBB484_11
.LBB484_7:
                                        ; implicit-def: $vgpr2_vgpr3_vgpr4_vgpr5_vgpr6_vgpr7_vgpr8_vgpr9
.LBB484_8:
	s_mov_b32 s36, 0
	s_mov_b32 s37, s36
	;; [unrolled: 1-line block ×8, first 2 shown]
	v_pk_mov_b32 v[2:3], s[36:37], s[36:37] op_sel:[0,1]
	v_pk_mov_b32 v[4:5], s[38:39], s[38:39] op_sel:[0,1]
	;; [unrolled: 1-line block ×4, first 2 shown]
	s_and_saveexec_b64 s[2:3], s[0:1]
	s_cbranch_execz .LBB484_10
; %bb.9:
	s_load_dwordx2 s[28:29], s[4:5], 0x38
	s_mul_hi_i32 s37, s19, s6
	s_mul_i32 s36, s19, s6
	s_lshl_b64 s[36:37], s[36:37], 1
	s_mov_b32 s31, 0x20000
	s_waitcnt lgkmcnt(0)
	s_add_u32 s28, s28, s36
	s_addc_u32 s14, s29, s37
	s_and_b32 s29, s14, 0xffff
	v_lshlrev_b32_e32 v26, 4, v0
	buffer_load_dwordx4 v[2:5], v26, s[28:31], 0 offen glc slc
	s_load_dwordx2 s[28:29], s[4:5], 0x20
	s_waitcnt vmcnt(2)
	v_cvt_f32_u32_sdwa v7, v14 dst_sel:DWORD dst_unused:UNUSED_PAD src0_sel:WORD_1
	v_cvt_f32_u32_sdwa v6, v14 dst_sel:DWORD dst_unused:UNUSED_PAD src0_sel:WORD_0
	v_cvt_f32_u32_sdwa v9, v15 dst_sel:DWORD dst_unused:UNUSED_PAD src0_sel:WORD_1
	v_cvt_f32_u32_sdwa v8, v15 dst_sel:DWORD dst_unused:UNUSED_PAD src0_sel:WORD_0
	;; [unrolled: 2-line block ×4, first 2 shown]
	s_mul_hi_i32 s37, s11, s6
	s_mul_i32 s36, s11, s6
	s_lshl_b64 s[36:37], s[36:37], 1
	s_waitcnt lgkmcnt(0)
	s_add_u32 s28, s28, s36
	s_mov_b32 s11, 0x7060302
	s_addc_u32 s14, s29, s37
	s_and_b32 s29, s14, 0xffff
	s_waitcnt vmcnt(0)
	v_cvt_f32_u32_sdwa v17, v2 dst_sel:DWORD dst_unused:UNUSED_PAD src0_sel:WORD_1
	v_cvt_f32_u32_sdwa v16, v2 dst_sel:DWORD dst_unused:UNUSED_PAD src0_sel:WORD_0
	v_cvt_f32_u32_sdwa v21, v3 dst_sel:DWORD dst_unused:UNUSED_PAD src0_sel:WORD_1
	v_cvt_f32_u32_sdwa v20, v3 dst_sel:DWORD dst_unused:UNUSED_PAD src0_sel:WORD_0
	;; [unrolled: 2-line block ×4, first 2 shown]
	v_pk_add_f32 v[2:3], v[6:7], v[16:17]
	v_pk_add_f32 v[4:5], v[8:9], v[20:21]
	v_pk_add_f32 v[6:7], v[14:15], v[22:23]
	v_pk_add_f32 v[8:9], v[18:19], v[24:25]
	v_perm_b32 v17, v9, v8, s11
	v_perm_b32 v16, v7, v6, s11
	;; [unrolled: 1-line block ×4, first 2 shown]
	buffer_store_dwordx4 v[14:17], v26, s[28:31], 0 offen glc slc
	;;#ASMSTART
	s_nop 0
	;;#ASMEND
.LBB484_10:
	s_or_b64 exec, exec, s[2:3]
.LBB484_11:
	s_waitcnt vmcnt(1)
	v_mul_f32_e32 v14, v3, v3
	v_fmac_f32_e32 v14, v2, v2
	v_fmac_f32_e32 v14, v4, v4
	;; [unrolled: 1-line block ×7, first 2 shown]
	v_and_b32_e32 v16, 63, v0
	v_cmp_eq_u32_e64 s[2:3], 63, v16
	v_mov_b32_dpp v15, v14 quad_perm:[1,0,3,2] row_mask:0xf bank_mask:0xf
	v_add_f32_e32 v14, v14, v15
	s_nop 1
	v_mov_b32_dpp v15, v14 quad_perm:[2,3,0,1] row_mask:0xf bank_mask:0xf
	v_add_f32_e32 v14, v14, v15
	s_nop 1
	v_mov_b32_dpp v15, v14 row_half_mirror row_mask:0xf bank_mask:0xf
	v_add_f32_e32 v14, v14, v15
	s_nop 1
	v_mov_b32_dpp v15, v14 row_mirror row_mask:0xf bank_mask:0xf
	v_add_f32_e32 v14, v14, v15
	s_nop 1
	v_mov_b32_dpp v15, v14 row_bcast:15 row_mask:0xf bank_mask:0xf
	v_add_f32_e32 v14, v14, v15
	s_nop 1
	v_mov_b32_dpp v15, v14 row_bcast:31 row_mask:0xf bank_mask:0xf
	s_and_saveexec_b64 s[28:29], s[2:3]
	s_cbranch_execz .LBB484_13
; %bb.12:
	v_add_f32_e32 v14, v14, v15
	v_lshrrev_b32_e32 v15, 4, v0
	v_and_b32_e32 v15, 60, v15
	ds_write_b32 v15, v14 offset:16
.LBB484_13:
	s_or_b64 exec, exec, s[28:29]
	v_and_b32_e32 v14, 3, v0
	v_lshlrev_b32_e32 v14, 2, v14
	s_waitcnt lgkmcnt(0)
	s_barrier
	ds_read_b32 v15, v14 offset:16
	s_load_dwordx2 s[36:37], s[4:5], 0x18
	s_waitcnt lgkmcnt(0)
	v_mov_b32_dpp v16, v15 quad_perm:[1,0,3,2] row_mask:0xf bank_mask:0xf
	v_add_f32_e32 v15, v15, v16
	s_nop 1
	v_mov_b32_dpp v16, v15 quad_perm:[2,3,0,1] row_mask:0xf bank_mask:0xf
	s_and_saveexec_b64 s[28:29], s[0:1]
	s_cbranch_execnz .LBB484_18
; %bb.14:
	s_or_b64 exec, exec, s[28:29]
	s_mov_b64 s[8:9], -1
	s_and_b64 vcc, exec, s[22:23]
	s_cbranch_vccnz .LBB484_19
.LBB484_15:
	s_andn2_b64 vcc, exec, s[8:9]
	s_cbranch_vccz .LBB484_22
.LBB484_16:
	s_cmp_lt_i32 s16, 1
	s_cbranch_scc0 .LBB484_29
.LBB484_17:
	s_endpgm
.LBB484_18:
	v_cvt_f32_u32_e32 v17, s7
	v_add_f32_e32 v15, v15, v16
	v_mov_b32_e32 v19, s13
	v_mov_b32_e32 v20, s12
	v_div_scale_f32 v16, s[38:39], v17, v17, v15
	v_rcp_f32_e32 v18, v16
	v_cndmask_b32_e64 v19, v19, v20, s[8:9]
	s_mov_b32 s7, 0x800000
	v_fma_f32 v20, -v16, v18, 1.0
	v_fmac_f32_e32 v18, v20, v18
	v_div_scale_f32 v20, vcc, v15, v17, v15
	v_mul_f32_e32 v21, v20, v18
	v_fma_f32 v22, -v16, v21, v20
	v_fmac_f32_e32 v21, v22, v18
	v_fma_f32 v16, -v16, v21, v20
	v_div_fmas_f32 v16, v16, v18, v21
	v_div_fixup_f32 v15, v16, v17, v15
	v_add_f32_e32 v15, v19, v15
	v_mul_f32_e32 v16, 0x4b800000, v15
	v_cmp_gt_f32_e32 vcc, s7, v15
	v_cndmask_b32_e32 v15, v15, v16, vcc
	v_rsq_f32_e32 v15, v15
	s_waitcnt vmcnt(0)
	v_cvt_f32_u32_sdwa v19, v10 dst_sel:DWORD dst_unused:UNUSED_PAD src0_sel:WORD_1
	v_cvt_f32_u32_sdwa v18, v10 dst_sel:DWORD dst_unused:UNUSED_PAD src0_sel:WORD_0
	v_cvt_f32_u32_sdwa v21, v11 dst_sel:DWORD dst_unused:UNUSED_PAD src0_sel:WORD_1
	v_mul_f32_e32 v16, 0x45800000, v15
	v_cndmask_b32_e32 v16, v15, v16, vcc
	v_mov_b32_e32 v17, v16
	v_cvt_f32_u32_sdwa v20, v11 dst_sel:DWORD dst_unused:UNUSED_PAD src0_sel:WORD_0
	;;#ASMSTART
	v_pk_mul_f32 v[2:3], v[2:3], v[16:17]
	;;#ASMEND
	;;#ASMSTART
	v_pk_mul_f32 v[4:5], v[4:5], v[16:17]
	;;#ASMEND
	;;#ASMSTART
	v_pk_mul_f32 v[6:7], v[6:7], v[16:17]
	;;#ASMEND
	;;#ASMSTART
	v_pk_mul_f32 v[8:9], v[8:9], v[16:17]
	;;#ASMEND
	v_cvt_f32_u32_sdwa v17, v12 dst_sel:DWORD dst_unused:UNUSED_PAD src0_sel:WORD_1
	v_cvt_f32_u32_sdwa v16, v12 dst_sel:DWORD dst_unused:UNUSED_PAD src0_sel:WORD_0
	v_pk_add_f32 v[10:11], v[18:19], 1.0 op_sel_hi:[1,0]
	v_cvt_f32_u32_sdwa v19, v13 dst_sel:DWORD dst_unused:UNUSED_PAD src0_sel:WORD_1
	v_cvt_f32_u32_sdwa v18, v13 dst_sel:DWORD dst_unused:UNUSED_PAD src0_sel:WORD_0
	;;#ASMSTART
	v_pk_mul_f32 v[2:3], v[2:3], v[10:11]
	;;#ASMEND
	v_pk_add_f32 v[10:11], v[20:21], 1.0 op_sel_hi:[1,0]
	;;#ASMSTART
	v_pk_mul_f32 v[4:5], v[4:5], v[10:11]
	;;#ASMEND
	v_pk_add_f32 v[10:11], v[16:17], 1.0 op_sel_hi:[1,0]
	;; [unrolled: 4-line block ×3, first 2 shown]
	;;#ASMSTART
	v_pk_mul_f32 v[8:9], v[8:9], v[10:11]
	;;#ASMEND
	s_or_b64 exec, exec, s[28:29]
	s_mov_b64 s[8:9], -1
	s_and_b64 vcc, exec, s[22:23]
	s_cbranch_vccz .LBB484_15
.LBB484_19:
	s_and_saveexec_b64 s[8:9], s[0:1]
	s_cbranch_execz .LBB484_21
; %bb.20:
	s_mul_hi_i32 s23, s10, s6
	s_mul_i32 s22, s10, s6
	s_lshl_b64 s[22:23], s[22:23], 1
	s_add_u32 s28, s36, s22
	s_addc_u32 s7, s37, s23
	s_and_b32 s29, s7, 0xffff
	s_mov_b32 s7, 0x7060302
	s_mov_b32 s31, 0x20000
	s_waitcnt vmcnt(0)
	v_perm_b32 v10, v3, v2, s7
	v_perm_b32 v11, v5, v4, s7
	;; [unrolled: 1-line block ×4, first 2 shown]
	v_lshlrev_b32_e32 v15, 4, v0
	buffer_store_dwordx4 v[10:13], v15, s[28:31], 0 offen
	;;#ASMSTART
	s_nop 0
	;;#ASMEND
.LBB484_21:
	s_or_b64 exec, exec, s[8:9]
	s_cbranch_execnz .LBB484_16
.LBB484_22:
	s_waitcnt vmcnt(0)
	v_mov_b32_e32 v10, 0
	s_and_saveexec_b64 s[8:9], s[0:1]
	s_cbranch_execz .LBB484_24
; %bb.23:
	v_and_b32_e32 v2, 0x7fffffff, v2
	v_and_b32_e32 v3, 0x7fffffff, v3
	v_mov_b32_e32 v10, 0x2edbe6ff
	;;#ASMSTART
	v_max3_f32 v2, v10, v2, v3

	;;#ASMEND
	v_and_b32_e32 v3, 0x7fffffff, v4
	v_and_b32_e32 v4, 0x7fffffff, v5
	;;#ASMSTART
	v_max3_f32 v2, v2, v3, v4

	;;#ASMEND
	v_and_b32_e32 v3, 0x7fffffff, v6
	v_and_b32_e32 v4, 0x7fffffff, v7
	;; [unrolled: 6-line block ×3, first 2 shown]
	;;#ASMSTART
	v_max3_f32 v10, v2, v3, v4

	;;#ASMEND
.LBB484_24:
	s_or_b64 exec, exec, s[8:9]
	;;#ASMSTART
	v_max_f32 v2, v10, v10 quad_perm:[1,0,3,2] row_mask:0xf bank_mask:0xf bound_ctrl:1
	;;#ASMEND
	;;#ASMSTART
	v_max_f32 v3, v2, v2 quad_perm:[2,3,0,1] row_mask:0xf bank_mask:0xf bound_ctrl:1
	;;#ASMEND
	;;#ASMSTART
	v_max_f32 v4, v3, v3 row_half_mirror row_mask:0xf bank_mask:0xf bound_ctrl:1
	;;#ASMEND
	v_and_b32_e32 v3, 15, v0
	v_cmp_eq_u32_e32 vcc, 0, v3
	v_cmp_gt_i32_e64 s[8:9], s15, v1
	s_and_b64 s[22:23], vcc, s[8:9]
	;;#ASMSTART
	v_max_f32 v2, v4, v4 row_mirror row_mask:0xf bank_mask:0xf bound_ctrl:1
	;;#ASMEND
	s_and_saveexec_b64 s[8:9], s[22:23]
	s_cbranch_execz .LBB484_26
; %bb.25:
	s_load_dwordx2 s[22:23], s[4:5], 0x8
	v_mul_f32_e32 v2, 0x3e2aaaab, v2
	v_lshrrev_b32_e32 v3, 23, v2
	v_and_b32_e32 v4, 0x7f800000, v2
	v_and_b32_e32 v2, 0x7fffff, v2
	v_cmp_ne_u32_e32 vcc, 0, v2
	s_mul_i32 s12, s25, s6
	s_mov_b32 s7, 0x7f800000
	v_addc_co_u32_e32 v2, vcc, 0, v3, vcc
	s_mul_hi_i32 s11, s25, s6
	s_waitcnt lgkmcnt(0)
	s_add_u32 s22, s22, s12
	v_cmp_ne_u32_e32 vcc, s7, v4
	s_addc_u32 s23, s23, s11
	v_lshrrev_b32_e32 v5, 4, v0
	v_cndmask_b32_e32 v4, -1, v2, vcc
	v_pk_mov_b32 v[2:3], s[22:23], s[22:23] op_sel:[0,1]
	v_mad_i64_i32 v[2:3], s[22:23], s26, v5, v[2:3]
	global_store_byte v[2:3], v4, off
.LBB484_26:
	s_or_b64 exec, exec, s[8:9]
	s_and_saveexec_b64 s[8:9], s[0:1]
	s_cbranch_execz .LBB484_28
; %bb.27:
	s_load_dwordx2 s[0:1], s[4:5], 0x0
	s_mul_i32 s11, s24, s6
	s_mul_hi_i32 s7, s24, s6
	v_lshlrev_b32_e32 v2, 2, v0
	s_mov_b32 s27, 0x20000
	s_waitcnt lgkmcnt(0)
	s_add_u32 s24, s0, s11
	s_addc_u32 s0, s1, s7
	s_lshr_b32 s1, s15, 31
	s_add_i32 s1, s15, s1
	s_ashr_i32 s1, s1, 1
	s_add_i32 s1, s1, 3
	s_ashr_i32 s7, s1, 31
	s_lshr_b32 s7, s7, 30
	s_add_i32 s1, s1, s7
	s_and_b32 s26, s1, -4
	s_and_b32 s25, s0, 0xffff
	v_mov_b32_e32 v3, 0
	buffer_store_dword v3, v2, s[24:27], 0 offen
	;;#ASMSTART
	s_nop 0
	;;#ASMEND
.LBB484_28:
	s_or_b64 exec, exec, s[8:9]
	s_cmp_lt_i32 s16, 1
	s_cbranch_scc1 .LBB484_17
.LBB484_29:
	s_load_dword s0, s[4:5], 0x94
	s_waitcnt lgkmcnt(0)
	s_cmp_lg_u32 s0, 1
	s_cbranch_scc1 .LBB484_17
; %bb.30:
	s_lshl_b32 s0, s16, 1
	s_add_i32 s0, s0, 2
	v_cmp_gt_u32_e32 vcc, s16, v1
	s_and_b32 s22, s0, -4
	v_mov_b32_e32 v6, 0
	v_lshlrev_b32_e32 v1, 4, v0
	v_mov_b32_e32 v7, 0
	v_mov_b32_e32 v8, 0
	;; [unrolled: 1-line block ×7, first 2 shown]
	s_barrier
	s_and_saveexec_b64 s[0:1], vcc
	s_cbranch_execz .LBB484_32
; %bb.31:
	s_mul_hi_i32 s5, s18, s6
	s_mul_i32 s4, s18, s6
	s_and_b32 s21, s21, 0xffff
	s_lshl_b64 s[4:5], s[4:5], 1
	s_add_u32 s24, s34, s4
	s_mov_b32 s23, 0x20000
	s_addc_u32 s4, s35, s5
	s_and_b32 s25, s4, 0xffff
	s_mov_b32 s26, s22
	s_mov_b32 s27, s23
	buffer_load_dwordx4 v[6:9], v1, s[24:27], 0 offen glc slc
	buffer_load_dwordx4 v[2:5], v1, s[20:23], 0 offen
.LBB484_32:
	s_or_b64 exec, exec, s[0:1]
	s_waitcnt vmcnt(0)
	v_cvt_f32_u32_sdwa v13, v6 dst_sel:DWORD dst_unused:UNUSED_PAD src0_sel:WORD_1
	v_cvt_f32_u32_sdwa v12, v6 dst_sel:DWORD dst_unused:UNUSED_PAD src0_sel:WORD_0
	v_cvt_f32_u32_sdwa v6, v9 dst_sel:DWORD dst_unused:UNUSED_PAD src0_sel:WORD_1
	v_cvt_f32_u32_sdwa v9, v9 dst_sel:DWORD dst_unused:UNUSED_PAD src0_sel:WORD_0
	;; [unrolled: 2-line block ×4, first 2 shown]
	v_cndmask_b32_e32 v13, 0, v13, vcc
	v_cndmask_b32_e32 v7, 0, v6, vcc
	;; [unrolled: 1-line block ×5, first 2 shown]
	v_mul_f32_e32 v15, v13, v13
	v_cndmask_b32_e32 v10, 0, v10, vcc
	v_fmac_f32_e32 v15, v12, v12
	v_cndmask_b32_e32 v11, 0, v11, vcc
	v_fmac_f32_e32 v15, v10, v10
	v_cndmask_b32_e32 v8, 0, v8, vcc
	v_fmac_f32_e32 v15, v11, v11
	v_fmac_f32_e32 v15, v8, v8
	v_fmac_f32_e32 v15, v9, v9
	;; [unrolled: 1-line block ×4, first 2 shown]
	s_nop 1
	v_mov_b32_dpp v16, v15 quad_perm:[1,0,3,2] row_mask:0xf bank_mask:0xf
	v_add_f32_e32 v15, v15, v16
	s_nop 1
	v_mov_b32_dpp v16, v15 quad_perm:[2,3,0,1] row_mask:0xf bank_mask:0xf
	v_add_f32_e32 v15, v15, v16
	s_nop 1
	v_mov_b32_dpp v16, v15 row_half_mirror row_mask:0xf bank_mask:0xf
	v_add_f32_e32 v15, v15, v16
	s_nop 1
	v_mov_b32_dpp v16, v15 row_mirror row_mask:0xf bank_mask:0xf
	v_add_f32_e32 v15, v15, v16
	s_nop 1
	v_mov_b32_dpp v16, v15 row_bcast:15 row_mask:0xf bank_mask:0xf
	v_add_f32_e32 v15, v15, v16
	s_nop 1
	v_mov_b32_dpp v16, v15 row_bcast:31 row_mask:0xf bank_mask:0xf
	s_and_saveexec_b64 s[0:1], s[2:3]
	s_cbranch_execz .LBB484_34
; %bb.33:
	v_lshrrev_b32_e32 v0, 4, v0
	v_add_f32_e32 v15, v15, v16
	v_and_b32_e32 v0, 60, v0
	ds_write_b32 v0, v15
.LBB484_34:
	s_or_b64 exec, exec, s[0:1]
	s_waitcnt lgkmcnt(0)
	s_barrier
	ds_read_b32 v0, v14
	s_waitcnt lgkmcnt(0)
	s_nop 0
	v_mov_b32_dpp v14, v0 quad_perm:[1,0,3,2] row_mask:0xf bank_mask:0xf
	v_add_f32_e32 v0, v0, v14
	s_nop 1
	v_mov_b32_dpp v14, v0 quad_perm:[2,3,0,1] row_mask:0xf bank_mask:0xf
	s_and_saveexec_b64 s[0:1], vcc
	s_cbranch_execz .LBB484_17
; %bb.35:
	v_cvt_f32_u32_e32 v15, s16
	v_add_f32_e32 v0, v0, v14
	s_mov_b32 s23, 0x20000
	v_div_scale_f32 v14, s[0:1], v15, v15, v0
	v_rcp_f32_e32 v16, v14
	v_div_scale_f32 v17, vcc, v0, v15, v0
	s_mov_b32 s0, 0x800000
	v_fma_f32 v18, -v14, v16, 1.0
	v_fmac_f32_e32 v16, v18, v16
	v_mul_f32_e32 v18, v17, v16
	v_fma_f32 v19, -v14, v18, v17
	v_fmac_f32_e32 v18, v19, v16
	v_fma_f32 v14, -v14, v18, v17
	v_div_fmas_f32 v14, v14, v16, v18
	v_div_fixup_f32 v0, v14, v15, v0
	v_add_f32_e32 v0, s13, v0
	v_mul_f32_e32 v14, 0x4b800000, v0
	v_cmp_gt_f32_e32 vcc, s0, v0
	v_cndmask_b32_e32 v0, v0, v14, vcc
	v_rsq_f32_e32 v0, v0
	v_cvt_f32_u32_sdwa v17, v2 dst_sel:DWORD dst_unused:UNUSED_PAD src0_sel:WORD_1
	v_cvt_f32_u32_sdwa v16, v2 dst_sel:DWORD dst_unused:UNUSED_PAD src0_sel:WORD_0
	v_cvt_f32_u32_sdwa v19, v3 dst_sel:DWORD dst_unused:UNUSED_PAD src0_sel:WORD_1
	v_mul_f32_e32 v14, 0x45800000, v0
	v_cndmask_b32_e32 v14, v0, v14, vcc
	v_mov_b32_e32 v15, v14
	;;#ASMSTART
	v_pk_mul_f32 v[12:13], v[12:13], v[14:15]
	;;#ASMEND
	;;#ASMSTART
	v_pk_mul_f32 v[10:11], v[10:11], v[14:15]
	;;#ASMEND
	;;#ASMSTART
	v_pk_mul_f32 v[8:9], v[8:9], v[14:15]
	;;#ASMEND
	v_cvt_f32_u32_sdwa v18, v3 dst_sel:DWORD dst_unused:UNUSED_PAD src0_sel:WORD_0
	;;#ASMSTART
	v_pk_mul_f32 v[2:3], v[6:7], v[14:15]
	;;#ASMEND
	v_cvt_f32_u32_sdwa v15, v4 dst_sel:DWORD dst_unused:UNUSED_PAD src0_sel:WORD_1
	v_cvt_f32_u32_sdwa v14, v4 dst_sel:DWORD dst_unused:UNUSED_PAD src0_sel:WORD_0
	v_pk_add_f32 v[6:7], v[16:17], 1.0 op_sel_hi:[1,0]
	v_cvt_f32_u32_sdwa v17, v5 dst_sel:DWORD dst_unused:UNUSED_PAD src0_sel:WORD_1
	v_cvt_f32_u32_sdwa v16, v5 dst_sel:DWORD dst_unused:UNUSED_PAD src0_sel:WORD_0
	s_mul_hi_i32 s1, s10, s6
	s_mul_i32 s0, s10, s6
	s_lshl_b64 s[0:1], s[0:1], 1
	s_add_u32 s20, s36, s0
	;;#ASMSTART
	v_pk_mul_f32 v[6:7], v[12:13], v[6:7]
	;;#ASMEND
	v_pk_add_f32 v[12:13], v[18:19], 1.0 op_sel_hi:[1,0]
	;;#ASMSTART
	v_pk_mul_f32 v[4:5], v[10:11], v[12:13]
	;;#ASMEND
	v_pk_add_f32 v[10:11], v[14:15], 1.0 op_sel_hi:[1,0]
	s_addc_u32 s0, s37, s1
	;;#ASMSTART
	v_pk_mul_f32 v[8:9], v[8:9], v[10:11]
	;;#ASMEND
	v_pk_add_f32 v[10:11], v[16:17], 1.0 op_sel_hi:[1,0]
	s_and_b32 s21, s0, 0xffff
	s_mov_b32 s0, 0x7060302
	;;#ASMSTART
	v_pk_mul_f32 v[10:11], v[2:3], v[10:11]
	;;#ASMEND
	v_perm_b32 v2, v7, v6, s0
	v_perm_b32 v3, v5, v4, s0
	;; [unrolled: 1-line block ×4, first 2 shown]
	buffer_store_dwordx4 v[2:5], v1, s[20:23], 0 offen
	;;#ASMSTART
	s_nop 0
	;;#ASMEND
	s_endpgm
	.section	.rodata,"a",@progbits
	.p2align	6, 0x0
	.amdhsa_kernel _ZN5aiter35fused_qk_rmsnorm_group_quant_kernelItN4opus5fp4_tELi256ELi8ELi16ELb1ELb0ELb1ELb0ELb0ELb0EEEvPT0_PvPT_S7_S7_PKS6_S9_S9_S9_S9_ffiiiiiiiiiiiii
		.amdhsa_group_segment_fixed_size 32
		.amdhsa_private_segment_fixed_size 0
		.amdhsa_kernarg_size 400
		.amdhsa_user_sgpr_count 6
		.amdhsa_user_sgpr_private_segment_buffer 1
		.amdhsa_user_sgpr_dispatch_ptr 0
		.amdhsa_user_sgpr_queue_ptr 0
		.amdhsa_user_sgpr_kernarg_segment_ptr 1
		.amdhsa_user_sgpr_dispatch_id 0
		.amdhsa_user_sgpr_flat_scratch_init 0
		.amdhsa_user_sgpr_kernarg_preload_length 0
		.amdhsa_user_sgpr_kernarg_preload_offset 0
		.amdhsa_user_sgpr_private_segment_size 0
		.amdhsa_uses_dynamic_stack 0
		.amdhsa_system_sgpr_private_segment_wavefront_offset 0
		.amdhsa_system_sgpr_workgroup_id_x 1
		.amdhsa_system_sgpr_workgroup_id_y 1
		.amdhsa_system_sgpr_workgroup_id_z 0
		.amdhsa_system_sgpr_workgroup_info 0
		.amdhsa_system_vgpr_workitem_id 0
		.amdhsa_next_free_vgpr 27
		.amdhsa_next_free_sgpr 44
		.amdhsa_accum_offset 28
		.amdhsa_reserve_vcc 1
		.amdhsa_reserve_flat_scratch 0
		.amdhsa_float_round_mode_32 0
		.amdhsa_float_round_mode_16_64 0
		.amdhsa_float_denorm_mode_32 3
		.amdhsa_float_denorm_mode_16_64 3
		.amdhsa_dx10_clamp 1
		.amdhsa_ieee_mode 1
		.amdhsa_fp16_overflow 0
		.amdhsa_tg_split 0
		.amdhsa_exception_fp_ieee_invalid_op 0
		.amdhsa_exception_fp_denorm_src 0
		.amdhsa_exception_fp_ieee_div_zero 0
		.amdhsa_exception_fp_ieee_overflow 0
		.amdhsa_exception_fp_ieee_underflow 0
		.amdhsa_exception_fp_ieee_inexact 0
		.amdhsa_exception_int_div_zero 0
	.end_amdhsa_kernel
	.section	.text._ZN5aiter35fused_qk_rmsnorm_group_quant_kernelItN4opus5fp4_tELi256ELi8ELi16ELb1ELb0ELb1ELb0ELb0ELb0EEEvPT0_PvPT_S7_S7_PKS6_S9_S9_S9_S9_ffiiiiiiiiiiiii,"axG",@progbits,_ZN5aiter35fused_qk_rmsnorm_group_quant_kernelItN4opus5fp4_tELi256ELi8ELi16ELb1ELb0ELb1ELb0ELb0ELb0EEEvPT0_PvPT_S7_S7_PKS6_S9_S9_S9_S9_ffiiiiiiiiiiiii,comdat
.Lfunc_end484:
	.size	_ZN5aiter35fused_qk_rmsnorm_group_quant_kernelItN4opus5fp4_tELi256ELi8ELi16ELb1ELb0ELb1ELb0ELb0ELb0EEEvPT0_PvPT_S7_S7_PKS6_S9_S9_S9_S9_ffiiiiiiiiiiiii, .Lfunc_end484-_ZN5aiter35fused_qk_rmsnorm_group_quant_kernelItN4opus5fp4_tELi256ELi8ELi16ELb1ELb0ELb1ELb0ELb0ELb0EEEvPT0_PvPT_S7_S7_PKS6_S9_S9_S9_S9_ffiiiiiiiiiiiii
                                        ; -- End function
	.section	.AMDGPU.csdata,"",@progbits
; Kernel info:
; codeLenInByte = 2812
; NumSgprs: 48
; NumVgprs: 27
; NumAgprs: 0
; TotalNumVgprs: 27
; ScratchSize: 0
; MemoryBound: 0
; FloatMode: 240
; IeeeMode: 1
; LDSByteSize: 32 bytes/workgroup (compile time only)
; SGPRBlocks: 5
; VGPRBlocks: 3
; NumSGPRsForWavesPerEU: 48
; NumVGPRsForWavesPerEU: 27
; AccumOffset: 28
; Occupancy: 8
; WaveLimiterHint : 0
; COMPUTE_PGM_RSRC2:SCRATCH_EN: 0
; COMPUTE_PGM_RSRC2:USER_SGPR: 6
; COMPUTE_PGM_RSRC2:TRAP_HANDLER: 0
; COMPUTE_PGM_RSRC2:TGID_X_EN: 1
; COMPUTE_PGM_RSRC2:TGID_Y_EN: 1
; COMPUTE_PGM_RSRC2:TGID_Z_EN: 0
; COMPUTE_PGM_RSRC2:TIDIG_COMP_CNT: 0
; COMPUTE_PGM_RSRC3_GFX90A:ACCUM_OFFSET: 6
; COMPUTE_PGM_RSRC3_GFX90A:TG_SPLIT: 0
	.section	.text._ZN5aiter35fused_qk_rmsnorm_group_quant_kernelIDF16_DB8_Li256ELi8ELi16ELb1ELb0ELb0ELb0ELb0ELb0EEEvPT0_PvPT_S6_S6_PKS5_S8_S8_S8_S8_ffiiiiiiiiiiiii,"axG",@progbits,_ZN5aiter35fused_qk_rmsnorm_group_quant_kernelIDF16_DB8_Li256ELi8ELi16ELb1ELb0ELb0ELb0ELb0ELb0EEEvPT0_PvPT_S6_S6_PKS5_S8_S8_S8_S8_ffiiiiiiiiiiiii,comdat
	.protected	_ZN5aiter35fused_qk_rmsnorm_group_quant_kernelIDF16_DB8_Li256ELi8ELi16ELb1ELb0ELb0ELb0ELb0ELb0EEEvPT0_PvPT_S6_S6_PKS5_S8_S8_S8_S8_ffiiiiiiiiiiiii ; -- Begin function _ZN5aiter35fused_qk_rmsnorm_group_quant_kernelIDF16_DB8_Li256ELi8ELi16ELb1ELb0ELb0ELb0ELb0ELb0EEEvPT0_PvPT_S6_S6_PKS5_S8_S8_S8_S8_ffiiiiiiiiiiiii
	.globl	_ZN5aiter35fused_qk_rmsnorm_group_quant_kernelIDF16_DB8_Li256ELi8ELi16ELb1ELb0ELb0ELb0ELb0ELb0EEEvPT0_PvPT_S6_S6_PKS5_S8_S8_S8_S8_ffiiiiiiiiiiiii
	.p2align	8
	.type	_ZN5aiter35fused_qk_rmsnorm_group_quant_kernelIDF16_DB8_Li256ELi8ELi16ELb1ELb0ELb0ELb0ELb0ELb0EEEvPT0_PvPT_S6_S6_PKS5_S8_S8_S8_S8_ffiiiiiiiiiiiii,@function
_ZN5aiter35fused_qk_rmsnorm_group_quant_kernelIDF16_DB8_Li256ELi8ELi16ELb1ELb0ELb0ELb0ELb0ELb0EEEvPT0_PvPT_S6_S6_PKS5_S8_S8_S8_S8_ffiiiiiiiiiiiii: ; @_ZN5aiter35fused_qk_rmsnorm_group_quant_kernelIDF16_DB8_Li256ELi8ELi16ELb1ELb0ELb0ELb0ELb0ELb0EEEvPT0_PvPT_S6_S6_PKS5_S8_S8_S8_S8_ffiiiiiiiiiiiii
; %bb.0:
	s_load_dwordx8 s[12:19], s[4:5], 0x50
	s_waitcnt lgkmcnt(0)
	s_cmp_ge_i32 s6, s14
	s_cbranch_scc1 .LBB485_17
; %bb.1:
	s_cmp_lg_u32 s7, 0
	s_cselect_b64 s[10:11], -1, 0
	s_cmp_eq_u32 s7, 0
	s_cselect_b64 s[8:9], -1, 0
	s_and_b64 s[0:1], s[8:9], exec
	s_load_dwordx2 s[20:21], s[4:5], 0x48
	s_load_dwordx2 s[36:37], s[4:5], 0x30
	s_load_dwordx4 s[24:27], s[4:5], 0x70
	s_cselect_b32 s7, s15, s16
	s_add_i32 s0, s7, 1
	s_lshr_b32 s1, s0, 31
	s_add_i32 s0, s0, s1
	s_lshl_b32 s0, s0, 1
	v_lshlrev_b32_e32 v1, 3, v0
	s_and_b32 s30, s0, -4
	v_cmp_gt_i32_e64 s[0:1], s7, v1
	v_mov_b32_e32 v24, 0
	v_mov_b32_e32 v25, 0
	;; [unrolled: 1-line block ×8, first 2 shown]
	s_and_saveexec_b64 s[2:3], s[0:1]
	s_cbranch_execz .LBB485_3
; %bb.2:
	s_load_dwordx2 s[22:23], s[4:5], 0x28
	s_load_dwordx2 s[28:29], s[4:5], 0x40
	s_and_b64 s[34:35], s[8:9], exec
	s_cselect_b32 s14, s17, s18
	s_mov_b32 s31, 0x20000
	s_waitcnt lgkmcnt(0)
	s_cselect_b32 s17, s23, s37
	s_cselect_b32 s27, s22, s36
	s_mul_hi_i32 s23, s14, s6
	s_mul_i32 s22, s14, s6
	s_lshl_b64 s[22:23], s[22:23], 1
	s_add_u32 s40, s27, s22
	s_addc_u32 s14, s17, s23
	s_and_b64 s[22:23], s[8:9], exec
	s_cselect_b32 s28, s28, s20
	s_cselect_b32 s17, s29, s21
	v_lshlrev_b32_e32 v2, 4, v0
	s_and_b32 s41, s14, 0xffff
	s_mov_b32 s42, s30
	s_mov_b32 s43, s31
	s_and_b32 s29, s17, 0xffff
	buffer_load_dwordx4 v[28:31], v2, s[40:43], 0 offen glc slc
	buffer_load_dwordx4 v[24:27], v2, s[28:31], 0 offen
.LBB485_3:
	s_or_b64 exec, exec, s[2:3]
	s_load_dwordx2 s[34:35], s[4:5], 0x80
	s_and_b64 vcc, exec, s[10:11]
	s_cbranch_vccz .LBB485_7
; %bb.4:
	v_mov_b32_e32 v33, 0
	v_mov_b32_e32 v32, 0
	;; [unrolled: 1-line block ×8, first 2 shown]
	s_and_saveexec_b64 s[2:3], s[0:1]
	s_cbranch_execz .LBB485_6
; %bb.5:
	s_waitcnt vmcnt(1)
	v_cvt_f32_f16_sdwa v17, v28 dst_sel:DWORD dst_unused:UNUSED_PAD src0_sel:WORD_1
	v_cvt_f32_f16_e32 v16, v28
	v_cvt_f32_f16_sdwa v11, v29 dst_sel:DWORD dst_unused:UNUSED_PAD src0_sel:WORD_1
	v_cvt_f32_f16_e32 v10, v29
	v_cvt_f32_f16_sdwa v7, v30 dst_sel:DWORD dst_unused:UNUSED_PAD src0_sel:WORD_1
	v_cvt_f32_f16_e32 v6, v30
	v_cvt_f32_f16_sdwa v33, v31 dst_sel:DWORD dst_unused:UNUSED_PAD src0_sel:WORD_1
	v_cvt_f32_f16_e32 v32, v31
.LBB485_6:
	s_or_b64 exec, exec, s[2:3]
	s_cbranch_execz .LBB485_8
	s_branch .LBB485_11
.LBB485_7:
                                        ; implicit-def: $vgpr8_vgpr9_vgpr10_vgpr11_vgpr12_vgpr13_vgpr14_vgpr15
                                        ; implicit-def: $vgpr33
                                        ; implicit-def: $vgpr16_vgpr17_vgpr18_vgpr19_vgpr20_vgpr21_vgpr22_vgpr23
                                        ; implicit-def: $vgpr2_vgpr3_vgpr4_vgpr5_vgpr6_vgpr7_vgpr8_vgpr9
.LBB485_8:
	v_mov_b32_e32 v33, 0
	v_mov_b32_e32 v32, 0
	;; [unrolled: 1-line block ×8, first 2 shown]
	s_and_saveexec_b64 s[2:3], s[0:1]
	s_cbranch_execz .LBB485_10
; %bb.9:
	s_load_dwordx2 s[22:23], s[4:5], 0x38
	s_mul_hi_i32 s29, s19, s6
	s_mul_i32 s28, s19, s6
	s_lshl_b64 s[28:29], s[28:29], 1
	s_mov_b32 s31, 0x20000
	s_waitcnt lgkmcnt(0)
	s_add_u32 s28, s22, s28
	s_addc_u32 s14, s23, s29
	s_and_b32 s29, s14, 0xffff
	v_lshlrev_b32_e32 v20, 4, v0
	buffer_load_dwordx4 v[2:5], v20, s[28:31], 0 offen glc slc
	s_waitcnt vmcnt(2)
	v_cvt_f32_f16_sdwa v7, v28 dst_sel:DWORD dst_unused:UNUSED_PAD src0_sel:WORD_1
	v_cvt_f32_f16_e32 v6, v28
	v_cvt_f32_f16_sdwa v9, v29 dst_sel:DWORD dst_unused:UNUSED_PAD src0_sel:WORD_1
	v_cvt_f32_f16_e32 v8, v29
	;; [unrolled: 2-line block ×4, first 2 shown]
	s_load_dwordx2 s[22:23], s[4:5], 0x20
	s_mul_hi_i32 s29, s35, s6
	s_mul_i32 s28, s35, s6
	s_lshl_b64 s[28:29], s[28:29], 1
	s_waitcnt lgkmcnt(0)
	s_add_u32 s28, s22, s28
	s_addc_u32 s14, s23, s29
	s_and_b32 s29, s14, 0xffff
	s_waitcnt vmcnt(0)
	v_cvt_f32_f16_e32 v10, v2
	v_cvt_f32_f16_sdwa v11, v2 dst_sel:DWORD dst_unused:UNUSED_PAD src0_sel:WORD_1
	v_cvt_f32_f16_e32 v2, v3
	v_cvt_f32_f16_sdwa v3, v3 dst_sel:DWORD dst_unused:UNUSED_PAD src0_sel:WORD_1
	;; [unrolled: 2-line block ×4, first 2 shown]
	v_pk_add_f32 v[16:17], v[6:7], v[10:11]
	v_pk_add_f32 v[10:11], v[8:9], v[2:3]
	;; [unrolled: 1-line block ×4, first 2 shown]
	v_cvt_f16_f32_e32 v2, v17
	v_cvt_f16_f32_e32 v3, v11
	;; [unrolled: 1-line block ×8, first 2 shown]
	v_pack_b32_f16 v5, v8, v5
	v_pack_b32_f16 v4, v9, v4
	;; [unrolled: 1-line block ×4, first 2 shown]
	buffer_store_dwordx4 v[2:5], v20, s[28:31], 0 offen glc slc
	;;#ASMSTART
	s_nop 0
	;;#ASMEND
.LBB485_10:
	s_or_b64 exec, exec, s[2:3]
.LBB485_11:
	v_mul_f32_e32 v2, v17, v17
	v_fmac_f32_e32 v2, v16, v16
	v_fmac_f32_e32 v2, v10, v10
	;; [unrolled: 1-line block ×7, first 2 shown]
	v_and_b32_e32 v4, 63, v0
	v_cmp_eq_u32_e64 s[2:3], 63, v4
	v_mov_b32_dpp v3, v2 quad_perm:[1,0,3,2] row_mask:0xf bank_mask:0xf
	v_add_f32_e32 v2, v2, v3
	s_nop 1
	v_mov_b32_dpp v3, v2 quad_perm:[2,3,0,1] row_mask:0xf bank_mask:0xf
	v_add_f32_e32 v2, v2, v3
	s_nop 1
	v_mov_b32_dpp v3, v2 row_half_mirror row_mask:0xf bank_mask:0xf
	v_add_f32_e32 v2, v2, v3
	s_nop 1
	v_mov_b32_dpp v3, v2 row_mirror row_mask:0xf bank_mask:0xf
	v_add_f32_e32 v2, v2, v3
	s_nop 1
	v_mov_b32_dpp v3, v2 row_bcast:15 row_mask:0xf bank_mask:0xf
	v_add_f32_e32 v2, v2, v3
	s_nop 1
	v_mov_b32_dpp v3, v2 row_bcast:31 row_mask:0xf bank_mask:0xf
	s_and_saveexec_b64 s[22:23], s[2:3]
	s_cbranch_execz .LBB485_13
; %bb.12:
	v_add_f32_e32 v2, v2, v3
	v_lshrrev_b32_e32 v3, 4, v0
	v_and_b32_e32 v3, 60, v3
	ds_write_b32 v3, v2 offset:16
.LBB485_13:
	s_or_b64 exec, exec, s[22:23]
	v_and_b32_e32 v2, 3, v0
	v_lshlrev_b32_e32 v18, 2, v2
	s_waitcnt lgkmcnt(0)
	s_barrier
	ds_read_b32 v2, v18 offset:16
	s_load_dwordx2 s[38:39], s[4:5], 0x18
	s_waitcnt lgkmcnt(0)
	v_mov_b32_dpp v3, v2 quad_perm:[1,0,3,2] row_mask:0xf bank_mask:0xf
	v_add_f32_e32 v2, v2, v3
	s_nop 1
	v_mov_b32_dpp v3, v2 quad_perm:[2,3,0,1] row_mask:0xf bank_mask:0xf
	s_and_saveexec_b64 s[22:23], s[0:1]
	s_cbranch_execnz .LBB485_18
; %bb.14:
	s_or_b64 exec, exec, s[22:23]
	s_mov_b64 s[8:9], -1
	s_and_b64 vcc, exec, s[10:11]
	s_cbranch_vccnz .LBB485_19
.LBB485_15:
	s_andn2_b64 vcc, exec, s[8:9]
	s_cbranch_vccz .LBB485_22
.LBB485_16:
	s_cmp_lt_i32 s16, 1
	s_cbranch_scc0 .LBB485_29
.LBB485_17:
	s_endpgm
.LBB485_18:
	v_cvt_f32_u32_e32 v4, s7
	v_add_f32_e32 v2, v2, v3
	v_mov_b32_e32 v8, s13
	v_mov_b32_e32 v9, s12
	v_div_scale_f32 v3, s[28:29], v4, v4, v2
	v_rcp_f32_e32 v5, v3
	v_cndmask_b32_e64 v8, v8, v9, s[8:9]
	s_mov_b32 s7, 0x800000
	s_waitcnt vmcnt(0)
	v_cvt_f32_f16_sdwa v15, v26 dst_sel:DWORD dst_unused:UNUSED_PAD src0_sel:WORD_1
	v_fma_f32 v9, -v3, v5, 1.0
	v_fmac_f32_e32 v5, v9, v5
	v_div_scale_f32 v9, vcc, v2, v4, v2
	v_mul_f32_e32 v12, v9, v5
	v_fma_f32 v13, -v3, v12, v9
	v_fmac_f32_e32 v12, v13, v5
	v_fma_f32 v3, -v3, v12, v9
	v_div_fmas_f32 v3, v3, v5, v12
	v_div_fixup_f32 v2, v3, v4, v2
	v_add_f32_e32 v2, v8, v2
	v_mul_f32_e32 v3, 0x4b800000, v2
	v_cmp_gt_f32_e32 vcc, s7, v2
	v_cndmask_b32_e32 v2, v2, v3, vcc
	v_rsq_f32_e32 v2, v2
	v_cvt_f32_f16_sdwa v13, v25 dst_sel:DWORD dst_unused:UNUSED_PAD src0_sel:WORD_1
	v_cvt_f32_f16_e32 v12, v25
	v_cvt_f32_f16_e32 v14, v26
	v_mul_f32_e32 v3, 0x45800000, v2
	v_cndmask_b32_e32 v2, v2, v3, vcc
	v_mov_b32_e32 v3, v2
	;;#ASMSTART
	v_pk_mul_f32 v[4:5], v[16:17], v[2:3]
	;;#ASMEND
	;;#ASMSTART
	v_pk_mul_f32 v[8:9], v[10:11], v[2:3]
	;;#ASMEND
	;; [unrolled: 3-line block ×3, first 2 shown]
	v_cvt_f32_f16_sdwa v11, v24 dst_sel:DWORD dst_unused:UNUSED_PAD src0_sel:WORD_1
	v_cvt_f32_f16_e32 v10, v24
	;;#ASMSTART
	v_pk_mul_f32 v[2:3], v[32:33], v[2:3]
	;;#ASMEND
	v_cvt_f32_f16_sdwa v21, v27 dst_sel:DWORD dst_unused:UNUSED_PAD src0_sel:WORD_1
	v_cvt_f32_f16_e32 v20, v27
	;;#ASMSTART
	v_pk_mul_f32 v[16:17], v[4:5], v[10:11]
	;;#ASMEND
	;;#ASMSTART
	v_pk_mul_f32 v[10:11], v[8:9], v[12:13]
	;;#ASMEND
	;; [unrolled: 3-line block ×4, first 2 shown]
	s_or_b64 exec, exec, s[22:23]
	s_mov_b64 s[8:9], -1
	s_and_b64 vcc, exec, s[10:11]
	s_cbranch_vccz .LBB485_15
.LBB485_19:
	s_and_saveexec_b64 s[8:9], s[0:1]
	s_cbranch_execz .LBB485_21
; %bb.20:
	s_mul_hi_i32 s11, s34, s6
	s_mul_i32 s10, s34, s6
	v_cvt_f16_f32_e32 v2, v16
	v_cvt_f16_f32_e32 v3, v10
	;; [unrolled: 1-line block ×8, first 2 shown]
	s_lshl_b64 s[10:11], s[10:11], 1
	s_add_u32 s28, s38, s10
	s_addc_u32 s7, s39, s11
	s_and_b32 s29, s7, 0xffff
	s_mov_b32 s31, 0x20000
	v_pack_b32_f16 v5, v5, v8
	v_pack_b32_f16 v4, v4, v9
	;; [unrolled: 1-line block ×4, first 2 shown]
	v_lshlrev_b32_e32 v8, 4, v0
	buffer_store_dwordx4 v[2:5], v8, s[28:31], 0 offen
	;;#ASMSTART
	s_nop 0
	;;#ASMEND
.LBB485_21:
	s_or_b64 exec, exec, s[8:9]
	s_cbranch_execnz .LBB485_16
.LBB485_22:
	v_mov_b32_e32 v2, 0
	s_and_saveexec_b64 s[8:9], s[0:1]
	s_cbranch_execz .LBB485_24
; %bb.23:
	v_and_b32_e32 v2, 0x7fffffff, v16
	v_and_b32_e32 v3, 0x7fffffff, v17
	v_mov_b32_e32 v4, 0x2edbe6ff
	;;#ASMSTART
	v_max3_f32 v2, v4, v2, v3

	;;#ASMEND
	v_and_b32_e32 v3, 0x7fffffff, v10
	v_and_b32_e32 v4, 0x7fffffff, v11
	;;#ASMSTART
	v_max3_f32 v2, v2, v3, v4

	;;#ASMEND
	v_and_b32_e32 v3, 0x7fffffff, v6
	v_and_b32_e32 v4, 0x7fffffff, v7
	;; [unrolled: 6-line block ×3, first 2 shown]
	;;#ASMSTART
	v_max3_f32 v2, v2, v3, v4

	;;#ASMEND
.LBB485_24:
	s_or_b64 exec, exec, s[8:9]
	;;#ASMSTART
	v_max_f32 v3, v2, v2 quad_perm:[1,0,3,2] row_mask:0xf bank_mask:0xf bound_ctrl:1
	;;#ASMEND
	;;#ASMSTART
	v_max_f32 v2, v3, v3 quad_perm:[2,3,0,1] row_mask:0xf bank_mask:0xf bound_ctrl:1
	;;#ASMEND
	;;#ASMSTART
	v_max_f32 v3, v2, v2 row_half_mirror row_mask:0xf bank_mask:0xf bound_ctrl:1
	;;#ASMEND
	;;#ASMSTART
	v_max_f32 v2, v3, v3 row_mirror row_mask:0xf bank_mask:0xf bound_ctrl:1
	;;#ASMEND
	v_and_b32_e32 v3, 15, v0
	v_cmp_eq_u32_e32 vcc, 0, v3
	v_cmp_gt_i32_e64 s[8:9], s15, v1
	v_mul_f32_e32 v2, 0x3b124925, v2
	s_and_b64 s[10:11], vcc, s[8:9]
	s_and_saveexec_b64 s[8:9], s[10:11]
	s_cbranch_execz .LBB485_26
; %bb.25:
	s_load_dwordx2 s[10:11], s[4:5], 0x8
	s_mul_hi_i32 s23, s25, s6
	s_mul_i32 s22, s25, s6
	v_lshrrev_b32_e32 v3, 4, v0
	s_lshl_b64 s[22:23], s[22:23], 2
	v_mad_i64_i32 v[4:5], s[26:27], s26, v3, 0
	s_waitcnt lgkmcnt(0)
	s_add_u32 s7, s10, s22
	s_addc_u32 s10, s11, s23
	v_lshlrev_b64 v[4:5], 2, v[4:5]
	v_mov_b32_e32 v3, s10
	v_add_co_u32_e32 v4, vcc, s7, v4
	v_addc_co_u32_e32 v5, vcc, v3, v5, vcc
	global_store_dword v[4:5], v2, off
.LBB485_26:
	s_or_b64 exec, exec, s[8:9]
	;;#ASMSTART
	v_rcp_f32 v2, v2
	;;#ASMEND
	s_and_saveexec_b64 s[22:23], s[0:1]
	s_cbranch_execz .LBB485_28
; %bb.27:
	s_load_dwordx2 s[0:1], s[4:5], 0x0
	s_mul_i32 s8, s24, s6
	v_mov_b32_e32 v3, v2
	;;#ASMSTART
	v_pk_mul_f32 v[4:5], v[16:17], v[2:3]
	;;#ASMEND
	s_mul_hi_i32 s7, s24, s6
	s_waitcnt lgkmcnt(0)
	s_add_u32 s8, s0, s8
	v_mov_b32_e32 v8, 0xc3e00000
	v_mov_b32_e32 v9, 0x43e00000
	;;#ASMSTART
	v_med3_f32 v4, v4, v8, v9
v_med3_f32 v5, v5, v8, v9
v_cvt_pk_fp8_f32 v12, v4, v5
	;;#ASMEND
	s_addc_u32 s0, s1, s7
	;;#ASMSTART
	v_pk_mul_f32 v[4:5], v[10:11], v[2:3]
	;;#ASMEND
	s_and_b32 s9, s0, 0xffff
	;;#ASMSTART
	v_med3_f32 v4, v4, v8, v9
v_med3_f32 v5, v5, v8, v9
v_cvt_pk_fp8_f32 v10, v4, v5
	;;#ASMEND
	s_mov_b32 s0, 0x5040100
	v_perm_b32 v5, v10, v12, s0
	s_movk_i32 s0, 0xff
	v_and_b32_e32 v4, 0xffffff00, v10
	v_and_b32_sdwa v10, v5, s0 dst_sel:DWORD dst_unused:UNUSED_PAD src0_sel:WORD_1 src1_sel:DWORD
	s_mov_b32 s12, 0xffff
	v_or_b32_sdwa v4, v10, v4 dst_sel:WORD_1 dst_unused:UNUSED_PAD src0_sel:DWORD src1_sel:DWORD
	s_add_i32 s1, s15, 3
	v_and_or_b32 v4, v5, s12, v4
	;;#ASMSTART
	v_pk_mul_f32 v[6:7], v[6:7], v[2:3]
	;;#ASMEND
	v_mov_b32_e32 v5, v7
	s_ashr_i32 s7, s1, 31
	;;#ASMSTART
	v_med3_f32 v6, v6, v8, v9
v_med3_f32 v5, v5, v8, v9
v_cvt_pk_fp8_f32 v7, v6, v5
	;;#ASMEND
	;;#ASMSTART
	v_pk_mul_f32 v[2:3], v[32:33], v[2:3]
	;;#ASMEND
	s_lshr_b32 s7, s7, 30
	;;#ASMSTART
	v_med3_f32 v2, v2, v8, v9
v_med3_f32 v3, v3, v8, v9
v_cvt_pk_fp8_f32 v5, v2, v3
	;;#ASMEND
	s_add_i32 s1, s1, s7
	v_lshlrev_b32_e32 v2, 16, v5
	s_and_b32 s10, s1, -4
	s_mov_b32 s11, 0x20000
	v_and_or_b32 v5, v7, s12, v2
	buffer_store_dwordx2 v[4:5], v1, s[8:11], 0 offen
	;;#ASMSTART
	s_nop 0
	;;#ASMEND
.LBB485_28:
	s_or_b64 exec, exec, s[22:23]
	s_cmp_lt_i32 s16, 1
	s_cbranch_scc1 .LBB485_17
.LBB485_29:
	s_load_dword s0, s[4:5], 0x94
	s_waitcnt lgkmcnt(0)
	s_cmp_lg_u32 s0, 1
	s_cbranch_scc1 .LBB485_17
; %bb.30:
	s_lshl_b32 s0, s16, 1
	s_add_i32 s0, s0, 2
	v_cmp_gt_u32_e32 vcc, s16, v1
	s_and_b32 s22, s0, -4
	v_mov_b32_e32 v10, 0
	v_lshlrev_b32_e32 v1, 4, v0
	v_mov_b32_e32 v6, 0
	v_mov_b32_e32 v7, 0
	;; [unrolled: 1-line block ×8, first 2 shown]
	s_barrier
	s_and_saveexec_b64 s[0:1], vcc
	s_cbranch_execz .LBB485_32
; %bb.31:
	s_mul_hi_i32 s5, s18, s6
	s_mul_i32 s4, s18, s6
	s_and_b32 s21, s21, 0xffff
	s_lshl_b64 s[4:5], s[4:5], 1
	s_add_u32 s8, s36, s4
	s_mov_b32 s23, 0x20000
	s_addc_u32 s4, s37, s5
	s_and_b32 s9, s4, 0xffff
	s_mov_b32 s10, s22
	s_mov_b32 s11, s23
	buffer_load_dwordx4 v[6:9], v1, s[8:11], 0 offen glc slc
	buffer_load_dwordx4 v[2:5], v1, s[20:23], 0 offen
.LBB485_32:
	s_or_b64 exec, exec, s[0:1]
	v_mov_b32_e32 v11, 0
	v_mov_b32_e32 v16, 0
	;; [unrolled: 1-line block ×7, first 2 shown]
	s_and_saveexec_b64 s[0:1], vcc
	s_cbranch_execz .LBB485_34
; %bb.33:
	s_waitcnt vmcnt(1)
	v_cvt_f32_f16_sdwa v11, v6 dst_sel:DWORD dst_unused:UNUSED_PAD src0_sel:WORD_1
	v_cvt_f32_f16_e32 v10, v6
	v_cvt_f32_f16_sdwa v17, v7 dst_sel:DWORD dst_unused:UNUSED_PAD src0_sel:WORD_1
	v_cvt_f32_f16_e32 v16, v7
	;; [unrolled: 2-line block ×4, first 2 shown]
.LBB485_34:
	s_or_b64 exec, exec, s[0:1]
	s_waitcnt vmcnt(1)
	v_mul_f32_e32 v6, v11, v11
	v_fmac_f32_e32 v6, v10, v10
	v_fmac_f32_e32 v6, v16, v16
	;; [unrolled: 1-line block ×7, first 2 shown]
	s_nop 1
	v_mov_b32_dpp v7, v6 quad_perm:[1,0,3,2] row_mask:0xf bank_mask:0xf
	v_add_f32_e32 v6, v6, v7
	s_nop 1
	v_mov_b32_dpp v7, v6 quad_perm:[2,3,0,1] row_mask:0xf bank_mask:0xf
	v_add_f32_e32 v6, v6, v7
	s_nop 1
	v_mov_b32_dpp v7, v6 row_half_mirror row_mask:0xf bank_mask:0xf
	v_add_f32_e32 v6, v6, v7
	s_nop 1
	v_mov_b32_dpp v7, v6 row_mirror row_mask:0xf bank_mask:0xf
	v_add_f32_e32 v6, v6, v7
	s_nop 1
	v_mov_b32_dpp v7, v6 row_bcast:15 row_mask:0xf bank_mask:0xf
	v_add_f32_e32 v6, v6, v7
	s_nop 1
	v_mov_b32_dpp v7, v6 row_bcast:31 row_mask:0xf bank_mask:0xf
	s_and_saveexec_b64 s[0:1], s[2:3]
	s_cbranch_execz .LBB485_36
; %bb.35:
	v_lshrrev_b32_e32 v0, 4, v0
	v_add_f32_e32 v6, v6, v7
	v_and_b32_e32 v0, 60, v0
	ds_write_b32 v0, v6
.LBB485_36:
	s_or_b64 exec, exec, s[0:1]
	s_waitcnt lgkmcnt(0)
	s_barrier
	ds_read_b32 v0, v18
	s_waitcnt lgkmcnt(0)
	s_nop 0
	v_mov_b32_dpp v6, v0 quad_perm:[1,0,3,2] row_mask:0xf bank_mask:0xf
	v_add_f32_e32 v0, v0, v6
	s_nop 1
	v_mov_b32_dpp v6, v0 quad_perm:[2,3,0,1] row_mask:0xf bank_mask:0xf
	s_and_saveexec_b64 s[0:1], vcc
	s_cbranch_execz .LBB485_17
; %bb.37:
	v_cvt_f32_u32_e32 v7, s16
	v_add_f32_e32 v0, v0, v6
	s_mov_b32 s23, 0x20000
	v_div_scale_f32 v6, s[0:1], v7, v7, v0
	v_rcp_f32_e32 v8, v6
	v_div_scale_f32 v9, vcc, v0, v7, v0
	s_mov_b32 s0, 0x800000
	v_fma_f32 v18, -v6, v8, 1.0
	v_fmac_f32_e32 v8, v18, v8
	v_mul_f32_e32 v18, v9, v8
	v_fma_f32 v19, -v6, v18, v9
	v_fmac_f32_e32 v18, v19, v8
	v_fma_f32 v6, -v6, v18, v9
	v_div_fmas_f32 v6, v6, v8, v18
	v_div_fixup_f32 v0, v6, v7, v0
	v_add_f32_e32 v0, s13, v0
	v_mul_f32_e32 v6, 0x4b800000, v0
	v_cmp_gt_f32_e32 vcc, s0, v0
	v_cndmask_b32_e32 v0, v0, v6, vcc
	v_rsq_f32_e32 v0, v0
	s_waitcnt vmcnt(0)
	v_cvt_f32_f16_sdwa v19, v5 dst_sel:DWORD dst_unused:UNUSED_PAD src0_sel:WORD_1
	v_cvt_f32_f16_e32 v18, v5
	s_mul_hi_i32 s1, s34, s6
	v_mul_f32_e32 v6, 0x45800000, v0
	v_cndmask_b32_e32 v6, v0, v6, vcc
	v_mov_b32_e32 v7, v6
	;;#ASMSTART
	v_pk_mul_f32 v[8:9], v[10:11], v[6:7]
	;;#ASMEND
	;;#ASMSTART
	v_pk_mul_f32 v[10:11], v[16:17], v[6:7]
	;;#ASMEND
	;; [unrolled: 3-line block ×4, first 2 shown]
	v_cvt_f32_f16_sdwa v13, v2 dst_sel:DWORD dst_unused:UNUSED_PAD src0_sel:WORD_1
	v_cvt_f32_f16_e32 v12, v2
	v_cvt_f32_f16_sdwa v17, v3 dst_sel:DWORD dst_unused:UNUSED_PAD src0_sel:WORD_1
	v_cvt_f32_f16_e32 v16, v3
	;; [unrolled: 2-line block ×3, first 2 shown]
	;;#ASMSTART
	v_pk_mul_f32 v[4:5], v[8:9], v[12:13]
	;;#ASMEND
	;;#ASMSTART
	v_pk_mul_f32 v[8:9], v[10:11], v[16:17]
	;;#ASMEND
	;; [unrolled: 3-line block ×4, first 2 shown]
	s_mul_i32 s0, s34, s6
	v_cvt_f16_f32_e32 v0, v4
	v_cvt_f16_f32_e32 v4, v5
	v_cvt_f16_f32_e32 v5, v8
	v_cvt_f16_f32_e32 v8, v9
	v_cvt_f16_f32_e32 v9, v2
	v_cvt_f16_f32_e32 v10, v3
	v_cvt_f16_f32_e32 v6, v6
	v_cvt_f16_f32_e32 v7, v7
	s_lshl_b64 s[0:1], s[0:1], 1
	s_add_u32 s20, s38, s0
	s_addc_u32 s0, s39, s1
	s_and_b32 s21, s0, 0xffff
	v_pack_b32_f16 v2, v0, v4
	v_pack_b32_f16 v3, v5, v8
	v_pack_b32_f16 v4, v9, v10
	v_pack_b32_f16 v5, v6, v7
	buffer_store_dwordx4 v[2:5], v1, s[20:23], 0 offen
	;;#ASMSTART
	s_nop 0
	;;#ASMEND
	s_endpgm
	.section	.rodata,"a",@progbits
	.p2align	6, 0x0
	.amdhsa_kernel _ZN5aiter35fused_qk_rmsnorm_group_quant_kernelIDF16_DB8_Li256ELi8ELi16ELb1ELb0ELb0ELb0ELb0ELb0EEEvPT0_PvPT_S6_S6_PKS5_S8_S8_S8_S8_ffiiiiiiiiiiiii
		.amdhsa_group_segment_fixed_size 32
		.amdhsa_private_segment_fixed_size 0
		.amdhsa_kernarg_size 400
		.amdhsa_user_sgpr_count 6
		.amdhsa_user_sgpr_private_segment_buffer 1
		.amdhsa_user_sgpr_dispatch_ptr 0
		.amdhsa_user_sgpr_queue_ptr 0
		.amdhsa_user_sgpr_kernarg_segment_ptr 1
		.amdhsa_user_sgpr_dispatch_id 0
		.amdhsa_user_sgpr_flat_scratch_init 0
		.amdhsa_user_sgpr_kernarg_preload_length 0
		.amdhsa_user_sgpr_kernarg_preload_offset 0
		.amdhsa_user_sgpr_private_segment_size 0
		.amdhsa_uses_dynamic_stack 0
		.amdhsa_system_sgpr_private_segment_wavefront_offset 0
		.amdhsa_system_sgpr_workgroup_id_x 1
		.amdhsa_system_sgpr_workgroup_id_y 1
		.amdhsa_system_sgpr_workgroup_id_z 0
		.amdhsa_system_sgpr_workgroup_info 0
		.amdhsa_system_vgpr_workitem_id 0
		.amdhsa_next_free_vgpr 34
		.amdhsa_next_free_sgpr 44
		.amdhsa_accum_offset 36
		.amdhsa_reserve_vcc 1
		.amdhsa_reserve_flat_scratch 0
		.amdhsa_float_round_mode_32 0
		.amdhsa_float_round_mode_16_64 0
		.amdhsa_float_denorm_mode_32 3
		.amdhsa_float_denorm_mode_16_64 3
		.amdhsa_dx10_clamp 1
		.amdhsa_ieee_mode 1
		.amdhsa_fp16_overflow 0
		.amdhsa_tg_split 0
		.amdhsa_exception_fp_ieee_invalid_op 0
		.amdhsa_exception_fp_denorm_src 0
		.amdhsa_exception_fp_ieee_div_zero 0
		.amdhsa_exception_fp_ieee_overflow 0
		.amdhsa_exception_fp_ieee_underflow 0
		.amdhsa_exception_fp_ieee_inexact 0
		.amdhsa_exception_int_div_zero 0
	.end_amdhsa_kernel
	.section	.text._ZN5aiter35fused_qk_rmsnorm_group_quant_kernelIDF16_DB8_Li256ELi8ELi16ELb1ELb0ELb0ELb0ELb0ELb0EEEvPT0_PvPT_S6_S6_PKS5_S8_S8_S8_S8_ffiiiiiiiiiiiii,"axG",@progbits,_ZN5aiter35fused_qk_rmsnorm_group_quant_kernelIDF16_DB8_Li256ELi8ELi16ELb1ELb0ELb0ELb0ELb0ELb0EEEvPT0_PvPT_S6_S6_PKS5_S8_S8_S8_S8_ffiiiiiiiiiiiii,comdat
.Lfunc_end485:
	.size	_ZN5aiter35fused_qk_rmsnorm_group_quant_kernelIDF16_DB8_Li256ELi8ELi16ELb1ELb0ELb0ELb0ELb0ELb0EEEvPT0_PvPT_S6_S6_PKS5_S8_S8_S8_S8_ffiiiiiiiiiiiii, .Lfunc_end485-_ZN5aiter35fused_qk_rmsnorm_group_quant_kernelIDF16_DB8_Li256ELi8ELi16ELb1ELb0ELb0ELb0ELb0ELb0EEEvPT0_PvPT_S6_S6_PKS5_S8_S8_S8_S8_ffiiiiiiiiiiiii
                                        ; -- End function
	.section	.AMDGPU.csdata,"",@progbits
; Kernel info:
; codeLenInByte = 2852
; NumSgprs: 48
; NumVgprs: 34
; NumAgprs: 0
; TotalNumVgprs: 34
; ScratchSize: 0
; MemoryBound: 0
; FloatMode: 240
; IeeeMode: 1
; LDSByteSize: 32 bytes/workgroup (compile time only)
; SGPRBlocks: 5
; VGPRBlocks: 4
; NumSGPRsForWavesPerEU: 48
; NumVGPRsForWavesPerEU: 34
; AccumOffset: 36
; Occupancy: 8
; WaveLimiterHint : 0
; COMPUTE_PGM_RSRC2:SCRATCH_EN: 0
; COMPUTE_PGM_RSRC2:USER_SGPR: 6
; COMPUTE_PGM_RSRC2:TRAP_HANDLER: 0
; COMPUTE_PGM_RSRC2:TGID_X_EN: 1
; COMPUTE_PGM_RSRC2:TGID_Y_EN: 1
; COMPUTE_PGM_RSRC2:TGID_Z_EN: 0
; COMPUTE_PGM_RSRC2:TIDIG_COMP_CNT: 0
; COMPUTE_PGM_RSRC3_GFX90A:ACCUM_OFFSET: 8
; COMPUTE_PGM_RSRC3_GFX90A:TG_SPLIT: 0
	.section	.text._ZN5aiter35fused_qk_rmsnorm_group_quant_kernelItDB8_Li256ELi8ELi16ELb1ELb0ELb0ELb0ELb0ELb0EEEvPT0_PvPT_S6_S6_PKS5_S8_S8_S8_S8_ffiiiiiiiiiiiii,"axG",@progbits,_ZN5aiter35fused_qk_rmsnorm_group_quant_kernelItDB8_Li256ELi8ELi16ELb1ELb0ELb0ELb0ELb0ELb0EEEvPT0_PvPT_S6_S6_PKS5_S8_S8_S8_S8_ffiiiiiiiiiiiii,comdat
	.protected	_ZN5aiter35fused_qk_rmsnorm_group_quant_kernelItDB8_Li256ELi8ELi16ELb1ELb0ELb0ELb0ELb0ELb0EEEvPT0_PvPT_S6_S6_PKS5_S8_S8_S8_S8_ffiiiiiiiiiiiii ; -- Begin function _ZN5aiter35fused_qk_rmsnorm_group_quant_kernelItDB8_Li256ELi8ELi16ELb1ELb0ELb0ELb0ELb0ELb0EEEvPT0_PvPT_S6_S6_PKS5_S8_S8_S8_S8_ffiiiiiiiiiiiii
	.globl	_ZN5aiter35fused_qk_rmsnorm_group_quant_kernelItDB8_Li256ELi8ELi16ELb1ELb0ELb0ELb0ELb0ELb0EEEvPT0_PvPT_S6_S6_PKS5_S8_S8_S8_S8_ffiiiiiiiiiiiii
	.p2align	8
	.type	_ZN5aiter35fused_qk_rmsnorm_group_quant_kernelItDB8_Li256ELi8ELi16ELb1ELb0ELb0ELb0ELb0ELb0EEEvPT0_PvPT_S6_S6_PKS5_S8_S8_S8_S8_ffiiiiiiiiiiiii,@function
_ZN5aiter35fused_qk_rmsnorm_group_quant_kernelItDB8_Li256ELi8ELi16ELb1ELb0ELb0ELb0ELb0ELb0EEEvPT0_PvPT_S6_S6_PKS5_S8_S8_S8_S8_ffiiiiiiiiiiiii: ; @_ZN5aiter35fused_qk_rmsnorm_group_quant_kernelItDB8_Li256ELi8ELi16ELb1ELb0ELb0ELb0ELb0ELb0EEEvPT0_PvPT_S6_S6_PKS5_S8_S8_S8_S8_ffiiiiiiiiiiiii
; %bb.0:
	s_load_dwordx8 s[12:19], s[4:5], 0x50
	s_waitcnt lgkmcnt(0)
	s_cmp_ge_i32 s6, s14
	s_cbranch_scc1 .LBB486_17
; %bb.1:
	s_cmp_lg_u32 s7, 0
	s_cselect_b64 s[10:11], -1, 0
	s_cmp_eq_u32 s7, 0
	s_cselect_b64 s[8:9], -1, 0
	s_and_b64 s[0:1], s[8:9], exec
	s_load_dwordx2 s[20:21], s[4:5], 0x48
	s_load_dwordx2 s[36:37], s[4:5], 0x30
	s_load_dwordx4 s[24:27], s[4:5], 0x70
	s_cselect_b32 s7, s15, s16
	s_add_i32 s0, s7, 1
	s_lshr_b32 s1, s0, 31
	s_add_i32 s0, s0, s1
	s_lshl_b32 s0, s0, 1
	v_lshlrev_b32_e32 v1, 3, v0
	s_and_b32 s30, s0, -4
	v_cmp_gt_i32_e64 s[0:1], s7, v1
	v_mov_b32_e32 v10, 0
	v_mov_b32_e32 v11, 0
	;; [unrolled: 1-line block ×8, first 2 shown]
	s_and_saveexec_b64 s[2:3], s[0:1]
	s_cbranch_execz .LBB486_3
; %bb.2:
	s_load_dwordx2 s[22:23], s[4:5], 0x28
	s_load_dwordx2 s[28:29], s[4:5], 0x40
	s_and_b64 s[34:35], s[8:9], exec
	s_cselect_b32 s14, s17, s18
	s_mov_b32 s31, 0x20000
	s_waitcnt lgkmcnt(0)
	s_cselect_b32 s17, s23, s37
	s_cselect_b32 s27, s22, s36
	s_mul_hi_i32 s23, s14, s6
	s_mul_i32 s22, s14, s6
	s_lshl_b64 s[22:23], s[22:23], 1
	s_add_u32 s40, s27, s22
	s_addc_u32 s14, s17, s23
	s_and_b64 s[22:23], s[8:9], exec
	s_cselect_b32 s28, s28, s20
	s_cselect_b32 s17, s29, s21
	v_lshlrev_b32_e32 v2, 4, v0
	s_and_b32 s41, s14, 0xffff
	s_mov_b32 s42, s30
	s_mov_b32 s43, s31
	s_and_b32 s29, s17, 0xffff
	buffer_load_dwordx4 v[14:17], v2, s[40:43], 0 offen glc slc
	buffer_load_dwordx4 v[10:13], v2, s[28:31], 0 offen
.LBB486_3:
	s_or_b64 exec, exec, s[2:3]
	s_load_dwordx2 s[34:35], s[4:5], 0x80
	s_and_b64 vcc, exec, s[10:11]
	s_cbranch_vccz .LBB486_7
; %bb.4:
	s_mov_b32 s40, 0
	s_mov_b32 s41, s40
	;; [unrolled: 1-line block ×8, first 2 shown]
	v_pk_mov_b32 v[2:3], s[40:41], s[40:41] op_sel:[0,1]
	v_pk_mov_b32 v[4:5], s[42:43], s[42:43] op_sel:[0,1]
	;; [unrolled: 1-line block ×4, first 2 shown]
	s_and_saveexec_b64 s[2:3], s[0:1]
	s_cbranch_execz .LBB486_6
; %bb.5:
	s_waitcnt vmcnt(1)
	v_cvt_f32_u32_sdwa v3, v14 dst_sel:DWORD dst_unused:UNUSED_PAD src0_sel:WORD_1
	v_cvt_f32_u32_sdwa v2, v14 dst_sel:DWORD dst_unused:UNUSED_PAD src0_sel:WORD_0
	v_cvt_f32_u32_sdwa v5, v15 dst_sel:DWORD dst_unused:UNUSED_PAD src0_sel:WORD_1
	v_cvt_f32_u32_sdwa v4, v15 dst_sel:DWORD dst_unused:UNUSED_PAD src0_sel:WORD_0
	;; [unrolled: 2-line block ×4, first 2 shown]
.LBB486_6:
	s_or_b64 exec, exec, s[2:3]
	s_cbranch_execz .LBB486_8
	s_branch .LBB486_11
.LBB486_7:
                                        ; implicit-def: $vgpr2_vgpr3_vgpr4_vgpr5_vgpr6_vgpr7_vgpr8_vgpr9
.LBB486_8:
	s_mov_b32 s40, 0
	s_mov_b32 s41, s40
	;; [unrolled: 1-line block ×8, first 2 shown]
	v_pk_mov_b32 v[2:3], s[40:41], s[40:41] op_sel:[0,1]
	v_pk_mov_b32 v[4:5], s[42:43], s[42:43] op_sel:[0,1]
	v_pk_mov_b32 v[6:7], s[44:45], s[44:45] op_sel:[0,1]
	v_pk_mov_b32 v[8:9], s[46:47], s[46:47] op_sel:[0,1]
	s_and_saveexec_b64 s[2:3], s[0:1]
	s_cbranch_execz .LBB486_10
; %bb.9:
	s_load_dwordx2 s[22:23], s[4:5], 0x38
	s_mul_hi_i32 s29, s19, s6
	s_mul_i32 s28, s19, s6
	s_lshl_b64 s[28:29], s[28:29], 1
	s_mov_b32 s31, 0x20000
	s_waitcnt lgkmcnt(0)
	s_add_u32 s28, s22, s28
	s_addc_u32 s14, s23, s29
	s_and_b32 s29, s14, 0xffff
	v_lshlrev_b32_e32 v26, 4, v0
	buffer_load_dwordx4 v[2:5], v26, s[28:31], 0 offen glc slc
	s_load_dwordx2 s[22:23], s[4:5], 0x20
	s_waitcnt vmcnt(2)
	v_cvt_f32_u32_sdwa v7, v14 dst_sel:DWORD dst_unused:UNUSED_PAD src0_sel:WORD_1
	v_cvt_f32_u32_sdwa v6, v14 dst_sel:DWORD dst_unused:UNUSED_PAD src0_sel:WORD_0
	v_cvt_f32_u32_sdwa v9, v15 dst_sel:DWORD dst_unused:UNUSED_PAD src0_sel:WORD_1
	v_cvt_f32_u32_sdwa v8, v15 dst_sel:DWORD dst_unused:UNUSED_PAD src0_sel:WORD_0
	;; [unrolled: 2-line block ×4, first 2 shown]
	s_mul_hi_i32 s29, s35, s6
	s_mul_i32 s28, s35, s6
	s_lshl_b64 s[28:29], s[28:29], 1
	s_waitcnt lgkmcnt(0)
	s_add_u32 s28, s22, s28
	s_mov_b32 s14, 0x7060302
	s_addc_u32 s17, s23, s29
	s_and_b32 s29, s17, 0xffff
	s_waitcnt vmcnt(0)
	v_cvt_f32_u32_sdwa v17, v2 dst_sel:DWORD dst_unused:UNUSED_PAD src0_sel:WORD_1
	v_cvt_f32_u32_sdwa v16, v2 dst_sel:DWORD dst_unused:UNUSED_PAD src0_sel:WORD_0
	v_cvt_f32_u32_sdwa v21, v3 dst_sel:DWORD dst_unused:UNUSED_PAD src0_sel:WORD_1
	v_cvt_f32_u32_sdwa v20, v3 dst_sel:DWORD dst_unused:UNUSED_PAD src0_sel:WORD_0
	;; [unrolled: 2-line block ×4, first 2 shown]
	v_pk_add_f32 v[2:3], v[6:7], v[16:17]
	v_pk_add_f32 v[4:5], v[8:9], v[20:21]
	;; [unrolled: 1-line block ×4, first 2 shown]
	v_perm_b32 v17, v9, v8, s14
	v_perm_b32 v16, v7, v6, s14
	v_perm_b32 v15, v5, v4, s14
	v_perm_b32 v14, v3, v2, s14
	buffer_store_dwordx4 v[14:17], v26, s[28:31], 0 offen glc slc
	;;#ASMSTART
	s_nop 0
	;;#ASMEND
.LBB486_10:
	s_or_b64 exec, exec, s[2:3]
.LBB486_11:
	s_waitcnt vmcnt(1)
	v_mul_f32_e32 v14, v3, v3
	v_fmac_f32_e32 v14, v2, v2
	v_fmac_f32_e32 v14, v4, v4
	v_fmac_f32_e32 v14, v5, v5
	v_fmac_f32_e32 v14, v6, v6
	v_fmac_f32_e32 v14, v7, v7
	v_fmac_f32_e32 v14, v8, v8
	v_fmac_f32_e32 v14, v9, v9
	v_and_b32_e32 v16, 63, v0
	v_cmp_eq_u32_e64 s[2:3], 63, v16
	v_mov_b32_dpp v15, v14 quad_perm:[1,0,3,2] row_mask:0xf bank_mask:0xf
	v_add_f32_e32 v14, v14, v15
	s_nop 1
	v_mov_b32_dpp v15, v14 quad_perm:[2,3,0,1] row_mask:0xf bank_mask:0xf
	v_add_f32_e32 v14, v14, v15
	s_nop 1
	v_mov_b32_dpp v15, v14 row_half_mirror row_mask:0xf bank_mask:0xf
	v_add_f32_e32 v14, v14, v15
	s_nop 1
	v_mov_b32_dpp v15, v14 row_mirror row_mask:0xf bank_mask:0xf
	v_add_f32_e32 v14, v14, v15
	s_nop 1
	v_mov_b32_dpp v15, v14 row_bcast:15 row_mask:0xf bank_mask:0xf
	v_add_f32_e32 v14, v14, v15
	s_nop 1
	v_mov_b32_dpp v15, v14 row_bcast:31 row_mask:0xf bank_mask:0xf
	s_and_saveexec_b64 s[22:23], s[2:3]
	s_cbranch_execz .LBB486_13
; %bb.12:
	v_add_f32_e32 v14, v14, v15
	v_lshrrev_b32_e32 v15, 4, v0
	v_and_b32_e32 v15, 60, v15
	ds_write_b32 v15, v14 offset:16
.LBB486_13:
	s_or_b64 exec, exec, s[22:23]
	v_and_b32_e32 v14, 3, v0
	v_lshlrev_b32_e32 v14, 2, v14
	s_waitcnt lgkmcnt(0)
	s_barrier
	ds_read_b32 v15, v14 offset:16
	s_load_dwordx2 s[38:39], s[4:5], 0x18
	s_waitcnt lgkmcnt(0)
	v_mov_b32_dpp v16, v15 quad_perm:[1,0,3,2] row_mask:0xf bank_mask:0xf
	v_add_f32_e32 v15, v15, v16
	s_nop 1
	v_mov_b32_dpp v16, v15 quad_perm:[2,3,0,1] row_mask:0xf bank_mask:0xf
	s_and_saveexec_b64 s[22:23], s[0:1]
	s_cbranch_execnz .LBB486_18
; %bb.14:
	s_or_b64 exec, exec, s[22:23]
	s_mov_b64 s[8:9], -1
	s_and_b64 vcc, exec, s[10:11]
	s_cbranch_vccnz .LBB486_19
.LBB486_15:
	s_andn2_b64 vcc, exec, s[8:9]
	s_cbranch_vccz .LBB486_22
.LBB486_16:
	s_cmp_lt_i32 s16, 1
	s_cbranch_scc0 .LBB486_29
.LBB486_17:
	s_endpgm
.LBB486_18:
	v_cvt_f32_u32_e32 v17, s7
	v_add_f32_e32 v15, v15, v16
	v_mov_b32_e32 v19, s13
	v_mov_b32_e32 v20, s12
	v_div_scale_f32 v16, s[28:29], v17, v17, v15
	v_rcp_f32_e32 v18, v16
	v_cndmask_b32_e64 v19, v19, v20, s[8:9]
	s_mov_b32 s7, 0x800000
	v_fma_f32 v20, -v16, v18, 1.0
	v_fmac_f32_e32 v18, v20, v18
	v_div_scale_f32 v20, vcc, v15, v17, v15
	v_mul_f32_e32 v21, v20, v18
	v_fma_f32 v22, -v16, v21, v20
	v_fmac_f32_e32 v21, v22, v18
	v_fma_f32 v16, -v16, v21, v20
	v_div_fmas_f32 v16, v16, v18, v21
	v_div_fixup_f32 v15, v16, v17, v15
	v_add_f32_e32 v15, v19, v15
	v_mul_f32_e32 v16, 0x4b800000, v15
	v_cmp_gt_f32_e32 vcc, s7, v15
	v_cndmask_b32_e32 v15, v15, v16, vcc
	v_rsq_f32_e32 v15, v15
	s_waitcnt vmcnt(0)
	v_cvt_f32_u32_sdwa v19, v11 dst_sel:DWORD dst_unused:UNUSED_PAD src0_sel:WORD_1
	v_cvt_f32_u32_sdwa v18, v11 dst_sel:DWORD dst_unused:UNUSED_PAD src0_sel:WORD_0
	v_cvt_f32_u32_sdwa v11, v12 dst_sel:DWORD dst_unused:UNUSED_PAD src0_sel:WORD_1
	v_mul_f32_e32 v16, 0x45800000, v15
	v_cndmask_b32_e32 v16, v15, v16, vcc
	v_mov_b32_e32 v17, v16
	;;#ASMSTART
	v_pk_mul_f32 v[2:3], v[2:3], v[16:17]
	;;#ASMEND
	;;#ASMSTART
	v_pk_mul_f32 v[4:5], v[4:5], v[16:17]
	;;#ASMEND
	;;#ASMSTART
	v_pk_mul_f32 v[6:7], v[6:7], v[16:17]
	;;#ASMEND
	;;#ASMSTART
	v_pk_mul_f32 v[8:9], v[8:9], v[16:17]
	;;#ASMEND
	v_cvt_f32_u32_sdwa v17, v10 dst_sel:DWORD dst_unused:UNUSED_PAD src0_sel:WORD_1
	v_cvt_f32_u32_sdwa v16, v10 dst_sel:DWORD dst_unused:UNUSED_PAD src0_sel:WORD_0
	v_cvt_f32_u32_sdwa v10, v12 dst_sel:DWORD dst_unused:UNUSED_PAD src0_sel:WORD_0
	v_cvt_f32_u32_sdwa v21, v13 dst_sel:DWORD dst_unused:UNUSED_PAD src0_sel:WORD_1
	v_cvt_f32_u32_sdwa v20, v13 dst_sel:DWORD dst_unused:UNUSED_PAD src0_sel:WORD_0
	;;#ASMSTART
	v_pk_mul_f32 v[2:3], v[2:3], v[16:17]
	;;#ASMEND
	;;#ASMSTART
	v_pk_mul_f32 v[4:5], v[4:5], v[18:19]
	;;#ASMEND
	;; [unrolled: 3-line block ×4, first 2 shown]
	s_or_b64 exec, exec, s[22:23]
	s_mov_b64 s[8:9], -1
	s_and_b64 vcc, exec, s[10:11]
	s_cbranch_vccz .LBB486_15
.LBB486_19:
	s_and_saveexec_b64 s[8:9], s[0:1]
	s_cbranch_execz .LBB486_21
; %bb.20:
	s_mul_hi_i32 s11, s34, s6
	s_mul_i32 s10, s34, s6
	s_lshl_b64 s[10:11], s[10:11], 1
	s_add_u32 s28, s38, s10
	s_addc_u32 s7, s39, s11
	s_and_b32 s29, s7, 0xffff
	s_mov_b32 s7, 0x7060302
	s_mov_b32 s31, 0x20000
	s_waitcnt vmcnt(0)
	v_perm_b32 v10, v3, v2, s7
	v_perm_b32 v11, v5, v4, s7
	;; [unrolled: 1-line block ×4, first 2 shown]
	v_lshlrev_b32_e32 v15, 4, v0
	buffer_store_dwordx4 v[10:13], v15, s[28:31], 0 offen
	;;#ASMSTART
	s_nop 0
	;;#ASMEND
.LBB486_21:
	s_or_b64 exec, exec, s[8:9]
	s_cbranch_execnz .LBB486_16
.LBB486_22:
	s_waitcnt vmcnt(0)
	v_mov_b32_e32 v10, 0
	s_and_saveexec_b64 s[8:9], s[0:1]
	s_cbranch_execz .LBB486_24
; %bb.23:
	v_and_b32_e32 v10, 0x7fffffff, v2
	v_and_b32_e32 v11, 0x7fffffff, v3
	v_mov_b32_e32 v12, 0x2edbe6ff
	;;#ASMSTART
	v_max3_f32 v10, v12, v10, v11

	;;#ASMEND
	v_and_b32_e32 v11, 0x7fffffff, v4
	v_and_b32_e32 v12, 0x7fffffff, v5
	;;#ASMSTART
	v_max3_f32 v10, v10, v11, v12

	;;#ASMEND
	v_and_b32_e32 v11, 0x7fffffff, v6
	v_and_b32_e32 v12, 0x7fffffff, v7
	;; [unrolled: 6-line block ×3, first 2 shown]
	;;#ASMSTART
	v_max3_f32 v10, v10, v11, v12

	;;#ASMEND
.LBB486_24:
	s_or_b64 exec, exec, s[8:9]
	;;#ASMSTART
	v_max_f32 v11, v10, v10 quad_perm:[1,0,3,2] row_mask:0xf bank_mask:0xf bound_ctrl:1
	;;#ASMEND
	;;#ASMSTART
	v_max_f32 v10, v11, v11 quad_perm:[2,3,0,1] row_mask:0xf bank_mask:0xf bound_ctrl:1
	;;#ASMEND
	;;#ASMSTART
	v_max_f32 v11, v10, v10 row_half_mirror row_mask:0xf bank_mask:0xf bound_ctrl:1
	;;#ASMEND
	;;#ASMSTART
	v_max_f32 v10, v11, v11 row_mirror row_mask:0xf bank_mask:0xf bound_ctrl:1
	;;#ASMEND
	v_and_b32_e32 v11, 15, v0
	v_cmp_eq_u32_e32 vcc, 0, v11
	v_cmp_gt_i32_e64 s[8:9], s15, v1
	v_mul_f32_e32 v10, 0x3b124925, v10
	s_and_b64 s[10:11], vcc, s[8:9]
	s_and_saveexec_b64 s[8:9], s[10:11]
	s_cbranch_execz .LBB486_26
; %bb.25:
	s_load_dwordx2 s[10:11], s[4:5], 0x8
	s_mul_hi_i32 s23, s25, s6
	s_mul_i32 s22, s25, s6
	v_lshrrev_b32_e32 v11, 4, v0
	s_lshl_b64 s[22:23], s[22:23], 2
	v_mad_i64_i32 v[12:13], s[26:27], s26, v11, 0
	s_waitcnt lgkmcnt(0)
	s_add_u32 s7, s10, s22
	s_addc_u32 s10, s11, s23
	v_lshlrev_b64 v[12:13], 2, v[12:13]
	v_mov_b32_e32 v11, s10
	v_add_co_u32_e32 v12, vcc, s7, v12
	v_addc_co_u32_e32 v13, vcc, v11, v13, vcc
	global_store_dword v[12:13], v10, off
.LBB486_26:
	s_or_b64 exec, exec, s[8:9]
	;;#ASMSTART
	v_rcp_f32 v10, v10
	;;#ASMEND
	s_and_saveexec_b64 s[22:23], s[0:1]
	s_cbranch_execz .LBB486_28
; %bb.27:
	s_load_dwordx2 s[0:1], s[4:5], 0x0
	s_mul_i32 s8, s24, s6
	v_mov_b32_e32 v11, v10
	;;#ASMSTART
	v_pk_mul_f32 v[2:3], v[2:3], v[10:11]
	;;#ASMEND
	s_mul_hi_i32 s7, s24, s6
	s_waitcnt lgkmcnt(0)
	s_add_u32 s8, s0, s8
	v_mov_b32_e32 v12, 0xc3e00000
	v_mov_b32_e32 v13, 0x43e00000
	;;#ASMSTART
	v_med3_f32 v2, v2, v12, v13
v_med3_f32 v3, v3, v12, v13
v_cvt_pk_fp8_f32 v15, v2, v3
	;;#ASMEND
	s_addc_u32 s0, s1, s7
	;;#ASMSTART
	v_pk_mul_f32 v[2:3], v[4:5], v[10:11]
	;;#ASMEND
	s_and_b32 s9, s0, 0xffff
	;;#ASMSTART
	v_med3_f32 v2, v2, v12, v13
v_med3_f32 v3, v3, v12, v13
v_cvt_pk_fp8_f32 v4, v2, v3
	;;#ASMEND
	s_mov_b32 s0, 0x5040100
	v_perm_b32 v3, v4, v15, s0
	s_movk_i32 s0, 0xff
	v_and_b32_e32 v2, 0xffffff00, v4
	v_and_b32_sdwa v4, v3, s0 dst_sel:DWORD dst_unused:UNUSED_PAD src0_sel:WORD_1 src1_sel:DWORD
	s_mov_b32 s12, 0xffff
	v_or_b32_sdwa v2, v4, v2 dst_sel:WORD_1 dst_unused:UNUSED_PAD src0_sel:DWORD src1_sel:DWORD
	v_and_or_b32 v2, v3, s12, v2
	;;#ASMSTART
	v_pk_mul_f32 v[4:5], v[6:7], v[10:11]
	;;#ASMEND
	v_mov_b32_e32 v3, v5
	s_add_i32 s1, s15, 3
	;;#ASMSTART
	v_med3_f32 v4, v4, v12, v13
v_med3_f32 v3, v3, v12, v13
v_cvt_pk_fp8_f32 v6, v4, v3
	;;#ASMEND
	s_ashr_i32 s7, s1, 31
	;;#ASMSTART
	v_pk_mul_f32 v[4:5], v[8:9], v[10:11]
	;;#ASMEND
	v_mov_b32_e32 v3, v4
	s_lshr_b32 s7, s7, 30
	;;#ASMSTART
	v_med3_f32 v3, v3, v12, v13
v_med3_f32 v5, v5, v12, v13
v_cvt_pk_fp8_f32 v4, v3, v5
	;;#ASMEND
	s_add_i32 s1, s1, s7
	v_lshlrev_b32_e32 v3, 16, v4
	s_and_b32 s10, s1, -4
	s_mov_b32 s11, 0x20000
	v_and_or_b32 v3, v6, s12, v3
	buffer_store_dwordx2 v[2:3], v1, s[8:11], 0 offen
	;;#ASMSTART
	s_nop 0
	;;#ASMEND
.LBB486_28:
	s_or_b64 exec, exec, s[22:23]
	s_cmp_lt_i32 s16, 1
	s_cbranch_scc1 .LBB486_17
.LBB486_29:
	s_load_dword s0, s[4:5], 0x94
	s_waitcnt lgkmcnt(0)
	s_cmp_lg_u32 s0, 1
	s_cbranch_scc1 .LBB486_17
; %bb.30:
	s_lshl_b32 s0, s16, 1
	s_add_i32 s0, s0, 2
	v_cmp_gt_u32_e32 vcc, s16, v1
	s_and_b32 s22, s0, -4
	v_mov_b32_e32 v6, 0
	v_lshlrev_b32_e32 v1, 4, v0
	v_mov_b32_e32 v7, 0
	v_mov_b32_e32 v8, 0
	v_mov_b32_e32 v9, 0
	v_mov_b32_e32 v2, 0
	v_mov_b32_e32 v3, 0
	v_mov_b32_e32 v4, 0
	v_mov_b32_e32 v5, 0
	s_barrier
	s_and_saveexec_b64 s[0:1], vcc
	s_cbranch_execz .LBB486_32
; %bb.31:
	s_mul_hi_i32 s5, s18, s6
	s_mul_i32 s4, s18, s6
	s_and_b32 s21, s21, 0xffff
	s_lshl_b64 s[4:5], s[4:5], 1
	s_add_u32 s8, s36, s4
	s_mov_b32 s23, 0x20000
	s_addc_u32 s4, s37, s5
	s_and_b32 s9, s4, 0xffff
	s_mov_b32 s10, s22
	s_mov_b32 s11, s23
	buffer_load_dwordx4 v[6:9], v1, s[8:11], 0 offen glc slc
	buffer_load_dwordx4 v[2:5], v1, s[20:23], 0 offen
.LBB486_32:
	s_or_b64 exec, exec, s[0:1]
	s_waitcnt vmcnt(0)
	v_cvt_f32_u32_sdwa v13, v6 dst_sel:DWORD dst_unused:UNUSED_PAD src0_sel:WORD_1
	v_cvt_f32_u32_sdwa v12, v6 dst_sel:DWORD dst_unused:UNUSED_PAD src0_sel:WORD_0
	v_cvt_f32_u32_sdwa v6, v9 dst_sel:DWORD dst_unused:UNUSED_PAD src0_sel:WORD_1
	v_cvt_f32_u32_sdwa v9, v9 dst_sel:DWORD dst_unused:UNUSED_PAD src0_sel:WORD_0
	;; [unrolled: 2-line block ×4, first 2 shown]
	v_cndmask_b32_e32 v13, 0, v13, vcc
	v_cndmask_b32_e32 v7, 0, v6, vcc
	;; [unrolled: 1-line block ×5, first 2 shown]
	v_mul_f32_e32 v15, v13, v13
	v_cndmask_b32_e32 v10, 0, v10, vcc
	v_fmac_f32_e32 v15, v12, v12
	v_cndmask_b32_e32 v11, 0, v11, vcc
	v_fmac_f32_e32 v15, v10, v10
	;; [unrolled: 2-line block ×3, first 2 shown]
	v_fmac_f32_e32 v15, v8, v8
	v_fmac_f32_e32 v15, v9, v9
	;; [unrolled: 1-line block ×4, first 2 shown]
	s_nop 1
	v_mov_b32_dpp v16, v15 quad_perm:[1,0,3,2] row_mask:0xf bank_mask:0xf
	v_add_f32_e32 v15, v15, v16
	s_nop 1
	v_mov_b32_dpp v16, v15 quad_perm:[2,3,0,1] row_mask:0xf bank_mask:0xf
	v_add_f32_e32 v15, v15, v16
	s_nop 1
	v_mov_b32_dpp v16, v15 row_half_mirror row_mask:0xf bank_mask:0xf
	v_add_f32_e32 v15, v15, v16
	s_nop 1
	v_mov_b32_dpp v16, v15 row_mirror row_mask:0xf bank_mask:0xf
	v_add_f32_e32 v15, v15, v16
	s_nop 1
	v_mov_b32_dpp v16, v15 row_bcast:15 row_mask:0xf bank_mask:0xf
	v_add_f32_e32 v15, v15, v16
	s_nop 1
	v_mov_b32_dpp v16, v15 row_bcast:31 row_mask:0xf bank_mask:0xf
	s_and_saveexec_b64 s[0:1], s[2:3]
	s_cbranch_execz .LBB486_34
; %bb.33:
	v_lshrrev_b32_e32 v0, 4, v0
	v_add_f32_e32 v15, v15, v16
	v_and_b32_e32 v0, 60, v0
	ds_write_b32 v0, v15
.LBB486_34:
	s_or_b64 exec, exec, s[0:1]
	s_waitcnt lgkmcnt(0)
	s_barrier
	ds_read_b32 v0, v14
	s_waitcnt lgkmcnt(0)
	s_nop 0
	v_mov_b32_dpp v14, v0 quad_perm:[1,0,3,2] row_mask:0xf bank_mask:0xf
	v_add_f32_e32 v0, v0, v14
	s_nop 1
	v_mov_b32_dpp v14, v0 quad_perm:[2,3,0,1] row_mask:0xf bank_mask:0xf
	s_and_saveexec_b64 s[0:1], vcc
	s_cbranch_execz .LBB486_17
; %bb.35:
	v_cvt_f32_u32_e32 v15, s16
	v_add_f32_e32 v0, v0, v14
	s_mov_b32 s23, 0x20000
	v_div_scale_f32 v14, s[0:1], v15, v15, v0
	v_rcp_f32_e32 v16, v14
	v_div_scale_f32 v17, vcc, v0, v15, v0
	s_mov_b32 s0, 0x800000
	v_fma_f32 v18, -v14, v16, 1.0
	v_fmac_f32_e32 v16, v18, v16
	v_mul_f32_e32 v18, v17, v16
	v_fma_f32 v19, -v14, v18, v17
	v_fmac_f32_e32 v18, v19, v16
	v_fma_f32 v14, -v14, v18, v17
	v_div_fmas_f32 v14, v14, v16, v18
	v_div_fixup_f32 v0, v14, v15, v0
	v_add_f32_e32 v0, s13, v0
	v_mul_f32_e32 v14, 0x4b800000, v0
	v_cmp_gt_f32_e32 vcc, s0, v0
	v_cndmask_b32_e32 v0, v0, v14, vcc
	v_rsq_f32_e32 v0, v0
	s_mul_hi_i32 s1, s34, s6
	s_mul_i32 s0, s34, s6
	s_lshl_b64 s[0:1], s[0:1], 1
	v_mul_f32_e32 v14, 0x45800000, v0
	v_cndmask_b32_e32 v14, v0, v14, vcc
	s_add_u32 s20, s38, s0
	v_mov_b32_e32 v15, v14
	s_addc_u32 s0, s39, s1
	;;#ASMSTART
	v_pk_mul_f32 v[12:13], v[12:13], v[14:15]
	;;#ASMEND
	;;#ASMSTART
	v_pk_mul_f32 v[10:11], v[10:11], v[14:15]
	;;#ASMEND
	;; [unrolled: 3-line block ×4, first 2 shown]
	v_cvt_f32_u32_sdwa v15, v2 dst_sel:DWORD dst_unused:UNUSED_PAD src0_sel:WORD_1
	v_cvt_f32_u32_sdwa v14, v2 dst_sel:DWORD dst_unused:UNUSED_PAD src0_sel:WORD_0
	v_cvt_f32_u32_sdwa v17, v3 dst_sel:DWORD dst_unused:UNUSED_PAD src0_sel:WORD_1
	v_cvt_f32_u32_sdwa v16, v3 dst_sel:DWORD dst_unused:UNUSED_PAD src0_sel:WORD_0
	;; [unrolled: 2-line block ×4, first 2 shown]
	;;#ASMSTART
	v_pk_mul_f32 v[4:5], v[12:13], v[14:15]
	;;#ASMEND
	s_and_b32 s21, s0, 0xffff
	s_mov_b32 s0, 0x7060302
	;;#ASMSTART
	v_pk_mul_f32 v[10:11], v[10:11], v[16:17]
	;;#ASMEND
	;;#ASMSTART
	v_pk_mul_f32 v[8:9], v[8:9], v[2:3]
	;;#ASMEND
	;; [unrolled: 3-line block ×3, first 2 shown]
	v_perm_b32 v2, v5, v4, s0
	v_perm_b32 v3, v11, v10, s0
	v_perm_b32 v4, v9, v8, s0
	v_perm_b32 v5, v7, v6, s0
	buffer_store_dwordx4 v[2:5], v1, s[20:23], 0 offen
	;;#ASMSTART
	s_nop 0
	;;#ASMEND
	s_endpgm
	.section	.rodata,"a",@progbits
	.p2align	6, 0x0
	.amdhsa_kernel _ZN5aiter35fused_qk_rmsnorm_group_quant_kernelItDB8_Li256ELi8ELi16ELb1ELb0ELb0ELb0ELb0ELb0EEEvPT0_PvPT_S6_S6_PKS5_S8_S8_S8_S8_ffiiiiiiiiiiiii
		.amdhsa_group_segment_fixed_size 32
		.amdhsa_private_segment_fixed_size 0
		.amdhsa_kernarg_size 400
		.amdhsa_user_sgpr_count 6
		.amdhsa_user_sgpr_private_segment_buffer 1
		.amdhsa_user_sgpr_dispatch_ptr 0
		.amdhsa_user_sgpr_queue_ptr 0
		.amdhsa_user_sgpr_kernarg_segment_ptr 1
		.amdhsa_user_sgpr_dispatch_id 0
		.amdhsa_user_sgpr_flat_scratch_init 0
		.amdhsa_user_sgpr_kernarg_preload_length 0
		.amdhsa_user_sgpr_kernarg_preload_offset 0
		.amdhsa_user_sgpr_private_segment_size 0
		.amdhsa_uses_dynamic_stack 0
		.amdhsa_system_sgpr_private_segment_wavefront_offset 0
		.amdhsa_system_sgpr_workgroup_id_x 1
		.amdhsa_system_sgpr_workgroup_id_y 1
		.amdhsa_system_sgpr_workgroup_id_z 0
		.amdhsa_system_sgpr_workgroup_info 0
		.amdhsa_system_vgpr_workitem_id 0
		.amdhsa_next_free_vgpr 27
		.amdhsa_next_free_sgpr 48
		.amdhsa_accum_offset 28
		.amdhsa_reserve_vcc 1
		.amdhsa_reserve_flat_scratch 0
		.amdhsa_float_round_mode_32 0
		.amdhsa_float_round_mode_16_64 0
		.amdhsa_float_denorm_mode_32 3
		.amdhsa_float_denorm_mode_16_64 3
		.amdhsa_dx10_clamp 1
		.amdhsa_ieee_mode 1
		.amdhsa_fp16_overflow 0
		.amdhsa_tg_split 0
		.amdhsa_exception_fp_ieee_invalid_op 0
		.amdhsa_exception_fp_denorm_src 0
		.amdhsa_exception_fp_ieee_div_zero 0
		.amdhsa_exception_fp_ieee_overflow 0
		.amdhsa_exception_fp_ieee_underflow 0
		.amdhsa_exception_fp_ieee_inexact 0
		.amdhsa_exception_int_div_zero 0
	.end_amdhsa_kernel
	.section	.text._ZN5aiter35fused_qk_rmsnorm_group_quant_kernelItDB8_Li256ELi8ELi16ELb1ELb0ELb0ELb0ELb0ELb0EEEvPT0_PvPT_S6_S6_PKS5_S8_S8_S8_S8_ffiiiiiiiiiiiii,"axG",@progbits,_ZN5aiter35fused_qk_rmsnorm_group_quant_kernelItDB8_Li256ELi8ELi16ELb1ELb0ELb0ELb0ELb0ELb0EEEvPT0_PvPT_S6_S6_PKS5_S8_S8_S8_S8_ffiiiiiiiiiiiii,comdat
.Lfunc_end486:
	.size	_ZN5aiter35fused_qk_rmsnorm_group_quant_kernelItDB8_Li256ELi8ELi16ELb1ELb0ELb0ELb0ELb0ELb0EEEvPT0_PvPT_S6_S6_PKS5_S8_S8_S8_S8_ffiiiiiiiiiiiii, .Lfunc_end486-_ZN5aiter35fused_qk_rmsnorm_group_quant_kernelItDB8_Li256ELi8ELi16ELb1ELb0ELb0ELb0ELb0ELb0EEEvPT0_PvPT_S6_S6_PKS5_S8_S8_S8_S8_ffiiiiiiiiiiiii
                                        ; -- End function
	.section	.AMDGPU.csdata,"",@progbits
; Kernel info:
; codeLenInByte = 2936
; NumSgprs: 52
; NumVgprs: 27
; NumAgprs: 0
; TotalNumVgprs: 27
; ScratchSize: 0
; MemoryBound: 0
; FloatMode: 240
; IeeeMode: 1
; LDSByteSize: 32 bytes/workgroup (compile time only)
; SGPRBlocks: 6
; VGPRBlocks: 3
; NumSGPRsForWavesPerEU: 52
; NumVGPRsForWavesPerEU: 27
; AccumOffset: 28
; Occupancy: 8
; WaveLimiterHint : 0
; COMPUTE_PGM_RSRC2:SCRATCH_EN: 0
; COMPUTE_PGM_RSRC2:USER_SGPR: 6
; COMPUTE_PGM_RSRC2:TRAP_HANDLER: 0
; COMPUTE_PGM_RSRC2:TGID_X_EN: 1
; COMPUTE_PGM_RSRC2:TGID_Y_EN: 1
; COMPUTE_PGM_RSRC2:TGID_Z_EN: 0
; COMPUTE_PGM_RSRC2:TIDIG_COMP_CNT: 0
; COMPUTE_PGM_RSRC3_GFX90A:ACCUM_OFFSET: 6
; COMPUTE_PGM_RSRC3_GFX90A:TG_SPLIT: 0
	.section	.text._ZN5aiter35fused_qk_rmsnorm_group_quant_kernelIDF16_N4opus5fp4_tELi256ELi8ELi16ELb1ELb0ELb0ELb0ELb0ELb0EEEvPT0_PvPT_S7_S7_PKS6_S9_S9_S9_S9_ffiiiiiiiiiiiii,"axG",@progbits,_ZN5aiter35fused_qk_rmsnorm_group_quant_kernelIDF16_N4opus5fp4_tELi256ELi8ELi16ELb1ELb0ELb0ELb0ELb0ELb0EEEvPT0_PvPT_S7_S7_PKS6_S9_S9_S9_S9_ffiiiiiiiiiiiii,comdat
	.protected	_ZN5aiter35fused_qk_rmsnorm_group_quant_kernelIDF16_N4opus5fp4_tELi256ELi8ELi16ELb1ELb0ELb0ELb0ELb0ELb0EEEvPT0_PvPT_S7_S7_PKS6_S9_S9_S9_S9_ffiiiiiiiiiiiii ; -- Begin function _ZN5aiter35fused_qk_rmsnorm_group_quant_kernelIDF16_N4opus5fp4_tELi256ELi8ELi16ELb1ELb0ELb0ELb0ELb0ELb0EEEvPT0_PvPT_S7_S7_PKS6_S9_S9_S9_S9_ffiiiiiiiiiiiii
	.globl	_ZN5aiter35fused_qk_rmsnorm_group_quant_kernelIDF16_N4opus5fp4_tELi256ELi8ELi16ELb1ELb0ELb0ELb0ELb0ELb0EEEvPT0_PvPT_S7_S7_PKS6_S9_S9_S9_S9_ffiiiiiiiiiiiii
	.p2align	8
	.type	_ZN5aiter35fused_qk_rmsnorm_group_quant_kernelIDF16_N4opus5fp4_tELi256ELi8ELi16ELb1ELb0ELb0ELb0ELb0ELb0EEEvPT0_PvPT_S7_S7_PKS6_S9_S9_S9_S9_ffiiiiiiiiiiiii,@function
_ZN5aiter35fused_qk_rmsnorm_group_quant_kernelIDF16_N4opus5fp4_tELi256ELi8ELi16ELb1ELb0ELb0ELb0ELb0ELb0EEEvPT0_PvPT_S7_S7_PKS6_S9_S9_S9_S9_ffiiiiiiiiiiiii: ; @_ZN5aiter35fused_qk_rmsnorm_group_quant_kernelIDF16_N4opus5fp4_tELi256ELi8ELi16ELb1ELb0ELb0ELb0ELb0ELb0EEEvPT0_PvPT_S7_S7_PKS6_S9_S9_S9_S9_ffiiiiiiiiiiiii
; %bb.0:
	s_load_dwordx8 s[12:19], s[4:5], 0x50
	s_waitcnt lgkmcnt(0)
	s_cmp_ge_i32 s6, s14
	s_cbranch_scc1 .LBB487_17
; %bb.1:
	s_cmp_lg_u32 s7, 0
	s_cselect_b64 s[22:23], -1, 0
	s_cmp_eq_u32 s7, 0
	s_cselect_b64 s[8:9], -1, 0
	s_and_b64 s[0:1], s[8:9], exec
	s_load_dwordx2 s[20:21], s[4:5], 0x48
	s_load_dwordx2 s[34:35], s[4:5], 0x30
	s_load_dwordx4 s[24:27], s[4:5], 0x70
	s_cselect_b32 s7, s15, s16
	s_add_i32 s0, s7, 1
	s_lshr_b32 s1, s0, 31
	s_add_i32 s0, s0, s1
	s_lshl_b32 s0, s0, 1
	v_lshlrev_b32_e32 v1, 3, v0
	s_and_b32 s30, s0, -4
	v_cmp_gt_i32_e64 s[0:1], s7, v1
	v_mov_b32_e32 v2, 0
	v_mov_b32_e32 v3, 0
	;; [unrolled: 1-line block ×8, first 2 shown]
	s_and_saveexec_b64 s[2:3], s[0:1]
	s_cbranch_execz .LBB487_3
; %bb.2:
	s_load_dwordx2 s[10:11], s[4:5], 0x28
	s_load_dwordx2 s[28:29], s[4:5], 0x40
	s_and_b64 s[36:37], s[8:9], exec
	s_cselect_b32 s14, s17, s18
	s_mov_b32 s31, 0x20000
	s_waitcnt lgkmcnt(0)
	s_cselect_b32 s17, s11, s35
	s_cselect_b32 s27, s10, s34
	s_mul_hi_i32 s11, s14, s6
	s_mul_i32 s10, s14, s6
	s_lshl_b64 s[10:11], s[10:11], 1
	s_add_u32 s36, s27, s10
	s_addc_u32 s14, s17, s11
	s_and_b64 s[10:11], s[8:9], exec
	s_cselect_b32 s28, s28, s20
	s_cselect_b32 s10, s29, s21
	v_lshlrev_b32_e32 v10, 4, v0
	s_and_b32 s37, s14, 0xffff
	s_mov_b32 s38, s30
	s_mov_b32 s39, s31
	s_and_b32 s29, s10, 0xffff
	buffer_load_dwordx4 v[6:9], v10, s[36:39], 0 offen glc slc
	buffer_load_dwordx4 v[2:5], v10, s[28:31], 0 offen
.LBB487_3:
	s_or_b64 exec, exec, s[2:3]
	s_load_dwordx2 s[10:11], s[4:5], 0x80
	s_and_b64 vcc, exec, s[22:23]
	s_cbranch_vccz .LBB487_7
; %bb.4:
	v_mov_b32_e32 v11, 0
	v_mov_b32_e32 v10, 0
	;; [unrolled: 1-line block ×8, first 2 shown]
	s_and_saveexec_b64 s[2:3], s[0:1]
	s_cbranch_execz .LBB487_6
; %bb.5:
	s_waitcnt vmcnt(1)
	v_cvt_f32_f16_sdwa v17, v6 dst_sel:DWORD dst_unused:UNUSED_PAD src0_sel:WORD_1
	v_cvt_f32_f16_e32 v16, v6
	v_cvt_f32_f16_sdwa v15, v7 dst_sel:DWORD dst_unused:UNUSED_PAD src0_sel:WORD_1
	v_cvt_f32_f16_e32 v14, v7
	v_cvt_f32_f16_sdwa v13, v8 dst_sel:DWORD dst_unused:UNUSED_PAD src0_sel:WORD_1
	v_cvt_f32_f16_e32 v12, v8
	v_cvt_f32_f16_sdwa v11, v9 dst_sel:DWORD dst_unused:UNUSED_PAD src0_sel:WORD_1
	v_cvt_f32_f16_e32 v10, v9
.LBB487_6:
	s_or_b64 exec, exec, s[2:3]
	s_cbranch_execz .LBB487_8
	s_branch .LBB487_11
.LBB487_7:
                                        ; implicit-def: $vgpr11
                                        ; implicit-def: $vgpr13
                                        ; implicit-def: $vgpr15
                                        ; implicit-def: $vgpr17
.LBB487_8:
	v_mov_b32_e32 v11, 0
	v_mov_b32_e32 v10, 0
	;; [unrolled: 1-line block ×8, first 2 shown]
	s_and_saveexec_b64 s[2:3], s[0:1]
	s_cbranch_execz .LBB487_10
; %bb.9:
	s_load_dwordx2 s[28:29], s[4:5], 0x38
	s_mul_hi_i32 s37, s19, s6
	s_mul_i32 s36, s19, s6
	s_lshl_b64 s[36:37], s[36:37], 1
	s_mov_b32 s31, 0x20000
	s_waitcnt lgkmcnt(0)
	s_add_u32 s28, s28, s36
	s_addc_u32 s14, s29, s37
	s_and_b32 s29, s14, 0xffff
	v_lshlrev_b32_e32 v26, 4, v0
	buffer_load_dwordx4 v[10:13], v26, s[28:31], 0 offen glc slc
	s_waitcnt vmcnt(2)
	v_cvt_f32_f16_sdwa v15, v6 dst_sel:DWORD dst_unused:UNUSED_PAD src0_sel:WORD_1
	v_cvt_f32_f16_e32 v14, v6
	v_cvt_f32_f16_sdwa v19, v7 dst_sel:DWORD dst_unused:UNUSED_PAD src0_sel:WORD_1
	v_cvt_f32_f16_e32 v18, v7
	;; [unrolled: 2-line block ×4, first 2 shown]
	s_load_dwordx2 s[28:29], s[4:5], 0x20
	s_mul_hi_i32 s37, s11, s6
	s_mul_i32 s36, s11, s6
	s_lshl_b64 s[36:37], s[36:37], 1
	s_waitcnt lgkmcnt(0)
	s_add_u32 s28, s28, s36
	s_addc_u32 s11, s29, s37
	s_and_b32 s29, s11, 0xffff
	s_waitcnt vmcnt(0)
	v_cvt_f32_f16_e32 v8, v10
	v_cvt_f32_f16_sdwa v9, v10 dst_sel:DWORD dst_unused:UNUSED_PAD src0_sel:WORD_1
	v_cvt_f32_f16_e32 v10, v11
	v_cvt_f32_f16_sdwa v11, v11 dst_sel:DWORD dst_unused:UNUSED_PAD src0_sel:WORD_1
	;; [unrolled: 2-line block ×4, first 2 shown]
	v_pk_add_f32 v[16:17], v[14:15], v[8:9]
	v_pk_add_f32 v[14:15], v[18:19], v[10:11]
	;; [unrolled: 1-line block ×4, first 2 shown]
	v_cvt_f16_f32_e32 v6, v17
	v_cvt_f16_f32_e32 v7, v15
	;; [unrolled: 1-line block ×8, first 2 shown]
	v_pack_b32_f16 v9, v18, v9
	v_pack_b32_f16 v8, v19, v8
	;; [unrolled: 1-line block ×4, first 2 shown]
	buffer_store_dwordx4 v[6:9], v26, s[28:31], 0 offen glc slc
	;;#ASMSTART
	s_nop 0
	;;#ASMEND
.LBB487_10:
	s_or_b64 exec, exec, s[2:3]
.LBB487_11:
	s_waitcnt vmcnt(1)
	v_mul_f32_e32 v6, v17, v17
	v_fmac_f32_e32 v6, v16, v16
	v_fmac_f32_e32 v6, v14, v14
	;; [unrolled: 1-line block ×7, first 2 shown]
	v_and_b32_e32 v8, 63, v0
	v_cmp_eq_u32_e64 s[2:3], 63, v8
	v_mov_b32_dpp v7, v6 quad_perm:[1,0,3,2] row_mask:0xf bank_mask:0xf
	v_add_f32_e32 v6, v6, v7
	s_nop 1
	v_mov_b32_dpp v7, v6 quad_perm:[2,3,0,1] row_mask:0xf bank_mask:0xf
	v_add_f32_e32 v6, v6, v7
	s_nop 1
	v_mov_b32_dpp v7, v6 row_half_mirror row_mask:0xf bank_mask:0xf
	v_add_f32_e32 v6, v6, v7
	s_nop 1
	v_mov_b32_dpp v7, v6 row_mirror row_mask:0xf bank_mask:0xf
	v_add_f32_e32 v6, v6, v7
	s_nop 1
	v_mov_b32_dpp v7, v6 row_bcast:15 row_mask:0xf bank_mask:0xf
	v_add_f32_e32 v6, v6, v7
	s_nop 1
	v_mov_b32_dpp v7, v6 row_bcast:31 row_mask:0xf bank_mask:0xf
	s_and_saveexec_b64 s[28:29], s[2:3]
	s_cbranch_execz .LBB487_13
; %bb.12:
	v_add_f32_e32 v6, v6, v7
	v_lshrrev_b32_e32 v7, 4, v0
	v_and_b32_e32 v7, 60, v7
	ds_write_b32 v7, v6 offset:16
.LBB487_13:
	s_or_b64 exec, exec, s[28:29]
	v_and_b32_e32 v6, 3, v0
	v_lshlrev_b32_e32 v18, 2, v6
	s_waitcnt lgkmcnt(0)
	s_barrier
	ds_read_b32 v6, v18 offset:16
	s_load_dwordx2 s[36:37], s[4:5], 0x18
	s_waitcnt lgkmcnt(0)
	v_mov_b32_dpp v7, v6 quad_perm:[1,0,3,2] row_mask:0xf bank_mask:0xf
	v_add_f32_e32 v6, v6, v7
	s_nop 1
	v_mov_b32_dpp v7, v6 quad_perm:[2,3,0,1] row_mask:0xf bank_mask:0xf
	s_and_saveexec_b64 s[28:29], s[0:1]
	s_cbranch_execnz .LBB487_18
; %bb.14:
	s_or_b64 exec, exec, s[28:29]
	s_mov_b64 s[8:9], -1
	s_and_b64 vcc, exec, s[22:23]
	s_cbranch_vccnz .LBB487_19
.LBB487_15:
	s_andn2_b64 vcc, exec, s[8:9]
	s_cbranch_vccz .LBB487_22
.LBB487_16:
	s_cmp_lt_i32 s16, 1
	s_cbranch_scc0 .LBB487_29
.LBB487_17:
	s_endpgm
.LBB487_18:
	v_cvt_f32_u32_e32 v8, s7
	v_add_f32_e32 v6, v6, v7
	v_mov_b32_e32 v19, s13
	v_mov_b32_e32 v20, s12
	v_div_scale_f32 v7, s[38:39], v8, v8, v6
	v_rcp_f32_e32 v9, v7
	v_cndmask_b32_e64 v19, v19, v20, s[8:9]
	s_mov_b32 s7, 0x800000
	s_waitcnt vmcnt(0)
	v_cvt_f32_f16_sdwa v23, v5 dst_sel:DWORD dst_unused:UNUSED_PAD src0_sel:WORD_1
	v_fma_f32 v20, -v7, v9, 1.0
	v_fmac_f32_e32 v9, v20, v9
	v_div_scale_f32 v20, vcc, v6, v8, v6
	v_mul_f32_e32 v21, v20, v9
	v_fma_f32 v22, -v7, v21, v20
	v_fmac_f32_e32 v21, v22, v9
	v_fma_f32 v7, -v7, v21, v20
	v_div_fmas_f32 v7, v7, v9, v21
	v_div_fixup_f32 v6, v7, v8, v6
	v_add_f32_e32 v6, v19, v6
	v_mul_f32_e32 v7, 0x4b800000, v6
	v_cmp_gt_f32_e32 vcc, s7, v6
	v_cndmask_b32_e32 v6, v6, v7, vcc
	v_rsq_f32_e32 v6, v6
	v_cvt_f32_f16_sdwa v21, v3 dst_sel:DWORD dst_unused:UNUSED_PAD src0_sel:WORD_1
	v_cvt_f32_f16_e32 v20, v3
	v_cvt_f32_f16_sdwa v3, v4 dst_sel:DWORD dst_unused:UNUSED_PAD src0_sel:WORD_1
	v_mul_f32_e32 v7, 0x45800000, v6
	v_cndmask_b32_e32 v6, v6, v7, vcc
	v_mov_b32_e32 v7, v6
	;;#ASMSTART
	v_pk_mul_f32 v[8:9], v[16:17], v[6:7]
	;;#ASMEND
	;;#ASMSTART
	v_pk_mul_f32 v[14:15], v[14:15], v[6:7]
	;;#ASMEND
	;;#ASMSTART
	v_pk_mul_f32 v[12:13], v[12:13], v[6:7]
	;;#ASMEND
	;;#ASMSTART
	v_pk_mul_f32 v[6:7], v[10:11], v[6:7]
	;;#ASMEND
	v_cvt_f32_f16_sdwa v11, v2 dst_sel:DWORD dst_unused:UNUSED_PAD src0_sel:WORD_1
	v_cvt_f32_f16_e32 v10, v2
	v_cvt_f32_f16_e32 v2, v4
	;; [unrolled: 1-line block ×3, first 2 shown]
	;;#ASMSTART
	v_pk_mul_f32 v[16:17], v[8:9], v[10:11]
	;;#ASMEND
	;;#ASMSTART
	v_pk_mul_f32 v[14:15], v[14:15], v[20:21]
	;;#ASMEND
	;; [unrolled: 3-line block ×4, first 2 shown]
	s_or_b64 exec, exec, s[28:29]
	s_mov_b64 s[8:9], -1
	s_and_b64 vcc, exec, s[22:23]
	s_cbranch_vccz .LBB487_15
.LBB487_19:
	s_and_saveexec_b64 s[8:9], s[0:1]
	s_cbranch_execz .LBB487_21
; %bb.20:
	s_mul_hi_i32 s23, s10, s6
	s_mul_i32 s22, s10, s6
	s_waitcnt vmcnt(0)
	v_cvt_f16_f32_e32 v2, v16
	v_cvt_f16_f32_e32 v3, v14
	;; [unrolled: 1-line block ×8, first 2 shown]
	s_lshl_b64 s[22:23], s[22:23], 1
	s_add_u32 s28, s36, s22
	s_addc_u32 s7, s37, s23
	s_and_b32 s29, s7, 0xffff
	s_mov_b32 s31, 0x20000
	v_pack_b32_f16 v5, v5, v6
	v_pack_b32_f16 v4, v4, v7
	;; [unrolled: 1-line block ×4, first 2 shown]
	v_lshlrev_b32_e32 v6, 4, v0
	buffer_store_dwordx4 v[2:5], v6, s[28:31], 0 offen
	;;#ASMSTART
	s_nop 0
	;;#ASMEND
.LBB487_21:
	s_or_b64 exec, exec, s[8:9]
	s_cbranch_execnz .LBB487_16
.LBB487_22:
	s_waitcnt vmcnt(0)
	v_mov_b32_e32 v2, 0
	s_and_saveexec_b64 s[8:9], s[0:1]
	s_cbranch_execz .LBB487_24
; %bb.23:
	v_and_b32_e32 v2, 0x7fffffff, v16
	v_and_b32_e32 v3, 0x7fffffff, v17
	v_mov_b32_e32 v4, 0x2edbe6ff
	;;#ASMSTART
	v_max3_f32 v2, v4, v2, v3

	;;#ASMEND
	v_and_b32_e32 v3, 0x7fffffff, v14
	v_and_b32_e32 v4, 0x7fffffff, v15
	;;#ASMSTART
	v_max3_f32 v2, v2, v3, v4

	;;#ASMEND
	v_and_b32_e32 v3, 0x7fffffff, v12
	v_and_b32_e32 v4, 0x7fffffff, v13
	;; [unrolled: 6-line block ×3, first 2 shown]
	;;#ASMSTART
	v_max3_f32 v2, v2, v3, v4

	;;#ASMEND
.LBB487_24:
	s_or_b64 exec, exec, s[8:9]
	;;#ASMSTART
	v_max_f32 v3, v2, v2 quad_perm:[1,0,3,2] row_mask:0xf bank_mask:0xf bound_ctrl:1
	;;#ASMEND
	;;#ASMSTART
	v_max_f32 v2, v3, v3 quad_perm:[2,3,0,1] row_mask:0xf bank_mask:0xf bound_ctrl:1
	;;#ASMEND
	;;#ASMSTART
	v_max_f32 v3, v2, v2 row_half_mirror row_mask:0xf bank_mask:0xf bound_ctrl:1
	;;#ASMEND
	;;#ASMSTART
	v_max_f32 v2, v3, v3 row_mirror row_mask:0xf bank_mask:0xf bound_ctrl:1
	;;#ASMEND
	v_and_b32_e32 v3, 15, v0
	v_cmp_eq_u32_e32 vcc, 0, v3
	v_cmp_gt_i32_e64 s[8:9], s15, v1
	s_and_b64 s[22:23], vcc, s[8:9]
	s_and_saveexec_b64 s[8:9], s[22:23]
	s_cbranch_execz .LBB487_26
; %bb.25:
	s_load_dwordx2 s[22:23], s[4:5], 0x8
	v_mul_f32_e32 v2, 0x3e2aaaab, v2
	v_lshrrev_b32_e32 v3, 23, v2
	v_and_b32_e32 v4, 0x7f800000, v2
	v_and_b32_e32 v2, 0x7fffff, v2
	v_cmp_ne_u32_e32 vcc, 0, v2
	s_mul_i32 s12, s25, s6
	s_mov_b32 s7, 0x7f800000
	v_addc_co_u32_e32 v2, vcc, 0, v3, vcc
	s_mul_hi_i32 s11, s25, s6
	s_waitcnt lgkmcnt(0)
	s_add_u32 s22, s22, s12
	v_cmp_ne_u32_e32 vcc, s7, v4
	s_addc_u32 s23, s23, s11
	v_lshrrev_b32_e32 v5, 4, v0
	v_cndmask_b32_e32 v4, -1, v2, vcc
	v_pk_mov_b32 v[2:3], s[22:23], s[22:23] op_sel:[0,1]
	v_mad_i64_i32 v[2:3], s[22:23], s26, v5, v[2:3]
	global_store_byte v[2:3], v4, off
.LBB487_26:
	s_or_b64 exec, exec, s[8:9]
	s_and_saveexec_b64 s[8:9], s[0:1]
	s_cbranch_execz .LBB487_28
; %bb.27:
	s_load_dwordx2 s[0:1], s[4:5], 0x0
	s_mul_i32 s11, s24, s6
	s_mul_hi_i32 s7, s24, s6
	v_lshlrev_b32_e32 v2, 2, v0
	s_mov_b32 s27, 0x20000
	s_waitcnt lgkmcnt(0)
	s_add_u32 s24, s0, s11
	s_addc_u32 s0, s1, s7
	s_lshr_b32 s1, s15, 31
	s_add_i32 s1, s15, s1
	s_ashr_i32 s1, s1, 1
	s_add_i32 s1, s1, 3
	s_ashr_i32 s7, s1, 31
	s_lshr_b32 s7, s7, 30
	s_add_i32 s1, s1, s7
	s_and_b32 s26, s1, -4
	s_and_b32 s25, s0, 0xffff
	v_mov_b32_e32 v3, 0
	buffer_store_dword v3, v2, s[24:27], 0 offen
	;;#ASMSTART
	s_nop 0
	;;#ASMEND
.LBB487_28:
	s_or_b64 exec, exec, s[8:9]
	s_cmp_lt_i32 s16, 1
	s_cbranch_scc1 .LBB487_17
.LBB487_29:
	s_load_dword s0, s[4:5], 0x94
	s_waitcnt lgkmcnt(0)
	s_cmp_lg_u32 s0, 1
	s_cbranch_scc1 .LBB487_17
; %bb.30:
	s_lshl_b32 s0, s16, 1
	s_add_i32 s0, s0, 2
	v_cmp_gt_u32_e32 vcc, s16, v1
	s_and_b32 s22, s0, -4
	v_mov_b32_e32 v10, 0
	v_lshlrev_b32_e32 v1, 4, v0
	v_mov_b32_e32 v6, 0
	v_mov_b32_e32 v7, 0
	;; [unrolled: 1-line block ×4, first 2 shown]
	s_waitcnt vmcnt(0)
	v_mov_b32_e32 v2, 0
	v_mov_b32_e32 v3, 0
	;; [unrolled: 1-line block ×4, first 2 shown]
	s_barrier
	s_and_saveexec_b64 s[0:1], vcc
	s_cbranch_execz .LBB487_32
; %bb.31:
	s_mul_hi_i32 s5, s18, s6
	s_mul_i32 s4, s18, s6
	s_and_b32 s21, s21, 0xffff
	s_lshl_b64 s[4:5], s[4:5], 1
	s_add_u32 s24, s34, s4
	s_mov_b32 s23, 0x20000
	s_addc_u32 s4, s35, s5
	s_and_b32 s25, s4, 0xffff
	s_mov_b32 s26, s22
	s_mov_b32 s27, s23
	buffer_load_dwordx4 v[6:9], v1, s[24:27], 0 offen glc slc
	buffer_load_dwordx4 v[2:5], v1, s[20:23], 0 offen
.LBB487_32:
	s_or_b64 exec, exec, s[0:1]
	v_mov_b32_e32 v11, 0
	v_mov_b32_e32 v16, 0
	;; [unrolled: 1-line block ×7, first 2 shown]
	s_and_saveexec_b64 s[0:1], vcc
	s_cbranch_execz .LBB487_34
; %bb.33:
	s_waitcnt vmcnt(1)
	v_cvt_f32_f16_sdwa v11, v6 dst_sel:DWORD dst_unused:UNUSED_PAD src0_sel:WORD_1
	v_cvt_f32_f16_e32 v10, v6
	v_cvt_f32_f16_sdwa v17, v7 dst_sel:DWORD dst_unused:UNUSED_PAD src0_sel:WORD_1
	v_cvt_f32_f16_e32 v16, v7
	;; [unrolled: 2-line block ×4, first 2 shown]
.LBB487_34:
	s_or_b64 exec, exec, s[0:1]
	s_waitcnt vmcnt(1)
	v_mul_f32_e32 v6, v11, v11
	v_fmac_f32_e32 v6, v10, v10
	v_fmac_f32_e32 v6, v16, v16
	;; [unrolled: 1-line block ×7, first 2 shown]
	s_nop 1
	v_mov_b32_dpp v7, v6 quad_perm:[1,0,3,2] row_mask:0xf bank_mask:0xf
	v_add_f32_e32 v6, v6, v7
	s_nop 1
	v_mov_b32_dpp v7, v6 quad_perm:[2,3,0,1] row_mask:0xf bank_mask:0xf
	v_add_f32_e32 v6, v6, v7
	s_nop 1
	v_mov_b32_dpp v7, v6 row_half_mirror row_mask:0xf bank_mask:0xf
	v_add_f32_e32 v6, v6, v7
	s_nop 1
	v_mov_b32_dpp v7, v6 row_mirror row_mask:0xf bank_mask:0xf
	v_add_f32_e32 v6, v6, v7
	s_nop 1
	v_mov_b32_dpp v7, v6 row_bcast:15 row_mask:0xf bank_mask:0xf
	v_add_f32_e32 v6, v6, v7
	s_nop 1
	v_mov_b32_dpp v7, v6 row_bcast:31 row_mask:0xf bank_mask:0xf
	s_and_saveexec_b64 s[0:1], s[2:3]
	s_cbranch_execz .LBB487_36
; %bb.35:
	v_lshrrev_b32_e32 v0, 4, v0
	v_add_f32_e32 v6, v6, v7
	v_and_b32_e32 v0, 60, v0
	ds_write_b32 v0, v6
.LBB487_36:
	s_or_b64 exec, exec, s[0:1]
	s_waitcnt lgkmcnt(0)
	s_barrier
	ds_read_b32 v0, v18
	s_waitcnt lgkmcnt(0)
	s_nop 0
	v_mov_b32_dpp v6, v0 quad_perm:[1,0,3,2] row_mask:0xf bank_mask:0xf
	v_add_f32_e32 v0, v0, v6
	s_nop 1
	v_mov_b32_dpp v6, v0 quad_perm:[2,3,0,1] row_mask:0xf bank_mask:0xf
	s_and_saveexec_b64 s[0:1], vcc
	s_cbranch_execz .LBB487_17
; %bb.37:
	v_cvt_f32_u32_e32 v7, s16
	v_add_f32_e32 v0, v0, v6
	s_mov_b32 s23, 0x20000
	v_div_scale_f32 v6, s[0:1], v7, v7, v0
	v_rcp_f32_e32 v8, v6
	v_div_scale_f32 v9, vcc, v0, v7, v0
	s_mov_b32 s0, 0x800000
	v_fma_f32 v18, -v6, v8, 1.0
	v_fmac_f32_e32 v8, v18, v8
	v_mul_f32_e32 v18, v9, v8
	v_fma_f32 v19, -v6, v18, v9
	v_fmac_f32_e32 v18, v19, v8
	v_fma_f32 v6, -v6, v18, v9
	v_div_fmas_f32 v6, v6, v8, v18
	v_div_fixup_f32 v0, v6, v7, v0
	v_add_f32_e32 v0, s13, v0
	v_mul_f32_e32 v6, 0x4b800000, v0
	v_cmp_gt_f32_e32 vcc, s0, v0
	v_cndmask_b32_e32 v0, v0, v6, vcc
	v_rsq_f32_e32 v0, v0
	s_waitcnt vmcnt(0)
	v_cvt_f32_f16_sdwa v19, v5 dst_sel:DWORD dst_unused:UNUSED_PAD src0_sel:WORD_1
	v_cvt_f32_f16_e32 v18, v5
	s_mul_hi_i32 s1, s10, s6
	v_mul_f32_e32 v6, 0x45800000, v0
	v_cndmask_b32_e32 v6, v0, v6, vcc
	v_mov_b32_e32 v7, v6
	;;#ASMSTART
	v_pk_mul_f32 v[8:9], v[10:11], v[6:7]
	;;#ASMEND
	;;#ASMSTART
	v_pk_mul_f32 v[10:11], v[16:17], v[6:7]
	;;#ASMEND
	;;#ASMSTART
	v_pk_mul_f32 v[14:15], v[14:15], v[6:7]
	;;#ASMEND
	;;#ASMSTART
	v_pk_mul_f32 v[6:7], v[12:13], v[6:7]
	;;#ASMEND
	v_cvt_f32_f16_sdwa v13, v2 dst_sel:DWORD dst_unused:UNUSED_PAD src0_sel:WORD_1
	v_cvt_f32_f16_e32 v12, v2
	v_cvt_f32_f16_sdwa v17, v3 dst_sel:DWORD dst_unused:UNUSED_PAD src0_sel:WORD_1
	v_cvt_f32_f16_e32 v16, v3
	;; [unrolled: 2-line block ×3, first 2 shown]
	;;#ASMSTART
	v_pk_mul_f32 v[4:5], v[8:9], v[12:13]
	;;#ASMEND
	;;#ASMSTART
	v_pk_mul_f32 v[8:9], v[10:11], v[16:17]
	;;#ASMEND
	;; [unrolled: 3-line block ×4, first 2 shown]
	s_mul_i32 s0, s10, s6
	v_cvt_f16_f32_e32 v0, v4
	v_cvt_f16_f32_e32 v4, v5
	;; [unrolled: 1-line block ×8, first 2 shown]
	s_lshl_b64 s[0:1], s[0:1], 1
	s_add_u32 s20, s36, s0
	s_addc_u32 s0, s37, s1
	s_and_b32 s21, s0, 0xffff
	v_pack_b32_f16 v2, v0, v4
	v_pack_b32_f16 v3, v5, v8
	;; [unrolled: 1-line block ×4, first 2 shown]
	buffer_store_dwordx4 v[2:5], v1, s[20:23], 0 offen
	;;#ASMSTART
	s_nop 0
	;;#ASMEND
	s_endpgm
	.section	.rodata,"a",@progbits
	.p2align	6, 0x0
	.amdhsa_kernel _ZN5aiter35fused_qk_rmsnorm_group_quant_kernelIDF16_N4opus5fp4_tELi256ELi8ELi16ELb1ELb0ELb0ELb0ELb0ELb0EEEvPT0_PvPT_S7_S7_PKS6_S9_S9_S9_S9_ffiiiiiiiiiiiii
		.amdhsa_group_segment_fixed_size 32
		.amdhsa_private_segment_fixed_size 0
		.amdhsa_kernarg_size 400
		.amdhsa_user_sgpr_count 6
		.amdhsa_user_sgpr_private_segment_buffer 1
		.amdhsa_user_sgpr_dispatch_ptr 0
		.amdhsa_user_sgpr_queue_ptr 0
		.amdhsa_user_sgpr_kernarg_segment_ptr 1
		.amdhsa_user_sgpr_dispatch_id 0
		.amdhsa_user_sgpr_flat_scratch_init 0
		.amdhsa_user_sgpr_kernarg_preload_length 0
		.amdhsa_user_sgpr_kernarg_preload_offset 0
		.amdhsa_user_sgpr_private_segment_size 0
		.amdhsa_uses_dynamic_stack 0
		.amdhsa_system_sgpr_private_segment_wavefront_offset 0
		.amdhsa_system_sgpr_workgroup_id_x 1
		.amdhsa_system_sgpr_workgroup_id_y 1
		.amdhsa_system_sgpr_workgroup_id_z 0
		.amdhsa_system_sgpr_workgroup_info 0
		.amdhsa_system_vgpr_workitem_id 0
		.amdhsa_next_free_vgpr 27
		.amdhsa_next_free_sgpr 40
		.amdhsa_accum_offset 28
		.amdhsa_reserve_vcc 1
		.amdhsa_reserve_flat_scratch 0
		.amdhsa_float_round_mode_32 0
		.amdhsa_float_round_mode_16_64 0
		.amdhsa_float_denorm_mode_32 3
		.amdhsa_float_denorm_mode_16_64 3
		.amdhsa_dx10_clamp 1
		.amdhsa_ieee_mode 1
		.amdhsa_fp16_overflow 0
		.amdhsa_tg_split 0
		.amdhsa_exception_fp_ieee_invalid_op 0
		.amdhsa_exception_fp_denorm_src 0
		.amdhsa_exception_fp_ieee_div_zero 0
		.amdhsa_exception_fp_ieee_overflow 0
		.amdhsa_exception_fp_ieee_underflow 0
		.amdhsa_exception_fp_ieee_inexact 0
		.amdhsa_exception_int_div_zero 0
	.end_amdhsa_kernel
	.section	.text._ZN5aiter35fused_qk_rmsnorm_group_quant_kernelIDF16_N4opus5fp4_tELi256ELi8ELi16ELb1ELb0ELb0ELb0ELb0ELb0EEEvPT0_PvPT_S7_S7_PKS6_S9_S9_S9_S9_ffiiiiiiiiiiiii,"axG",@progbits,_ZN5aiter35fused_qk_rmsnorm_group_quant_kernelIDF16_N4opus5fp4_tELi256ELi8ELi16ELb1ELb0ELb0ELb0ELb0ELb0EEEvPT0_PvPT_S7_S7_PKS6_S9_S9_S9_S9_ffiiiiiiiiiiiii,comdat
.Lfunc_end487:
	.size	_ZN5aiter35fused_qk_rmsnorm_group_quant_kernelIDF16_N4opus5fp4_tELi256ELi8ELi16ELb1ELb0ELb0ELb0ELb0ELb0EEEvPT0_PvPT_S7_S7_PKS6_S9_S9_S9_S9_ffiiiiiiiiiiiii, .Lfunc_end487-_ZN5aiter35fused_qk_rmsnorm_group_quant_kernelIDF16_N4opus5fp4_tELi256ELi8ELi16ELb1ELb0ELb0ELb0ELb0ELb0EEEvPT0_PvPT_S7_S7_PKS6_S9_S9_S9_S9_ffiiiiiiiiiiiii
                                        ; -- End function
	.section	.AMDGPU.csdata,"",@progbits
; Kernel info:
; codeLenInByte = 2684
; NumSgprs: 44
; NumVgprs: 27
; NumAgprs: 0
; TotalNumVgprs: 27
; ScratchSize: 0
; MemoryBound: 0
; FloatMode: 240
; IeeeMode: 1
; LDSByteSize: 32 bytes/workgroup (compile time only)
; SGPRBlocks: 5
; VGPRBlocks: 3
; NumSGPRsForWavesPerEU: 44
; NumVGPRsForWavesPerEU: 27
; AccumOffset: 28
; Occupancy: 8
; WaveLimiterHint : 0
; COMPUTE_PGM_RSRC2:SCRATCH_EN: 0
; COMPUTE_PGM_RSRC2:USER_SGPR: 6
; COMPUTE_PGM_RSRC2:TRAP_HANDLER: 0
; COMPUTE_PGM_RSRC2:TGID_X_EN: 1
; COMPUTE_PGM_RSRC2:TGID_Y_EN: 1
; COMPUTE_PGM_RSRC2:TGID_Z_EN: 0
; COMPUTE_PGM_RSRC2:TIDIG_COMP_CNT: 0
; COMPUTE_PGM_RSRC3_GFX90A:ACCUM_OFFSET: 6
; COMPUTE_PGM_RSRC3_GFX90A:TG_SPLIT: 0
	.section	.text._ZN5aiter35fused_qk_rmsnorm_group_quant_kernelItN4opus5fp4_tELi256ELi8ELi16ELb1ELb0ELb0ELb0ELb0ELb0EEEvPT0_PvPT_S7_S7_PKS6_S9_S9_S9_S9_ffiiiiiiiiiiiii,"axG",@progbits,_ZN5aiter35fused_qk_rmsnorm_group_quant_kernelItN4opus5fp4_tELi256ELi8ELi16ELb1ELb0ELb0ELb0ELb0ELb0EEEvPT0_PvPT_S7_S7_PKS6_S9_S9_S9_S9_ffiiiiiiiiiiiii,comdat
	.protected	_ZN5aiter35fused_qk_rmsnorm_group_quant_kernelItN4opus5fp4_tELi256ELi8ELi16ELb1ELb0ELb0ELb0ELb0ELb0EEEvPT0_PvPT_S7_S7_PKS6_S9_S9_S9_S9_ffiiiiiiiiiiiii ; -- Begin function _ZN5aiter35fused_qk_rmsnorm_group_quant_kernelItN4opus5fp4_tELi256ELi8ELi16ELb1ELb0ELb0ELb0ELb0ELb0EEEvPT0_PvPT_S7_S7_PKS6_S9_S9_S9_S9_ffiiiiiiiiiiiii
	.globl	_ZN5aiter35fused_qk_rmsnorm_group_quant_kernelItN4opus5fp4_tELi256ELi8ELi16ELb1ELb0ELb0ELb0ELb0ELb0EEEvPT0_PvPT_S7_S7_PKS6_S9_S9_S9_S9_ffiiiiiiiiiiiii
	.p2align	8
	.type	_ZN5aiter35fused_qk_rmsnorm_group_quant_kernelItN4opus5fp4_tELi256ELi8ELi16ELb1ELb0ELb0ELb0ELb0ELb0EEEvPT0_PvPT_S7_S7_PKS6_S9_S9_S9_S9_ffiiiiiiiiiiiii,@function
_ZN5aiter35fused_qk_rmsnorm_group_quant_kernelItN4opus5fp4_tELi256ELi8ELi16ELb1ELb0ELb0ELb0ELb0ELb0EEEvPT0_PvPT_S7_S7_PKS6_S9_S9_S9_S9_ffiiiiiiiiiiiii: ; @_ZN5aiter35fused_qk_rmsnorm_group_quant_kernelItN4opus5fp4_tELi256ELi8ELi16ELb1ELb0ELb0ELb0ELb0ELb0EEEvPT0_PvPT_S7_S7_PKS6_S9_S9_S9_S9_ffiiiiiiiiiiiii
; %bb.0:
	s_load_dwordx8 s[12:19], s[4:5], 0x50
	s_waitcnt lgkmcnt(0)
	s_cmp_ge_i32 s6, s14
	s_cbranch_scc1 .LBB488_17
; %bb.1:
	s_cmp_lg_u32 s7, 0
	s_cselect_b64 s[22:23], -1, 0
	s_cmp_eq_u32 s7, 0
	s_cselect_b64 s[8:9], -1, 0
	s_and_b64 s[0:1], s[8:9], exec
	s_load_dwordx2 s[20:21], s[4:5], 0x48
	s_load_dwordx2 s[34:35], s[4:5], 0x30
	s_load_dwordx4 s[24:27], s[4:5], 0x70
	s_cselect_b32 s7, s15, s16
	s_add_i32 s0, s7, 1
	s_lshr_b32 s1, s0, 31
	s_add_i32 s0, s0, s1
	s_lshl_b32 s0, s0, 1
	v_lshlrev_b32_e32 v1, 3, v0
	s_and_b32 s30, s0, -4
	v_cmp_gt_i32_e64 s[0:1], s7, v1
	v_mov_b32_e32 v10, 0
	v_mov_b32_e32 v11, 0
	;; [unrolled: 1-line block ×8, first 2 shown]
	s_and_saveexec_b64 s[2:3], s[0:1]
	s_cbranch_execz .LBB488_3
; %bb.2:
	s_load_dwordx2 s[10:11], s[4:5], 0x28
	s_load_dwordx2 s[28:29], s[4:5], 0x40
	s_and_b64 s[36:37], s[8:9], exec
	s_cselect_b32 s14, s17, s18
	s_mov_b32 s31, 0x20000
	s_waitcnt lgkmcnt(0)
	s_cselect_b32 s17, s11, s35
	s_cselect_b32 s27, s10, s34
	s_mul_hi_i32 s11, s14, s6
	s_mul_i32 s10, s14, s6
	s_lshl_b64 s[10:11], s[10:11], 1
	s_add_u32 s36, s27, s10
	s_addc_u32 s14, s17, s11
	s_and_b64 s[10:11], s[8:9], exec
	s_cselect_b32 s28, s28, s20
	s_cselect_b32 s10, s29, s21
	v_lshlrev_b32_e32 v2, 4, v0
	s_and_b32 s37, s14, 0xffff
	s_mov_b32 s38, s30
	s_mov_b32 s39, s31
	s_and_b32 s29, s10, 0xffff
	buffer_load_dwordx4 v[14:17], v2, s[36:39], 0 offen glc slc
	buffer_load_dwordx4 v[10:13], v2, s[28:31], 0 offen
.LBB488_3:
	s_or_b64 exec, exec, s[2:3]
	s_load_dwordx2 s[10:11], s[4:5], 0x80
	s_and_b64 vcc, exec, s[22:23]
	s_cbranch_vccz .LBB488_7
; %bb.4:
	s_mov_b32 s36, 0
	s_mov_b32 s37, s36
	;; [unrolled: 1-line block ×8, first 2 shown]
	v_pk_mov_b32 v[2:3], s[36:37], s[36:37] op_sel:[0,1]
	v_pk_mov_b32 v[4:5], s[38:39], s[38:39] op_sel:[0,1]
	;; [unrolled: 1-line block ×4, first 2 shown]
	s_and_saveexec_b64 s[2:3], s[0:1]
	s_cbranch_execz .LBB488_6
; %bb.5:
	s_waitcnt vmcnt(1)
	v_cvt_f32_u32_sdwa v3, v14 dst_sel:DWORD dst_unused:UNUSED_PAD src0_sel:WORD_1
	v_cvt_f32_u32_sdwa v2, v14 dst_sel:DWORD dst_unused:UNUSED_PAD src0_sel:WORD_0
	v_cvt_f32_u32_sdwa v5, v15 dst_sel:DWORD dst_unused:UNUSED_PAD src0_sel:WORD_1
	v_cvt_f32_u32_sdwa v4, v15 dst_sel:DWORD dst_unused:UNUSED_PAD src0_sel:WORD_0
	;; [unrolled: 2-line block ×4, first 2 shown]
.LBB488_6:
	s_or_b64 exec, exec, s[2:3]
	s_cbranch_execz .LBB488_8
	s_branch .LBB488_11
.LBB488_7:
                                        ; implicit-def: $vgpr2_vgpr3_vgpr4_vgpr5_vgpr6_vgpr7_vgpr8_vgpr9
.LBB488_8:
	s_mov_b32 s36, 0
	s_mov_b32 s37, s36
	;; [unrolled: 1-line block ×8, first 2 shown]
	v_pk_mov_b32 v[2:3], s[36:37], s[36:37] op_sel:[0,1]
	v_pk_mov_b32 v[4:5], s[38:39], s[38:39] op_sel:[0,1]
	;; [unrolled: 1-line block ×4, first 2 shown]
	s_and_saveexec_b64 s[2:3], s[0:1]
	s_cbranch_execz .LBB488_10
; %bb.9:
	s_load_dwordx2 s[28:29], s[4:5], 0x38
	s_mul_hi_i32 s37, s19, s6
	s_mul_i32 s36, s19, s6
	s_lshl_b64 s[36:37], s[36:37], 1
	s_mov_b32 s31, 0x20000
	s_waitcnt lgkmcnt(0)
	s_add_u32 s28, s28, s36
	s_addc_u32 s14, s29, s37
	s_and_b32 s29, s14, 0xffff
	v_lshlrev_b32_e32 v26, 4, v0
	buffer_load_dwordx4 v[2:5], v26, s[28:31], 0 offen glc slc
	s_load_dwordx2 s[28:29], s[4:5], 0x20
	s_waitcnt vmcnt(2)
	v_cvt_f32_u32_sdwa v7, v14 dst_sel:DWORD dst_unused:UNUSED_PAD src0_sel:WORD_1
	v_cvt_f32_u32_sdwa v6, v14 dst_sel:DWORD dst_unused:UNUSED_PAD src0_sel:WORD_0
	v_cvt_f32_u32_sdwa v9, v15 dst_sel:DWORD dst_unused:UNUSED_PAD src0_sel:WORD_1
	v_cvt_f32_u32_sdwa v8, v15 dst_sel:DWORD dst_unused:UNUSED_PAD src0_sel:WORD_0
	;; [unrolled: 2-line block ×4, first 2 shown]
	s_mul_hi_i32 s37, s11, s6
	s_mul_i32 s36, s11, s6
	s_lshl_b64 s[36:37], s[36:37], 1
	s_waitcnt lgkmcnt(0)
	s_add_u32 s28, s28, s36
	s_mov_b32 s11, 0x7060302
	s_addc_u32 s14, s29, s37
	s_and_b32 s29, s14, 0xffff
	s_waitcnt vmcnt(0)
	v_cvt_f32_u32_sdwa v17, v2 dst_sel:DWORD dst_unused:UNUSED_PAD src0_sel:WORD_1
	v_cvt_f32_u32_sdwa v16, v2 dst_sel:DWORD dst_unused:UNUSED_PAD src0_sel:WORD_0
	v_cvt_f32_u32_sdwa v21, v3 dst_sel:DWORD dst_unused:UNUSED_PAD src0_sel:WORD_1
	v_cvt_f32_u32_sdwa v20, v3 dst_sel:DWORD dst_unused:UNUSED_PAD src0_sel:WORD_0
	;; [unrolled: 2-line block ×4, first 2 shown]
	v_pk_add_f32 v[2:3], v[6:7], v[16:17]
	v_pk_add_f32 v[4:5], v[8:9], v[20:21]
	;; [unrolled: 1-line block ×4, first 2 shown]
	v_perm_b32 v17, v9, v8, s11
	v_perm_b32 v16, v7, v6, s11
	;; [unrolled: 1-line block ×4, first 2 shown]
	buffer_store_dwordx4 v[14:17], v26, s[28:31], 0 offen glc slc
	;;#ASMSTART
	s_nop 0
	;;#ASMEND
.LBB488_10:
	s_or_b64 exec, exec, s[2:3]
.LBB488_11:
	s_waitcnt vmcnt(1)
	v_mul_f32_e32 v14, v3, v3
	v_fmac_f32_e32 v14, v2, v2
	v_fmac_f32_e32 v14, v4, v4
	;; [unrolled: 1-line block ×7, first 2 shown]
	v_and_b32_e32 v16, 63, v0
	v_cmp_eq_u32_e64 s[2:3], 63, v16
	v_mov_b32_dpp v15, v14 quad_perm:[1,0,3,2] row_mask:0xf bank_mask:0xf
	v_add_f32_e32 v14, v14, v15
	s_nop 1
	v_mov_b32_dpp v15, v14 quad_perm:[2,3,0,1] row_mask:0xf bank_mask:0xf
	v_add_f32_e32 v14, v14, v15
	s_nop 1
	v_mov_b32_dpp v15, v14 row_half_mirror row_mask:0xf bank_mask:0xf
	v_add_f32_e32 v14, v14, v15
	s_nop 1
	v_mov_b32_dpp v15, v14 row_mirror row_mask:0xf bank_mask:0xf
	v_add_f32_e32 v14, v14, v15
	s_nop 1
	v_mov_b32_dpp v15, v14 row_bcast:15 row_mask:0xf bank_mask:0xf
	v_add_f32_e32 v14, v14, v15
	s_nop 1
	v_mov_b32_dpp v15, v14 row_bcast:31 row_mask:0xf bank_mask:0xf
	s_and_saveexec_b64 s[28:29], s[2:3]
	s_cbranch_execz .LBB488_13
; %bb.12:
	v_add_f32_e32 v14, v14, v15
	v_lshrrev_b32_e32 v15, 4, v0
	v_and_b32_e32 v15, 60, v15
	ds_write_b32 v15, v14 offset:16
.LBB488_13:
	s_or_b64 exec, exec, s[28:29]
	v_and_b32_e32 v14, 3, v0
	v_lshlrev_b32_e32 v14, 2, v14
	s_waitcnt lgkmcnt(0)
	s_barrier
	ds_read_b32 v15, v14 offset:16
	s_load_dwordx2 s[36:37], s[4:5], 0x18
	s_waitcnt lgkmcnt(0)
	v_mov_b32_dpp v16, v15 quad_perm:[1,0,3,2] row_mask:0xf bank_mask:0xf
	v_add_f32_e32 v15, v15, v16
	s_nop 1
	v_mov_b32_dpp v16, v15 quad_perm:[2,3,0,1] row_mask:0xf bank_mask:0xf
	s_and_saveexec_b64 s[28:29], s[0:1]
	s_cbranch_execnz .LBB488_18
; %bb.14:
	s_or_b64 exec, exec, s[28:29]
	s_mov_b64 s[8:9], -1
	s_and_b64 vcc, exec, s[22:23]
	s_cbranch_vccnz .LBB488_19
.LBB488_15:
	s_andn2_b64 vcc, exec, s[8:9]
	s_cbranch_vccz .LBB488_22
.LBB488_16:
	s_cmp_lt_i32 s16, 1
	s_cbranch_scc0 .LBB488_29
.LBB488_17:
	s_endpgm
.LBB488_18:
	v_cvt_f32_u32_e32 v17, s7
	v_add_f32_e32 v15, v15, v16
	v_mov_b32_e32 v19, s13
	v_mov_b32_e32 v20, s12
	v_div_scale_f32 v16, s[38:39], v17, v17, v15
	v_rcp_f32_e32 v18, v16
	v_cndmask_b32_e64 v19, v19, v20, s[8:9]
	s_mov_b32 s7, 0x800000
	v_fma_f32 v20, -v16, v18, 1.0
	v_fmac_f32_e32 v18, v20, v18
	v_div_scale_f32 v20, vcc, v15, v17, v15
	v_mul_f32_e32 v21, v20, v18
	v_fma_f32 v22, -v16, v21, v20
	v_fmac_f32_e32 v21, v22, v18
	v_fma_f32 v16, -v16, v21, v20
	v_div_fmas_f32 v16, v16, v18, v21
	v_div_fixup_f32 v15, v16, v17, v15
	v_add_f32_e32 v15, v19, v15
	v_mul_f32_e32 v16, 0x4b800000, v15
	v_cmp_gt_f32_e32 vcc, s7, v15
	v_cndmask_b32_e32 v15, v15, v16, vcc
	v_rsq_f32_e32 v15, v15
	s_waitcnt vmcnt(0)
	v_cvt_f32_u32_sdwa v19, v11 dst_sel:DWORD dst_unused:UNUSED_PAD src0_sel:WORD_1
	v_cvt_f32_u32_sdwa v18, v11 dst_sel:DWORD dst_unused:UNUSED_PAD src0_sel:WORD_0
	v_cvt_f32_u32_sdwa v11, v12 dst_sel:DWORD dst_unused:UNUSED_PAD src0_sel:WORD_1
	v_mul_f32_e32 v16, 0x45800000, v15
	v_cndmask_b32_e32 v16, v15, v16, vcc
	v_mov_b32_e32 v17, v16
	;;#ASMSTART
	v_pk_mul_f32 v[2:3], v[2:3], v[16:17]
	;;#ASMEND
	;;#ASMSTART
	v_pk_mul_f32 v[4:5], v[4:5], v[16:17]
	;;#ASMEND
	;; [unrolled: 3-line block ×4, first 2 shown]
	v_cvt_f32_u32_sdwa v17, v10 dst_sel:DWORD dst_unused:UNUSED_PAD src0_sel:WORD_1
	v_cvt_f32_u32_sdwa v16, v10 dst_sel:DWORD dst_unused:UNUSED_PAD src0_sel:WORD_0
	v_cvt_f32_u32_sdwa v10, v12 dst_sel:DWORD dst_unused:UNUSED_PAD src0_sel:WORD_0
	v_cvt_f32_u32_sdwa v21, v13 dst_sel:DWORD dst_unused:UNUSED_PAD src0_sel:WORD_1
	v_cvt_f32_u32_sdwa v20, v13 dst_sel:DWORD dst_unused:UNUSED_PAD src0_sel:WORD_0
	;;#ASMSTART
	v_pk_mul_f32 v[2:3], v[2:3], v[16:17]
	;;#ASMEND
	;;#ASMSTART
	v_pk_mul_f32 v[4:5], v[4:5], v[18:19]
	;;#ASMEND
	;; [unrolled: 3-line block ×4, first 2 shown]
	s_or_b64 exec, exec, s[28:29]
	s_mov_b64 s[8:9], -1
	s_and_b64 vcc, exec, s[22:23]
	s_cbranch_vccz .LBB488_15
.LBB488_19:
	s_and_saveexec_b64 s[8:9], s[0:1]
	s_cbranch_execz .LBB488_21
; %bb.20:
	s_mul_hi_i32 s23, s10, s6
	s_mul_i32 s22, s10, s6
	s_lshl_b64 s[22:23], s[22:23], 1
	s_add_u32 s28, s36, s22
	s_addc_u32 s7, s37, s23
	s_and_b32 s29, s7, 0xffff
	s_mov_b32 s7, 0x7060302
	s_mov_b32 s31, 0x20000
	s_waitcnt vmcnt(0)
	v_perm_b32 v10, v3, v2, s7
	v_perm_b32 v11, v5, v4, s7
	;; [unrolled: 1-line block ×4, first 2 shown]
	v_lshlrev_b32_e32 v15, 4, v0
	buffer_store_dwordx4 v[10:13], v15, s[28:31], 0 offen
	;;#ASMSTART
	s_nop 0
	;;#ASMEND
.LBB488_21:
	s_or_b64 exec, exec, s[8:9]
	s_cbranch_execnz .LBB488_16
.LBB488_22:
	s_waitcnt vmcnt(0)
	v_mov_b32_e32 v10, 0
	s_and_saveexec_b64 s[8:9], s[0:1]
	s_cbranch_execz .LBB488_24
; %bb.23:
	v_and_b32_e32 v2, 0x7fffffff, v2
	v_and_b32_e32 v3, 0x7fffffff, v3
	v_mov_b32_e32 v10, 0x2edbe6ff
	;;#ASMSTART
	v_max3_f32 v2, v10, v2, v3

	;;#ASMEND
	v_and_b32_e32 v3, 0x7fffffff, v4
	v_and_b32_e32 v4, 0x7fffffff, v5
	;;#ASMSTART
	v_max3_f32 v2, v2, v3, v4

	;;#ASMEND
	v_and_b32_e32 v3, 0x7fffffff, v6
	v_and_b32_e32 v4, 0x7fffffff, v7
	;; [unrolled: 6-line block ×3, first 2 shown]
	;;#ASMSTART
	v_max3_f32 v10, v2, v3, v4

	;;#ASMEND
.LBB488_24:
	s_or_b64 exec, exec, s[8:9]
	;;#ASMSTART
	v_max_f32 v2, v10, v10 quad_perm:[1,0,3,2] row_mask:0xf bank_mask:0xf bound_ctrl:1
	;;#ASMEND
	;;#ASMSTART
	v_max_f32 v3, v2, v2 quad_perm:[2,3,0,1] row_mask:0xf bank_mask:0xf bound_ctrl:1
	;;#ASMEND
	;;#ASMSTART
	v_max_f32 v4, v3, v3 row_half_mirror row_mask:0xf bank_mask:0xf bound_ctrl:1
	;;#ASMEND
	v_and_b32_e32 v3, 15, v0
	v_cmp_eq_u32_e32 vcc, 0, v3
	v_cmp_gt_i32_e64 s[8:9], s15, v1
	s_and_b64 s[22:23], vcc, s[8:9]
	;;#ASMSTART
	v_max_f32 v2, v4, v4 row_mirror row_mask:0xf bank_mask:0xf bound_ctrl:1
	;;#ASMEND
	s_and_saveexec_b64 s[8:9], s[22:23]
	s_cbranch_execz .LBB488_26
; %bb.25:
	s_load_dwordx2 s[22:23], s[4:5], 0x8
	v_mul_f32_e32 v2, 0x3e2aaaab, v2
	v_lshrrev_b32_e32 v3, 23, v2
	v_and_b32_e32 v4, 0x7f800000, v2
	v_and_b32_e32 v2, 0x7fffff, v2
	v_cmp_ne_u32_e32 vcc, 0, v2
	s_mul_i32 s12, s25, s6
	s_mov_b32 s7, 0x7f800000
	v_addc_co_u32_e32 v2, vcc, 0, v3, vcc
	s_mul_hi_i32 s11, s25, s6
	s_waitcnt lgkmcnt(0)
	s_add_u32 s22, s22, s12
	v_cmp_ne_u32_e32 vcc, s7, v4
	s_addc_u32 s23, s23, s11
	v_lshrrev_b32_e32 v5, 4, v0
	v_cndmask_b32_e32 v4, -1, v2, vcc
	v_pk_mov_b32 v[2:3], s[22:23], s[22:23] op_sel:[0,1]
	v_mad_i64_i32 v[2:3], s[22:23], s26, v5, v[2:3]
	global_store_byte v[2:3], v4, off
.LBB488_26:
	s_or_b64 exec, exec, s[8:9]
	s_and_saveexec_b64 s[8:9], s[0:1]
	s_cbranch_execz .LBB488_28
; %bb.27:
	s_load_dwordx2 s[0:1], s[4:5], 0x0
	s_mul_i32 s11, s24, s6
	s_mul_hi_i32 s7, s24, s6
	v_lshlrev_b32_e32 v2, 2, v0
	s_mov_b32 s27, 0x20000
	s_waitcnt lgkmcnt(0)
	s_add_u32 s24, s0, s11
	s_addc_u32 s0, s1, s7
	s_lshr_b32 s1, s15, 31
	s_add_i32 s1, s15, s1
	s_ashr_i32 s1, s1, 1
	s_add_i32 s1, s1, 3
	s_ashr_i32 s7, s1, 31
	s_lshr_b32 s7, s7, 30
	s_add_i32 s1, s1, s7
	s_and_b32 s26, s1, -4
	s_and_b32 s25, s0, 0xffff
	v_mov_b32_e32 v3, 0
	buffer_store_dword v3, v2, s[24:27], 0 offen
	;;#ASMSTART
	s_nop 0
	;;#ASMEND
.LBB488_28:
	s_or_b64 exec, exec, s[8:9]
	s_cmp_lt_i32 s16, 1
	s_cbranch_scc1 .LBB488_17
.LBB488_29:
	s_load_dword s0, s[4:5], 0x94
	s_waitcnt lgkmcnt(0)
	s_cmp_lg_u32 s0, 1
	s_cbranch_scc1 .LBB488_17
; %bb.30:
	s_lshl_b32 s0, s16, 1
	s_add_i32 s0, s0, 2
	v_cmp_gt_u32_e32 vcc, s16, v1
	s_and_b32 s22, s0, -4
	v_mov_b32_e32 v6, 0
	v_lshlrev_b32_e32 v1, 4, v0
	v_mov_b32_e32 v7, 0
	v_mov_b32_e32 v8, 0
	;; [unrolled: 1-line block ×7, first 2 shown]
	s_barrier
	s_and_saveexec_b64 s[0:1], vcc
	s_cbranch_execz .LBB488_32
; %bb.31:
	s_mul_hi_i32 s5, s18, s6
	s_mul_i32 s4, s18, s6
	s_and_b32 s21, s21, 0xffff
	s_lshl_b64 s[4:5], s[4:5], 1
	s_add_u32 s24, s34, s4
	s_mov_b32 s23, 0x20000
	s_addc_u32 s4, s35, s5
	s_and_b32 s25, s4, 0xffff
	s_mov_b32 s26, s22
	s_mov_b32 s27, s23
	buffer_load_dwordx4 v[6:9], v1, s[24:27], 0 offen glc slc
	buffer_load_dwordx4 v[2:5], v1, s[20:23], 0 offen
.LBB488_32:
	s_or_b64 exec, exec, s[0:1]
	s_waitcnt vmcnt(0)
	v_cvt_f32_u32_sdwa v13, v6 dst_sel:DWORD dst_unused:UNUSED_PAD src0_sel:WORD_1
	v_cvt_f32_u32_sdwa v12, v6 dst_sel:DWORD dst_unused:UNUSED_PAD src0_sel:WORD_0
	v_cvt_f32_u32_sdwa v6, v9 dst_sel:DWORD dst_unused:UNUSED_PAD src0_sel:WORD_1
	v_cvt_f32_u32_sdwa v9, v9 dst_sel:DWORD dst_unused:UNUSED_PAD src0_sel:WORD_0
	;; [unrolled: 2-line block ×4, first 2 shown]
	v_cndmask_b32_e32 v13, 0, v13, vcc
	v_cndmask_b32_e32 v7, 0, v6, vcc
	;; [unrolled: 1-line block ×5, first 2 shown]
	v_mul_f32_e32 v15, v13, v13
	v_cndmask_b32_e32 v10, 0, v10, vcc
	v_fmac_f32_e32 v15, v12, v12
	v_cndmask_b32_e32 v11, 0, v11, vcc
	v_fmac_f32_e32 v15, v10, v10
	v_cndmask_b32_e32 v8, 0, v8, vcc
	v_fmac_f32_e32 v15, v11, v11
	v_fmac_f32_e32 v15, v8, v8
	v_fmac_f32_e32 v15, v9, v9
	;; [unrolled: 1-line block ×4, first 2 shown]
	s_nop 1
	v_mov_b32_dpp v16, v15 quad_perm:[1,0,3,2] row_mask:0xf bank_mask:0xf
	v_add_f32_e32 v15, v15, v16
	s_nop 1
	v_mov_b32_dpp v16, v15 quad_perm:[2,3,0,1] row_mask:0xf bank_mask:0xf
	v_add_f32_e32 v15, v15, v16
	s_nop 1
	v_mov_b32_dpp v16, v15 row_half_mirror row_mask:0xf bank_mask:0xf
	v_add_f32_e32 v15, v15, v16
	s_nop 1
	v_mov_b32_dpp v16, v15 row_mirror row_mask:0xf bank_mask:0xf
	v_add_f32_e32 v15, v15, v16
	s_nop 1
	v_mov_b32_dpp v16, v15 row_bcast:15 row_mask:0xf bank_mask:0xf
	v_add_f32_e32 v15, v15, v16
	s_nop 1
	v_mov_b32_dpp v16, v15 row_bcast:31 row_mask:0xf bank_mask:0xf
	s_and_saveexec_b64 s[0:1], s[2:3]
	s_cbranch_execz .LBB488_34
; %bb.33:
	v_lshrrev_b32_e32 v0, 4, v0
	v_add_f32_e32 v15, v15, v16
	v_and_b32_e32 v0, 60, v0
	ds_write_b32 v0, v15
.LBB488_34:
	s_or_b64 exec, exec, s[0:1]
	s_waitcnt lgkmcnt(0)
	s_barrier
	ds_read_b32 v0, v14
	s_waitcnt lgkmcnt(0)
	s_nop 0
	v_mov_b32_dpp v14, v0 quad_perm:[1,0,3,2] row_mask:0xf bank_mask:0xf
	v_add_f32_e32 v0, v0, v14
	s_nop 1
	v_mov_b32_dpp v14, v0 quad_perm:[2,3,0,1] row_mask:0xf bank_mask:0xf
	s_and_saveexec_b64 s[0:1], vcc
	s_cbranch_execz .LBB488_17
; %bb.35:
	v_cvt_f32_u32_e32 v15, s16
	v_add_f32_e32 v0, v0, v14
	s_mov_b32 s23, 0x20000
	v_div_scale_f32 v14, s[0:1], v15, v15, v0
	v_rcp_f32_e32 v16, v14
	v_div_scale_f32 v17, vcc, v0, v15, v0
	s_mov_b32 s0, 0x800000
	v_fma_f32 v18, -v14, v16, 1.0
	v_fmac_f32_e32 v16, v18, v16
	v_mul_f32_e32 v18, v17, v16
	v_fma_f32 v19, -v14, v18, v17
	v_fmac_f32_e32 v18, v19, v16
	v_fma_f32 v14, -v14, v18, v17
	v_div_fmas_f32 v14, v14, v16, v18
	v_div_fixup_f32 v0, v14, v15, v0
	v_add_f32_e32 v0, s13, v0
	v_mul_f32_e32 v14, 0x4b800000, v0
	v_cmp_gt_f32_e32 vcc, s0, v0
	v_cndmask_b32_e32 v0, v0, v14, vcc
	v_rsq_f32_e32 v0, v0
	s_mul_hi_i32 s1, s10, s6
	s_mul_i32 s0, s10, s6
	s_lshl_b64 s[0:1], s[0:1], 1
	v_mul_f32_e32 v14, 0x45800000, v0
	v_cndmask_b32_e32 v14, v0, v14, vcc
	s_add_u32 s20, s36, s0
	v_mov_b32_e32 v15, v14
	s_addc_u32 s0, s37, s1
	;;#ASMSTART
	v_pk_mul_f32 v[12:13], v[12:13], v[14:15]
	;;#ASMEND
	;;#ASMSTART
	v_pk_mul_f32 v[10:11], v[10:11], v[14:15]
	;;#ASMEND
	;; [unrolled: 3-line block ×4, first 2 shown]
	v_cvt_f32_u32_sdwa v15, v2 dst_sel:DWORD dst_unused:UNUSED_PAD src0_sel:WORD_1
	v_cvt_f32_u32_sdwa v14, v2 dst_sel:DWORD dst_unused:UNUSED_PAD src0_sel:WORD_0
	v_cvt_f32_u32_sdwa v17, v3 dst_sel:DWORD dst_unused:UNUSED_PAD src0_sel:WORD_1
	v_cvt_f32_u32_sdwa v16, v3 dst_sel:DWORD dst_unused:UNUSED_PAD src0_sel:WORD_0
	;; [unrolled: 2-line block ×4, first 2 shown]
	;;#ASMSTART
	v_pk_mul_f32 v[4:5], v[12:13], v[14:15]
	;;#ASMEND
	s_and_b32 s21, s0, 0xffff
	s_mov_b32 s0, 0x7060302
	;;#ASMSTART
	v_pk_mul_f32 v[10:11], v[10:11], v[16:17]
	;;#ASMEND
	;;#ASMSTART
	v_pk_mul_f32 v[8:9], v[8:9], v[2:3]
	;;#ASMEND
	;; [unrolled: 3-line block ×3, first 2 shown]
	v_perm_b32 v2, v5, v4, s0
	v_perm_b32 v3, v11, v10, s0
	;; [unrolled: 1-line block ×4, first 2 shown]
	buffer_store_dwordx4 v[2:5], v1, s[20:23], 0 offen
	;;#ASMSTART
	s_nop 0
	;;#ASMEND
	s_endpgm
	.section	.rodata,"a",@progbits
	.p2align	6, 0x0
	.amdhsa_kernel _ZN5aiter35fused_qk_rmsnorm_group_quant_kernelItN4opus5fp4_tELi256ELi8ELi16ELb1ELb0ELb0ELb0ELb0ELb0EEEvPT0_PvPT_S7_S7_PKS6_S9_S9_S9_S9_ffiiiiiiiiiiiii
		.amdhsa_group_segment_fixed_size 32
		.amdhsa_private_segment_fixed_size 0
		.amdhsa_kernarg_size 400
		.amdhsa_user_sgpr_count 6
		.amdhsa_user_sgpr_private_segment_buffer 1
		.amdhsa_user_sgpr_dispatch_ptr 0
		.amdhsa_user_sgpr_queue_ptr 0
		.amdhsa_user_sgpr_kernarg_segment_ptr 1
		.amdhsa_user_sgpr_dispatch_id 0
		.amdhsa_user_sgpr_flat_scratch_init 0
		.amdhsa_user_sgpr_kernarg_preload_length 0
		.amdhsa_user_sgpr_kernarg_preload_offset 0
		.amdhsa_user_sgpr_private_segment_size 0
		.amdhsa_uses_dynamic_stack 0
		.amdhsa_system_sgpr_private_segment_wavefront_offset 0
		.amdhsa_system_sgpr_workgroup_id_x 1
		.amdhsa_system_sgpr_workgroup_id_y 1
		.amdhsa_system_sgpr_workgroup_id_z 0
		.amdhsa_system_sgpr_workgroup_info 0
		.amdhsa_system_vgpr_workitem_id 0
		.amdhsa_next_free_vgpr 27
		.amdhsa_next_free_sgpr 44
		.amdhsa_accum_offset 28
		.amdhsa_reserve_vcc 1
		.amdhsa_reserve_flat_scratch 0
		.amdhsa_float_round_mode_32 0
		.amdhsa_float_round_mode_16_64 0
		.amdhsa_float_denorm_mode_32 3
		.amdhsa_float_denorm_mode_16_64 3
		.amdhsa_dx10_clamp 1
		.amdhsa_ieee_mode 1
		.amdhsa_fp16_overflow 0
		.amdhsa_tg_split 0
		.amdhsa_exception_fp_ieee_invalid_op 0
		.amdhsa_exception_fp_denorm_src 0
		.amdhsa_exception_fp_ieee_div_zero 0
		.amdhsa_exception_fp_ieee_overflow 0
		.amdhsa_exception_fp_ieee_underflow 0
		.amdhsa_exception_fp_ieee_inexact 0
		.amdhsa_exception_int_div_zero 0
	.end_amdhsa_kernel
	.section	.text._ZN5aiter35fused_qk_rmsnorm_group_quant_kernelItN4opus5fp4_tELi256ELi8ELi16ELb1ELb0ELb0ELb0ELb0ELb0EEEvPT0_PvPT_S7_S7_PKS6_S9_S9_S9_S9_ffiiiiiiiiiiiii,"axG",@progbits,_ZN5aiter35fused_qk_rmsnorm_group_quant_kernelItN4opus5fp4_tELi256ELi8ELi16ELb1ELb0ELb0ELb0ELb0ELb0EEEvPT0_PvPT_S7_S7_PKS6_S9_S9_S9_S9_ffiiiiiiiiiiiii,comdat
.Lfunc_end488:
	.size	_ZN5aiter35fused_qk_rmsnorm_group_quant_kernelItN4opus5fp4_tELi256ELi8ELi16ELb1ELb0ELb0ELb0ELb0ELb0EEEvPT0_PvPT_S7_S7_PKS6_S9_S9_S9_S9_ffiiiiiiiiiiiii, .Lfunc_end488-_ZN5aiter35fused_qk_rmsnorm_group_quant_kernelItN4opus5fp4_tELi256ELi8ELi16ELb1ELb0ELb0ELb0ELb0ELb0EEEvPT0_PvPT_S7_S7_PKS6_S9_S9_S9_S9_ffiiiiiiiiiiiii
                                        ; -- End function
	.section	.AMDGPU.csdata,"",@progbits
; Kernel info:
; codeLenInByte = 2748
; NumSgprs: 48
; NumVgprs: 27
; NumAgprs: 0
; TotalNumVgprs: 27
; ScratchSize: 0
; MemoryBound: 0
; FloatMode: 240
; IeeeMode: 1
; LDSByteSize: 32 bytes/workgroup (compile time only)
; SGPRBlocks: 5
; VGPRBlocks: 3
; NumSGPRsForWavesPerEU: 48
; NumVGPRsForWavesPerEU: 27
; AccumOffset: 28
; Occupancy: 8
; WaveLimiterHint : 0
; COMPUTE_PGM_RSRC2:SCRATCH_EN: 0
; COMPUTE_PGM_RSRC2:USER_SGPR: 6
; COMPUTE_PGM_RSRC2:TRAP_HANDLER: 0
; COMPUTE_PGM_RSRC2:TGID_X_EN: 1
; COMPUTE_PGM_RSRC2:TGID_Y_EN: 1
; COMPUTE_PGM_RSRC2:TGID_Z_EN: 0
; COMPUTE_PGM_RSRC2:TIDIG_COMP_CNT: 0
; COMPUTE_PGM_RSRC3_GFX90A:ACCUM_OFFSET: 6
; COMPUTE_PGM_RSRC3_GFX90A:TG_SPLIT: 0
	.section	.text._ZN5aiter35fused_qk_rmsnorm_group_quant_kernelIDF16_DB8_Li256ELi8ELi16ELb0ELb1ELb1ELb0ELb0ELb0EEEvPT0_PvPT_S6_S6_PKS5_S8_S8_S8_S8_ffiiiiiiiiiiiii,"axG",@progbits,_ZN5aiter35fused_qk_rmsnorm_group_quant_kernelIDF16_DB8_Li256ELi8ELi16ELb0ELb1ELb1ELb0ELb0ELb0EEEvPT0_PvPT_S6_S6_PKS5_S8_S8_S8_S8_ffiiiiiiiiiiiii,comdat
	.protected	_ZN5aiter35fused_qk_rmsnorm_group_quant_kernelIDF16_DB8_Li256ELi8ELi16ELb0ELb1ELb1ELb0ELb0ELb0EEEvPT0_PvPT_S6_S6_PKS5_S8_S8_S8_S8_ffiiiiiiiiiiiii ; -- Begin function _ZN5aiter35fused_qk_rmsnorm_group_quant_kernelIDF16_DB8_Li256ELi8ELi16ELb0ELb1ELb1ELb0ELb0ELb0EEEvPT0_PvPT_S6_S6_PKS5_S8_S8_S8_S8_ffiiiiiiiiiiiii
	.globl	_ZN5aiter35fused_qk_rmsnorm_group_quant_kernelIDF16_DB8_Li256ELi8ELi16ELb0ELb1ELb1ELb0ELb0ELb0EEEvPT0_PvPT_S6_S6_PKS5_S8_S8_S8_S8_ffiiiiiiiiiiiii
	.p2align	8
	.type	_ZN5aiter35fused_qk_rmsnorm_group_quant_kernelIDF16_DB8_Li256ELi8ELi16ELb0ELb1ELb1ELb0ELb0ELb0EEEvPT0_PvPT_S6_S6_PKS5_S8_S8_S8_S8_ffiiiiiiiiiiiii,@function
_ZN5aiter35fused_qk_rmsnorm_group_quant_kernelIDF16_DB8_Li256ELi8ELi16ELb0ELb1ELb1ELb0ELb0ELb0EEEvPT0_PvPT_S6_S6_PKS5_S8_S8_S8_S8_ffiiiiiiiiiiiii: ; @_ZN5aiter35fused_qk_rmsnorm_group_quant_kernelIDF16_DB8_Li256ELi8ELi16ELb0ELb1ELb1ELb0ELb0ELb0EEEvPT0_PvPT_S6_S6_PKS5_S8_S8_S8_S8_ffiiiiiiiiiiiii
; %bb.0:
	s_load_dwordx4 s[16:19], s[4:5], 0x50
	s_waitcnt lgkmcnt(0)
	s_cmp_ge_i32 s6, s18
	s_cbranch_scc1 .LBB489_12
; %bb.1:
	s_load_dwordx2 s[12:13], s[4:5], 0x48
	s_load_dwordx2 s[30:31], s[4:5], 0x30
	s_load_dwordx4 s[20:23], s[4:5], 0x60
	s_cmp_lg_u32 s7, 0
	s_cselect_b64 s[14:15], -1, 0
	s_cmp_eq_u32 s7, 0
	s_cselect_b64 vcc, -1, 0
	s_and_b64 s[0:1], vcc, exec
	s_waitcnt lgkmcnt(0)
	s_cselect_b32 s7, s19, s20
	s_add_i32 s0, s7, 1
	s_lshr_b32 s1, s0, 31
	s_add_i32 s0, s0, s1
	s_lshl_b32 s0, s0, 1
	v_lshlrev_b32_e32 v1, 3, v0
	s_and_b32 s10, s0, -4
	v_cmp_gt_i32_e64 s[2:3], s7, v1
	v_mov_b32_e32 v10, 0
	v_mov_b32_e32 v2, 0
	;; [unrolled: 1-line block ×9, first 2 shown]
	s_and_saveexec_b64 s[0:1], s[2:3]
	s_cbranch_execz .LBB489_3
; %bb.2:
	s_load_dwordx2 s[8:9], s[4:5], 0x28
	s_load_dwordx2 s[26:27], s[4:5], 0x40
	s_and_b64 s[24:25], vcc, exec
	s_cselect_b32 s11, s21, s22
	v_lshlrev_b32_e32 v11, 4, v0
	s_waitcnt lgkmcnt(0)
	s_cselect_b32 s18, s9, s31
	s_cselect_b32 s21, s8, s30
	s_mul_hi_i32 s9, s11, s6
	s_mul_i32 s8, s11, s6
	s_lshl_b64 s[8:9], s[8:9], 1
	s_add_u32 s24, s21, s8
	s_addc_u32 s18, s18, s9
	s_and_b64 s[8:9], vcc, exec
	s_mov_b32 s11, 0x20000
	s_cselect_b32 s8, s26, s12
	s_cselect_b32 s9, s27, s13
	s_and_b32 s25, s18, 0xffff
	s_mov_b32 s26, s10
	s_mov_b32 s27, s11
	s_and_b32 s9, s9, 0xffff
	buffer_load_dwordx4 v[6:9], v11, s[24:27], 0 offen glc slc
	buffer_load_dwordx4 v[2:5], v11, s[8:11], 0 offen
.LBB489_3:
	s_or_b64 exec, exec, s[0:1]
	v_mov_b32_e32 v11, 0
	v_mov_b32_e32 v16, 0
	;; [unrolled: 1-line block ×7, first 2 shown]
	s_and_saveexec_b64 s[0:1], s[2:3]
	s_cbranch_execz .LBB489_5
; %bb.4:
	s_waitcnt vmcnt(1)
	v_cvt_f32_f16_sdwa v11, v6 dst_sel:DWORD dst_unused:UNUSED_PAD src0_sel:WORD_1
	v_cvt_f32_f16_e32 v10, v6
	v_cvt_f32_f16_sdwa v17, v7 dst_sel:DWORD dst_unused:UNUSED_PAD src0_sel:WORD_1
	v_cvt_f32_f16_e32 v16, v7
	;; [unrolled: 2-line block ×4, first 2 shown]
.LBB489_5:
	s_or_b64 exec, exec, s[0:1]
	s_waitcnt vmcnt(1)
	v_mul_f32_e32 v6, v11, v11
	v_fmac_f32_e32 v6, v10, v10
	v_fmac_f32_e32 v6, v16, v16
	;; [unrolled: 1-line block ×7, first 2 shown]
	v_and_b32_e32 v8, 63, v0
	v_cmp_eq_u32_e64 s[0:1], 63, v8
	v_mov_b32_dpp v7, v6 quad_perm:[1,0,3,2] row_mask:0xf bank_mask:0xf
	v_add_f32_e32 v6, v6, v7
	s_nop 1
	v_mov_b32_dpp v7, v6 quad_perm:[2,3,0,1] row_mask:0xf bank_mask:0xf
	v_add_f32_e32 v6, v6, v7
	s_nop 1
	v_mov_b32_dpp v7, v6 row_half_mirror row_mask:0xf bank_mask:0xf
	v_add_f32_e32 v6, v6, v7
	s_nop 1
	v_mov_b32_dpp v7, v6 row_mirror row_mask:0xf bank_mask:0xf
	v_add_f32_e32 v6, v6, v7
	s_nop 1
	v_mov_b32_dpp v7, v6 row_bcast:15 row_mask:0xf bank_mask:0xf
	v_add_f32_e32 v6, v6, v7
	s_nop 1
	v_mov_b32_dpp v7, v6 row_bcast:31 row_mask:0xf bank_mask:0xf
	s_and_saveexec_b64 s[8:9], s[0:1]
	s_cbranch_execz .LBB489_7
; %bb.6:
	v_add_f32_e32 v6, v6, v7
	v_lshrrev_b32_e32 v7, 4, v0
	v_and_b32_e32 v7, 60, v7
	ds_write_b32 v7, v6 offset:16
.LBB489_7:
	s_or_b64 exec, exec, s[8:9]
	v_and_b32_e32 v6, 3, v0
	v_lshlrev_b32_e32 v18, 2, v6
	s_waitcnt lgkmcnt(0)
	s_barrier
	ds_read_b32 v6, v18 offset:16
	s_load_dwordx2 s[28:29], s[4:5], 0x18
	s_waitcnt lgkmcnt(0)
	v_mov_b32_dpp v7, v6 quad_perm:[1,0,3,2] row_mask:0xf bank_mask:0xf
	v_add_f32_e32 v6, v6, v7
	s_nop 1
	v_mov_b32_dpp v7, v6 quad_perm:[2,3,0,1] row_mask:0xf bank_mask:0xf
	s_and_saveexec_b64 s[8:9], s[2:3]
	s_cbranch_execz .LBB489_9
; %bb.8:
	v_cvt_f32_u32_e32 v8, s7
	v_add_f32_e32 v6, v6, v7
	v_mov_b32_e32 v19, s17
	v_mov_b32_e32 v20, s16
	v_div_scale_f32 v7, s[24:25], v8, v8, v6
	v_rcp_f32_e32 v9, v7
	v_cndmask_b32_e32 v19, v19, v20, vcc
	s_mov_b32 s7, 0x800000
	v_fma_f32 v20, -v7, v9, 1.0
	v_fmac_f32_e32 v9, v20, v9
	v_div_scale_f32 v20, vcc, v6, v8, v6
	v_mul_f32_e32 v21, v20, v9
	v_fma_f32 v22, -v7, v21, v20
	v_fmac_f32_e32 v21, v22, v9
	v_fma_f32 v7, -v7, v21, v20
	v_div_fmas_f32 v7, v7, v9, v21
	v_div_fixup_f32 v6, v7, v8, v6
	v_add_f32_e32 v6, v19, v6
	v_mul_f32_e32 v7, 0x4b800000, v6
	v_cmp_gt_f32_e32 vcc, s7, v6
	v_cndmask_b32_e32 v6, v6, v7, vcc
	v_rsq_f32_e32 v6, v6
	s_waitcnt vmcnt(0)
	v_cvt_f32_f16_sdwa v21, v3 dst_sel:DWORD dst_unused:UNUSED_PAD src0_sel:WORD_1
	v_cvt_f32_f16_e32 v20, v3
	v_mul_f32_e32 v7, 0x45800000, v6
	v_cndmask_b32_e32 v6, v6, v7, vcc
	v_mov_b32_e32 v7, v6
	;;#ASMSTART
	v_pk_mul_f32 v[8:9], v[10:11], v[6:7]
	;;#ASMEND
	v_cvt_f32_f16_sdwa v11, v2 dst_sel:DWORD dst_unused:UNUSED_PAD src0_sel:WORD_1
	v_cvt_f32_f16_e32 v10, v2
	;;#ASMSTART
	v_pk_mul_f32 v[16:17], v[16:17], v[6:7]
	;;#ASMEND
	;;#ASMSTART
	v_pk_mul_f32 v[14:15], v[14:15], v[6:7]
	;;#ASMEND
	;;#ASMSTART
	v_pk_mul_f32 v[2:3], v[12:13], v[6:7]
	;;#ASMEND
	v_pk_add_f32 v[6:7], v[10:11], 1.0 op_sel_hi:[1,0]
	;;#ASMSTART
	v_pk_mul_f32 v[10:11], v[8:9], v[6:7]
	;;#ASMEND
	v_cvt_f32_f16_sdwa v9, v4 dst_sel:DWORD dst_unused:UNUSED_PAD src0_sel:WORD_1
	v_cvt_f32_f16_e32 v8, v4
	v_cvt_f32_f16_sdwa v13, v5 dst_sel:DWORD dst_unused:UNUSED_PAD src0_sel:WORD_1
	v_cvt_f32_f16_e32 v12, v5
	v_pk_add_f32 v[6:7], v[20:21], 1.0 op_sel_hi:[1,0]
	v_pk_add_f32 v[4:5], v[8:9], 1.0 op_sel_hi:[1,0]
	;;#ASMSTART
	v_pk_mul_f32 v[16:17], v[16:17], v[6:7]
	;;#ASMEND
	;;#ASMSTART
	v_pk_mul_f32 v[14:15], v[14:15], v[4:5]
	;;#ASMEND
	v_pk_add_f32 v[4:5], v[12:13], 1.0 op_sel_hi:[1,0]
	;;#ASMSTART
	v_pk_mul_f32 v[12:13], v[2:3], v[4:5]
	;;#ASMEND
.LBB489_9:
	s_or_b64 exec, exec, s[8:9]
	s_load_dword s7, s[4:5], 0x80
	s_mov_b64 s[8:9], -1
	s_and_b64 vcc, exec, s[14:15]
	s_cbranch_vccnz .LBB489_13
; %bb.10:
	s_andn2_b64 vcc, exec, s[8:9]
	s_cbranch_vccz .LBB489_16
.LBB489_11:
	s_cmp_lt_i32 s20, 1
	s_cbranch_scc0 .LBB489_25
.LBB489_12:
	s_endpgm
.LBB489_13:
	s_and_saveexec_b64 s[14:15], s[2:3]
	s_cbranch_execz .LBB489_15
; %bb.14:
	s_waitcnt lgkmcnt(0)
	s_mul_hi_i32 s9, s7, s6
	s_mul_i32 s8, s7, s6
	s_waitcnt vmcnt(0)
	v_cvt_f16_f32_e32 v2, v10
	v_cvt_f16_f32_e32 v3, v16
	;; [unrolled: 1-line block ×8, first 2 shown]
	s_lshl_b64 s[8:9], s[8:9], 1
	s_add_u32 s8, s28, s8
	s_addc_u32 s9, s29, s9
	s_and_b32 s9, s9, 0xffff
	s_mov_b32 s11, 0x20000
	v_pack_b32_f16 v5, v5, v6
	v_pack_b32_f16 v4, v4, v7
	;; [unrolled: 1-line block ×4, first 2 shown]
	v_lshlrev_b32_e32 v6, 4, v0
	buffer_store_dwordx4 v[2:5], v6, s[8:11], 0 offen
	;;#ASMSTART
	s_nop 0
	;;#ASMEND
.LBB489_15:
	s_or_b64 exec, exec, s[14:15]
	s_cbranch_execnz .LBB489_11
.LBB489_16:
	s_load_dwordx4 s[24:27], s[4:5], 0x70
	s_waitcnt vmcnt(0)
	v_mov_b32_e32 v2, 0
	s_and_saveexec_b64 s[14:15], s[2:3]
	s_cbranch_execz .LBB489_18
; %bb.17:
	s_load_dwordx2 s[8:9], s[4:5], 0x10
	s_waitcnt lgkmcnt(0)
	s_mul_hi_i32 s35, s27, s6
	s_mul_i32 s34, s27, s6
	v_cvt_f16_f32_e32 v2, v10
	v_cvt_f16_f32_e32 v3, v16
	;; [unrolled: 1-line block ×8, first 2 shown]
	s_lshl_b64 s[34:35], s[34:35], 1
	s_add_u32 s8, s8, s34
	s_addc_u32 s9, s9, s35
	s_mov_b32 s11, 0x20000
	s_and_b32 s9, s9, 0xffff
	v_pack_b32_f16 v5, v5, v6
	v_pack_b32_f16 v4, v4, v7
	;; [unrolled: 1-line block ×4, first 2 shown]
	v_lshlrev_b32_e32 v6, 4, v0
	buffer_store_dwordx4 v[2:5], v6, s[8:11], 0 offen
	;;#ASMSTART
	s_nop 0
	;;#ASMEND
	s_nop 0
	v_mov_b32_e32 v2, 0x2edbe6ff
.LBB489_18:
	s_or_b64 exec, exec, s[14:15]
	s_and_saveexec_b64 s[8:9], s[2:3]
	s_cbranch_execz .LBB489_20
; %bb.19:
	v_and_b32_e32 v3, 0x7fffffff, v10
	v_and_b32_e32 v4, 0x7fffffff, v11
	;;#ASMSTART
	v_max3_f32 v2, v2, v3, v4

	;;#ASMEND
	v_and_b32_e32 v3, 0x7fffffff, v16
	v_and_b32_e32 v4, 0x7fffffff, v17
	;;#ASMSTART
	v_max3_f32 v2, v2, v3, v4

	;;#ASMEND
	;; [unrolled: 6-line block ×4, first 2 shown]
.LBB489_20:
	s_or_b64 exec, exec, s[8:9]
	;;#ASMSTART
	v_max_f32 v3, v2, v2 quad_perm:[1,0,3,2] row_mask:0xf bank_mask:0xf bound_ctrl:1
	;;#ASMEND
	;;#ASMSTART
	v_max_f32 v2, v3, v3 quad_perm:[2,3,0,1] row_mask:0xf bank_mask:0xf bound_ctrl:1
	;;#ASMEND
	;;#ASMSTART
	v_max_f32 v3, v2, v2 row_half_mirror row_mask:0xf bank_mask:0xf bound_ctrl:1
	;;#ASMEND
	;;#ASMSTART
	v_max_f32 v2, v3, v3 row_mirror row_mask:0xf bank_mask:0xf bound_ctrl:1
	;;#ASMEND
	v_and_b32_e32 v3, 15, v0
	v_cmp_eq_u32_e32 vcc, 0, v3
	v_cmp_gt_i32_e64 s[8:9], s19, v1
	v_mul_f32_e32 v2, 0x3b124925, v2
	s_and_b64 s[10:11], vcc, s[8:9]
	s_and_saveexec_b64 s[8:9], s[10:11]
	s_cbranch_execz .LBB489_22
; %bb.21:
	s_load_dwordx2 s[10:11], s[4:5], 0x8
	s_waitcnt lgkmcnt(0)
	s_mul_hi_i32 s15, s25, s6
	s_mul_i32 s14, s25, s6
	v_lshrrev_b32_e32 v3, 4, v0
	s_lshl_b64 s[14:15], s[14:15], 2
	v_mad_i64_i32 v[4:5], s[26:27], s26, v3, 0
	s_add_u32 s10, s10, s14
	s_addc_u32 s11, s11, s15
	v_lshlrev_b64 v[4:5], 2, v[4:5]
	v_mov_b32_e32 v3, s11
	v_add_co_u32_e32 v4, vcc, s10, v4
	v_addc_co_u32_e32 v5, vcc, v3, v5, vcc
	global_store_dword v[4:5], v2, off
.LBB489_22:
	s_or_b64 exec, exec, s[8:9]
	;;#ASMSTART
	v_rcp_f32 v2, v2
	;;#ASMEND
	s_and_saveexec_b64 s[14:15], s[2:3]
	s_cbranch_execz .LBB489_24
; %bb.23:
	s_load_dwordx2 s[2:3], s[4:5], 0x0
	s_waitcnt lgkmcnt(0)
	s_mul_i32 s8, s24, s6
	s_mul_hi_i32 s9, s24, s6
	v_mov_b32_e32 v3, v2
	;;#ASMSTART
	v_pk_mul_f32 v[4:5], v[10:11], v[2:3]
	;;#ASMEND
	s_add_u32 s8, s2, s8
	s_addc_u32 s2, s3, s9
	s_add_i32 s3, s19, 3
	s_ashr_i32 s9, s3, 31
	v_mov_b32_e32 v8, 0xc3e00000
	v_mov_b32_e32 v9, 0x43e00000
	;;#ASMSTART
	v_med3_f32 v4, v4, v8, v9
v_med3_f32 v5, v5, v8, v9
v_cvt_pk_fp8_f32 v6, v4, v5
	;;#ASMEND
	s_lshr_b32 s9, s9, 30
	;;#ASMSTART
	v_pk_mul_f32 v[4:5], v[16:17], v[2:3]
	;;#ASMEND
	s_add_i32 s3, s3, s9
	s_and_b32 s9, s2, 0xffff
	;;#ASMSTART
	v_med3_f32 v4, v4, v8, v9
v_med3_f32 v5, v5, v8, v9
v_cvt_pk_fp8_f32 v7, v4, v5
	;;#ASMEND
	s_mov_b32 s2, 0x5040100
	v_perm_b32 v5, v7, v6, s2
	s_movk_i32 s2, 0xff
	v_and_b32_e32 v4, 0xffffff00, v7
	v_and_b32_sdwa v6, v5, s2 dst_sel:DWORD dst_unused:UNUSED_PAD src0_sel:WORD_1 src1_sel:DWORD
	s_mov_b32 s16, 0xffff
	v_or_b32_sdwa v4, v6, v4 dst_sel:WORD_1 dst_unused:UNUSED_PAD src0_sel:DWORD src1_sel:DWORD
	v_and_or_b32 v4, v5, s16, v4
	;;#ASMSTART
	v_pk_mul_f32 v[6:7], v[14:15], v[2:3]
	;;#ASMEND
	v_mov_b32_e32 v5, v7
	;;#ASMSTART
	v_med3_f32 v6, v6, v8, v9
v_med3_f32 v5, v5, v8, v9
v_cvt_pk_fp8_f32 v7, v6, v5
	;;#ASMEND
	;;#ASMSTART
	v_pk_mul_f32 v[2:3], v[12:13], v[2:3]
	;;#ASMEND
	;;#ASMSTART
	v_med3_f32 v2, v2, v8, v9
v_med3_f32 v3, v3, v8, v9
v_cvt_pk_fp8_f32 v5, v2, v3
	;;#ASMEND
	v_lshlrev_b32_e32 v2, 16, v5
	s_and_b32 s10, s3, -4
	s_mov_b32 s11, 0x20000
	v_and_or_b32 v5, v7, s16, v2
	buffer_store_dwordx2 v[4:5], v1, s[8:11], 0 offen
	;;#ASMSTART
	s_nop 0
	;;#ASMEND
.LBB489_24:
	s_or_b64 exec, exec, s[14:15]
	s_cmp_lt_i32 s20, 1
	s_cbranch_scc1 .LBB489_12
.LBB489_25:
	s_load_dword s2, s[4:5], 0x94
	s_waitcnt lgkmcnt(0)
	s_cmp_lg_u32 s2, 1
	s_cbranch_scc1 .LBB489_12
; %bb.26:
	s_lshl_b32 s2, s20, 1
	s_add_i32 s2, s2, 2
	v_cmp_gt_u32_e32 vcc, s20, v1
	s_and_b32 s14, s2, -4
	v_mov_b32_e32 v10, 0
	v_lshlrev_b32_e32 v1, 4, v0
	v_mov_b32_e32 v6, 0
	v_mov_b32_e32 v7, 0
	;; [unrolled: 1-line block ×4, first 2 shown]
	s_waitcnt vmcnt(0)
	v_mov_b32_e32 v2, 0
	v_mov_b32_e32 v3, 0
	;; [unrolled: 1-line block ×4, first 2 shown]
	s_barrier
	s_and_saveexec_b64 s[2:3], vcc
	s_cbranch_execz .LBB489_28
; %bb.27:
	s_mul_hi_i32 s5, s22, s6
	s_mul_i32 s4, s22, s6
	s_and_b32 s13, s13, 0xffff
	s_lshl_b64 s[4:5], s[4:5], 1
	s_add_u32 s8, s30, s4
	s_mov_b32 s15, 0x20000
	s_addc_u32 s4, s31, s5
	s_and_b32 s9, s4, 0xffff
	s_mov_b32 s10, s14
	s_mov_b32 s11, s15
	buffer_load_dwordx4 v[6:9], v1, s[8:11], 0 offen glc slc
	buffer_load_dwordx4 v[2:5], v1, s[12:15], 0 offen
.LBB489_28:
	s_or_b64 exec, exec, s[2:3]
	v_mov_b32_e32 v11, 0
	v_mov_b32_e32 v16, 0
	;; [unrolled: 1-line block ×7, first 2 shown]
	s_and_saveexec_b64 s[2:3], vcc
	s_cbranch_execz .LBB489_30
; %bb.29:
	s_waitcnt vmcnt(1)
	v_cvt_f32_f16_sdwa v11, v6 dst_sel:DWORD dst_unused:UNUSED_PAD src0_sel:WORD_1
	v_cvt_f32_f16_e32 v10, v6
	v_cvt_f32_f16_sdwa v17, v7 dst_sel:DWORD dst_unused:UNUSED_PAD src0_sel:WORD_1
	v_cvt_f32_f16_e32 v16, v7
	;; [unrolled: 2-line block ×4, first 2 shown]
.LBB489_30:
	s_or_b64 exec, exec, s[2:3]
	s_waitcnt vmcnt(1)
	v_mul_f32_e32 v6, v11, v11
	v_fmac_f32_e32 v6, v10, v10
	v_fmac_f32_e32 v6, v16, v16
	;; [unrolled: 1-line block ×7, first 2 shown]
	s_nop 1
	v_mov_b32_dpp v7, v6 quad_perm:[1,0,3,2] row_mask:0xf bank_mask:0xf
	v_add_f32_e32 v6, v6, v7
	s_nop 1
	v_mov_b32_dpp v7, v6 quad_perm:[2,3,0,1] row_mask:0xf bank_mask:0xf
	v_add_f32_e32 v6, v6, v7
	s_nop 1
	v_mov_b32_dpp v7, v6 row_half_mirror row_mask:0xf bank_mask:0xf
	v_add_f32_e32 v6, v6, v7
	s_nop 1
	v_mov_b32_dpp v7, v6 row_mirror row_mask:0xf bank_mask:0xf
	v_add_f32_e32 v6, v6, v7
	s_nop 1
	v_mov_b32_dpp v7, v6 row_bcast:15 row_mask:0xf bank_mask:0xf
	v_add_f32_e32 v6, v6, v7
	s_nop 1
	v_mov_b32_dpp v7, v6 row_bcast:31 row_mask:0xf bank_mask:0xf
	s_and_saveexec_b64 s[2:3], s[0:1]
	s_cbranch_execz .LBB489_32
; %bb.31:
	v_lshrrev_b32_e32 v0, 4, v0
	v_add_f32_e32 v6, v6, v7
	v_and_b32_e32 v0, 60, v0
	ds_write_b32 v0, v6
.LBB489_32:
	s_or_b64 exec, exec, s[2:3]
	s_waitcnt lgkmcnt(0)
	s_barrier
	ds_read_b32 v0, v18
	s_waitcnt lgkmcnt(0)
	s_nop 0
	v_mov_b32_dpp v6, v0 quad_perm:[1,0,3,2] row_mask:0xf bank_mask:0xf
	v_add_f32_e32 v0, v0, v6
	s_nop 1
	v_mov_b32_dpp v6, v0 quad_perm:[2,3,0,1] row_mask:0xf bank_mask:0xf
	s_and_saveexec_b64 s[0:1], vcc
	s_cbranch_execz .LBB489_12
; %bb.33:
	v_cvt_f32_u32_e32 v7, s20
	v_add_f32_e32 v0, v0, v6
	s_mov_b32 s15, 0x20000
	v_div_scale_f32 v6, s[0:1], v7, v7, v0
	v_rcp_f32_e32 v8, v6
	v_div_scale_f32 v9, vcc, v0, v7, v0
	s_mov_b32 s0, 0x800000
	v_fma_f32 v18, -v6, v8, 1.0
	v_fmac_f32_e32 v8, v18, v8
	v_mul_f32_e32 v18, v9, v8
	v_fma_f32 v19, -v6, v18, v9
	v_fmac_f32_e32 v18, v19, v8
	v_fma_f32 v6, -v6, v18, v9
	v_div_fmas_f32 v6, v6, v8, v18
	v_div_fixup_f32 v0, v6, v7, v0
	v_add_f32_e32 v0, s17, v0
	v_mul_f32_e32 v6, 0x4b800000, v0
	v_cmp_gt_f32_e32 vcc, s0, v0
	v_cndmask_b32_e32 v0, v0, v6, vcc
	v_rsq_f32_e32 v0, v0
	s_waitcnt vmcnt(0)
	v_cvt_f32_f16_sdwa v19, v3 dst_sel:DWORD dst_unused:UNUSED_PAD src0_sel:WORD_1
	v_cvt_f32_f16_e32 v18, v3
	s_mul_hi_i32 s1, s7, s6
	v_mul_f32_e32 v6, 0x45800000, v0
	v_cndmask_b32_e32 v6, v0, v6, vcc
	v_mov_b32_e32 v7, v6
	;;#ASMSTART
	v_pk_mul_f32 v[8:9], v[10:11], v[6:7]
	;;#ASMEND
	;;#ASMSTART
	v_pk_mul_f32 v[10:11], v[16:17], v[6:7]
	;;#ASMEND
	v_cvt_f32_f16_sdwa v17, v2 dst_sel:DWORD dst_unused:UNUSED_PAD src0_sel:WORD_1
	v_cvt_f32_f16_e32 v16, v2
	;;#ASMSTART
	v_pk_mul_f32 v[14:15], v[14:15], v[6:7]
	;;#ASMEND
	;;#ASMSTART
	v_pk_mul_f32 v[2:3], v[12:13], v[6:7]
	;;#ASMEND
	v_cvt_f32_f16_sdwa v13, v4 dst_sel:DWORD dst_unused:UNUSED_PAD src0_sel:WORD_1
	v_cvt_f32_f16_e32 v12, v4
	v_pk_add_f32 v[6:7], v[16:17], 1.0 op_sel_hi:[1,0]
	v_cvt_f32_f16_sdwa v17, v5 dst_sel:DWORD dst_unused:UNUSED_PAD src0_sel:WORD_1
	v_cvt_f32_f16_e32 v16, v5
	;;#ASMSTART
	v_pk_mul_f32 v[6:7], v[8:9], v[6:7]
	;;#ASMEND
	v_pk_add_f32 v[8:9], v[18:19], 1.0 op_sel_hi:[1,0]
	;;#ASMSTART
	v_pk_mul_f32 v[4:5], v[10:11], v[8:9]
	;;#ASMEND
	v_pk_add_f32 v[8:9], v[12:13], 1.0 op_sel_hi:[1,0]
	;; [unrolled: 4-line block ×3, first 2 shown]
	;;#ASMSTART
	v_pk_mul_f32 v[2:3], v[2:3], v[10:11]
	;;#ASMEND
	s_mul_i32 s0, s7, s6
	v_cvt_f16_f32_e32 v0, v6
	v_cvt_f16_f32_e32 v6, v7
	;; [unrolled: 1-line block ×8, first 2 shown]
	s_lshl_b64 s[0:1], s[0:1], 1
	s_add_u32 s12, s28, s0
	s_addc_u32 s0, s29, s1
	s_and_b32 s13, s0, 0xffff
	v_pack_b32_f16 v2, v0, v6
	v_pack_b32_f16 v3, v4, v5
	;; [unrolled: 1-line block ×4, first 2 shown]
	buffer_store_dwordx4 v[2:5], v1, s[12:15], 0 offen
	;;#ASMSTART
	s_nop 0
	;;#ASMEND
	s_endpgm
	.section	.rodata,"a",@progbits
	.p2align	6, 0x0
	.amdhsa_kernel _ZN5aiter35fused_qk_rmsnorm_group_quant_kernelIDF16_DB8_Li256ELi8ELi16ELb0ELb1ELb1ELb0ELb0ELb0EEEvPT0_PvPT_S6_S6_PKS5_S8_S8_S8_S8_ffiiiiiiiiiiiii
		.amdhsa_group_segment_fixed_size 32
		.amdhsa_private_segment_fixed_size 0
		.amdhsa_kernarg_size 400
		.amdhsa_user_sgpr_count 6
		.amdhsa_user_sgpr_private_segment_buffer 1
		.amdhsa_user_sgpr_dispatch_ptr 0
		.amdhsa_user_sgpr_queue_ptr 0
		.amdhsa_user_sgpr_kernarg_segment_ptr 1
		.amdhsa_user_sgpr_dispatch_id 0
		.amdhsa_user_sgpr_flat_scratch_init 0
		.amdhsa_user_sgpr_kernarg_preload_length 0
		.amdhsa_user_sgpr_kernarg_preload_offset 0
		.amdhsa_user_sgpr_private_segment_size 0
		.amdhsa_uses_dynamic_stack 0
		.amdhsa_system_sgpr_private_segment_wavefront_offset 0
		.amdhsa_system_sgpr_workgroup_id_x 1
		.amdhsa_system_sgpr_workgroup_id_y 1
		.amdhsa_system_sgpr_workgroup_id_z 0
		.amdhsa_system_sgpr_workgroup_info 0
		.amdhsa_system_vgpr_workitem_id 0
		.amdhsa_next_free_vgpr 23
		.amdhsa_next_free_sgpr 36
		.amdhsa_accum_offset 24
		.amdhsa_reserve_vcc 1
		.amdhsa_reserve_flat_scratch 0
		.amdhsa_float_round_mode_32 0
		.amdhsa_float_round_mode_16_64 0
		.amdhsa_float_denorm_mode_32 3
		.amdhsa_float_denorm_mode_16_64 3
		.amdhsa_dx10_clamp 1
		.amdhsa_ieee_mode 1
		.amdhsa_fp16_overflow 0
		.amdhsa_tg_split 0
		.amdhsa_exception_fp_ieee_invalid_op 0
		.amdhsa_exception_fp_denorm_src 0
		.amdhsa_exception_fp_ieee_div_zero 0
		.amdhsa_exception_fp_ieee_overflow 0
		.amdhsa_exception_fp_ieee_underflow 0
		.amdhsa_exception_fp_ieee_inexact 0
		.amdhsa_exception_int_div_zero 0
	.end_amdhsa_kernel
	.section	.text._ZN5aiter35fused_qk_rmsnorm_group_quant_kernelIDF16_DB8_Li256ELi8ELi16ELb0ELb1ELb1ELb0ELb0ELb0EEEvPT0_PvPT_S6_S6_PKS5_S8_S8_S8_S8_ffiiiiiiiiiiiii,"axG",@progbits,_ZN5aiter35fused_qk_rmsnorm_group_quant_kernelIDF16_DB8_Li256ELi8ELi16ELb0ELb1ELb1ELb0ELb0ELb0EEEvPT0_PvPT_S6_S6_PKS5_S8_S8_S8_S8_ffiiiiiiiiiiiii,comdat
.Lfunc_end489:
	.size	_ZN5aiter35fused_qk_rmsnorm_group_quant_kernelIDF16_DB8_Li256ELi8ELi16ELb0ELb1ELb1ELb0ELb0ELb0EEEvPT0_PvPT_S6_S6_PKS5_S8_S8_S8_S8_ffiiiiiiiiiiiii, .Lfunc_end489-_ZN5aiter35fused_qk_rmsnorm_group_quant_kernelIDF16_DB8_Li256ELi8ELi16ELb0ELb1ELb1ELb0ELb0ELb0EEEvPT0_PvPT_S6_S6_PKS5_S8_S8_S8_S8_ffiiiiiiiiiiiii
                                        ; -- End function
	.section	.AMDGPU.csdata,"",@progbits
; Kernel info:
; codeLenInByte = 2700
; NumSgprs: 40
; NumVgprs: 23
; NumAgprs: 0
; TotalNumVgprs: 23
; ScratchSize: 0
; MemoryBound: 0
; FloatMode: 240
; IeeeMode: 1
; LDSByteSize: 32 bytes/workgroup (compile time only)
; SGPRBlocks: 4
; VGPRBlocks: 2
; NumSGPRsForWavesPerEU: 40
; NumVGPRsForWavesPerEU: 23
; AccumOffset: 24
; Occupancy: 8
; WaveLimiterHint : 0
; COMPUTE_PGM_RSRC2:SCRATCH_EN: 0
; COMPUTE_PGM_RSRC2:USER_SGPR: 6
; COMPUTE_PGM_RSRC2:TRAP_HANDLER: 0
; COMPUTE_PGM_RSRC2:TGID_X_EN: 1
; COMPUTE_PGM_RSRC2:TGID_Y_EN: 1
; COMPUTE_PGM_RSRC2:TGID_Z_EN: 0
; COMPUTE_PGM_RSRC2:TIDIG_COMP_CNT: 0
; COMPUTE_PGM_RSRC3_GFX90A:ACCUM_OFFSET: 5
; COMPUTE_PGM_RSRC3_GFX90A:TG_SPLIT: 0
	.section	.text._ZN5aiter35fused_qk_rmsnorm_group_quant_kernelItDB8_Li256ELi8ELi16ELb0ELb1ELb1ELb0ELb0ELb0EEEvPT0_PvPT_S6_S6_PKS5_S8_S8_S8_S8_ffiiiiiiiiiiiii,"axG",@progbits,_ZN5aiter35fused_qk_rmsnorm_group_quant_kernelItDB8_Li256ELi8ELi16ELb0ELb1ELb1ELb0ELb0ELb0EEEvPT0_PvPT_S6_S6_PKS5_S8_S8_S8_S8_ffiiiiiiiiiiiii,comdat
	.protected	_ZN5aiter35fused_qk_rmsnorm_group_quant_kernelItDB8_Li256ELi8ELi16ELb0ELb1ELb1ELb0ELb0ELb0EEEvPT0_PvPT_S6_S6_PKS5_S8_S8_S8_S8_ffiiiiiiiiiiiii ; -- Begin function _ZN5aiter35fused_qk_rmsnorm_group_quant_kernelItDB8_Li256ELi8ELi16ELb0ELb1ELb1ELb0ELb0ELb0EEEvPT0_PvPT_S6_S6_PKS5_S8_S8_S8_S8_ffiiiiiiiiiiiii
	.globl	_ZN5aiter35fused_qk_rmsnorm_group_quant_kernelItDB8_Li256ELi8ELi16ELb0ELb1ELb1ELb0ELb0ELb0EEEvPT0_PvPT_S6_S6_PKS5_S8_S8_S8_S8_ffiiiiiiiiiiiii
	.p2align	8
	.type	_ZN5aiter35fused_qk_rmsnorm_group_quant_kernelItDB8_Li256ELi8ELi16ELb0ELb1ELb1ELb0ELb0ELb0EEEvPT0_PvPT_S6_S6_PKS5_S8_S8_S8_S8_ffiiiiiiiiiiiii,@function
_ZN5aiter35fused_qk_rmsnorm_group_quant_kernelItDB8_Li256ELi8ELi16ELb0ELb1ELb1ELb0ELb0ELb0EEEvPT0_PvPT_S6_S6_PKS5_S8_S8_S8_S8_ffiiiiiiiiiiiii: ; @_ZN5aiter35fused_qk_rmsnorm_group_quant_kernelItDB8_Li256ELi8ELi16ELb0ELb1ELb1ELb0ELb0ELb0EEEvPT0_PvPT_S6_S6_PKS5_S8_S8_S8_S8_ffiiiiiiiiiiiii
; %bb.0:
	s_load_dwordx4 s[16:19], s[4:5], 0x50
	s_waitcnt lgkmcnt(0)
	s_cmp_ge_i32 s6, s18
	s_cbranch_scc1 .LBB490_10
; %bb.1:
	s_load_dwordx2 s[12:13], s[4:5], 0x48
	s_load_dwordx2 s[30:31], s[4:5], 0x30
	s_load_dwordx4 s[20:23], s[4:5], 0x60
	s_cmp_lg_u32 s7, 0
	s_cselect_b64 s[14:15], -1, 0
	s_cmp_eq_u32 s7, 0
	s_cselect_b64 vcc, -1, 0
	s_and_b64 s[0:1], vcc, exec
	s_waitcnt lgkmcnt(0)
	s_cselect_b32 s7, s19, s20
	s_add_i32 s0, s7, 1
	s_lshr_b32 s1, s0, 31
	s_add_i32 s0, s0, s1
	s_lshl_b32 s0, s0, 1
	v_lshlrev_b32_e32 v1, 3, v0
	s_and_b32 s10, s0, -4
	v_cmp_gt_i32_e64 s[2:3], s7, v1
	v_mov_b32_e32 v2, 0
	v_mov_b32_e32 v3, 0
	;; [unrolled: 1-line block ×8, first 2 shown]
	s_and_saveexec_b64 s[0:1], s[2:3]
	s_cbranch_execz .LBB490_3
; %bb.2:
	s_load_dwordx2 s[8:9], s[4:5], 0x28
	s_load_dwordx2 s[26:27], s[4:5], 0x40
	s_and_b64 s[24:25], vcc, exec
	s_cselect_b32 s11, s21, s22
	v_lshlrev_b32_e32 v10, 4, v0
	s_waitcnt lgkmcnt(0)
	s_cselect_b32 s18, s9, s31
	s_cselect_b32 s21, s8, s30
	s_mul_hi_i32 s9, s11, s6
	s_mul_i32 s8, s11, s6
	s_lshl_b64 s[8:9], s[8:9], 1
	s_add_u32 s24, s21, s8
	s_addc_u32 s18, s18, s9
	s_and_b64 s[8:9], vcc, exec
	s_mov_b32 s11, 0x20000
	s_cselect_b32 s8, s26, s12
	s_cselect_b32 s9, s27, s13
	s_and_b32 s25, s18, 0xffff
	s_mov_b32 s26, s10
	s_mov_b32 s27, s11
	s_and_b32 s9, s9, 0xffff
	buffer_load_dwordx4 v[6:9], v10, s[24:27], 0 offen glc slc
	buffer_load_dwordx4 v[2:5], v10, s[8:11], 0 offen
.LBB490_3:
	s_or_b64 exec, exec, s[0:1]
	s_waitcnt vmcnt(1)
	v_cvt_f32_u32_sdwa v13, v6 dst_sel:DWORD dst_unused:UNUSED_PAD src0_sel:WORD_1
	v_cvt_f32_u32_sdwa v12, v6 dst_sel:DWORD dst_unused:UNUSED_PAD src0_sel:WORD_0
	v_cvt_f32_u32_sdwa v6, v9 dst_sel:DWORD dst_unused:UNUSED_PAD src0_sel:WORD_1
	v_cvt_f32_u32_sdwa v9, v9 dst_sel:DWORD dst_unused:UNUSED_PAD src0_sel:WORD_0
	;; [unrolled: 2-line block ×4, first 2 shown]
	v_cndmask_b32_e64 v13, 0, v13, s[2:3]
	v_cndmask_b32_e64 v7, 0, v6, s[2:3]
	;; [unrolled: 1-line block ×5, first 2 shown]
	v_mul_f32_e32 v14, v13, v13
	v_cndmask_b32_e64 v10, 0, v10, s[2:3]
	v_fmac_f32_e32 v14, v12, v12
	v_cndmask_b32_e64 v11, 0, v11, s[2:3]
	v_fmac_f32_e32 v14, v10, v10
	;; [unrolled: 2-line block ×3, first 2 shown]
	v_fmac_f32_e32 v14, v8, v8
	v_fmac_f32_e32 v14, v9, v9
	;; [unrolled: 1-line block ×4, first 2 shown]
	v_and_b32_e32 v16, 63, v0
	v_cmp_eq_u32_e64 s[0:1], 63, v16
	v_mov_b32_dpp v15, v14 quad_perm:[1,0,3,2] row_mask:0xf bank_mask:0xf
	v_add_f32_e32 v14, v14, v15
	s_nop 1
	v_mov_b32_dpp v15, v14 quad_perm:[2,3,0,1] row_mask:0xf bank_mask:0xf
	v_add_f32_e32 v14, v14, v15
	s_nop 1
	v_mov_b32_dpp v15, v14 row_half_mirror row_mask:0xf bank_mask:0xf
	v_add_f32_e32 v14, v14, v15
	s_nop 1
	v_mov_b32_dpp v15, v14 row_mirror row_mask:0xf bank_mask:0xf
	v_add_f32_e32 v14, v14, v15
	s_nop 1
	v_mov_b32_dpp v15, v14 row_bcast:15 row_mask:0xf bank_mask:0xf
	v_add_f32_e32 v14, v14, v15
	s_nop 1
	v_mov_b32_dpp v15, v14 row_bcast:31 row_mask:0xf bank_mask:0xf
	s_and_saveexec_b64 s[8:9], s[0:1]
	s_cbranch_execz .LBB490_5
; %bb.4:
	v_add_f32_e32 v14, v14, v15
	v_lshrrev_b32_e32 v15, 4, v0
	v_and_b32_e32 v15, 60, v15
	ds_write_b32 v15, v14 offset:16
.LBB490_5:
	s_or_b64 exec, exec, s[8:9]
	v_and_b32_e32 v14, 3, v0
	v_lshlrev_b32_e32 v14, 2, v14
	s_waitcnt lgkmcnt(0)
	s_barrier
	ds_read_b32 v15, v14 offset:16
	s_load_dwordx2 s[28:29], s[4:5], 0x18
	s_waitcnt lgkmcnt(0)
	v_mov_b32_dpp v16, v15 quad_perm:[1,0,3,2] row_mask:0xf bank_mask:0xf
	v_add_f32_e32 v15, v15, v16
	s_nop 1
	v_mov_b32_dpp v16, v15 quad_perm:[2,3,0,1] row_mask:0xf bank_mask:0xf
	s_and_saveexec_b64 s[8:9], s[2:3]
	s_cbranch_execz .LBB490_7
; %bb.6:
	v_cvt_f32_u32_e32 v17, s7
	v_add_f32_e32 v15, v15, v16
	v_mov_b32_e32 v19, s17
	v_mov_b32_e32 v20, s16
	v_div_scale_f32 v16, s[24:25], v17, v17, v15
	v_rcp_f32_e32 v18, v16
	v_cndmask_b32_e32 v19, v19, v20, vcc
	s_mov_b32 s7, 0x800000
	v_fma_f32 v20, -v16, v18, 1.0
	v_fmac_f32_e32 v18, v20, v18
	v_div_scale_f32 v20, vcc, v15, v17, v15
	v_mul_f32_e32 v21, v20, v18
	v_fma_f32 v22, -v16, v21, v20
	v_fmac_f32_e32 v21, v22, v18
	v_fma_f32 v16, -v16, v21, v20
	v_div_fmas_f32 v16, v16, v18, v21
	v_div_fixup_f32 v15, v16, v17, v15
	v_add_f32_e32 v15, v19, v15
	v_mul_f32_e32 v16, 0x4b800000, v15
	v_cmp_gt_f32_e32 vcc, s7, v15
	v_cndmask_b32_e32 v15, v15, v16, vcc
	v_rsq_f32_e32 v15, v15
	s_waitcnt vmcnt(0)
	v_cvt_f32_u32_sdwa v19, v2 dst_sel:DWORD dst_unused:UNUSED_PAD src0_sel:WORD_1
	v_cvt_f32_u32_sdwa v18, v2 dst_sel:DWORD dst_unused:UNUSED_PAD src0_sel:WORD_0
	v_cvt_f32_u32_sdwa v21, v3 dst_sel:DWORD dst_unused:UNUSED_PAD src0_sel:WORD_1
	v_mul_f32_e32 v16, 0x45800000, v15
	v_cndmask_b32_e32 v16, v15, v16, vcc
	v_mov_b32_e32 v17, v16
	;;#ASMSTART
	v_pk_mul_f32 v[12:13], v[12:13], v[16:17]
	;;#ASMEND
	;;#ASMSTART
	v_pk_mul_f32 v[10:11], v[10:11], v[16:17]
	;;#ASMEND
	;; [unrolled: 3-line block ×3, first 2 shown]
	v_cvt_f32_u32_sdwa v20, v3 dst_sel:DWORD dst_unused:UNUSED_PAD src0_sel:WORD_0
	;;#ASMSTART
	v_pk_mul_f32 v[2:3], v[6:7], v[16:17]
	;;#ASMEND
	v_cvt_f32_u32_sdwa v17, v4 dst_sel:DWORD dst_unused:UNUSED_PAD src0_sel:WORD_1
	v_cvt_f32_u32_sdwa v16, v4 dst_sel:DWORD dst_unused:UNUSED_PAD src0_sel:WORD_0
	v_pk_add_f32 v[6:7], v[18:19], 1.0 op_sel_hi:[1,0]
	v_cvt_f32_u32_sdwa v19, v5 dst_sel:DWORD dst_unused:UNUSED_PAD src0_sel:WORD_1
	v_cvt_f32_u32_sdwa v18, v5 dst_sel:DWORD dst_unused:UNUSED_PAD src0_sel:WORD_0
	;;#ASMSTART
	v_pk_mul_f32 v[12:13], v[12:13], v[6:7]
	;;#ASMEND
	v_pk_add_f32 v[6:7], v[20:21], 1.0 op_sel_hi:[1,0]
	v_pk_add_f32 v[4:5], v[16:17], 1.0 op_sel_hi:[1,0]
	;;#ASMSTART
	v_pk_mul_f32 v[10:11], v[10:11], v[6:7]
	;;#ASMEND
	;;#ASMSTART
	v_pk_mul_f32 v[8:9], v[8:9], v[4:5]
	;;#ASMEND
	v_pk_add_f32 v[4:5], v[18:19], 1.0 op_sel_hi:[1,0]
	;;#ASMSTART
	v_pk_mul_f32 v[6:7], v[2:3], v[4:5]
	;;#ASMEND
.LBB490_7:
	s_or_b64 exec, exec, s[8:9]
	s_load_dword s7, s[4:5], 0x80
	s_mov_b64 s[8:9], -1
	s_and_b64 vcc, exec, s[14:15]
	s_cbranch_vccnz .LBB490_11
; %bb.8:
	s_andn2_b64 vcc, exec, s[8:9]
	s_cbranch_vccz .LBB490_14
.LBB490_9:
	s_cmp_lt_i32 s20, 1
	s_cbranch_scc0 .LBB490_23
.LBB490_10:
	s_endpgm
.LBB490_11:
	s_and_saveexec_b64 s[14:15], s[2:3]
	s_cbranch_execz .LBB490_13
; %bb.12:
	s_waitcnt lgkmcnt(0)
	s_mul_hi_i32 s9, s7, s6
	s_mul_i32 s8, s7, s6
	s_lshl_b64 s[8:9], s[8:9], 1
	s_add_u32 s8, s28, s8
	s_addc_u32 s9, s29, s9
	s_mov_b32 s16, 0x7060302
	s_and_b32 s9, s9, 0xffff
	s_mov_b32 s11, 0x20000
	s_waitcnt vmcnt(0)
	v_perm_b32 v2, v13, v12, s16
	v_perm_b32 v3, v11, v10, s16
	;; [unrolled: 1-line block ×4, first 2 shown]
	v_lshlrev_b32_e32 v15, 4, v0
	buffer_store_dwordx4 v[2:5], v15, s[8:11], 0 offen
	;;#ASMSTART
	s_nop 0
	;;#ASMEND
.LBB490_13:
	s_or_b64 exec, exec, s[14:15]
	s_cbranch_execnz .LBB490_9
.LBB490_14:
	s_load_dwordx4 s[24:27], s[4:5], 0x70
	s_waitcnt vmcnt(0)
	v_mov_b32_e32 v2, 0
	s_and_saveexec_b64 s[14:15], s[2:3]
	s_cbranch_execz .LBB490_16
; %bb.15:
	s_load_dwordx2 s[8:9], s[4:5], 0x10
	s_waitcnt lgkmcnt(0)
	s_mul_hi_i32 s35, s27, s6
	s_mul_i32 s34, s27, s6
	s_lshl_b64 s[34:35], s[34:35], 1
	s_mov_b32 s16, 0x7060302
	s_add_u32 s8, s8, s34
	s_addc_u32 s9, s9, s35
	s_mov_b32 s11, 0x20000
	s_and_b32 s9, s9, 0xffff
	v_perm_b32 v2, v13, v12, s16
	v_perm_b32 v3, v11, v10, s16
	;; [unrolled: 1-line block ×4, first 2 shown]
	v_lshlrev_b32_e32 v15, 4, v0
	buffer_store_dwordx4 v[2:5], v15, s[8:11], 0 offen
	;;#ASMSTART
	s_nop 0
	;;#ASMEND
	s_nop 0
	v_mov_b32_e32 v2, 0x2edbe6ff
.LBB490_16:
	s_or_b64 exec, exec, s[14:15]
	s_and_saveexec_b64 s[8:9], s[2:3]
	s_cbranch_execz .LBB490_18
; %bb.17:
	v_and_b32_e32 v3, 0x7fffffff, v12
	v_and_b32_e32 v4, 0x7fffffff, v13
	;;#ASMSTART
	v_max3_f32 v2, v2, v3, v4

	;;#ASMEND
	v_and_b32_e32 v3, 0x7fffffff, v10
	v_and_b32_e32 v4, 0x7fffffff, v11
	;;#ASMSTART
	v_max3_f32 v2, v2, v3, v4

	;;#ASMEND
	v_and_b32_e32 v3, 0x7fffffff, v8
	v_and_b32_e32 v4, 0x7fffffff, v9
	;;#ASMSTART
	v_max3_f32 v2, v2, v3, v4

	;;#ASMEND
	v_and_b32_e32 v3, 0x7fffffff, v6
	v_and_b32_e32 v4, 0x7fffffff, v7
	;;#ASMSTART
	v_max3_f32 v2, v2, v3, v4

	;;#ASMEND
.LBB490_18:
	s_or_b64 exec, exec, s[8:9]
	;;#ASMSTART
	v_max_f32 v3, v2, v2 quad_perm:[1,0,3,2] row_mask:0xf bank_mask:0xf bound_ctrl:1
	;;#ASMEND
	;;#ASMSTART
	v_max_f32 v2, v3, v3 quad_perm:[2,3,0,1] row_mask:0xf bank_mask:0xf bound_ctrl:1
	;;#ASMEND
	;;#ASMSTART
	v_max_f32 v3, v2, v2 row_half_mirror row_mask:0xf bank_mask:0xf bound_ctrl:1
	;;#ASMEND
	;;#ASMSTART
	v_max_f32 v2, v3, v3 row_mirror row_mask:0xf bank_mask:0xf bound_ctrl:1
	;;#ASMEND
	v_and_b32_e32 v3, 15, v0
	v_cmp_eq_u32_e32 vcc, 0, v3
	v_cmp_gt_i32_e64 s[8:9], s19, v1
	v_mul_f32_e32 v2, 0x3b124925, v2
	s_and_b64 s[10:11], vcc, s[8:9]
	s_and_saveexec_b64 s[8:9], s[10:11]
	s_cbranch_execz .LBB490_20
; %bb.19:
	s_load_dwordx2 s[10:11], s[4:5], 0x8
	s_waitcnt lgkmcnt(0)
	s_mul_hi_i32 s15, s25, s6
	s_mul_i32 s14, s25, s6
	v_lshrrev_b32_e32 v3, 4, v0
	s_lshl_b64 s[14:15], s[14:15], 2
	v_mad_i64_i32 v[4:5], s[26:27], s26, v3, 0
	s_add_u32 s10, s10, s14
	s_addc_u32 s11, s11, s15
	v_lshlrev_b64 v[4:5], 2, v[4:5]
	v_mov_b32_e32 v3, s11
	v_add_co_u32_e32 v4, vcc, s10, v4
	v_addc_co_u32_e32 v5, vcc, v3, v5, vcc
	global_store_dword v[4:5], v2, off
.LBB490_20:
	s_or_b64 exec, exec, s[8:9]
	;;#ASMSTART
	v_rcp_f32 v2, v2
	;;#ASMEND
	s_and_saveexec_b64 s[14:15], s[2:3]
	s_cbranch_execz .LBB490_22
; %bb.21:
	s_load_dwordx2 s[2:3], s[4:5], 0x0
	s_waitcnt lgkmcnt(0)
	s_mul_i32 s8, s24, s6
	s_mul_hi_i32 s9, s24, s6
	v_mov_b32_e32 v3, v2
	;;#ASMSTART
	v_pk_mul_f32 v[4:5], v[12:13], v[2:3]
	;;#ASMEND
	s_add_u32 s8, s2, s8
	s_addc_u32 s2, s3, s9
	s_add_i32 s3, s19, 3
	s_ashr_i32 s9, s3, 31
	v_mov_b32_e32 v12, 0xc3e00000
	v_mov_b32_e32 v13, 0x43e00000
	;;#ASMSTART
	v_med3_f32 v4, v4, v12, v13
v_med3_f32 v5, v5, v12, v13
v_cvt_pk_fp8_f32 v15, v4, v5
	;;#ASMEND
	s_lshr_b32 s9, s9, 30
	;;#ASMSTART
	v_pk_mul_f32 v[4:5], v[10:11], v[2:3]
	;;#ASMEND
	s_add_i32 s3, s3, s9
	s_and_b32 s9, s2, 0xffff
	;;#ASMSTART
	v_med3_f32 v4, v4, v12, v13
v_med3_f32 v5, v5, v12, v13
v_cvt_pk_fp8_f32 v10, v4, v5
	;;#ASMEND
	s_mov_b32 s2, 0x5040100
	v_perm_b32 v5, v10, v15, s2
	s_movk_i32 s2, 0xff
	v_and_b32_e32 v4, 0xffffff00, v10
	v_and_b32_sdwa v10, v5, s2 dst_sel:DWORD dst_unused:UNUSED_PAD src0_sel:WORD_1 src1_sel:DWORD
	s_mov_b32 s16, 0xffff
	v_or_b32_sdwa v4, v10, v4 dst_sel:WORD_1 dst_unused:UNUSED_PAD src0_sel:DWORD src1_sel:DWORD
	v_and_or_b32 v4, v5, s16, v4
	;;#ASMSTART
	v_pk_mul_f32 v[8:9], v[8:9], v[2:3]
	;;#ASMEND
	v_mov_b32_e32 v5, v9
	;;#ASMSTART
	v_med3_f32 v8, v8, v12, v13
v_med3_f32 v5, v5, v12, v13
v_cvt_pk_fp8_f32 v9, v8, v5
	;;#ASMEND
	;;#ASMSTART
	v_pk_mul_f32 v[2:3], v[6:7], v[2:3]
	;;#ASMEND
	;;#ASMSTART
	v_med3_f32 v2, v2, v12, v13
v_med3_f32 v3, v3, v12, v13
v_cvt_pk_fp8_f32 v5, v2, v3
	;;#ASMEND
	v_lshlrev_b32_e32 v2, 16, v5
	s_and_b32 s10, s3, -4
	s_mov_b32 s11, 0x20000
	v_and_or_b32 v5, v9, s16, v2
	buffer_store_dwordx2 v[4:5], v1, s[8:11], 0 offen
	;;#ASMSTART
	s_nop 0
	;;#ASMEND
.LBB490_22:
	s_or_b64 exec, exec, s[14:15]
	s_cmp_lt_i32 s20, 1
	s_cbranch_scc1 .LBB490_10
.LBB490_23:
	s_load_dword s2, s[4:5], 0x94
	s_waitcnt lgkmcnt(0)
	s_cmp_lg_u32 s2, 1
	s_cbranch_scc1 .LBB490_10
; %bb.24:
	s_lshl_b32 s2, s20, 1
	s_add_i32 s2, s2, 2
	v_cmp_gt_u32_e32 vcc, s20, v1
	s_and_b32 s14, s2, -4
	v_mov_b32_e32 v6, 0
	v_lshlrev_b32_e32 v1, 4, v0
	v_mov_b32_e32 v7, 0
	v_mov_b32_e32 v8, 0
	;; [unrolled: 1-line block ×3, first 2 shown]
	s_waitcnt vmcnt(0)
	v_mov_b32_e32 v2, 0
	v_mov_b32_e32 v3, 0
	;; [unrolled: 1-line block ×4, first 2 shown]
	s_barrier
	s_and_saveexec_b64 s[2:3], vcc
	s_cbranch_execz .LBB490_26
; %bb.25:
	s_mul_hi_i32 s5, s22, s6
	s_mul_i32 s4, s22, s6
	s_and_b32 s13, s13, 0xffff
	s_lshl_b64 s[4:5], s[4:5], 1
	s_add_u32 s8, s30, s4
	s_mov_b32 s15, 0x20000
	s_addc_u32 s4, s31, s5
	s_and_b32 s9, s4, 0xffff
	s_mov_b32 s10, s14
	s_mov_b32 s11, s15
	buffer_load_dwordx4 v[6:9], v1, s[8:11], 0 offen glc slc
	buffer_load_dwordx4 v[2:5], v1, s[12:15], 0 offen
.LBB490_26:
	s_or_b64 exec, exec, s[2:3]
	s_waitcnt vmcnt(1)
	v_cvt_f32_u32_sdwa v13, v6 dst_sel:DWORD dst_unused:UNUSED_PAD src0_sel:WORD_1
	v_cvt_f32_u32_sdwa v12, v6 dst_sel:DWORD dst_unused:UNUSED_PAD src0_sel:WORD_0
	v_cvt_f32_u32_sdwa v6, v9 dst_sel:DWORD dst_unused:UNUSED_PAD src0_sel:WORD_1
	v_cvt_f32_u32_sdwa v9, v9 dst_sel:DWORD dst_unused:UNUSED_PAD src0_sel:WORD_0
	;; [unrolled: 2-line block ×4, first 2 shown]
	v_cndmask_b32_e32 v13, 0, v13, vcc
	v_cndmask_b32_e32 v7, 0, v6, vcc
	;; [unrolled: 1-line block ×5, first 2 shown]
	v_mul_f32_e32 v15, v13, v13
	v_cndmask_b32_e32 v10, 0, v10, vcc
	v_fmac_f32_e32 v15, v12, v12
	v_cndmask_b32_e32 v11, 0, v11, vcc
	v_fmac_f32_e32 v15, v10, v10
	;; [unrolled: 2-line block ×3, first 2 shown]
	v_fmac_f32_e32 v15, v8, v8
	v_fmac_f32_e32 v15, v9, v9
	;; [unrolled: 1-line block ×4, first 2 shown]
	s_nop 1
	v_mov_b32_dpp v16, v15 quad_perm:[1,0,3,2] row_mask:0xf bank_mask:0xf
	v_add_f32_e32 v15, v15, v16
	s_nop 1
	v_mov_b32_dpp v16, v15 quad_perm:[2,3,0,1] row_mask:0xf bank_mask:0xf
	v_add_f32_e32 v15, v15, v16
	s_nop 1
	v_mov_b32_dpp v16, v15 row_half_mirror row_mask:0xf bank_mask:0xf
	v_add_f32_e32 v15, v15, v16
	s_nop 1
	v_mov_b32_dpp v16, v15 row_mirror row_mask:0xf bank_mask:0xf
	v_add_f32_e32 v15, v15, v16
	s_nop 1
	v_mov_b32_dpp v16, v15 row_bcast:15 row_mask:0xf bank_mask:0xf
	v_add_f32_e32 v15, v15, v16
	s_nop 1
	v_mov_b32_dpp v16, v15 row_bcast:31 row_mask:0xf bank_mask:0xf
	s_and_saveexec_b64 s[2:3], s[0:1]
	s_cbranch_execz .LBB490_28
; %bb.27:
	v_lshrrev_b32_e32 v0, 4, v0
	v_add_f32_e32 v15, v15, v16
	v_and_b32_e32 v0, 60, v0
	ds_write_b32 v0, v15
.LBB490_28:
	s_or_b64 exec, exec, s[2:3]
	s_waitcnt lgkmcnt(0)
	s_barrier
	ds_read_b32 v0, v14
	s_waitcnt lgkmcnt(0)
	s_nop 0
	v_mov_b32_dpp v14, v0 quad_perm:[1,0,3,2] row_mask:0xf bank_mask:0xf
	v_add_f32_e32 v0, v0, v14
	s_nop 1
	v_mov_b32_dpp v14, v0 quad_perm:[2,3,0,1] row_mask:0xf bank_mask:0xf
	s_and_saveexec_b64 s[0:1], vcc
	s_cbranch_execz .LBB490_10
; %bb.29:
	v_cvt_f32_u32_e32 v15, s20
	v_add_f32_e32 v0, v0, v14
	s_mov_b32 s15, 0x20000
	v_div_scale_f32 v14, s[0:1], v15, v15, v0
	v_rcp_f32_e32 v16, v14
	v_div_scale_f32 v17, vcc, v0, v15, v0
	s_mov_b32 s0, 0x800000
	v_fma_f32 v18, -v14, v16, 1.0
	v_fmac_f32_e32 v16, v18, v16
	v_mul_f32_e32 v18, v17, v16
	v_fma_f32 v19, -v14, v18, v17
	v_fmac_f32_e32 v18, v19, v16
	v_fma_f32 v14, -v14, v18, v17
	v_div_fmas_f32 v14, v14, v16, v18
	v_div_fixup_f32 v0, v14, v15, v0
	v_add_f32_e32 v0, s17, v0
	v_mul_f32_e32 v14, 0x4b800000, v0
	v_cmp_gt_f32_e32 vcc, s0, v0
	v_cndmask_b32_e32 v0, v0, v14, vcc
	v_rsq_f32_e32 v0, v0
	s_waitcnt vmcnt(0)
	v_cvt_f32_u32_sdwa v17, v2 dst_sel:DWORD dst_unused:UNUSED_PAD src0_sel:WORD_1
	v_cvt_f32_u32_sdwa v16, v2 dst_sel:DWORD dst_unused:UNUSED_PAD src0_sel:WORD_0
	v_cvt_f32_u32_sdwa v19, v3 dst_sel:DWORD dst_unused:UNUSED_PAD src0_sel:WORD_1
	v_mul_f32_e32 v14, 0x45800000, v0
	v_cndmask_b32_e32 v14, v0, v14, vcc
	v_mov_b32_e32 v15, v14
	;;#ASMSTART
	v_pk_mul_f32 v[12:13], v[12:13], v[14:15]
	;;#ASMEND
	;;#ASMSTART
	v_pk_mul_f32 v[10:11], v[10:11], v[14:15]
	;;#ASMEND
	;; [unrolled: 3-line block ×3, first 2 shown]
	v_cvt_f32_u32_sdwa v18, v3 dst_sel:DWORD dst_unused:UNUSED_PAD src0_sel:WORD_0
	;;#ASMSTART
	v_pk_mul_f32 v[2:3], v[6:7], v[14:15]
	;;#ASMEND
	v_cvt_f32_u32_sdwa v15, v4 dst_sel:DWORD dst_unused:UNUSED_PAD src0_sel:WORD_1
	v_cvt_f32_u32_sdwa v14, v4 dst_sel:DWORD dst_unused:UNUSED_PAD src0_sel:WORD_0
	v_pk_add_f32 v[6:7], v[16:17], 1.0 op_sel_hi:[1,0]
	v_cvt_f32_u32_sdwa v17, v5 dst_sel:DWORD dst_unused:UNUSED_PAD src0_sel:WORD_1
	v_cvt_f32_u32_sdwa v16, v5 dst_sel:DWORD dst_unused:UNUSED_PAD src0_sel:WORD_0
	s_mul_hi_i32 s1, s7, s6
	s_mul_i32 s0, s7, s6
	s_lshl_b64 s[0:1], s[0:1], 1
	s_add_u32 s12, s28, s0
	;;#ASMSTART
	v_pk_mul_f32 v[6:7], v[12:13], v[6:7]
	;;#ASMEND
	v_pk_add_f32 v[12:13], v[18:19], 1.0 op_sel_hi:[1,0]
	;;#ASMSTART
	v_pk_mul_f32 v[4:5], v[10:11], v[12:13]
	;;#ASMEND
	v_pk_add_f32 v[10:11], v[14:15], 1.0 op_sel_hi:[1,0]
	s_addc_u32 s0, s29, s1
	;;#ASMSTART
	v_pk_mul_f32 v[8:9], v[8:9], v[10:11]
	;;#ASMEND
	v_pk_add_f32 v[10:11], v[16:17], 1.0 op_sel_hi:[1,0]
	s_and_b32 s13, s0, 0xffff
	s_mov_b32 s0, 0x7060302
	;;#ASMSTART
	v_pk_mul_f32 v[10:11], v[2:3], v[10:11]
	;;#ASMEND
	v_perm_b32 v2, v7, v6, s0
	v_perm_b32 v3, v5, v4, s0
	v_perm_b32 v4, v9, v8, s0
	v_perm_b32 v5, v11, v10, s0
	buffer_store_dwordx4 v[2:5], v1, s[12:15], 0 offen
	;;#ASMSTART
	s_nop 0
	;;#ASMEND
	s_endpgm
	.section	.rodata,"a",@progbits
	.p2align	6, 0x0
	.amdhsa_kernel _ZN5aiter35fused_qk_rmsnorm_group_quant_kernelItDB8_Li256ELi8ELi16ELb0ELb1ELb1ELb0ELb0ELb0EEEvPT0_PvPT_S6_S6_PKS5_S8_S8_S8_S8_ffiiiiiiiiiiiii
		.amdhsa_group_segment_fixed_size 32
		.amdhsa_private_segment_fixed_size 0
		.amdhsa_kernarg_size 400
		.amdhsa_user_sgpr_count 6
		.amdhsa_user_sgpr_private_segment_buffer 1
		.amdhsa_user_sgpr_dispatch_ptr 0
		.amdhsa_user_sgpr_queue_ptr 0
		.amdhsa_user_sgpr_kernarg_segment_ptr 1
		.amdhsa_user_sgpr_dispatch_id 0
		.amdhsa_user_sgpr_flat_scratch_init 0
		.amdhsa_user_sgpr_kernarg_preload_length 0
		.amdhsa_user_sgpr_kernarg_preload_offset 0
		.amdhsa_user_sgpr_private_segment_size 0
		.amdhsa_uses_dynamic_stack 0
		.amdhsa_system_sgpr_private_segment_wavefront_offset 0
		.amdhsa_system_sgpr_workgroup_id_x 1
		.amdhsa_system_sgpr_workgroup_id_y 1
		.amdhsa_system_sgpr_workgroup_id_z 0
		.amdhsa_system_sgpr_workgroup_info 0
		.amdhsa_system_vgpr_workitem_id 0
		.amdhsa_next_free_vgpr 23
		.amdhsa_next_free_sgpr 36
		.amdhsa_accum_offset 24
		.amdhsa_reserve_vcc 1
		.amdhsa_reserve_flat_scratch 0
		.amdhsa_float_round_mode_32 0
		.amdhsa_float_round_mode_16_64 0
		.amdhsa_float_denorm_mode_32 3
		.amdhsa_float_denorm_mode_16_64 3
		.amdhsa_dx10_clamp 1
		.amdhsa_ieee_mode 1
		.amdhsa_fp16_overflow 0
		.amdhsa_tg_split 0
		.amdhsa_exception_fp_ieee_invalid_op 0
		.amdhsa_exception_fp_denorm_src 0
		.amdhsa_exception_fp_ieee_div_zero 0
		.amdhsa_exception_fp_ieee_overflow 0
		.amdhsa_exception_fp_ieee_underflow 0
		.amdhsa_exception_fp_ieee_inexact 0
		.amdhsa_exception_int_div_zero 0
	.end_amdhsa_kernel
	.section	.text._ZN5aiter35fused_qk_rmsnorm_group_quant_kernelItDB8_Li256ELi8ELi16ELb0ELb1ELb1ELb0ELb0ELb0EEEvPT0_PvPT_S6_S6_PKS5_S8_S8_S8_S8_ffiiiiiiiiiiiii,"axG",@progbits,_ZN5aiter35fused_qk_rmsnorm_group_quant_kernelItDB8_Li256ELi8ELi16ELb0ELb1ELb1ELb0ELb0ELb0EEEvPT0_PvPT_S6_S6_PKS5_S8_S8_S8_S8_ffiiiiiiiiiiiii,comdat
.Lfunc_end490:
	.size	_ZN5aiter35fused_qk_rmsnorm_group_quant_kernelItDB8_Li256ELi8ELi16ELb0ELb1ELb1ELb0ELb0ELb0EEEvPT0_PvPT_S6_S6_PKS5_S8_S8_S8_S8_ffiiiiiiiiiiiii, .Lfunc_end490-_ZN5aiter35fused_qk_rmsnorm_group_quant_kernelItDB8_Li256ELi8ELi16ELb0ELb1ELb1ELb0ELb0ELb0EEEvPT0_PvPT_S6_S6_PKS5_S8_S8_S8_S8_ffiiiiiiiiiiiii
                                        ; -- End function
	.section	.AMDGPU.csdata,"",@progbits
; Kernel info:
; codeLenInByte = 2692
; NumSgprs: 40
; NumVgprs: 23
; NumAgprs: 0
; TotalNumVgprs: 23
; ScratchSize: 0
; MemoryBound: 0
; FloatMode: 240
; IeeeMode: 1
; LDSByteSize: 32 bytes/workgroup (compile time only)
; SGPRBlocks: 4
; VGPRBlocks: 2
; NumSGPRsForWavesPerEU: 40
; NumVGPRsForWavesPerEU: 23
; AccumOffset: 24
; Occupancy: 8
; WaveLimiterHint : 0
; COMPUTE_PGM_RSRC2:SCRATCH_EN: 0
; COMPUTE_PGM_RSRC2:USER_SGPR: 6
; COMPUTE_PGM_RSRC2:TRAP_HANDLER: 0
; COMPUTE_PGM_RSRC2:TGID_X_EN: 1
; COMPUTE_PGM_RSRC2:TGID_Y_EN: 1
; COMPUTE_PGM_RSRC2:TGID_Z_EN: 0
; COMPUTE_PGM_RSRC2:TIDIG_COMP_CNT: 0
; COMPUTE_PGM_RSRC3_GFX90A:ACCUM_OFFSET: 5
; COMPUTE_PGM_RSRC3_GFX90A:TG_SPLIT: 0
	.section	.text._ZN5aiter35fused_qk_rmsnorm_group_quant_kernelIDF16_N4opus5fp4_tELi256ELi8ELi16ELb0ELb1ELb1ELb0ELb0ELb0EEEvPT0_PvPT_S7_S7_PKS6_S9_S9_S9_S9_ffiiiiiiiiiiiii,"axG",@progbits,_ZN5aiter35fused_qk_rmsnorm_group_quant_kernelIDF16_N4opus5fp4_tELi256ELi8ELi16ELb0ELb1ELb1ELb0ELb0ELb0EEEvPT0_PvPT_S7_S7_PKS6_S9_S9_S9_S9_ffiiiiiiiiiiiii,comdat
	.protected	_ZN5aiter35fused_qk_rmsnorm_group_quant_kernelIDF16_N4opus5fp4_tELi256ELi8ELi16ELb0ELb1ELb1ELb0ELb0ELb0EEEvPT0_PvPT_S7_S7_PKS6_S9_S9_S9_S9_ffiiiiiiiiiiiii ; -- Begin function _ZN5aiter35fused_qk_rmsnorm_group_quant_kernelIDF16_N4opus5fp4_tELi256ELi8ELi16ELb0ELb1ELb1ELb0ELb0ELb0EEEvPT0_PvPT_S7_S7_PKS6_S9_S9_S9_S9_ffiiiiiiiiiiiii
	.globl	_ZN5aiter35fused_qk_rmsnorm_group_quant_kernelIDF16_N4opus5fp4_tELi256ELi8ELi16ELb0ELb1ELb1ELb0ELb0ELb0EEEvPT0_PvPT_S7_S7_PKS6_S9_S9_S9_S9_ffiiiiiiiiiiiii
	.p2align	8
	.type	_ZN5aiter35fused_qk_rmsnorm_group_quant_kernelIDF16_N4opus5fp4_tELi256ELi8ELi16ELb0ELb1ELb1ELb0ELb0ELb0EEEvPT0_PvPT_S7_S7_PKS6_S9_S9_S9_S9_ffiiiiiiiiiiiii,@function
_ZN5aiter35fused_qk_rmsnorm_group_quant_kernelIDF16_N4opus5fp4_tELi256ELi8ELi16ELb0ELb1ELb1ELb0ELb0ELb0EEEvPT0_PvPT_S7_S7_PKS6_S9_S9_S9_S9_ffiiiiiiiiiiiii: ; @_ZN5aiter35fused_qk_rmsnorm_group_quant_kernelIDF16_N4opus5fp4_tELi256ELi8ELi16ELb0ELb1ELb1ELb0ELb0ELb0EEEvPT0_PvPT_S7_S7_PKS6_S9_S9_S9_S9_ffiiiiiiiiiiiii
; %bb.0:
	s_load_dwordx4 s[16:19], s[4:5], 0x50
	s_waitcnt lgkmcnt(0)
	s_cmp_ge_i32 s6, s18
	s_cbranch_scc1 .LBB491_12
; %bb.1:
	s_load_dwordx2 s[12:13], s[4:5], 0x48
	s_load_dwordx2 s[30:31], s[4:5], 0x30
	s_load_dwordx4 s[20:23], s[4:5], 0x60
	s_cmp_lg_u32 s7, 0
	s_cselect_b64 s[14:15], -1, 0
	s_cmp_eq_u32 s7, 0
	s_cselect_b64 vcc, -1, 0
	s_and_b64 s[0:1], vcc, exec
	s_waitcnt lgkmcnt(0)
	s_cselect_b32 s7, s19, s20
	s_add_i32 s0, s7, 1
	s_lshr_b32 s1, s0, 31
	s_add_i32 s0, s0, s1
	s_lshl_b32 s0, s0, 1
	v_lshlrev_b32_e32 v1, 3, v0
	s_and_b32 s10, s0, -4
	v_cmp_gt_i32_e64 s[2:3], s7, v1
	v_mov_b32_e32 v10, 0
	v_mov_b32_e32 v2, 0
	;; [unrolled: 1-line block ×9, first 2 shown]
	s_and_saveexec_b64 s[0:1], s[2:3]
	s_cbranch_execz .LBB491_3
; %bb.2:
	s_load_dwordx2 s[8:9], s[4:5], 0x28
	s_load_dwordx2 s[26:27], s[4:5], 0x40
	s_and_b64 s[24:25], vcc, exec
	s_cselect_b32 s11, s21, s22
	v_lshlrev_b32_e32 v11, 4, v0
	s_waitcnt lgkmcnt(0)
	s_cselect_b32 s18, s9, s31
	s_cselect_b32 s21, s8, s30
	s_mul_hi_i32 s9, s11, s6
	s_mul_i32 s8, s11, s6
	s_lshl_b64 s[8:9], s[8:9], 1
	s_add_u32 s24, s21, s8
	s_addc_u32 s18, s18, s9
	s_and_b64 s[8:9], vcc, exec
	s_mov_b32 s11, 0x20000
	s_cselect_b32 s8, s26, s12
	s_cselect_b32 s9, s27, s13
	s_and_b32 s25, s18, 0xffff
	s_mov_b32 s26, s10
	s_mov_b32 s27, s11
	s_and_b32 s9, s9, 0xffff
	buffer_load_dwordx4 v[6:9], v11, s[24:27], 0 offen glc slc
	buffer_load_dwordx4 v[2:5], v11, s[8:11], 0 offen
.LBB491_3:
	s_or_b64 exec, exec, s[0:1]
	v_mov_b32_e32 v11, 0
	v_mov_b32_e32 v16, 0
	;; [unrolled: 1-line block ×7, first 2 shown]
	s_and_saveexec_b64 s[0:1], s[2:3]
	s_cbranch_execz .LBB491_5
; %bb.4:
	s_waitcnt vmcnt(1)
	v_cvt_f32_f16_sdwa v11, v6 dst_sel:DWORD dst_unused:UNUSED_PAD src0_sel:WORD_1
	v_cvt_f32_f16_e32 v10, v6
	v_cvt_f32_f16_sdwa v17, v7 dst_sel:DWORD dst_unused:UNUSED_PAD src0_sel:WORD_1
	v_cvt_f32_f16_e32 v16, v7
	;; [unrolled: 2-line block ×4, first 2 shown]
.LBB491_5:
	s_or_b64 exec, exec, s[0:1]
	s_waitcnt vmcnt(1)
	v_mul_f32_e32 v6, v11, v11
	v_fmac_f32_e32 v6, v10, v10
	v_fmac_f32_e32 v6, v16, v16
	;; [unrolled: 1-line block ×7, first 2 shown]
	v_and_b32_e32 v8, 63, v0
	v_cmp_eq_u32_e64 s[0:1], 63, v8
	v_mov_b32_dpp v7, v6 quad_perm:[1,0,3,2] row_mask:0xf bank_mask:0xf
	v_add_f32_e32 v6, v6, v7
	s_nop 1
	v_mov_b32_dpp v7, v6 quad_perm:[2,3,0,1] row_mask:0xf bank_mask:0xf
	v_add_f32_e32 v6, v6, v7
	s_nop 1
	v_mov_b32_dpp v7, v6 row_half_mirror row_mask:0xf bank_mask:0xf
	v_add_f32_e32 v6, v6, v7
	s_nop 1
	v_mov_b32_dpp v7, v6 row_mirror row_mask:0xf bank_mask:0xf
	v_add_f32_e32 v6, v6, v7
	s_nop 1
	v_mov_b32_dpp v7, v6 row_bcast:15 row_mask:0xf bank_mask:0xf
	v_add_f32_e32 v6, v6, v7
	s_nop 1
	v_mov_b32_dpp v7, v6 row_bcast:31 row_mask:0xf bank_mask:0xf
	s_and_saveexec_b64 s[8:9], s[0:1]
	s_cbranch_execz .LBB491_7
; %bb.6:
	v_add_f32_e32 v6, v6, v7
	v_lshrrev_b32_e32 v7, 4, v0
	v_and_b32_e32 v7, 60, v7
	ds_write_b32 v7, v6 offset:16
.LBB491_7:
	s_or_b64 exec, exec, s[8:9]
	v_and_b32_e32 v6, 3, v0
	v_lshlrev_b32_e32 v18, 2, v6
	s_waitcnt lgkmcnt(0)
	s_barrier
	ds_read_b32 v6, v18 offset:16
	s_load_dwordx2 s[28:29], s[4:5], 0x18
	s_waitcnt lgkmcnt(0)
	v_mov_b32_dpp v7, v6 quad_perm:[1,0,3,2] row_mask:0xf bank_mask:0xf
	v_add_f32_e32 v6, v6, v7
	s_nop 1
	v_mov_b32_dpp v7, v6 quad_perm:[2,3,0,1] row_mask:0xf bank_mask:0xf
	s_and_saveexec_b64 s[8:9], s[2:3]
	s_cbranch_execz .LBB491_9
; %bb.8:
	v_cvt_f32_u32_e32 v8, s7
	v_add_f32_e32 v6, v6, v7
	v_mov_b32_e32 v19, s17
	v_mov_b32_e32 v20, s16
	v_div_scale_f32 v7, s[24:25], v8, v8, v6
	v_rcp_f32_e32 v9, v7
	v_cndmask_b32_e32 v19, v19, v20, vcc
	s_mov_b32 s7, 0x800000
	v_fma_f32 v20, -v7, v9, 1.0
	v_fmac_f32_e32 v9, v20, v9
	v_div_scale_f32 v20, vcc, v6, v8, v6
	v_mul_f32_e32 v21, v20, v9
	v_fma_f32 v22, -v7, v21, v20
	v_fmac_f32_e32 v21, v22, v9
	v_fma_f32 v7, -v7, v21, v20
	v_div_fmas_f32 v7, v7, v9, v21
	v_div_fixup_f32 v6, v7, v8, v6
	v_add_f32_e32 v6, v19, v6
	v_mul_f32_e32 v7, 0x4b800000, v6
	v_cmp_gt_f32_e32 vcc, s7, v6
	v_cndmask_b32_e32 v6, v6, v7, vcc
	v_rsq_f32_e32 v6, v6
	s_waitcnt vmcnt(0)
	v_cvt_f32_f16_sdwa v21, v3 dst_sel:DWORD dst_unused:UNUSED_PAD src0_sel:WORD_1
	v_cvt_f32_f16_e32 v20, v3
	v_mul_f32_e32 v7, 0x45800000, v6
	v_cndmask_b32_e32 v6, v6, v7, vcc
	v_mov_b32_e32 v7, v6
	;;#ASMSTART
	v_pk_mul_f32 v[8:9], v[10:11], v[6:7]
	;;#ASMEND
	v_cvt_f32_f16_sdwa v11, v2 dst_sel:DWORD dst_unused:UNUSED_PAD src0_sel:WORD_1
	v_cvt_f32_f16_e32 v10, v2
	;;#ASMSTART
	v_pk_mul_f32 v[16:17], v[16:17], v[6:7]
	;;#ASMEND
	;;#ASMSTART
	v_pk_mul_f32 v[14:15], v[14:15], v[6:7]
	;;#ASMEND
	;; [unrolled: 3-line block ×3, first 2 shown]
	v_pk_add_f32 v[6:7], v[10:11], 1.0 op_sel_hi:[1,0]
	;;#ASMSTART
	v_pk_mul_f32 v[10:11], v[8:9], v[6:7]
	;;#ASMEND
	v_cvt_f32_f16_sdwa v9, v4 dst_sel:DWORD dst_unused:UNUSED_PAD src0_sel:WORD_1
	v_cvt_f32_f16_e32 v8, v4
	v_cvt_f32_f16_sdwa v13, v5 dst_sel:DWORD dst_unused:UNUSED_PAD src0_sel:WORD_1
	v_cvt_f32_f16_e32 v12, v5
	v_pk_add_f32 v[6:7], v[20:21], 1.0 op_sel_hi:[1,0]
	v_pk_add_f32 v[4:5], v[8:9], 1.0 op_sel_hi:[1,0]
	;;#ASMSTART
	v_pk_mul_f32 v[16:17], v[16:17], v[6:7]
	;;#ASMEND
	;;#ASMSTART
	v_pk_mul_f32 v[14:15], v[14:15], v[4:5]
	;;#ASMEND
	v_pk_add_f32 v[4:5], v[12:13], 1.0 op_sel_hi:[1,0]
	;;#ASMSTART
	v_pk_mul_f32 v[12:13], v[2:3], v[4:5]
	;;#ASMEND
.LBB491_9:
	s_or_b64 exec, exec, s[8:9]
	s_load_dword s7, s[4:5], 0x80
	s_mov_b64 s[8:9], -1
	s_and_b64 vcc, exec, s[14:15]
	s_cbranch_vccnz .LBB491_13
; %bb.10:
	s_andn2_b64 vcc, exec, s[8:9]
	s_cbranch_vccz .LBB491_16
.LBB491_11:
	s_cmp_lt_i32 s20, 1
	s_cbranch_scc0 .LBB491_25
.LBB491_12:
	s_endpgm
.LBB491_13:
	s_and_saveexec_b64 s[14:15], s[2:3]
	s_cbranch_execz .LBB491_15
; %bb.14:
	s_waitcnt lgkmcnt(0)
	s_mul_hi_i32 s9, s7, s6
	s_mul_i32 s8, s7, s6
	s_waitcnt vmcnt(0)
	v_cvt_f16_f32_e32 v2, v10
	v_cvt_f16_f32_e32 v3, v16
	;; [unrolled: 1-line block ×8, first 2 shown]
	s_lshl_b64 s[8:9], s[8:9], 1
	s_add_u32 s8, s28, s8
	s_addc_u32 s9, s29, s9
	s_and_b32 s9, s9, 0xffff
	s_mov_b32 s11, 0x20000
	v_pack_b32_f16 v5, v5, v6
	v_pack_b32_f16 v4, v4, v7
	;; [unrolled: 1-line block ×4, first 2 shown]
	v_lshlrev_b32_e32 v6, 4, v0
	buffer_store_dwordx4 v[2:5], v6, s[8:11], 0 offen
	;;#ASMSTART
	s_nop 0
	;;#ASMEND
.LBB491_15:
	s_or_b64 exec, exec, s[14:15]
	s_cbranch_execnz .LBB491_11
.LBB491_16:
	s_load_dwordx4 s[24:27], s[4:5], 0x70
	s_waitcnt vmcnt(0)
	v_mov_b32_e32 v2, 0
	s_and_saveexec_b64 s[14:15], s[2:3]
	s_cbranch_execz .LBB491_18
; %bb.17:
	s_load_dwordx2 s[8:9], s[4:5], 0x10
	s_waitcnt lgkmcnt(0)
	s_mul_hi_i32 s35, s27, s6
	s_mul_i32 s34, s27, s6
	v_cvt_f16_f32_e32 v2, v10
	v_cvt_f16_f32_e32 v3, v16
	;; [unrolled: 1-line block ×8, first 2 shown]
	s_lshl_b64 s[34:35], s[34:35], 1
	s_add_u32 s8, s8, s34
	s_addc_u32 s9, s9, s35
	s_mov_b32 s11, 0x20000
	s_and_b32 s9, s9, 0xffff
	v_pack_b32_f16 v5, v5, v6
	v_pack_b32_f16 v4, v4, v7
	;; [unrolled: 1-line block ×4, first 2 shown]
	v_lshlrev_b32_e32 v6, 4, v0
	buffer_store_dwordx4 v[2:5], v6, s[8:11], 0 offen
	;;#ASMSTART
	s_nop 0
	;;#ASMEND
	s_nop 0
	v_mov_b32_e32 v2, 0x2edbe6ff
.LBB491_18:
	s_or_b64 exec, exec, s[14:15]
	s_and_saveexec_b64 s[8:9], s[2:3]
	s_cbranch_execz .LBB491_20
; %bb.19:
	v_and_b32_e32 v3, 0x7fffffff, v10
	v_and_b32_e32 v4, 0x7fffffff, v11
	;;#ASMSTART
	v_max3_f32 v2, v2, v3, v4

	;;#ASMEND
	v_and_b32_e32 v3, 0x7fffffff, v16
	v_and_b32_e32 v4, 0x7fffffff, v17
	;;#ASMSTART
	v_max3_f32 v2, v2, v3, v4

	;;#ASMEND
	;; [unrolled: 6-line block ×4, first 2 shown]
.LBB491_20:
	s_or_b64 exec, exec, s[8:9]
	;;#ASMSTART
	v_max_f32 v3, v2, v2 quad_perm:[1,0,3,2] row_mask:0xf bank_mask:0xf bound_ctrl:1
	;;#ASMEND
	;;#ASMSTART
	v_max_f32 v2, v3, v3 quad_perm:[2,3,0,1] row_mask:0xf bank_mask:0xf bound_ctrl:1
	;;#ASMEND
	;;#ASMSTART
	v_max_f32 v3, v2, v2 row_half_mirror row_mask:0xf bank_mask:0xf bound_ctrl:1
	;;#ASMEND
	;;#ASMSTART
	v_max_f32 v2, v3, v3 row_mirror row_mask:0xf bank_mask:0xf bound_ctrl:1
	;;#ASMEND
	v_and_b32_e32 v3, 15, v0
	v_cmp_eq_u32_e32 vcc, 0, v3
	v_cmp_gt_i32_e64 s[8:9], s19, v1
	s_and_b64 s[10:11], vcc, s[8:9]
	s_and_saveexec_b64 s[8:9], s[10:11]
	s_cbranch_execz .LBB491_22
; %bb.21:
	s_load_dwordx2 s[10:11], s[4:5], 0x8
	v_mul_f32_e32 v2, 0x3e2aaaab, v2
	v_lshrrev_b32_e32 v3, 23, v2
	v_and_b32_e32 v4, 0x7f800000, v2
	v_and_b32_e32 v2, 0x7fffff, v2
	v_cmp_ne_u32_e32 vcc, 0, v2
	s_waitcnt lgkmcnt(0)
	s_mul_i32 s16, s25, s6
	s_mov_b32 s14, 0x7f800000
	v_addc_co_u32_e32 v2, vcc, 0, v3, vcc
	s_mul_hi_i32 s15, s25, s6
	s_add_u32 s10, s10, s16
	v_cmp_ne_u32_e32 vcc, s14, v4
	s_addc_u32 s11, s11, s15
	v_lshrrev_b32_e32 v5, 4, v0
	v_cndmask_b32_e32 v4, -1, v2, vcc
	v_pk_mov_b32 v[2:3], s[10:11], s[10:11] op_sel:[0,1]
	v_mad_i64_i32 v[2:3], s[10:11], s26, v5, v[2:3]
	global_store_byte v[2:3], v4, off
.LBB491_22:
	s_or_b64 exec, exec, s[8:9]
	s_and_saveexec_b64 s[8:9], s[2:3]
	s_cbranch_execz .LBB491_24
; %bb.23:
	s_load_dwordx2 s[2:3], s[4:5], 0x0
	s_waitcnt lgkmcnt(0)
	s_mul_i32 s11, s24, s6
	s_mul_hi_i32 s10, s24, s6
	v_lshlrev_b32_e32 v2, 2, v0
	s_mov_b32 s27, 0x20000
	s_add_u32 s24, s2, s11
	s_addc_u32 s2, s3, s10
	s_lshr_b32 s3, s19, 31
	s_add_i32 s3, s19, s3
	s_ashr_i32 s3, s3, 1
	s_add_i32 s3, s3, 3
	s_ashr_i32 s10, s3, 31
	s_lshr_b32 s10, s10, 30
	s_add_i32 s3, s3, s10
	s_and_b32 s26, s3, -4
	s_and_b32 s25, s2, 0xffff
	v_mov_b32_e32 v3, 0
	buffer_store_dword v3, v2, s[24:27], 0 offen
	;;#ASMSTART
	s_nop 0
	;;#ASMEND
.LBB491_24:
	s_or_b64 exec, exec, s[8:9]
	s_cmp_lt_i32 s20, 1
	s_cbranch_scc1 .LBB491_12
.LBB491_25:
	s_load_dword s2, s[4:5], 0x94
	s_waitcnt lgkmcnt(0)
	s_cmp_lg_u32 s2, 1
	s_cbranch_scc1 .LBB491_12
; %bb.26:
	s_lshl_b32 s2, s20, 1
	s_add_i32 s2, s2, 2
	v_cmp_gt_u32_e32 vcc, s20, v1
	s_and_b32 s14, s2, -4
	v_mov_b32_e32 v10, 0
	v_lshlrev_b32_e32 v1, 4, v0
	v_mov_b32_e32 v6, 0
	v_mov_b32_e32 v7, 0
	;; [unrolled: 1-line block ×4, first 2 shown]
	s_waitcnt vmcnt(0)
	v_mov_b32_e32 v2, 0
	v_mov_b32_e32 v3, 0
	;; [unrolled: 1-line block ×4, first 2 shown]
	s_barrier
	s_and_saveexec_b64 s[2:3], vcc
	s_cbranch_execz .LBB491_28
; %bb.27:
	s_mul_hi_i32 s5, s22, s6
	s_mul_i32 s4, s22, s6
	s_and_b32 s13, s13, 0xffff
	s_lshl_b64 s[4:5], s[4:5], 1
	s_add_u32 s8, s30, s4
	s_mov_b32 s15, 0x20000
	s_addc_u32 s4, s31, s5
	s_and_b32 s9, s4, 0xffff
	s_mov_b32 s10, s14
	s_mov_b32 s11, s15
	buffer_load_dwordx4 v[6:9], v1, s[8:11], 0 offen glc slc
	buffer_load_dwordx4 v[2:5], v1, s[12:15], 0 offen
.LBB491_28:
	s_or_b64 exec, exec, s[2:3]
	v_mov_b32_e32 v11, 0
	v_mov_b32_e32 v16, 0
	;; [unrolled: 1-line block ×7, first 2 shown]
	s_and_saveexec_b64 s[2:3], vcc
	s_cbranch_execz .LBB491_30
; %bb.29:
	s_waitcnt vmcnt(1)
	v_cvt_f32_f16_sdwa v11, v6 dst_sel:DWORD dst_unused:UNUSED_PAD src0_sel:WORD_1
	v_cvt_f32_f16_e32 v10, v6
	v_cvt_f32_f16_sdwa v17, v7 dst_sel:DWORD dst_unused:UNUSED_PAD src0_sel:WORD_1
	v_cvt_f32_f16_e32 v16, v7
	;; [unrolled: 2-line block ×4, first 2 shown]
.LBB491_30:
	s_or_b64 exec, exec, s[2:3]
	s_waitcnt vmcnt(1)
	v_mul_f32_e32 v6, v11, v11
	v_fmac_f32_e32 v6, v10, v10
	v_fmac_f32_e32 v6, v16, v16
	;; [unrolled: 1-line block ×7, first 2 shown]
	s_nop 1
	v_mov_b32_dpp v7, v6 quad_perm:[1,0,3,2] row_mask:0xf bank_mask:0xf
	v_add_f32_e32 v6, v6, v7
	s_nop 1
	v_mov_b32_dpp v7, v6 quad_perm:[2,3,0,1] row_mask:0xf bank_mask:0xf
	v_add_f32_e32 v6, v6, v7
	s_nop 1
	v_mov_b32_dpp v7, v6 row_half_mirror row_mask:0xf bank_mask:0xf
	v_add_f32_e32 v6, v6, v7
	s_nop 1
	v_mov_b32_dpp v7, v6 row_mirror row_mask:0xf bank_mask:0xf
	v_add_f32_e32 v6, v6, v7
	s_nop 1
	v_mov_b32_dpp v7, v6 row_bcast:15 row_mask:0xf bank_mask:0xf
	v_add_f32_e32 v6, v6, v7
	s_nop 1
	v_mov_b32_dpp v7, v6 row_bcast:31 row_mask:0xf bank_mask:0xf
	s_and_saveexec_b64 s[2:3], s[0:1]
	s_cbranch_execz .LBB491_32
; %bb.31:
	v_lshrrev_b32_e32 v0, 4, v0
	v_add_f32_e32 v6, v6, v7
	v_and_b32_e32 v0, 60, v0
	ds_write_b32 v0, v6
.LBB491_32:
	s_or_b64 exec, exec, s[2:3]
	s_waitcnt lgkmcnt(0)
	s_barrier
	ds_read_b32 v0, v18
	s_waitcnt lgkmcnt(0)
	s_nop 0
	v_mov_b32_dpp v6, v0 quad_perm:[1,0,3,2] row_mask:0xf bank_mask:0xf
	v_add_f32_e32 v0, v0, v6
	s_nop 1
	v_mov_b32_dpp v6, v0 quad_perm:[2,3,0,1] row_mask:0xf bank_mask:0xf
	s_and_saveexec_b64 s[0:1], vcc
	s_cbranch_execz .LBB491_12
; %bb.33:
	v_cvt_f32_u32_e32 v7, s20
	v_add_f32_e32 v0, v0, v6
	s_mov_b32 s15, 0x20000
	v_div_scale_f32 v6, s[0:1], v7, v7, v0
	v_rcp_f32_e32 v8, v6
	v_div_scale_f32 v9, vcc, v0, v7, v0
	s_mov_b32 s0, 0x800000
	v_fma_f32 v18, -v6, v8, 1.0
	v_fmac_f32_e32 v8, v18, v8
	v_mul_f32_e32 v18, v9, v8
	v_fma_f32 v19, -v6, v18, v9
	v_fmac_f32_e32 v18, v19, v8
	v_fma_f32 v6, -v6, v18, v9
	v_div_fmas_f32 v6, v6, v8, v18
	v_div_fixup_f32 v0, v6, v7, v0
	v_add_f32_e32 v0, s17, v0
	v_mul_f32_e32 v6, 0x4b800000, v0
	v_cmp_gt_f32_e32 vcc, s0, v0
	v_cndmask_b32_e32 v0, v0, v6, vcc
	v_rsq_f32_e32 v0, v0
	s_waitcnt vmcnt(0)
	v_cvt_f32_f16_sdwa v19, v3 dst_sel:DWORD dst_unused:UNUSED_PAD src0_sel:WORD_1
	v_cvt_f32_f16_e32 v18, v3
	s_mul_hi_i32 s1, s7, s6
	v_mul_f32_e32 v6, 0x45800000, v0
	v_cndmask_b32_e32 v6, v0, v6, vcc
	v_mov_b32_e32 v7, v6
	;;#ASMSTART
	v_pk_mul_f32 v[8:9], v[10:11], v[6:7]
	;;#ASMEND
	;;#ASMSTART
	v_pk_mul_f32 v[10:11], v[16:17], v[6:7]
	;;#ASMEND
	v_cvt_f32_f16_sdwa v17, v2 dst_sel:DWORD dst_unused:UNUSED_PAD src0_sel:WORD_1
	v_cvt_f32_f16_e32 v16, v2
	;;#ASMSTART
	v_pk_mul_f32 v[14:15], v[14:15], v[6:7]
	;;#ASMEND
	;;#ASMSTART
	v_pk_mul_f32 v[2:3], v[12:13], v[6:7]
	;;#ASMEND
	v_cvt_f32_f16_sdwa v13, v4 dst_sel:DWORD dst_unused:UNUSED_PAD src0_sel:WORD_1
	v_cvt_f32_f16_e32 v12, v4
	v_pk_add_f32 v[6:7], v[16:17], 1.0 op_sel_hi:[1,0]
	v_cvt_f32_f16_sdwa v17, v5 dst_sel:DWORD dst_unused:UNUSED_PAD src0_sel:WORD_1
	v_cvt_f32_f16_e32 v16, v5
	;;#ASMSTART
	v_pk_mul_f32 v[6:7], v[8:9], v[6:7]
	;;#ASMEND
	v_pk_add_f32 v[8:9], v[18:19], 1.0 op_sel_hi:[1,0]
	;;#ASMSTART
	v_pk_mul_f32 v[4:5], v[10:11], v[8:9]
	;;#ASMEND
	v_pk_add_f32 v[8:9], v[12:13], 1.0 op_sel_hi:[1,0]
	;; [unrolled: 4-line block ×3, first 2 shown]
	;;#ASMSTART
	v_pk_mul_f32 v[2:3], v[2:3], v[10:11]
	;;#ASMEND
	s_mul_i32 s0, s7, s6
	v_cvt_f16_f32_e32 v0, v6
	v_cvt_f16_f32_e32 v6, v7
	;; [unrolled: 1-line block ×8, first 2 shown]
	s_lshl_b64 s[0:1], s[0:1], 1
	s_add_u32 s12, s28, s0
	s_addc_u32 s0, s29, s1
	s_and_b32 s13, s0, 0xffff
	v_pack_b32_f16 v2, v0, v6
	v_pack_b32_f16 v3, v4, v5
	;; [unrolled: 1-line block ×4, first 2 shown]
	buffer_store_dwordx4 v[2:5], v1, s[12:15], 0 offen
	;;#ASMSTART
	s_nop 0
	;;#ASMEND
	s_endpgm
	.section	.rodata,"a",@progbits
	.p2align	6, 0x0
	.amdhsa_kernel _ZN5aiter35fused_qk_rmsnorm_group_quant_kernelIDF16_N4opus5fp4_tELi256ELi8ELi16ELb0ELb1ELb1ELb0ELb0ELb0EEEvPT0_PvPT_S7_S7_PKS6_S9_S9_S9_S9_ffiiiiiiiiiiiii
		.amdhsa_group_segment_fixed_size 32
		.amdhsa_private_segment_fixed_size 0
		.amdhsa_kernarg_size 400
		.amdhsa_user_sgpr_count 6
		.amdhsa_user_sgpr_private_segment_buffer 1
		.amdhsa_user_sgpr_dispatch_ptr 0
		.amdhsa_user_sgpr_queue_ptr 0
		.amdhsa_user_sgpr_kernarg_segment_ptr 1
		.amdhsa_user_sgpr_dispatch_id 0
		.amdhsa_user_sgpr_flat_scratch_init 0
		.amdhsa_user_sgpr_kernarg_preload_length 0
		.amdhsa_user_sgpr_kernarg_preload_offset 0
		.amdhsa_user_sgpr_private_segment_size 0
		.amdhsa_uses_dynamic_stack 0
		.amdhsa_system_sgpr_private_segment_wavefront_offset 0
		.amdhsa_system_sgpr_workgroup_id_x 1
		.amdhsa_system_sgpr_workgroup_id_y 1
		.amdhsa_system_sgpr_workgroup_id_z 0
		.amdhsa_system_sgpr_workgroup_info 0
		.amdhsa_system_vgpr_workitem_id 0
		.amdhsa_next_free_vgpr 23
		.amdhsa_next_free_sgpr 36
		.amdhsa_accum_offset 24
		.amdhsa_reserve_vcc 1
		.amdhsa_reserve_flat_scratch 0
		.amdhsa_float_round_mode_32 0
		.amdhsa_float_round_mode_16_64 0
		.amdhsa_float_denorm_mode_32 3
		.amdhsa_float_denorm_mode_16_64 3
		.amdhsa_dx10_clamp 1
		.amdhsa_ieee_mode 1
		.amdhsa_fp16_overflow 0
		.amdhsa_tg_split 0
		.amdhsa_exception_fp_ieee_invalid_op 0
		.amdhsa_exception_fp_denorm_src 0
		.amdhsa_exception_fp_ieee_div_zero 0
		.amdhsa_exception_fp_ieee_overflow 0
		.amdhsa_exception_fp_ieee_underflow 0
		.amdhsa_exception_fp_ieee_inexact 0
		.amdhsa_exception_int_div_zero 0
	.end_amdhsa_kernel
	.section	.text._ZN5aiter35fused_qk_rmsnorm_group_quant_kernelIDF16_N4opus5fp4_tELi256ELi8ELi16ELb0ELb1ELb1ELb0ELb0ELb0EEEvPT0_PvPT_S7_S7_PKS6_S9_S9_S9_S9_ffiiiiiiiiiiiii,"axG",@progbits,_ZN5aiter35fused_qk_rmsnorm_group_quant_kernelIDF16_N4opus5fp4_tELi256ELi8ELi16ELb0ELb1ELb1ELb0ELb0ELb0EEEvPT0_PvPT_S7_S7_PKS6_S9_S9_S9_S9_ffiiiiiiiiiiiii,comdat
.Lfunc_end491:
	.size	_ZN5aiter35fused_qk_rmsnorm_group_quant_kernelIDF16_N4opus5fp4_tELi256ELi8ELi16ELb0ELb1ELb1ELb0ELb0ELb0EEEvPT0_PvPT_S7_S7_PKS6_S9_S9_S9_S9_ffiiiiiiiiiiiii, .Lfunc_end491-_ZN5aiter35fused_qk_rmsnorm_group_quant_kernelIDF16_N4opus5fp4_tELi256ELi8ELi16ELb0ELb1ELb1ELb0ELb0ELb0EEEvPT0_PvPT_S7_S7_PKS6_S9_S9_S9_S9_ffiiiiiiiiiiiii
                                        ; -- End function
	.section	.AMDGPU.csdata,"",@progbits
; Kernel info:
; codeLenInByte = 2516
; NumSgprs: 40
; NumVgprs: 23
; NumAgprs: 0
; TotalNumVgprs: 23
; ScratchSize: 0
; MemoryBound: 0
; FloatMode: 240
; IeeeMode: 1
; LDSByteSize: 32 bytes/workgroup (compile time only)
; SGPRBlocks: 4
; VGPRBlocks: 2
; NumSGPRsForWavesPerEU: 40
; NumVGPRsForWavesPerEU: 23
; AccumOffset: 24
; Occupancy: 8
; WaveLimiterHint : 0
; COMPUTE_PGM_RSRC2:SCRATCH_EN: 0
; COMPUTE_PGM_RSRC2:USER_SGPR: 6
; COMPUTE_PGM_RSRC2:TRAP_HANDLER: 0
; COMPUTE_PGM_RSRC2:TGID_X_EN: 1
; COMPUTE_PGM_RSRC2:TGID_Y_EN: 1
; COMPUTE_PGM_RSRC2:TGID_Z_EN: 0
; COMPUTE_PGM_RSRC2:TIDIG_COMP_CNT: 0
; COMPUTE_PGM_RSRC3_GFX90A:ACCUM_OFFSET: 5
; COMPUTE_PGM_RSRC3_GFX90A:TG_SPLIT: 0
	.section	.text._ZN5aiter35fused_qk_rmsnorm_group_quant_kernelItN4opus5fp4_tELi256ELi8ELi16ELb0ELb1ELb1ELb0ELb0ELb0EEEvPT0_PvPT_S7_S7_PKS6_S9_S9_S9_S9_ffiiiiiiiiiiiii,"axG",@progbits,_ZN5aiter35fused_qk_rmsnorm_group_quant_kernelItN4opus5fp4_tELi256ELi8ELi16ELb0ELb1ELb1ELb0ELb0ELb0EEEvPT0_PvPT_S7_S7_PKS6_S9_S9_S9_S9_ffiiiiiiiiiiiii,comdat
	.protected	_ZN5aiter35fused_qk_rmsnorm_group_quant_kernelItN4opus5fp4_tELi256ELi8ELi16ELb0ELb1ELb1ELb0ELb0ELb0EEEvPT0_PvPT_S7_S7_PKS6_S9_S9_S9_S9_ffiiiiiiiiiiiii ; -- Begin function _ZN5aiter35fused_qk_rmsnorm_group_quant_kernelItN4opus5fp4_tELi256ELi8ELi16ELb0ELb1ELb1ELb0ELb0ELb0EEEvPT0_PvPT_S7_S7_PKS6_S9_S9_S9_S9_ffiiiiiiiiiiiii
	.globl	_ZN5aiter35fused_qk_rmsnorm_group_quant_kernelItN4opus5fp4_tELi256ELi8ELi16ELb0ELb1ELb1ELb0ELb0ELb0EEEvPT0_PvPT_S7_S7_PKS6_S9_S9_S9_S9_ffiiiiiiiiiiiii
	.p2align	8
	.type	_ZN5aiter35fused_qk_rmsnorm_group_quant_kernelItN4opus5fp4_tELi256ELi8ELi16ELb0ELb1ELb1ELb0ELb0ELb0EEEvPT0_PvPT_S7_S7_PKS6_S9_S9_S9_S9_ffiiiiiiiiiiiii,@function
_ZN5aiter35fused_qk_rmsnorm_group_quant_kernelItN4opus5fp4_tELi256ELi8ELi16ELb0ELb1ELb1ELb0ELb0ELb0EEEvPT0_PvPT_S7_S7_PKS6_S9_S9_S9_S9_ffiiiiiiiiiiiii: ; @_ZN5aiter35fused_qk_rmsnorm_group_quant_kernelItN4opus5fp4_tELi256ELi8ELi16ELb0ELb1ELb1ELb0ELb0ELb0EEEvPT0_PvPT_S7_S7_PKS6_S9_S9_S9_S9_ffiiiiiiiiiiiii
; %bb.0:
	s_load_dwordx4 s[16:19], s[4:5], 0x50
	s_waitcnt lgkmcnt(0)
	s_cmp_ge_i32 s6, s18
	s_cbranch_scc1 .LBB492_10
; %bb.1:
	s_load_dwordx2 s[12:13], s[4:5], 0x48
	s_load_dwordx2 s[30:31], s[4:5], 0x30
	s_load_dwordx4 s[20:23], s[4:5], 0x60
	s_cmp_lg_u32 s7, 0
	s_cselect_b64 s[14:15], -1, 0
	s_cmp_eq_u32 s7, 0
	s_cselect_b64 vcc, -1, 0
	s_and_b64 s[0:1], vcc, exec
	s_waitcnt lgkmcnt(0)
	s_cselect_b32 s7, s19, s20
	s_add_i32 s0, s7, 1
	s_lshr_b32 s1, s0, 31
	s_add_i32 s0, s0, s1
	s_lshl_b32 s0, s0, 1
	v_lshlrev_b32_e32 v1, 3, v0
	s_and_b32 s10, s0, -4
	v_cmp_gt_i32_e64 s[2:3], s7, v1
	v_mov_b32_e32 v2, 0
	v_mov_b32_e32 v3, 0
	;; [unrolled: 1-line block ×8, first 2 shown]
	s_and_saveexec_b64 s[0:1], s[2:3]
	s_cbranch_execz .LBB492_3
; %bb.2:
	s_load_dwordx2 s[8:9], s[4:5], 0x28
	s_load_dwordx2 s[26:27], s[4:5], 0x40
	s_and_b64 s[24:25], vcc, exec
	s_cselect_b32 s11, s21, s22
	v_lshlrev_b32_e32 v10, 4, v0
	s_waitcnt lgkmcnt(0)
	s_cselect_b32 s18, s9, s31
	s_cselect_b32 s21, s8, s30
	s_mul_hi_i32 s9, s11, s6
	s_mul_i32 s8, s11, s6
	s_lshl_b64 s[8:9], s[8:9], 1
	s_add_u32 s24, s21, s8
	s_addc_u32 s18, s18, s9
	s_and_b64 s[8:9], vcc, exec
	s_mov_b32 s11, 0x20000
	s_cselect_b32 s8, s26, s12
	s_cselect_b32 s9, s27, s13
	s_and_b32 s25, s18, 0xffff
	s_mov_b32 s26, s10
	s_mov_b32 s27, s11
	s_and_b32 s9, s9, 0xffff
	buffer_load_dwordx4 v[6:9], v10, s[24:27], 0 offen glc slc
	buffer_load_dwordx4 v[2:5], v10, s[8:11], 0 offen
.LBB492_3:
	s_or_b64 exec, exec, s[0:1]
	s_waitcnt vmcnt(1)
	v_cvt_f32_u32_sdwa v11, v6 dst_sel:DWORD dst_unused:UNUSED_PAD src0_sel:WORD_1
	v_cvt_f32_u32_sdwa v10, v6 dst_sel:DWORD dst_unused:UNUSED_PAD src0_sel:WORD_0
	v_cvt_f32_u32_sdwa v6, v9 dst_sel:DWORD dst_unused:UNUSED_PAD src0_sel:WORD_1
	v_cvt_f32_u32_sdwa v9, v9 dst_sel:DWORD dst_unused:UNUSED_PAD src0_sel:WORD_0
	;; [unrolled: 2-line block ×4, first 2 shown]
	v_cndmask_b32_e64 v11, 0, v11, s[2:3]
	v_cndmask_b32_e64 v7, 0, v6, s[2:3]
	;; [unrolled: 1-line block ×5, first 2 shown]
	v_mul_f32_e32 v14, v11, v11
	v_cndmask_b32_e64 v12, 0, v12, s[2:3]
	v_fmac_f32_e32 v14, v10, v10
	v_cndmask_b32_e64 v13, 0, v13, s[2:3]
	v_fmac_f32_e32 v14, v12, v12
	;; [unrolled: 2-line block ×3, first 2 shown]
	v_fmac_f32_e32 v14, v8, v8
	v_fmac_f32_e32 v14, v9, v9
	;; [unrolled: 1-line block ×4, first 2 shown]
	v_and_b32_e32 v16, 63, v0
	v_cmp_eq_u32_e64 s[0:1], 63, v16
	v_mov_b32_dpp v15, v14 quad_perm:[1,0,3,2] row_mask:0xf bank_mask:0xf
	v_add_f32_e32 v14, v14, v15
	s_nop 1
	v_mov_b32_dpp v15, v14 quad_perm:[2,3,0,1] row_mask:0xf bank_mask:0xf
	v_add_f32_e32 v14, v14, v15
	s_nop 1
	v_mov_b32_dpp v15, v14 row_half_mirror row_mask:0xf bank_mask:0xf
	v_add_f32_e32 v14, v14, v15
	s_nop 1
	v_mov_b32_dpp v15, v14 row_mirror row_mask:0xf bank_mask:0xf
	v_add_f32_e32 v14, v14, v15
	s_nop 1
	v_mov_b32_dpp v15, v14 row_bcast:15 row_mask:0xf bank_mask:0xf
	v_add_f32_e32 v14, v14, v15
	s_nop 1
	v_mov_b32_dpp v15, v14 row_bcast:31 row_mask:0xf bank_mask:0xf
	s_and_saveexec_b64 s[8:9], s[0:1]
	s_cbranch_execz .LBB492_5
; %bb.4:
	v_add_f32_e32 v14, v14, v15
	v_lshrrev_b32_e32 v15, 4, v0
	v_and_b32_e32 v15, 60, v15
	ds_write_b32 v15, v14 offset:16
.LBB492_5:
	s_or_b64 exec, exec, s[8:9]
	v_and_b32_e32 v14, 3, v0
	v_lshlrev_b32_e32 v14, 2, v14
	s_waitcnt lgkmcnt(0)
	s_barrier
	ds_read_b32 v15, v14 offset:16
	s_load_dwordx2 s[28:29], s[4:5], 0x18
	s_waitcnt lgkmcnt(0)
	v_mov_b32_dpp v16, v15 quad_perm:[1,0,3,2] row_mask:0xf bank_mask:0xf
	v_add_f32_e32 v15, v15, v16
	s_nop 1
	v_mov_b32_dpp v16, v15 quad_perm:[2,3,0,1] row_mask:0xf bank_mask:0xf
	s_and_saveexec_b64 s[8:9], s[2:3]
	s_cbranch_execz .LBB492_7
; %bb.6:
	v_cvt_f32_u32_e32 v17, s7
	v_add_f32_e32 v15, v15, v16
	v_mov_b32_e32 v19, s17
	v_mov_b32_e32 v20, s16
	v_div_scale_f32 v16, s[24:25], v17, v17, v15
	v_rcp_f32_e32 v18, v16
	v_cndmask_b32_e32 v19, v19, v20, vcc
	s_mov_b32 s7, 0x800000
	v_fma_f32 v20, -v16, v18, 1.0
	v_fmac_f32_e32 v18, v20, v18
	v_div_scale_f32 v20, vcc, v15, v17, v15
	v_mul_f32_e32 v21, v20, v18
	v_fma_f32 v22, -v16, v21, v20
	v_fmac_f32_e32 v21, v22, v18
	v_fma_f32 v16, -v16, v21, v20
	v_div_fmas_f32 v16, v16, v18, v21
	v_div_fixup_f32 v15, v16, v17, v15
	v_add_f32_e32 v15, v19, v15
	v_mul_f32_e32 v16, 0x4b800000, v15
	v_cmp_gt_f32_e32 vcc, s7, v15
	v_cndmask_b32_e32 v15, v15, v16, vcc
	v_rsq_f32_e32 v15, v15
	s_waitcnt vmcnt(0)
	v_cvt_f32_u32_sdwa v19, v2 dst_sel:DWORD dst_unused:UNUSED_PAD src0_sel:WORD_1
	v_cvt_f32_u32_sdwa v18, v2 dst_sel:DWORD dst_unused:UNUSED_PAD src0_sel:WORD_0
	v_cvt_f32_u32_sdwa v21, v3 dst_sel:DWORD dst_unused:UNUSED_PAD src0_sel:WORD_1
	v_mul_f32_e32 v16, 0x45800000, v15
	v_cndmask_b32_e32 v16, v15, v16, vcc
	v_mov_b32_e32 v17, v16
	;;#ASMSTART
	v_pk_mul_f32 v[10:11], v[10:11], v[16:17]
	;;#ASMEND
	;;#ASMSTART
	v_pk_mul_f32 v[12:13], v[12:13], v[16:17]
	;;#ASMEND
	;; [unrolled: 3-line block ×3, first 2 shown]
	v_cvt_f32_u32_sdwa v20, v3 dst_sel:DWORD dst_unused:UNUSED_PAD src0_sel:WORD_0
	;;#ASMSTART
	v_pk_mul_f32 v[2:3], v[6:7], v[16:17]
	;;#ASMEND
	v_cvt_f32_u32_sdwa v17, v4 dst_sel:DWORD dst_unused:UNUSED_PAD src0_sel:WORD_1
	v_cvt_f32_u32_sdwa v16, v4 dst_sel:DWORD dst_unused:UNUSED_PAD src0_sel:WORD_0
	v_pk_add_f32 v[6:7], v[18:19], 1.0 op_sel_hi:[1,0]
	v_cvt_f32_u32_sdwa v19, v5 dst_sel:DWORD dst_unused:UNUSED_PAD src0_sel:WORD_1
	v_cvt_f32_u32_sdwa v18, v5 dst_sel:DWORD dst_unused:UNUSED_PAD src0_sel:WORD_0
	;;#ASMSTART
	v_pk_mul_f32 v[10:11], v[10:11], v[6:7]
	;;#ASMEND
	v_pk_add_f32 v[6:7], v[20:21], 1.0 op_sel_hi:[1,0]
	v_pk_add_f32 v[4:5], v[16:17], 1.0 op_sel_hi:[1,0]
	;;#ASMSTART
	v_pk_mul_f32 v[12:13], v[12:13], v[6:7]
	;;#ASMEND
	;;#ASMSTART
	v_pk_mul_f32 v[8:9], v[8:9], v[4:5]
	;;#ASMEND
	v_pk_add_f32 v[4:5], v[18:19], 1.0 op_sel_hi:[1,0]
	;;#ASMSTART
	v_pk_mul_f32 v[6:7], v[2:3], v[4:5]
	;;#ASMEND
.LBB492_7:
	s_or_b64 exec, exec, s[8:9]
	s_load_dword s7, s[4:5], 0x80
	s_mov_b64 s[8:9], -1
	s_and_b64 vcc, exec, s[14:15]
	s_cbranch_vccnz .LBB492_11
; %bb.8:
	s_andn2_b64 vcc, exec, s[8:9]
	s_cbranch_vccz .LBB492_14
.LBB492_9:
	s_cmp_lt_i32 s20, 1
	s_cbranch_scc0 .LBB492_23
.LBB492_10:
	s_endpgm
.LBB492_11:
	s_and_saveexec_b64 s[14:15], s[2:3]
	s_cbranch_execz .LBB492_13
; %bb.12:
	s_waitcnt lgkmcnt(0)
	s_mul_hi_i32 s9, s7, s6
	s_mul_i32 s8, s7, s6
	s_lshl_b64 s[8:9], s[8:9], 1
	s_add_u32 s8, s28, s8
	s_addc_u32 s9, s29, s9
	s_mov_b32 s16, 0x7060302
	s_and_b32 s9, s9, 0xffff
	s_mov_b32 s11, 0x20000
	s_waitcnt vmcnt(0)
	v_perm_b32 v2, v11, v10, s16
	v_perm_b32 v3, v13, v12, s16
	;; [unrolled: 1-line block ×4, first 2 shown]
	v_lshlrev_b32_e32 v15, 4, v0
	buffer_store_dwordx4 v[2:5], v15, s[8:11], 0 offen
	;;#ASMSTART
	s_nop 0
	;;#ASMEND
.LBB492_13:
	s_or_b64 exec, exec, s[14:15]
	s_cbranch_execnz .LBB492_9
.LBB492_14:
	s_load_dwordx4 s[24:27], s[4:5], 0x70
	s_waitcnt vmcnt(0)
	v_mov_b32_e32 v2, 0
	s_and_saveexec_b64 s[14:15], s[2:3]
	s_cbranch_execz .LBB492_16
; %bb.15:
	s_load_dwordx2 s[8:9], s[4:5], 0x10
	s_waitcnt lgkmcnt(0)
	s_mul_hi_i32 s35, s27, s6
	s_mul_i32 s34, s27, s6
	s_lshl_b64 s[34:35], s[34:35], 1
	s_mov_b32 s16, 0x7060302
	s_add_u32 s8, s8, s34
	s_addc_u32 s9, s9, s35
	s_mov_b32 s11, 0x20000
	s_and_b32 s9, s9, 0xffff
	v_perm_b32 v2, v11, v10, s16
	v_perm_b32 v3, v13, v12, s16
	v_perm_b32 v4, v9, v8, s16
	v_perm_b32 v5, v7, v6, s16
	v_lshlrev_b32_e32 v15, 4, v0
	buffer_store_dwordx4 v[2:5], v15, s[8:11], 0 offen
	;;#ASMSTART
	s_nop 0
	;;#ASMEND
	s_nop 0
	v_mov_b32_e32 v2, 0x2edbe6ff
.LBB492_16:
	s_or_b64 exec, exec, s[14:15]
	s_and_saveexec_b64 s[8:9], s[2:3]
	s_cbranch_execz .LBB492_18
; %bb.17:
	v_and_b32_e32 v3, 0x7fffffff, v10
	v_and_b32_e32 v4, 0x7fffffff, v11
	;;#ASMSTART
	v_max3_f32 v2, v2, v3, v4

	;;#ASMEND
	v_and_b32_e32 v3, 0x7fffffff, v12
	v_and_b32_e32 v4, 0x7fffffff, v13
	;;#ASMSTART
	v_max3_f32 v2, v2, v3, v4

	;;#ASMEND
	;; [unrolled: 6-line block ×4, first 2 shown]
.LBB492_18:
	s_or_b64 exec, exec, s[8:9]
	;;#ASMSTART
	v_max_f32 v3, v2, v2 quad_perm:[1,0,3,2] row_mask:0xf bank_mask:0xf bound_ctrl:1
	;;#ASMEND
	;;#ASMSTART
	v_max_f32 v2, v3, v3 quad_perm:[2,3,0,1] row_mask:0xf bank_mask:0xf bound_ctrl:1
	;;#ASMEND
	;;#ASMSTART
	v_max_f32 v3, v2, v2 row_half_mirror row_mask:0xf bank_mask:0xf bound_ctrl:1
	;;#ASMEND
	;;#ASMSTART
	v_max_f32 v2, v3, v3 row_mirror row_mask:0xf bank_mask:0xf bound_ctrl:1
	;;#ASMEND
	v_and_b32_e32 v3, 15, v0
	v_cmp_eq_u32_e32 vcc, 0, v3
	v_cmp_gt_i32_e64 s[8:9], s19, v1
	s_and_b64 s[10:11], vcc, s[8:9]
	s_and_saveexec_b64 s[8:9], s[10:11]
	s_cbranch_execz .LBB492_20
; %bb.19:
	s_load_dwordx2 s[10:11], s[4:5], 0x8
	v_mul_f32_e32 v2, 0x3e2aaaab, v2
	v_lshrrev_b32_e32 v3, 23, v2
	v_and_b32_e32 v4, 0x7f800000, v2
	v_and_b32_e32 v2, 0x7fffff, v2
	v_cmp_ne_u32_e32 vcc, 0, v2
	s_waitcnt lgkmcnt(0)
	s_mul_i32 s16, s25, s6
	s_mov_b32 s14, 0x7f800000
	v_addc_co_u32_e32 v2, vcc, 0, v3, vcc
	s_mul_hi_i32 s15, s25, s6
	s_add_u32 s10, s10, s16
	v_cmp_ne_u32_e32 vcc, s14, v4
	s_addc_u32 s11, s11, s15
	v_lshrrev_b32_e32 v5, 4, v0
	v_cndmask_b32_e32 v4, -1, v2, vcc
	v_pk_mov_b32 v[2:3], s[10:11], s[10:11] op_sel:[0,1]
	v_mad_i64_i32 v[2:3], s[10:11], s26, v5, v[2:3]
	global_store_byte v[2:3], v4, off
.LBB492_20:
	s_or_b64 exec, exec, s[8:9]
	s_and_saveexec_b64 s[8:9], s[2:3]
	s_cbranch_execz .LBB492_22
; %bb.21:
	s_load_dwordx2 s[2:3], s[4:5], 0x0
	s_waitcnt lgkmcnt(0)
	s_mul_i32 s11, s24, s6
	s_mul_hi_i32 s10, s24, s6
	v_lshlrev_b32_e32 v2, 2, v0
	s_mov_b32 s27, 0x20000
	s_add_u32 s24, s2, s11
	s_addc_u32 s2, s3, s10
	s_lshr_b32 s3, s19, 31
	s_add_i32 s3, s19, s3
	s_ashr_i32 s3, s3, 1
	s_add_i32 s3, s3, 3
	s_ashr_i32 s10, s3, 31
	s_lshr_b32 s10, s10, 30
	s_add_i32 s3, s3, s10
	s_and_b32 s26, s3, -4
	s_and_b32 s25, s2, 0xffff
	v_mov_b32_e32 v3, 0
	buffer_store_dword v3, v2, s[24:27], 0 offen
	;;#ASMSTART
	s_nop 0
	;;#ASMEND
.LBB492_22:
	s_or_b64 exec, exec, s[8:9]
	s_cmp_lt_i32 s20, 1
	s_cbranch_scc1 .LBB492_10
.LBB492_23:
	s_load_dword s2, s[4:5], 0x94
	s_waitcnt lgkmcnt(0)
	s_cmp_lg_u32 s2, 1
	s_cbranch_scc1 .LBB492_10
; %bb.24:
	s_lshl_b32 s2, s20, 1
	s_add_i32 s2, s2, 2
	v_cmp_gt_u32_e32 vcc, s20, v1
	s_and_b32 s14, s2, -4
	v_mov_b32_e32 v6, 0
	v_lshlrev_b32_e32 v1, 4, v0
	v_mov_b32_e32 v7, 0
	v_mov_b32_e32 v8, 0
	;; [unrolled: 1-line block ×3, first 2 shown]
	s_waitcnt vmcnt(0)
	v_mov_b32_e32 v2, 0
	v_mov_b32_e32 v3, 0
	;; [unrolled: 1-line block ×4, first 2 shown]
	s_barrier
	s_and_saveexec_b64 s[2:3], vcc
	s_cbranch_execz .LBB492_26
; %bb.25:
	s_mul_hi_i32 s5, s22, s6
	s_mul_i32 s4, s22, s6
	s_and_b32 s13, s13, 0xffff
	s_lshl_b64 s[4:5], s[4:5], 1
	s_add_u32 s8, s30, s4
	s_mov_b32 s15, 0x20000
	s_addc_u32 s4, s31, s5
	s_and_b32 s9, s4, 0xffff
	s_mov_b32 s10, s14
	s_mov_b32 s11, s15
	buffer_load_dwordx4 v[6:9], v1, s[8:11], 0 offen glc slc
	buffer_load_dwordx4 v[2:5], v1, s[12:15], 0 offen
.LBB492_26:
	s_or_b64 exec, exec, s[2:3]
	s_waitcnt vmcnt(1)
	v_cvt_f32_u32_sdwa v13, v6 dst_sel:DWORD dst_unused:UNUSED_PAD src0_sel:WORD_1
	v_cvt_f32_u32_sdwa v12, v6 dst_sel:DWORD dst_unused:UNUSED_PAD src0_sel:WORD_0
	v_cvt_f32_u32_sdwa v6, v9 dst_sel:DWORD dst_unused:UNUSED_PAD src0_sel:WORD_1
	v_cvt_f32_u32_sdwa v9, v9 dst_sel:DWORD dst_unused:UNUSED_PAD src0_sel:WORD_0
	;; [unrolled: 2-line block ×4, first 2 shown]
	v_cndmask_b32_e32 v13, 0, v13, vcc
	v_cndmask_b32_e32 v7, 0, v6, vcc
	;; [unrolled: 1-line block ×5, first 2 shown]
	v_mul_f32_e32 v15, v13, v13
	v_cndmask_b32_e32 v10, 0, v10, vcc
	v_fmac_f32_e32 v15, v12, v12
	v_cndmask_b32_e32 v11, 0, v11, vcc
	v_fmac_f32_e32 v15, v10, v10
	;; [unrolled: 2-line block ×3, first 2 shown]
	v_fmac_f32_e32 v15, v8, v8
	v_fmac_f32_e32 v15, v9, v9
	;; [unrolled: 1-line block ×4, first 2 shown]
	s_nop 1
	v_mov_b32_dpp v16, v15 quad_perm:[1,0,3,2] row_mask:0xf bank_mask:0xf
	v_add_f32_e32 v15, v15, v16
	s_nop 1
	v_mov_b32_dpp v16, v15 quad_perm:[2,3,0,1] row_mask:0xf bank_mask:0xf
	v_add_f32_e32 v15, v15, v16
	s_nop 1
	v_mov_b32_dpp v16, v15 row_half_mirror row_mask:0xf bank_mask:0xf
	v_add_f32_e32 v15, v15, v16
	s_nop 1
	v_mov_b32_dpp v16, v15 row_mirror row_mask:0xf bank_mask:0xf
	v_add_f32_e32 v15, v15, v16
	s_nop 1
	v_mov_b32_dpp v16, v15 row_bcast:15 row_mask:0xf bank_mask:0xf
	v_add_f32_e32 v15, v15, v16
	s_nop 1
	v_mov_b32_dpp v16, v15 row_bcast:31 row_mask:0xf bank_mask:0xf
	s_and_saveexec_b64 s[2:3], s[0:1]
	s_cbranch_execz .LBB492_28
; %bb.27:
	v_lshrrev_b32_e32 v0, 4, v0
	v_add_f32_e32 v15, v15, v16
	v_and_b32_e32 v0, 60, v0
	ds_write_b32 v0, v15
.LBB492_28:
	s_or_b64 exec, exec, s[2:3]
	s_waitcnt lgkmcnt(0)
	s_barrier
	ds_read_b32 v0, v14
	s_waitcnt lgkmcnt(0)
	s_nop 0
	v_mov_b32_dpp v14, v0 quad_perm:[1,0,3,2] row_mask:0xf bank_mask:0xf
	v_add_f32_e32 v0, v0, v14
	s_nop 1
	v_mov_b32_dpp v14, v0 quad_perm:[2,3,0,1] row_mask:0xf bank_mask:0xf
	s_and_saveexec_b64 s[0:1], vcc
	s_cbranch_execz .LBB492_10
; %bb.29:
	v_cvt_f32_u32_e32 v15, s20
	v_add_f32_e32 v0, v0, v14
	s_mov_b32 s15, 0x20000
	v_div_scale_f32 v14, s[0:1], v15, v15, v0
	v_rcp_f32_e32 v16, v14
	v_div_scale_f32 v17, vcc, v0, v15, v0
	s_mov_b32 s0, 0x800000
	v_fma_f32 v18, -v14, v16, 1.0
	v_fmac_f32_e32 v16, v18, v16
	v_mul_f32_e32 v18, v17, v16
	v_fma_f32 v19, -v14, v18, v17
	v_fmac_f32_e32 v18, v19, v16
	v_fma_f32 v14, -v14, v18, v17
	v_div_fmas_f32 v14, v14, v16, v18
	v_div_fixup_f32 v0, v14, v15, v0
	v_add_f32_e32 v0, s17, v0
	v_mul_f32_e32 v14, 0x4b800000, v0
	v_cmp_gt_f32_e32 vcc, s0, v0
	v_cndmask_b32_e32 v0, v0, v14, vcc
	v_rsq_f32_e32 v0, v0
	s_waitcnt vmcnt(0)
	v_cvt_f32_u32_sdwa v17, v2 dst_sel:DWORD dst_unused:UNUSED_PAD src0_sel:WORD_1
	v_cvt_f32_u32_sdwa v16, v2 dst_sel:DWORD dst_unused:UNUSED_PAD src0_sel:WORD_0
	v_cvt_f32_u32_sdwa v19, v3 dst_sel:DWORD dst_unused:UNUSED_PAD src0_sel:WORD_1
	v_mul_f32_e32 v14, 0x45800000, v0
	v_cndmask_b32_e32 v14, v0, v14, vcc
	v_mov_b32_e32 v15, v14
	;;#ASMSTART
	v_pk_mul_f32 v[12:13], v[12:13], v[14:15]
	;;#ASMEND
	;;#ASMSTART
	v_pk_mul_f32 v[10:11], v[10:11], v[14:15]
	;;#ASMEND
	;; [unrolled: 3-line block ×3, first 2 shown]
	v_cvt_f32_u32_sdwa v18, v3 dst_sel:DWORD dst_unused:UNUSED_PAD src0_sel:WORD_0
	;;#ASMSTART
	v_pk_mul_f32 v[2:3], v[6:7], v[14:15]
	;;#ASMEND
	v_cvt_f32_u32_sdwa v15, v4 dst_sel:DWORD dst_unused:UNUSED_PAD src0_sel:WORD_1
	v_cvt_f32_u32_sdwa v14, v4 dst_sel:DWORD dst_unused:UNUSED_PAD src0_sel:WORD_0
	v_pk_add_f32 v[6:7], v[16:17], 1.0 op_sel_hi:[1,0]
	v_cvt_f32_u32_sdwa v17, v5 dst_sel:DWORD dst_unused:UNUSED_PAD src0_sel:WORD_1
	v_cvt_f32_u32_sdwa v16, v5 dst_sel:DWORD dst_unused:UNUSED_PAD src0_sel:WORD_0
	s_mul_hi_i32 s1, s7, s6
	s_mul_i32 s0, s7, s6
	s_lshl_b64 s[0:1], s[0:1], 1
	s_add_u32 s12, s28, s0
	;;#ASMSTART
	v_pk_mul_f32 v[6:7], v[12:13], v[6:7]
	;;#ASMEND
	v_pk_add_f32 v[12:13], v[18:19], 1.0 op_sel_hi:[1,0]
	;;#ASMSTART
	v_pk_mul_f32 v[4:5], v[10:11], v[12:13]
	;;#ASMEND
	v_pk_add_f32 v[10:11], v[14:15], 1.0 op_sel_hi:[1,0]
	s_addc_u32 s0, s29, s1
	;;#ASMSTART
	v_pk_mul_f32 v[8:9], v[8:9], v[10:11]
	;;#ASMEND
	v_pk_add_f32 v[10:11], v[16:17], 1.0 op_sel_hi:[1,0]
	s_and_b32 s13, s0, 0xffff
	s_mov_b32 s0, 0x7060302
	;;#ASMSTART
	v_pk_mul_f32 v[10:11], v[2:3], v[10:11]
	;;#ASMEND
	v_perm_b32 v2, v7, v6, s0
	v_perm_b32 v3, v5, v4, s0
	;; [unrolled: 1-line block ×4, first 2 shown]
	buffer_store_dwordx4 v[2:5], v1, s[12:15], 0 offen
	;;#ASMSTART
	s_nop 0
	;;#ASMEND
	s_endpgm
	.section	.rodata,"a",@progbits
	.p2align	6, 0x0
	.amdhsa_kernel _ZN5aiter35fused_qk_rmsnorm_group_quant_kernelItN4opus5fp4_tELi256ELi8ELi16ELb0ELb1ELb1ELb0ELb0ELb0EEEvPT0_PvPT_S7_S7_PKS6_S9_S9_S9_S9_ffiiiiiiiiiiiii
		.amdhsa_group_segment_fixed_size 32
		.amdhsa_private_segment_fixed_size 0
		.amdhsa_kernarg_size 400
		.amdhsa_user_sgpr_count 6
		.amdhsa_user_sgpr_private_segment_buffer 1
		.amdhsa_user_sgpr_dispatch_ptr 0
		.amdhsa_user_sgpr_queue_ptr 0
		.amdhsa_user_sgpr_kernarg_segment_ptr 1
		.amdhsa_user_sgpr_dispatch_id 0
		.amdhsa_user_sgpr_flat_scratch_init 0
		.amdhsa_user_sgpr_kernarg_preload_length 0
		.amdhsa_user_sgpr_kernarg_preload_offset 0
		.amdhsa_user_sgpr_private_segment_size 0
		.amdhsa_uses_dynamic_stack 0
		.amdhsa_system_sgpr_private_segment_wavefront_offset 0
		.amdhsa_system_sgpr_workgroup_id_x 1
		.amdhsa_system_sgpr_workgroup_id_y 1
		.amdhsa_system_sgpr_workgroup_id_z 0
		.amdhsa_system_sgpr_workgroup_info 0
		.amdhsa_system_vgpr_workitem_id 0
		.amdhsa_next_free_vgpr 23
		.amdhsa_next_free_sgpr 36
		.amdhsa_accum_offset 24
		.amdhsa_reserve_vcc 1
		.amdhsa_reserve_flat_scratch 0
		.amdhsa_float_round_mode_32 0
		.amdhsa_float_round_mode_16_64 0
		.amdhsa_float_denorm_mode_32 3
		.amdhsa_float_denorm_mode_16_64 3
		.amdhsa_dx10_clamp 1
		.amdhsa_ieee_mode 1
		.amdhsa_fp16_overflow 0
		.amdhsa_tg_split 0
		.amdhsa_exception_fp_ieee_invalid_op 0
		.amdhsa_exception_fp_denorm_src 0
		.amdhsa_exception_fp_ieee_div_zero 0
		.amdhsa_exception_fp_ieee_overflow 0
		.amdhsa_exception_fp_ieee_underflow 0
		.amdhsa_exception_fp_ieee_inexact 0
		.amdhsa_exception_int_div_zero 0
	.end_amdhsa_kernel
	.section	.text._ZN5aiter35fused_qk_rmsnorm_group_quant_kernelItN4opus5fp4_tELi256ELi8ELi16ELb0ELb1ELb1ELb0ELb0ELb0EEEvPT0_PvPT_S7_S7_PKS6_S9_S9_S9_S9_ffiiiiiiiiiiiii,"axG",@progbits,_ZN5aiter35fused_qk_rmsnorm_group_quant_kernelItN4opus5fp4_tELi256ELi8ELi16ELb0ELb1ELb1ELb0ELb0ELb0EEEvPT0_PvPT_S7_S7_PKS6_S9_S9_S9_S9_ffiiiiiiiiiiiii,comdat
.Lfunc_end492:
	.size	_ZN5aiter35fused_qk_rmsnorm_group_quant_kernelItN4opus5fp4_tELi256ELi8ELi16ELb0ELb1ELb1ELb0ELb0ELb0EEEvPT0_PvPT_S7_S7_PKS6_S9_S9_S9_S9_ffiiiiiiiiiiiii, .Lfunc_end492-_ZN5aiter35fused_qk_rmsnorm_group_quant_kernelItN4opus5fp4_tELi256ELi8ELi16ELb0ELb1ELb1ELb0ELb0ELb0EEEvPT0_PvPT_S7_S7_PKS6_S9_S9_S9_S9_ffiiiiiiiiiiiii
                                        ; -- End function
	.section	.AMDGPU.csdata,"",@progbits
; Kernel info:
; codeLenInByte = 2508
; NumSgprs: 40
; NumVgprs: 23
; NumAgprs: 0
; TotalNumVgprs: 23
; ScratchSize: 0
; MemoryBound: 0
; FloatMode: 240
; IeeeMode: 1
; LDSByteSize: 32 bytes/workgroup (compile time only)
; SGPRBlocks: 4
; VGPRBlocks: 2
; NumSGPRsForWavesPerEU: 40
; NumVGPRsForWavesPerEU: 23
; AccumOffset: 24
; Occupancy: 8
; WaveLimiterHint : 0
; COMPUTE_PGM_RSRC2:SCRATCH_EN: 0
; COMPUTE_PGM_RSRC2:USER_SGPR: 6
; COMPUTE_PGM_RSRC2:TRAP_HANDLER: 0
; COMPUTE_PGM_RSRC2:TGID_X_EN: 1
; COMPUTE_PGM_RSRC2:TGID_Y_EN: 1
; COMPUTE_PGM_RSRC2:TGID_Z_EN: 0
; COMPUTE_PGM_RSRC2:TIDIG_COMP_CNT: 0
; COMPUTE_PGM_RSRC3_GFX90A:ACCUM_OFFSET: 5
; COMPUTE_PGM_RSRC3_GFX90A:TG_SPLIT: 0
	.section	.text._ZN5aiter35fused_qk_rmsnorm_group_quant_kernelIDF16_DB8_Li256ELi8ELi16ELb0ELb1ELb0ELb0ELb0ELb0EEEvPT0_PvPT_S6_S6_PKS5_S8_S8_S8_S8_ffiiiiiiiiiiiii,"axG",@progbits,_ZN5aiter35fused_qk_rmsnorm_group_quant_kernelIDF16_DB8_Li256ELi8ELi16ELb0ELb1ELb0ELb0ELb0ELb0EEEvPT0_PvPT_S6_S6_PKS5_S8_S8_S8_S8_ffiiiiiiiiiiiii,comdat
	.protected	_ZN5aiter35fused_qk_rmsnorm_group_quant_kernelIDF16_DB8_Li256ELi8ELi16ELb0ELb1ELb0ELb0ELb0ELb0EEEvPT0_PvPT_S6_S6_PKS5_S8_S8_S8_S8_ffiiiiiiiiiiiii ; -- Begin function _ZN5aiter35fused_qk_rmsnorm_group_quant_kernelIDF16_DB8_Li256ELi8ELi16ELb0ELb1ELb0ELb0ELb0ELb0EEEvPT0_PvPT_S6_S6_PKS5_S8_S8_S8_S8_ffiiiiiiiiiiiii
	.globl	_ZN5aiter35fused_qk_rmsnorm_group_quant_kernelIDF16_DB8_Li256ELi8ELi16ELb0ELb1ELb0ELb0ELb0ELb0EEEvPT0_PvPT_S6_S6_PKS5_S8_S8_S8_S8_ffiiiiiiiiiiiii
	.p2align	8
	.type	_ZN5aiter35fused_qk_rmsnorm_group_quant_kernelIDF16_DB8_Li256ELi8ELi16ELb0ELb1ELb0ELb0ELb0ELb0EEEvPT0_PvPT_S6_S6_PKS5_S8_S8_S8_S8_ffiiiiiiiiiiiii,@function
_ZN5aiter35fused_qk_rmsnorm_group_quant_kernelIDF16_DB8_Li256ELi8ELi16ELb0ELb1ELb0ELb0ELb0ELb0EEEvPT0_PvPT_S6_S6_PKS5_S8_S8_S8_S8_ffiiiiiiiiiiiii: ; @_ZN5aiter35fused_qk_rmsnorm_group_quant_kernelIDF16_DB8_Li256ELi8ELi16ELb0ELb1ELb0ELb0ELb0ELb0EEEvPT0_PvPT_S6_S6_PKS5_S8_S8_S8_S8_ffiiiiiiiiiiiii
; %bb.0:
	s_load_dwordx4 s[16:19], s[4:5], 0x50
	s_waitcnt lgkmcnt(0)
	s_cmp_ge_i32 s6, s18
	s_cbranch_scc1 .LBB493_12
; %bb.1:
	s_load_dwordx2 s[12:13], s[4:5], 0x48
	s_load_dwordx2 s[30:31], s[4:5], 0x30
	s_load_dwordx4 s[20:23], s[4:5], 0x60
	s_cmp_lg_u32 s7, 0
	s_cselect_b64 s[14:15], -1, 0
	s_cmp_eq_u32 s7, 0
	s_cselect_b64 vcc, -1, 0
	s_and_b64 s[0:1], vcc, exec
	s_waitcnt lgkmcnt(0)
	s_cselect_b32 s7, s19, s20
	s_add_i32 s0, s7, 1
	s_lshr_b32 s1, s0, 31
	s_add_i32 s0, s0, s1
	s_lshl_b32 s0, s0, 1
	v_lshlrev_b32_e32 v1, 3, v0
	s_and_b32 s10, s0, -4
	v_cmp_gt_i32_e64 s[2:3], s7, v1
	v_mov_b32_e32 v10, 0
	v_mov_b32_e32 v2, 0
	;; [unrolled: 1-line block ×9, first 2 shown]
	s_and_saveexec_b64 s[0:1], s[2:3]
	s_cbranch_execz .LBB493_3
; %bb.2:
	s_load_dwordx2 s[8:9], s[4:5], 0x28
	s_load_dwordx2 s[26:27], s[4:5], 0x40
	s_and_b64 s[24:25], vcc, exec
	s_cselect_b32 s11, s21, s22
	v_lshlrev_b32_e32 v11, 4, v0
	s_waitcnt lgkmcnt(0)
	s_cselect_b32 s18, s9, s31
	s_cselect_b32 s21, s8, s30
	s_mul_hi_i32 s9, s11, s6
	s_mul_i32 s8, s11, s6
	s_lshl_b64 s[8:9], s[8:9], 1
	s_add_u32 s24, s21, s8
	s_addc_u32 s18, s18, s9
	s_and_b64 s[8:9], vcc, exec
	s_mov_b32 s11, 0x20000
	s_cselect_b32 s8, s26, s12
	s_cselect_b32 s9, s27, s13
	s_and_b32 s25, s18, 0xffff
	s_mov_b32 s26, s10
	s_mov_b32 s27, s11
	s_and_b32 s9, s9, 0xffff
	buffer_load_dwordx4 v[6:9], v11, s[24:27], 0 offen glc slc
	buffer_load_dwordx4 v[2:5], v11, s[8:11], 0 offen
.LBB493_3:
	s_or_b64 exec, exec, s[0:1]
	v_mov_b32_e32 v11, 0
	v_mov_b32_e32 v16, 0
	;; [unrolled: 1-line block ×7, first 2 shown]
	s_and_saveexec_b64 s[0:1], s[2:3]
	s_cbranch_execz .LBB493_5
; %bb.4:
	s_waitcnt vmcnt(1)
	v_cvt_f32_f16_sdwa v11, v6 dst_sel:DWORD dst_unused:UNUSED_PAD src0_sel:WORD_1
	v_cvt_f32_f16_e32 v10, v6
	v_cvt_f32_f16_sdwa v17, v7 dst_sel:DWORD dst_unused:UNUSED_PAD src0_sel:WORD_1
	v_cvt_f32_f16_e32 v16, v7
	v_cvt_f32_f16_sdwa v15, v8 dst_sel:DWORD dst_unused:UNUSED_PAD src0_sel:WORD_1
	v_cvt_f32_f16_e32 v14, v8
	v_cvt_f32_f16_sdwa v13, v9 dst_sel:DWORD dst_unused:UNUSED_PAD src0_sel:WORD_1
	v_cvt_f32_f16_e32 v12, v9
.LBB493_5:
	s_or_b64 exec, exec, s[0:1]
	s_waitcnt vmcnt(1)
	v_mul_f32_e32 v6, v11, v11
	v_fmac_f32_e32 v6, v10, v10
	v_fmac_f32_e32 v6, v16, v16
	;; [unrolled: 1-line block ×7, first 2 shown]
	v_and_b32_e32 v8, 63, v0
	v_cmp_eq_u32_e64 s[0:1], 63, v8
	v_mov_b32_dpp v7, v6 quad_perm:[1,0,3,2] row_mask:0xf bank_mask:0xf
	v_add_f32_e32 v6, v6, v7
	s_nop 1
	v_mov_b32_dpp v7, v6 quad_perm:[2,3,0,1] row_mask:0xf bank_mask:0xf
	v_add_f32_e32 v6, v6, v7
	s_nop 1
	v_mov_b32_dpp v7, v6 row_half_mirror row_mask:0xf bank_mask:0xf
	v_add_f32_e32 v6, v6, v7
	s_nop 1
	v_mov_b32_dpp v7, v6 row_mirror row_mask:0xf bank_mask:0xf
	v_add_f32_e32 v6, v6, v7
	s_nop 1
	v_mov_b32_dpp v7, v6 row_bcast:15 row_mask:0xf bank_mask:0xf
	v_add_f32_e32 v6, v6, v7
	s_nop 1
	v_mov_b32_dpp v7, v6 row_bcast:31 row_mask:0xf bank_mask:0xf
	s_and_saveexec_b64 s[8:9], s[0:1]
	s_cbranch_execz .LBB493_7
; %bb.6:
	v_add_f32_e32 v6, v6, v7
	v_lshrrev_b32_e32 v7, 4, v0
	v_and_b32_e32 v7, 60, v7
	ds_write_b32 v7, v6 offset:16
.LBB493_7:
	s_or_b64 exec, exec, s[8:9]
	v_and_b32_e32 v6, 3, v0
	v_lshlrev_b32_e32 v18, 2, v6
	s_waitcnt lgkmcnt(0)
	s_barrier
	ds_read_b32 v6, v18 offset:16
	s_load_dwordx2 s[28:29], s[4:5], 0x18
	s_waitcnt lgkmcnt(0)
	v_mov_b32_dpp v7, v6 quad_perm:[1,0,3,2] row_mask:0xf bank_mask:0xf
	v_add_f32_e32 v6, v6, v7
	s_nop 1
	v_mov_b32_dpp v7, v6 quad_perm:[2,3,0,1] row_mask:0xf bank_mask:0xf
	s_and_saveexec_b64 s[8:9], s[2:3]
	s_cbranch_execz .LBB493_9
; %bb.8:
	v_cvt_f32_u32_e32 v8, s7
	v_add_f32_e32 v6, v6, v7
	v_mov_b32_e32 v19, s17
	v_mov_b32_e32 v20, s16
	v_div_scale_f32 v7, s[24:25], v8, v8, v6
	v_rcp_f32_e32 v9, v7
	v_cndmask_b32_e32 v19, v19, v20, vcc
	s_mov_b32 s7, 0x800000
	v_fma_f32 v20, -v7, v9, 1.0
	v_fmac_f32_e32 v9, v20, v9
	v_div_scale_f32 v20, vcc, v6, v8, v6
	v_mul_f32_e32 v21, v20, v9
	v_fma_f32 v22, -v7, v21, v20
	v_fmac_f32_e32 v21, v22, v9
	v_fma_f32 v7, -v7, v21, v20
	v_div_fmas_f32 v7, v7, v9, v21
	v_div_fixup_f32 v6, v7, v8, v6
	v_add_f32_e32 v6, v19, v6
	v_mul_f32_e32 v7, 0x4b800000, v6
	v_cmp_gt_f32_e32 vcc, s7, v6
	v_cndmask_b32_e32 v6, v6, v7, vcc
	v_rsq_f32_e32 v6, v6
	s_waitcnt vmcnt(0)
	v_cvt_f32_f16_sdwa v21, v5 dst_sel:DWORD dst_unused:UNUSED_PAD src0_sel:WORD_1
	v_cvt_f32_f16_e32 v20, v5
	v_mul_f32_e32 v7, 0x45800000, v6
	v_cndmask_b32_e32 v6, v6, v7, vcc
	v_mov_b32_e32 v7, v6
	;;#ASMSTART
	v_pk_mul_f32 v[8:9], v[10:11], v[6:7]
	;;#ASMEND
	;;#ASMSTART
	v_pk_mul_f32 v[16:17], v[16:17], v[6:7]
	;;#ASMEND
	;; [unrolled: 3-line block ×4, first 2 shown]
	v_cvt_f32_f16_sdwa v11, v2 dst_sel:DWORD dst_unused:UNUSED_PAD src0_sel:WORD_1
	v_cvt_f32_f16_e32 v10, v2
	v_cvt_f32_f16_sdwa v13, v3 dst_sel:DWORD dst_unused:UNUSED_PAD src0_sel:WORD_1
	v_cvt_f32_f16_e32 v12, v3
	v_cvt_f32_f16_sdwa v3, v4 dst_sel:DWORD dst_unused:UNUSED_PAD src0_sel:WORD_1
	v_cvt_f32_f16_e32 v2, v4
	;;#ASMSTART
	v_pk_mul_f32 v[10:11], v[8:9], v[10:11]
	;;#ASMEND
	;;#ASMSTART
	v_pk_mul_f32 v[16:17], v[16:17], v[12:13]
	;;#ASMEND
	;; [unrolled: 3-line block ×4, first 2 shown]
.LBB493_9:
	s_or_b64 exec, exec, s[8:9]
	s_load_dword s7, s[4:5], 0x80
	s_mov_b64 s[8:9], -1
	s_and_b64 vcc, exec, s[14:15]
	s_cbranch_vccnz .LBB493_13
; %bb.10:
	s_andn2_b64 vcc, exec, s[8:9]
	s_cbranch_vccz .LBB493_16
.LBB493_11:
	s_cmp_lt_i32 s20, 1
	s_cbranch_scc0 .LBB493_25
.LBB493_12:
	s_endpgm
.LBB493_13:
	s_and_saveexec_b64 s[14:15], s[2:3]
	s_cbranch_execz .LBB493_15
; %bb.14:
	s_waitcnt lgkmcnt(0)
	s_mul_hi_i32 s9, s7, s6
	s_mul_i32 s8, s7, s6
	s_waitcnt vmcnt(0)
	v_cvt_f16_f32_e32 v2, v10
	v_cvt_f16_f32_e32 v3, v16
	v_cvt_f16_f32_e32 v4, v14
	v_cvt_f16_f32_e32 v5, v12
	v_cvt_f16_f32_e32 v6, v13
	v_cvt_f16_f32_e32 v7, v15
	v_cvt_f16_f32_e32 v8, v17
	v_cvt_f16_f32_e32 v9, v11
	s_lshl_b64 s[8:9], s[8:9], 1
	s_add_u32 s8, s28, s8
	s_addc_u32 s9, s29, s9
	s_and_b32 s9, s9, 0xffff
	s_mov_b32 s11, 0x20000
	v_pack_b32_f16 v5, v5, v6
	v_pack_b32_f16 v4, v4, v7
	;; [unrolled: 1-line block ×4, first 2 shown]
	v_lshlrev_b32_e32 v6, 4, v0
	buffer_store_dwordx4 v[2:5], v6, s[8:11], 0 offen
	;;#ASMSTART
	s_nop 0
	;;#ASMEND
.LBB493_15:
	s_or_b64 exec, exec, s[14:15]
	s_cbranch_execnz .LBB493_11
.LBB493_16:
	s_load_dwordx4 s[24:27], s[4:5], 0x70
	s_waitcnt vmcnt(0)
	v_mov_b32_e32 v2, 0
	s_and_saveexec_b64 s[14:15], s[2:3]
	s_cbranch_execz .LBB493_18
; %bb.17:
	s_load_dwordx2 s[8:9], s[4:5], 0x10
	s_waitcnt lgkmcnt(0)
	s_mul_hi_i32 s35, s27, s6
	s_mul_i32 s34, s27, s6
	v_cvt_f16_f32_e32 v2, v10
	v_cvt_f16_f32_e32 v3, v16
	;; [unrolled: 1-line block ×8, first 2 shown]
	s_lshl_b64 s[34:35], s[34:35], 1
	s_add_u32 s8, s8, s34
	s_addc_u32 s9, s9, s35
	s_mov_b32 s11, 0x20000
	s_and_b32 s9, s9, 0xffff
	v_pack_b32_f16 v5, v5, v6
	v_pack_b32_f16 v4, v4, v7
	;; [unrolled: 1-line block ×4, first 2 shown]
	v_lshlrev_b32_e32 v6, 4, v0
	buffer_store_dwordx4 v[2:5], v6, s[8:11], 0 offen
	;;#ASMSTART
	s_nop 0
	;;#ASMEND
	s_nop 0
	v_mov_b32_e32 v2, 0x2edbe6ff
.LBB493_18:
	s_or_b64 exec, exec, s[14:15]
	s_and_saveexec_b64 s[8:9], s[2:3]
	s_cbranch_execz .LBB493_20
; %bb.19:
	v_and_b32_e32 v3, 0x7fffffff, v10
	v_and_b32_e32 v4, 0x7fffffff, v11
	;;#ASMSTART
	v_max3_f32 v2, v2, v3, v4

	;;#ASMEND
	v_and_b32_e32 v3, 0x7fffffff, v16
	v_and_b32_e32 v4, 0x7fffffff, v17
	;;#ASMSTART
	v_max3_f32 v2, v2, v3, v4

	;;#ASMEND
	;; [unrolled: 6-line block ×4, first 2 shown]
.LBB493_20:
	s_or_b64 exec, exec, s[8:9]
	;;#ASMSTART
	v_max_f32 v3, v2, v2 quad_perm:[1,0,3,2] row_mask:0xf bank_mask:0xf bound_ctrl:1
	;;#ASMEND
	;;#ASMSTART
	v_max_f32 v2, v3, v3 quad_perm:[2,3,0,1] row_mask:0xf bank_mask:0xf bound_ctrl:1
	;;#ASMEND
	;;#ASMSTART
	v_max_f32 v3, v2, v2 row_half_mirror row_mask:0xf bank_mask:0xf bound_ctrl:1
	;;#ASMEND
	;;#ASMSTART
	v_max_f32 v2, v3, v3 row_mirror row_mask:0xf bank_mask:0xf bound_ctrl:1
	;;#ASMEND
	v_and_b32_e32 v3, 15, v0
	v_cmp_eq_u32_e32 vcc, 0, v3
	v_cmp_gt_i32_e64 s[8:9], s19, v1
	v_mul_f32_e32 v2, 0x3b124925, v2
	s_and_b64 s[10:11], vcc, s[8:9]
	s_and_saveexec_b64 s[8:9], s[10:11]
	s_cbranch_execz .LBB493_22
; %bb.21:
	s_load_dwordx2 s[10:11], s[4:5], 0x8
	s_waitcnt lgkmcnt(0)
	s_mul_hi_i32 s15, s25, s6
	s_mul_i32 s14, s25, s6
	v_lshrrev_b32_e32 v3, 4, v0
	s_lshl_b64 s[14:15], s[14:15], 2
	v_mad_i64_i32 v[4:5], s[26:27], s26, v3, 0
	s_add_u32 s10, s10, s14
	s_addc_u32 s11, s11, s15
	v_lshlrev_b64 v[4:5], 2, v[4:5]
	v_mov_b32_e32 v3, s11
	v_add_co_u32_e32 v4, vcc, s10, v4
	v_addc_co_u32_e32 v5, vcc, v3, v5, vcc
	global_store_dword v[4:5], v2, off
.LBB493_22:
	s_or_b64 exec, exec, s[8:9]
	;;#ASMSTART
	v_rcp_f32 v2, v2
	;;#ASMEND
	s_and_saveexec_b64 s[14:15], s[2:3]
	s_cbranch_execz .LBB493_24
; %bb.23:
	s_load_dwordx2 s[2:3], s[4:5], 0x0
	s_waitcnt lgkmcnt(0)
	s_mul_i32 s8, s24, s6
	s_mul_hi_i32 s9, s24, s6
	v_mov_b32_e32 v3, v2
	;;#ASMSTART
	v_pk_mul_f32 v[4:5], v[10:11], v[2:3]
	;;#ASMEND
	s_add_u32 s8, s2, s8
	s_addc_u32 s2, s3, s9
	s_add_i32 s3, s19, 3
	s_ashr_i32 s9, s3, 31
	v_mov_b32_e32 v8, 0xc3e00000
	v_mov_b32_e32 v9, 0x43e00000
	;;#ASMSTART
	v_med3_f32 v4, v4, v8, v9
v_med3_f32 v5, v5, v8, v9
v_cvt_pk_fp8_f32 v6, v4, v5
	;;#ASMEND
	s_lshr_b32 s9, s9, 30
	;;#ASMSTART
	v_pk_mul_f32 v[4:5], v[16:17], v[2:3]
	;;#ASMEND
	s_add_i32 s3, s3, s9
	s_and_b32 s9, s2, 0xffff
	;;#ASMSTART
	v_med3_f32 v4, v4, v8, v9
v_med3_f32 v5, v5, v8, v9
v_cvt_pk_fp8_f32 v7, v4, v5
	;;#ASMEND
	s_mov_b32 s2, 0x5040100
	v_perm_b32 v5, v7, v6, s2
	s_movk_i32 s2, 0xff
	v_and_b32_e32 v4, 0xffffff00, v7
	v_and_b32_sdwa v6, v5, s2 dst_sel:DWORD dst_unused:UNUSED_PAD src0_sel:WORD_1 src1_sel:DWORD
	s_mov_b32 s16, 0xffff
	v_or_b32_sdwa v4, v6, v4 dst_sel:WORD_1 dst_unused:UNUSED_PAD src0_sel:DWORD src1_sel:DWORD
	v_and_or_b32 v4, v5, s16, v4
	;;#ASMSTART
	v_pk_mul_f32 v[6:7], v[14:15], v[2:3]
	;;#ASMEND
	v_mov_b32_e32 v5, v7
	;;#ASMSTART
	v_med3_f32 v6, v6, v8, v9
v_med3_f32 v5, v5, v8, v9
v_cvt_pk_fp8_f32 v7, v6, v5
	;;#ASMEND
	;;#ASMSTART
	v_pk_mul_f32 v[2:3], v[12:13], v[2:3]
	;;#ASMEND
	;;#ASMSTART
	v_med3_f32 v2, v2, v8, v9
v_med3_f32 v3, v3, v8, v9
v_cvt_pk_fp8_f32 v5, v2, v3
	;;#ASMEND
	v_lshlrev_b32_e32 v2, 16, v5
	s_and_b32 s10, s3, -4
	s_mov_b32 s11, 0x20000
	v_and_or_b32 v5, v7, s16, v2
	buffer_store_dwordx2 v[4:5], v1, s[8:11], 0 offen
	;;#ASMSTART
	s_nop 0
	;;#ASMEND
.LBB493_24:
	s_or_b64 exec, exec, s[14:15]
	s_cmp_lt_i32 s20, 1
	s_cbranch_scc1 .LBB493_12
.LBB493_25:
	s_load_dword s2, s[4:5], 0x94
	s_waitcnt lgkmcnt(0)
	s_cmp_lg_u32 s2, 1
	s_cbranch_scc1 .LBB493_12
; %bb.26:
	s_lshl_b32 s2, s20, 1
	s_add_i32 s2, s2, 2
	v_cmp_gt_u32_e32 vcc, s20, v1
	s_and_b32 s14, s2, -4
	v_mov_b32_e32 v10, 0
	v_lshlrev_b32_e32 v1, 4, v0
	v_mov_b32_e32 v6, 0
	v_mov_b32_e32 v7, 0
	;; [unrolled: 1-line block ×4, first 2 shown]
	s_waitcnt vmcnt(0)
	v_mov_b32_e32 v2, 0
	v_mov_b32_e32 v3, 0
	;; [unrolled: 1-line block ×4, first 2 shown]
	s_barrier
	s_and_saveexec_b64 s[2:3], vcc
	s_cbranch_execz .LBB493_28
; %bb.27:
	s_mul_hi_i32 s5, s22, s6
	s_mul_i32 s4, s22, s6
	s_and_b32 s13, s13, 0xffff
	s_lshl_b64 s[4:5], s[4:5], 1
	s_add_u32 s8, s30, s4
	s_mov_b32 s15, 0x20000
	s_addc_u32 s4, s31, s5
	s_and_b32 s9, s4, 0xffff
	s_mov_b32 s10, s14
	s_mov_b32 s11, s15
	buffer_load_dwordx4 v[6:9], v1, s[8:11], 0 offen glc slc
	buffer_load_dwordx4 v[2:5], v1, s[12:15], 0 offen
.LBB493_28:
	s_or_b64 exec, exec, s[2:3]
	v_mov_b32_e32 v11, 0
	v_mov_b32_e32 v16, 0
	;; [unrolled: 1-line block ×7, first 2 shown]
	s_and_saveexec_b64 s[2:3], vcc
	s_cbranch_execz .LBB493_30
; %bb.29:
	s_waitcnt vmcnt(1)
	v_cvt_f32_f16_sdwa v11, v6 dst_sel:DWORD dst_unused:UNUSED_PAD src0_sel:WORD_1
	v_cvt_f32_f16_e32 v10, v6
	v_cvt_f32_f16_sdwa v17, v7 dst_sel:DWORD dst_unused:UNUSED_PAD src0_sel:WORD_1
	v_cvt_f32_f16_e32 v16, v7
	;; [unrolled: 2-line block ×4, first 2 shown]
.LBB493_30:
	s_or_b64 exec, exec, s[2:3]
	s_waitcnt vmcnt(1)
	v_mul_f32_e32 v6, v11, v11
	v_fmac_f32_e32 v6, v10, v10
	v_fmac_f32_e32 v6, v16, v16
	;; [unrolled: 1-line block ×7, first 2 shown]
	s_nop 1
	v_mov_b32_dpp v7, v6 quad_perm:[1,0,3,2] row_mask:0xf bank_mask:0xf
	v_add_f32_e32 v6, v6, v7
	s_nop 1
	v_mov_b32_dpp v7, v6 quad_perm:[2,3,0,1] row_mask:0xf bank_mask:0xf
	v_add_f32_e32 v6, v6, v7
	s_nop 1
	v_mov_b32_dpp v7, v6 row_half_mirror row_mask:0xf bank_mask:0xf
	v_add_f32_e32 v6, v6, v7
	s_nop 1
	v_mov_b32_dpp v7, v6 row_mirror row_mask:0xf bank_mask:0xf
	v_add_f32_e32 v6, v6, v7
	s_nop 1
	v_mov_b32_dpp v7, v6 row_bcast:15 row_mask:0xf bank_mask:0xf
	v_add_f32_e32 v6, v6, v7
	s_nop 1
	v_mov_b32_dpp v7, v6 row_bcast:31 row_mask:0xf bank_mask:0xf
	s_and_saveexec_b64 s[2:3], s[0:1]
	s_cbranch_execz .LBB493_32
; %bb.31:
	v_lshrrev_b32_e32 v0, 4, v0
	v_add_f32_e32 v6, v6, v7
	v_and_b32_e32 v0, 60, v0
	ds_write_b32 v0, v6
.LBB493_32:
	s_or_b64 exec, exec, s[2:3]
	s_waitcnt lgkmcnt(0)
	s_barrier
	ds_read_b32 v0, v18
	s_waitcnt lgkmcnt(0)
	s_nop 0
	v_mov_b32_dpp v6, v0 quad_perm:[1,0,3,2] row_mask:0xf bank_mask:0xf
	v_add_f32_e32 v0, v0, v6
	s_nop 1
	v_mov_b32_dpp v6, v0 quad_perm:[2,3,0,1] row_mask:0xf bank_mask:0xf
	s_and_saveexec_b64 s[0:1], vcc
	s_cbranch_execz .LBB493_12
; %bb.33:
	v_cvt_f32_u32_e32 v7, s20
	v_add_f32_e32 v0, v0, v6
	s_mov_b32 s15, 0x20000
	v_div_scale_f32 v6, s[0:1], v7, v7, v0
	v_rcp_f32_e32 v8, v6
	v_div_scale_f32 v9, vcc, v0, v7, v0
	s_mov_b32 s0, 0x800000
	v_fma_f32 v18, -v6, v8, 1.0
	v_fmac_f32_e32 v8, v18, v8
	v_mul_f32_e32 v18, v9, v8
	v_fma_f32 v19, -v6, v18, v9
	v_fmac_f32_e32 v18, v19, v8
	v_fma_f32 v6, -v6, v18, v9
	v_div_fmas_f32 v6, v6, v8, v18
	v_div_fixup_f32 v0, v6, v7, v0
	v_add_f32_e32 v0, s17, v0
	v_mul_f32_e32 v6, 0x4b800000, v0
	v_cmp_gt_f32_e32 vcc, s0, v0
	v_cndmask_b32_e32 v0, v0, v6, vcc
	v_rsq_f32_e32 v0, v0
	s_waitcnt vmcnt(0)
	v_cvt_f32_f16_sdwa v19, v5 dst_sel:DWORD dst_unused:UNUSED_PAD src0_sel:WORD_1
	v_cvt_f32_f16_e32 v18, v5
	s_mul_hi_i32 s1, s7, s6
	v_mul_f32_e32 v6, 0x45800000, v0
	v_cndmask_b32_e32 v6, v0, v6, vcc
	v_mov_b32_e32 v7, v6
	;;#ASMSTART
	v_pk_mul_f32 v[8:9], v[10:11], v[6:7]
	;;#ASMEND
	;;#ASMSTART
	v_pk_mul_f32 v[10:11], v[16:17], v[6:7]
	;;#ASMEND
	;; [unrolled: 3-line block ×4, first 2 shown]
	v_cvt_f32_f16_sdwa v13, v2 dst_sel:DWORD dst_unused:UNUSED_PAD src0_sel:WORD_1
	v_cvt_f32_f16_e32 v12, v2
	v_cvt_f32_f16_sdwa v17, v3 dst_sel:DWORD dst_unused:UNUSED_PAD src0_sel:WORD_1
	v_cvt_f32_f16_e32 v16, v3
	;; [unrolled: 2-line block ×3, first 2 shown]
	;;#ASMSTART
	v_pk_mul_f32 v[4:5], v[8:9], v[12:13]
	;;#ASMEND
	;;#ASMSTART
	v_pk_mul_f32 v[8:9], v[10:11], v[16:17]
	;;#ASMEND
	;;#ASMSTART
	v_pk_mul_f32 v[2:3], v[14:15], v[2:3]
	;;#ASMEND
	;;#ASMSTART
	v_pk_mul_f32 v[6:7], v[6:7], v[18:19]
	;;#ASMEND
	s_mul_i32 s0, s7, s6
	v_cvt_f16_f32_e32 v0, v4
	v_cvt_f16_f32_e32 v4, v5
	;; [unrolled: 1-line block ×8, first 2 shown]
	s_lshl_b64 s[0:1], s[0:1], 1
	s_add_u32 s12, s28, s0
	s_addc_u32 s0, s29, s1
	s_and_b32 s13, s0, 0xffff
	v_pack_b32_f16 v2, v0, v4
	v_pack_b32_f16 v3, v5, v8
	;; [unrolled: 1-line block ×4, first 2 shown]
	buffer_store_dwordx4 v[2:5], v1, s[12:15], 0 offen
	;;#ASMSTART
	s_nop 0
	;;#ASMEND
	s_endpgm
	.section	.rodata,"a",@progbits
	.p2align	6, 0x0
	.amdhsa_kernel _ZN5aiter35fused_qk_rmsnorm_group_quant_kernelIDF16_DB8_Li256ELi8ELi16ELb0ELb1ELb0ELb0ELb0ELb0EEEvPT0_PvPT_S6_S6_PKS5_S8_S8_S8_S8_ffiiiiiiiiiiiii
		.amdhsa_group_segment_fixed_size 32
		.amdhsa_private_segment_fixed_size 0
		.amdhsa_kernarg_size 400
		.amdhsa_user_sgpr_count 6
		.amdhsa_user_sgpr_private_segment_buffer 1
		.amdhsa_user_sgpr_dispatch_ptr 0
		.amdhsa_user_sgpr_queue_ptr 0
		.amdhsa_user_sgpr_kernarg_segment_ptr 1
		.amdhsa_user_sgpr_dispatch_id 0
		.amdhsa_user_sgpr_flat_scratch_init 0
		.amdhsa_user_sgpr_kernarg_preload_length 0
		.amdhsa_user_sgpr_kernarg_preload_offset 0
		.amdhsa_user_sgpr_private_segment_size 0
		.amdhsa_uses_dynamic_stack 0
		.amdhsa_system_sgpr_private_segment_wavefront_offset 0
		.amdhsa_system_sgpr_workgroup_id_x 1
		.amdhsa_system_sgpr_workgroup_id_y 1
		.amdhsa_system_sgpr_workgroup_id_z 0
		.amdhsa_system_sgpr_workgroup_info 0
		.amdhsa_system_vgpr_workitem_id 0
		.amdhsa_next_free_vgpr 23
		.amdhsa_next_free_sgpr 36
		.amdhsa_accum_offset 24
		.amdhsa_reserve_vcc 1
		.amdhsa_reserve_flat_scratch 0
		.amdhsa_float_round_mode_32 0
		.amdhsa_float_round_mode_16_64 0
		.amdhsa_float_denorm_mode_32 3
		.amdhsa_float_denorm_mode_16_64 3
		.amdhsa_dx10_clamp 1
		.amdhsa_ieee_mode 1
		.amdhsa_fp16_overflow 0
		.amdhsa_tg_split 0
		.amdhsa_exception_fp_ieee_invalid_op 0
		.amdhsa_exception_fp_denorm_src 0
		.amdhsa_exception_fp_ieee_div_zero 0
		.amdhsa_exception_fp_ieee_overflow 0
		.amdhsa_exception_fp_ieee_underflow 0
		.amdhsa_exception_fp_ieee_inexact 0
		.amdhsa_exception_int_div_zero 0
	.end_amdhsa_kernel
	.section	.text._ZN5aiter35fused_qk_rmsnorm_group_quant_kernelIDF16_DB8_Li256ELi8ELi16ELb0ELb1ELb0ELb0ELb0ELb0EEEvPT0_PvPT_S6_S6_PKS5_S8_S8_S8_S8_ffiiiiiiiiiiiii,"axG",@progbits,_ZN5aiter35fused_qk_rmsnorm_group_quant_kernelIDF16_DB8_Li256ELi8ELi16ELb0ELb1ELb0ELb0ELb0ELb0EEEvPT0_PvPT_S6_S6_PKS5_S8_S8_S8_S8_ffiiiiiiiiiiiii,comdat
.Lfunc_end493:
	.size	_ZN5aiter35fused_qk_rmsnorm_group_quant_kernelIDF16_DB8_Li256ELi8ELi16ELb0ELb1ELb0ELb0ELb0ELb0EEEvPT0_PvPT_S6_S6_PKS5_S8_S8_S8_S8_ffiiiiiiiiiiiii, .Lfunc_end493-_ZN5aiter35fused_qk_rmsnorm_group_quant_kernelIDF16_DB8_Li256ELi8ELi16ELb0ELb1ELb0ELb0ELb0ELb0EEEvPT0_PvPT_S6_S6_PKS5_S8_S8_S8_S8_ffiiiiiiiiiiiii
                                        ; -- End function
	.section	.AMDGPU.csdata,"",@progbits
; Kernel info:
; codeLenInByte = 2636
; NumSgprs: 40
; NumVgprs: 23
; NumAgprs: 0
; TotalNumVgprs: 23
; ScratchSize: 0
; MemoryBound: 0
; FloatMode: 240
; IeeeMode: 1
; LDSByteSize: 32 bytes/workgroup (compile time only)
; SGPRBlocks: 4
; VGPRBlocks: 2
; NumSGPRsForWavesPerEU: 40
; NumVGPRsForWavesPerEU: 23
; AccumOffset: 24
; Occupancy: 8
; WaveLimiterHint : 0
; COMPUTE_PGM_RSRC2:SCRATCH_EN: 0
; COMPUTE_PGM_RSRC2:USER_SGPR: 6
; COMPUTE_PGM_RSRC2:TRAP_HANDLER: 0
; COMPUTE_PGM_RSRC2:TGID_X_EN: 1
; COMPUTE_PGM_RSRC2:TGID_Y_EN: 1
; COMPUTE_PGM_RSRC2:TGID_Z_EN: 0
; COMPUTE_PGM_RSRC2:TIDIG_COMP_CNT: 0
; COMPUTE_PGM_RSRC3_GFX90A:ACCUM_OFFSET: 5
; COMPUTE_PGM_RSRC3_GFX90A:TG_SPLIT: 0
	.section	.text._ZN5aiter35fused_qk_rmsnorm_group_quant_kernelItDB8_Li256ELi8ELi16ELb0ELb1ELb0ELb0ELb0ELb0EEEvPT0_PvPT_S6_S6_PKS5_S8_S8_S8_S8_ffiiiiiiiiiiiii,"axG",@progbits,_ZN5aiter35fused_qk_rmsnorm_group_quant_kernelItDB8_Li256ELi8ELi16ELb0ELb1ELb0ELb0ELb0ELb0EEEvPT0_PvPT_S6_S6_PKS5_S8_S8_S8_S8_ffiiiiiiiiiiiii,comdat
	.protected	_ZN5aiter35fused_qk_rmsnorm_group_quant_kernelItDB8_Li256ELi8ELi16ELb0ELb1ELb0ELb0ELb0ELb0EEEvPT0_PvPT_S6_S6_PKS5_S8_S8_S8_S8_ffiiiiiiiiiiiii ; -- Begin function _ZN5aiter35fused_qk_rmsnorm_group_quant_kernelItDB8_Li256ELi8ELi16ELb0ELb1ELb0ELb0ELb0ELb0EEEvPT0_PvPT_S6_S6_PKS5_S8_S8_S8_S8_ffiiiiiiiiiiiii
	.globl	_ZN5aiter35fused_qk_rmsnorm_group_quant_kernelItDB8_Li256ELi8ELi16ELb0ELb1ELb0ELb0ELb0ELb0EEEvPT0_PvPT_S6_S6_PKS5_S8_S8_S8_S8_ffiiiiiiiiiiiii
	.p2align	8
	.type	_ZN5aiter35fused_qk_rmsnorm_group_quant_kernelItDB8_Li256ELi8ELi16ELb0ELb1ELb0ELb0ELb0ELb0EEEvPT0_PvPT_S6_S6_PKS5_S8_S8_S8_S8_ffiiiiiiiiiiiii,@function
_ZN5aiter35fused_qk_rmsnorm_group_quant_kernelItDB8_Li256ELi8ELi16ELb0ELb1ELb0ELb0ELb0ELb0EEEvPT0_PvPT_S6_S6_PKS5_S8_S8_S8_S8_ffiiiiiiiiiiiii: ; @_ZN5aiter35fused_qk_rmsnorm_group_quant_kernelItDB8_Li256ELi8ELi16ELb0ELb1ELb0ELb0ELb0ELb0EEEvPT0_PvPT_S6_S6_PKS5_S8_S8_S8_S8_ffiiiiiiiiiiiii
; %bb.0:
	s_load_dwordx4 s[16:19], s[4:5], 0x50
	s_waitcnt lgkmcnt(0)
	s_cmp_ge_i32 s6, s18
	s_cbranch_scc1 .LBB494_10
; %bb.1:
	s_load_dwordx2 s[12:13], s[4:5], 0x48
	s_load_dwordx2 s[30:31], s[4:5], 0x30
	s_load_dwordx4 s[20:23], s[4:5], 0x60
	s_cmp_lg_u32 s7, 0
	s_cselect_b64 s[14:15], -1, 0
	s_cmp_eq_u32 s7, 0
	s_cselect_b64 vcc, -1, 0
	s_and_b64 s[0:1], vcc, exec
	s_waitcnt lgkmcnt(0)
	s_cselect_b32 s7, s19, s20
	s_add_i32 s0, s7, 1
	s_lshr_b32 s1, s0, 31
	s_add_i32 s0, s0, s1
	s_lshl_b32 s0, s0, 1
	v_lshlrev_b32_e32 v1, 3, v0
	s_and_b32 s10, s0, -4
	v_cmp_gt_i32_e64 s[2:3], s7, v1
	v_mov_b32_e32 v2, 0
	v_mov_b32_e32 v3, 0
	;; [unrolled: 1-line block ×8, first 2 shown]
	s_and_saveexec_b64 s[0:1], s[2:3]
	s_cbranch_execz .LBB494_3
; %bb.2:
	s_load_dwordx2 s[8:9], s[4:5], 0x28
	s_load_dwordx2 s[26:27], s[4:5], 0x40
	s_and_b64 s[24:25], vcc, exec
	s_cselect_b32 s11, s21, s22
	v_lshlrev_b32_e32 v10, 4, v0
	s_waitcnt lgkmcnt(0)
	s_cselect_b32 s18, s9, s31
	s_cselect_b32 s21, s8, s30
	s_mul_hi_i32 s9, s11, s6
	s_mul_i32 s8, s11, s6
	s_lshl_b64 s[8:9], s[8:9], 1
	s_add_u32 s24, s21, s8
	s_addc_u32 s18, s18, s9
	s_and_b64 s[8:9], vcc, exec
	s_mov_b32 s11, 0x20000
	s_cselect_b32 s8, s26, s12
	s_cselect_b32 s9, s27, s13
	s_and_b32 s25, s18, 0xffff
	s_mov_b32 s26, s10
	s_mov_b32 s27, s11
	s_and_b32 s9, s9, 0xffff
	buffer_load_dwordx4 v[6:9], v10, s[24:27], 0 offen glc slc
	buffer_load_dwordx4 v[2:5], v10, s[8:11], 0 offen
.LBB494_3:
	s_or_b64 exec, exec, s[0:1]
	s_waitcnt vmcnt(1)
	v_cvt_f32_u32_sdwa v13, v6 dst_sel:DWORD dst_unused:UNUSED_PAD src0_sel:WORD_1
	v_cvt_f32_u32_sdwa v12, v6 dst_sel:DWORD dst_unused:UNUSED_PAD src0_sel:WORD_0
	v_cvt_f32_u32_sdwa v6, v9 dst_sel:DWORD dst_unused:UNUSED_PAD src0_sel:WORD_1
	v_cvt_f32_u32_sdwa v9, v9 dst_sel:DWORD dst_unused:UNUSED_PAD src0_sel:WORD_0
	;; [unrolled: 2-line block ×4, first 2 shown]
	v_cndmask_b32_e64 v13, 0, v13, s[2:3]
	v_cndmask_b32_e64 v7, 0, v6, s[2:3]
	;; [unrolled: 1-line block ×5, first 2 shown]
	v_mul_f32_e32 v14, v13, v13
	v_cndmask_b32_e64 v10, 0, v10, s[2:3]
	v_fmac_f32_e32 v14, v12, v12
	v_cndmask_b32_e64 v11, 0, v11, s[2:3]
	v_fmac_f32_e32 v14, v10, v10
	;; [unrolled: 2-line block ×3, first 2 shown]
	v_fmac_f32_e32 v14, v8, v8
	v_fmac_f32_e32 v14, v9, v9
	;; [unrolled: 1-line block ×4, first 2 shown]
	v_and_b32_e32 v16, 63, v0
	v_cmp_eq_u32_e64 s[0:1], 63, v16
	v_mov_b32_dpp v15, v14 quad_perm:[1,0,3,2] row_mask:0xf bank_mask:0xf
	v_add_f32_e32 v14, v14, v15
	s_nop 1
	v_mov_b32_dpp v15, v14 quad_perm:[2,3,0,1] row_mask:0xf bank_mask:0xf
	v_add_f32_e32 v14, v14, v15
	s_nop 1
	v_mov_b32_dpp v15, v14 row_half_mirror row_mask:0xf bank_mask:0xf
	v_add_f32_e32 v14, v14, v15
	s_nop 1
	v_mov_b32_dpp v15, v14 row_mirror row_mask:0xf bank_mask:0xf
	v_add_f32_e32 v14, v14, v15
	s_nop 1
	v_mov_b32_dpp v15, v14 row_bcast:15 row_mask:0xf bank_mask:0xf
	v_add_f32_e32 v14, v14, v15
	s_nop 1
	v_mov_b32_dpp v15, v14 row_bcast:31 row_mask:0xf bank_mask:0xf
	s_and_saveexec_b64 s[8:9], s[0:1]
	s_cbranch_execz .LBB494_5
; %bb.4:
	v_add_f32_e32 v14, v14, v15
	v_lshrrev_b32_e32 v15, 4, v0
	v_and_b32_e32 v15, 60, v15
	ds_write_b32 v15, v14 offset:16
.LBB494_5:
	s_or_b64 exec, exec, s[8:9]
	v_and_b32_e32 v14, 3, v0
	v_lshlrev_b32_e32 v14, 2, v14
	s_waitcnt lgkmcnt(0)
	s_barrier
	ds_read_b32 v15, v14 offset:16
	s_load_dwordx2 s[28:29], s[4:5], 0x18
	s_waitcnt lgkmcnt(0)
	v_mov_b32_dpp v16, v15 quad_perm:[1,0,3,2] row_mask:0xf bank_mask:0xf
	v_add_f32_e32 v15, v15, v16
	s_nop 1
	v_mov_b32_dpp v16, v15 quad_perm:[2,3,0,1] row_mask:0xf bank_mask:0xf
	s_and_saveexec_b64 s[8:9], s[2:3]
	s_cbranch_execz .LBB494_7
; %bb.6:
	v_cvt_f32_u32_e32 v17, s7
	v_add_f32_e32 v15, v15, v16
	v_mov_b32_e32 v19, s17
	v_mov_b32_e32 v20, s16
	v_div_scale_f32 v16, s[24:25], v17, v17, v15
	v_rcp_f32_e32 v18, v16
	v_cndmask_b32_e32 v19, v19, v20, vcc
	s_mov_b32 s7, 0x800000
	v_fma_f32 v20, -v16, v18, 1.0
	v_fmac_f32_e32 v18, v20, v18
	v_div_scale_f32 v20, vcc, v15, v17, v15
	v_mul_f32_e32 v21, v20, v18
	v_fma_f32 v22, -v16, v21, v20
	v_fmac_f32_e32 v21, v22, v18
	v_fma_f32 v16, -v16, v21, v20
	v_div_fmas_f32 v16, v16, v18, v21
	v_div_fixup_f32 v15, v16, v17, v15
	v_add_f32_e32 v15, v19, v15
	v_mul_f32_e32 v16, 0x4b800000, v15
	v_cmp_gt_f32_e32 vcc, s7, v15
	v_cndmask_b32_e32 v15, v15, v16, vcc
	v_rsq_f32_e32 v15, v15
	s_waitcnt vmcnt(0)
	v_cvt_f32_u32_sdwa v19, v3 dst_sel:DWORD dst_unused:UNUSED_PAD src0_sel:WORD_1
	v_cvt_f32_u32_sdwa v18, v3 dst_sel:DWORD dst_unused:UNUSED_PAD src0_sel:WORD_0
	v_cvt_f32_u32_sdwa v3, v4 dst_sel:DWORD dst_unused:UNUSED_PAD src0_sel:WORD_1
	v_mul_f32_e32 v16, 0x45800000, v15
	v_cndmask_b32_e32 v16, v15, v16, vcc
	v_mov_b32_e32 v17, v16
	;;#ASMSTART
	v_pk_mul_f32 v[12:13], v[12:13], v[16:17]
	;;#ASMEND
	;;#ASMSTART
	v_pk_mul_f32 v[10:11], v[10:11], v[16:17]
	;;#ASMEND
	;; [unrolled: 3-line block ×4, first 2 shown]
	v_cvt_f32_u32_sdwa v17, v2 dst_sel:DWORD dst_unused:UNUSED_PAD src0_sel:WORD_1
	v_cvt_f32_u32_sdwa v16, v2 dst_sel:DWORD dst_unused:UNUSED_PAD src0_sel:WORD_0
	v_cvt_f32_u32_sdwa v2, v4 dst_sel:DWORD dst_unused:UNUSED_PAD src0_sel:WORD_0
	v_cvt_f32_u32_sdwa v21, v5 dst_sel:DWORD dst_unused:UNUSED_PAD src0_sel:WORD_1
	v_cvt_f32_u32_sdwa v20, v5 dst_sel:DWORD dst_unused:UNUSED_PAD src0_sel:WORD_0
	;;#ASMSTART
	v_pk_mul_f32 v[12:13], v[12:13], v[16:17]
	;;#ASMEND
	;;#ASMSTART
	v_pk_mul_f32 v[10:11], v[10:11], v[18:19]
	;;#ASMEND
	;; [unrolled: 3-line block ×4, first 2 shown]
.LBB494_7:
	s_or_b64 exec, exec, s[8:9]
	s_load_dword s7, s[4:5], 0x80
	s_mov_b64 s[8:9], -1
	s_and_b64 vcc, exec, s[14:15]
	s_cbranch_vccnz .LBB494_11
; %bb.8:
	s_andn2_b64 vcc, exec, s[8:9]
	s_cbranch_vccz .LBB494_14
.LBB494_9:
	s_cmp_lt_i32 s20, 1
	s_cbranch_scc0 .LBB494_23
.LBB494_10:
	s_endpgm
.LBB494_11:
	s_and_saveexec_b64 s[14:15], s[2:3]
	s_cbranch_execz .LBB494_13
; %bb.12:
	s_waitcnt lgkmcnt(0)
	s_mul_hi_i32 s9, s7, s6
	s_mul_i32 s8, s7, s6
	s_lshl_b64 s[8:9], s[8:9], 1
	s_add_u32 s8, s28, s8
	s_addc_u32 s9, s29, s9
	s_mov_b32 s16, 0x7060302
	s_and_b32 s9, s9, 0xffff
	s_mov_b32 s11, 0x20000
	s_waitcnt vmcnt(0)
	v_perm_b32 v2, v13, v12, s16
	v_perm_b32 v3, v11, v10, s16
	;; [unrolled: 1-line block ×4, first 2 shown]
	v_lshlrev_b32_e32 v15, 4, v0
	buffer_store_dwordx4 v[2:5], v15, s[8:11], 0 offen
	;;#ASMSTART
	s_nop 0
	;;#ASMEND
.LBB494_13:
	s_or_b64 exec, exec, s[14:15]
	s_cbranch_execnz .LBB494_9
.LBB494_14:
	s_load_dwordx4 s[24:27], s[4:5], 0x70
	s_waitcnt vmcnt(0)
	v_mov_b32_e32 v2, 0
	s_and_saveexec_b64 s[14:15], s[2:3]
	s_cbranch_execz .LBB494_16
; %bb.15:
	s_load_dwordx2 s[8:9], s[4:5], 0x10
	s_waitcnt lgkmcnt(0)
	s_mul_hi_i32 s35, s27, s6
	s_mul_i32 s34, s27, s6
	s_lshl_b64 s[34:35], s[34:35], 1
	s_mov_b32 s16, 0x7060302
	s_add_u32 s8, s8, s34
	s_addc_u32 s9, s9, s35
	s_mov_b32 s11, 0x20000
	s_and_b32 s9, s9, 0xffff
	v_perm_b32 v2, v13, v12, s16
	v_perm_b32 v3, v11, v10, s16
	;; [unrolled: 1-line block ×4, first 2 shown]
	v_lshlrev_b32_e32 v15, 4, v0
	buffer_store_dwordx4 v[2:5], v15, s[8:11], 0 offen
	;;#ASMSTART
	s_nop 0
	;;#ASMEND
	s_nop 0
	v_mov_b32_e32 v2, 0x2edbe6ff
.LBB494_16:
	s_or_b64 exec, exec, s[14:15]
	s_and_saveexec_b64 s[8:9], s[2:3]
	s_cbranch_execz .LBB494_18
; %bb.17:
	v_and_b32_e32 v3, 0x7fffffff, v12
	v_and_b32_e32 v4, 0x7fffffff, v13
	;;#ASMSTART
	v_max3_f32 v2, v2, v3, v4

	;;#ASMEND
	v_and_b32_e32 v3, 0x7fffffff, v10
	v_and_b32_e32 v4, 0x7fffffff, v11
	;;#ASMSTART
	v_max3_f32 v2, v2, v3, v4

	;;#ASMEND
	;; [unrolled: 6-line block ×4, first 2 shown]
.LBB494_18:
	s_or_b64 exec, exec, s[8:9]
	;;#ASMSTART
	v_max_f32 v3, v2, v2 quad_perm:[1,0,3,2] row_mask:0xf bank_mask:0xf bound_ctrl:1
	;;#ASMEND
	;;#ASMSTART
	v_max_f32 v2, v3, v3 quad_perm:[2,3,0,1] row_mask:0xf bank_mask:0xf bound_ctrl:1
	;;#ASMEND
	;;#ASMSTART
	v_max_f32 v3, v2, v2 row_half_mirror row_mask:0xf bank_mask:0xf bound_ctrl:1
	;;#ASMEND
	;;#ASMSTART
	v_max_f32 v2, v3, v3 row_mirror row_mask:0xf bank_mask:0xf bound_ctrl:1
	;;#ASMEND
	v_and_b32_e32 v3, 15, v0
	v_cmp_eq_u32_e32 vcc, 0, v3
	v_cmp_gt_i32_e64 s[8:9], s19, v1
	v_mul_f32_e32 v2, 0x3b124925, v2
	s_and_b64 s[10:11], vcc, s[8:9]
	s_and_saveexec_b64 s[8:9], s[10:11]
	s_cbranch_execz .LBB494_20
; %bb.19:
	s_load_dwordx2 s[10:11], s[4:5], 0x8
	s_waitcnt lgkmcnt(0)
	s_mul_hi_i32 s15, s25, s6
	s_mul_i32 s14, s25, s6
	v_lshrrev_b32_e32 v3, 4, v0
	s_lshl_b64 s[14:15], s[14:15], 2
	v_mad_i64_i32 v[4:5], s[26:27], s26, v3, 0
	s_add_u32 s10, s10, s14
	s_addc_u32 s11, s11, s15
	v_lshlrev_b64 v[4:5], 2, v[4:5]
	v_mov_b32_e32 v3, s11
	v_add_co_u32_e32 v4, vcc, s10, v4
	v_addc_co_u32_e32 v5, vcc, v3, v5, vcc
	global_store_dword v[4:5], v2, off
.LBB494_20:
	s_or_b64 exec, exec, s[8:9]
	;;#ASMSTART
	v_rcp_f32 v2, v2
	;;#ASMEND
	s_and_saveexec_b64 s[14:15], s[2:3]
	s_cbranch_execz .LBB494_22
; %bb.21:
	s_load_dwordx2 s[2:3], s[4:5], 0x0
	s_waitcnt lgkmcnt(0)
	s_mul_i32 s8, s24, s6
	s_mul_hi_i32 s9, s24, s6
	v_mov_b32_e32 v3, v2
	;;#ASMSTART
	v_pk_mul_f32 v[4:5], v[12:13], v[2:3]
	;;#ASMEND
	s_add_u32 s8, s2, s8
	s_addc_u32 s2, s3, s9
	s_add_i32 s3, s19, 3
	s_ashr_i32 s9, s3, 31
	v_mov_b32_e32 v12, 0xc3e00000
	v_mov_b32_e32 v13, 0x43e00000
	;;#ASMSTART
	v_med3_f32 v4, v4, v12, v13
v_med3_f32 v5, v5, v12, v13
v_cvt_pk_fp8_f32 v15, v4, v5
	;;#ASMEND
	s_lshr_b32 s9, s9, 30
	;;#ASMSTART
	v_pk_mul_f32 v[4:5], v[10:11], v[2:3]
	;;#ASMEND
	s_add_i32 s3, s3, s9
	s_and_b32 s9, s2, 0xffff
	;;#ASMSTART
	v_med3_f32 v4, v4, v12, v13
v_med3_f32 v5, v5, v12, v13
v_cvt_pk_fp8_f32 v10, v4, v5
	;;#ASMEND
	s_mov_b32 s2, 0x5040100
	v_perm_b32 v5, v10, v15, s2
	s_movk_i32 s2, 0xff
	v_and_b32_e32 v4, 0xffffff00, v10
	v_and_b32_sdwa v10, v5, s2 dst_sel:DWORD dst_unused:UNUSED_PAD src0_sel:WORD_1 src1_sel:DWORD
	s_mov_b32 s16, 0xffff
	v_or_b32_sdwa v4, v10, v4 dst_sel:WORD_1 dst_unused:UNUSED_PAD src0_sel:DWORD src1_sel:DWORD
	v_and_or_b32 v4, v5, s16, v4
	;;#ASMSTART
	v_pk_mul_f32 v[8:9], v[8:9], v[2:3]
	;;#ASMEND
	v_mov_b32_e32 v5, v9
	;;#ASMSTART
	v_med3_f32 v8, v8, v12, v13
v_med3_f32 v5, v5, v12, v13
v_cvt_pk_fp8_f32 v9, v8, v5
	;;#ASMEND
	;;#ASMSTART
	v_pk_mul_f32 v[2:3], v[6:7], v[2:3]
	;;#ASMEND
	;;#ASMSTART
	v_med3_f32 v2, v2, v12, v13
v_med3_f32 v3, v3, v12, v13
v_cvt_pk_fp8_f32 v5, v2, v3
	;;#ASMEND
	v_lshlrev_b32_e32 v2, 16, v5
	s_and_b32 s10, s3, -4
	s_mov_b32 s11, 0x20000
	v_and_or_b32 v5, v9, s16, v2
	buffer_store_dwordx2 v[4:5], v1, s[8:11], 0 offen
	;;#ASMSTART
	s_nop 0
	;;#ASMEND
.LBB494_22:
	s_or_b64 exec, exec, s[14:15]
	s_cmp_lt_i32 s20, 1
	s_cbranch_scc1 .LBB494_10
.LBB494_23:
	s_load_dword s2, s[4:5], 0x94
	s_waitcnt lgkmcnt(0)
	s_cmp_lg_u32 s2, 1
	s_cbranch_scc1 .LBB494_10
; %bb.24:
	s_lshl_b32 s2, s20, 1
	s_add_i32 s2, s2, 2
	v_cmp_gt_u32_e32 vcc, s20, v1
	s_and_b32 s14, s2, -4
	v_mov_b32_e32 v6, 0
	v_lshlrev_b32_e32 v1, 4, v0
	v_mov_b32_e32 v7, 0
	v_mov_b32_e32 v8, 0
	;; [unrolled: 1-line block ×3, first 2 shown]
	s_waitcnt vmcnt(0)
	v_mov_b32_e32 v2, 0
	v_mov_b32_e32 v3, 0
	;; [unrolled: 1-line block ×4, first 2 shown]
	s_barrier
	s_and_saveexec_b64 s[2:3], vcc
	s_cbranch_execz .LBB494_26
; %bb.25:
	s_mul_hi_i32 s5, s22, s6
	s_mul_i32 s4, s22, s6
	s_and_b32 s13, s13, 0xffff
	s_lshl_b64 s[4:5], s[4:5], 1
	s_add_u32 s8, s30, s4
	s_mov_b32 s15, 0x20000
	s_addc_u32 s4, s31, s5
	s_and_b32 s9, s4, 0xffff
	s_mov_b32 s10, s14
	s_mov_b32 s11, s15
	buffer_load_dwordx4 v[6:9], v1, s[8:11], 0 offen glc slc
	buffer_load_dwordx4 v[2:5], v1, s[12:15], 0 offen
.LBB494_26:
	s_or_b64 exec, exec, s[2:3]
	s_waitcnt vmcnt(1)
	v_cvt_f32_u32_sdwa v13, v6 dst_sel:DWORD dst_unused:UNUSED_PAD src0_sel:WORD_1
	v_cvt_f32_u32_sdwa v12, v6 dst_sel:DWORD dst_unused:UNUSED_PAD src0_sel:WORD_0
	v_cvt_f32_u32_sdwa v6, v9 dst_sel:DWORD dst_unused:UNUSED_PAD src0_sel:WORD_1
	v_cvt_f32_u32_sdwa v9, v9 dst_sel:DWORD dst_unused:UNUSED_PAD src0_sel:WORD_0
	;; [unrolled: 2-line block ×4, first 2 shown]
	v_cndmask_b32_e32 v13, 0, v13, vcc
	v_cndmask_b32_e32 v7, 0, v6, vcc
	;; [unrolled: 1-line block ×5, first 2 shown]
	v_mul_f32_e32 v15, v13, v13
	v_cndmask_b32_e32 v10, 0, v10, vcc
	v_fmac_f32_e32 v15, v12, v12
	v_cndmask_b32_e32 v11, 0, v11, vcc
	v_fmac_f32_e32 v15, v10, v10
	v_cndmask_b32_e32 v8, 0, v8, vcc
	v_fmac_f32_e32 v15, v11, v11
	v_fmac_f32_e32 v15, v8, v8
	v_fmac_f32_e32 v15, v9, v9
	;; [unrolled: 1-line block ×4, first 2 shown]
	s_nop 1
	v_mov_b32_dpp v16, v15 quad_perm:[1,0,3,2] row_mask:0xf bank_mask:0xf
	v_add_f32_e32 v15, v15, v16
	s_nop 1
	v_mov_b32_dpp v16, v15 quad_perm:[2,3,0,1] row_mask:0xf bank_mask:0xf
	v_add_f32_e32 v15, v15, v16
	s_nop 1
	v_mov_b32_dpp v16, v15 row_half_mirror row_mask:0xf bank_mask:0xf
	v_add_f32_e32 v15, v15, v16
	s_nop 1
	v_mov_b32_dpp v16, v15 row_mirror row_mask:0xf bank_mask:0xf
	v_add_f32_e32 v15, v15, v16
	s_nop 1
	v_mov_b32_dpp v16, v15 row_bcast:15 row_mask:0xf bank_mask:0xf
	v_add_f32_e32 v15, v15, v16
	s_nop 1
	v_mov_b32_dpp v16, v15 row_bcast:31 row_mask:0xf bank_mask:0xf
	s_and_saveexec_b64 s[2:3], s[0:1]
	s_cbranch_execz .LBB494_28
; %bb.27:
	v_lshrrev_b32_e32 v0, 4, v0
	v_add_f32_e32 v15, v15, v16
	v_and_b32_e32 v0, 60, v0
	ds_write_b32 v0, v15
.LBB494_28:
	s_or_b64 exec, exec, s[2:3]
	s_waitcnt lgkmcnt(0)
	s_barrier
	ds_read_b32 v0, v14
	s_waitcnt lgkmcnt(0)
	s_nop 0
	v_mov_b32_dpp v14, v0 quad_perm:[1,0,3,2] row_mask:0xf bank_mask:0xf
	v_add_f32_e32 v0, v0, v14
	s_nop 1
	v_mov_b32_dpp v14, v0 quad_perm:[2,3,0,1] row_mask:0xf bank_mask:0xf
	s_and_saveexec_b64 s[0:1], vcc
	s_cbranch_execz .LBB494_10
; %bb.29:
	v_cvt_f32_u32_e32 v15, s20
	v_add_f32_e32 v0, v0, v14
	s_mov_b32 s15, 0x20000
	v_div_scale_f32 v14, s[0:1], v15, v15, v0
	v_rcp_f32_e32 v16, v14
	v_div_scale_f32 v17, vcc, v0, v15, v0
	s_mov_b32 s0, 0x800000
	v_fma_f32 v18, -v14, v16, 1.0
	v_fmac_f32_e32 v16, v18, v16
	v_mul_f32_e32 v18, v17, v16
	v_fma_f32 v19, -v14, v18, v17
	v_fmac_f32_e32 v18, v19, v16
	v_fma_f32 v14, -v14, v18, v17
	v_div_fmas_f32 v14, v14, v16, v18
	v_div_fixup_f32 v0, v14, v15, v0
	v_add_f32_e32 v0, s17, v0
	v_mul_f32_e32 v14, 0x4b800000, v0
	v_cmp_gt_f32_e32 vcc, s0, v0
	v_cndmask_b32_e32 v0, v0, v14, vcc
	v_rsq_f32_e32 v0, v0
	s_mul_hi_i32 s1, s7, s6
	s_mul_i32 s0, s7, s6
	s_lshl_b64 s[0:1], s[0:1], 1
	v_mul_f32_e32 v14, 0x45800000, v0
	v_cndmask_b32_e32 v14, v0, v14, vcc
	s_add_u32 s12, s28, s0
	v_mov_b32_e32 v15, v14
	s_addc_u32 s0, s29, s1
	;;#ASMSTART
	v_pk_mul_f32 v[12:13], v[12:13], v[14:15]
	;;#ASMEND
	;;#ASMSTART
	v_pk_mul_f32 v[10:11], v[10:11], v[14:15]
	;;#ASMEND
	;; [unrolled: 3-line block ×4, first 2 shown]
	s_waitcnt vmcnt(0)
	v_cvt_f32_u32_sdwa v15, v2 dst_sel:DWORD dst_unused:UNUSED_PAD src0_sel:WORD_1
	v_cvt_f32_u32_sdwa v14, v2 dst_sel:DWORD dst_unused:UNUSED_PAD src0_sel:WORD_0
	v_cvt_f32_u32_sdwa v17, v3 dst_sel:DWORD dst_unused:UNUSED_PAD src0_sel:WORD_1
	v_cvt_f32_u32_sdwa v16, v3 dst_sel:DWORD dst_unused:UNUSED_PAD src0_sel:WORD_0
	;; [unrolled: 2-line block ×4, first 2 shown]
	;;#ASMSTART
	v_pk_mul_f32 v[4:5], v[12:13], v[14:15]
	;;#ASMEND
	s_and_b32 s13, s0, 0xffff
	s_mov_b32 s0, 0x7060302
	;;#ASMSTART
	v_pk_mul_f32 v[10:11], v[10:11], v[16:17]
	;;#ASMEND
	;;#ASMSTART
	v_pk_mul_f32 v[8:9], v[8:9], v[2:3]
	;;#ASMEND
	;; [unrolled: 3-line block ×3, first 2 shown]
	v_perm_b32 v2, v5, v4, s0
	v_perm_b32 v3, v11, v10, s0
	;; [unrolled: 1-line block ×4, first 2 shown]
	buffer_store_dwordx4 v[2:5], v1, s[12:15], 0 offen
	;;#ASMSTART
	s_nop 0
	;;#ASMEND
	s_endpgm
	.section	.rodata,"a",@progbits
	.p2align	6, 0x0
	.amdhsa_kernel _ZN5aiter35fused_qk_rmsnorm_group_quant_kernelItDB8_Li256ELi8ELi16ELb0ELb1ELb0ELb0ELb0ELb0EEEvPT0_PvPT_S6_S6_PKS5_S8_S8_S8_S8_ffiiiiiiiiiiiii
		.amdhsa_group_segment_fixed_size 32
		.amdhsa_private_segment_fixed_size 0
		.amdhsa_kernarg_size 400
		.amdhsa_user_sgpr_count 6
		.amdhsa_user_sgpr_private_segment_buffer 1
		.amdhsa_user_sgpr_dispatch_ptr 0
		.amdhsa_user_sgpr_queue_ptr 0
		.amdhsa_user_sgpr_kernarg_segment_ptr 1
		.amdhsa_user_sgpr_dispatch_id 0
		.amdhsa_user_sgpr_flat_scratch_init 0
		.amdhsa_user_sgpr_kernarg_preload_length 0
		.amdhsa_user_sgpr_kernarg_preload_offset 0
		.amdhsa_user_sgpr_private_segment_size 0
		.amdhsa_uses_dynamic_stack 0
		.amdhsa_system_sgpr_private_segment_wavefront_offset 0
		.amdhsa_system_sgpr_workgroup_id_x 1
		.amdhsa_system_sgpr_workgroup_id_y 1
		.amdhsa_system_sgpr_workgroup_id_z 0
		.amdhsa_system_sgpr_workgroup_info 0
		.amdhsa_system_vgpr_workitem_id 0
		.amdhsa_next_free_vgpr 23
		.amdhsa_next_free_sgpr 36
		.amdhsa_accum_offset 24
		.amdhsa_reserve_vcc 1
		.amdhsa_reserve_flat_scratch 0
		.amdhsa_float_round_mode_32 0
		.amdhsa_float_round_mode_16_64 0
		.amdhsa_float_denorm_mode_32 3
		.amdhsa_float_denorm_mode_16_64 3
		.amdhsa_dx10_clamp 1
		.amdhsa_ieee_mode 1
		.amdhsa_fp16_overflow 0
		.amdhsa_tg_split 0
		.amdhsa_exception_fp_ieee_invalid_op 0
		.amdhsa_exception_fp_denorm_src 0
		.amdhsa_exception_fp_ieee_div_zero 0
		.amdhsa_exception_fp_ieee_overflow 0
		.amdhsa_exception_fp_ieee_underflow 0
		.amdhsa_exception_fp_ieee_inexact 0
		.amdhsa_exception_int_div_zero 0
	.end_amdhsa_kernel
	.section	.text._ZN5aiter35fused_qk_rmsnorm_group_quant_kernelItDB8_Li256ELi8ELi16ELb0ELb1ELb0ELb0ELb0ELb0EEEvPT0_PvPT_S6_S6_PKS5_S8_S8_S8_S8_ffiiiiiiiiiiiii,"axG",@progbits,_ZN5aiter35fused_qk_rmsnorm_group_quant_kernelItDB8_Li256ELi8ELi16ELb0ELb1ELb0ELb0ELb0ELb0EEEvPT0_PvPT_S6_S6_PKS5_S8_S8_S8_S8_ffiiiiiiiiiiiii,comdat
.Lfunc_end494:
	.size	_ZN5aiter35fused_qk_rmsnorm_group_quant_kernelItDB8_Li256ELi8ELi16ELb0ELb1ELb0ELb0ELb0ELb0EEEvPT0_PvPT_S6_S6_PKS5_S8_S8_S8_S8_ffiiiiiiiiiiiii, .Lfunc_end494-_ZN5aiter35fused_qk_rmsnorm_group_quant_kernelItDB8_Li256ELi8ELi16ELb0ELb1ELb0ELb0ELb0ELb0EEEvPT0_PvPT_S6_S6_PKS5_S8_S8_S8_S8_ffiiiiiiiiiiiii
                                        ; -- End function
	.section	.AMDGPU.csdata,"",@progbits
; Kernel info:
; codeLenInByte = 2628
; NumSgprs: 40
; NumVgprs: 23
; NumAgprs: 0
; TotalNumVgprs: 23
; ScratchSize: 0
; MemoryBound: 0
; FloatMode: 240
; IeeeMode: 1
; LDSByteSize: 32 bytes/workgroup (compile time only)
; SGPRBlocks: 4
; VGPRBlocks: 2
; NumSGPRsForWavesPerEU: 40
; NumVGPRsForWavesPerEU: 23
; AccumOffset: 24
; Occupancy: 8
; WaveLimiterHint : 0
; COMPUTE_PGM_RSRC2:SCRATCH_EN: 0
; COMPUTE_PGM_RSRC2:USER_SGPR: 6
; COMPUTE_PGM_RSRC2:TRAP_HANDLER: 0
; COMPUTE_PGM_RSRC2:TGID_X_EN: 1
; COMPUTE_PGM_RSRC2:TGID_Y_EN: 1
; COMPUTE_PGM_RSRC2:TGID_Z_EN: 0
; COMPUTE_PGM_RSRC2:TIDIG_COMP_CNT: 0
; COMPUTE_PGM_RSRC3_GFX90A:ACCUM_OFFSET: 5
; COMPUTE_PGM_RSRC3_GFX90A:TG_SPLIT: 0
	.section	.text._ZN5aiter35fused_qk_rmsnorm_group_quant_kernelIDF16_N4opus5fp4_tELi256ELi8ELi16ELb0ELb1ELb0ELb0ELb0ELb0EEEvPT0_PvPT_S7_S7_PKS6_S9_S9_S9_S9_ffiiiiiiiiiiiii,"axG",@progbits,_ZN5aiter35fused_qk_rmsnorm_group_quant_kernelIDF16_N4opus5fp4_tELi256ELi8ELi16ELb0ELb1ELb0ELb0ELb0ELb0EEEvPT0_PvPT_S7_S7_PKS6_S9_S9_S9_S9_ffiiiiiiiiiiiii,comdat
	.protected	_ZN5aiter35fused_qk_rmsnorm_group_quant_kernelIDF16_N4opus5fp4_tELi256ELi8ELi16ELb0ELb1ELb0ELb0ELb0ELb0EEEvPT0_PvPT_S7_S7_PKS6_S9_S9_S9_S9_ffiiiiiiiiiiiii ; -- Begin function _ZN5aiter35fused_qk_rmsnorm_group_quant_kernelIDF16_N4opus5fp4_tELi256ELi8ELi16ELb0ELb1ELb0ELb0ELb0ELb0EEEvPT0_PvPT_S7_S7_PKS6_S9_S9_S9_S9_ffiiiiiiiiiiiii
	.globl	_ZN5aiter35fused_qk_rmsnorm_group_quant_kernelIDF16_N4opus5fp4_tELi256ELi8ELi16ELb0ELb1ELb0ELb0ELb0ELb0EEEvPT0_PvPT_S7_S7_PKS6_S9_S9_S9_S9_ffiiiiiiiiiiiii
	.p2align	8
	.type	_ZN5aiter35fused_qk_rmsnorm_group_quant_kernelIDF16_N4opus5fp4_tELi256ELi8ELi16ELb0ELb1ELb0ELb0ELb0ELb0EEEvPT0_PvPT_S7_S7_PKS6_S9_S9_S9_S9_ffiiiiiiiiiiiii,@function
_ZN5aiter35fused_qk_rmsnorm_group_quant_kernelIDF16_N4opus5fp4_tELi256ELi8ELi16ELb0ELb1ELb0ELb0ELb0ELb0EEEvPT0_PvPT_S7_S7_PKS6_S9_S9_S9_S9_ffiiiiiiiiiiiii: ; @_ZN5aiter35fused_qk_rmsnorm_group_quant_kernelIDF16_N4opus5fp4_tELi256ELi8ELi16ELb0ELb1ELb0ELb0ELb0ELb0EEEvPT0_PvPT_S7_S7_PKS6_S9_S9_S9_S9_ffiiiiiiiiiiiii
; %bb.0:
	s_load_dwordx4 s[16:19], s[4:5], 0x50
	s_waitcnt lgkmcnt(0)
	s_cmp_ge_i32 s6, s18
	s_cbranch_scc1 .LBB495_12
; %bb.1:
	s_load_dwordx2 s[12:13], s[4:5], 0x48
	s_load_dwordx2 s[30:31], s[4:5], 0x30
	s_load_dwordx4 s[20:23], s[4:5], 0x60
	s_cmp_lg_u32 s7, 0
	s_cselect_b64 s[14:15], -1, 0
	s_cmp_eq_u32 s7, 0
	s_cselect_b64 vcc, -1, 0
	s_and_b64 s[0:1], vcc, exec
	s_waitcnt lgkmcnt(0)
	s_cselect_b32 s7, s19, s20
	s_add_i32 s0, s7, 1
	s_lshr_b32 s1, s0, 31
	s_add_i32 s0, s0, s1
	s_lshl_b32 s0, s0, 1
	v_lshlrev_b32_e32 v1, 3, v0
	s_and_b32 s10, s0, -4
	v_cmp_gt_i32_e64 s[2:3], s7, v1
	v_mov_b32_e32 v10, 0
	v_mov_b32_e32 v2, 0
	;; [unrolled: 1-line block ×9, first 2 shown]
	s_and_saveexec_b64 s[0:1], s[2:3]
	s_cbranch_execz .LBB495_3
; %bb.2:
	s_load_dwordx2 s[8:9], s[4:5], 0x28
	s_load_dwordx2 s[26:27], s[4:5], 0x40
	s_and_b64 s[24:25], vcc, exec
	s_cselect_b32 s11, s21, s22
	v_lshlrev_b32_e32 v11, 4, v0
	s_waitcnt lgkmcnt(0)
	s_cselect_b32 s18, s9, s31
	s_cselect_b32 s21, s8, s30
	s_mul_hi_i32 s9, s11, s6
	s_mul_i32 s8, s11, s6
	s_lshl_b64 s[8:9], s[8:9], 1
	s_add_u32 s24, s21, s8
	s_addc_u32 s18, s18, s9
	s_and_b64 s[8:9], vcc, exec
	s_mov_b32 s11, 0x20000
	s_cselect_b32 s8, s26, s12
	s_cselect_b32 s9, s27, s13
	s_and_b32 s25, s18, 0xffff
	s_mov_b32 s26, s10
	s_mov_b32 s27, s11
	s_and_b32 s9, s9, 0xffff
	buffer_load_dwordx4 v[6:9], v11, s[24:27], 0 offen glc slc
	buffer_load_dwordx4 v[2:5], v11, s[8:11], 0 offen
.LBB495_3:
	s_or_b64 exec, exec, s[0:1]
	v_mov_b32_e32 v11, 0
	v_mov_b32_e32 v16, 0
	;; [unrolled: 1-line block ×7, first 2 shown]
	s_and_saveexec_b64 s[0:1], s[2:3]
	s_cbranch_execz .LBB495_5
; %bb.4:
	s_waitcnt vmcnt(1)
	v_cvt_f32_f16_sdwa v11, v6 dst_sel:DWORD dst_unused:UNUSED_PAD src0_sel:WORD_1
	v_cvt_f32_f16_e32 v10, v6
	v_cvt_f32_f16_sdwa v17, v7 dst_sel:DWORD dst_unused:UNUSED_PAD src0_sel:WORD_1
	v_cvt_f32_f16_e32 v16, v7
	v_cvt_f32_f16_sdwa v13, v8 dst_sel:DWORD dst_unused:UNUSED_PAD src0_sel:WORD_1
	v_cvt_f32_f16_e32 v12, v8
	v_cvt_f32_f16_sdwa v15, v9 dst_sel:DWORD dst_unused:UNUSED_PAD src0_sel:WORD_1
	v_cvt_f32_f16_e32 v14, v9
.LBB495_5:
	s_or_b64 exec, exec, s[0:1]
	s_waitcnt vmcnt(1)
	v_mul_f32_e32 v6, v11, v11
	v_fmac_f32_e32 v6, v10, v10
	v_fmac_f32_e32 v6, v16, v16
	v_fmac_f32_e32 v6, v17, v17
	v_fmac_f32_e32 v6, v12, v12
	v_fmac_f32_e32 v6, v13, v13
	v_fmac_f32_e32 v6, v14, v14
	v_fmac_f32_e32 v6, v15, v15
	v_and_b32_e32 v8, 63, v0
	v_cmp_eq_u32_e64 s[0:1], 63, v8
	v_mov_b32_dpp v7, v6 quad_perm:[1,0,3,2] row_mask:0xf bank_mask:0xf
	v_add_f32_e32 v6, v6, v7
	s_nop 1
	v_mov_b32_dpp v7, v6 quad_perm:[2,3,0,1] row_mask:0xf bank_mask:0xf
	v_add_f32_e32 v6, v6, v7
	s_nop 1
	v_mov_b32_dpp v7, v6 row_half_mirror row_mask:0xf bank_mask:0xf
	v_add_f32_e32 v6, v6, v7
	s_nop 1
	v_mov_b32_dpp v7, v6 row_mirror row_mask:0xf bank_mask:0xf
	v_add_f32_e32 v6, v6, v7
	s_nop 1
	v_mov_b32_dpp v7, v6 row_bcast:15 row_mask:0xf bank_mask:0xf
	v_add_f32_e32 v6, v6, v7
	s_nop 1
	v_mov_b32_dpp v7, v6 row_bcast:31 row_mask:0xf bank_mask:0xf
	s_and_saveexec_b64 s[8:9], s[0:1]
	s_cbranch_execz .LBB495_7
; %bb.6:
	v_add_f32_e32 v6, v6, v7
	v_lshrrev_b32_e32 v7, 4, v0
	v_and_b32_e32 v7, 60, v7
	ds_write_b32 v7, v6 offset:16
.LBB495_7:
	s_or_b64 exec, exec, s[8:9]
	v_and_b32_e32 v6, 3, v0
	v_lshlrev_b32_e32 v18, 2, v6
	s_waitcnt lgkmcnt(0)
	s_barrier
	ds_read_b32 v6, v18 offset:16
	s_load_dwordx2 s[28:29], s[4:5], 0x18
	s_waitcnt lgkmcnt(0)
	v_mov_b32_dpp v7, v6 quad_perm:[1,0,3,2] row_mask:0xf bank_mask:0xf
	v_add_f32_e32 v6, v6, v7
	s_nop 1
	v_mov_b32_dpp v7, v6 quad_perm:[2,3,0,1] row_mask:0xf bank_mask:0xf
	s_and_saveexec_b64 s[8:9], s[2:3]
	s_cbranch_execz .LBB495_9
; %bb.8:
	v_cvt_f32_u32_e32 v8, s7
	v_add_f32_e32 v6, v6, v7
	v_mov_b32_e32 v19, s17
	v_mov_b32_e32 v20, s16
	v_div_scale_f32 v7, s[24:25], v8, v8, v6
	v_rcp_f32_e32 v9, v7
	v_cndmask_b32_e32 v19, v19, v20, vcc
	s_mov_b32 s7, 0x800000
	v_fma_f32 v20, -v7, v9, 1.0
	v_fmac_f32_e32 v9, v20, v9
	v_div_scale_f32 v20, vcc, v6, v8, v6
	v_mul_f32_e32 v21, v20, v9
	v_fma_f32 v22, -v7, v21, v20
	v_fmac_f32_e32 v21, v22, v9
	v_fma_f32 v7, -v7, v21, v20
	v_div_fmas_f32 v7, v7, v9, v21
	v_div_fixup_f32 v6, v7, v8, v6
	v_add_f32_e32 v6, v19, v6
	v_mul_f32_e32 v7, 0x4b800000, v6
	v_cmp_gt_f32_e32 vcc, s7, v6
	v_cndmask_b32_e32 v6, v6, v7, vcc
	v_rsq_f32_e32 v6, v6
	s_waitcnt vmcnt(0)
	v_cvt_f32_f16_sdwa v21, v5 dst_sel:DWORD dst_unused:UNUSED_PAD src0_sel:WORD_1
	v_cvt_f32_f16_e32 v20, v5
	v_mul_f32_e32 v7, 0x45800000, v6
	v_cndmask_b32_e32 v6, v6, v7, vcc
	v_mov_b32_e32 v7, v6
	;;#ASMSTART
	v_pk_mul_f32 v[8:9], v[10:11], v[6:7]
	;;#ASMEND
	;;#ASMSTART
	v_pk_mul_f32 v[16:17], v[16:17], v[6:7]
	;;#ASMEND
	;;#ASMSTART
	v_pk_mul_f32 v[12:13], v[12:13], v[6:7]
	;;#ASMEND
	;;#ASMSTART
	v_pk_mul_f32 v[6:7], v[14:15], v[6:7]
	;;#ASMEND
	v_cvt_f32_f16_sdwa v11, v2 dst_sel:DWORD dst_unused:UNUSED_PAD src0_sel:WORD_1
	v_cvt_f32_f16_e32 v10, v2
	v_cvt_f32_f16_sdwa v15, v3 dst_sel:DWORD dst_unused:UNUSED_PAD src0_sel:WORD_1
	v_cvt_f32_f16_e32 v14, v3
	;; [unrolled: 2-line block ×3, first 2 shown]
	;;#ASMSTART
	v_pk_mul_f32 v[10:11], v[8:9], v[10:11]
	;;#ASMEND
	;;#ASMSTART
	v_pk_mul_f32 v[16:17], v[16:17], v[14:15]
	;;#ASMEND
	;; [unrolled: 3-line block ×4, first 2 shown]
.LBB495_9:
	s_or_b64 exec, exec, s[8:9]
	s_load_dword s7, s[4:5], 0x80
	s_mov_b64 s[8:9], -1
	s_and_b64 vcc, exec, s[14:15]
	s_cbranch_vccnz .LBB495_13
; %bb.10:
	s_andn2_b64 vcc, exec, s[8:9]
	s_cbranch_vccz .LBB495_16
.LBB495_11:
	s_cmp_lt_i32 s20, 1
	s_cbranch_scc0 .LBB495_25
.LBB495_12:
	s_endpgm
.LBB495_13:
	s_and_saveexec_b64 s[14:15], s[2:3]
	s_cbranch_execz .LBB495_15
; %bb.14:
	s_waitcnt lgkmcnt(0)
	s_mul_hi_i32 s9, s7, s6
	s_mul_i32 s8, s7, s6
	s_waitcnt vmcnt(0)
	v_cvt_f16_f32_e32 v2, v10
	v_cvt_f16_f32_e32 v3, v16
	;; [unrolled: 1-line block ×8, first 2 shown]
	s_lshl_b64 s[8:9], s[8:9], 1
	s_add_u32 s8, s28, s8
	s_addc_u32 s9, s29, s9
	s_and_b32 s9, s9, 0xffff
	s_mov_b32 s11, 0x20000
	v_pack_b32_f16 v5, v5, v6
	v_pack_b32_f16 v4, v4, v7
	v_pack_b32_f16 v3, v3, v8
	v_pack_b32_f16 v2, v2, v9
	v_lshlrev_b32_e32 v6, 4, v0
	buffer_store_dwordx4 v[2:5], v6, s[8:11], 0 offen
	;;#ASMSTART
	s_nop 0
	;;#ASMEND
.LBB495_15:
	s_or_b64 exec, exec, s[14:15]
	s_cbranch_execnz .LBB495_11
.LBB495_16:
	s_load_dwordx4 s[24:27], s[4:5], 0x70
	s_waitcnt vmcnt(0)
	v_mov_b32_e32 v2, 0
	s_and_saveexec_b64 s[14:15], s[2:3]
	s_cbranch_execz .LBB495_18
; %bb.17:
	s_load_dwordx2 s[8:9], s[4:5], 0x10
	s_waitcnt lgkmcnt(0)
	s_mul_hi_i32 s35, s27, s6
	s_mul_i32 s34, s27, s6
	v_cvt_f16_f32_e32 v2, v10
	v_cvt_f16_f32_e32 v3, v16
	;; [unrolled: 1-line block ×8, first 2 shown]
	s_lshl_b64 s[34:35], s[34:35], 1
	s_add_u32 s8, s8, s34
	s_addc_u32 s9, s9, s35
	s_mov_b32 s11, 0x20000
	s_and_b32 s9, s9, 0xffff
	v_pack_b32_f16 v5, v5, v6
	v_pack_b32_f16 v4, v4, v7
	;; [unrolled: 1-line block ×4, first 2 shown]
	v_lshlrev_b32_e32 v6, 4, v0
	buffer_store_dwordx4 v[2:5], v6, s[8:11], 0 offen
	;;#ASMSTART
	s_nop 0
	;;#ASMEND
	s_nop 0
	v_mov_b32_e32 v2, 0x2edbe6ff
.LBB495_18:
	s_or_b64 exec, exec, s[14:15]
	s_and_saveexec_b64 s[8:9], s[2:3]
	s_cbranch_execz .LBB495_20
; %bb.19:
	v_and_b32_e32 v3, 0x7fffffff, v10
	v_and_b32_e32 v4, 0x7fffffff, v11
	;;#ASMSTART
	v_max3_f32 v2, v2, v3, v4

	;;#ASMEND
	v_and_b32_e32 v3, 0x7fffffff, v16
	v_and_b32_e32 v4, 0x7fffffff, v17
	;;#ASMSTART
	v_max3_f32 v2, v2, v3, v4

	;;#ASMEND
	;; [unrolled: 6-line block ×4, first 2 shown]
.LBB495_20:
	s_or_b64 exec, exec, s[8:9]
	;;#ASMSTART
	v_max_f32 v3, v2, v2 quad_perm:[1,0,3,2] row_mask:0xf bank_mask:0xf bound_ctrl:1
	;;#ASMEND
	;;#ASMSTART
	v_max_f32 v2, v3, v3 quad_perm:[2,3,0,1] row_mask:0xf bank_mask:0xf bound_ctrl:1
	;;#ASMEND
	;;#ASMSTART
	v_max_f32 v3, v2, v2 row_half_mirror row_mask:0xf bank_mask:0xf bound_ctrl:1
	;;#ASMEND
	;;#ASMSTART
	v_max_f32 v2, v3, v3 row_mirror row_mask:0xf bank_mask:0xf bound_ctrl:1
	;;#ASMEND
	v_and_b32_e32 v3, 15, v0
	v_cmp_eq_u32_e32 vcc, 0, v3
	v_cmp_gt_i32_e64 s[8:9], s19, v1
	s_and_b64 s[10:11], vcc, s[8:9]
	s_and_saveexec_b64 s[8:9], s[10:11]
	s_cbranch_execz .LBB495_22
; %bb.21:
	s_load_dwordx2 s[10:11], s[4:5], 0x8
	v_mul_f32_e32 v2, 0x3e2aaaab, v2
	v_lshrrev_b32_e32 v3, 23, v2
	v_and_b32_e32 v4, 0x7f800000, v2
	v_and_b32_e32 v2, 0x7fffff, v2
	v_cmp_ne_u32_e32 vcc, 0, v2
	s_waitcnt lgkmcnt(0)
	s_mul_i32 s16, s25, s6
	s_mov_b32 s14, 0x7f800000
	v_addc_co_u32_e32 v2, vcc, 0, v3, vcc
	s_mul_hi_i32 s15, s25, s6
	s_add_u32 s10, s10, s16
	v_cmp_ne_u32_e32 vcc, s14, v4
	s_addc_u32 s11, s11, s15
	v_lshrrev_b32_e32 v5, 4, v0
	v_cndmask_b32_e32 v4, -1, v2, vcc
	v_pk_mov_b32 v[2:3], s[10:11], s[10:11] op_sel:[0,1]
	v_mad_i64_i32 v[2:3], s[10:11], s26, v5, v[2:3]
	global_store_byte v[2:3], v4, off
.LBB495_22:
	s_or_b64 exec, exec, s[8:9]
	s_and_saveexec_b64 s[8:9], s[2:3]
	s_cbranch_execz .LBB495_24
; %bb.23:
	s_load_dwordx2 s[2:3], s[4:5], 0x0
	s_waitcnt lgkmcnt(0)
	s_mul_i32 s11, s24, s6
	s_mul_hi_i32 s10, s24, s6
	v_lshlrev_b32_e32 v2, 2, v0
	s_mov_b32 s27, 0x20000
	s_add_u32 s24, s2, s11
	s_addc_u32 s2, s3, s10
	s_lshr_b32 s3, s19, 31
	s_add_i32 s3, s19, s3
	s_ashr_i32 s3, s3, 1
	s_add_i32 s3, s3, 3
	s_ashr_i32 s10, s3, 31
	s_lshr_b32 s10, s10, 30
	s_add_i32 s3, s3, s10
	s_and_b32 s26, s3, -4
	s_and_b32 s25, s2, 0xffff
	v_mov_b32_e32 v3, 0
	buffer_store_dword v3, v2, s[24:27], 0 offen
	;;#ASMSTART
	s_nop 0
	;;#ASMEND
.LBB495_24:
	s_or_b64 exec, exec, s[8:9]
	s_cmp_lt_i32 s20, 1
	s_cbranch_scc1 .LBB495_12
.LBB495_25:
	s_load_dword s2, s[4:5], 0x94
	s_waitcnt lgkmcnt(0)
	s_cmp_lg_u32 s2, 1
	s_cbranch_scc1 .LBB495_12
; %bb.26:
	s_lshl_b32 s2, s20, 1
	s_add_i32 s2, s2, 2
	v_cmp_gt_u32_e32 vcc, s20, v1
	s_and_b32 s14, s2, -4
	v_mov_b32_e32 v10, 0
	v_lshlrev_b32_e32 v1, 4, v0
	v_mov_b32_e32 v6, 0
	v_mov_b32_e32 v7, 0
	;; [unrolled: 1-line block ×4, first 2 shown]
	s_waitcnt vmcnt(0)
	v_mov_b32_e32 v2, 0
	v_mov_b32_e32 v3, 0
	;; [unrolled: 1-line block ×4, first 2 shown]
	s_barrier
	s_and_saveexec_b64 s[2:3], vcc
	s_cbranch_execz .LBB495_28
; %bb.27:
	s_mul_hi_i32 s5, s22, s6
	s_mul_i32 s4, s22, s6
	s_and_b32 s13, s13, 0xffff
	s_lshl_b64 s[4:5], s[4:5], 1
	s_add_u32 s8, s30, s4
	s_mov_b32 s15, 0x20000
	s_addc_u32 s4, s31, s5
	s_and_b32 s9, s4, 0xffff
	s_mov_b32 s10, s14
	s_mov_b32 s11, s15
	buffer_load_dwordx4 v[6:9], v1, s[8:11], 0 offen glc slc
	buffer_load_dwordx4 v[2:5], v1, s[12:15], 0 offen
.LBB495_28:
	s_or_b64 exec, exec, s[2:3]
	v_mov_b32_e32 v11, 0
	v_mov_b32_e32 v16, 0
	;; [unrolled: 1-line block ×7, first 2 shown]
	s_and_saveexec_b64 s[2:3], vcc
	s_cbranch_execz .LBB495_30
; %bb.29:
	s_waitcnt vmcnt(1)
	v_cvt_f32_f16_sdwa v11, v6 dst_sel:DWORD dst_unused:UNUSED_PAD src0_sel:WORD_1
	v_cvt_f32_f16_e32 v10, v6
	v_cvt_f32_f16_sdwa v17, v7 dst_sel:DWORD dst_unused:UNUSED_PAD src0_sel:WORD_1
	v_cvt_f32_f16_e32 v16, v7
	;; [unrolled: 2-line block ×4, first 2 shown]
.LBB495_30:
	s_or_b64 exec, exec, s[2:3]
	s_waitcnt vmcnt(1)
	v_mul_f32_e32 v6, v11, v11
	v_fmac_f32_e32 v6, v10, v10
	v_fmac_f32_e32 v6, v16, v16
	;; [unrolled: 1-line block ×7, first 2 shown]
	s_nop 1
	v_mov_b32_dpp v7, v6 quad_perm:[1,0,3,2] row_mask:0xf bank_mask:0xf
	v_add_f32_e32 v6, v6, v7
	s_nop 1
	v_mov_b32_dpp v7, v6 quad_perm:[2,3,0,1] row_mask:0xf bank_mask:0xf
	v_add_f32_e32 v6, v6, v7
	s_nop 1
	v_mov_b32_dpp v7, v6 row_half_mirror row_mask:0xf bank_mask:0xf
	v_add_f32_e32 v6, v6, v7
	s_nop 1
	v_mov_b32_dpp v7, v6 row_mirror row_mask:0xf bank_mask:0xf
	v_add_f32_e32 v6, v6, v7
	s_nop 1
	v_mov_b32_dpp v7, v6 row_bcast:15 row_mask:0xf bank_mask:0xf
	v_add_f32_e32 v6, v6, v7
	s_nop 1
	v_mov_b32_dpp v7, v6 row_bcast:31 row_mask:0xf bank_mask:0xf
	s_and_saveexec_b64 s[2:3], s[0:1]
	s_cbranch_execz .LBB495_32
; %bb.31:
	v_lshrrev_b32_e32 v0, 4, v0
	v_add_f32_e32 v6, v6, v7
	v_and_b32_e32 v0, 60, v0
	ds_write_b32 v0, v6
.LBB495_32:
	s_or_b64 exec, exec, s[2:3]
	s_waitcnt lgkmcnt(0)
	s_barrier
	ds_read_b32 v0, v18
	s_waitcnt lgkmcnt(0)
	s_nop 0
	v_mov_b32_dpp v6, v0 quad_perm:[1,0,3,2] row_mask:0xf bank_mask:0xf
	v_add_f32_e32 v0, v0, v6
	s_nop 1
	v_mov_b32_dpp v6, v0 quad_perm:[2,3,0,1] row_mask:0xf bank_mask:0xf
	s_and_saveexec_b64 s[0:1], vcc
	s_cbranch_execz .LBB495_12
; %bb.33:
	v_cvt_f32_u32_e32 v7, s20
	v_add_f32_e32 v0, v0, v6
	s_mov_b32 s15, 0x20000
	v_div_scale_f32 v6, s[0:1], v7, v7, v0
	v_rcp_f32_e32 v8, v6
	v_div_scale_f32 v9, vcc, v0, v7, v0
	s_mov_b32 s0, 0x800000
	v_fma_f32 v18, -v6, v8, 1.0
	v_fmac_f32_e32 v8, v18, v8
	v_mul_f32_e32 v18, v9, v8
	v_fma_f32 v19, -v6, v18, v9
	v_fmac_f32_e32 v18, v19, v8
	v_fma_f32 v6, -v6, v18, v9
	v_div_fmas_f32 v6, v6, v8, v18
	v_div_fixup_f32 v0, v6, v7, v0
	v_add_f32_e32 v0, s17, v0
	v_mul_f32_e32 v6, 0x4b800000, v0
	v_cmp_gt_f32_e32 vcc, s0, v0
	v_cndmask_b32_e32 v0, v0, v6, vcc
	v_rsq_f32_e32 v0, v0
	s_waitcnt vmcnt(0)
	v_cvt_f32_f16_sdwa v19, v5 dst_sel:DWORD dst_unused:UNUSED_PAD src0_sel:WORD_1
	v_cvt_f32_f16_e32 v18, v5
	s_mul_hi_i32 s1, s7, s6
	v_mul_f32_e32 v6, 0x45800000, v0
	v_cndmask_b32_e32 v6, v0, v6, vcc
	v_mov_b32_e32 v7, v6
	;;#ASMSTART
	v_pk_mul_f32 v[8:9], v[10:11], v[6:7]
	;;#ASMEND
	;;#ASMSTART
	v_pk_mul_f32 v[10:11], v[16:17], v[6:7]
	;;#ASMEND
	;; [unrolled: 3-line block ×4, first 2 shown]
	v_cvt_f32_f16_sdwa v13, v2 dst_sel:DWORD dst_unused:UNUSED_PAD src0_sel:WORD_1
	v_cvt_f32_f16_e32 v12, v2
	v_cvt_f32_f16_sdwa v17, v3 dst_sel:DWORD dst_unused:UNUSED_PAD src0_sel:WORD_1
	v_cvt_f32_f16_e32 v16, v3
	;; [unrolled: 2-line block ×3, first 2 shown]
	;;#ASMSTART
	v_pk_mul_f32 v[4:5], v[8:9], v[12:13]
	;;#ASMEND
	;;#ASMSTART
	v_pk_mul_f32 v[8:9], v[10:11], v[16:17]
	;;#ASMEND
	;; [unrolled: 3-line block ×4, first 2 shown]
	s_mul_i32 s0, s7, s6
	v_cvt_f16_f32_e32 v0, v4
	v_cvt_f16_f32_e32 v4, v5
	;; [unrolled: 1-line block ×8, first 2 shown]
	s_lshl_b64 s[0:1], s[0:1], 1
	s_add_u32 s12, s28, s0
	s_addc_u32 s0, s29, s1
	s_and_b32 s13, s0, 0xffff
	v_pack_b32_f16 v2, v0, v4
	v_pack_b32_f16 v3, v5, v8
	;; [unrolled: 1-line block ×4, first 2 shown]
	buffer_store_dwordx4 v[2:5], v1, s[12:15], 0 offen
	;;#ASMSTART
	s_nop 0
	;;#ASMEND
	s_endpgm
	.section	.rodata,"a",@progbits
	.p2align	6, 0x0
	.amdhsa_kernel _ZN5aiter35fused_qk_rmsnorm_group_quant_kernelIDF16_N4opus5fp4_tELi256ELi8ELi16ELb0ELb1ELb0ELb0ELb0ELb0EEEvPT0_PvPT_S7_S7_PKS6_S9_S9_S9_S9_ffiiiiiiiiiiiii
		.amdhsa_group_segment_fixed_size 32
		.amdhsa_private_segment_fixed_size 0
		.amdhsa_kernarg_size 400
		.amdhsa_user_sgpr_count 6
		.amdhsa_user_sgpr_private_segment_buffer 1
		.amdhsa_user_sgpr_dispatch_ptr 0
		.amdhsa_user_sgpr_queue_ptr 0
		.amdhsa_user_sgpr_kernarg_segment_ptr 1
		.amdhsa_user_sgpr_dispatch_id 0
		.amdhsa_user_sgpr_flat_scratch_init 0
		.amdhsa_user_sgpr_kernarg_preload_length 0
		.amdhsa_user_sgpr_kernarg_preload_offset 0
		.amdhsa_user_sgpr_private_segment_size 0
		.amdhsa_uses_dynamic_stack 0
		.amdhsa_system_sgpr_private_segment_wavefront_offset 0
		.amdhsa_system_sgpr_workgroup_id_x 1
		.amdhsa_system_sgpr_workgroup_id_y 1
		.amdhsa_system_sgpr_workgroup_id_z 0
		.amdhsa_system_sgpr_workgroup_info 0
		.amdhsa_system_vgpr_workitem_id 0
		.amdhsa_next_free_vgpr 23
		.amdhsa_next_free_sgpr 36
		.amdhsa_accum_offset 24
		.amdhsa_reserve_vcc 1
		.amdhsa_reserve_flat_scratch 0
		.amdhsa_float_round_mode_32 0
		.amdhsa_float_round_mode_16_64 0
		.amdhsa_float_denorm_mode_32 3
		.amdhsa_float_denorm_mode_16_64 3
		.amdhsa_dx10_clamp 1
		.amdhsa_ieee_mode 1
		.amdhsa_fp16_overflow 0
		.amdhsa_tg_split 0
		.amdhsa_exception_fp_ieee_invalid_op 0
		.amdhsa_exception_fp_denorm_src 0
		.amdhsa_exception_fp_ieee_div_zero 0
		.amdhsa_exception_fp_ieee_overflow 0
		.amdhsa_exception_fp_ieee_underflow 0
		.amdhsa_exception_fp_ieee_inexact 0
		.amdhsa_exception_int_div_zero 0
	.end_amdhsa_kernel
	.section	.text._ZN5aiter35fused_qk_rmsnorm_group_quant_kernelIDF16_N4opus5fp4_tELi256ELi8ELi16ELb0ELb1ELb0ELb0ELb0ELb0EEEvPT0_PvPT_S7_S7_PKS6_S9_S9_S9_S9_ffiiiiiiiiiiiii,"axG",@progbits,_ZN5aiter35fused_qk_rmsnorm_group_quant_kernelIDF16_N4opus5fp4_tELi256ELi8ELi16ELb0ELb1ELb0ELb0ELb0ELb0EEEvPT0_PvPT_S7_S7_PKS6_S9_S9_S9_S9_ffiiiiiiiiiiiii,comdat
.Lfunc_end495:
	.size	_ZN5aiter35fused_qk_rmsnorm_group_quant_kernelIDF16_N4opus5fp4_tELi256ELi8ELi16ELb0ELb1ELb0ELb0ELb0ELb0EEEvPT0_PvPT_S7_S7_PKS6_S9_S9_S9_S9_ffiiiiiiiiiiiii, .Lfunc_end495-_ZN5aiter35fused_qk_rmsnorm_group_quant_kernelIDF16_N4opus5fp4_tELi256ELi8ELi16ELb0ELb1ELb0ELb0ELb0ELb0EEEvPT0_PvPT_S7_S7_PKS6_S9_S9_S9_S9_ffiiiiiiiiiiiii
                                        ; -- End function
	.section	.AMDGPU.csdata,"",@progbits
; Kernel info:
; codeLenInByte = 2452
; NumSgprs: 40
; NumVgprs: 23
; NumAgprs: 0
; TotalNumVgprs: 23
; ScratchSize: 0
; MemoryBound: 0
; FloatMode: 240
; IeeeMode: 1
; LDSByteSize: 32 bytes/workgroup (compile time only)
; SGPRBlocks: 4
; VGPRBlocks: 2
; NumSGPRsForWavesPerEU: 40
; NumVGPRsForWavesPerEU: 23
; AccumOffset: 24
; Occupancy: 8
; WaveLimiterHint : 0
; COMPUTE_PGM_RSRC2:SCRATCH_EN: 0
; COMPUTE_PGM_RSRC2:USER_SGPR: 6
; COMPUTE_PGM_RSRC2:TRAP_HANDLER: 0
; COMPUTE_PGM_RSRC2:TGID_X_EN: 1
; COMPUTE_PGM_RSRC2:TGID_Y_EN: 1
; COMPUTE_PGM_RSRC2:TGID_Z_EN: 0
; COMPUTE_PGM_RSRC2:TIDIG_COMP_CNT: 0
; COMPUTE_PGM_RSRC3_GFX90A:ACCUM_OFFSET: 5
; COMPUTE_PGM_RSRC3_GFX90A:TG_SPLIT: 0
	.section	.text._ZN5aiter35fused_qk_rmsnorm_group_quant_kernelItN4opus5fp4_tELi256ELi8ELi16ELb0ELb1ELb0ELb0ELb0ELb0EEEvPT0_PvPT_S7_S7_PKS6_S9_S9_S9_S9_ffiiiiiiiiiiiii,"axG",@progbits,_ZN5aiter35fused_qk_rmsnorm_group_quant_kernelItN4opus5fp4_tELi256ELi8ELi16ELb0ELb1ELb0ELb0ELb0ELb0EEEvPT0_PvPT_S7_S7_PKS6_S9_S9_S9_S9_ffiiiiiiiiiiiii,comdat
	.protected	_ZN5aiter35fused_qk_rmsnorm_group_quant_kernelItN4opus5fp4_tELi256ELi8ELi16ELb0ELb1ELb0ELb0ELb0ELb0EEEvPT0_PvPT_S7_S7_PKS6_S9_S9_S9_S9_ffiiiiiiiiiiiii ; -- Begin function _ZN5aiter35fused_qk_rmsnorm_group_quant_kernelItN4opus5fp4_tELi256ELi8ELi16ELb0ELb1ELb0ELb0ELb0ELb0EEEvPT0_PvPT_S7_S7_PKS6_S9_S9_S9_S9_ffiiiiiiiiiiiii
	.globl	_ZN5aiter35fused_qk_rmsnorm_group_quant_kernelItN4opus5fp4_tELi256ELi8ELi16ELb0ELb1ELb0ELb0ELb0ELb0EEEvPT0_PvPT_S7_S7_PKS6_S9_S9_S9_S9_ffiiiiiiiiiiiii
	.p2align	8
	.type	_ZN5aiter35fused_qk_rmsnorm_group_quant_kernelItN4opus5fp4_tELi256ELi8ELi16ELb0ELb1ELb0ELb0ELb0ELb0EEEvPT0_PvPT_S7_S7_PKS6_S9_S9_S9_S9_ffiiiiiiiiiiiii,@function
_ZN5aiter35fused_qk_rmsnorm_group_quant_kernelItN4opus5fp4_tELi256ELi8ELi16ELb0ELb1ELb0ELb0ELb0ELb0EEEvPT0_PvPT_S7_S7_PKS6_S9_S9_S9_S9_ffiiiiiiiiiiiii: ; @_ZN5aiter35fused_qk_rmsnorm_group_quant_kernelItN4opus5fp4_tELi256ELi8ELi16ELb0ELb1ELb0ELb0ELb0ELb0EEEvPT0_PvPT_S7_S7_PKS6_S9_S9_S9_S9_ffiiiiiiiiiiiii
; %bb.0:
	s_load_dwordx4 s[16:19], s[4:5], 0x50
	s_waitcnt lgkmcnt(0)
	s_cmp_ge_i32 s6, s18
	s_cbranch_scc1 .LBB496_10
; %bb.1:
	s_load_dwordx2 s[12:13], s[4:5], 0x48
	s_load_dwordx2 s[30:31], s[4:5], 0x30
	s_load_dwordx4 s[20:23], s[4:5], 0x60
	s_cmp_lg_u32 s7, 0
	s_cselect_b64 s[14:15], -1, 0
	s_cmp_eq_u32 s7, 0
	s_cselect_b64 vcc, -1, 0
	s_and_b64 s[0:1], vcc, exec
	s_waitcnt lgkmcnt(0)
	s_cselect_b32 s7, s19, s20
	s_add_i32 s0, s7, 1
	s_lshr_b32 s1, s0, 31
	s_add_i32 s0, s0, s1
	s_lshl_b32 s0, s0, 1
	v_lshlrev_b32_e32 v1, 3, v0
	s_and_b32 s10, s0, -4
	v_cmp_gt_i32_e64 s[2:3], s7, v1
	v_mov_b32_e32 v2, 0
	v_mov_b32_e32 v3, 0
	;; [unrolled: 1-line block ×8, first 2 shown]
	s_and_saveexec_b64 s[0:1], s[2:3]
	s_cbranch_execz .LBB496_3
; %bb.2:
	s_load_dwordx2 s[8:9], s[4:5], 0x28
	s_load_dwordx2 s[26:27], s[4:5], 0x40
	s_and_b64 s[24:25], vcc, exec
	s_cselect_b32 s11, s21, s22
	v_lshlrev_b32_e32 v10, 4, v0
	s_waitcnt lgkmcnt(0)
	s_cselect_b32 s18, s9, s31
	s_cselect_b32 s21, s8, s30
	s_mul_hi_i32 s9, s11, s6
	s_mul_i32 s8, s11, s6
	s_lshl_b64 s[8:9], s[8:9], 1
	s_add_u32 s24, s21, s8
	s_addc_u32 s18, s18, s9
	s_and_b64 s[8:9], vcc, exec
	s_mov_b32 s11, 0x20000
	s_cselect_b32 s8, s26, s12
	s_cselect_b32 s9, s27, s13
	s_and_b32 s25, s18, 0xffff
	s_mov_b32 s26, s10
	s_mov_b32 s27, s11
	s_and_b32 s9, s9, 0xffff
	buffer_load_dwordx4 v[6:9], v10, s[24:27], 0 offen glc slc
	buffer_load_dwordx4 v[2:5], v10, s[8:11], 0 offen
.LBB496_3:
	s_or_b64 exec, exec, s[0:1]
	s_waitcnt vmcnt(1)
	v_cvt_f32_u32_sdwa v13, v6 dst_sel:DWORD dst_unused:UNUSED_PAD src0_sel:WORD_1
	v_cvt_f32_u32_sdwa v12, v6 dst_sel:DWORD dst_unused:UNUSED_PAD src0_sel:WORD_0
	v_cvt_f32_u32_sdwa v6, v9 dst_sel:DWORD dst_unused:UNUSED_PAD src0_sel:WORD_1
	v_cvt_f32_u32_sdwa v9, v9 dst_sel:DWORD dst_unused:UNUSED_PAD src0_sel:WORD_0
	;; [unrolled: 2-line block ×4, first 2 shown]
	v_cndmask_b32_e64 v13, 0, v13, s[2:3]
	v_cndmask_b32_e64 v7, 0, v6, s[2:3]
	;; [unrolled: 1-line block ×5, first 2 shown]
	v_mul_f32_e32 v14, v13, v13
	v_cndmask_b32_e64 v10, 0, v10, s[2:3]
	v_fmac_f32_e32 v14, v12, v12
	v_cndmask_b32_e64 v11, 0, v11, s[2:3]
	v_fmac_f32_e32 v14, v10, v10
	;; [unrolled: 2-line block ×3, first 2 shown]
	v_fmac_f32_e32 v14, v8, v8
	v_fmac_f32_e32 v14, v9, v9
	;; [unrolled: 1-line block ×4, first 2 shown]
	v_and_b32_e32 v16, 63, v0
	v_cmp_eq_u32_e64 s[0:1], 63, v16
	v_mov_b32_dpp v15, v14 quad_perm:[1,0,3,2] row_mask:0xf bank_mask:0xf
	v_add_f32_e32 v14, v14, v15
	s_nop 1
	v_mov_b32_dpp v15, v14 quad_perm:[2,3,0,1] row_mask:0xf bank_mask:0xf
	v_add_f32_e32 v14, v14, v15
	s_nop 1
	v_mov_b32_dpp v15, v14 row_half_mirror row_mask:0xf bank_mask:0xf
	v_add_f32_e32 v14, v14, v15
	s_nop 1
	v_mov_b32_dpp v15, v14 row_mirror row_mask:0xf bank_mask:0xf
	v_add_f32_e32 v14, v14, v15
	s_nop 1
	v_mov_b32_dpp v15, v14 row_bcast:15 row_mask:0xf bank_mask:0xf
	v_add_f32_e32 v14, v14, v15
	s_nop 1
	v_mov_b32_dpp v15, v14 row_bcast:31 row_mask:0xf bank_mask:0xf
	s_and_saveexec_b64 s[8:9], s[0:1]
	s_cbranch_execz .LBB496_5
; %bb.4:
	v_add_f32_e32 v14, v14, v15
	v_lshrrev_b32_e32 v15, 4, v0
	v_and_b32_e32 v15, 60, v15
	ds_write_b32 v15, v14 offset:16
.LBB496_5:
	s_or_b64 exec, exec, s[8:9]
	v_and_b32_e32 v14, 3, v0
	v_lshlrev_b32_e32 v14, 2, v14
	s_waitcnt lgkmcnt(0)
	s_barrier
	ds_read_b32 v15, v14 offset:16
	s_load_dwordx2 s[28:29], s[4:5], 0x18
	s_waitcnt lgkmcnt(0)
	v_mov_b32_dpp v16, v15 quad_perm:[1,0,3,2] row_mask:0xf bank_mask:0xf
	v_add_f32_e32 v15, v15, v16
	s_nop 1
	v_mov_b32_dpp v16, v15 quad_perm:[2,3,0,1] row_mask:0xf bank_mask:0xf
	s_and_saveexec_b64 s[8:9], s[2:3]
	s_cbranch_execz .LBB496_7
; %bb.6:
	v_cvt_f32_u32_e32 v17, s7
	v_add_f32_e32 v15, v15, v16
	v_mov_b32_e32 v19, s17
	v_mov_b32_e32 v20, s16
	v_div_scale_f32 v16, s[24:25], v17, v17, v15
	v_rcp_f32_e32 v18, v16
	v_cndmask_b32_e32 v19, v19, v20, vcc
	s_mov_b32 s7, 0x800000
	v_fma_f32 v20, -v16, v18, 1.0
	v_fmac_f32_e32 v18, v20, v18
	v_div_scale_f32 v20, vcc, v15, v17, v15
	v_mul_f32_e32 v21, v20, v18
	v_fma_f32 v22, -v16, v21, v20
	v_fmac_f32_e32 v21, v22, v18
	v_fma_f32 v16, -v16, v21, v20
	v_div_fmas_f32 v16, v16, v18, v21
	v_div_fixup_f32 v15, v16, v17, v15
	v_add_f32_e32 v15, v19, v15
	v_mul_f32_e32 v16, 0x4b800000, v15
	v_cmp_gt_f32_e32 vcc, s7, v15
	v_cndmask_b32_e32 v15, v15, v16, vcc
	v_rsq_f32_e32 v15, v15
	s_waitcnt vmcnt(0)
	v_cvt_f32_u32_sdwa v19, v3 dst_sel:DWORD dst_unused:UNUSED_PAD src0_sel:WORD_1
	v_cvt_f32_u32_sdwa v18, v3 dst_sel:DWORD dst_unused:UNUSED_PAD src0_sel:WORD_0
	v_cvt_f32_u32_sdwa v3, v4 dst_sel:DWORD dst_unused:UNUSED_PAD src0_sel:WORD_1
	v_mul_f32_e32 v16, 0x45800000, v15
	v_cndmask_b32_e32 v16, v15, v16, vcc
	v_mov_b32_e32 v17, v16
	;;#ASMSTART
	v_pk_mul_f32 v[12:13], v[12:13], v[16:17]
	;;#ASMEND
	;;#ASMSTART
	v_pk_mul_f32 v[10:11], v[10:11], v[16:17]
	;;#ASMEND
	;; [unrolled: 3-line block ×4, first 2 shown]
	v_cvt_f32_u32_sdwa v17, v2 dst_sel:DWORD dst_unused:UNUSED_PAD src0_sel:WORD_1
	v_cvt_f32_u32_sdwa v16, v2 dst_sel:DWORD dst_unused:UNUSED_PAD src0_sel:WORD_0
	v_cvt_f32_u32_sdwa v2, v4 dst_sel:DWORD dst_unused:UNUSED_PAD src0_sel:WORD_0
	v_cvt_f32_u32_sdwa v21, v5 dst_sel:DWORD dst_unused:UNUSED_PAD src0_sel:WORD_1
	v_cvt_f32_u32_sdwa v20, v5 dst_sel:DWORD dst_unused:UNUSED_PAD src0_sel:WORD_0
	;;#ASMSTART
	v_pk_mul_f32 v[12:13], v[12:13], v[16:17]
	;;#ASMEND
	;;#ASMSTART
	v_pk_mul_f32 v[10:11], v[10:11], v[18:19]
	;;#ASMEND
	;;#ASMSTART
	v_pk_mul_f32 v[8:9], v[8:9], v[2:3]
	;;#ASMEND
	;;#ASMSTART
	v_pk_mul_f32 v[6:7], v[6:7], v[20:21]
	;;#ASMEND
.LBB496_7:
	s_or_b64 exec, exec, s[8:9]
	s_load_dword s7, s[4:5], 0x80
	s_mov_b64 s[8:9], -1
	s_and_b64 vcc, exec, s[14:15]
	s_cbranch_vccnz .LBB496_11
; %bb.8:
	s_andn2_b64 vcc, exec, s[8:9]
	s_cbranch_vccz .LBB496_14
.LBB496_9:
	s_cmp_lt_i32 s20, 1
	s_cbranch_scc0 .LBB496_23
.LBB496_10:
	s_endpgm
.LBB496_11:
	s_and_saveexec_b64 s[14:15], s[2:3]
	s_cbranch_execz .LBB496_13
; %bb.12:
	s_waitcnt lgkmcnt(0)
	s_mul_hi_i32 s9, s7, s6
	s_mul_i32 s8, s7, s6
	s_lshl_b64 s[8:9], s[8:9], 1
	s_add_u32 s8, s28, s8
	s_addc_u32 s9, s29, s9
	s_mov_b32 s16, 0x7060302
	s_and_b32 s9, s9, 0xffff
	s_mov_b32 s11, 0x20000
	s_waitcnt vmcnt(0)
	v_perm_b32 v2, v13, v12, s16
	v_perm_b32 v3, v11, v10, s16
	v_perm_b32 v4, v9, v8, s16
	v_perm_b32 v5, v7, v6, s16
	v_lshlrev_b32_e32 v15, 4, v0
	buffer_store_dwordx4 v[2:5], v15, s[8:11], 0 offen
	;;#ASMSTART
	s_nop 0
	;;#ASMEND
.LBB496_13:
	s_or_b64 exec, exec, s[14:15]
	s_cbranch_execnz .LBB496_9
.LBB496_14:
	s_load_dwordx4 s[24:27], s[4:5], 0x70
	s_waitcnt vmcnt(0)
	v_mov_b32_e32 v2, 0
	s_and_saveexec_b64 s[14:15], s[2:3]
	s_cbranch_execz .LBB496_16
; %bb.15:
	s_load_dwordx2 s[8:9], s[4:5], 0x10
	s_waitcnt lgkmcnt(0)
	s_mul_hi_i32 s35, s27, s6
	s_mul_i32 s34, s27, s6
	s_lshl_b64 s[34:35], s[34:35], 1
	s_mov_b32 s16, 0x7060302
	s_add_u32 s8, s8, s34
	s_addc_u32 s9, s9, s35
	s_mov_b32 s11, 0x20000
	s_and_b32 s9, s9, 0xffff
	v_perm_b32 v2, v13, v12, s16
	v_perm_b32 v3, v11, v10, s16
	;; [unrolled: 1-line block ×4, first 2 shown]
	v_lshlrev_b32_e32 v15, 4, v0
	buffer_store_dwordx4 v[2:5], v15, s[8:11], 0 offen
	;;#ASMSTART
	s_nop 0
	;;#ASMEND
	s_nop 0
	v_mov_b32_e32 v2, 0x2edbe6ff
.LBB496_16:
	s_or_b64 exec, exec, s[14:15]
	s_and_saveexec_b64 s[8:9], s[2:3]
	s_cbranch_execz .LBB496_18
; %bb.17:
	v_and_b32_e32 v3, 0x7fffffff, v12
	v_and_b32_e32 v4, 0x7fffffff, v13
	;;#ASMSTART
	v_max3_f32 v2, v2, v3, v4

	;;#ASMEND
	v_and_b32_e32 v3, 0x7fffffff, v10
	v_and_b32_e32 v4, 0x7fffffff, v11
	;;#ASMSTART
	v_max3_f32 v2, v2, v3, v4

	;;#ASMEND
	;; [unrolled: 6-line block ×4, first 2 shown]
.LBB496_18:
	s_or_b64 exec, exec, s[8:9]
	;;#ASMSTART
	v_max_f32 v3, v2, v2 quad_perm:[1,0,3,2] row_mask:0xf bank_mask:0xf bound_ctrl:1
	;;#ASMEND
	;;#ASMSTART
	v_max_f32 v2, v3, v3 quad_perm:[2,3,0,1] row_mask:0xf bank_mask:0xf bound_ctrl:1
	;;#ASMEND
	;;#ASMSTART
	v_max_f32 v3, v2, v2 row_half_mirror row_mask:0xf bank_mask:0xf bound_ctrl:1
	;;#ASMEND
	;;#ASMSTART
	v_max_f32 v2, v3, v3 row_mirror row_mask:0xf bank_mask:0xf bound_ctrl:1
	;;#ASMEND
	v_and_b32_e32 v3, 15, v0
	v_cmp_eq_u32_e32 vcc, 0, v3
	v_cmp_gt_i32_e64 s[8:9], s19, v1
	s_and_b64 s[10:11], vcc, s[8:9]
	s_and_saveexec_b64 s[8:9], s[10:11]
	s_cbranch_execz .LBB496_20
; %bb.19:
	s_load_dwordx2 s[10:11], s[4:5], 0x8
	v_mul_f32_e32 v2, 0x3e2aaaab, v2
	v_lshrrev_b32_e32 v3, 23, v2
	v_and_b32_e32 v4, 0x7f800000, v2
	v_and_b32_e32 v2, 0x7fffff, v2
	v_cmp_ne_u32_e32 vcc, 0, v2
	s_waitcnt lgkmcnt(0)
	s_mul_i32 s16, s25, s6
	s_mov_b32 s14, 0x7f800000
	v_addc_co_u32_e32 v2, vcc, 0, v3, vcc
	s_mul_hi_i32 s15, s25, s6
	s_add_u32 s10, s10, s16
	v_cmp_ne_u32_e32 vcc, s14, v4
	s_addc_u32 s11, s11, s15
	v_lshrrev_b32_e32 v5, 4, v0
	v_cndmask_b32_e32 v4, -1, v2, vcc
	v_pk_mov_b32 v[2:3], s[10:11], s[10:11] op_sel:[0,1]
	v_mad_i64_i32 v[2:3], s[10:11], s26, v5, v[2:3]
	global_store_byte v[2:3], v4, off
.LBB496_20:
	s_or_b64 exec, exec, s[8:9]
	s_and_saveexec_b64 s[8:9], s[2:3]
	s_cbranch_execz .LBB496_22
; %bb.21:
	s_load_dwordx2 s[2:3], s[4:5], 0x0
	s_waitcnt lgkmcnt(0)
	s_mul_i32 s11, s24, s6
	s_mul_hi_i32 s10, s24, s6
	v_lshlrev_b32_e32 v2, 2, v0
	s_mov_b32 s27, 0x20000
	s_add_u32 s24, s2, s11
	s_addc_u32 s2, s3, s10
	s_lshr_b32 s3, s19, 31
	s_add_i32 s3, s19, s3
	s_ashr_i32 s3, s3, 1
	s_add_i32 s3, s3, 3
	s_ashr_i32 s10, s3, 31
	s_lshr_b32 s10, s10, 30
	s_add_i32 s3, s3, s10
	s_and_b32 s26, s3, -4
	s_and_b32 s25, s2, 0xffff
	v_mov_b32_e32 v3, 0
	buffer_store_dword v3, v2, s[24:27], 0 offen
	;;#ASMSTART
	s_nop 0
	;;#ASMEND
.LBB496_22:
	s_or_b64 exec, exec, s[8:9]
	s_cmp_lt_i32 s20, 1
	s_cbranch_scc1 .LBB496_10
.LBB496_23:
	s_load_dword s2, s[4:5], 0x94
	s_waitcnt lgkmcnt(0)
	s_cmp_lg_u32 s2, 1
	s_cbranch_scc1 .LBB496_10
; %bb.24:
	s_lshl_b32 s2, s20, 1
	s_add_i32 s2, s2, 2
	v_cmp_gt_u32_e32 vcc, s20, v1
	s_and_b32 s14, s2, -4
	v_mov_b32_e32 v6, 0
	v_lshlrev_b32_e32 v1, 4, v0
	v_mov_b32_e32 v7, 0
	v_mov_b32_e32 v8, 0
	;; [unrolled: 1-line block ×3, first 2 shown]
	s_waitcnt vmcnt(0)
	v_mov_b32_e32 v2, 0
	v_mov_b32_e32 v3, 0
	;; [unrolled: 1-line block ×4, first 2 shown]
	s_barrier
	s_and_saveexec_b64 s[2:3], vcc
	s_cbranch_execz .LBB496_26
; %bb.25:
	s_mul_hi_i32 s5, s22, s6
	s_mul_i32 s4, s22, s6
	s_and_b32 s13, s13, 0xffff
	s_lshl_b64 s[4:5], s[4:5], 1
	s_add_u32 s8, s30, s4
	s_mov_b32 s15, 0x20000
	s_addc_u32 s4, s31, s5
	s_and_b32 s9, s4, 0xffff
	s_mov_b32 s10, s14
	s_mov_b32 s11, s15
	buffer_load_dwordx4 v[6:9], v1, s[8:11], 0 offen glc slc
	buffer_load_dwordx4 v[2:5], v1, s[12:15], 0 offen
.LBB496_26:
	s_or_b64 exec, exec, s[2:3]
	s_waitcnt vmcnt(1)
	v_cvt_f32_u32_sdwa v13, v6 dst_sel:DWORD dst_unused:UNUSED_PAD src0_sel:WORD_1
	v_cvt_f32_u32_sdwa v12, v6 dst_sel:DWORD dst_unused:UNUSED_PAD src0_sel:WORD_0
	v_cvt_f32_u32_sdwa v6, v9 dst_sel:DWORD dst_unused:UNUSED_PAD src0_sel:WORD_1
	v_cvt_f32_u32_sdwa v9, v9 dst_sel:DWORD dst_unused:UNUSED_PAD src0_sel:WORD_0
	;; [unrolled: 2-line block ×4, first 2 shown]
	v_cndmask_b32_e32 v13, 0, v13, vcc
	v_cndmask_b32_e32 v7, 0, v6, vcc
	;; [unrolled: 1-line block ×5, first 2 shown]
	v_mul_f32_e32 v15, v13, v13
	v_cndmask_b32_e32 v10, 0, v10, vcc
	v_fmac_f32_e32 v15, v12, v12
	v_cndmask_b32_e32 v11, 0, v11, vcc
	v_fmac_f32_e32 v15, v10, v10
	;; [unrolled: 2-line block ×3, first 2 shown]
	v_fmac_f32_e32 v15, v8, v8
	v_fmac_f32_e32 v15, v9, v9
	;; [unrolled: 1-line block ×4, first 2 shown]
	s_nop 1
	v_mov_b32_dpp v16, v15 quad_perm:[1,0,3,2] row_mask:0xf bank_mask:0xf
	v_add_f32_e32 v15, v15, v16
	s_nop 1
	v_mov_b32_dpp v16, v15 quad_perm:[2,3,0,1] row_mask:0xf bank_mask:0xf
	v_add_f32_e32 v15, v15, v16
	s_nop 1
	v_mov_b32_dpp v16, v15 row_half_mirror row_mask:0xf bank_mask:0xf
	v_add_f32_e32 v15, v15, v16
	s_nop 1
	v_mov_b32_dpp v16, v15 row_mirror row_mask:0xf bank_mask:0xf
	v_add_f32_e32 v15, v15, v16
	s_nop 1
	v_mov_b32_dpp v16, v15 row_bcast:15 row_mask:0xf bank_mask:0xf
	v_add_f32_e32 v15, v15, v16
	s_nop 1
	v_mov_b32_dpp v16, v15 row_bcast:31 row_mask:0xf bank_mask:0xf
	s_and_saveexec_b64 s[2:3], s[0:1]
	s_cbranch_execz .LBB496_28
; %bb.27:
	v_lshrrev_b32_e32 v0, 4, v0
	v_add_f32_e32 v15, v15, v16
	v_and_b32_e32 v0, 60, v0
	ds_write_b32 v0, v15
.LBB496_28:
	s_or_b64 exec, exec, s[2:3]
	s_waitcnt lgkmcnt(0)
	s_barrier
	ds_read_b32 v0, v14
	s_waitcnt lgkmcnt(0)
	s_nop 0
	v_mov_b32_dpp v14, v0 quad_perm:[1,0,3,2] row_mask:0xf bank_mask:0xf
	v_add_f32_e32 v0, v0, v14
	s_nop 1
	v_mov_b32_dpp v14, v0 quad_perm:[2,3,0,1] row_mask:0xf bank_mask:0xf
	s_and_saveexec_b64 s[0:1], vcc
	s_cbranch_execz .LBB496_10
; %bb.29:
	v_cvt_f32_u32_e32 v15, s20
	v_add_f32_e32 v0, v0, v14
	s_mov_b32 s15, 0x20000
	v_div_scale_f32 v14, s[0:1], v15, v15, v0
	v_rcp_f32_e32 v16, v14
	v_div_scale_f32 v17, vcc, v0, v15, v0
	s_mov_b32 s0, 0x800000
	v_fma_f32 v18, -v14, v16, 1.0
	v_fmac_f32_e32 v16, v18, v16
	v_mul_f32_e32 v18, v17, v16
	v_fma_f32 v19, -v14, v18, v17
	v_fmac_f32_e32 v18, v19, v16
	v_fma_f32 v14, -v14, v18, v17
	v_div_fmas_f32 v14, v14, v16, v18
	v_div_fixup_f32 v0, v14, v15, v0
	v_add_f32_e32 v0, s17, v0
	v_mul_f32_e32 v14, 0x4b800000, v0
	v_cmp_gt_f32_e32 vcc, s0, v0
	v_cndmask_b32_e32 v0, v0, v14, vcc
	v_rsq_f32_e32 v0, v0
	s_mul_hi_i32 s1, s7, s6
	s_mul_i32 s0, s7, s6
	s_lshl_b64 s[0:1], s[0:1], 1
	v_mul_f32_e32 v14, 0x45800000, v0
	v_cndmask_b32_e32 v14, v0, v14, vcc
	s_add_u32 s12, s28, s0
	v_mov_b32_e32 v15, v14
	s_addc_u32 s0, s29, s1
	;;#ASMSTART
	v_pk_mul_f32 v[12:13], v[12:13], v[14:15]
	;;#ASMEND
	;;#ASMSTART
	v_pk_mul_f32 v[10:11], v[10:11], v[14:15]
	;;#ASMEND
	;; [unrolled: 3-line block ×4, first 2 shown]
	s_waitcnt vmcnt(0)
	v_cvt_f32_u32_sdwa v15, v2 dst_sel:DWORD dst_unused:UNUSED_PAD src0_sel:WORD_1
	v_cvt_f32_u32_sdwa v14, v2 dst_sel:DWORD dst_unused:UNUSED_PAD src0_sel:WORD_0
	v_cvt_f32_u32_sdwa v17, v3 dst_sel:DWORD dst_unused:UNUSED_PAD src0_sel:WORD_1
	v_cvt_f32_u32_sdwa v16, v3 dst_sel:DWORD dst_unused:UNUSED_PAD src0_sel:WORD_0
	;; [unrolled: 2-line block ×4, first 2 shown]
	;;#ASMSTART
	v_pk_mul_f32 v[4:5], v[12:13], v[14:15]
	;;#ASMEND
	s_and_b32 s13, s0, 0xffff
	s_mov_b32 s0, 0x7060302
	;;#ASMSTART
	v_pk_mul_f32 v[10:11], v[10:11], v[16:17]
	;;#ASMEND
	;;#ASMSTART
	v_pk_mul_f32 v[8:9], v[8:9], v[2:3]
	;;#ASMEND
	;; [unrolled: 3-line block ×3, first 2 shown]
	v_perm_b32 v2, v5, v4, s0
	v_perm_b32 v3, v11, v10, s0
	v_perm_b32 v4, v9, v8, s0
	v_perm_b32 v5, v7, v6, s0
	buffer_store_dwordx4 v[2:5], v1, s[12:15], 0 offen
	;;#ASMSTART
	s_nop 0
	;;#ASMEND
	s_endpgm
	.section	.rodata,"a",@progbits
	.p2align	6, 0x0
	.amdhsa_kernel _ZN5aiter35fused_qk_rmsnorm_group_quant_kernelItN4opus5fp4_tELi256ELi8ELi16ELb0ELb1ELb0ELb0ELb0ELb0EEEvPT0_PvPT_S7_S7_PKS6_S9_S9_S9_S9_ffiiiiiiiiiiiii
		.amdhsa_group_segment_fixed_size 32
		.amdhsa_private_segment_fixed_size 0
		.amdhsa_kernarg_size 400
		.amdhsa_user_sgpr_count 6
		.amdhsa_user_sgpr_private_segment_buffer 1
		.amdhsa_user_sgpr_dispatch_ptr 0
		.amdhsa_user_sgpr_queue_ptr 0
		.amdhsa_user_sgpr_kernarg_segment_ptr 1
		.amdhsa_user_sgpr_dispatch_id 0
		.amdhsa_user_sgpr_flat_scratch_init 0
		.amdhsa_user_sgpr_kernarg_preload_length 0
		.amdhsa_user_sgpr_kernarg_preload_offset 0
		.amdhsa_user_sgpr_private_segment_size 0
		.amdhsa_uses_dynamic_stack 0
		.amdhsa_system_sgpr_private_segment_wavefront_offset 0
		.amdhsa_system_sgpr_workgroup_id_x 1
		.amdhsa_system_sgpr_workgroup_id_y 1
		.amdhsa_system_sgpr_workgroup_id_z 0
		.amdhsa_system_sgpr_workgroup_info 0
		.amdhsa_system_vgpr_workitem_id 0
		.amdhsa_next_free_vgpr 23
		.amdhsa_next_free_sgpr 36
		.amdhsa_accum_offset 24
		.amdhsa_reserve_vcc 1
		.amdhsa_reserve_flat_scratch 0
		.amdhsa_float_round_mode_32 0
		.amdhsa_float_round_mode_16_64 0
		.amdhsa_float_denorm_mode_32 3
		.amdhsa_float_denorm_mode_16_64 3
		.amdhsa_dx10_clamp 1
		.amdhsa_ieee_mode 1
		.amdhsa_fp16_overflow 0
		.amdhsa_tg_split 0
		.amdhsa_exception_fp_ieee_invalid_op 0
		.amdhsa_exception_fp_denorm_src 0
		.amdhsa_exception_fp_ieee_div_zero 0
		.amdhsa_exception_fp_ieee_overflow 0
		.amdhsa_exception_fp_ieee_underflow 0
		.amdhsa_exception_fp_ieee_inexact 0
		.amdhsa_exception_int_div_zero 0
	.end_amdhsa_kernel
	.section	.text._ZN5aiter35fused_qk_rmsnorm_group_quant_kernelItN4opus5fp4_tELi256ELi8ELi16ELb0ELb1ELb0ELb0ELb0ELb0EEEvPT0_PvPT_S7_S7_PKS6_S9_S9_S9_S9_ffiiiiiiiiiiiii,"axG",@progbits,_ZN5aiter35fused_qk_rmsnorm_group_quant_kernelItN4opus5fp4_tELi256ELi8ELi16ELb0ELb1ELb0ELb0ELb0ELb0EEEvPT0_PvPT_S7_S7_PKS6_S9_S9_S9_S9_ffiiiiiiiiiiiii,comdat
.Lfunc_end496:
	.size	_ZN5aiter35fused_qk_rmsnorm_group_quant_kernelItN4opus5fp4_tELi256ELi8ELi16ELb0ELb1ELb0ELb0ELb0ELb0EEEvPT0_PvPT_S7_S7_PKS6_S9_S9_S9_S9_ffiiiiiiiiiiiii, .Lfunc_end496-_ZN5aiter35fused_qk_rmsnorm_group_quant_kernelItN4opus5fp4_tELi256ELi8ELi16ELb0ELb1ELb0ELb0ELb0ELb0EEEvPT0_PvPT_S7_S7_PKS6_S9_S9_S9_S9_ffiiiiiiiiiiiii
                                        ; -- End function
	.section	.AMDGPU.csdata,"",@progbits
; Kernel info:
; codeLenInByte = 2444
; NumSgprs: 40
; NumVgprs: 23
; NumAgprs: 0
; TotalNumVgprs: 23
; ScratchSize: 0
; MemoryBound: 0
; FloatMode: 240
; IeeeMode: 1
; LDSByteSize: 32 bytes/workgroup (compile time only)
; SGPRBlocks: 4
; VGPRBlocks: 2
; NumSGPRsForWavesPerEU: 40
; NumVGPRsForWavesPerEU: 23
; AccumOffset: 24
; Occupancy: 8
; WaveLimiterHint : 0
; COMPUTE_PGM_RSRC2:SCRATCH_EN: 0
; COMPUTE_PGM_RSRC2:USER_SGPR: 6
; COMPUTE_PGM_RSRC2:TRAP_HANDLER: 0
; COMPUTE_PGM_RSRC2:TGID_X_EN: 1
; COMPUTE_PGM_RSRC2:TGID_Y_EN: 1
; COMPUTE_PGM_RSRC2:TGID_Z_EN: 0
; COMPUTE_PGM_RSRC2:TIDIG_COMP_CNT: 0
; COMPUTE_PGM_RSRC3_GFX90A:ACCUM_OFFSET: 5
; COMPUTE_PGM_RSRC3_GFX90A:TG_SPLIT: 0
	.section	.text._ZN5aiter35fused_qk_rmsnorm_group_quant_kernelIDF16_DB8_Li256ELi8ELi16ELb0ELb0ELb1ELb0ELb0ELb0EEEvPT0_PvPT_S6_S6_PKS5_S8_S8_S8_S8_ffiiiiiiiiiiiii,"axG",@progbits,_ZN5aiter35fused_qk_rmsnorm_group_quant_kernelIDF16_DB8_Li256ELi8ELi16ELb0ELb0ELb1ELb0ELb0ELb0EEEvPT0_PvPT_S6_S6_PKS5_S8_S8_S8_S8_ffiiiiiiiiiiiii,comdat
	.protected	_ZN5aiter35fused_qk_rmsnorm_group_quant_kernelIDF16_DB8_Li256ELi8ELi16ELb0ELb0ELb1ELb0ELb0ELb0EEEvPT0_PvPT_S6_S6_PKS5_S8_S8_S8_S8_ffiiiiiiiiiiiii ; -- Begin function _ZN5aiter35fused_qk_rmsnorm_group_quant_kernelIDF16_DB8_Li256ELi8ELi16ELb0ELb0ELb1ELb0ELb0ELb0EEEvPT0_PvPT_S6_S6_PKS5_S8_S8_S8_S8_ffiiiiiiiiiiiii
	.globl	_ZN5aiter35fused_qk_rmsnorm_group_quant_kernelIDF16_DB8_Li256ELi8ELi16ELb0ELb0ELb1ELb0ELb0ELb0EEEvPT0_PvPT_S6_S6_PKS5_S8_S8_S8_S8_ffiiiiiiiiiiiii
	.p2align	8
	.type	_ZN5aiter35fused_qk_rmsnorm_group_quant_kernelIDF16_DB8_Li256ELi8ELi16ELb0ELb0ELb1ELb0ELb0ELb0EEEvPT0_PvPT_S6_S6_PKS5_S8_S8_S8_S8_ffiiiiiiiiiiiii,@function
_ZN5aiter35fused_qk_rmsnorm_group_quant_kernelIDF16_DB8_Li256ELi8ELi16ELb0ELb0ELb1ELb0ELb0ELb0EEEvPT0_PvPT_S6_S6_PKS5_S8_S8_S8_S8_ffiiiiiiiiiiiii: ; @_ZN5aiter35fused_qk_rmsnorm_group_quant_kernelIDF16_DB8_Li256ELi8ELi16ELb0ELb0ELb1ELb0ELb0ELb0EEEvPT0_PvPT_S6_S6_PKS5_S8_S8_S8_S8_ffiiiiiiiiiiiii
; %bb.0:
	s_load_dwordx4 s[16:19], s[4:5], 0x50
	s_waitcnt lgkmcnt(0)
	s_cmp_ge_i32 s6, s18
	s_cbranch_scc1 .LBB497_12
; %bb.1:
	s_load_dwordx2 s[12:13], s[4:5], 0x48
	s_load_dwordx2 s[30:31], s[4:5], 0x30
	s_load_dwordx4 s[20:23], s[4:5], 0x60
	s_cmp_lg_u32 s7, 0
	s_cselect_b64 s[14:15], -1, 0
	s_cmp_eq_u32 s7, 0
	s_cselect_b64 vcc, -1, 0
	s_and_b64 s[0:1], vcc, exec
	s_waitcnt lgkmcnt(0)
	s_cselect_b32 s7, s19, s20
	s_add_i32 s0, s7, 1
	s_lshr_b32 s1, s0, 31
	s_add_i32 s0, s0, s1
	s_lshl_b32 s0, s0, 1
	v_lshlrev_b32_e32 v1, 3, v0
	s_and_b32 s10, s0, -4
	v_cmp_gt_i32_e64 s[2:3], s7, v1
	v_mov_b32_e32 v10, 0
	v_mov_b32_e32 v2, 0
	;; [unrolled: 1-line block ×9, first 2 shown]
	s_and_saveexec_b64 s[0:1], s[2:3]
	s_cbranch_execz .LBB497_3
; %bb.2:
	s_load_dwordx2 s[8:9], s[4:5], 0x28
	s_load_dwordx2 s[26:27], s[4:5], 0x40
	s_and_b64 s[24:25], vcc, exec
	s_cselect_b32 s11, s21, s22
	v_lshlrev_b32_e32 v11, 4, v0
	s_waitcnt lgkmcnt(0)
	s_cselect_b32 s18, s9, s31
	s_cselect_b32 s21, s8, s30
	s_mul_hi_i32 s9, s11, s6
	s_mul_i32 s8, s11, s6
	s_lshl_b64 s[8:9], s[8:9], 1
	s_add_u32 s24, s21, s8
	s_addc_u32 s18, s18, s9
	s_and_b64 s[8:9], vcc, exec
	s_mov_b32 s11, 0x20000
	s_cselect_b32 s8, s26, s12
	s_cselect_b32 s9, s27, s13
	s_and_b32 s25, s18, 0xffff
	s_mov_b32 s26, s10
	s_mov_b32 s27, s11
	s_and_b32 s9, s9, 0xffff
	buffer_load_dwordx4 v[6:9], v11, s[24:27], 0 offen glc slc
	buffer_load_dwordx4 v[2:5], v11, s[8:11], 0 offen
.LBB497_3:
	s_or_b64 exec, exec, s[0:1]
	v_mov_b32_e32 v11, 0
	v_mov_b32_e32 v16, 0
	;; [unrolled: 1-line block ×7, first 2 shown]
	s_and_saveexec_b64 s[0:1], s[2:3]
	s_cbranch_execz .LBB497_5
; %bb.4:
	s_waitcnt vmcnt(1)
	v_cvt_f32_f16_sdwa v11, v6 dst_sel:DWORD dst_unused:UNUSED_PAD src0_sel:WORD_1
	v_cvt_f32_f16_e32 v10, v6
	v_cvt_f32_f16_sdwa v17, v7 dst_sel:DWORD dst_unused:UNUSED_PAD src0_sel:WORD_1
	v_cvt_f32_f16_e32 v16, v7
	;; [unrolled: 2-line block ×4, first 2 shown]
.LBB497_5:
	s_or_b64 exec, exec, s[0:1]
	s_waitcnt vmcnt(1)
	v_mul_f32_e32 v6, v11, v11
	v_fmac_f32_e32 v6, v10, v10
	v_fmac_f32_e32 v6, v16, v16
	;; [unrolled: 1-line block ×7, first 2 shown]
	v_and_b32_e32 v8, 63, v0
	v_cmp_eq_u32_e64 s[0:1], 63, v8
	v_mov_b32_dpp v7, v6 quad_perm:[1,0,3,2] row_mask:0xf bank_mask:0xf
	v_add_f32_e32 v6, v6, v7
	s_nop 1
	v_mov_b32_dpp v7, v6 quad_perm:[2,3,0,1] row_mask:0xf bank_mask:0xf
	v_add_f32_e32 v6, v6, v7
	s_nop 1
	v_mov_b32_dpp v7, v6 row_half_mirror row_mask:0xf bank_mask:0xf
	v_add_f32_e32 v6, v6, v7
	s_nop 1
	v_mov_b32_dpp v7, v6 row_mirror row_mask:0xf bank_mask:0xf
	v_add_f32_e32 v6, v6, v7
	s_nop 1
	v_mov_b32_dpp v7, v6 row_bcast:15 row_mask:0xf bank_mask:0xf
	v_add_f32_e32 v6, v6, v7
	s_nop 1
	v_mov_b32_dpp v7, v6 row_bcast:31 row_mask:0xf bank_mask:0xf
	s_and_saveexec_b64 s[8:9], s[0:1]
	s_cbranch_execz .LBB497_7
; %bb.6:
	v_add_f32_e32 v6, v6, v7
	v_lshrrev_b32_e32 v7, 4, v0
	v_and_b32_e32 v7, 60, v7
	ds_write_b32 v7, v6 offset:16
.LBB497_7:
	s_or_b64 exec, exec, s[8:9]
	v_and_b32_e32 v6, 3, v0
	v_lshlrev_b32_e32 v18, 2, v6
	s_waitcnt lgkmcnt(0)
	s_barrier
	ds_read_b32 v6, v18 offset:16
	s_load_dwordx2 s[28:29], s[4:5], 0x18
	s_waitcnt lgkmcnt(0)
	v_mov_b32_dpp v7, v6 quad_perm:[1,0,3,2] row_mask:0xf bank_mask:0xf
	v_add_f32_e32 v6, v6, v7
	s_nop 1
	v_mov_b32_dpp v7, v6 quad_perm:[2,3,0,1] row_mask:0xf bank_mask:0xf
	s_and_saveexec_b64 s[8:9], s[2:3]
	s_cbranch_execz .LBB497_9
; %bb.8:
	v_cvt_f32_u32_e32 v8, s7
	v_add_f32_e32 v6, v6, v7
	v_mov_b32_e32 v19, s17
	v_mov_b32_e32 v20, s16
	v_div_scale_f32 v7, s[24:25], v8, v8, v6
	v_rcp_f32_e32 v9, v7
	v_cndmask_b32_e32 v19, v19, v20, vcc
	s_mov_b32 s7, 0x800000
	v_fma_f32 v20, -v7, v9, 1.0
	v_fmac_f32_e32 v9, v20, v9
	v_div_scale_f32 v20, vcc, v6, v8, v6
	v_mul_f32_e32 v21, v20, v9
	v_fma_f32 v22, -v7, v21, v20
	v_fmac_f32_e32 v21, v22, v9
	v_fma_f32 v7, -v7, v21, v20
	v_div_fmas_f32 v7, v7, v9, v21
	v_div_fixup_f32 v6, v7, v8, v6
	v_add_f32_e32 v6, v19, v6
	v_mul_f32_e32 v7, 0x4b800000, v6
	v_cmp_gt_f32_e32 vcc, s7, v6
	v_cndmask_b32_e32 v6, v6, v7, vcc
	v_rsq_f32_e32 v6, v6
	s_waitcnt vmcnt(0)
	v_cvt_f32_f16_sdwa v21, v3 dst_sel:DWORD dst_unused:UNUSED_PAD src0_sel:WORD_1
	v_cvt_f32_f16_e32 v20, v3
	v_mul_f32_e32 v7, 0x45800000, v6
	v_cndmask_b32_e32 v6, v6, v7, vcc
	v_mov_b32_e32 v7, v6
	;;#ASMSTART
	v_pk_mul_f32 v[8:9], v[10:11], v[6:7]
	;;#ASMEND
	v_cvt_f32_f16_sdwa v11, v2 dst_sel:DWORD dst_unused:UNUSED_PAD src0_sel:WORD_1
	v_cvt_f32_f16_e32 v10, v2
	;;#ASMSTART
	v_pk_mul_f32 v[16:17], v[16:17], v[6:7]
	;;#ASMEND
	;;#ASMSTART
	v_pk_mul_f32 v[14:15], v[14:15], v[6:7]
	;;#ASMEND
	;; [unrolled: 3-line block ×3, first 2 shown]
	v_pk_add_f32 v[6:7], v[10:11], 1.0 op_sel_hi:[1,0]
	;;#ASMSTART
	v_pk_mul_f32 v[10:11], v[8:9], v[6:7]
	;;#ASMEND
	v_cvt_f32_f16_sdwa v9, v4 dst_sel:DWORD dst_unused:UNUSED_PAD src0_sel:WORD_1
	v_cvt_f32_f16_e32 v8, v4
	v_cvt_f32_f16_sdwa v13, v5 dst_sel:DWORD dst_unused:UNUSED_PAD src0_sel:WORD_1
	v_cvt_f32_f16_e32 v12, v5
	v_pk_add_f32 v[6:7], v[20:21], 1.0 op_sel_hi:[1,0]
	v_pk_add_f32 v[4:5], v[8:9], 1.0 op_sel_hi:[1,0]
	;;#ASMSTART
	v_pk_mul_f32 v[16:17], v[16:17], v[6:7]
	;;#ASMEND
	;;#ASMSTART
	v_pk_mul_f32 v[14:15], v[14:15], v[4:5]
	;;#ASMEND
	v_pk_add_f32 v[4:5], v[12:13], 1.0 op_sel_hi:[1,0]
	;;#ASMSTART
	v_pk_mul_f32 v[12:13], v[2:3], v[4:5]
	;;#ASMEND
.LBB497_9:
	s_or_b64 exec, exec, s[8:9]
	s_load_dword s7, s[4:5], 0x80
	s_mov_b64 s[8:9], -1
	s_and_b64 vcc, exec, s[14:15]
	s_cbranch_vccnz .LBB497_13
; %bb.10:
	s_andn2_b64 vcc, exec, s[8:9]
	s_cbranch_vccz .LBB497_16
.LBB497_11:
	s_cmp_lt_i32 s20, 1
	s_cbranch_scc0 .LBB497_23
.LBB497_12:
	s_endpgm
.LBB497_13:
	s_and_saveexec_b64 s[14:15], s[2:3]
	s_cbranch_execz .LBB497_15
; %bb.14:
	s_waitcnt lgkmcnt(0)
	s_mul_hi_i32 s9, s7, s6
	s_mul_i32 s8, s7, s6
	s_waitcnt vmcnt(0)
	v_cvt_f16_f32_e32 v2, v10
	v_cvt_f16_f32_e32 v3, v16
	;; [unrolled: 1-line block ×8, first 2 shown]
	s_lshl_b64 s[8:9], s[8:9], 1
	s_add_u32 s8, s28, s8
	s_addc_u32 s9, s29, s9
	s_and_b32 s9, s9, 0xffff
	s_mov_b32 s11, 0x20000
	v_pack_b32_f16 v5, v5, v6
	v_pack_b32_f16 v4, v4, v7
	;; [unrolled: 1-line block ×4, first 2 shown]
	v_lshlrev_b32_e32 v6, 4, v0
	buffer_store_dwordx4 v[2:5], v6, s[8:11], 0 offen
	;;#ASMSTART
	s_nop 0
	;;#ASMEND
.LBB497_15:
	s_or_b64 exec, exec, s[14:15]
	s_cbranch_execnz .LBB497_11
.LBB497_16:
	s_waitcnt vmcnt(0)
	v_mov_b32_e32 v2, 0
	s_and_saveexec_b64 s[8:9], s[2:3]
	s_cbranch_execz .LBB497_18
; %bb.17:
	v_and_b32_e32 v2, 0x7fffffff, v10
	v_and_b32_e32 v3, 0x7fffffff, v11
	v_mov_b32_e32 v4, 0x2edbe6ff
	;;#ASMSTART
	v_max3_f32 v2, v4, v2, v3

	;;#ASMEND
	v_and_b32_e32 v3, 0x7fffffff, v16
	v_and_b32_e32 v4, 0x7fffffff, v17
	;;#ASMSTART
	v_max3_f32 v2, v2, v3, v4

	;;#ASMEND
	v_and_b32_e32 v3, 0x7fffffff, v14
	v_and_b32_e32 v4, 0x7fffffff, v15
	;; [unrolled: 6-line block ×3, first 2 shown]
	;;#ASMSTART
	v_max3_f32 v2, v2, v3, v4

	;;#ASMEND
.LBB497_18:
	s_or_b64 exec, exec, s[8:9]
	s_load_dwordx4 s[24:27], s[4:5], 0x70
	;;#ASMSTART
	v_max_f32 v3, v2, v2 quad_perm:[1,0,3,2] row_mask:0xf bank_mask:0xf bound_ctrl:1
	;;#ASMEND
	;;#ASMSTART
	v_max_f32 v2, v3, v3 quad_perm:[2,3,0,1] row_mask:0xf bank_mask:0xf bound_ctrl:1
	;;#ASMEND
	;;#ASMSTART
	v_max_f32 v3, v2, v2 row_half_mirror row_mask:0xf bank_mask:0xf bound_ctrl:1
	;;#ASMEND
	;;#ASMSTART
	v_max_f32 v2, v3, v3 row_mirror row_mask:0xf bank_mask:0xf bound_ctrl:1
	;;#ASMEND
	v_and_b32_e32 v3, 15, v0
	v_cmp_eq_u32_e32 vcc, 0, v3
	v_cmp_gt_i32_e64 s[8:9], s19, v1
	v_mul_f32_e32 v2, 0x3b124925, v2
	s_and_b64 s[10:11], vcc, s[8:9]
	s_and_saveexec_b64 s[8:9], s[10:11]
	s_cbranch_execz .LBB497_20
; %bb.19:
	s_load_dwordx2 s[10:11], s[4:5], 0x8
	s_waitcnt lgkmcnt(0)
	s_mul_hi_i32 s15, s25, s6
	s_mul_i32 s14, s25, s6
	v_lshrrev_b32_e32 v3, 4, v0
	s_lshl_b64 s[14:15], s[14:15], 2
	v_mad_i64_i32 v[4:5], s[26:27], s26, v3, 0
	s_add_u32 s10, s10, s14
	s_addc_u32 s11, s11, s15
	v_lshlrev_b64 v[4:5], 2, v[4:5]
	v_mov_b32_e32 v3, s11
	v_add_co_u32_e32 v4, vcc, s10, v4
	v_addc_co_u32_e32 v5, vcc, v3, v5, vcc
	global_store_dword v[4:5], v2, off
.LBB497_20:
	s_or_b64 exec, exec, s[8:9]
	;;#ASMSTART
	v_rcp_f32 v2, v2
	;;#ASMEND
	s_and_saveexec_b64 s[14:15], s[2:3]
	s_cbranch_execz .LBB497_22
; %bb.21:
	s_load_dwordx2 s[2:3], s[4:5], 0x0
	s_waitcnt lgkmcnt(0)
	s_mul_i32 s8, s24, s6
	s_mul_hi_i32 s9, s24, s6
	v_mov_b32_e32 v3, v2
	;;#ASMSTART
	v_pk_mul_f32 v[4:5], v[10:11], v[2:3]
	;;#ASMEND
	s_add_u32 s8, s2, s8
	s_addc_u32 s2, s3, s9
	s_add_i32 s3, s19, 3
	s_ashr_i32 s9, s3, 31
	v_mov_b32_e32 v8, 0xc3e00000
	v_mov_b32_e32 v9, 0x43e00000
	;;#ASMSTART
	v_med3_f32 v4, v4, v8, v9
v_med3_f32 v5, v5, v8, v9
v_cvt_pk_fp8_f32 v6, v4, v5
	;;#ASMEND
	s_lshr_b32 s9, s9, 30
	;;#ASMSTART
	v_pk_mul_f32 v[4:5], v[16:17], v[2:3]
	;;#ASMEND
	s_add_i32 s3, s3, s9
	s_and_b32 s9, s2, 0xffff
	;;#ASMSTART
	v_med3_f32 v4, v4, v8, v9
v_med3_f32 v5, v5, v8, v9
v_cvt_pk_fp8_f32 v7, v4, v5
	;;#ASMEND
	s_mov_b32 s2, 0x5040100
	v_perm_b32 v5, v7, v6, s2
	s_movk_i32 s2, 0xff
	v_and_b32_e32 v4, 0xffffff00, v7
	v_and_b32_sdwa v6, v5, s2 dst_sel:DWORD dst_unused:UNUSED_PAD src0_sel:WORD_1 src1_sel:DWORD
	s_mov_b32 s16, 0xffff
	v_or_b32_sdwa v4, v6, v4 dst_sel:WORD_1 dst_unused:UNUSED_PAD src0_sel:DWORD src1_sel:DWORD
	v_and_or_b32 v4, v5, s16, v4
	;;#ASMSTART
	v_pk_mul_f32 v[6:7], v[14:15], v[2:3]
	;;#ASMEND
	v_mov_b32_e32 v5, v6
	;;#ASMSTART
	v_med3_f32 v5, v5, v8, v9
v_med3_f32 v7, v7, v8, v9
v_cvt_pk_fp8_f32 v6, v5, v7
	;;#ASMEND
	;;#ASMSTART
	v_pk_mul_f32 v[2:3], v[12:13], v[2:3]
	;;#ASMEND
	;;#ASMSTART
	v_med3_f32 v2, v2, v8, v9
v_med3_f32 v3, v3, v8, v9
v_cvt_pk_fp8_f32 v5, v2, v3
	;;#ASMEND
	v_lshlrev_b32_e32 v2, 16, v5
	s_and_b32 s10, s3, -4
	s_mov_b32 s11, 0x20000
	v_and_or_b32 v5, v6, s16, v2
	buffer_store_dwordx2 v[4:5], v1, s[8:11], 0 offen
	;;#ASMSTART
	s_nop 0
	;;#ASMEND
.LBB497_22:
	s_or_b64 exec, exec, s[14:15]
	s_cmp_lt_i32 s20, 1
	s_cbranch_scc1 .LBB497_12
.LBB497_23:
	s_load_dword s2, s[4:5], 0x94
	s_waitcnt lgkmcnt(0)
	s_cmp_lg_u32 s2, 1
	s_cbranch_scc1 .LBB497_12
; %bb.24:
	s_lshl_b32 s2, s20, 1
	s_add_i32 s2, s2, 2
	v_cmp_gt_u32_e32 vcc, s20, v1
	s_and_b32 s14, s2, -4
	v_mov_b32_e32 v10, 0
	v_lshlrev_b32_e32 v1, 4, v0
	v_mov_b32_e32 v6, 0
	v_mov_b32_e32 v7, 0
	v_mov_b32_e32 v8, 0
	v_mov_b32_e32 v9, 0
	s_waitcnt vmcnt(0)
	v_mov_b32_e32 v2, 0
	v_mov_b32_e32 v3, 0
	;; [unrolled: 1-line block ×4, first 2 shown]
	s_barrier
	s_and_saveexec_b64 s[2:3], vcc
	s_cbranch_execz .LBB497_26
; %bb.25:
	s_mul_hi_i32 s5, s22, s6
	s_mul_i32 s4, s22, s6
	s_and_b32 s13, s13, 0xffff
	s_lshl_b64 s[4:5], s[4:5], 1
	s_add_u32 s8, s30, s4
	s_mov_b32 s15, 0x20000
	s_addc_u32 s4, s31, s5
	s_and_b32 s9, s4, 0xffff
	s_mov_b32 s10, s14
	s_mov_b32 s11, s15
	buffer_load_dwordx4 v[6:9], v1, s[8:11], 0 offen glc slc
	buffer_load_dwordx4 v[2:5], v1, s[12:15], 0 offen
.LBB497_26:
	s_or_b64 exec, exec, s[2:3]
	v_mov_b32_e32 v11, 0
	v_mov_b32_e32 v16, 0
	;; [unrolled: 1-line block ×7, first 2 shown]
	s_and_saveexec_b64 s[2:3], vcc
	s_cbranch_execz .LBB497_28
; %bb.27:
	s_waitcnt vmcnt(1)
	v_cvt_f32_f16_sdwa v11, v6 dst_sel:DWORD dst_unused:UNUSED_PAD src0_sel:WORD_1
	v_cvt_f32_f16_e32 v10, v6
	v_cvt_f32_f16_sdwa v17, v7 dst_sel:DWORD dst_unused:UNUSED_PAD src0_sel:WORD_1
	v_cvt_f32_f16_e32 v16, v7
	;; [unrolled: 2-line block ×4, first 2 shown]
.LBB497_28:
	s_or_b64 exec, exec, s[2:3]
	s_waitcnt vmcnt(1)
	v_mul_f32_e32 v6, v11, v11
	v_fmac_f32_e32 v6, v10, v10
	v_fmac_f32_e32 v6, v16, v16
	;; [unrolled: 1-line block ×7, first 2 shown]
	s_nop 1
	v_mov_b32_dpp v7, v6 quad_perm:[1,0,3,2] row_mask:0xf bank_mask:0xf
	v_add_f32_e32 v6, v6, v7
	s_nop 1
	v_mov_b32_dpp v7, v6 quad_perm:[2,3,0,1] row_mask:0xf bank_mask:0xf
	v_add_f32_e32 v6, v6, v7
	s_nop 1
	v_mov_b32_dpp v7, v6 row_half_mirror row_mask:0xf bank_mask:0xf
	v_add_f32_e32 v6, v6, v7
	s_nop 1
	v_mov_b32_dpp v7, v6 row_mirror row_mask:0xf bank_mask:0xf
	v_add_f32_e32 v6, v6, v7
	s_nop 1
	v_mov_b32_dpp v7, v6 row_bcast:15 row_mask:0xf bank_mask:0xf
	v_add_f32_e32 v6, v6, v7
	s_nop 1
	v_mov_b32_dpp v7, v6 row_bcast:31 row_mask:0xf bank_mask:0xf
	s_and_saveexec_b64 s[2:3], s[0:1]
	s_cbranch_execz .LBB497_30
; %bb.29:
	v_lshrrev_b32_e32 v0, 4, v0
	v_add_f32_e32 v6, v6, v7
	v_and_b32_e32 v0, 60, v0
	ds_write_b32 v0, v6
.LBB497_30:
	s_or_b64 exec, exec, s[2:3]
	s_waitcnt lgkmcnt(0)
	s_barrier
	ds_read_b32 v0, v18
	s_waitcnt lgkmcnt(0)
	s_nop 0
	v_mov_b32_dpp v6, v0 quad_perm:[1,0,3,2] row_mask:0xf bank_mask:0xf
	v_add_f32_e32 v0, v0, v6
	s_nop 1
	v_mov_b32_dpp v6, v0 quad_perm:[2,3,0,1] row_mask:0xf bank_mask:0xf
	s_and_saveexec_b64 s[0:1], vcc
	s_cbranch_execz .LBB497_12
; %bb.31:
	v_cvt_f32_u32_e32 v7, s20
	v_add_f32_e32 v0, v0, v6
	s_mov_b32 s15, 0x20000
	v_div_scale_f32 v6, s[0:1], v7, v7, v0
	v_rcp_f32_e32 v8, v6
	v_div_scale_f32 v9, vcc, v0, v7, v0
	s_mov_b32 s0, 0x800000
	v_fma_f32 v18, -v6, v8, 1.0
	v_fmac_f32_e32 v8, v18, v8
	v_mul_f32_e32 v18, v9, v8
	v_fma_f32 v19, -v6, v18, v9
	v_fmac_f32_e32 v18, v19, v8
	v_fma_f32 v6, -v6, v18, v9
	v_div_fmas_f32 v6, v6, v8, v18
	v_div_fixup_f32 v0, v6, v7, v0
	v_add_f32_e32 v0, s17, v0
	v_mul_f32_e32 v6, 0x4b800000, v0
	v_cmp_gt_f32_e32 vcc, s0, v0
	v_cndmask_b32_e32 v0, v0, v6, vcc
	v_rsq_f32_e32 v0, v0
	s_waitcnt vmcnt(0)
	v_cvt_f32_f16_sdwa v19, v3 dst_sel:DWORD dst_unused:UNUSED_PAD src0_sel:WORD_1
	v_cvt_f32_f16_e32 v18, v3
	s_mul_hi_i32 s1, s7, s6
	v_mul_f32_e32 v6, 0x45800000, v0
	v_cndmask_b32_e32 v6, v0, v6, vcc
	v_mov_b32_e32 v7, v6
	;;#ASMSTART
	v_pk_mul_f32 v[8:9], v[10:11], v[6:7]
	;;#ASMEND
	;;#ASMSTART
	v_pk_mul_f32 v[10:11], v[16:17], v[6:7]
	;;#ASMEND
	v_cvt_f32_f16_sdwa v17, v2 dst_sel:DWORD dst_unused:UNUSED_PAD src0_sel:WORD_1
	v_cvt_f32_f16_e32 v16, v2
	;;#ASMSTART
	v_pk_mul_f32 v[14:15], v[14:15], v[6:7]
	;;#ASMEND
	;;#ASMSTART
	v_pk_mul_f32 v[2:3], v[12:13], v[6:7]
	;;#ASMEND
	v_cvt_f32_f16_sdwa v13, v4 dst_sel:DWORD dst_unused:UNUSED_PAD src0_sel:WORD_1
	v_cvt_f32_f16_e32 v12, v4
	v_pk_add_f32 v[6:7], v[16:17], 1.0 op_sel_hi:[1,0]
	v_cvt_f32_f16_sdwa v17, v5 dst_sel:DWORD dst_unused:UNUSED_PAD src0_sel:WORD_1
	v_cvt_f32_f16_e32 v16, v5
	;;#ASMSTART
	v_pk_mul_f32 v[6:7], v[8:9], v[6:7]
	;;#ASMEND
	v_pk_add_f32 v[8:9], v[18:19], 1.0 op_sel_hi:[1,0]
	;;#ASMSTART
	v_pk_mul_f32 v[4:5], v[10:11], v[8:9]
	;;#ASMEND
	v_pk_add_f32 v[8:9], v[12:13], 1.0 op_sel_hi:[1,0]
	;; [unrolled: 4-line block ×3, first 2 shown]
	;;#ASMSTART
	v_pk_mul_f32 v[2:3], v[2:3], v[10:11]
	;;#ASMEND
	s_mul_i32 s0, s7, s6
	v_cvt_f16_f32_e32 v0, v6
	v_cvt_f16_f32_e32 v6, v7
	;; [unrolled: 1-line block ×8, first 2 shown]
	s_lshl_b64 s[0:1], s[0:1], 1
	s_add_u32 s12, s28, s0
	s_addc_u32 s0, s29, s1
	s_and_b32 s13, s0, 0xffff
	v_pack_b32_f16 v2, v0, v6
	v_pack_b32_f16 v3, v4, v5
	;; [unrolled: 1-line block ×4, first 2 shown]
	buffer_store_dwordx4 v[2:5], v1, s[12:15], 0 offen
	;;#ASMSTART
	s_nop 0
	;;#ASMEND
	s_endpgm
	.section	.rodata,"a",@progbits
	.p2align	6, 0x0
	.amdhsa_kernel _ZN5aiter35fused_qk_rmsnorm_group_quant_kernelIDF16_DB8_Li256ELi8ELi16ELb0ELb0ELb1ELb0ELb0ELb0EEEvPT0_PvPT_S6_S6_PKS5_S8_S8_S8_S8_ffiiiiiiiiiiiii
		.amdhsa_group_segment_fixed_size 32
		.amdhsa_private_segment_fixed_size 0
		.amdhsa_kernarg_size 400
		.amdhsa_user_sgpr_count 6
		.amdhsa_user_sgpr_private_segment_buffer 1
		.amdhsa_user_sgpr_dispatch_ptr 0
		.amdhsa_user_sgpr_queue_ptr 0
		.amdhsa_user_sgpr_kernarg_segment_ptr 1
		.amdhsa_user_sgpr_dispatch_id 0
		.amdhsa_user_sgpr_flat_scratch_init 0
		.amdhsa_user_sgpr_kernarg_preload_length 0
		.amdhsa_user_sgpr_kernarg_preload_offset 0
		.amdhsa_user_sgpr_private_segment_size 0
		.amdhsa_uses_dynamic_stack 0
		.amdhsa_system_sgpr_private_segment_wavefront_offset 0
		.amdhsa_system_sgpr_workgroup_id_x 1
		.amdhsa_system_sgpr_workgroup_id_y 1
		.amdhsa_system_sgpr_workgroup_id_z 0
		.amdhsa_system_sgpr_workgroup_info 0
		.amdhsa_system_vgpr_workitem_id 0
		.amdhsa_next_free_vgpr 23
		.amdhsa_next_free_sgpr 32
		.amdhsa_accum_offset 24
		.amdhsa_reserve_vcc 1
		.amdhsa_reserve_flat_scratch 0
		.amdhsa_float_round_mode_32 0
		.amdhsa_float_round_mode_16_64 0
		.amdhsa_float_denorm_mode_32 3
		.amdhsa_float_denorm_mode_16_64 3
		.amdhsa_dx10_clamp 1
		.amdhsa_ieee_mode 1
		.amdhsa_fp16_overflow 0
		.amdhsa_tg_split 0
		.amdhsa_exception_fp_ieee_invalid_op 0
		.amdhsa_exception_fp_denorm_src 0
		.amdhsa_exception_fp_ieee_div_zero 0
		.amdhsa_exception_fp_ieee_overflow 0
		.amdhsa_exception_fp_ieee_underflow 0
		.amdhsa_exception_fp_ieee_inexact 0
		.amdhsa_exception_int_div_zero 0
	.end_amdhsa_kernel
	.section	.text._ZN5aiter35fused_qk_rmsnorm_group_quant_kernelIDF16_DB8_Li256ELi8ELi16ELb0ELb0ELb1ELb0ELb0ELb0EEEvPT0_PvPT_S6_S6_PKS5_S8_S8_S8_S8_ffiiiiiiiiiiiii,"axG",@progbits,_ZN5aiter35fused_qk_rmsnorm_group_quant_kernelIDF16_DB8_Li256ELi8ELi16ELb0ELb0ELb1ELb0ELb0ELb0EEEvPT0_PvPT_S6_S6_PKS5_S8_S8_S8_S8_ffiiiiiiiiiiiii,comdat
.Lfunc_end497:
	.size	_ZN5aiter35fused_qk_rmsnorm_group_quant_kernelIDF16_DB8_Li256ELi8ELi16ELb0ELb0ELb1ELb0ELb0ELb0EEEvPT0_PvPT_S6_S6_PKS5_S8_S8_S8_S8_ffiiiiiiiiiiiii, .Lfunc_end497-_ZN5aiter35fused_qk_rmsnorm_group_quant_kernelIDF16_DB8_Li256ELi8ELi16ELb0ELb0ELb1ELb0ELb0ELb0EEEvPT0_PvPT_S6_S6_PKS5_S8_S8_S8_S8_ffiiiiiiiiiiiii
                                        ; -- End function
	.section	.AMDGPU.csdata,"",@progbits
; Kernel info:
; codeLenInByte = 2552
; NumSgprs: 36
; NumVgprs: 23
; NumAgprs: 0
; TotalNumVgprs: 23
; ScratchSize: 0
; MemoryBound: 0
; FloatMode: 240
; IeeeMode: 1
; LDSByteSize: 32 bytes/workgroup (compile time only)
; SGPRBlocks: 4
; VGPRBlocks: 2
; NumSGPRsForWavesPerEU: 36
; NumVGPRsForWavesPerEU: 23
; AccumOffset: 24
; Occupancy: 8
; WaveLimiterHint : 0
; COMPUTE_PGM_RSRC2:SCRATCH_EN: 0
; COMPUTE_PGM_RSRC2:USER_SGPR: 6
; COMPUTE_PGM_RSRC2:TRAP_HANDLER: 0
; COMPUTE_PGM_RSRC2:TGID_X_EN: 1
; COMPUTE_PGM_RSRC2:TGID_Y_EN: 1
; COMPUTE_PGM_RSRC2:TGID_Z_EN: 0
; COMPUTE_PGM_RSRC2:TIDIG_COMP_CNT: 0
; COMPUTE_PGM_RSRC3_GFX90A:ACCUM_OFFSET: 5
; COMPUTE_PGM_RSRC3_GFX90A:TG_SPLIT: 0
	.section	.text._ZN5aiter35fused_qk_rmsnorm_group_quant_kernelItDB8_Li256ELi8ELi16ELb0ELb0ELb1ELb0ELb0ELb0EEEvPT0_PvPT_S6_S6_PKS5_S8_S8_S8_S8_ffiiiiiiiiiiiii,"axG",@progbits,_ZN5aiter35fused_qk_rmsnorm_group_quant_kernelItDB8_Li256ELi8ELi16ELb0ELb0ELb1ELb0ELb0ELb0EEEvPT0_PvPT_S6_S6_PKS5_S8_S8_S8_S8_ffiiiiiiiiiiiii,comdat
	.protected	_ZN5aiter35fused_qk_rmsnorm_group_quant_kernelItDB8_Li256ELi8ELi16ELb0ELb0ELb1ELb0ELb0ELb0EEEvPT0_PvPT_S6_S6_PKS5_S8_S8_S8_S8_ffiiiiiiiiiiiii ; -- Begin function _ZN5aiter35fused_qk_rmsnorm_group_quant_kernelItDB8_Li256ELi8ELi16ELb0ELb0ELb1ELb0ELb0ELb0EEEvPT0_PvPT_S6_S6_PKS5_S8_S8_S8_S8_ffiiiiiiiiiiiii
	.globl	_ZN5aiter35fused_qk_rmsnorm_group_quant_kernelItDB8_Li256ELi8ELi16ELb0ELb0ELb1ELb0ELb0ELb0EEEvPT0_PvPT_S6_S6_PKS5_S8_S8_S8_S8_ffiiiiiiiiiiiii
	.p2align	8
	.type	_ZN5aiter35fused_qk_rmsnorm_group_quant_kernelItDB8_Li256ELi8ELi16ELb0ELb0ELb1ELb0ELb0ELb0EEEvPT0_PvPT_S6_S6_PKS5_S8_S8_S8_S8_ffiiiiiiiiiiiii,@function
_ZN5aiter35fused_qk_rmsnorm_group_quant_kernelItDB8_Li256ELi8ELi16ELb0ELb0ELb1ELb0ELb0ELb0EEEvPT0_PvPT_S6_S6_PKS5_S8_S8_S8_S8_ffiiiiiiiiiiiii: ; @_ZN5aiter35fused_qk_rmsnorm_group_quant_kernelItDB8_Li256ELi8ELi16ELb0ELb0ELb1ELb0ELb0ELb0EEEvPT0_PvPT_S6_S6_PKS5_S8_S8_S8_S8_ffiiiiiiiiiiiii
; %bb.0:
	s_load_dwordx4 s[16:19], s[4:5], 0x50
	s_waitcnt lgkmcnt(0)
	s_cmp_ge_i32 s6, s18
	s_cbranch_scc1 .LBB498_10
; %bb.1:
	s_load_dwordx2 s[12:13], s[4:5], 0x48
	s_load_dwordx2 s[30:31], s[4:5], 0x30
	s_load_dwordx4 s[20:23], s[4:5], 0x60
	s_cmp_lg_u32 s7, 0
	s_cselect_b64 s[14:15], -1, 0
	s_cmp_eq_u32 s7, 0
	s_cselect_b64 vcc, -1, 0
	s_and_b64 s[0:1], vcc, exec
	s_waitcnt lgkmcnt(0)
	s_cselect_b32 s7, s19, s20
	s_add_i32 s0, s7, 1
	s_lshr_b32 s1, s0, 31
	s_add_i32 s0, s0, s1
	s_lshl_b32 s0, s0, 1
	v_lshlrev_b32_e32 v1, 3, v0
	s_and_b32 s10, s0, -4
	v_cmp_gt_i32_e64 s[2:3], s7, v1
	v_mov_b32_e32 v2, 0
	v_mov_b32_e32 v3, 0
	;; [unrolled: 1-line block ×8, first 2 shown]
	s_and_saveexec_b64 s[0:1], s[2:3]
	s_cbranch_execz .LBB498_3
; %bb.2:
	s_load_dwordx2 s[8:9], s[4:5], 0x28
	s_load_dwordx2 s[26:27], s[4:5], 0x40
	s_and_b64 s[24:25], vcc, exec
	s_cselect_b32 s11, s21, s22
	v_lshlrev_b32_e32 v10, 4, v0
	s_waitcnt lgkmcnt(0)
	s_cselect_b32 s18, s9, s31
	s_cselect_b32 s21, s8, s30
	s_mul_hi_i32 s9, s11, s6
	s_mul_i32 s8, s11, s6
	s_lshl_b64 s[8:9], s[8:9], 1
	s_add_u32 s24, s21, s8
	s_addc_u32 s18, s18, s9
	s_and_b64 s[8:9], vcc, exec
	s_mov_b32 s11, 0x20000
	s_cselect_b32 s8, s26, s12
	s_cselect_b32 s9, s27, s13
	s_and_b32 s25, s18, 0xffff
	s_mov_b32 s26, s10
	s_mov_b32 s27, s11
	s_and_b32 s9, s9, 0xffff
	buffer_load_dwordx4 v[6:9], v10, s[24:27], 0 offen glc slc
	buffer_load_dwordx4 v[2:5], v10, s[8:11], 0 offen
.LBB498_3:
	s_or_b64 exec, exec, s[0:1]
	s_waitcnt vmcnt(1)
	v_cvt_f32_u32_sdwa v13, v6 dst_sel:DWORD dst_unused:UNUSED_PAD src0_sel:WORD_1
	v_cvt_f32_u32_sdwa v12, v6 dst_sel:DWORD dst_unused:UNUSED_PAD src0_sel:WORD_0
	v_cvt_f32_u32_sdwa v6, v9 dst_sel:DWORD dst_unused:UNUSED_PAD src0_sel:WORD_1
	v_cvt_f32_u32_sdwa v9, v9 dst_sel:DWORD dst_unused:UNUSED_PAD src0_sel:WORD_0
	;; [unrolled: 2-line block ×4, first 2 shown]
	v_cndmask_b32_e64 v13, 0, v13, s[2:3]
	v_cndmask_b32_e64 v7, 0, v6, s[2:3]
	;; [unrolled: 1-line block ×5, first 2 shown]
	v_mul_f32_e32 v14, v13, v13
	v_cndmask_b32_e64 v10, 0, v10, s[2:3]
	v_fmac_f32_e32 v14, v12, v12
	v_cndmask_b32_e64 v11, 0, v11, s[2:3]
	v_fmac_f32_e32 v14, v10, v10
	;; [unrolled: 2-line block ×3, first 2 shown]
	v_fmac_f32_e32 v14, v8, v8
	v_fmac_f32_e32 v14, v9, v9
	;; [unrolled: 1-line block ×4, first 2 shown]
	v_and_b32_e32 v16, 63, v0
	v_cmp_eq_u32_e64 s[0:1], 63, v16
	v_mov_b32_dpp v15, v14 quad_perm:[1,0,3,2] row_mask:0xf bank_mask:0xf
	v_add_f32_e32 v14, v14, v15
	s_nop 1
	v_mov_b32_dpp v15, v14 quad_perm:[2,3,0,1] row_mask:0xf bank_mask:0xf
	v_add_f32_e32 v14, v14, v15
	s_nop 1
	v_mov_b32_dpp v15, v14 row_half_mirror row_mask:0xf bank_mask:0xf
	v_add_f32_e32 v14, v14, v15
	s_nop 1
	v_mov_b32_dpp v15, v14 row_mirror row_mask:0xf bank_mask:0xf
	v_add_f32_e32 v14, v14, v15
	s_nop 1
	v_mov_b32_dpp v15, v14 row_bcast:15 row_mask:0xf bank_mask:0xf
	v_add_f32_e32 v14, v14, v15
	s_nop 1
	v_mov_b32_dpp v15, v14 row_bcast:31 row_mask:0xf bank_mask:0xf
	s_and_saveexec_b64 s[8:9], s[0:1]
	s_cbranch_execz .LBB498_5
; %bb.4:
	v_add_f32_e32 v14, v14, v15
	v_lshrrev_b32_e32 v15, 4, v0
	v_and_b32_e32 v15, 60, v15
	ds_write_b32 v15, v14 offset:16
.LBB498_5:
	s_or_b64 exec, exec, s[8:9]
	v_and_b32_e32 v14, 3, v0
	v_lshlrev_b32_e32 v14, 2, v14
	s_waitcnt lgkmcnt(0)
	s_barrier
	ds_read_b32 v15, v14 offset:16
	s_load_dwordx2 s[28:29], s[4:5], 0x18
	s_waitcnt lgkmcnt(0)
	v_mov_b32_dpp v16, v15 quad_perm:[1,0,3,2] row_mask:0xf bank_mask:0xf
	v_add_f32_e32 v15, v15, v16
	s_nop 1
	v_mov_b32_dpp v16, v15 quad_perm:[2,3,0,1] row_mask:0xf bank_mask:0xf
	s_and_saveexec_b64 s[8:9], s[2:3]
	s_cbranch_execz .LBB498_7
; %bb.6:
	v_cvt_f32_u32_e32 v17, s7
	v_add_f32_e32 v15, v15, v16
	v_mov_b32_e32 v19, s17
	v_mov_b32_e32 v20, s16
	v_div_scale_f32 v16, s[24:25], v17, v17, v15
	v_rcp_f32_e32 v18, v16
	v_cndmask_b32_e32 v19, v19, v20, vcc
	s_mov_b32 s7, 0x800000
	v_fma_f32 v20, -v16, v18, 1.0
	v_fmac_f32_e32 v18, v20, v18
	v_div_scale_f32 v20, vcc, v15, v17, v15
	v_mul_f32_e32 v21, v20, v18
	v_fma_f32 v22, -v16, v21, v20
	v_fmac_f32_e32 v21, v22, v18
	v_fma_f32 v16, -v16, v21, v20
	v_div_fmas_f32 v16, v16, v18, v21
	v_div_fixup_f32 v15, v16, v17, v15
	v_add_f32_e32 v15, v19, v15
	v_mul_f32_e32 v16, 0x4b800000, v15
	v_cmp_gt_f32_e32 vcc, s7, v15
	v_cndmask_b32_e32 v15, v15, v16, vcc
	v_rsq_f32_e32 v15, v15
	s_waitcnt vmcnt(0)
	v_cvt_f32_u32_sdwa v19, v2 dst_sel:DWORD dst_unused:UNUSED_PAD src0_sel:WORD_1
	v_cvt_f32_u32_sdwa v18, v2 dst_sel:DWORD dst_unused:UNUSED_PAD src0_sel:WORD_0
	v_cvt_f32_u32_sdwa v21, v3 dst_sel:DWORD dst_unused:UNUSED_PAD src0_sel:WORD_1
	v_mul_f32_e32 v16, 0x45800000, v15
	v_cndmask_b32_e32 v16, v15, v16, vcc
	v_mov_b32_e32 v17, v16
	;;#ASMSTART
	v_pk_mul_f32 v[12:13], v[12:13], v[16:17]
	;;#ASMEND
	;;#ASMSTART
	v_pk_mul_f32 v[10:11], v[10:11], v[16:17]
	;;#ASMEND
	;; [unrolled: 3-line block ×3, first 2 shown]
	v_cvt_f32_u32_sdwa v20, v3 dst_sel:DWORD dst_unused:UNUSED_PAD src0_sel:WORD_0
	;;#ASMSTART
	v_pk_mul_f32 v[2:3], v[6:7], v[16:17]
	;;#ASMEND
	v_cvt_f32_u32_sdwa v17, v4 dst_sel:DWORD dst_unused:UNUSED_PAD src0_sel:WORD_1
	v_cvt_f32_u32_sdwa v16, v4 dst_sel:DWORD dst_unused:UNUSED_PAD src0_sel:WORD_0
	v_pk_add_f32 v[6:7], v[18:19], 1.0 op_sel_hi:[1,0]
	v_cvt_f32_u32_sdwa v19, v5 dst_sel:DWORD dst_unused:UNUSED_PAD src0_sel:WORD_1
	v_cvt_f32_u32_sdwa v18, v5 dst_sel:DWORD dst_unused:UNUSED_PAD src0_sel:WORD_0
	;;#ASMSTART
	v_pk_mul_f32 v[12:13], v[12:13], v[6:7]
	;;#ASMEND
	v_pk_add_f32 v[6:7], v[20:21], 1.0 op_sel_hi:[1,0]
	v_pk_add_f32 v[4:5], v[16:17], 1.0 op_sel_hi:[1,0]
	;;#ASMSTART
	v_pk_mul_f32 v[10:11], v[10:11], v[6:7]
	;;#ASMEND
	;;#ASMSTART
	v_pk_mul_f32 v[8:9], v[8:9], v[4:5]
	;;#ASMEND
	v_pk_add_f32 v[4:5], v[18:19], 1.0 op_sel_hi:[1,0]
	;;#ASMSTART
	v_pk_mul_f32 v[6:7], v[2:3], v[4:5]
	;;#ASMEND
.LBB498_7:
	s_or_b64 exec, exec, s[8:9]
	s_load_dword s7, s[4:5], 0x80
	s_mov_b64 s[8:9], -1
	s_and_b64 vcc, exec, s[14:15]
	s_cbranch_vccnz .LBB498_11
; %bb.8:
	s_andn2_b64 vcc, exec, s[8:9]
	s_cbranch_vccz .LBB498_14
.LBB498_9:
	s_cmp_lt_i32 s20, 1
	s_cbranch_scc0 .LBB498_21
.LBB498_10:
	s_endpgm
.LBB498_11:
	s_and_saveexec_b64 s[14:15], s[2:3]
	s_cbranch_execz .LBB498_13
; %bb.12:
	s_waitcnt lgkmcnt(0)
	s_mul_hi_i32 s9, s7, s6
	s_mul_i32 s8, s7, s6
	s_lshl_b64 s[8:9], s[8:9], 1
	s_add_u32 s8, s28, s8
	s_addc_u32 s9, s29, s9
	s_mov_b32 s16, 0x7060302
	s_and_b32 s9, s9, 0xffff
	s_mov_b32 s11, 0x20000
	s_waitcnt vmcnt(0)
	v_perm_b32 v2, v13, v12, s16
	v_perm_b32 v3, v11, v10, s16
	;; [unrolled: 1-line block ×4, first 2 shown]
	v_lshlrev_b32_e32 v15, 4, v0
	buffer_store_dwordx4 v[2:5], v15, s[8:11], 0 offen
	;;#ASMSTART
	s_nop 0
	;;#ASMEND
.LBB498_13:
	s_or_b64 exec, exec, s[14:15]
	s_cbranch_execnz .LBB498_9
.LBB498_14:
	s_waitcnt vmcnt(0)
	v_mov_b32_e32 v2, 0
	s_and_saveexec_b64 s[8:9], s[2:3]
	s_cbranch_execz .LBB498_16
; %bb.15:
	v_and_b32_e32 v2, 0x7fffffff, v12
	v_and_b32_e32 v3, 0x7fffffff, v13
	v_mov_b32_e32 v4, 0x2edbe6ff
	;;#ASMSTART
	v_max3_f32 v2, v4, v2, v3

	;;#ASMEND
	v_and_b32_e32 v3, 0x7fffffff, v10
	v_and_b32_e32 v4, 0x7fffffff, v11
	;;#ASMSTART
	v_max3_f32 v2, v2, v3, v4

	;;#ASMEND
	v_and_b32_e32 v3, 0x7fffffff, v8
	v_and_b32_e32 v4, 0x7fffffff, v9
	;;#ASMSTART
	v_max3_f32 v2, v2, v3, v4

	;;#ASMEND
	v_and_b32_e32 v3, 0x7fffffff, v6
	v_and_b32_e32 v4, 0x7fffffff, v7
	;;#ASMSTART
	v_max3_f32 v2, v2, v3, v4

	;;#ASMEND
.LBB498_16:
	s_or_b64 exec, exec, s[8:9]
	s_load_dwordx4 s[24:27], s[4:5], 0x70
	;;#ASMSTART
	v_max_f32 v3, v2, v2 quad_perm:[1,0,3,2] row_mask:0xf bank_mask:0xf bound_ctrl:1
	;;#ASMEND
	;;#ASMSTART
	v_max_f32 v2, v3, v3 quad_perm:[2,3,0,1] row_mask:0xf bank_mask:0xf bound_ctrl:1
	;;#ASMEND
	;;#ASMSTART
	v_max_f32 v3, v2, v2 row_half_mirror row_mask:0xf bank_mask:0xf bound_ctrl:1
	;;#ASMEND
	;;#ASMSTART
	v_max_f32 v2, v3, v3 row_mirror row_mask:0xf bank_mask:0xf bound_ctrl:1
	;;#ASMEND
	v_and_b32_e32 v3, 15, v0
	v_cmp_eq_u32_e32 vcc, 0, v3
	v_cmp_gt_i32_e64 s[8:9], s19, v1
	v_mul_f32_e32 v2, 0x3b124925, v2
	s_and_b64 s[10:11], vcc, s[8:9]
	s_and_saveexec_b64 s[8:9], s[10:11]
	s_cbranch_execz .LBB498_18
; %bb.17:
	s_load_dwordx2 s[10:11], s[4:5], 0x8
	s_waitcnt lgkmcnt(0)
	s_mul_hi_i32 s15, s25, s6
	s_mul_i32 s14, s25, s6
	v_lshrrev_b32_e32 v3, 4, v0
	s_lshl_b64 s[14:15], s[14:15], 2
	v_mad_i64_i32 v[4:5], s[26:27], s26, v3, 0
	s_add_u32 s10, s10, s14
	s_addc_u32 s11, s11, s15
	v_lshlrev_b64 v[4:5], 2, v[4:5]
	v_mov_b32_e32 v3, s11
	v_add_co_u32_e32 v4, vcc, s10, v4
	v_addc_co_u32_e32 v5, vcc, v3, v5, vcc
	global_store_dword v[4:5], v2, off
.LBB498_18:
	s_or_b64 exec, exec, s[8:9]
	;;#ASMSTART
	v_rcp_f32 v2, v2
	;;#ASMEND
	s_and_saveexec_b64 s[14:15], s[2:3]
	s_cbranch_execz .LBB498_20
; %bb.19:
	s_load_dwordx2 s[2:3], s[4:5], 0x0
	s_waitcnt lgkmcnt(0)
	s_mul_i32 s8, s24, s6
	s_mul_hi_i32 s9, s24, s6
	v_mov_b32_e32 v3, v2
	;;#ASMSTART
	v_pk_mul_f32 v[4:5], v[12:13], v[2:3]
	;;#ASMEND
	s_add_u32 s8, s2, s8
	s_addc_u32 s2, s3, s9
	s_add_i32 s3, s19, 3
	s_ashr_i32 s9, s3, 31
	v_mov_b32_e32 v12, 0xc3e00000
	v_mov_b32_e32 v13, 0x43e00000
	;;#ASMSTART
	v_med3_f32 v4, v4, v12, v13
v_med3_f32 v5, v5, v12, v13
v_cvt_pk_fp8_f32 v15, v4, v5
	;;#ASMEND
	s_lshr_b32 s9, s9, 30
	;;#ASMSTART
	v_pk_mul_f32 v[4:5], v[10:11], v[2:3]
	;;#ASMEND
	s_add_i32 s3, s3, s9
	s_and_b32 s9, s2, 0xffff
	;;#ASMSTART
	v_med3_f32 v4, v4, v12, v13
v_med3_f32 v5, v5, v12, v13
v_cvt_pk_fp8_f32 v10, v4, v5
	;;#ASMEND
	s_mov_b32 s2, 0x5040100
	v_perm_b32 v5, v10, v15, s2
	s_movk_i32 s2, 0xff
	v_and_b32_e32 v4, 0xffffff00, v10
	v_and_b32_sdwa v10, v5, s2 dst_sel:DWORD dst_unused:UNUSED_PAD src0_sel:WORD_1 src1_sel:DWORD
	s_mov_b32 s16, 0xffff
	v_or_b32_sdwa v4, v10, v4 dst_sel:WORD_1 dst_unused:UNUSED_PAD src0_sel:DWORD src1_sel:DWORD
	v_and_or_b32 v4, v5, s16, v4
	;;#ASMSTART
	v_pk_mul_f32 v[8:9], v[8:9], v[2:3]
	;;#ASMEND
	v_mov_b32_e32 v5, v8
	;;#ASMSTART
	v_med3_f32 v5, v5, v12, v13
v_med3_f32 v9, v9, v12, v13
v_cvt_pk_fp8_f32 v8, v5, v9
	;;#ASMEND
	;;#ASMSTART
	v_pk_mul_f32 v[2:3], v[6:7], v[2:3]
	;;#ASMEND
	;;#ASMSTART
	v_med3_f32 v2, v2, v12, v13
v_med3_f32 v3, v3, v12, v13
v_cvt_pk_fp8_f32 v5, v2, v3
	;;#ASMEND
	v_lshlrev_b32_e32 v2, 16, v5
	s_and_b32 s10, s3, -4
	s_mov_b32 s11, 0x20000
	v_and_or_b32 v5, v8, s16, v2
	buffer_store_dwordx2 v[4:5], v1, s[8:11], 0 offen
	;;#ASMSTART
	s_nop 0
	;;#ASMEND
.LBB498_20:
	s_or_b64 exec, exec, s[14:15]
	s_cmp_lt_i32 s20, 1
	s_cbranch_scc1 .LBB498_10
.LBB498_21:
	s_load_dword s2, s[4:5], 0x94
	s_waitcnt lgkmcnt(0)
	s_cmp_lg_u32 s2, 1
	s_cbranch_scc1 .LBB498_10
; %bb.22:
	s_lshl_b32 s2, s20, 1
	s_add_i32 s2, s2, 2
	v_cmp_gt_u32_e32 vcc, s20, v1
	s_and_b32 s14, s2, -4
	v_mov_b32_e32 v6, 0
	v_lshlrev_b32_e32 v1, 4, v0
	v_mov_b32_e32 v7, 0
	v_mov_b32_e32 v8, 0
	;; [unrolled: 1-line block ×3, first 2 shown]
	s_waitcnt vmcnt(0)
	v_mov_b32_e32 v2, 0
	v_mov_b32_e32 v3, 0
	;; [unrolled: 1-line block ×4, first 2 shown]
	s_barrier
	s_and_saveexec_b64 s[2:3], vcc
	s_cbranch_execz .LBB498_24
; %bb.23:
	s_mul_hi_i32 s5, s22, s6
	s_mul_i32 s4, s22, s6
	s_and_b32 s13, s13, 0xffff
	s_lshl_b64 s[4:5], s[4:5], 1
	s_add_u32 s8, s30, s4
	s_mov_b32 s15, 0x20000
	s_addc_u32 s4, s31, s5
	s_and_b32 s9, s4, 0xffff
	s_mov_b32 s10, s14
	s_mov_b32 s11, s15
	buffer_load_dwordx4 v[6:9], v1, s[8:11], 0 offen glc slc
	buffer_load_dwordx4 v[2:5], v1, s[12:15], 0 offen
.LBB498_24:
	s_or_b64 exec, exec, s[2:3]
	s_waitcnt vmcnt(1)
	v_cvt_f32_u32_sdwa v13, v6 dst_sel:DWORD dst_unused:UNUSED_PAD src0_sel:WORD_1
	v_cvt_f32_u32_sdwa v12, v6 dst_sel:DWORD dst_unused:UNUSED_PAD src0_sel:WORD_0
	v_cvt_f32_u32_sdwa v6, v9 dst_sel:DWORD dst_unused:UNUSED_PAD src0_sel:WORD_1
	v_cvt_f32_u32_sdwa v9, v9 dst_sel:DWORD dst_unused:UNUSED_PAD src0_sel:WORD_0
	;; [unrolled: 2-line block ×4, first 2 shown]
	v_cndmask_b32_e32 v13, 0, v13, vcc
	v_cndmask_b32_e32 v7, 0, v6, vcc
	;; [unrolled: 1-line block ×5, first 2 shown]
	v_mul_f32_e32 v15, v13, v13
	v_cndmask_b32_e32 v10, 0, v10, vcc
	v_fmac_f32_e32 v15, v12, v12
	v_cndmask_b32_e32 v11, 0, v11, vcc
	v_fmac_f32_e32 v15, v10, v10
	v_cndmask_b32_e32 v8, 0, v8, vcc
	v_fmac_f32_e32 v15, v11, v11
	v_fmac_f32_e32 v15, v8, v8
	v_fmac_f32_e32 v15, v9, v9
	;; [unrolled: 1-line block ×4, first 2 shown]
	s_nop 1
	v_mov_b32_dpp v16, v15 quad_perm:[1,0,3,2] row_mask:0xf bank_mask:0xf
	v_add_f32_e32 v15, v15, v16
	s_nop 1
	v_mov_b32_dpp v16, v15 quad_perm:[2,3,0,1] row_mask:0xf bank_mask:0xf
	v_add_f32_e32 v15, v15, v16
	s_nop 1
	v_mov_b32_dpp v16, v15 row_half_mirror row_mask:0xf bank_mask:0xf
	v_add_f32_e32 v15, v15, v16
	s_nop 1
	v_mov_b32_dpp v16, v15 row_mirror row_mask:0xf bank_mask:0xf
	v_add_f32_e32 v15, v15, v16
	s_nop 1
	v_mov_b32_dpp v16, v15 row_bcast:15 row_mask:0xf bank_mask:0xf
	v_add_f32_e32 v15, v15, v16
	s_nop 1
	v_mov_b32_dpp v16, v15 row_bcast:31 row_mask:0xf bank_mask:0xf
	s_and_saveexec_b64 s[2:3], s[0:1]
	s_cbranch_execz .LBB498_26
; %bb.25:
	v_lshrrev_b32_e32 v0, 4, v0
	v_add_f32_e32 v15, v15, v16
	v_and_b32_e32 v0, 60, v0
	ds_write_b32 v0, v15
.LBB498_26:
	s_or_b64 exec, exec, s[2:3]
	s_waitcnt lgkmcnt(0)
	s_barrier
	ds_read_b32 v0, v14
	s_waitcnt lgkmcnt(0)
	s_nop 0
	v_mov_b32_dpp v14, v0 quad_perm:[1,0,3,2] row_mask:0xf bank_mask:0xf
	v_add_f32_e32 v0, v0, v14
	s_nop 1
	v_mov_b32_dpp v14, v0 quad_perm:[2,3,0,1] row_mask:0xf bank_mask:0xf
	s_and_saveexec_b64 s[0:1], vcc
	s_cbranch_execz .LBB498_10
; %bb.27:
	v_cvt_f32_u32_e32 v15, s20
	v_add_f32_e32 v0, v0, v14
	s_mov_b32 s15, 0x20000
	v_div_scale_f32 v14, s[0:1], v15, v15, v0
	v_rcp_f32_e32 v16, v14
	v_div_scale_f32 v17, vcc, v0, v15, v0
	s_mov_b32 s0, 0x800000
	v_fma_f32 v18, -v14, v16, 1.0
	v_fmac_f32_e32 v16, v18, v16
	v_mul_f32_e32 v18, v17, v16
	v_fma_f32 v19, -v14, v18, v17
	v_fmac_f32_e32 v18, v19, v16
	v_fma_f32 v14, -v14, v18, v17
	v_div_fmas_f32 v14, v14, v16, v18
	v_div_fixup_f32 v0, v14, v15, v0
	v_add_f32_e32 v0, s17, v0
	v_mul_f32_e32 v14, 0x4b800000, v0
	v_cmp_gt_f32_e32 vcc, s0, v0
	v_cndmask_b32_e32 v0, v0, v14, vcc
	v_rsq_f32_e32 v0, v0
	s_waitcnt vmcnt(0)
	v_cvt_f32_u32_sdwa v17, v2 dst_sel:DWORD dst_unused:UNUSED_PAD src0_sel:WORD_1
	v_cvt_f32_u32_sdwa v16, v2 dst_sel:DWORD dst_unused:UNUSED_PAD src0_sel:WORD_0
	v_cvt_f32_u32_sdwa v19, v3 dst_sel:DWORD dst_unused:UNUSED_PAD src0_sel:WORD_1
	v_mul_f32_e32 v14, 0x45800000, v0
	v_cndmask_b32_e32 v14, v0, v14, vcc
	v_mov_b32_e32 v15, v14
	;;#ASMSTART
	v_pk_mul_f32 v[12:13], v[12:13], v[14:15]
	;;#ASMEND
	;;#ASMSTART
	v_pk_mul_f32 v[10:11], v[10:11], v[14:15]
	;;#ASMEND
	;; [unrolled: 3-line block ×3, first 2 shown]
	v_cvt_f32_u32_sdwa v18, v3 dst_sel:DWORD dst_unused:UNUSED_PAD src0_sel:WORD_0
	;;#ASMSTART
	v_pk_mul_f32 v[2:3], v[6:7], v[14:15]
	;;#ASMEND
	v_cvt_f32_u32_sdwa v15, v4 dst_sel:DWORD dst_unused:UNUSED_PAD src0_sel:WORD_1
	v_cvt_f32_u32_sdwa v14, v4 dst_sel:DWORD dst_unused:UNUSED_PAD src0_sel:WORD_0
	v_pk_add_f32 v[6:7], v[16:17], 1.0 op_sel_hi:[1,0]
	v_cvt_f32_u32_sdwa v17, v5 dst_sel:DWORD dst_unused:UNUSED_PAD src0_sel:WORD_1
	v_cvt_f32_u32_sdwa v16, v5 dst_sel:DWORD dst_unused:UNUSED_PAD src0_sel:WORD_0
	s_mul_hi_i32 s1, s7, s6
	s_mul_i32 s0, s7, s6
	s_lshl_b64 s[0:1], s[0:1], 1
	s_add_u32 s12, s28, s0
	;;#ASMSTART
	v_pk_mul_f32 v[6:7], v[12:13], v[6:7]
	;;#ASMEND
	v_pk_add_f32 v[12:13], v[18:19], 1.0 op_sel_hi:[1,0]
	;;#ASMSTART
	v_pk_mul_f32 v[4:5], v[10:11], v[12:13]
	;;#ASMEND
	v_pk_add_f32 v[10:11], v[14:15], 1.0 op_sel_hi:[1,0]
	s_addc_u32 s0, s29, s1
	;;#ASMSTART
	v_pk_mul_f32 v[8:9], v[8:9], v[10:11]
	;;#ASMEND
	v_pk_add_f32 v[10:11], v[16:17], 1.0 op_sel_hi:[1,0]
	s_and_b32 s13, s0, 0xffff
	s_mov_b32 s0, 0x7060302
	;;#ASMSTART
	v_pk_mul_f32 v[10:11], v[2:3], v[10:11]
	;;#ASMEND
	v_perm_b32 v2, v7, v6, s0
	v_perm_b32 v3, v5, v4, s0
	v_perm_b32 v4, v9, v8, s0
	v_perm_b32 v5, v11, v10, s0
	buffer_store_dwordx4 v[2:5], v1, s[12:15], 0 offen
	;;#ASMSTART
	s_nop 0
	;;#ASMEND
	s_endpgm
	.section	.rodata,"a",@progbits
	.p2align	6, 0x0
	.amdhsa_kernel _ZN5aiter35fused_qk_rmsnorm_group_quant_kernelItDB8_Li256ELi8ELi16ELb0ELb0ELb1ELb0ELb0ELb0EEEvPT0_PvPT_S6_S6_PKS5_S8_S8_S8_S8_ffiiiiiiiiiiiii
		.amdhsa_group_segment_fixed_size 32
		.amdhsa_private_segment_fixed_size 0
		.amdhsa_kernarg_size 400
		.amdhsa_user_sgpr_count 6
		.amdhsa_user_sgpr_private_segment_buffer 1
		.amdhsa_user_sgpr_dispatch_ptr 0
		.amdhsa_user_sgpr_queue_ptr 0
		.amdhsa_user_sgpr_kernarg_segment_ptr 1
		.amdhsa_user_sgpr_dispatch_id 0
		.amdhsa_user_sgpr_flat_scratch_init 0
		.amdhsa_user_sgpr_kernarg_preload_length 0
		.amdhsa_user_sgpr_kernarg_preload_offset 0
		.amdhsa_user_sgpr_private_segment_size 0
		.amdhsa_uses_dynamic_stack 0
		.amdhsa_system_sgpr_private_segment_wavefront_offset 0
		.amdhsa_system_sgpr_workgroup_id_x 1
		.amdhsa_system_sgpr_workgroup_id_y 1
		.amdhsa_system_sgpr_workgroup_id_z 0
		.amdhsa_system_sgpr_workgroup_info 0
		.amdhsa_system_vgpr_workitem_id 0
		.amdhsa_next_free_vgpr 23
		.amdhsa_next_free_sgpr 32
		.amdhsa_accum_offset 24
		.amdhsa_reserve_vcc 1
		.amdhsa_reserve_flat_scratch 0
		.amdhsa_float_round_mode_32 0
		.amdhsa_float_round_mode_16_64 0
		.amdhsa_float_denorm_mode_32 3
		.amdhsa_float_denorm_mode_16_64 3
		.amdhsa_dx10_clamp 1
		.amdhsa_ieee_mode 1
		.amdhsa_fp16_overflow 0
		.amdhsa_tg_split 0
		.amdhsa_exception_fp_ieee_invalid_op 0
		.amdhsa_exception_fp_denorm_src 0
		.amdhsa_exception_fp_ieee_div_zero 0
		.amdhsa_exception_fp_ieee_overflow 0
		.amdhsa_exception_fp_ieee_underflow 0
		.amdhsa_exception_fp_ieee_inexact 0
		.amdhsa_exception_int_div_zero 0
	.end_amdhsa_kernel
	.section	.text._ZN5aiter35fused_qk_rmsnorm_group_quant_kernelItDB8_Li256ELi8ELi16ELb0ELb0ELb1ELb0ELb0ELb0EEEvPT0_PvPT_S6_S6_PKS5_S8_S8_S8_S8_ffiiiiiiiiiiiii,"axG",@progbits,_ZN5aiter35fused_qk_rmsnorm_group_quant_kernelItDB8_Li256ELi8ELi16ELb0ELb0ELb1ELb0ELb0ELb0EEEvPT0_PvPT_S6_S6_PKS5_S8_S8_S8_S8_ffiiiiiiiiiiiii,comdat
.Lfunc_end498:
	.size	_ZN5aiter35fused_qk_rmsnorm_group_quant_kernelItDB8_Li256ELi8ELi16ELb0ELb0ELb1ELb0ELb0ELb0EEEvPT0_PvPT_S6_S6_PKS5_S8_S8_S8_S8_ffiiiiiiiiiiiii, .Lfunc_end498-_ZN5aiter35fused_qk_rmsnorm_group_quant_kernelItDB8_Li256ELi8ELi16ELb0ELb0ELb1ELb0ELb0ELb0EEEvPT0_PvPT_S6_S6_PKS5_S8_S8_S8_S8_ffiiiiiiiiiiiii
                                        ; -- End function
	.section	.AMDGPU.csdata,"",@progbits
; Kernel info:
; codeLenInByte = 2568
; NumSgprs: 36
; NumVgprs: 23
; NumAgprs: 0
; TotalNumVgprs: 23
; ScratchSize: 0
; MemoryBound: 0
; FloatMode: 240
; IeeeMode: 1
; LDSByteSize: 32 bytes/workgroup (compile time only)
; SGPRBlocks: 4
; VGPRBlocks: 2
; NumSGPRsForWavesPerEU: 36
; NumVGPRsForWavesPerEU: 23
; AccumOffset: 24
; Occupancy: 8
; WaveLimiterHint : 0
; COMPUTE_PGM_RSRC2:SCRATCH_EN: 0
; COMPUTE_PGM_RSRC2:USER_SGPR: 6
; COMPUTE_PGM_RSRC2:TRAP_HANDLER: 0
; COMPUTE_PGM_RSRC2:TGID_X_EN: 1
; COMPUTE_PGM_RSRC2:TGID_Y_EN: 1
; COMPUTE_PGM_RSRC2:TGID_Z_EN: 0
; COMPUTE_PGM_RSRC2:TIDIG_COMP_CNT: 0
; COMPUTE_PGM_RSRC3_GFX90A:ACCUM_OFFSET: 5
; COMPUTE_PGM_RSRC3_GFX90A:TG_SPLIT: 0
	.section	.text._ZN5aiter35fused_qk_rmsnorm_group_quant_kernelIDF16_N4opus5fp4_tELi256ELi8ELi16ELb0ELb0ELb1ELb0ELb0ELb0EEEvPT0_PvPT_S7_S7_PKS6_S9_S9_S9_S9_ffiiiiiiiiiiiii,"axG",@progbits,_ZN5aiter35fused_qk_rmsnorm_group_quant_kernelIDF16_N4opus5fp4_tELi256ELi8ELi16ELb0ELb0ELb1ELb0ELb0ELb0EEEvPT0_PvPT_S7_S7_PKS6_S9_S9_S9_S9_ffiiiiiiiiiiiii,comdat
	.protected	_ZN5aiter35fused_qk_rmsnorm_group_quant_kernelIDF16_N4opus5fp4_tELi256ELi8ELi16ELb0ELb0ELb1ELb0ELb0ELb0EEEvPT0_PvPT_S7_S7_PKS6_S9_S9_S9_S9_ffiiiiiiiiiiiii ; -- Begin function _ZN5aiter35fused_qk_rmsnorm_group_quant_kernelIDF16_N4opus5fp4_tELi256ELi8ELi16ELb0ELb0ELb1ELb0ELb0ELb0EEEvPT0_PvPT_S7_S7_PKS6_S9_S9_S9_S9_ffiiiiiiiiiiiii
	.globl	_ZN5aiter35fused_qk_rmsnorm_group_quant_kernelIDF16_N4opus5fp4_tELi256ELi8ELi16ELb0ELb0ELb1ELb0ELb0ELb0EEEvPT0_PvPT_S7_S7_PKS6_S9_S9_S9_S9_ffiiiiiiiiiiiii
	.p2align	8
	.type	_ZN5aiter35fused_qk_rmsnorm_group_quant_kernelIDF16_N4opus5fp4_tELi256ELi8ELi16ELb0ELb0ELb1ELb0ELb0ELb0EEEvPT0_PvPT_S7_S7_PKS6_S9_S9_S9_S9_ffiiiiiiiiiiiii,@function
_ZN5aiter35fused_qk_rmsnorm_group_quant_kernelIDF16_N4opus5fp4_tELi256ELi8ELi16ELb0ELb0ELb1ELb0ELb0ELb0EEEvPT0_PvPT_S7_S7_PKS6_S9_S9_S9_S9_ffiiiiiiiiiiiii: ; @_ZN5aiter35fused_qk_rmsnorm_group_quant_kernelIDF16_N4opus5fp4_tELi256ELi8ELi16ELb0ELb0ELb1ELb0ELb0ELb0EEEvPT0_PvPT_S7_S7_PKS6_S9_S9_S9_S9_ffiiiiiiiiiiiii
; %bb.0:
	s_load_dwordx4 s[16:19], s[4:5], 0x50
	s_waitcnt lgkmcnt(0)
	s_cmp_ge_i32 s6, s18
	s_cbranch_scc1 .LBB499_12
; %bb.1:
	s_load_dwordx2 s[12:13], s[4:5], 0x48
	s_load_dwordx2 s[30:31], s[4:5], 0x30
	s_load_dwordx4 s[20:23], s[4:5], 0x60
	s_cmp_lg_u32 s7, 0
	s_cselect_b64 s[14:15], -1, 0
	s_cmp_eq_u32 s7, 0
	s_cselect_b64 vcc, -1, 0
	s_and_b64 s[0:1], vcc, exec
	s_waitcnt lgkmcnt(0)
	s_cselect_b32 s7, s19, s20
	s_add_i32 s0, s7, 1
	s_lshr_b32 s1, s0, 31
	s_add_i32 s0, s0, s1
	s_lshl_b32 s0, s0, 1
	v_lshlrev_b32_e32 v1, 3, v0
	s_and_b32 s10, s0, -4
	v_cmp_gt_i32_e64 s[2:3], s7, v1
	v_mov_b32_e32 v10, 0
	v_mov_b32_e32 v2, 0
	;; [unrolled: 1-line block ×9, first 2 shown]
	s_and_saveexec_b64 s[0:1], s[2:3]
	s_cbranch_execz .LBB499_3
; %bb.2:
	s_load_dwordx2 s[8:9], s[4:5], 0x28
	s_load_dwordx2 s[26:27], s[4:5], 0x40
	s_and_b64 s[24:25], vcc, exec
	s_cselect_b32 s11, s21, s22
	v_lshlrev_b32_e32 v11, 4, v0
	s_waitcnt lgkmcnt(0)
	s_cselect_b32 s18, s9, s31
	s_cselect_b32 s21, s8, s30
	s_mul_hi_i32 s9, s11, s6
	s_mul_i32 s8, s11, s6
	s_lshl_b64 s[8:9], s[8:9], 1
	s_add_u32 s24, s21, s8
	s_addc_u32 s18, s18, s9
	s_and_b64 s[8:9], vcc, exec
	s_mov_b32 s11, 0x20000
	s_cselect_b32 s8, s26, s12
	s_cselect_b32 s9, s27, s13
	s_and_b32 s25, s18, 0xffff
	s_mov_b32 s26, s10
	s_mov_b32 s27, s11
	s_and_b32 s9, s9, 0xffff
	buffer_load_dwordx4 v[6:9], v11, s[24:27], 0 offen glc slc
	buffer_load_dwordx4 v[2:5], v11, s[8:11], 0 offen
.LBB499_3:
	s_or_b64 exec, exec, s[0:1]
	v_mov_b32_e32 v11, 0
	v_mov_b32_e32 v16, 0
	;; [unrolled: 1-line block ×7, first 2 shown]
	s_and_saveexec_b64 s[0:1], s[2:3]
	s_cbranch_execz .LBB499_5
; %bb.4:
	s_waitcnt vmcnt(1)
	v_cvt_f32_f16_sdwa v11, v6 dst_sel:DWORD dst_unused:UNUSED_PAD src0_sel:WORD_1
	v_cvt_f32_f16_e32 v10, v6
	v_cvt_f32_f16_sdwa v17, v7 dst_sel:DWORD dst_unused:UNUSED_PAD src0_sel:WORD_1
	v_cvt_f32_f16_e32 v16, v7
	;; [unrolled: 2-line block ×4, first 2 shown]
.LBB499_5:
	s_or_b64 exec, exec, s[0:1]
	s_waitcnt vmcnt(1)
	v_mul_f32_e32 v6, v11, v11
	v_fmac_f32_e32 v6, v10, v10
	v_fmac_f32_e32 v6, v16, v16
	;; [unrolled: 1-line block ×7, first 2 shown]
	v_and_b32_e32 v8, 63, v0
	v_cmp_eq_u32_e64 s[0:1], 63, v8
	v_mov_b32_dpp v7, v6 quad_perm:[1,0,3,2] row_mask:0xf bank_mask:0xf
	v_add_f32_e32 v6, v6, v7
	s_nop 1
	v_mov_b32_dpp v7, v6 quad_perm:[2,3,0,1] row_mask:0xf bank_mask:0xf
	v_add_f32_e32 v6, v6, v7
	s_nop 1
	v_mov_b32_dpp v7, v6 row_half_mirror row_mask:0xf bank_mask:0xf
	v_add_f32_e32 v6, v6, v7
	s_nop 1
	v_mov_b32_dpp v7, v6 row_mirror row_mask:0xf bank_mask:0xf
	v_add_f32_e32 v6, v6, v7
	s_nop 1
	v_mov_b32_dpp v7, v6 row_bcast:15 row_mask:0xf bank_mask:0xf
	v_add_f32_e32 v6, v6, v7
	s_nop 1
	v_mov_b32_dpp v7, v6 row_bcast:31 row_mask:0xf bank_mask:0xf
	s_and_saveexec_b64 s[8:9], s[0:1]
	s_cbranch_execz .LBB499_7
; %bb.6:
	v_add_f32_e32 v6, v6, v7
	v_lshrrev_b32_e32 v7, 4, v0
	v_and_b32_e32 v7, 60, v7
	ds_write_b32 v7, v6 offset:16
.LBB499_7:
	s_or_b64 exec, exec, s[8:9]
	v_and_b32_e32 v6, 3, v0
	v_lshlrev_b32_e32 v18, 2, v6
	s_waitcnt lgkmcnt(0)
	s_barrier
	ds_read_b32 v6, v18 offset:16
	s_load_dwordx2 s[28:29], s[4:5], 0x18
	s_waitcnt lgkmcnt(0)
	v_mov_b32_dpp v7, v6 quad_perm:[1,0,3,2] row_mask:0xf bank_mask:0xf
	v_add_f32_e32 v6, v6, v7
	s_nop 1
	v_mov_b32_dpp v7, v6 quad_perm:[2,3,0,1] row_mask:0xf bank_mask:0xf
	s_and_saveexec_b64 s[8:9], s[2:3]
	s_cbranch_execz .LBB499_9
; %bb.8:
	v_cvt_f32_u32_e32 v8, s7
	v_add_f32_e32 v6, v6, v7
	v_mov_b32_e32 v19, s17
	v_mov_b32_e32 v20, s16
	v_div_scale_f32 v7, s[24:25], v8, v8, v6
	v_rcp_f32_e32 v9, v7
	v_cndmask_b32_e32 v19, v19, v20, vcc
	s_mov_b32 s7, 0x800000
	v_fma_f32 v20, -v7, v9, 1.0
	v_fmac_f32_e32 v9, v20, v9
	v_div_scale_f32 v20, vcc, v6, v8, v6
	v_mul_f32_e32 v21, v20, v9
	v_fma_f32 v22, -v7, v21, v20
	v_fmac_f32_e32 v21, v22, v9
	v_fma_f32 v7, -v7, v21, v20
	v_div_fmas_f32 v7, v7, v9, v21
	v_div_fixup_f32 v6, v7, v8, v6
	v_add_f32_e32 v6, v19, v6
	v_mul_f32_e32 v7, 0x4b800000, v6
	v_cmp_gt_f32_e32 vcc, s7, v6
	v_cndmask_b32_e32 v6, v6, v7, vcc
	v_rsq_f32_e32 v6, v6
	s_waitcnt vmcnt(0)
	v_cvt_f32_f16_sdwa v21, v3 dst_sel:DWORD dst_unused:UNUSED_PAD src0_sel:WORD_1
	v_cvt_f32_f16_e32 v20, v3
	v_mul_f32_e32 v7, 0x45800000, v6
	v_cndmask_b32_e32 v6, v6, v7, vcc
	v_mov_b32_e32 v7, v6
	;;#ASMSTART
	v_pk_mul_f32 v[8:9], v[10:11], v[6:7]
	;;#ASMEND
	v_cvt_f32_f16_sdwa v11, v2 dst_sel:DWORD dst_unused:UNUSED_PAD src0_sel:WORD_1
	v_cvt_f32_f16_e32 v10, v2
	;;#ASMSTART
	v_pk_mul_f32 v[16:17], v[16:17], v[6:7]
	;;#ASMEND
	;;#ASMSTART
	v_pk_mul_f32 v[14:15], v[14:15], v[6:7]
	;;#ASMEND
	;; [unrolled: 3-line block ×3, first 2 shown]
	v_pk_add_f32 v[6:7], v[10:11], 1.0 op_sel_hi:[1,0]
	;;#ASMSTART
	v_pk_mul_f32 v[10:11], v[8:9], v[6:7]
	;;#ASMEND
	v_cvt_f32_f16_sdwa v9, v4 dst_sel:DWORD dst_unused:UNUSED_PAD src0_sel:WORD_1
	v_cvt_f32_f16_e32 v8, v4
	v_cvt_f32_f16_sdwa v13, v5 dst_sel:DWORD dst_unused:UNUSED_PAD src0_sel:WORD_1
	v_cvt_f32_f16_e32 v12, v5
	v_pk_add_f32 v[6:7], v[20:21], 1.0 op_sel_hi:[1,0]
	v_pk_add_f32 v[4:5], v[8:9], 1.0 op_sel_hi:[1,0]
	;;#ASMSTART
	v_pk_mul_f32 v[16:17], v[16:17], v[6:7]
	;;#ASMEND
	;;#ASMSTART
	v_pk_mul_f32 v[14:15], v[14:15], v[4:5]
	;;#ASMEND
	v_pk_add_f32 v[4:5], v[12:13], 1.0 op_sel_hi:[1,0]
	;;#ASMSTART
	v_pk_mul_f32 v[12:13], v[2:3], v[4:5]
	;;#ASMEND
.LBB499_9:
	s_or_b64 exec, exec, s[8:9]
	s_load_dword s7, s[4:5], 0x80
	s_mov_b64 s[8:9], -1
	s_and_b64 vcc, exec, s[14:15]
	s_cbranch_vccnz .LBB499_13
; %bb.10:
	s_andn2_b64 vcc, exec, s[8:9]
	s_cbranch_vccz .LBB499_16
.LBB499_11:
	s_cmp_lt_i32 s20, 1
	s_cbranch_scc0 .LBB499_23
.LBB499_12:
	s_endpgm
.LBB499_13:
	s_and_saveexec_b64 s[14:15], s[2:3]
	s_cbranch_execz .LBB499_15
; %bb.14:
	s_waitcnt lgkmcnt(0)
	s_mul_hi_i32 s9, s7, s6
	s_mul_i32 s8, s7, s6
	s_waitcnt vmcnt(0)
	v_cvt_f16_f32_e32 v2, v10
	v_cvt_f16_f32_e32 v3, v16
	;; [unrolled: 1-line block ×8, first 2 shown]
	s_lshl_b64 s[8:9], s[8:9], 1
	s_add_u32 s8, s28, s8
	s_addc_u32 s9, s29, s9
	s_and_b32 s9, s9, 0xffff
	s_mov_b32 s11, 0x20000
	v_pack_b32_f16 v5, v5, v6
	v_pack_b32_f16 v4, v4, v7
	;; [unrolled: 1-line block ×4, first 2 shown]
	v_lshlrev_b32_e32 v6, 4, v0
	buffer_store_dwordx4 v[2:5], v6, s[8:11], 0 offen
	;;#ASMSTART
	s_nop 0
	;;#ASMEND
.LBB499_15:
	s_or_b64 exec, exec, s[14:15]
	s_cbranch_execnz .LBB499_11
.LBB499_16:
	s_waitcnt vmcnt(0)
	v_mov_b32_e32 v2, 0
	s_and_saveexec_b64 s[8:9], s[2:3]
	s_cbranch_execz .LBB499_18
; %bb.17:
	v_and_b32_e32 v2, 0x7fffffff, v10
	v_and_b32_e32 v3, 0x7fffffff, v11
	v_mov_b32_e32 v4, 0x2edbe6ff
	;;#ASMSTART
	v_max3_f32 v2, v4, v2, v3

	;;#ASMEND
	v_and_b32_e32 v3, 0x7fffffff, v16
	v_and_b32_e32 v4, 0x7fffffff, v17
	;;#ASMSTART
	v_max3_f32 v2, v2, v3, v4

	;;#ASMEND
	v_and_b32_e32 v3, 0x7fffffff, v14
	v_and_b32_e32 v4, 0x7fffffff, v15
	;; [unrolled: 6-line block ×3, first 2 shown]
	;;#ASMSTART
	v_max3_f32 v2, v2, v3, v4

	;;#ASMEND
.LBB499_18:
	s_or_b64 exec, exec, s[8:9]
	s_load_dwordx4 s[24:27], s[4:5], 0x70
	;;#ASMSTART
	v_max_f32 v3, v2, v2 quad_perm:[1,0,3,2] row_mask:0xf bank_mask:0xf bound_ctrl:1
	;;#ASMEND
	;;#ASMSTART
	v_max_f32 v2, v3, v3 quad_perm:[2,3,0,1] row_mask:0xf bank_mask:0xf bound_ctrl:1
	;;#ASMEND
	;;#ASMSTART
	v_max_f32 v3, v2, v2 row_half_mirror row_mask:0xf bank_mask:0xf bound_ctrl:1
	;;#ASMEND
	;;#ASMSTART
	v_max_f32 v2, v3, v3 row_mirror row_mask:0xf bank_mask:0xf bound_ctrl:1
	;;#ASMEND
	v_and_b32_e32 v3, 15, v0
	v_cmp_eq_u32_e32 vcc, 0, v3
	v_cmp_gt_i32_e64 s[8:9], s19, v1
	s_and_b64 s[10:11], vcc, s[8:9]
	s_and_saveexec_b64 s[8:9], s[10:11]
	s_cbranch_execz .LBB499_20
; %bb.19:
	s_load_dwordx2 s[10:11], s[4:5], 0x8
	v_mul_f32_e32 v2, 0x3e2aaaab, v2
	v_lshrrev_b32_e32 v3, 23, v2
	v_and_b32_e32 v4, 0x7f800000, v2
	v_and_b32_e32 v2, 0x7fffff, v2
	v_cmp_ne_u32_e32 vcc, 0, v2
	s_waitcnt lgkmcnt(0)
	s_mul_i32 s16, s25, s6
	s_mov_b32 s14, 0x7f800000
	v_addc_co_u32_e32 v2, vcc, 0, v3, vcc
	s_mul_hi_i32 s15, s25, s6
	s_add_u32 s10, s10, s16
	v_cmp_ne_u32_e32 vcc, s14, v4
	s_addc_u32 s11, s11, s15
	v_lshrrev_b32_e32 v5, 4, v0
	v_cndmask_b32_e32 v4, -1, v2, vcc
	v_pk_mov_b32 v[2:3], s[10:11], s[10:11] op_sel:[0,1]
	v_mad_i64_i32 v[2:3], s[10:11], s26, v5, v[2:3]
	global_store_byte v[2:3], v4, off
.LBB499_20:
	s_or_b64 exec, exec, s[8:9]
	s_and_saveexec_b64 s[8:9], s[2:3]
	s_cbranch_execz .LBB499_22
; %bb.21:
	s_load_dwordx2 s[2:3], s[4:5], 0x0
	s_waitcnt lgkmcnt(0)
	s_mul_i32 s11, s24, s6
	s_mul_hi_i32 s10, s24, s6
	v_lshlrev_b32_e32 v2, 2, v0
	s_mov_b32 s27, 0x20000
	s_add_u32 s24, s2, s11
	s_addc_u32 s2, s3, s10
	s_lshr_b32 s3, s19, 31
	s_add_i32 s3, s19, s3
	s_ashr_i32 s3, s3, 1
	s_add_i32 s3, s3, 3
	s_ashr_i32 s10, s3, 31
	s_lshr_b32 s10, s10, 30
	s_add_i32 s3, s3, s10
	s_and_b32 s26, s3, -4
	s_and_b32 s25, s2, 0xffff
	v_mov_b32_e32 v3, 0
	buffer_store_dword v3, v2, s[24:27], 0 offen
	;;#ASMSTART
	s_nop 0
	;;#ASMEND
.LBB499_22:
	s_or_b64 exec, exec, s[8:9]
	s_cmp_lt_i32 s20, 1
	s_cbranch_scc1 .LBB499_12
.LBB499_23:
	s_load_dword s2, s[4:5], 0x94
	s_waitcnt lgkmcnt(0)
	s_cmp_lg_u32 s2, 1
	s_cbranch_scc1 .LBB499_12
; %bb.24:
	s_lshl_b32 s2, s20, 1
	s_add_i32 s2, s2, 2
	v_cmp_gt_u32_e32 vcc, s20, v1
	s_and_b32 s14, s2, -4
	v_mov_b32_e32 v10, 0
	v_lshlrev_b32_e32 v1, 4, v0
	v_mov_b32_e32 v6, 0
	v_mov_b32_e32 v7, 0
	;; [unrolled: 1-line block ×4, first 2 shown]
	s_waitcnt vmcnt(0)
	v_mov_b32_e32 v2, 0
	v_mov_b32_e32 v3, 0
	;; [unrolled: 1-line block ×4, first 2 shown]
	s_barrier
	s_and_saveexec_b64 s[2:3], vcc
	s_cbranch_execz .LBB499_26
; %bb.25:
	s_mul_hi_i32 s5, s22, s6
	s_mul_i32 s4, s22, s6
	s_and_b32 s13, s13, 0xffff
	s_lshl_b64 s[4:5], s[4:5], 1
	s_add_u32 s8, s30, s4
	s_mov_b32 s15, 0x20000
	s_addc_u32 s4, s31, s5
	s_and_b32 s9, s4, 0xffff
	s_mov_b32 s10, s14
	s_mov_b32 s11, s15
	buffer_load_dwordx4 v[6:9], v1, s[8:11], 0 offen glc slc
	buffer_load_dwordx4 v[2:5], v1, s[12:15], 0 offen
.LBB499_26:
	s_or_b64 exec, exec, s[2:3]
	v_mov_b32_e32 v11, 0
	v_mov_b32_e32 v16, 0
	v_mov_b32_e32 v17, 0
	v_mov_b32_e32 v14, 0
	v_mov_b32_e32 v15, 0
	v_mov_b32_e32 v12, 0
	v_mov_b32_e32 v13, 0
	s_and_saveexec_b64 s[2:3], vcc
	s_cbranch_execz .LBB499_28
; %bb.27:
	s_waitcnt vmcnt(1)
	v_cvt_f32_f16_sdwa v11, v6 dst_sel:DWORD dst_unused:UNUSED_PAD src0_sel:WORD_1
	v_cvt_f32_f16_e32 v10, v6
	v_cvt_f32_f16_sdwa v17, v7 dst_sel:DWORD dst_unused:UNUSED_PAD src0_sel:WORD_1
	v_cvt_f32_f16_e32 v16, v7
	;; [unrolled: 2-line block ×4, first 2 shown]
.LBB499_28:
	s_or_b64 exec, exec, s[2:3]
	s_waitcnt vmcnt(1)
	v_mul_f32_e32 v6, v11, v11
	v_fmac_f32_e32 v6, v10, v10
	v_fmac_f32_e32 v6, v16, v16
	;; [unrolled: 1-line block ×7, first 2 shown]
	s_nop 1
	v_mov_b32_dpp v7, v6 quad_perm:[1,0,3,2] row_mask:0xf bank_mask:0xf
	v_add_f32_e32 v6, v6, v7
	s_nop 1
	v_mov_b32_dpp v7, v6 quad_perm:[2,3,0,1] row_mask:0xf bank_mask:0xf
	v_add_f32_e32 v6, v6, v7
	s_nop 1
	v_mov_b32_dpp v7, v6 row_half_mirror row_mask:0xf bank_mask:0xf
	v_add_f32_e32 v6, v6, v7
	s_nop 1
	v_mov_b32_dpp v7, v6 row_mirror row_mask:0xf bank_mask:0xf
	v_add_f32_e32 v6, v6, v7
	s_nop 1
	v_mov_b32_dpp v7, v6 row_bcast:15 row_mask:0xf bank_mask:0xf
	v_add_f32_e32 v6, v6, v7
	s_nop 1
	v_mov_b32_dpp v7, v6 row_bcast:31 row_mask:0xf bank_mask:0xf
	s_and_saveexec_b64 s[2:3], s[0:1]
	s_cbranch_execz .LBB499_30
; %bb.29:
	v_lshrrev_b32_e32 v0, 4, v0
	v_add_f32_e32 v6, v6, v7
	v_and_b32_e32 v0, 60, v0
	ds_write_b32 v0, v6
.LBB499_30:
	s_or_b64 exec, exec, s[2:3]
	s_waitcnt lgkmcnt(0)
	s_barrier
	ds_read_b32 v0, v18
	s_waitcnt lgkmcnt(0)
	s_nop 0
	v_mov_b32_dpp v6, v0 quad_perm:[1,0,3,2] row_mask:0xf bank_mask:0xf
	v_add_f32_e32 v0, v0, v6
	s_nop 1
	v_mov_b32_dpp v6, v0 quad_perm:[2,3,0,1] row_mask:0xf bank_mask:0xf
	s_and_saveexec_b64 s[0:1], vcc
	s_cbranch_execz .LBB499_12
; %bb.31:
	v_cvt_f32_u32_e32 v7, s20
	v_add_f32_e32 v0, v0, v6
	s_mov_b32 s15, 0x20000
	v_div_scale_f32 v6, s[0:1], v7, v7, v0
	v_rcp_f32_e32 v8, v6
	v_div_scale_f32 v9, vcc, v0, v7, v0
	s_mov_b32 s0, 0x800000
	v_fma_f32 v18, -v6, v8, 1.0
	v_fmac_f32_e32 v8, v18, v8
	v_mul_f32_e32 v18, v9, v8
	v_fma_f32 v19, -v6, v18, v9
	v_fmac_f32_e32 v18, v19, v8
	v_fma_f32 v6, -v6, v18, v9
	v_div_fmas_f32 v6, v6, v8, v18
	v_div_fixup_f32 v0, v6, v7, v0
	v_add_f32_e32 v0, s17, v0
	v_mul_f32_e32 v6, 0x4b800000, v0
	v_cmp_gt_f32_e32 vcc, s0, v0
	v_cndmask_b32_e32 v0, v0, v6, vcc
	v_rsq_f32_e32 v0, v0
	s_waitcnt vmcnt(0)
	v_cvt_f32_f16_sdwa v19, v3 dst_sel:DWORD dst_unused:UNUSED_PAD src0_sel:WORD_1
	v_cvt_f32_f16_e32 v18, v3
	s_mul_hi_i32 s1, s7, s6
	v_mul_f32_e32 v6, 0x45800000, v0
	v_cndmask_b32_e32 v6, v0, v6, vcc
	v_mov_b32_e32 v7, v6
	;;#ASMSTART
	v_pk_mul_f32 v[8:9], v[10:11], v[6:7]
	;;#ASMEND
	;;#ASMSTART
	v_pk_mul_f32 v[10:11], v[16:17], v[6:7]
	;;#ASMEND
	v_cvt_f32_f16_sdwa v17, v2 dst_sel:DWORD dst_unused:UNUSED_PAD src0_sel:WORD_1
	v_cvt_f32_f16_e32 v16, v2
	;;#ASMSTART
	v_pk_mul_f32 v[14:15], v[14:15], v[6:7]
	;;#ASMEND
	;;#ASMSTART
	v_pk_mul_f32 v[2:3], v[12:13], v[6:7]
	;;#ASMEND
	v_cvt_f32_f16_sdwa v13, v4 dst_sel:DWORD dst_unused:UNUSED_PAD src0_sel:WORD_1
	v_cvt_f32_f16_e32 v12, v4
	v_pk_add_f32 v[6:7], v[16:17], 1.0 op_sel_hi:[1,0]
	v_cvt_f32_f16_sdwa v17, v5 dst_sel:DWORD dst_unused:UNUSED_PAD src0_sel:WORD_1
	v_cvt_f32_f16_e32 v16, v5
	;;#ASMSTART
	v_pk_mul_f32 v[6:7], v[8:9], v[6:7]
	;;#ASMEND
	v_pk_add_f32 v[8:9], v[18:19], 1.0 op_sel_hi:[1,0]
	;;#ASMSTART
	v_pk_mul_f32 v[4:5], v[10:11], v[8:9]
	;;#ASMEND
	v_pk_add_f32 v[8:9], v[12:13], 1.0 op_sel_hi:[1,0]
	;; [unrolled: 4-line block ×3, first 2 shown]
	;;#ASMSTART
	v_pk_mul_f32 v[2:3], v[2:3], v[10:11]
	;;#ASMEND
	s_mul_i32 s0, s7, s6
	v_cvt_f16_f32_e32 v0, v6
	v_cvt_f16_f32_e32 v6, v7
	;; [unrolled: 1-line block ×8, first 2 shown]
	s_lshl_b64 s[0:1], s[0:1], 1
	s_add_u32 s12, s28, s0
	s_addc_u32 s0, s29, s1
	s_and_b32 s13, s0, 0xffff
	v_pack_b32_f16 v2, v0, v6
	v_pack_b32_f16 v3, v4, v5
	;; [unrolled: 1-line block ×4, first 2 shown]
	buffer_store_dwordx4 v[2:5], v1, s[12:15], 0 offen
	;;#ASMSTART
	s_nop 0
	;;#ASMEND
	s_endpgm
	.section	.rodata,"a",@progbits
	.p2align	6, 0x0
	.amdhsa_kernel _ZN5aiter35fused_qk_rmsnorm_group_quant_kernelIDF16_N4opus5fp4_tELi256ELi8ELi16ELb0ELb0ELb1ELb0ELb0ELb0EEEvPT0_PvPT_S7_S7_PKS6_S9_S9_S9_S9_ffiiiiiiiiiiiii
		.amdhsa_group_segment_fixed_size 32
		.amdhsa_private_segment_fixed_size 0
		.amdhsa_kernarg_size 400
		.amdhsa_user_sgpr_count 6
		.amdhsa_user_sgpr_private_segment_buffer 1
		.amdhsa_user_sgpr_dispatch_ptr 0
		.amdhsa_user_sgpr_queue_ptr 0
		.amdhsa_user_sgpr_kernarg_segment_ptr 1
		.amdhsa_user_sgpr_dispatch_id 0
		.amdhsa_user_sgpr_flat_scratch_init 0
		.amdhsa_user_sgpr_kernarg_preload_length 0
		.amdhsa_user_sgpr_kernarg_preload_offset 0
		.amdhsa_user_sgpr_private_segment_size 0
		.amdhsa_uses_dynamic_stack 0
		.amdhsa_system_sgpr_private_segment_wavefront_offset 0
		.amdhsa_system_sgpr_workgroup_id_x 1
		.amdhsa_system_sgpr_workgroup_id_y 1
		.amdhsa_system_sgpr_workgroup_id_z 0
		.amdhsa_system_sgpr_workgroup_info 0
		.amdhsa_system_vgpr_workitem_id 0
		.amdhsa_next_free_vgpr 23
		.amdhsa_next_free_sgpr 32
		.amdhsa_accum_offset 24
		.amdhsa_reserve_vcc 1
		.amdhsa_reserve_flat_scratch 0
		.amdhsa_float_round_mode_32 0
		.amdhsa_float_round_mode_16_64 0
		.amdhsa_float_denorm_mode_32 3
		.amdhsa_float_denorm_mode_16_64 3
		.amdhsa_dx10_clamp 1
		.amdhsa_ieee_mode 1
		.amdhsa_fp16_overflow 0
		.amdhsa_tg_split 0
		.amdhsa_exception_fp_ieee_invalid_op 0
		.amdhsa_exception_fp_denorm_src 0
		.amdhsa_exception_fp_ieee_div_zero 0
		.amdhsa_exception_fp_ieee_overflow 0
		.amdhsa_exception_fp_ieee_underflow 0
		.amdhsa_exception_fp_ieee_inexact 0
		.amdhsa_exception_int_div_zero 0
	.end_amdhsa_kernel
	.section	.text._ZN5aiter35fused_qk_rmsnorm_group_quant_kernelIDF16_N4opus5fp4_tELi256ELi8ELi16ELb0ELb0ELb1ELb0ELb0ELb0EEEvPT0_PvPT_S7_S7_PKS6_S9_S9_S9_S9_ffiiiiiiiiiiiii,"axG",@progbits,_ZN5aiter35fused_qk_rmsnorm_group_quant_kernelIDF16_N4opus5fp4_tELi256ELi8ELi16ELb0ELb0ELb1ELb0ELb0ELb0EEEvPT0_PvPT_S7_S7_PKS6_S9_S9_S9_S9_ffiiiiiiiiiiiii,comdat
.Lfunc_end499:
	.size	_ZN5aiter35fused_qk_rmsnorm_group_quant_kernelIDF16_N4opus5fp4_tELi256ELi8ELi16ELb0ELb0ELb1ELb0ELb0ELb0EEEvPT0_PvPT_S7_S7_PKS6_S9_S9_S9_S9_ffiiiiiiiiiiiii, .Lfunc_end499-_ZN5aiter35fused_qk_rmsnorm_group_quant_kernelIDF16_N4opus5fp4_tELi256ELi8ELi16ELb0ELb0ELb1ELb0ELb0ELb0EEEvPT0_PvPT_S7_S7_PKS6_S9_S9_S9_S9_ffiiiiiiiiiiiii
                                        ; -- End function
	.section	.AMDGPU.csdata,"",@progbits
; Kernel info:
; codeLenInByte = 2368
; NumSgprs: 36
; NumVgprs: 23
; NumAgprs: 0
; TotalNumVgprs: 23
; ScratchSize: 0
; MemoryBound: 0
; FloatMode: 240
; IeeeMode: 1
; LDSByteSize: 32 bytes/workgroup (compile time only)
; SGPRBlocks: 4
; VGPRBlocks: 2
; NumSGPRsForWavesPerEU: 36
; NumVGPRsForWavesPerEU: 23
; AccumOffset: 24
; Occupancy: 8
; WaveLimiterHint : 0
; COMPUTE_PGM_RSRC2:SCRATCH_EN: 0
; COMPUTE_PGM_RSRC2:USER_SGPR: 6
; COMPUTE_PGM_RSRC2:TRAP_HANDLER: 0
; COMPUTE_PGM_RSRC2:TGID_X_EN: 1
; COMPUTE_PGM_RSRC2:TGID_Y_EN: 1
; COMPUTE_PGM_RSRC2:TGID_Z_EN: 0
; COMPUTE_PGM_RSRC2:TIDIG_COMP_CNT: 0
; COMPUTE_PGM_RSRC3_GFX90A:ACCUM_OFFSET: 5
; COMPUTE_PGM_RSRC3_GFX90A:TG_SPLIT: 0
	.section	.text._ZN5aiter35fused_qk_rmsnorm_group_quant_kernelItN4opus5fp4_tELi256ELi8ELi16ELb0ELb0ELb1ELb0ELb0ELb0EEEvPT0_PvPT_S7_S7_PKS6_S9_S9_S9_S9_ffiiiiiiiiiiiii,"axG",@progbits,_ZN5aiter35fused_qk_rmsnorm_group_quant_kernelItN4opus5fp4_tELi256ELi8ELi16ELb0ELb0ELb1ELb0ELb0ELb0EEEvPT0_PvPT_S7_S7_PKS6_S9_S9_S9_S9_ffiiiiiiiiiiiii,comdat
	.protected	_ZN5aiter35fused_qk_rmsnorm_group_quant_kernelItN4opus5fp4_tELi256ELi8ELi16ELb0ELb0ELb1ELb0ELb0ELb0EEEvPT0_PvPT_S7_S7_PKS6_S9_S9_S9_S9_ffiiiiiiiiiiiii ; -- Begin function _ZN5aiter35fused_qk_rmsnorm_group_quant_kernelItN4opus5fp4_tELi256ELi8ELi16ELb0ELb0ELb1ELb0ELb0ELb0EEEvPT0_PvPT_S7_S7_PKS6_S9_S9_S9_S9_ffiiiiiiiiiiiii
	.globl	_ZN5aiter35fused_qk_rmsnorm_group_quant_kernelItN4opus5fp4_tELi256ELi8ELi16ELb0ELb0ELb1ELb0ELb0ELb0EEEvPT0_PvPT_S7_S7_PKS6_S9_S9_S9_S9_ffiiiiiiiiiiiii
	.p2align	8
	.type	_ZN5aiter35fused_qk_rmsnorm_group_quant_kernelItN4opus5fp4_tELi256ELi8ELi16ELb0ELb0ELb1ELb0ELb0ELb0EEEvPT0_PvPT_S7_S7_PKS6_S9_S9_S9_S9_ffiiiiiiiiiiiii,@function
_ZN5aiter35fused_qk_rmsnorm_group_quant_kernelItN4opus5fp4_tELi256ELi8ELi16ELb0ELb0ELb1ELb0ELb0ELb0EEEvPT0_PvPT_S7_S7_PKS6_S9_S9_S9_S9_ffiiiiiiiiiiiii: ; @_ZN5aiter35fused_qk_rmsnorm_group_quant_kernelItN4opus5fp4_tELi256ELi8ELi16ELb0ELb0ELb1ELb0ELb0ELb0EEEvPT0_PvPT_S7_S7_PKS6_S9_S9_S9_S9_ffiiiiiiiiiiiii
; %bb.0:
	s_load_dwordx4 s[16:19], s[4:5], 0x50
	s_waitcnt lgkmcnt(0)
	s_cmp_ge_i32 s6, s18
	s_cbranch_scc1 .LBB500_10
; %bb.1:
	s_load_dwordx2 s[12:13], s[4:5], 0x48
	s_load_dwordx2 s[30:31], s[4:5], 0x30
	s_load_dwordx4 s[20:23], s[4:5], 0x60
	s_cmp_lg_u32 s7, 0
	s_cselect_b64 s[14:15], -1, 0
	s_cmp_eq_u32 s7, 0
	s_cselect_b64 vcc, -1, 0
	s_and_b64 s[0:1], vcc, exec
	s_waitcnt lgkmcnt(0)
	s_cselect_b32 s7, s19, s20
	s_add_i32 s0, s7, 1
	s_lshr_b32 s1, s0, 31
	s_add_i32 s0, s0, s1
	s_lshl_b32 s0, s0, 1
	v_lshlrev_b32_e32 v1, 3, v0
	s_and_b32 s10, s0, -4
	v_cmp_gt_i32_e64 s[2:3], s7, v1
	v_mov_b32_e32 v2, 0
	v_mov_b32_e32 v3, 0
	;; [unrolled: 1-line block ×8, first 2 shown]
	s_and_saveexec_b64 s[0:1], s[2:3]
	s_cbranch_execz .LBB500_3
; %bb.2:
	s_load_dwordx2 s[8:9], s[4:5], 0x28
	s_load_dwordx2 s[26:27], s[4:5], 0x40
	s_and_b64 s[24:25], vcc, exec
	s_cselect_b32 s11, s21, s22
	v_lshlrev_b32_e32 v10, 4, v0
	s_waitcnt lgkmcnt(0)
	s_cselect_b32 s18, s9, s31
	s_cselect_b32 s21, s8, s30
	s_mul_hi_i32 s9, s11, s6
	s_mul_i32 s8, s11, s6
	s_lshl_b64 s[8:9], s[8:9], 1
	s_add_u32 s24, s21, s8
	s_addc_u32 s18, s18, s9
	s_and_b64 s[8:9], vcc, exec
	s_mov_b32 s11, 0x20000
	s_cselect_b32 s8, s26, s12
	s_cselect_b32 s9, s27, s13
	s_and_b32 s25, s18, 0xffff
	s_mov_b32 s26, s10
	s_mov_b32 s27, s11
	s_and_b32 s9, s9, 0xffff
	buffer_load_dwordx4 v[6:9], v10, s[24:27], 0 offen glc slc
	buffer_load_dwordx4 v[2:5], v10, s[8:11], 0 offen
.LBB500_3:
	s_or_b64 exec, exec, s[0:1]
	s_waitcnt vmcnt(1)
	v_cvt_f32_u32_sdwa v11, v6 dst_sel:DWORD dst_unused:UNUSED_PAD src0_sel:WORD_1
	v_cvt_f32_u32_sdwa v10, v6 dst_sel:DWORD dst_unused:UNUSED_PAD src0_sel:WORD_0
	v_cvt_f32_u32_sdwa v6, v9 dst_sel:DWORD dst_unused:UNUSED_PAD src0_sel:WORD_1
	v_cvt_f32_u32_sdwa v9, v9 dst_sel:DWORD dst_unused:UNUSED_PAD src0_sel:WORD_0
	;; [unrolled: 2-line block ×4, first 2 shown]
	v_cndmask_b32_e64 v11, 0, v11, s[2:3]
	v_cndmask_b32_e64 v7, 0, v6, s[2:3]
	;; [unrolled: 1-line block ×5, first 2 shown]
	v_mul_f32_e32 v14, v11, v11
	v_cndmask_b32_e64 v12, 0, v12, s[2:3]
	v_fmac_f32_e32 v14, v10, v10
	v_cndmask_b32_e64 v13, 0, v13, s[2:3]
	v_fmac_f32_e32 v14, v12, v12
	;; [unrolled: 2-line block ×3, first 2 shown]
	v_fmac_f32_e32 v14, v8, v8
	v_fmac_f32_e32 v14, v9, v9
	;; [unrolled: 1-line block ×4, first 2 shown]
	v_and_b32_e32 v16, 63, v0
	v_cmp_eq_u32_e64 s[0:1], 63, v16
	v_mov_b32_dpp v15, v14 quad_perm:[1,0,3,2] row_mask:0xf bank_mask:0xf
	v_add_f32_e32 v14, v14, v15
	s_nop 1
	v_mov_b32_dpp v15, v14 quad_perm:[2,3,0,1] row_mask:0xf bank_mask:0xf
	v_add_f32_e32 v14, v14, v15
	s_nop 1
	v_mov_b32_dpp v15, v14 row_half_mirror row_mask:0xf bank_mask:0xf
	v_add_f32_e32 v14, v14, v15
	s_nop 1
	v_mov_b32_dpp v15, v14 row_mirror row_mask:0xf bank_mask:0xf
	v_add_f32_e32 v14, v14, v15
	s_nop 1
	v_mov_b32_dpp v15, v14 row_bcast:15 row_mask:0xf bank_mask:0xf
	v_add_f32_e32 v14, v14, v15
	s_nop 1
	v_mov_b32_dpp v15, v14 row_bcast:31 row_mask:0xf bank_mask:0xf
	s_and_saveexec_b64 s[8:9], s[0:1]
	s_cbranch_execz .LBB500_5
; %bb.4:
	v_add_f32_e32 v14, v14, v15
	v_lshrrev_b32_e32 v15, 4, v0
	v_and_b32_e32 v15, 60, v15
	ds_write_b32 v15, v14 offset:16
.LBB500_5:
	s_or_b64 exec, exec, s[8:9]
	v_and_b32_e32 v14, 3, v0
	v_lshlrev_b32_e32 v14, 2, v14
	s_waitcnt lgkmcnt(0)
	s_barrier
	ds_read_b32 v15, v14 offset:16
	s_load_dwordx2 s[28:29], s[4:5], 0x18
	s_waitcnt lgkmcnt(0)
	v_mov_b32_dpp v16, v15 quad_perm:[1,0,3,2] row_mask:0xf bank_mask:0xf
	v_add_f32_e32 v15, v15, v16
	s_nop 1
	v_mov_b32_dpp v16, v15 quad_perm:[2,3,0,1] row_mask:0xf bank_mask:0xf
	s_and_saveexec_b64 s[8:9], s[2:3]
	s_cbranch_execz .LBB500_7
; %bb.6:
	v_cvt_f32_u32_e32 v17, s7
	v_add_f32_e32 v15, v15, v16
	v_mov_b32_e32 v19, s17
	v_mov_b32_e32 v20, s16
	v_div_scale_f32 v16, s[24:25], v17, v17, v15
	v_rcp_f32_e32 v18, v16
	v_cndmask_b32_e32 v19, v19, v20, vcc
	s_mov_b32 s7, 0x800000
	v_fma_f32 v20, -v16, v18, 1.0
	v_fmac_f32_e32 v18, v20, v18
	v_div_scale_f32 v20, vcc, v15, v17, v15
	v_mul_f32_e32 v21, v20, v18
	v_fma_f32 v22, -v16, v21, v20
	v_fmac_f32_e32 v21, v22, v18
	v_fma_f32 v16, -v16, v21, v20
	v_div_fmas_f32 v16, v16, v18, v21
	v_div_fixup_f32 v15, v16, v17, v15
	v_add_f32_e32 v15, v19, v15
	v_mul_f32_e32 v16, 0x4b800000, v15
	v_cmp_gt_f32_e32 vcc, s7, v15
	v_cndmask_b32_e32 v15, v15, v16, vcc
	v_rsq_f32_e32 v15, v15
	s_waitcnt vmcnt(0)
	v_cvt_f32_u32_sdwa v19, v2 dst_sel:DWORD dst_unused:UNUSED_PAD src0_sel:WORD_1
	v_cvt_f32_u32_sdwa v18, v2 dst_sel:DWORD dst_unused:UNUSED_PAD src0_sel:WORD_0
	v_cvt_f32_u32_sdwa v21, v3 dst_sel:DWORD dst_unused:UNUSED_PAD src0_sel:WORD_1
	v_mul_f32_e32 v16, 0x45800000, v15
	v_cndmask_b32_e32 v16, v15, v16, vcc
	v_mov_b32_e32 v17, v16
	;;#ASMSTART
	v_pk_mul_f32 v[10:11], v[10:11], v[16:17]
	;;#ASMEND
	;;#ASMSTART
	v_pk_mul_f32 v[12:13], v[12:13], v[16:17]
	;;#ASMEND
	;; [unrolled: 3-line block ×3, first 2 shown]
	v_cvt_f32_u32_sdwa v20, v3 dst_sel:DWORD dst_unused:UNUSED_PAD src0_sel:WORD_0
	;;#ASMSTART
	v_pk_mul_f32 v[2:3], v[6:7], v[16:17]
	;;#ASMEND
	v_cvt_f32_u32_sdwa v17, v4 dst_sel:DWORD dst_unused:UNUSED_PAD src0_sel:WORD_1
	v_cvt_f32_u32_sdwa v16, v4 dst_sel:DWORD dst_unused:UNUSED_PAD src0_sel:WORD_0
	v_pk_add_f32 v[6:7], v[18:19], 1.0 op_sel_hi:[1,0]
	v_cvt_f32_u32_sdwa v19, v5 dst_sel:DWORD dst_unused:UNUSED_PAD src0_sel:WORD_1
	v_cvt_f32_u32_sdwa v18, v5 dst_sel:DWORD dst_unused:UNUSED_PAD src0_sel:WORD_0
	;;#ASMSTART
	v_pk_mul_f32 v[10:11], v[10:11], v[6:7]
	;;#ASMEND
	v_pk_add_f32 v[6:7], v[20:21], 1.0 op_sel_hi:[1,0]
	v_pk_add_f32 v[4:5], v[16:17], 1.0 op_sel_hi:[1,0]
	;;#ASMSTART
	v_pk_mul_f32 v[12:13], v[12:13], v[6:7]
	;;#ASMEND
	;;#ASMSTART
	v_pk_mul_f32 v[8:9], v[8:9], v[4:5]
	;;#ASMEND
	v_pk_add_f32 v[4:5], v[18:19], 1.0 op_sel_hi:[1,0]
	;;#ASMSTART
	v_pk_mul_f32 v[6:7], v[2:3], v[4:5]
	;;#ASMEND
.LBB500_7:
	s_or_b64 exec, exec, s[8:9]
	s_load_dword s7, s[4:5], 0x80
	s_mov_b64 s[8:9], -1
	s_and_b64 vcc, exec, s[14:15]
	s_cbranch_vccnz .LBB500_11
; %bb.8:
	s_andn2_b64 vcc, exec, s[8:9]
	s_cbranch_vccz .LBB500_14
.LBB500_9:
	s_cmp_lt_i32 s20, 1
	s_cbranch_scc0 .LBB500_21
.LBB500_10:
	s_endpgm
.LBB500_11:
	s_and_saveexec_b64 s[14:15], s[2:3]
	s_cbranch_execz .LBB500_13
; %bb.12:
	s_waitcnt lgkmcnt(0)
	s_mul_hi_i32 s9, s7, s6
	s_mul_i32 s8, s7, s6
	s_lshl_b64 s[8:9], s[8:9], 1
	s_add_u32 s8, s28, s8
	s_addc_u32 s9, s29, s9
	s_mov_b32 s16, 0x7060302
	s_and_b32 s9, s9, 0xffff
	s_mov_b32 s11, 0x20000
	s_waitcnt vmcnt(0)
	v_perm_b32 v2, v11, v10, s16
	v_perm_b32 v3, v13, v12, s16
	v_perm_b32 v4, v9, v8, s16
	v_perm_b32 v5, v7, v6, s16
	v_lshlrev_b32_e32 v15, 4, v0
	buffer_store_dwordx4 v[2:5], v15, s[8:11], 0 offen
	;;#ASMSTART
	s_nop 0
	;;#ASMEND
.LBB500_13:
	s_or_b64 exec, exec, s[14:15]
	s_cbranch_execnz .LBB500_9
.LBB500_14:
	s_waitcnt vmcnt(0)
	v_mov_b32_e32 v2, 0
	s_and_saveexec_b64 s[8:9], s[2:3]
	s_cbranch_execz .LBB500_16
; %bb.15:
	v_and_b32_e32 v2, 0x7fffffff, v10
	v_and_b32_e32 v3, 0x7fffffff, v11
	v_mov_b32_e32 v4, 0x2edbe6ff
	;;#ASMSTART
	v_max3_f32 v2, v4, v2, v3

	;;#ASMEND
	v_and_b32_e32 v3, 0x7fffffff, v12
	v_and_b32_e32 v4, 0x7fffffff, v13
	;;#ASMSTART
	v_max3_f32 v2, v2, v3, v4

	;;#ASMEND
	v_and_b32_e32 v3, 0x7fffffff, v8
	v_and_b32_e32 v4, 0x7fffffff, v9
	;; [unrolled: 6-line block ×3, first 2 shown]
	;;#ASMSTART
	v_max3_f32 v2, v2, v3, v4

	;;#ASMEND
.LBB500_16:
	s_or_b64 exec, exec, s[8:9]
	s_load_dwordx4 s[24:27], s[4:5], 0x70
	;;#ASMSTART
	v_max_f32 v3, v2, v2 quad_perm:[1,0,3,2] row_mask:0xf bank_mask:0xf bound_ctrl:1
	;;#ASMEND
	;;#ASMSTART
	v_max_f32 v2, v3, v3 quad_perm:[2,3,0,1] row_mask:0xf bank_mask:0xf bound_ctrl:1
	;;#ASMEND
	;;#ASMSTART
	v_max_f32 v3, v2, v2 row_half_mirror row_mask:0xf bank_mask:0xf bound_ctrl:1
	;;#ASMEND
	;;#ASMSTART
	v_max_f32 v2, v3, v3 row_mirror row_mask:0xf bank_mask:0xf bound_ctrl:1
	;;#ASMEND
	v_and_b32_e32 v3, 15, v0
	v_cmp_eq_u32_e32 vcc, 0, v3
	v_cmp_gt_i32_e64 s[8:9], s19, v1
	s_and_b64 s[10:11], vcc, s[8:9]
	s_and_saveexec_b64 s[8:9], s[10:11]
	s_cbranch_execz .LBB500_18
; %bb.17:
	s_load_dwordx2 s[10:11], s[4:5], 0x8
	v_mul_f32_e32 v2, 0x3e2aaaab, v2
	v_lshrrev_b32_e32 v3, 23, v2
	v_and_b32_e32 v4, 0x7f800000, v2
	v_and_b32_e32 v2, 0x7fffff, v2
	v_cmp_ne_u32_e32 vcc, 0, v2
	s_waitcnt lgkmcnt(0)
	s_mul_i32 s16, s25, s6
	s_mov_b32 s14, 0x7f800000
	v_addc_co_u32_e32 v2, vcc, 0, v3, vcc
	s_mul_hi_i32 s15, s25, s6
	s_add_u32 s10, s10, s16
	v_cmp_ne_u32_e32 vcc, s14, v4
	s_addc_u32 s11, s11, s15
	v_lshrrev_b32_e32 v5, 4, v0
	v_cndmask_b32_e32 v4, -1, v2, vcc
	v_pk_mov_b32 v[2:3], s[10:11], s[10:11] op_sel:[0,1]
	v_mad_i64_i32 v[2:3], s[10:11], s26, v5, v[2:3]
	global_store_byte v[2:3], v4, off
.LBB500_18:
	s_or_b64 exec, exec, s[8:9]
	s_and_saveexec_b64 s[8:9], s[2:3]
	s_cbranch_execz .LBB500_20
; %bb.19:
	s_load_dwordx2 s[2:3], s[4:5], 0x0
	s_waitcnt lgkmcnt(0)
	s_mul_i32 s11, s24, s6
	s_mul_hi_i32 s10, s24, s6
	v_lshlrev_b32_e32 v2, 2, v0
	s_mov_b32 s27, 0x20000
	s_add_u32 s24, s2, s11
	s_addc_u32 s2, s3, s10
	s_lshr_b32 s3, s19, 31
	s_add_i32 s3, s19, s3
	s_ashr_i32 s3, s3, 1
	s_add_i32 s3, s3, 3
	s_ashr_i32 s10, s3, 31
	s_lshr_b32 s10, s10, 30
	s_add_i32 s3, s3, s10
	s_and_b32 s26, s3, -4
	s_and_b32 s25, s2, 0xffff
	v_mov_b32_e32 v3, 0
	buffer_store_dword v3, v2, s[24:27], 0 offen
	;;#ASMSTART
	s_nop 0
	;;#ASMEND
.LBB500_20:
	s_or_b64 exec, exec, s[8:9]
	s_cmp_lt_i32 s20, 1
	s_cbranch_scc1 .LBB500_10
.LBB500_21:
	s_load_dword s2, s[4:5], 0x94
	s_waitcnt lgkmcnt(0)
	s_cmp_lg_u32 s2, 1
	s_cbranch_scc1 .LBB500_10
; %bb.22:
	s_lshl_b32 s2, s20, 1
	s_add_i32 s2, s2, 2
	v_cmp_gt_u32_e32 vcc, s20, v1
	s_and_b32 s14, s2, -4
	v_mov_b32_e32 v6, 0
	v_lshlrev_b32_e32 v1, 4, v0
	v_mov_b32_e32 v7, 0
	v_mov_b32_e32 v8, 0
	;; [unrolled: 1-line block ×3, first 2 shown]
	s_waitcnt vmcnt(0)
	v_mov_b32_e32 v2, 0
	v_mov_b32_e32 v3, 0
	;; [unrolled: 1-line block ×4, first 2 shown]
	s_barrier
	s_and_saveexec_b64 s[2:3], vcc
	s_cbranch_execz .LBB500_24
; %bb.23:
	s_mul_hi_i32 s5, s22, s6
	s_mul_i32 s4, s22, s6
	s_and_b32 s13, s13, 0xffff
	s_lshl_b64 s[4:5], s[4:5], 1
	s_add_u32 s8, s30, s4
	s_mov_b32 s15, 0x20000
	s_addc_u32 s4, s31, s5
	s_and_b32 s9, s4, 0xffff
	s_mov_b32 s10, s14
	s_mov_b32 s11, s15
	buffer_load_dwordx4 v[6:9], v1, s[8:11], 0 offen glc slc
	buffer_load_dwordx4 v[2:5], v1, s[12:15], 0 offen
.LBB500_24:
	s_or_b64 exec, exec, s[2:3]
	s_waitcnt vmcnt(1)
	v_cvt_f32_u32_sdwa v13, v6 dst_sel:DWORD dst_unused:UNUSED_PAD src0_sel:WORD_1
	v_cvt_f32_u32_sdwa v12, v6 dst_sel:DWORD dst_unused:UNUSED_PAD src0_sel:WORD_0
	v_cvt_f32_u32_sdwa v6, v9 dst_sel:DWORD dst_unused:UNUSED_PAD src0_sel:WORD_1
	v_cvt_f32_u32_sdwa v9, v9 dst_sel:DWORD dst_unused:UNUSED_PAD src0_sel:WORD_0
	;; [unrolled: 2-line block ×4, first 2 shown]
	v_cndmask_b32_e32 v13, 0, v13, vcc
	v_cndmask_b32_e32 v7, 0, v6, vcc
	;; [unrolled: 1-line block ×5, first 2 shown]
	v_mul_f32_e32 v15, v13, v13
	v_cndmask_b32_e32 v10, 0, v10, vcc
	v_fmac_f32_e32 v15, v12, v12
	v_cndmask_b32_e32 v11, 0, v11, vcc
	v_fmac_f32_e32 v15, v10, v10
	;; [unrolled: 2-line block ×3, first 2 shown]
	v_fmac_f32_e32 v15, v8, v8
	v_fmac_f32_e32 v15, v9, v9
	v_fmac_f32_e32 v15, v6, v6
	v_fmac_f32_e32 v15, v7, v7
	s_nop 1
	v_mov_b32_dpp v16, v15 quad_perm:[1,0,3,2] row_mask:0xf bank_mask:0xf
	v_add_f32_e32 v15, v15, v16
	s_nop 1
	v_mov_b32_dpp v16, v15 quad_perm:[2,3,0,1] row_mask:0xf bank_mask:0xf
	v_add_f32_e32 v15, v15, v16
	s_nop 1
	v_mov_b32_dpp v16, v15 row_half_mirror row_mask:0xf bank_mask:0xf
	v_add_f32_e32 v15, v15, v16
	s_nop 1
	v_mov_b32_dpp v16, v15 row_mirror row_mask:0xf bank_mask:0xf
	v_add_f32_e32 v15, v15, v16
	s_nop 1
	v_mov_b32_dpp v16, v15 row_bcast:15 row_mask:0xf bank_mask:0xf
	v_add_f32_e32 v15, v15, v16
	s_nop 1
	v_mov_b32_dpp v16, v15 row_bcast:31 row_mask:0xf bank_mask:0xf
	s_and_saveexec_b64 s[2:3], s[0:1]
	s_cbranch_execz .LBB500_26
; %bb.25:
	v_lshrrev_b32_e32 v0, 4, v0
	v_add_f32_e32 v15, v15, v16
	v_and_b32_e32 v0, 60, v0
	ds_write_b32 v0, v15
.LBB500_26:
	s_or_b64 exec, exec, s[2:3]
	s_waitcnt lgkmcnt(0)
	s_barrier
	ds_read_b32 v0, v14
	s_waitcnt lgkmcnt(0)
	s_nop 0
	v_mov_b32_dpp v14, v0 quad_perm:[1,0,3,2] row_mask:0xf bank_mask:0xf
	v_add_f32_e32 v0, v0, v14
	s_nop 1
	v_mov_b32_dpp v14, v0 quad_perm:[2,3,0,1] row_mask:0xf bank_mask:0xf
	s_and_saveexec_b64 s[0:1], vcc
	s_cbranch_execz .LBB500_10
; %bb.27:
	v_cvt_f32_u32_e32 v15, s20
	v_add_f32_e32 v0, v0, v14
	s_mov_b32 s15, 0x20000
	v_div_scale_f32 v14, s[0:1], v15, v15, v0
	v_rcp_f32_e32 v16, v14
	v_div_scale_f32 v17, vcc, v0, v15, v0
	s_mov_b32 s0, 0x800000
	v_fma_f32 v18, -v14, v16, 1.0
	v_fmac_f32_e32 v16, v18, v16
	v_mul_f32_e32 v18, v17, v16
	v_fma_f32 v19, -v14, v18, v17
	v_fmac_f32_e32 v18, v19, v16
	v_fma_f32 v14, -v14, v18, v17
	v_div_fmas_f32 v14, v14, v16, v18
	v_div_fixup_f32 v0, v14, v15, v0
	v_add_f32_e32 v0, s17, v0
	v_mul_f32_e32 v14, 0x4b800000, v0
	v_cmp_gt_f32_e32 vcc, s0, v0
	v_cndmask_b32_e32 v0, v0, v14, vcc
	v_rsq_f32_e32 v0, v0
	s_waitcnt vmcnt(0)
	v_cvt_f32_u32_sdwa v17, v2 dst_sel:DWORD dst_unused:UNUSED_PAD src0_sel:WORD_1
	v_cvt_f32_u32_sdwa v16, v2 dst_sel:DWORD dst_unused:UNUSED_PAD src0_sel:WORD_0
	v_cvt_f32_u32_sdwa v19, v3 dst_sel:DWORD dst_unused:UNUSED_PAD src0_sel:WORD_1
	v_mul_f32_e32 v14, 0x45800000, v0
	v_cndmask_b32_e32 v14, v0, v14, vcc
	v_mov_b32_e32 v15, v14
	;;#ASMSTART
	v_pk_mul_f32 v[12:13], v[12:13], v[14:15]
	;;#ASMEND
	;;#ASMSTART
	v_pk_mul_f32 v[10:11], v[10:11], v[14:15]
	;;#ASMEND
	;;#ASMSTART
	v_pk_mul_f32 v[8:9], v[8:9], v[14:15]
	;;#ASMEND
	v_cvt_f32_u32_sdwa v18, v3 dst_sel:DWORD dst_unused:UNUSED_PAD src0_sel:WORD_0
	;;#ASMSTART
	v_pk_mul_f32 v[2:3], v[6:7], v[14:15]
	;;#ASMEND
	v_cvt_f32_u32_sdwa v15, v4 dst_sel:DWORD dst_unused:UNUSED_PAD src0_sel:WORD_1
	v_cvt_f32_u32_sdwa v14, v4 dst_sel:DWORD dst_unused:UNUSED_PAD src0_sel:WORD_0
	v_pk_add_f32 v[6:7], v[16:17], 1.0 op_sel_hi:[1,0]
	v_cvt_f32_u32_sdwa v17, v5 dst_sel:DWORD dst_unused:UNUSED_PAD src0_sel:WORD_1
	v_cvt_f32_u32_sdwa v16, v5 dst_sel:DWORD dst_unused:UNUSED_PAD src0_sel:WORD_0
	s_mul_hi_i32 s1, s7, s6
	s_mul_i32 s0, s7, s6
	s_lshl_b64 s[0:1], s[0:1], 1
	s_add_u32 s12, s28, s0
	;;#ASMSTART
	v_pk_mul_f32 v[6:7], v[12:13], v[6:7]
	;;#ASMEND
	v_pk_add_f32 v[12:13], v[18:19], 1.0 op_sel_hi:[1,0]
	;;#ASMSTART
	v_pk_mul_f32 v[4:5], v[10:11], v[12:13]
	;;#ASMEND
	v_pk_add_f32 v[10:11], v[14:15], 1.0 op_sel_hi:[1,0]
	s_addc_u32 s0, s29, s1
	;;#ASMSTART
	v_pk_mul_f32 v[8:9], v[8:9], v[10:11]
	;;#ASMEND
	v_pk_add_f32 v[10:11], v[16:17], 1.0 op_sel_hi:[1,0]
	s_and_b32 s13, s0, 0xffff
	s_mov_b32 s0, 0x7060302
	;;#ASMSTART
	v_pk_mul_f32 v[10:11], v[2:3], v[10:11]
	;;#ASMEND
	v_perm_b32 v2, v7, v6, s0
	v_perm_b32 v3, v5, v4, s0
	;; [unrolled: 1-line block ×4, first 2 shown]
	buffer_store_dwordx4 v[2:5], v1, s[12:15], 0 offen
	;;#ASMSTART
	s_nop 0
	;;#ASMEND
	s_endpgm
	.section	.rodata,"a",@progbits
	.p2align	6, 0x0
	.amdhsa_kernel _ZN5aiter35fused_qk_rmsnorm_group_quant_kernelItN4opus5fp4_tELi256ELi8ELi16ELb0ELb0ELb1ELb0ELb0ELb0EEEvPT0_PvPT_S7_S7_PKS6_S9_S9_S9_S9_ffiiiiiiiiiiiii
		.amdhsa_group_segment_fixed_size 32
		.amdhsa_private_segment_fixed_size 0
		.amdhsa_kernarg_size 400
		.amdhsa_user_sgpr_count 6
		.amdhsa_user_sgpr_private_segment_buffer 1
		.amdhsa_user_sgpr_dispatch_ptr 0
		.amdhsa_user_sgpr_queue_ptr 0
		.amdhsa_user_sgpr_kernarg_segment_ptr 1
		.amdhsa_user_sgpr_dispatch_id 0
		.amdhsa_user_sgpr_flat_scratch_init 0
		.amdhsa_user_sgpr_kernarg_preload_length 0
		.amdhsa_user_sgpr_kernarg_preload_offset 0
		.amdhsa_user_sgpr_private_segment_size 0
		.amdhsa_uses_dynamic_stack 0
		.amdhsa_system_sgpr_private_segment_wavefront_offset 0
		.amdhsa_system_sgpr_workgroup_id_x 1
		.amdhsa_system_sgpr_workgroup_id_y 1
		.amdhsa_system_sgpr_workgroup_id_z 0
		.amdhsa_system_sgpr_workgroup_info 0
		.amdhsa_system_vgpr_workitem_id 0
		.amdhsa_next_free_vgpr 23
		.amdhsa_next_free_sgpr 32
		.amdhsa_accum_offset 24
		.amdhsa_reserve_vcc 1
		.amdhsa_reserve_flat_scratch 0
		.amdhsa_float_round_mode_32 0
		.amdhsa_float_round_mode_16_64 0
		.amdhsa_float_denorm_mode_32 3
		.amdhsa_float_denorm_mode_16_64 3
		.amdhsa_dx10_clamp 1
		.amdhsa_ieee_mode 1
		.amdhsa_fp16_overflow 0
		.amdhsa_tg_split 0
		.amdhsa_exception_fp_ieee_invalid_op 0
		.amdhsa_exception_fp_denorm_src 0
		.amdhsa_exception_fp_ieee_div_zero 0
		.amdhsa_exception_fp_ieee_overflow 0
		.amdhsa_exception_fp_ieee_underflow 0
		.amdhsa_exception_fp_ieee_inexact 0
		.amdhsa_exception_int_div_zero 0
	.end_amdhsa_kernel
	.section	.text._ZN5aiter35fused_qk_rmsnorm_group_quant_kernelItN4opus5fp4_tELi256ELi8ELi16ELb0ELb0ELb1ELb0ELb0ELb0EEEvPT0_PvPT_S7_S7_PKS6_S9_S9_S9_S9_ffiiiiiiiiiiiii,"axG",@progbits,_ZN5aiter35fused_qk_rmsnorm_group_quant_kernelItN4opus5fp4_tELi256ELi8ELi16ELb0ELb0ELb1ELb0ELb0ELb0EEEvPT0_PvPT_S7_S7_PKS6_S9_S9_S9_S9_ffiiiiiiiiiiiii,comdat
.Lfunc_end500:
	.size	_ZN5aiter35fused_qk_rmsnorm_group_quant_kernelItN4opus5fp4_tELi256ELi8ELi16ELb0ELb0ELb1ELb0ELb0ELb0EEEvPT0_PvPT_S7_S7_PKS6_S9_S9_S9_S9_ffiiiiiiiiiiiii, .Lfunc_end500-_ZN5aiter35fused_qk_rmsnorm_group_quant_kernelItN4opus5fp4_tELi256ELi8ELi16ELb0ELb0ELb1ELb0ELb0ELb0EEEvPT0_PvPT_S7_S7_PKS6_S9_S9_S9_S9_ffiiiiiiiiiiiii
                                        ; -- End function
	.section	.AMDGPU.csdata,"",@progbits
; Kernel info:
; codeLenInByte = 2384
; NumSgprs: 36
; NumVgprs: 23
; NumAgprs: 0
; TotalNumVgprs: 23
; ScratchSize: 0
; MemoryBound: 0
; FloatMode: 240
; IeeeMode: 1
; LDSByteSize: 32 bytes/workgroup (compile time only)
; SGPRBlocks: 4
; VGPRBlocks: 2
; NumSGPRsForWavesPerEU: 36
; NumVGPRsForWavesPerEU: 23
; AccumOffset: 24
; Occupancy: 8
; WaveLimiterHint : 0
; COMPUTE_PGM_RSRC2:SCRATCH_EN: 0
; COMPUTE_PGM_RSRC2:USER_SGPR: 6
; COMPUTE_PGM_RSRC2:TRAP_HANDLER: 0
; COMPUTE_PGM_RSRC2:TGID_X_EN: 1
; COMPUTE_PGM_RSRC2:TGID_Y_EN: 1
; COMPUTE_PGM_RSRC2:TGID_Z_EN: 0
; COMPUTE_PGM_RSRC2:TIDIG_COMP_CNT: 0
; COMPUTE_PGM_RSRC3_GFX90A:ACCUM_OFFSET: 5
; COMPUTE_PGM_RSRC3_GFX90A:TG_SPLIT: 0
	.section	.text._ZN5aiter35fused_qk_rmsnorm_group_quant_kernelIDF16_DB8_Li256ELi8ELi16ELb0ELb0ELb0ELb0ELb0ELb0EEEvPT0_PvPT_S6_S6_PKS5_S8_S8_S8_S8_ffiiiiiiiiiiiii,"axG",@progbits,_ZN5aiter35fused_qk_rmsnorm_group_quant_kernelIDF16_DB8_Li256ELi8ELi16ELb0ELb0ELb0ELb0ELb0ELb0EEEvPT0_PvPT_S6_S6_PKS5_S8_S8_S8_S8_ffiiiiiiiiiiiii,comdat
	.protected	_ZN5aiter35fused_qk_rmsnorm_group_quant_kernelIDF16_DB8_Li256ELi8ELi16ELb0ELb0ELb0ELb0ELb0ELb0EEEvPT0_PvPT_S6_S6_PKS5_S8_S8_S8_S8_ffiiiiiiiiiiiii ; -- Begin function _ZN5aiter35fused_qk_rmsnorm_group_quant_kernelIDF16_DB8_Li256ELi8ELi16ELb0ELb0ELb0ELb0ELb0ELb0EEEvPT0_PvPT_S6_S6_PKS5_S8_S8_S8_S8_ffiiiiiiiiiiiii
	.globl	_ZN5aiter35fused_qk_rmsnorm_group_quant_kernelIDF16_DB8_Li256ELi8ELi16ELb0ELb0ELb0ELb0ELb0ELb0EEEvPT0_PvPT_S6_S6_PKS5_S8_S8_S8_S8_ffiiiiiiiiiiiii
	.p2align	8
	.type	_ZN5aiter35fused_qk_rmsnorm_group_quant_kernelIDF16_DB8_Li256ELi8ELi16ELb0ELb0ELb0ELb0ELb0ELb0EEEvPT0_PvPT_S6_S6_PKS5_S8_S8_S8_S8_ffiiiiiiiiiiiii,@function
_ZN5aiter35fused_qk_rmsnorm_group_quant_kernelIDF16_DB8_Li256ELi8ELi16ELb0ELb0ELb0ELb0ELb0ELb0EEEvPT0_PvPT_S6_S6_PKS5_S8_S8_S8_S8_ffiiiiiiiiiiiii: ; @_ZN5aiter35fused_qk_rmsnorm_group_quant_kernelIDF16_DB8_Li256ELi8ELi16ELb0ELb0ELb0ELb0ELb0ELb0EEEvPT0_PvPT_S6_S6_PKS5_S8_S8_S8_S8_ffiiiiiiiiiiiii
; %bb.0:
	s_load_dwordx4 s[16:19], s[4:5], 0x50
	s_waitcnt lgkmcnt(0)
	s_cmp_ge_i32 s6, s18
	s_cbranch_scc1 .LBB501_12
; %bb.1:
	s_load_dwordx2 s[12:13], s[4:5], 0x48
	s_load_dwordx2 s[30:31], s[4:5], 0x30
	s_load_dwordx4 s[20:23], s[4:5], 0x60
	s_cmp_lg_u32 s7, 0
	s_cselect_b64 s[14:15], -1, 0
	s_cmp_eq_u32 s7, 0
	s_cselect_b64 vcc, -1, 0
	s_and_b64 s[0:1], vcc, exec
	s_waitcnt lgkmcnt(0)
	s_cselect_b32 s7, s19, s20
	s_add_i32 s0, s7, 1
	s_lshr_b32 s1, s0, 31
	s_add_i32 s0, s0, s1
	s_lshl_b32 s0, s0, 1
	v_lshlrev_b32_e32 v1, 3, v0
	s_and_b32 s10, s0, -4
	v_cmp_gt_i32_e64 s[2:3], s7, v1
	v_mov_b32_e32 v10, 0
	v_mov_b32_e32 v2, 0
	;; [unrolled: 1-line block ×9, first 2 shown]
	s_and_saveexec_b64 s[0:1], s[2:3]
	s_cbranch_execz .LBB501_3
; %bb.2:
	s_load_dwordx2 s[8:9], s[4:5], 0x28
	s_load_dwordx2 s[26:27], s[4:5], 0x40
	s_and_b64 s[24:25], vcc, exec
	s_cselect_b32 s11, s21, s22
	v_lshlrev_b32_e32 v11, 4, v0
	s_waitcnt lgkmcnt(0)
	s_cselect_b32 s18, s9, s31
	s_cselect_b32 s21, s8, s30
	s_mul_hi_i32 s9, s11, s6
	s_mul_i32 s8, s11, s6
	s_lshl_b64 s[8:9], s[8:9], 1
	s_add_u32 s24, s21, s8
	s_addc_u32 s18, s18, s9
	s_and_b64 s[8:9], vcc, exec
	s_mov_b32 s11, 0x20000
	s_cselect_b32 s8, s26, s12
	s_cselect_b32 s9, s27, s13
	s_and_b32 s25, s18, 0xffff
	s_mov_b32 s26, s10
	s_mov_b32 s27, s11
	s_and_b32 s9, s9, 0xffff
	buffer_load_dwordx4 v[6:9], v11, s[24:27], 0 offen glc slc
	buffer_load_dwordx4 v[2:5], v11, s[8:11], 0 offen
.LBB501_3:
	s_or_b64 exec, exec, s[0:1]
	v_mov_b32_e32 v11, 0
	v_mov_b32_e32 v16, 0
	;; [unrolled: 1-line block ×7, first 2 shown]
	s_and_saveexec_b64 s[0:1], s[2:3]
	s_cbranch_execz .LBB501_5
; %bb.4:
	s_waitcnt vmcnt(1)
	v_cvt_f32_f16_sdwa v11, v6 dst_sel:DWORD dst_unused:UNUSED_PAD src0_sel:WORD_1
	v_cvt_f32_f16_e32 v10, v6
	v_cvt_f32_f16_sdwa v17, v7 dst_sel:DWORD dst_unused:UNUSED_PAD src0_sel:WORD_1
	v_cvt_f32_f16_e32 v16, v7
	;; [unrolled: 2-line block ×4, first 2 shown]
.LBB501_5:
	s_or_b64 exec, exec, s[0:1]
	s_waitcnt vmcnt(1)
	v_mul_f32_e32 v6, v11, v11
	v_fmac_f32_e32 v6, v10, v10
	v_fmac_f32_e32 v6, v16, v16
	;; [unrolled: 1-line block ×7, first 2 shown]
	v_and_b32_e32 v8, 63, v0
	v_cmp_eq_u32_e64 s[0:1], 63, v8
	v_mov_b32_dpp v7, v6 quad_perm:[1,0,3,2] row_mask:0xf bank_mask:0xf
	v_add_f32_e32 v6, v6, v7
	s_nop 1
	v_mov_b32_dpp v7, v6 quad_perm:[2,3,0,1] row_mask:0xf bank_mask:0xf
	v_add_f32_e32 v6, v6, v7
	s_nop 1
	v_mov_b32_dpp v7, v6 row_half_mirror row_mask:0xf bank_mask:0xf
	v_add_f32_e32 v6, v6, v7
	s_nop 1
	v_mov_b32_dpp v7, v6 row_mirror row_mask:0xf bank_mask:0xf
	v_add_f32_e32 v6, v6, v7
	s_nop 1
	v_mov_b32_dpp v7, v6 row_bcast:15 row_mask:0xf bank_mask:0xf
	v_add_f32_e32 v6, v6, v7
	s_nop 1
	v_mov_b32_dpp v7, v6 row_bcast:31 row_mask:0xf bank_mask:0xf
	s_and_saveexec_b64 s[8:9], s[0:1]
	s_cbranch_execz .LBB501_7
; %bb.6:
	v_add_f32_e32 v6, v6, v7
	v_lshrrev_b32_e32 v7, 4, v0
	v_and_b32_e32 v7, 60, v7
	ds_write_b32 v7, v6 offset:16
.LBB501_7:
	s_or_b64 exec, exec, s[8:9]
	v_and_b32_e32 v6, 3, v0
	v_lshlrev_b32_e32 v18, 2, v6
	s_waitcnt lgkmcnt(0)
	s_barrier
	ds_read_b32 v6, v18 offset:16
	s_load_dwordx2 s[28:29], s[4:5], 0x18
	s_waitcnt lgkmcnt(0)
	v_mov_b32_dpp v7, v6 quad_perm:[1,0,3,2] row_mask:0xf bank_mask:0xf
	v_add_f32_e32 v6, v6, v7
	s_nop 1
	v_mov_b32_dpp v7, v6 quad_perm:[2,3,0,1] row_mask:0xf bank_mask:0xf
	s_and_saveexec_b64 s[8:9], s[2:3]
	s_cbranch_execz .LBB501_9
; %bb.8:
	v_cvt_f32_u32_e32 v8, s7
	v_add_f32_e32 v6, v6, v7
	v_mov_b32_e32 v19, s17
	v_mov_b32_e32 v20, s16
	v_div_scale_f32 v7, s[24:25], v8, v8, v6
	v_rcp_f32_e32 v9, v7
	v_cndmask_b32_e32 v19, v19, v20, vcc
	s_mov_b32 s7, 0x800000
	v_fma_f32 v20, -v7, v9, 1.0
	v_fmac_f32_e32 v9, v20, v9
	v_div_scale_f32 v20, vcc, v6, v8, v6
	v_mul_f32_e32 v21, v20, v9
	v_fma_f32 v22, -v7, v21, v20
	v_fmac_f32_e32 v21, v22, v9
	v_fma_f32 v7, -v7, v21, v20
	v_div_fmas_f32 v7, v7, v9, v21
	v_div_fixup_f32 v6, v7, v8, v6
	v_add_f32_e32 v6, v19, v6
	v_mul_f32_e32 v7, 0x4b800000, v6
	v_cmp_gt_f32_e32 vcc, s7, v6
	v_cndmask_b32_e32 v6, v6, v7, vcc
	v_rsq_f32_e32 v6, v6
	s_waitcnt vmcnt(0)
	v_cvt_f32_f16_sdwa v21, v5 dst_sel:DWORD dst_unused:UNUSED_PAD src0_sel:WORD_1
	v_cvt_f32_f16_e32 v20, v5
	v_mul_f32_e32 v7, 0x45800000, v6
	v_cndmask_b32_e32 v6, v6, v7, vcc
	v_mov_b32_e32 v7, v6
	;;#ASMSTART
	v_pk_mul_f32 v[8:9], v[10:11], v[6:7]
	;;#ASMEND
	;;#ASMSTART
	v_pk_mul_f32 v[16:17], v[16:17], v[6:7]
	;;#ASMEND
	;; [unrolled: 3-line block ×4, first 2 shown]
	v_cvt_f32_f16_sdwa v11, v2 dst_sel:DWORD dst_unused:UNUSED_PAD src0_sel:WORD_1
	v_cvt_f32_f16_e32 v10, v2
	v_cvt_f32_f16_sdwa v13, v3 dst_sel:DWORD dst_unused:UNUSED_PAD src0_sel:WORD_1
	v_cvt_f32_f16_e32 v12, v3
	;; [unrolled: 2-line block ×3, first 2 shown]
	;;#ASMSTART
	v_pk_mul_f32 v[10:11], v[8:9], v[10:11]
	;;#ASMEND
	;;#ASMSTART
	v_pk_mul_f32 v[16:17], v[16:17], v[12:13]
	;;#ASMEND
	;; [unrolled: 3-line block ×4, first 2 shown]
.LBB501_9:
	s_or_b64 exec, exec, s[8:9]
	s_load_dword s7, s[4:5], 0x80
	s_mov_b64 s[8:9], -1
	s_and_b64 vcc, exec, s[14:15]
	s_cbranch_vccnz .LBB501_13
; %bb.10:
	s_andn2_b64 vcc, exec, s[8:9]
	s_cbranch_vccz .LBB501_16
.LBB501_11:
	s_cmp_lt_i32 s20, 1
	s_cbranch_scc0 .LBB501_23
.LBB501_12:
	s_endpgm
.LBB501_13:
	s_and_saveexec_b64 s[14:15], s[2:3]
	s_cbranch_execz .LBB501_15
; %bb.14:
	s_waitcnt lgkmcnt(0)
	s_mul_hi_i32 s9, s7, s6
	s_mul_i32 s8, s7, s6
	s_waitcnt vmcnt(0)
	v_cvt_f16_f32_e32 v2, v10
	v_cvt_f16_f32_e32 v3, v16
	;; [unrolled: 1-line block ×8, first 2 shown]
	s_lshl_b64 s[8:9], s[8:9], 1
	s_add_u32 s8, s28, s8
	s_addc_u32 s9, s29, s9
	s_and_b32 s9, s9, 0xffff
	s_mov_b32 s11, 0x20000
	v_pack_b32_f16 v5, v5, v6
	v_pack_b32_f16 v4, v4, v7
	;; [unrolled: 1-line block ×4, first 2 shown]
	v_lshlrev_b32_e32 v6, 4, v0
	buffer_store_dwordx4 v[2:5], v6, s[8:11], 0 offen
	;;#ASMSTART
	s_nop 0
	;;#ASMEND
.LBB501_15:
	s_or_b64 exec, exec, s[14:15]
	s_cbranch_execnz .LBB501_11
.LBB501_16:
	s_waitcnt vmcnt(0)
	v_mov_b32_e32 v2, 0
	s_and_saveexec_b64 s[8:9], s[2:3]
	s_cbranch_execz .LBB501_18
; %bb.17:
	v_and_b32_e32 v2, 0x7fffffff, v10
	v_and_b32_e32 v3, 0x7fffffff, v11
	v_mov_b32_e32 v4, 0x2edbe6ff
	;;#ASMSTART
	v_max3_f32 v2, v4, v2, v3

	;;#ASMEND
	v_and_b32_e32 v3, 0x7fffffff, v16
	v_and_b32_e32 v4, 0x7fffffff, v17
	;;#ASMSTART
	v_max3_f32 v2, v2, v3, v4

	;;#ASMEND
	v_and_b32_e32 v3, 0x7fffffff, v14
	v_and_b32_e32 v4, 0x7fffffff, v15
	;; [unrolled: 6-line block ×3, first 2 shown]
	;;#ASMSTART
	v_max3_f32 v2, v2, v3, v4

	;;#ASMEND
.LBB501_18:
	s_or_b64 exec, exec, s[8:9]
	s_load_dwordx4 s[24:27], s[4:5], 0x70
	;;#ASMSTART
	v_max_f32 v3, v2, v2 quad_perm:[1,0,3,2] row_mask:0xf bank_mask:0xf bound_ctrl:1
	;;#ASMEND
	;;#ASMSTART
	v_max_f32 v2, v3, v3 quad_perm:[2,3,0,1] row_mask:0xf bank_mask:0xf bound_ctrl:1
	;;#ASMEND
	;;#ASMSTART
	v_max_f32 v3, v2, v2 row_half_mirror row_mask:0xf bank_mask:0xf bound_ctrl:1
	;;#ASMEND
	;;#ASMSTART
	v_max_f32 v2, v3, v3 row_mirror row_mask:0xf bank_mask:0xf bound_ctrl:1
	;;#ASMEND
	v_and_b32_e32 v3, 15, v0
	v_cmp_eq_u32_e32 vcc, 0, v3
	v_cmp_gt_i32_e64 s[8:9], s19, v1
	v_mul_f32_e32 v2, 0x3b124925, v2
	s_and_b64 s[10:11], vcc, s[8:9]
	s_and_saveexec_b64 s[8:9], s[10:11]
	s_cbranch_execz .LBB501_20
; %bb.19:
	s_load_dwordx2 s[10:11], s[4:5], 0x8
	s_waitcnt lgkmcnt(0)
	s_mul_hi_i32 s15, s25, s6
	s_mul_i32 s14, s25, s6
	v_lshrrev_b32_e32 v3, 4, v0
	s_lshl_b64 s[14:15], s[14:15], 2
	v_mad_i64_i32 v[4:5], s[26:27], s26, v3, 0
	s_add_u32 s10, s10, s14
	s_addc_u32 s11, s11, s15
	v_lshlrev_b64 v[4:5], 2, v[4:5]
	v_mov_b32_e32 v3, s11
	v_add_co_u32_e32 v4, vcc, s10, v4
	v_addc_co_u32_e32 v5, vcc, v3, v5, vcc
	global_store_dword v[4:5], v2, off
.LBB501_20:
	s_or_b64 exec, exec, s[8:9]
	;;#ASMSTART
	v_rcp_f32 v2, v2
	;;#ASMEND
	s_and_saveexec_b64 s[14:15], s[2:3]
	s_cbranch_execz .LBB501_22
; %bb.21:
	s_load_dwordx2 s[2:3], s[4:5], 0x0
	s_waitcnt lgkmcnt(0)
	s_mul_i32 s8, s24, s6
	s_mul_hi_i32 s9, s24, s6
	v_mov_b32_e32 v3, v2
	;;#ASMSTART
	v_pk_mul_f32 v[4:5], v[10:11], v[2:3]
	;;#ASMEND
	s_add_u32 s8, s2, s8
	s_addc_u32 s2, s3, s9
	s_add_i32 s3, s19, 3
	s_ashr_i32 s9, s3, 31
	v_mov_b32_e32 v8, 0xc3e00000
	v_mov_b32_e32 v9, 0x43e00000
	;;#ASMSTART
	v_med3_f32 v4, v4, v8, v9
v_med3_f32 v5, v5, v8, v9
v_cvt_pk_fp8_f32 v6, v4, v5
	;;#ASMEND
	s_lshr_b32 s9, s9, 30
	;;#ASMSTART
	v_pk_mul_f32 v[4:5], v[16:17], v[2:3]
	;;#ASMEND
	s_add_i32 s3, s3, s9
	s_and_b32 s9, s2, 0xffff
	;;#ASMSTART
	v_med3_f32 v4, v4, v8, v9
v_med3_f32 v5, v5, v8, v9
v_cvt_pk_fp8_f32 v7, v4, v5
	;;#ASMEND
	s_mov_b32 s2, 0x5040100
	v_perm_b32 v5, v7, v6, s2
	s_movk_i32 s2, 0xff
	v_and_b32_e32 v4, 0xffffff00, v7
	v_and_b32_sdwa v6, v5, s2 dst_sel:DWORD dst_unused:UNUSED_PAD src0_sel:WORD_1 src1_sel:DWORD
	s_mov_b32 s16, 0xffff
	v_or_b32_sdwa v4, v6, v4 dst_sel:WORD_1 dst_unused:UNUSED_PAD src0_sel:DWORD src1_sel:DWORD
	v_and_or_b32 v4, v5, s16, v4
	;;#ASMSTART
	v_pk_mul_f32 v[6:7], v[14:15], v[2:3]
	;;#ASMEND
	v_mov_b32_e32 v5, v6
	;;#ASMSTART
	v_med3_f32 v5, v5, v8, v9
v_med3_f32 v7, v7, v8, v9
v_cvt_pk_fp8_f32 v6, v5, v7
	;;#ASMEND
	;;#ASMSTART
	v_pk_mul_f32 v[2:3], v[12:13], v[2:3]
	;;#ASMEND
	;;#ASMSTART
	v_med3_f32 v2, v2, v8, v9
v_med3_f32 v3, v3, v8, v9
v_cvt_pk_fp8_f32 v5, v2, v3
	;;#ASMEND
	v_lshlrev_b32_e32 v2, 16, v5
	s_and_b32 s10, s3, -4
	s_mov_b32 s11, 0x20000
	v_and_or_b32 v5, v6, s16, v2
	buffer_store_dwordx2 v[4:5], v1, s[8:11], 0 offen
	;;#ASMSTART
	s_nop 0
	;;#ASMEND
.LBB501_22:
	s_or_b64 exec, exec, s[14:15]
	s_cmp_lt_i32 s20, 1
	s_cbranch_scc1 .LBB501_12
.LBB501_23:
	s_load_dword s2, s[4:5], 0x94
	s_waitcnt lgkmcnt(0)
	s_cmp_lg_u32 s2, 1
	s_cbranch_scc1 .LBB501_12
; %bb.24:
	s_lshl_b32 s2, s20, 1
	s_add_i32 s2, s2, 2
	v_cmp_gt_u32_e32 vcc, s20, v1
	s_and_b32 s14, s2, -4
	v_mov_b32_e32 v10, 0
	v_lshlrev_b32_e32 v1, 4, v0
	v_mov_b32_e32 v6, 0
	v_mov_b32_e32 v7, 0
	;; [unrolled: 1-line block ×4, first 2 shown]
	s_waitcnt vmcnt(0)
	v_mov_b32_e32 v2, 0
	v_mov_b32_e32 v3, 0
	;; [unrolled: 1-line block ×4, first 2 shown]
	s_barrier
	s_and_saveexec_b64 s[2:3], vcc
	s_cbranch_execz .LBB501_26
; %bb.25:
	s_mul_hi_i32 s5, s22, s6
	s_mul_i32 s4, s22, s6
	s_and_b32 s13, s13, 0xffff
	s_lshl_b64 s[4:5], s[4:5], 1
	s_add_u32 s8, s30, s4
	s_mov_b32 s15, 0x20000
	s_addc_u32 s4, s31, s5
	s_and_b32 s9, s4, 0xffff
	s_mov_b32 s10, s14
	s_mov_b32 s11, s15
	buffer_load_dwordx4 v[6:9], v1, s[8:11], 0 offen glc slc
	buffer_load_dwordx4 v[2:5], v1, s[12:15], 0 offen
.LBB501_26:
	s_or_b64 exec, exec, s[2:3]
	v_mov_b32_e32 v11, 0
	v_mov_b32_e32 v16, 0
	;; [unrolled: 1-line block ×7, first 2 shown]
	s_and_saveexec_b64 s[2:3], vcc
	s_cbranch_execz .LBB501_28
; %bb.27:
	s_waitcnt vmcnt(1)
	v_cvt_f32_f16_sdwa v11, v6 dst_sel:DWORD dst_unused:UNUSED_PAD src0_sel:WORD_1
	v_cvt_f32_f16_e32 v10, v6
	v_cvt_f32_f16_sdwa v17, v7 dst_sel:DWORD dst_unused:UNUSED_PAD src0_sel:WORD_1
	v_cvt_f32_f16_e32 v16, v7
	;; [unrolled: 2-line block ×4, first 2 shown]
.LBB501_28:
	s_or_b64 exec, exec, s[2:3]
	s_waitcnt vmcnt(1)
	v_mul_f32_e32 v6, v11, v11
	v_fmac_f32_e32 v6, v10, v10
	v_fmac_f32_e32 v6, v16, v16
	;; [unrolled: 1-line block ×7, first 2 shown]
	s_nop 1
	v_mov_b32_dpp v7, v6 quad_perm:[1,0,3,2] row_mask:0xf bank_mask:0xf
	v_add_f32_e32 v6, v6, v7
	s_nop 1
	v_mov_b32_dpp v7, v6 quad_perm:[2,3,0,1] row_mask:0xf bank_mask:0xf
	v_add_f32_e32 v6, v6, v7
	s_nop 1
	v_mov_b32_dpp v7, v6 row_half_mirror row_mask:0xf bank_mask:0xf
	v_add_f32_e32 v6, v6, v7
	s_nop 1
	v_mov_b32_dpp v7, v6 row_mirror row_mask:0xf bank_mask:0xf
	v_add_f32_e32 v6, v6, v7
	s_nop 1
	v_mov_b32_dpp v7, v6 row_bcast:15 row_mask:0xf bank_mask:0xf
	v_add_f32_e32 v6, v6, v7
	s_nop 1
	v_mov_b32_dpp v7, v6 row_bcast:31 row_mask:0xf bank_mask:0xf
	s_and_saveexec_b64 s[2:3], s[0:1]
	s_cbranch_execz .LBB501_30
; %bb.29:
	v_lshrrev_b32_e32 v0, 4, v0
	v_add_f32_e32 v6, v6, v7
	v_and_b32_e32 v0, 60, v0
	ds_write_b32 v0, v6
.LBB501_30:
	s_or_b64 exec, exec, s[2:3]
	s_waitcnt lgkmcnt(0)
	s_barrier
	ds_read_b32 v0, v18
	s_waitcnt lgkmcnt(0)
	s_nop 0
	v_mov_b32_dpp v6, v0 quad_perm:[1,0,3,2] row_mask:0xf bank_mask:0xf
	v_add_f32_e32 v0, v0, v6
	s_nop 1
	v_mov_b32_dpp v6, v0 quad_perm:[2,3,0,1] row_mask:0xf bank_mask:0xf
	s_and_saveexec_b64 s[0:1], vcc
	s_cbranch_execz .LBB501_12
; %bb.31:
	v_cvt_f32_u32_e32 v7, s20
	v_add_f32_e32 v0, v0, v6
	s_mov_b32 s15, 0x20000
	v_div_scale_f32 v6, s[0:1], v7, v7, v0
	v_rcp_f32_e32 v8, v6
	v_div_scale_f32 v9, vcc, v0, v7, v0
	s_mov_b32 s0, 0x800000
	v_fma_f32 v18, -v6, v8, 1.0
	v_fmac_f32_e32 v8, v18, v8
	v_mul_f32_e32 v18, v9, v8
	v_fma_f32 v19, -v6, v18, v9
	v_fmac_f32_e32 v18, v19, v8
	v_fma_f32 v6, -v6, v18, v9
	v_div_fmas_f32 v6, v6, v8, v18
	v_div_fixup_f32 v0, v6, v7, v0
	v_add_f32_e32 v0, s17, v0
	v_mul_f32_e32 v6, 0x4b800000, v0
	v_cmp_gt_f32_e32 vcc, s0, v0
	v_cndmask_b32_e32 v0, v0, v6, vcc
	v_rsq_f32_e32 v0, v0
	s_waitcnt vmcnt(0)
	v_cvt_f32_f16_sdwa v19, v5 dst_sel:DWORD dst_unused:UNUSED_PAD src0_sel:WORD_1
	v_cvt_f32_f16_e32 v18, v5
	s_mul_hi_i32 s1, s7, s6
	v_mul_f32_e32 v6, 0x45800000, v0
	v_cndmask_b32_e32 v6, v0, v6, vcc
	v_mov_b32_e32 v7, v6
	;;#ASMSTART
	v_pk_mul_f32 v[8:9], v[10:11], v[6:7]
	;;#ASMEND
	;;#ASMSTART
	v_pk_mul_f32 v[10:11], v[16:17], v[6:7]
	;;#ASMEND
	;;#ASMSTART
	v_pk_mul_f32 v[14:15], v[14:15], v[6:7]
	;;#ASMEND
	;;#ASMSTART
	v_pk_mul_f32 v[6:7], v[12:13], v[6:7]
	;;#ASMEND
	v_cvt_f32_f16_sdwa v13, v2 dst_sel:DWORD dst_unused:UNUSED_PAD src0_sel:WORD_1
	v_cvt_f32_f16_e32 v12, v2
	v_cvt_f32_f16_sdwa v17, v3 dst_sel:DWORD dst_unused:UNUSED_PAD src0_sel:WORD_1
	v_cvt_f32_f16_e32 v16, v3
	;; [unrolled: 2-line block ×3, first 2 shown]
	;;#ASMSTART
	v_pk_mul_f32 v[4:5], v[8:9], v[12:13]
	;;#ASMEND
	;;#ASMSTART
	v_pk_mul_f32 v[8:9], v[10:11], v[16:17]
	;;#ASMEND
	;; [unrolled: 3-line block ×4, first 2 shown]
	s_mul_i32 s0, s7, s6
	v_cvt_f16_f32_e32 v0, v4
	v_cvt_f16_f32_e32 v4, v5
	;; [unrolled: 1-line block ×8, first 2 shown]
	s_lshl_b64 s[0:1], s[0:1], 1
	s_add_u32 s12, s28, s0
	s_addc_u32 s0, s29, s1
	s_and_b32 s13, s0, 0xffff
	v_pack_b32_f16 v2, v0, v4
	v_pack_b32_f16 v3, v5, v8
	;; [unrolled: 1-line block ×4, first 2 shown]
	buffer_store_dwordx4 v[2:5], v1, s[12:15], 0 offen
	;;#ASMSTART
	s_nop 0
	;;#ASMEND
	s_endpgm
	.section	.rodata,"a",@progbits
	.p2align	6, 0x0
	.amdhsa_kernel _ZN5aiter35fused_qk_rmsnorm_group_quant_kernelIDF16_DB8_Li256ELi8ELi16ELb0ELb0ELb0ELb0ELb0ELb0EEEvPT0_PvPT_S6_S6_PKS5_S8_S8_S8_S8_ffiiiiiiiiiiiii
		.amdhsa_group_segment_fixed_size 32
		.amdhsa_private_segment_fixed_size 0
		.amdhsa_kernarg_size 400
		.amdhsa_user_sgpr_count 6
		.amdhsa_user_sgpr_private_segment_buffer 1
		.amdhsa_user_sgpr_dispatch_ptr 0
		.amdhsa_user_sgpr_queue_ptr 0
		.amdhsa_user_sgpr_kernarg_segment_ptr 1
		.amdhsa_user_sgpr_dispatch_id 0
		.amdhsa_user_sgpr_flat_scratch_init 0
		.amdhsa_user_sgpr_kernarg_preload_length 0
		.amdhsa_user_sgpr_kernarg_preload_offset 0
		.amdhsa_user_sgpr_private_segment_size 0
		.amdhsa_uses_dynamic_stack 0
		.amdhsa_system_sgpr_private_segment_wavefront_offset 0
		.amdhsa_system_sgpr_workgroup_id_x 1
		.amdhsa_system_sgpr_workgroup_id_y 1
		.amdhsa_system_sgpr_workgroup_id_z 0
		.amdhsa_system_sgpr_workgroup_info 0
		.amdhsa_system_vgpr_workitem_id 0
		.amdhsa_next_free_vgpr 23
		.amdhsa_next_free_sgpr 32
		.amdhsa_accum_offset 24
		.amdhsa_reserve_vcc 1
		.amdhsa_reserve_flat_scratch 0
		.amdhsa_float_round_mode_32 0
		.amdhsa_float_round_mode_16_64 0
		.amdhsa_float_denorm_mode_32 3
		.amdhsa_float_denorm_mode_16_64 3
		.amdhsa_dx10_clamp 1
		.amdhsa_ieee_mode 1
		.amdhsa_fp16_overflow 0
		.amdhsa_tg_split 0
		.amdhsa_exception_fp_ieee_invalid_op 0
		.amdhsa_exception_fp_denorm_src 0
		.amdhsa_exception_fp_ieee_div_zero 0
		.amdhsa_exception_fp_ieee_overflow 0
		.amdhsa_exception_fp_ieee_underflow 0
		.amdhsa_exception_fp_ieee_inexact 0
		.amdhsa_exception_int_div_zero 0
	.end_amdhsa_kernel
	.section	.text._ZN5aiter35fused_qk_rmsnorm_group_quant_kernelIDF16_DB8_Li256ELi8ELi16ELb0ELb0ELb0ELb0ELb0ELb0EEEvPT0_PvPT_S6_S6_PKS5_S8_S8_S8_S8_ffiiiiiiiiiiiii,"axG",@progbits,_ZN5aiter35fused_qk_rmsnorm_group_quant_kernelIDF16_DB8_Li256ELi8ELi16ELb0ELb0ELb0ELb0ELb0ELb0EEEvPT0_PvPT_S6_S6_PKS5_S8_S8_S8_S8_ffiiiiiiiiiiiii,comdat
.Lfunc_end501:
	.size	_ZN5aiter35fused_qk_rmsnorm_group_quant_kernelIDF16_DB8_Li256ELi8ELi16ELb0ELb0ELb0ELb0ELb0ELb0EEEvPT0_PvPT_S6_S6_PKS5_S8_S8_S8_S8_ffiiiiiiiiiiiii, .Lfunc_end501-_ZN5aiter35fused_qk_rmsnorm_group_quant_kernelIDF16_DB8_Li256ELi8ELi16ELb0ELb0ELb0ELb0ELb0ELb0EEEvPT0_PvPT_S6_S6_PKS5_S8_S8_S8_S8_ffiiiiiiiiiiiii
                                        ; -- End function
	.section	.AMDGPU.csdata,"",@progbits
; Kernel info:
; codeLenInByte = 2488
; NumSgprs: 36
; NumVgprs: 23
; NumAgprs: 0
; TotalNumVgprs: 23
; ScratchSize: 0
; MemoryBound: 0
; FloatMode: 240
; IeeeMode: 1
; LDSByteSize: 32 bytes/workgroup (compile time only)
; SGPRBlocks: 4
; VGPRBlocks: 2
; NumSGPRsForWavesPerEU: 36
; NumVGPRsForWavesPerEU: 23
; AccumOffset: 24
; Occupancy: 8
; WaveLimiterHint : 0
; COMPUTE_PGM_RSRC2:SCRATCH_EN: 0
; COMPUTE_PGM_RSRC2:USER_SGPR: 6
; COMPUTE_PGM_RSRC2:TRAP_HANDLER: 0
; COMPUTE_PGM_RSRC2:TGID_X_EN: 1
; COMPUTE_PGM_RSRC2:TGID_Y_EN: 1
; COMPUTE_PGM_RSRC2:TGID_Z_EN: 0
; COMPUTE_PGM_RSRC2:TIDIG_COMP_CNT: 0
; COMPUTE_PGM_RSRC3_GFX90A:ACCUM_OFFSET: 5
; COMPUTE_PGM_RSRC3_GFX90A:TG_SPLIT: 0
	.section	.text._ZN5aiter35fused_qk_rmsnorm_group_quant_kernelItDB8_Li256ELi8ELi16ELb0ELb0ELb0ELb0ELb0ELb0EEEvPT0_PvPT_S6_S6_PKS5_S8_S8_S8_S8_ffiiiiiiiiiiiii,"axG",@progbits,_ZN5aiter35fused_qk_rmsnorm_group_quant_kernelItDB8_Li256ELi8ELi16ELb0ELb0ELb0ELb0ELb0ELb0EEEvPT0_PvPT_S6_S6_PKS5_S8_S8_S8_S8_ffiiiiiiiiiiiii,comdat
	.protected	_ZN5aiter35fused_qk_rmsnorm_group_quant_kernelItDB8_Li256ELi8ELi16ELb0ELb0ELb0ELb0ELb0ELb0EEEvPT0_PvPT_S6_S6_PKS5_S8_S8_S8_S8_ffiiiiiiiiiiiii ; -- Begin function _ZN5aiter35fused_qk_rmsnorm_group_quant_kernelItDB8_Li256ELi8ELi16ELb0ELb0ELb0ELb0ELb0ELb0EEEvPT0_PvPT_S6_S6_PKS5_S8_S8_S8_S8_ffiiiiiiiiiiiii
	.globl	_ZN5aiter35fused_qk_rmsnorm_group_quant_kernelItDB8_Li256ELi8ELi16ELb0ELb0ELb0ELb0ELb0ELb0EEEvPT0_PvPT_S6_S6_PKS5_S8_S8_S8_S8_ffiiiiiiiiiiiii
	.p2align	8
	.type	_ZN5aiter35fused_qk_rmsnorm_group_quant_kernelItDB8_Li256ELi8ELi16ELb0ELb0ELb0ELb0ELb0ELb0EEEvPT0_PvPT_S6_S6_PKS5_S8_S8_S8_S8_ffiiiiiiiiiiiii,@function
_ZN5aiter35fused_qk_rmsnorm_group_quant_kernelItDB8_Li256ELi8ELi16ELb0ELb0ELb0ELb0ELb0ELb0EEEvPT0_PvPT_S6_S6_PKS5_S8_S8_S8_S8_ffiiiiiiiiiiiii: ; @_ZN5aiter35fused_qk_rmsnorm_group_quant_kernelItDB8_Li256ELi8ELi16ELb0ELb0ELb0ELb0ELb0ELb0EEEvPT0_PvPT_S6_S6_PKS5_S8_S8_S8_S8_ffiiiiiiiiiiiii
; %bb.0:
	s_load_dwordx4 s[16:19], s[4:5], 0x50
	s_waitcnt lgkmcnt(0)
	s_cmp_ge_i32 s6, s18
	s_cbranch_scc1 .LBB502_10
; %bb.1:
	s_load_dwordx2 s[12:13], s[4:5], 0x48
	s_load_dwordx2 s[30:31], s[4:5], 0x30
	s_load_dwordx4 s[20:23], s[4:5], 0x60
	s_cmp_lg_u32 s7, 0
	s_cselect_b64 s[14:15], -1, 0
	s_cmp_eq_u32 s7, 0
	s_cselect_b64 vcc, -1, 0
	s_and_b64 s[0:1], vcc, exec
	s_waitcnt lgkmcnt(0)
	s_cselect_b32 s7, s19, s20
	s_add_i32 s0, s7, 1
	s_lshr_b32 s1, s0, 31
	s_add_i32 s0, s0, s1
	s_lshl_b32 s0, s0, 1
	v_lshlrev_b32_e32 v1, 3, v0
	s_and_b32 s10, s0, -4
	v_cmp_gt_i32_e64 s[2:3], s7, v1
	v_mov_b32_e32 v2, 0
	v_mov_b32_e32 v3, 0
	;; [unrolled: 1-line block ×8, first 2 shown]
	s_and_saveexec_b64 s[0:1], s[2:3]
	s_cbranch_execz .LBB502_3
; %bb.2:
	s_load_dwordx2 s[8:9], s[4:5], 0x28
	s_load_dwordx2 s[26:27], s[4:5], 0x40
	s_and_b64 s[24:25], vcc, exec
	s_cselect_b32 s11, s21, s22
	v_lshlrev_b32_e32 v10, 4, v0
	s_waitcnt lgkmcnt(0)
	s_cselect_b32 s18, s9, s31
	s_cselect_b32 s21, s8, s30
	s_mul_hi_i32 s9, s11, s6
	s_mul_i32 s8, s11, s6
	s_lshl_b64 s[8:9], s[8:9], 1
	s_add_u32 s24, s21, s8
	s_addc_u32 s18, s18, s9
	s_and_b64 s[8:9], vcc, exec
	s_mov_b32 s11, 0x20000
	s_cselect_b32 s8, s26, s12
	s_cselect_b32 s9, s27, s13
	s_and_b32 s25, s18, 0xffff
	s_mov_b32 s26, s10
	s_mov_b32 s27, s11
	s_and_b32 s9, s9, 0xffff
	buffer_load_dwordx4 v[6:9], v10, s[24:27], 0 offen glc slc
	buffer_load_dwordx4 v[2:5], v10, s[8:11], 0 offen
.LBB502_3:
	s_or_b64 exec, exec, s[0:1]
	s_waitcnt vmcnt(1)
	v_cvt_f32_u32_sdwa v13, v6 dst_sel:DWORD dst_unused:UNUSED_PAD src0_sel:WORD_1
	v_cvt_f32_u32_sdwa v12, v6 dst_sel:DWORD dst_unused:UNUSED_PAD src0_sel:WORD_0
	v_cvt_f32_u32_sdwa v6, v9 dst_sel:DWORD dst_unused:UNUSED_PAD src0_sel:WORD_1
	v_cvt_f32_u32_sdwa v9, v9 dst_sel:DWORD dst_unused:UNUSED_PAD src0_sel:WORD_0
	;; [unrolled: 2-line block ×4, first 2 shown]
	v_cndmask_b32_e64 v13, 0, v13, s[2:3]
	v_cndmask_b32_e64 v7, 0, v6, s[2:3]
	;; [unrolled: 1-line block ×5, first 2 shown]
	v_mul_f32_e32 v14, v13, v13
	v_cndmask_b32_e64 v10, 0, v10, s[2:3]
	v_fmac_f32_e32 v14, v12, v12
	v_cndmask_b32_e64 v11, 0, v11, s[2:3]
	v_fmac_f32_e32 v14, v10, v10
	;; [unrolled: 2-line block ×3, first 2 shown]
	v_fmac_f32_e32 v14, v8, v8
	v_fmac_f32_e32 v14, v9, v9
	;; [unrolled: 1-line block ×4, first 2 shown]
	v_and_b32_e32 v16, 63, v0
	v_cmp_eq_u32_e64 s[0:1], 63, v16
	v_mov_b32_dpp v15, v14 quad_perm:[1,0,3,2] row_mask:0xf bank_mask:0xf
	v_add_f32_e32 v14, v14, v15
	s_nop 1
	v_mov_b32_dpp v15, v14 quad_perm:[2,3,0,1] row_mask:0xf bank_mask:0xf
	v_add_f32_e32 v14, v14, v15
	s_nop 1
	v_mov_b32_dpp v15, v14 row_half_mirror row_mask:0xf bank_mask:0xf
	v_add_f32_e32 v14, v14, v15
	s_nop 1
	v_mov_b32_dpp v15, v14 row_mirror row_mask:0xf bank_mask:0xf
	v_add_f32_e32 v14, v14, v15
	s_nop 1
	v_mov_b32_dpp v15, v14 row_bcast:15 row_mask:0xf bank_mask:0xf
	v_add_f32_e32 v14, v14, v15
	s_nop 1
	v_mov_b32_dpp v15, v14 row_bcast:31 row_mask:0xf bank_mask:0xf
	s_and_saveexec_b64 s[8:9], s[0:1]
	s_cbranch_execz .LBB502_5
; %bb.4:
	v_add_f32_e32 v14, v14, v15
	v_lshrrev_b32_e32 v15, 4, v0
	v_and_b32_e32 v15, 60, v15
	ds_write_b32 v15, v14 offset:16
.LBB502_5:
	s_or_b64 exec, exec, s[8:9]
	v_and_b32_e32 v14, 3, v0
	v_lshlrev_b32_e32 v14, 2, v14
	s_waitcnt lgkmcnt(0)
	s_barrier
	ds_read_b32 v15, v14 offset:16
	s_load_dwordx2 s[28:29], s[4:5], 0x18
	s_waitcnt lgkmcnt(0)
	v_mov_b32_dpp v16, v15 quad_perm:[1,0,3,2] row_mask:0xf bank_mask:0xf
	v_add_f32_e32 v15, v15, v16
	s_nop 1
	v_mov_b32_dpp v16, v15 quad_perm:[2,3,0,1] row_mask:0xf bank_mask:0xf
	s_and_saveexec_b64 s[8:9], s[2:3]
	s_cbranch_execz .LBB502_7
; %bb.6:
	v_cvt_f32_u32_e32 v17, s7
	v_add_f32_e32 v15, v15, v16
	v_mov_b32_e32 v19, s17
	v_mov_b32_e32 v20, s16
	v_div_scale_f32 v16, s[24:25], v17, v17, v15
	v_rcp_f32_e32 v18, v16
	v_cndmask_b32_e32 v19, v19, v20, vcc
	s_mov_b32 s7, 0x800000
	v_fma_f32 v20, -v16, v18, 1.0
	v_fmac_f32_e32 v18, v20, v18
	v_div_scale_f32 v20, vcc, v15, v17, v15
	v_mul_f32_e32 v21, v20, v18
	v_fma_f32 v22, -v16, v21, v20
	v_fmac_f32_e32 v21, v22, v18
	v_fma_f32 v16, -v16, v21, v20
	v_div_fmas_f32 v16, v16, v18, v21
	v_div_fixup_f32 v15, v16, v17, v15
	v_add_f32_e32 v15, v19, v15
	v_mul_f32_e32 v16, 0x4b800000, v15
	v_cmp_gt_f32_e32 vcc, s7, v15
	v_cndmask_b32_e32 v15, v15, v16, vcc
	v_rsq_f32_e32 v15, v15
	s_waitcnt vmcnt(0)
	v_cvt_f32_u32_sdwa v19, v3 dst_sel:DWORD dst_unused:UNUSED_PAD src0_sel:WORD_1
	v_cvt_f32_u32_sdwa v18, v3 dst_sel:DWORD dst_unused:UNUSED_PAD src0_sel:WORD_0
	v_cvt_f32_u32_sdwa v3, v4 dst_sel:DWORD dst_unused:UNUSED_PAD src0_sel:WORD_1
	v_mul_f32_e32 v16, 0x45800000, v15
	v_cndmask_b32_e32 v16, v15, v16, vcc
	v_mov_b32_e32 v17, v16
	;;#ASMSTART
	v_pk_mul_f32 v[12:13], v[12:13], v[16:17]
	;;#ASMEND
	;;#ASMSTART
	v_pk_mul_f32 v[10:11], v[10:11], v[16:17]
	;;#ASMEND
	;;#ASMSTART
	v_pk_mul_f32 v[8:9], v[8:9], v[16:17]
	;;#ASMEND
	;;#ASMSTART
	v_pk_mul_f32 v[6:7], v[6:7], v[16:17]
	;;#ASMEND
	v_cvt_f32_u32_sdwa v17, v2 dst_sel:DWORD dst_unused:UNUSED_PAD src0_sel:WORD_1
	v_cvt_f32_u32_sdwa v16, v2 dst_sel:DWORD dst_unused:UNUSED_PAD src0_sel:WORD_0
	v_cvt_f32_u32_sdwa v2, v4 dst_sel:DWORD dst_unused:UNUSED_PAD src0_sel:WORD_0
	v_cvt_f32_u32_sdwa v21, v5 dst_sel:DWORD dst_unused:UNUSED_PAD src0_sel:WORD_1
	v_cvt_f32_u32_sdwa v20, v5 dst_sel:DWORD dst_unused:UNUSED_PAD src0_sel:WORD_0
	;;#ASMSTART
	v_pk_mul_f32 v[12:13], v[12:13], v[16:17]
	;;#ASMEND
	;;#ASMSTART
	v_pk_mul_f32 v[10:11], v[10:11], v[18:19]
	;;#ASMEND
	;; [unrolled: 3-line block ×4, first 2 shown]
.LBB502_7:
	s_or_b64 exec, exec, s[8:9]
	s_load_dword s7, s[4:5], 0x80
	s_mov_b64 s[8:9], -1
	s_and_b64 vcc, exec, s[14:15]
	s_cbranch_vccnz .LBB502_11
; %bb.8:
	s_andn2_b64 vcc, exec, s[8:9]
	s_cbranch_vccz .LBB502_14
.LBB502_9:
	s_cmp_lt_i32 s20, 1
	s_cbranch_scc0 .LBB502_21
.LBB502_10:
	s_endpgm
.LBB502_11:
	s_and_saveexec_b64 s[14:15], s[2:3]
	s_cbranch_execz .LBB502_13
; %bb.12:
	s_waitcnt lgkmcnt(0)
	s_mul_hi_i32 s9, s7, s6
	s_mul_i32 s8, s7, s6
	s_lshl_b64 s[8:9], s[8:9], 1
	s_add_u32 s8, s28, s8
	s_addc_u32 s9, s29, s9
	s_mov_b32 s16, 0x7060302
	s_and_b32 s9, s9, 0xffff
	s_mov_b32 s11, 0x20000
	s_waitcnt vmcnt(0)
	v_perm_b32 v2, v13, v12, s16
	v_perm_b32 v3, v11, v10, s16
	;; [unrolled: 1-line block ×4, first 2 shown]
	v_lshlrev_b32_e32 v15, 4, v0
	buffer_store_dwordx4 v[2:5], v15, s[8:11], 0 offen
	;;#ASMSTART
	s_nop 0
	;;#ASMEND
.LBB502_13:
	s_or_b64 exec, exec, s[14:15]
	s_cbranch_execnz .LBB502_9
.LBB502_14:
	s_waitcnt vmcnt(0)
	v_mov_b32_e32 v2, 0
	s_and_saveexec_b64 s[8:9], s[2:3]
	s_cbranch_execz .LBB502_16
; %bb.15:
	v_and_b32_e32 v2, 0x7fffffff, v12
	v_and_b32_e32 v3, 0x7fffffff, v13
	v_mov_b32_e32 v4, 0x2edbe6ff
	;;#ASMSTART
	v_max3_f32 v2, v4, v2, v3

	;;#ASMEND
	v_and_b32_e32 v3, 0x7fffffff, v10
	v_and_b32_e32 v4, 0x7fffffff, v11
	;;#ASMSTART
	v_max3_f32 v2, v2, v3, v4

	;;#ASMEND
	v_and_b32_e32 v3, 0x7fffffff, v8
	v_and_b32_e32 v4, 0x7fffffff, v9
	;; [unrolled: 6-line block ×3, first 2 shown]
	;;#ASMSTART
	v_max3_f32 v2, v2, v3, v4

	;;#ASMEND
.LBB502_16:
	s_or_b64 exec, exec, s[8:9]
	s_load_dwordx4 s[24:27], s[4:5], 0x70
	;;#ASMSTART
	v_max_f32 v3, v2, v2 quad_perm:[1,0,3,2] row_mask:0xf bank_mask:0xf bound_ctrl:1
	;;#ASMEND
	;;#ASMSTART
	v_max_f32 v2, v3, v3 quad_perm:[2,3,0,1] row_mask:0xf bank_mask:0xf bound_ctrl:1
	;;#ASMEND
	;;#ASMSTART
	v_max_f32 v3, v2, v2 row_half_mirror row_mask:0xf bank_mask:0xf bound_ctrl:1
	;;#ASMEND
	;;#ASMSTART
	v_max_f32 v2, v3, v3 row_mirror row_mask:0xf bank_mask:0xf bound_ctrl:1
	;;#ASMEND
	v_and_b32_e32 v3, 15, v0
	v_cmp_eq_u32_e32 vcc, 0, v3
	v_cmp_gt_i32_e64 s[8:9], s19, v1
	v_mul_f32_e32 v2, 0x3b124925, v2
	s_and_b64 s[10:11], vcc, s[8:9]
	s_and_saveexec_b64 s[8:9], s[10:11]
	s_cbranch_execz .LBB502_18
; %bb.17:
	s_load_dwordx2 s[10:11], s[4:5], 0x8
	s_waitcnt lgkmcnt(0)
	s_mul_hi_i32 s15, s25, s6
	s_mul_i32 s14, s25, s6
	v_lshrrev_b32_e32 v3, 4, v0
	s_lshl_b64 s[14:15], s[14:15], 2
	v_mad_i64_i32 v[4:5], s[26:27], s26, v3, 0
	s_add_u32 s10, s10, s14
	s_addc_u32 s11, s11, s15
	v_lshlrev_b64 v[4:5], 2, v[4:5]
	v_mov_b32_e32 v3, s11
	v_add_co_u32_e32 v4, vcc, s10, v4
	v_addc_co_u32_e32 v5, vcc, v3, v5, vcc
	global_store_dword v[4:5], v2, off
.LBB502_18:
	s_or_b64 exec, exec, s[8:9]
	;;#ASMSTART
	v_rcp_f32 v2, v2
	;;#ASMEND
	s_and_saveexec_b64 s[14:15], s[2:3]
	s_cbranch_execz .LBB502_20
; %bb.19:
	s_load_dwordx2 s[2:3], s[4:5], 0x0
	s_waitcnt lgkmcnt(0)
	s_mul_i32 s8, s24, s6
	s_mul_hi_i32 s9, s24, s6
	v_mov_b32_e32 v3, v2
	;;#ASMSTART
	v_pk_mul_f32 v[4:5], v[12:13], v[2:3]
	;;#ASMEND
	s_add_u32 s8, s2, s8
	s_addc_u32 s2, s3, s9
	s_add_i32 s3, s19, 3
	s_ashr_i32 s9, s3, 31
	v_mov_b32_e32 v12, 0xc3e00000
	v_mov_b32_e32 v13, 0x43e00000
	;;#ASMSTART
	v_med3_f32 v4, v4, v12, v13
v_med3_f32 v5, v5, v12, v13
v_cvt_pk_fp8_f32 v15, v4, v5
	;;#ASMEND
	s_lshr_b32 s9, s9, 30
	;;#ASMSTART
	v_pk_mul_f32 v[4:5], v[10:11], v[2:3]
	;;#ASMEND
	s_add_i32 s3, s3, s9
	s_and_b32 s9, s2, 0xffff
	;;#ASMSTART
	v_med3_f32 v4, v4, v12, v13
v_med3_f32 v5, v5, v12, v13
v_cvt_pk_fp8_f32 v10, v4, v5
	;;#ASMEND
	s_mov_b32 s2, 0x5040100
	v_perm_b32 v5, v10, v15, s2
	s_movk_i32 s2, 0xff
	v_and_b32_e32 v4, 0xffffff00, v10
	v_and_b32_sdwa v10, v5, s2 dst_sel:DWORD dst_unused:UNUSED_PAD src0_sel:WORD_1 src1_sel:DWORD
	s_mov_b32 s16, 0xffff
	v_or_b32_sdwa v4, v10, v4 dst_sel:WORD_1 dst_unused:UNUSED_PAD src0_sel:DWORD src1_sel:DWORD
	v_and_or_b32 v4, v5, s16, v4
	;;#ASMSTART
	v_pk_mul_f32 v[8:9], v[8:9], v[2:3]
	;;#ASMEND
	v_mov_b32_e32 v5, v8
	;;#ASMSTART
	v_med3_f32 v5, v5, v12, v13
v_med3_f32 v9, v9, v12, v13
v_cvt_pk_fp8_f32 v8, v5, v9
	;;#ASMEND
	;;#ASMSTART
	v_pk_mul_f32 v[2:3], v[6:7], v[2:3]
	;;#ASMEND
	;;#ASMSTART
	v_med3_f32 v2, v2, v12, v13
v_med3_f32 v3, v3, v12, v13
v_cvt_pk_fp8_f32 v5, v2, v3
	;;#ASMEND
	v_lshlrev_b32_e32 v2, 16, v5
	s_and_b32 s10, s3, -4
	s_mov_b32 s11, 0x20000
	v_and_or_b32 v5, v8, s16, v2
	buffer_store_dwordx2 v[4:5], v1, s[8:11], 0 offen
	;;#ASMSTART
	s_nop 0
	;;#ASMEND
.LBB502_20:
	s_or_b64 exec, exec, s[14:15]
	s_cmp_lt_i32 s20, 1
	s_cbranch_scc1 .LBB502_10
.LBB502_21:
	s_load_dword s2, s[4:5], 0x94
	s_waitcnt lgkmcnt(0)
	s_cmp_lg_u32 s2, 1
	s_cbranch_scc1 .LBB502_10
; %bb.22:
	s_lshl_b32 s2, s20, 1
	s_add_i32 s2, s2, 2
	v_cmp_gt_u32_e32 vcc, s20, v1
	s_and_b32 s14, s2, -4
	v_mov_b32_e32 v6, 0
	v_lshlrev_b32_e32 v1, 4, v0
	v_mov_b32_e32 v7, 0
	v_mov_b32_e32 v8, 0
	;; [unrolled: 1-line block ×3, first 2 shown]
	s_waitcnt vmcnt(0)
	v_mov_b32_e32 v2, 0
	v_mov_b32_e32 v3, 0
	;; [unrolled: 1-line block ×4, first 2 shown]
	s_barrier
	s_and_saveexec_b64 s[2:3], vcc
	s_cbranch_execz .LBB502_24
; %bb.23:
	s_mul_hi_i32 s5, s22, s6
	s_mul_i32 s4, s22, s6
	s_and_b32 s13, s13, 0xffff
	s_lshl_b64 s[4:5], s[4:5], 1
	s_add_u32 s8, s30, s4
	s_mov_b32 s15, 0x20000
	s_addc_u32 s4, s31, s5
	s_and_b32 s9, s4, 0xffff
	s_mov_b32 s10, s14
	s_mov_b32 s11, s15
	buffer_load_dwordx4 v[6:9], v1, s[8:11], 0 offen glc slc
	buffer_load_dwordx4 v[2:5], v1, s[12:15], 0 offen
.LBB502_24:
	s_or_b64 exec, exec, s[2:3]
	s_waitcnt vmcnt(1)
	v_cvt_f32_u32_sdwa v13, v6 dst_sel:DWORD dst_unused:UNUSED_PAD src0_sel:WORD_1
	v_cvt_f32_u32_sdwa v12, v6 dst_sel:DWORD dst_unused:UNUSED_PAD src0_sel:WORD_0
	v_cvt_f32_u32_sdwa v6, v9 dst_sel:DWORD dst_unused:UNUSED_PAD src0_sel:WORD_1
	v_cvt_f32_u32_sdwa v9, v9 dst_sel:DWORD dst_unused:UNUSED_PAD src0_sel:WORD_0
	;; [unrolled: 2-line block ×4, first 2 shown]
	v_cndmask_b32_e32 v13, 0, v13, vcc
	v_cndmask_b32_e32 v7, 0, v6, vcc
	;; [unrolled: 1-line block ×5, first 2 shown]
	v_mul_f32_e32 v15, v13, v13
	v_cndmask_b32_e32 v10, 0, v10, vcc
	v_fmac_f32_e32 v15, v12, v12
	v_cndmask_b32_e32 v11, 0, v11, vcc
	v_fmac_f32_e32 v15, v10, v10
	v_cndmask_b32_e32 v8, 0, v8, vcc
	v_fmac_f32_e32 v15, v11, v11
	v_fmac_f32_e32 v15, v8, v8
	v_fmac_f32_e32 v15, v9, v9
	;; [unrolled: 1-line block ×4, first 2 shown]
	s_nop 1
	v_mov_b32_dpp v16, v15 quad_perm:[1,0,3,2] row_mask:0xf bank_mask:0xf
	v_add_f32_e32 v15, v15, v16
	s_nop 1
	v_mov_b32_dpp v16, v15 quad_perm:[2,3,0,1] row_mask:0xf bank_mask:0xf
	v_add_f32_e32 v15, v15, v16
	s_nop 1
	v_mov_b32_dpp v16, v15 row_half_mirror row_mask:0xf bank_mask:0xf
	v_add_f32_e32 v15, v15, v16
	s_nop 1
	v_mov_b32_dpp v16, v15 row_mirror row_mask:0xf bank_mask:0xf
	v_add_f32_e32 v15, v15, v16
	s_nop 1
	v_mov_b32_dpp v16, v15 row_bcast:15 row_mask:0xf bank_mask:0xf
	v_add_f32_e32 v15, v15, v16
	s_nop 1
	v_mov_b32_dpp v16, v15 row_bcast:31 row_mask:0xf bank_mask:0xf
	s_and_saveexec_b64 s[2:3], s[0:1]
	s_cbranch_execz .LBB502_26
; %bb.25:
	v_lshrrev_b32_e32 v0, 4, v0
	v_add_f32_e32 v15, v15, v16
	v_and_b32_e32 v0, 60, v0
	ds_write_b32 v0, v15
.LBB502_26:
	s_or_b64 exec, exec, s[2:3]
	s_waitcnt lgkmcnt(0)
	s_barrier
	ds_read_b32 v0, v14
	s_waitcnt lgkmcnt(0)
	s_nop 0
	v_mov_b32_dpp v14, v0 quad_perm:[1,0,3,2] row_mask:0xf bank_mask:0xf
	v_add_f32_e32 v0, v0, v14
	s_nop 1
	v_mov_b32_dpp v14, v0 quad_perm:[2,3,0,1] row_mask:0xf bank_mask:0xf
	s_and_saveexec_b64 s[0:1], vcc
	s_cbranch_execz .LBB502_10
; %bb.27:
	v_cvt_f32_u32_e32 v15, s20
	v_add_f32_e32 v0, v0, v14
	s_mov_b32 s15, 0x20000
	v_div_scale_f32 v14, s[0:1], v15, v15, v0
	v_rcp_f32_e32 v16, v14
	v_div_scale_f32 v17, vcc, v0, v15, v0
	s_mov_b32 s0, 0x800000
	v_fma_f32 v18, -v14, v16, 1.0
	v_fmac_f32_e32 v16, v18, v16
	v_mul_f32_e32 v18, v17, v16
	v_fma_f32 v19, -v14, v18, v17
	v_fmac_f32_e32 v18, v19, v16
	v_fma_f32 v14, -v14, v18, v17
	v_div_fmas_f32 v14, v14, v16, v18
	v_div_fixup_f32 v0, v14, v15, v0
	v_add_f32_e32 v0, s17, v0
	v_mul_f32_e32 v14, 0x4b800000, v0
	v_cmp_gt_f32_e32 vcc, s0, v0
	v_cndmask_b32_e32 v0, v0, v14, vcc
	v_rsq_f32_e32 v0, v0
	s_mul_hi_i32 s1, s7, s6
	s_mul_i32 s0, s7, s6
	s_lshl_b64 s[0:1], s[0:1], 1
	v_mul_f32_e32 v14, 0x45800000, v0
	v_cndmask_b32_e32 v14, v0, v14, vcc
	s_add_u32 s12, s28, s0
	v_mov_b32_e32 v15, v14
	s_addc_u32 s0, s29, s1
	;;#ASMSTART
	v_pk_mul_f32 v[12:13], v[12:13], v[14:15]
	;;#ASMEND
	;;#ASMSTART
	v_pk_mul_f32 v[10:11], v[10:11], v[14:15]
	;;#ASMEND
	;;#ASMSTART
	v_pk_mul_f32 v[8:9], v[8:9], v[14:15]
	;;#ASMEND
	;;#ASMSTART
	v_pk_mul_f32 v[6:7], v[6:7], v[14:15]
	;;#ASMEND
	s_waitcnt vmcnt(0)
	v_cvt_f32_u32_sdwa v15, v2 dst_sel:DWORD dst_unused:UNUSED_PAD src0_sel:WORD_1
	v_cvt_f32_u32_sdwa v14, v2 dst_sel:DWORD dst_unused:UNUSED_PAD src0_sel:WORD_0
	v_cvt_f32_u32_sdwa v17, v3 dst_sel:DWORD dst_unused:UNUSED_PAD src0_sel:WORD_1
	v_cvt_f32_u32_sdwa v16, v3 dst_sel:DWORD dst_unused:UNUSED_PAD src0_sel:WORD_0
	;; [unrolled: 2-line block ×4, first 2 shown]
	;;#ASMSTART
	v_pk_mul_f32 v[4:5], v[12:13], v[14:15]
	;;#ASMEND
	s_and_b32 s13, s0, 0xffff
	s_mov_b32 s0, 0x7060302
	;;#ASMSTART
	v_pk_mul_f32 v[10:11], v[10:11], v[16:17]
	;;#ASMEND
	;;#ASMSTART
	v_pk_mul_f32 v[8:9], v[8:9], v[2:3]
	;;#ASMEND
	;; [unrolled: 3-line block ×3, first 2 shown]
	v_perm_b32 v2, v5, v4, s0
	v_perm_b32 v3, v11, v10, s0
	;; [unrolled: 1-line block ×4, first 2 shown]
	buffer_store_dwordx4 v[2:5], v1, s[12:15], 0 offen
	;;#ASMSTART
	s_nop 0
	;;#ASMEND
	s_endpgm
	.section	.rodata,"a",@progbits
	.p2align	6, 0x0
	.amdhsa_kernel _ZN5aiter35fused_qk_rmsnorm_group_quant_kernelItDB8_Li256ELi8ELi16ELb0ELb0ELb0ELb0ELb0ELb0EEEvPT0_PvPT_S6_S6_PKS5_S8_S8_S8_S8_ffiiiiiiiiiiiii
		.amdhsa_group_segment_fixed_size 32
		.amdhsa_private_segment_fixed_size 0
		.amdhsa_kernarg_size 400
		.amdhsa_user_sgpr_count 6
		.amdhsa_user_sgpr_private_segment_buffer 1
		.amdhsa_user_sgpr_dispatch_ptr 0
		.amdhsa_user_sgpr_queue_ptr 0
		.amdhsa_user_sgpr_kernarg_segment_ptr 1
		.amdhsa_user_sgpr_dispatch_id 0
		.amdhsa_user_sgpr_flat_scratch_init 0
		.amdhsa_user_sgpr_kernarg_preload_length 0
		.amdhsa_user_sgpr_kernarg_preload_offset 0
		.amdhsa_user_sgpr_private_segment_size 0
		.amdhsa_uses_dynamic_stack 0
		.amdhsa_system_sgpr_private_segment_wavefront_offset 0
		.amdhsa_system_sgpr_workgroup_id_x 1
		.amdhsa_system_sgpr_workgroup_id_y 1
		.amdhsa_system_sgpr_workgroup_id_z 0
		.amdhsa_system_sgpr_workgroup_info 0
		.amdhsa_system_vgpr_workitem_id 0
		.amdhsa_next_free_vgpr 23
		.amdhsa_next_free_sgpr 32
		.amdhsa_accum_offset 24
		.amdhsa_reserve_vcc 1
		.amdhsa_reserve_flat_scratch 0
		.amdhsa_float_round_mode_32 0
		.amdhsa_float_round_mode_16_64 0
		.amdhsa_float_denorm_mode_32 3
		.amdhsa_float_denorm_mode_16_64 3
		.amdhsa_dx10_clamp 1
		.amdhsa_ieee_mode 1
		.amdhsa_fp16_overflow 0
		.amdhsa_tg_split 0
		.amdhsa_exception_fp_ieee_invalid_op 0
		.amdhsa_exception_fp_denorm_src 0
		.amdhsa_exception_fp_ieee_div_zero 0
		.amdhsa_exception_fp_ieee_overflow 0
		.amdhsa_exception_fp_ieee_underflow 0
		.amdhsa_exception_fp_ieee_inexact 0
		.amdhsa_exception_int_div_zero 0
	.end_amdhsa_kernel
	.section	.text._ZN5aiter35fused_qk_rmsnorm_group_quant_kernelItDB8_Li256ELi8ELi16ELb0ELb0ELb0ELb0ELb0ELb0EEEvPT0_PvPT_S6_S6_PKS5_S8_S8_S8_S8_ffiiiiiiiiiiiii,"axG",@progbits,_ZN5aiter35fused_qk_rmsnorm_group_quant_kernelItDB8_Li256ELi8ELi16ELb0ELb0ELb0ELb0ELb0ELb0EEEvPT0_PvPT_S6_S6_PKS5_S8_S8_S8_S8_ffiiiiiiiiiiiii,comdat
.Lfunc_end502:
	.size	_ZN5aiter35fused_qk_rmsnorm_group_quant_kernelItDB8_Li256ELi8ELi16ELb0ELb0ELb0ELb0ELb0ELb0EEEvPT0_PvPT_S6_S6_PKS5_S8_S8_S8_S8_ffiiiiiiiiiiiii, .Lfunc_end502-_ZN5aiter35fused_qk_rmsnorm_group_quant_kernelItDB8_Li256ELi8ELi16ELb0ELb0ELb0ELb0ELb0ELb0EEEvPT0_PvPT_S6_S6_PKS5_S8_S8_S8_S8_ffiiiiiiiiiiiii
                                        ; -- End function
	.section	.AMDGPU.csdata,"",@progbits
; Kernel info:
; codeLenInByte = 2504
; NumSgprs: 36
; NumVgprs: 23
; NumAgprs: 0
; TotalNumVgprs: 23
; ScratchSize: 0
; MemoryBound: 0
; FloatMode: 240
; IeeeMode: 1
; LDSByteSize: 32 bytes/workgroup (compile time only)
; SGPRBlocks: 4
; VGPRBlocks: 2
; NumSGPRsForWavesPerEU: 36
; NumVGPRsForWavesPerEU: 23
; AccumOffset: 24
; Occupancy: 8
; WaveLimiterHint : 0
; COMPUTE_PGM_RSRC2:SCRATCH_EN: 0
; COMPUTE_PGM_RSRC2:USER_SGPR: 6
; COMPUTE_PGM_RSRC2:TRAP_HANDLER: 0
; COMPUTE_PGM_RSRC2:TGID_X_EN: 1
; COMPUTE_PGM_RSRC2:TGID_Y_EN: 1
; COMPUTE_PGM_RSRC2:TGID_Z_EN: 0
; COMPUTE_PGM_RSRC2:TIDIG_COMP_CNT: 0
; COMPUTE_PGM_RSRC3_GFX90A:ACCUM_OFFSET: 5
; COMPUTE_PGM_RSRC3_GFX90A:TG_SPLIT: 0
	.section	.text._ZN5aiter35fused_qk_rmsnorm_group_quant_kernelIDF16_N4opus5fp4_tELi256ELi8ELi16ELb0ELb0ELb0ELb0ELb0ELb0EEEvPT0_PvPT_S7_S7_PKS6_S9_S9_S9_S9_ffiiiiiiiiiiiii,"axG",@progbits,_ZN5aiter35fused_qk_rmsnorm_group_quant_kernelIDF16_N4opus5fp4_tELi256ELi8ELi16ELb0ELb0ELb0ELb0ELb0ELb0EEEvPT0_PvPT_S7_S7_PKS6_S9_S9_S9_S9_ffiiiiiiiiiiiii,comdat
	.protected	_ZN5aiter35fused_qk_rmsnorm_group_quant_kernelIDF16_N4opus5fp4_tELi256ELi8ELi16ELb0ELb0ELb0ELb0ELb0ELb0EEEvPT0_PvPT_S7_S7_PKS6_S9_S9_S9_S9_ffiiiiiiiiiiiii ; -- Begin function _ZN5aiter35fused_qk_rmsnorm_group_quant_kernelIDF16_N4opus5fp4_tELi256ELi8ELi16ELb0ELb0ELb0ELb0ELb0ELb0EEEvPT0_PvPT_S7_S7_PKS6_S9_S9_S9_S9_ffiiiiiiiiiiiii
	.globl	_ZN5aiter35fused_qk_rmsnorm_group_quant_kernelIDF16_N4opus5fp4_tELi256ELi8ELi16ELb0ELb0ELb0ELb0ELb0ELb0EEEvPT0_PvPT_S7_S7_PKS6_S9_S9_S9_S9_ffiiiiiiiiiiiii
	.p2align	8
	.type	_ZN5aiter35fused_qk_rmsnorm_group_quant_kernelIDF16_N4opus5fp4_tELi256ELi8ELi16ELb0ELb0ELb0ELb0ELb0ELb0EEEvPT0_PvPT_S7_S7_PKS6_S9_S9_S9_S9_ffiiiiiiiiiiiii,@function
_ZN5aiter35fused_qk_rmsnorm_group_quant_kernelIDF16_N4opus5fp4_tELi256ELi8ELi16ELb0ELb0ELb0ELb0ELb0ELb0EEEvPT0_PvPT_S7_S7_PKS6_S9_S9_S9_S9_ffiiiiiiiiiiiii: ; @_ZN5aiter35fused_qk_rmsnorm_group_quant_kernelIDF16_N4opus5fp4_tELi256ELi8ELi16ELb0ELb0ELb0ELb0ELb0ELb0EEEvPT0_PvPT_S7_S7_PKS6_S9_S9_S9_S9_ffiiiiiiiiiiiii
; %bb.0:
	s_load_dwordx4 s[16:19], s[4:5], 0x50
	s_waitcnt lgkmcnt(0)
	s_cmp_ge_i32 s6, s18
	s_cbranch_scc1 .LBB503_12
; %bb.1:
	s_load_dwordx2 s[12:13], s[4:5], 0x48
	s_load_dwordx2 s[30:31], s[4:5], 0x30
	s_load_dwordx4 s[20:23], s[4:5], 0x60
	s_cmp_lg_u32 s7, 0
	s_cselect_b64 s[14:15], -1, 0
	s_cmp_eq_u32 s7, 0
	s_cselect_b64 vcc, -1, 0
	s_and_b64 s[0:1], vcc, exec
	s_waitcnt lgkmcnt(0)
	s_cselect_b32 s7, s19, s20
	s_add_i32 s0, s7, 1
	s_lshr_b32 s1, s0, 31
	s_add_i32 s0, s0, s1
	s_lshl_b32 s0, s0, 1
	v_lshlrev_b32_e32 v1, 3, v0
	s_and_b32 s10, s0, -4
	v_cmp_gt_i32_e64 s[2:3], s7, v1
	v_mov_b32_e32 v10, 0
	v_mov_b32_e32 v2, 0
	;; [unrolled: 1-line block ×9, first 2 shown]
	s_and_saveexec_b64 s[0:1], s[2:3]
	s_cbranch_execz .LBB503_3
; %bb.2:
	s_load_dwordx2 s[8:9], s[4:5], 0x28
	s_load_dwordx2 s[26:27], s[4:5], 0x40
	s_and_b64 s[24:25], vcc, exec
	s_cselect_b32 s11, s21, s22
	v_lshlrev_b32_e32 v11, 4, v0
	s_waitcnt lgkmcnt(0)
	s_cselect_b32 s18, s9, s31
	s_cselect_b32 s21, s8, s30
	s_mul_hi_i32 s9, s11, s6
	s_mul_i32 s8, s11, s6
	s_lshl_b64 s[8:9], s[8:9], 1
	s_add_u32 s24, s21, s8
	s_addc_u32 s18, s18, s9
	s_and_b64 s[8:9], vcc, exec
	s_mov_b32 s11, 0x20000
	s_cselect_b32 s8, s26, s12
	s_cselect_b32 s9, s27, s13
	s_and_b32 s25, s18, 0xffff
	s_mov_b32 s26, s10
	s_mov_b32 s27, s11
	s_and_b32 s9, s9, 0xffff
	buffer_load_dwordx4 v[6:9], v11, s[24:27], 0 offen glc slc
	buffer_load_dwordx4 v[2:5], v11, s[8:11], 0 offen
.LBB503_3:
	s_or_b64 exec, exec, s[0:1]
	v_mov_b32_e32 v11, 0
	v_mov_b32_e32 v16, 0
	;; [unrolled: 1-line block ×7, first 2 shown]
	s_and_saveexec_b64 s[0:1], s[2:3]
	s_cbranch_execz .LBB503_5
; %bb.4:
	s_waitcnt vmcnt(1)
	v_cvt_f32_f16_sdwa v11, v6 dst_sel:DWORD dst_unused:UNUSED_PAD src0_sel:WORD_1
	v_cvt_f32_f16_e32 v10, v6
	v_cvt_f32_f16_sdwa v17, v7 dst_sel:DWORD dst_unused:UNUSED_PAD src0_sel:WORD_1
	v_cvt_f32_f16_e32 v16, v7
	;; [unrolled: 2-line block ×4, first 2 shown]
.LBB503_5:
	s_or_b64 exec, exec, s[0:1]
	s_waitcnt vmcnt(1)
	v_mul_f32_e32 v6, v11, v11
	v_fmac_f32_e32 v6, v10, v10
	v_fmac_f32_e32 v6, v16, v16
	;; [unrolled: 1-line block ×7, first 2 shown]
	v_and_b32_e32 v8, 63, v0
	v_cmp_eq_u32_e64 s[0:1], 63, v8
	v_mov_b32_dpp v7, v6 quad_perm:[1,0,3,2] row_mask:0xf bank_mask:0xf
	v_add_f32_e32 v6, v6, v7
	s_nop 1
	v_mov_b32_dpp v7, v6 quad_perm:[2,3,0,1] row_mask:0xf bank_mask:0xf
	v_add_f32_e32 v6, v6, v7
	s_nop 1
	v_mov_b32_dpp v7, v6 row_half_mirror row_mask:0xf bank_mask:0xf
	v_add_f32_e32 v6, v6, v7
	s_nop 1
	v_mov_b32_dpp v7, v6 row_mirror row_mask:0xf bank_mask:0xf
	v_add_f32_e32 v6, v6, v7
	s_nop 1
	v_mov_b32_dpp v7, v6 row_bcast:15 row_mask:0xf bank_mask:0xf
	v_add_f32_e32 v6, v6, v7
	s_nop 1
	v_mov_b32_dpp v7, v6 row_bcast:31 row_mask:0xf bank_mask:0xf
	s_and_saveexec_b64 s[8:9], s[0:1]
	s_cbranch_execz .LBB503_7
; %bb.6:
	v_add_f32_e32 v6, v6, v7
	v_lshrrev_b32_e32 v7, 4, v0
	v_and_b32_e32 v7, 60, v7
	ds_write_b32 v7, v6 offset:16
.LBB503_7:
	s_or_b64 exec, exec, s[8:9]
	v_and_b32_e32 v6, 3, v0
	v_lshlrev_b32_e32 v18, 2, v6
	s_waitcnt lgkmcnt(0)
	s_barrier
	ds_read_b32 v6, v18 offset:16
	s_load_dwordx2 s[28:29], s[4:5], 0x18
	s_waitcnt lgkmcnt(0)
	v_mov_b32_dpp v7, v6 quad_perm:[1,0,3,2] row_mask:0xf bank_mask:0xf
	v_add_f32_e32 v6, v6, v7
	s_nop 1
	v_mov_b32_dpp v7, v6 quad_perm:[2,3,0,1] row_mask:0xf bank_mask:0xf
	s_and_saveexec_b64 s[8:9], s[2:3]
	s_cbranch_execz .LBB503_9
; %bb.8:
	v_cvt_f32_u32_e32 v8, s7
	v_add_f32_e32 v6, v6, v7
	v_mov_b32_e32 v19, s17
	v_mov_b32_e32 v20, s16
	v_div_scale_f32 v7, s[24:25], v8, v8, v6
	v_rcp_f32_e32 v9, v7
	v_cndmask_b32_e32 v19, v19, v20, vcc
	s_mov_b32 s7, 0x800000
	v_fma_f32 v20, -v7, v9, 1.0
	v_fmac_f32_e32 v9, v20, v9
	v_div_scale_f32 v20, vcc, v6, v8, v6
	v_mul_f32_e32 v21, v20, v9
	v_fma_f32 v22, -v7, v21, v20
	v_fmac_f32_e32 v21, v22, v9
	v_fma_f32 v7, -v7, v21, v20
	v_div_fmas_f32 v7, v7, v9, v21
	v_div_fixup_f32 v6, v7, v8, v6
	v_add_f32_e32 v6, v19, v6
	v_mul_f32_e32 v7, 0x4b800000, v6
	v_cmp_gt_f32_e32 vcc, s7, v6
	v_cndmask_b32_e32 v6, v6, v7, vcc
	v_rsq_f32_e32 v6, v6
	s_waitcnt vmcnt(0)
	v_cvt_f32_f16_sdwa v21, v5 dst_sel:DWORD dst_unused:UNUSED_PAD src0_sel:WORD_1
	v_cvt_f32_f16_e32 v20, v5
	v_mul_f32_e32 v7, 0x45800000, v6
	v_cndmask_b32_e32 v6, v6, v7, vcc
	v_mov_b32_e32 v7, v6
	;;#ASMSTART
	v_pk_mul_f32 v[8:9], v[10:11], v[6:7]
	;;#ASMEND
	;;#ASMSTART
	v_pk_mul_f32 v[16:17], v[16:17], v[6:7]
	;;#ASMEND
	;; [unrolled: 3-line block ×4, first 2 shown]
	v_cvt_f32_f16_sdwa v11, v2 dst_sel:DWORD dst_unused:UNUSED_PAD src0_sel:WORD_1
	v_cvt_f32_f16_e32 v10, v2
	v_cvt_f32_f16_sdwa v15, v3 dst_sel:DWORD dst_unused:UNUSED_PAD src0_sel:WORD_1
	v_cvt_f32_f16_e32 v14, v3
	;; [unrolled: 2-line block ×3, first 2 shown]
	;;#ASMSTART
	v_pk_mul_f32 v[10:11], v[8:9], v[10:11]
	;;#ASMEND
	;;#ASMSTART
	v_pk_mul_f32 v[16:17], v[16:17], v[14:15]
	;;#ASMEND
	;; [unrolled: 3-line block ×4, first 2 shown]
.LBB503_9:
	s_or_b64 exec, exec, s[8:9]
	s_load_dword s7, s[4:5], 0x80
	s_mov_b64 s[8:9], -1
	s_and_b64 vcc, exec, s[14:15]
	s_cbranch_vccnz .LBB503_13
; %bb.10:
	s_andn2_b64 vcc, exec, s[8:9]
	s_cbranch_vccz .LBB503_16
.LBB503_11:
	s_cmp_lt_i32 s20, 1
	s_cbranch_scc0 .LBB503_23
.LBB503_12:
	s_endpgm
.LBB503_13:
	s_and_saveexec_b64 s[14:15], s[2:3]
	s_cbranch_execz .LBB503_15
; %bb.14:
	s_waitcnt lgkmcnt(0)
	s_mul_hi_i32 s9, s7, s6
	s_mul_i32 s8, s7, s6
	s_waitcnt vmcnt(0)
	v_cvt_f16_f32_e32 v2, v10
	v_cvt_f16_f32_e32 v3, v16
	;; [unrolled: 1-line block ×8, first 2 shown]
	s_lshl_b64 s[8:9], s[8:9], 1
	s_add_u32 s8, s28, s8
	s_addc_u32 s9, s29, s9
	s_and_b32 s9, s9, 0xffff
	s_mov_b32 s11, 0x20000
	v_pack_b32_f16 v5, v5, v6
	v_pack_b32_f16 v4, v4, v7
	;; [unrolled: 1-line block ×4, first 2 shown]
	v_lshlrev_b32_e32 v6, 4, v0
	buffer_store_dwordx4 v[2:5], v6, s[8:11], 0 offen
	;;#ASMSTART
	s_nop 0
	;;#ASMEND
.LBB503_15:
	s_or_b64 exec, exec, s[14:15]
	s_cbranch_execnz .LBB503_11
.LBB503_16:
	s_waitcnt vmcnt(0)
	v_mov_b32_e32 v2, 0
	s_and_saveexec_b64 s[8:9], s[2:3]
	s_cbranch_execz .LBB503_18
; %bb.17:
	v_and_b32_e32 v2, 0x7fffffff, v10
	v_and_b32_e32 v3, 0x7fffffff, v11
	v_mov_b32_e32 v4, 0x2edbe6ff
	;;#ASMSTART
	v_max3_f32 v2, v4, v2, v3

	;;#ASMEND
	v_and_b32_e32 v3, 0x7fffffff, v16
	v_and_b32_e32 v4, 0x7fffffff, v17
	;;#ASMSTART
	v_max3_f32 v2, v2, v3, v4

	;;#ASMEND
	v_and_b32_e32 v3, 0x7fffffff, v12
	v_and_b32_e32 v4, 0x7fffffff, v13
	;; [unrolled: 6-line block ×3, first 2 shown]
	;;#ASMSTART
	v_max3_f32 v2, v2, v3, v4

	;;#ASMEND
.LBB503_18:
	s_or_b64 exec, exec, s[8:9]
	s_load_dwordx4 s[24:27], s[4:5], 0x70
	;;#ASMSTART
	v_max_f32 v3, v2, v2 quad_perm:[1,0,3,2] row_mask:0xf bank_mask:0xf bound_ctrl:1
	;;#ASMEND
	;;#ASMSTART
	v_max_f32 v2, v3, v3 quad_perm:[2,3,0,1] row_mask:0xf bank_mask:0xf bound_ctrl:1
	;;#ASMEND
	;;#ASMSTART
	v_max_f32 v3, v2, v2 row_half_mirror row_mask:0xf bank_mask:0xf bound_ctrl:1
	;;#ASMEND
	;;#ASMSTART
	v_max_f32 v2, v3, v3 row_mirror row_mask:0xf bank_mask:0xf bound_ctrl:1
	;;#ASMEND
	v_and_b32_e32 v3, 15, v0
	v_cmp_eq_u32_e32 vcc, 0, v3
	v_cmp_gt_i32_e64 s[8:9], s19, v1
	s_and_b64 s[10:11], vcc, s[8:9]
	s_and_saveexec_b64 s[8:9], s[10:11]
	s_cbranch_execz .LBB503_20
; %bb.19:
	s_load_dwordx2 s[10:11], s[4:5], 0x8
	v_mul_f32_e32 v2, 0x3e2aaaab, v2
	v_lshrrev_b32_e32 v3, 23, v2
	v_and_b32_e32 v4, 0x7f800000, v2
	v_and_b32_e32 v2, 0x7fffff, v2
	v_cmp_ne_u32_e32 vcc, 0, v2
	s_waitcnt lgkmcnt(0)
	s_mul_i32 s16, s25, s6
	s_mov_b32 s14, 0x7f800000
	v_addc_co_u32_e32 v2, vcc, 0, v3, vcc
	s_mul_hi_i32 s15, s25, s6
	s_add_u32 s10, s10, s16
	v_cmp_ne_u32_e32 vcc, s14, v4
	s_addc_u32 s11, s11, s15
	v_lshrrev_b32_e32 v5, 4, v0
	v_cndmask_b32_e32 v4, -1, v2, vcc
	v_pk_mov_b32 v[2:3], s[10:11], s[10:11] op_sel:[0,1]
	v_mad_i64_i32 v[2:3], s[10:11], s26, v5, v[2:3]
	global_store_byte v[2:3], v4, off
.LBB503_20:
	s_or_b64 exec, exec, s[8:9]
	s_and_saveexec_b64 s[8:9], s[2:3]
	s_cbranch_execz .LBB503_22
; %bb.21:
	s_load_dwordx2 s[2:3], s[4:5], 0x0
	s_waitcnt lgkmcnt(0)
	s_mul_i32 s11, s24, s6
	s_mul_hi_i32 s10, s24, s6
	v_lshlrev_b32_e32 v2, 2, v0
	s_mov_b32 s27, 0x20000
	s_add_u32 s24, s2, s11
	s_addc_u32 s2, s3, s10
	s_lshr_b32 s3, s19, 31
	s_add_i32 s3, s19, s3
	s_ashr_i32 s3, s3, 1
	s_add_i32 s3, s3, 3
	s_ashr_i32 s10, s3, 31
	s_lshr_b32 s10, s10, 30
	s_add_i32 s3, s3, s10
	s_and_b32 s26, s3, -4
	s_and_b32 s25, s2, 0xffff
	v_mov_b32_e32 v3, 0
	buffer_store_dword v3, v2, s[24:27], 0 offen
	;;#ASMSTART
	s_nop 0
	;;#ASMEND
.LBB503_22:
	s_or_b64 exec, exec, s[8:9]
	s_cmp_lt_i32 s20, 1
	s_cbranch_scc1 .LBB503_12
.LBB503_23:
	s_load_dword s2, s[4:5], 0x94
	s_waitcnt lgkmcnt(0)
	s_cmp_lg_u32 s2, 1
	s_cbranch_scc1 .LBB503_12
; %bb.24:
	s_lshl_b32 s2, s20, 1
	s_add_i32 s2, s2, 2
	v_cmp_gt_u32_e32 vcc, s20, v1
	s_and_b32 s14, s2, -4
	v_mov_b32_e32 v10, 0
	v_lshlrev_b32_e32 v1, 4, v0
	v_mov_b32_e32 v6, 0
	v_mov_b32_e32 v7, 0
	v_mov_b32_e32 v8, 0
	v_mov_b32_e32 v9, 0
	s_waitcnt vmcnt(0)
	v_mov_b32_e32 v2, 0
	v_mov_b32_e32 v3, 0
	;; [unrolled: 1-line block ×4, first 2 shown]
	s_barrier
	s_and_saveexec_b64 s[2:3], vcc
	s_cbranch_execz .LBB503_26
; %bb.25:
	s_mul_hi_i32 s5, s22, s6
	s_mul_i32 s4, s22, s6
	s_and_b32 s13, s13, 0xffff
	s_lshl_b64 s[4:5], s[4:5], 1
	s_add_u32 s8, s30, s4
	s_mov_b32 s15, 0x20000
	s_addc_u32 s4, s31, s5
	s_and_b32 s9, s4, 0xffff
	s_mov_b32 s10, s14
	s_mov_b32 s11, s15
	buffer_load_dwordx4 v[6:9], v1, s[8:11], 0 offen glc slc
	buffer_load_dwordx4 v[2:5], v1, s[12:15], 0 offen
.LBB503_26:
	s_or_b64 exec, exec, s[2:3]
	v_mov_b32_e32 v11, 0
	v_mov_b32_e32 v16, 0
	;; [unrolled: 1-line block ×7, first 2 shown]
	s_and_saveexec_b64 s[2:3], vcc
	s_cbranch_execz .LBB503_28
; %bb.27:
	s_waitcnt vmcnt(1)
	v_cvt_f32_f16_sdwa v11, v6 dst_sel:DWORD dst_unused:UNUSED_PAD src0_sel:WORD_1
	v_cvt_f32_f16_e32 v10, v6
	v_cvt_f32_f16_sdwa v17, v7 dst_sel:DWORD dst_unused:UNUSED_PAD src0_sel:WORD_1
	v_cvt_f32_f16_e32 v16, v7
	;; [unrolled: 2-line block ×4, first 2 shown]
.LBB503_28:
	s_or_b64 exec, exec, s[2:3]
	s_waitcnt vmcnt(1)
	v_mul_f32_e32 v6, v11, v11
	v_fmac_f32_e32 v6, v10, v10
	v_fmac_f32_e32 v6, v16, v16
	;; [unrolled: 1-line block ×7, first 2 shown]
	s_nop 1
	v_mov_b32_dpp v7, v6 quad_perm:[1,0,3,2] row_mask:0xf bank_mask:0xf
	v_add_f32_e32 v6, v6, v7
	s_nop 1
	v_mov_b32_dpp v7, v6 quad_perm:[2,3,0,1] row_mask:0xf bank_mask:0xf
	v_add_f32_e32 v6, v6, v7
	s_nop 1
	v_mov_b32_dpp v7, v6 row_half_mirror row_mask:0xf bank_mask:0xf
	v_add_f32_e32 v6, v6, v7
	s_nop 1
	v_mov_b32_dpp v7, v6 row_mirror row_mask:0xf bank_mask:0xf
	v_add_f32_e32 v6, v6, v7
	s_nop 1
	v_mov_b32_dpp v7, v6 row_bcast:15 row_mask:0xf bank_mask:0xf
	v_add_f32_e32 v6, v6, v7
	s_nop 1
	v_mov_b32_dpp v7, v6 row_bcast:31 row_mask:0xf bank_mask:0xf
	s_and_saveexec_b64 s[2:3], s[0:1]
	s_cbranch_execz .LBB503_30
; %bb.29:
	v_lshrrev_b32_e32 v0, 4, v0
	v_add_f32_e32 v6, v6, v7
	v_and_b32_e32 v0, 60, v0
	ds_write_b32 v0, v6
.LBB503_30:
	s_or_b64 exec, exec, s[2:3]
	s_waitcnt lgkmcnt(0)
	s_barrier
	ds_read_b32 v0, v18
	s_waitcnt lgkmcnt(0)
	s_nop 0
	v_mov_b32_dpp v6, v0 quad_perm:[1,0,3,2] row_mask:0xf bank_mask:0xf
	v_add_f32_e32 v0, v0, v6
	s_nop 1
	v_mov_b32_dpp v6, v0 quad_perm:[2,3,0,1] row_mask:0xf bank_mask:0xf
	s_and_saveexec_b64 s[0:1], vcc
	s_cbranch_execz .LBB503_12
; %bb.31:
	v_cvt_f32_u32_e32 v7, s20
	v_add_f32_e32 v0, v0, v6
	s_mov_b32 s15, 0x20000
	v_div_scale_f32 v6, s[0:1], v7, v7, v0
	v_rcp_f32_e32 v8, v6
	v_div_scale_f32 v9, vcc, v0, v7, v0
	s_mov_b32 s0, 0x800000
	v_fma_f32 v18, -v6, v8, 1.0
	v_fmac_f32_e32 v8, v18, v8
	v_mul_f32_e32 v18, v9, v8
	v_fma_f32 v19, -v6, v18, v9
	v_fmac_f32_e32 v18, v19, v8
	v_fma_f32 v6, -v6, v18, v9
	v_div_fmas_f32 v6, v6, v8, v18
	v_div_fixup_f32 v0, v6, v7, v0
	v_add_f32_e32 v0, s17, v0
	v_mul_f32_e32 v6, 0x4b800000, v0
	v_cmp_gt_f32_e32 vcc, s0, v0
	v_cndmask_b32_e32 v0, v0, v6, vcc
	v_rsq_f32_e32 v0, v0
	s_waitcnt vmcnt(0)
	v_cvt_f32_f16_sdwa v19, v5 dst_sel:DWORD dst_unused:UNUSED_PAD src0_sel:WORD_1
	v_cvt_f32_f16_e32 v18, v5
	s_mul_hi_i32 s1, s7, s6
	v_mul_f32_e32 v6, 0x45800000, v0
	v_cndmask_b32_e32 v6, v0, v6, vcc
	v_mov_b32_e32 v7, v6
	;;#ASMSTART
	v_pk_mul_f32 v[8:9], v[10:11], v[6:7]
	;;#ASMEND
	;;#ASMSTART
	v_pk_mul_f32 v[10:11], v[16:17], v[6:7]
	;;#ASMEND
	;; [unrolled: 3-line block ×4, first 2 shown]
	v_cvt_f32_f16_sdwa v13, v2 dst_sel:DWORD dst_unused:UNUSED_PAD src0_sel:WORD_1
	v_cvt_f32_f16_e32 v12, v2
	v_cvt_f32_f16_sdwa v17, v3 dst_sel:DWORD dst_unused:UNUSED_PAD src0_sel:WORD_1
	v_cvt_f32_f16_e32 v16, v3
	;; [unrolled: 2-line block ×3, first 2 shown]
	;;#ASMSTART
	v_pk_mul_f32 v[4:5], v[8:9], v[12:13]
	;;#ASMEND
	;;#ASMSTART
	v_pk_mul_f32 v[8:9], v[10:11], v[16:17]
	;;#ASMEND
	;; [unrolled: 3-line block ×4, first 2 shown]
	s_mul_i32 s0, s7, s6
	v_cvt_f16_f32_e32 v0, v4
	v_cvt_f16_f32_e32 v4, v5
	;; [unrolled: 1-line block ×8, first 2 shown]
	s_lshl_b64 s[0:1], s[0:1], 1
	s_add_u32 s12, s28, s0
	s_addc_u32 s0, s29, s1
	s_and_b32 s13, s0, 0xffff
	v_pack_b32_f16 v2, v0, v4
	v_pack_b32_f16 v3, v5, v8
	;; [unrolled: 1-line block ×4, first 2 shown]
	buffer_store_dwordx4 v[2:5], v1, s[12:15], 0 offen
	;;#ASMSTART
	s_nop 0
	;;#ASMEND
	s_endpgm
	.section	.rodata,"a",@progbits
	.p2align	6, 0x0
	.amdhsa_kernel _ZN5aiter35fused_qk_rmsnorm_group_quant_kernelIDF16_N4opus5fp4_tELi256ELi8ELi16ELb0ELb0ELb0ELb0ELb0ELb0EEEvPT0_PvPT_S7_S7_PKS6_S9_S9_S9_S9_ffiiiiiiiiiiiii
		.amdhsa_group_segment_fixed_size 32
		.amdhsa_private_segment_fixed_size 0
		.amdhsa_kernarg_size 400
		.amdhsa_user_sgpr_count 6
		.amdhsa_user_sgpr_private_segment_buffer 1
		.amdhsa_user_sgpr_dispatch_ptr 0
		.amdhsa_user_sgpr_queue_ptr 0
		.amdhsa_user_sgpr_kernarg_segment_ptr 1
		.amdhsa_user_sgpr_dispatch_id 0
		.amdhsa_user_sgpr_flat_scratch_init 0
		.amdhsa_user_sgpr_kernarg_preload_length 0
		.amdhsa_user_sgpr_kernarg_preload_offset 0
		.amdhsa_user_sgpr_private_segment_size 0
		.amdhsa_uses_dynamic_stack 0
		.amdhsa_system_sgpr_private_segment_wavefront_offset 0
		.amdhsa_system_sgpr_workgroup_id_x 1
		.amdhsa_system_sgpr_workgroup_id_y 1
		.amdhsa_system_sgpr_workgroup_id_z 0
		.amdhsa_system_sgpr_workgroup_info 0
		.amdhsa_system_vgpr_workitem_id 0
		.amdhsa_next_free_vgpr 23
		.amdhsa_next_free_sgpr 32
		.amdhsa_accum_offset 24
		.amdhsa_reserve_vcc 1
		.amdhsa_reserve_flat_scratch 0
		.amdhsa_float_round_mode_32 0
		.amdhsa_float_round_mode_16_64 0
		.amdhsa_float_denorm_mode_32 3
		.amdhsa_float_denorm_mode_16_64 3
		.amdhsa_dx10_clamp 1
		.amdhsa_ieee_mode 1
		.amdhsa_fp16_overflow 0
		.amdhsa_tg_split 0
		.amdhsa_exception_fp_ieee_invalid_op 0
		.amdhsa_exception_fp_denorm_src 0
		.amdhsa_exception_fp_ieee_div_zero 0
		.amdhsa_exception_fp_ieee_overflow 0
		.amdhsa_exception_fp_ieee_underflow 0
		.amdhsa_exception_fp_ieee_inexact 0
		.amdhsa_exception_int_div_zero 0
	.end_amdhsa_kernel
	.section	.text._ZN5aiter35fused_qk_rmsnorm_group_quant_kernelIDF16_N4opus5fp4_tELi256ELi8ELi16ELb0ELb0ELb0ELb0ELb0ELb0EEEvPT0_PvPT_S7_S7_PKS6_S9_S9_S9_S9_ffiiiiiiiiiiiii,"axG",@progbits,_ZN5aiter35fused_qk_rmsnorm_group_quant_kernelIDF16_N4opus5fp4_tELi256ELi8ELi16ELb0ELb0ELb0ELb0ELb0ELb0EEEvPT0_PvPT_S7_S7_PKS6_S9_S9_S9_S9_ffiiiiiiiiiiiii,comdat
.Lfunc_end503:
	.size	_ZN5aiter35fused_qk_rmsnorm_group_quant_kernelIDF16_N4opus5fp4_tELi256ELi8ELi16ELb0ELb0ELb0ELb0ELb0ELb0EEEvPT0_PvPT_S7_S7_PKS6_S9_S9_S9_S9_ffiiiiiiiiiiiii, .Lfunc_end503-_ZN5aiter35fused_qk_rmsnorm_group_quant_kernelIDF16_N4opus5fp4_tELi256ELi8ELi16ELb0ELb0ELb0ELb0ELb0ELb0EEEvPT0_PvPT_S7_S7_PKS6_S9_S9_S9_S9_ffiiiiiiiiiiiii
                                        ; -- End function
	.section	.AMDGPU.csdata,"",@progbits
; Kernel info:
; codeLenInByte = 2304
; NumSgprs: 36
; NumVgprs: 23
; NumAgprs: 0
; TotalNumVgprs: 23
; ScratchSize: 0
; MemoryBound: 0
; FloatMode: 240
; IeeeMode: 1
; LDSByteSize: 32 bytes/workgroup (compile time only)
; SGPRBlocks: 4
; VGPRBlocks: 2
; NumSGPRsForWavesPerEU: 36
; NumVGPRsForWavesPerEU: 23
; AccumOffset: 24
; Occupancy: 8
; WaveLimiterHint : 0
; COMPUTE_PGM_RSRC2:SCRATCH_EN: 0
; COMPUTE_PGM_RSRC2:USER_SGPR: 6
; COMPUTE_PGM_RSRC2:TRAP_HANDLER: 0
; COMPUTE_PGM_RSRC2:TGID_X_EN: 1
; COMPUTE_PGM_RSRC2:TGID_Y_EN: 1
; COMPUTE_PGM_RSRC2:TGID_Z_EN: 0
; COMPUTE_PGM_RSRC2:TIDIG_COMP_CNT: 0
; COMPUTE_PGM_RSRC3_GFX90A:ACCUM_OFFSET: 5
; COMPUTE_PGM_RSRC3_GFX90A:TG_SPLIT: 0
	.section	.text._ZN5aiter35fused_qk_rmsnorm_group_quant_kernelItN4opus5fp4_tELi256ELi8ELi16ELb0ELb0ELb0ELb0ELb0ELb0EEEvPT0_PvPT_S7_S7_PKS6_S9_S9_S9_S9_ffiiiiiiiiiiiii,"axG",@progbits,_ZN5aiter35fused_qk_rmsnorm_group_quant_kernelItN4opus5fp4_tELi256ELi8ELi16ELb0ELb0ELb0ELb0ELb0ELb0EEEvPT0_PvPT_S7_S7_PKS6_S9_S9_S9_S9_ffiiiiiiiiiiiii,comdat
	.protected	_ZN5aiter35fused_qk_rmsnorm_group_quant_kernelItN4opus5fp4_tELi256ELi8ELi16ELb0ELb0ELb0ELb0ELb0ELb0EEEvPT0_PvPT_S7_S7_PKS6_S9_S9_S9_S9_ffiiiiiiiiiiiii ; -- Begin function _ZN5aiter35fused_qk_rmsnorm_group_quant_kernelItN4opus5fp4_tELi256ELi8ELi16ELb0ELb0ELb0ELb0ELb0ELb0EEEvPT0_PvPT_S7_S7_PKS6_S9_S9_S9_S9_ffiiiiiiiiiiiii
	.globl	_ZN5aiter35fused_qk_rmsnorm_group_quant_kernelItN4opus5fp4_tELi256ELi8ELi16ELb0ELb0ELb0ELb0ELb0ELb0EEEvPT0_PvPT_S7_S7_PKS6_S9_S9_S9_S9_ffiiiiiiiiiiiii
	.p2align	8
	.type	_ZN5aiter35fused_qk_rmsnorm_group_quant_kernelItN4opus5fp4_tELi256ELi8ELi16ELb0ELb0ELb0ELb0ELb0ELb0EEEvPT0_PvPT_S7_S7_PKS6_S9_S9_S9_S9_ffiiiiiiiiiiiii,@function
_ZN5aiter35fused_qk_rmsnorm_group_quant_kernelItN4opus5fp4_tELi256ELi8ELi16ELb0ELb0ELb0ELb0ELb0ELb0EEEvPT0_PvPT_S7_S7_PKS6_S9_S9_S9_S9_ffiiiiiiiiiiiii: ; @_ZN5aiter35fused_qk_rmsnorm_group_quant_kernelItN4opus5fp4_tELi256ELi8ELi16ELb0ELb0ELb0ELb0ELb0ELb0EEEvPT0_PvPT_S7_S7_PKS6_S9_S9_S9_S9_ffiiiiiiiiiiiii
; %bb.0:
	s_load_dwordx4 s[16:19], s[4:5], 0x50
	s_waitcnt lgkmcnt(0)
	s_cmp_ge_i32 s6, s18
	s_cbranch_scc1 .LBB504_10
; %bb.1:
	s_load_dwordx2 s[12:13], s[4:5], 0x48
	s_load_dwordx2 s[30:31], s[4:5], 0x30
	s_load_dwordx4 s[20:23], s[4:5], 0x60
	s_cmp_lg_u32 s7, 0
	s_cselect_b64 s[14:15], -1, 0
	s_cmp_eq_u32 s7, 0
	s_cselect_b64 vcc, -1, 0
	s_and_b64 s[0:1], vcc, exec
	s_waitcnt lgkmcnt(0)
	s_cselect_b32 s7, s19, s20
	s_add_i32 s0, s7, 1
	s_lshr_b32 s1, s0, 31
	s_add_i32 s0, s0, s1
	s_lshl_b32 s0, s0, 1
	v_lshlrev_b32_e32 v1, 3, v0
	s_and_b32 s10, s0, -4
	v_cmp_gt_i32_e64 s[2:3], s7, v1
	v_mov_b32_e32 v2, 0
	v_mov_b32_e32 v3, 0
	v_mov_b32_e32 v4, 0
	v_mov_b32_e32 v5, 0
	v_mov_b32_e32 v6, 0
	v_mov_b32_e32 v7, 0
	v_mov_b32_e32 v8, 0
	v_mov_b32_e32 v9, 0
	s_and_saveexec_b64 s[0:1], s[2:3]
	s_cbranch_execz .LBB504_3
; %bb.2:
	s_load_dwordx2 s[8:9], s[4:5], 0x28
	s_load_dwordx2 s[26:27], s[4:5], 0x40
	s_and_b64 s[24:25], vcc, exec
	s_cselect_b32 s11, s21, s22
	v_lshlrev_b32_e32 v10, 4, v0
	s_waitcnt lgkmcnt(0)
	s_cselect_b32 s18, s9, s31
	s_cselect_b32 s21, s8, s30
	s_mul_hi_i32 s9, s11, s6
	s_mul_i32 s8, s11, s6
	s_lshl_b64 s[8:9], s[8:9], 1
	s_add_u32 s24, s21, s8
	s_addc_u32 s18, s18, s9
	s_and_b64 s[8:9], vcc, exec
	s_mov_b32 s11, 0x20000
	s_cselect_b32 s8, s26, s12
	s_cselect_b32 s9, s27, s13
	s_and_b32 s25, s18, 0xffff
	s_mov_b32 s26, s10
	s_mov_b32 s27, s11
	s_and_b32 s9, s9, 0xffff
	buffer_load_dwordx4 v[6:9], v10, s[24:27], 0 offen glc slc
	buffer_load_dwordx4 v[2:5], v10, s[8:11], 0 offen
.LBB504_3:
	s_or_b64 exec, exec, s[0:1]
	s_waitcnt vmcnt(1)
	v_cvt_f32_u32_sdwa v13, v6 dst_sel:DWORD dst_unused:UNUSED_PAD src0_sel:WORD_1
	v_cvt_f32_u32_sdwa v12, v6 dst_sel:DWORD dst_unused:UNUSED_PAD src0_sel:WORD_0
	v_cvt_f32_u32_sdwa v6, v9 dst_sel:DWORD dst_unused:UNUSED_PAD src0_sel:WORD_1
	v_cvt_f32_u32_sdwa v9, v9 dst_sel:DWORD dst_unused:UNUSED_PAD src0_sel:WORD_0
	;; [unrolled: 2-line block ×4, first 2 shown]
	v_cndmask_b32_e64 v13, 0, v13, s[2:3]
	v_cndmask_b32_e64 v7, 0, v6, s[2:3]
	;; [unrolled: 1-line block ×5, first 2 shown]
	v_mul_f32_e32 v14, v13, v13
	v_cndmask_b32_e64 v10, 0, v10, s[2:3]
	v_fmac_f32_e32 v14, v12, v12
	v_cndmask_b32_e64 v11, 0, v11, s[2:3]
	v_fmac_f32_e32 v14, v10, v10
	;; [unrolled: 2-line block ×3, first 2 shown]
	v_fmac_f32_e32 v14, v8, v8
	v_fmac_f32_e32 v14, v9, v9
	;; [unrolled: 1-line block ×4, first 2 shown]
	v_and_b32_e32 v16, 63, v0
	v_cmp_eq_u32_e64 s[0:1], 63, v16
	v_mov_b32_dpp v15, v14 quad_perm:[1,0,3,2] row_mask:0xf bank_mask:0xf
	v_add_f32_e32 v14, v14, v15
	s_nop 1
	v_mov_b32_dpp v15, v14 quad_perm:[2,3,0,1] row_mask:0xf bank_mask:0xf
	v_add_f32_e32 v14, v14, v15
	s_nop 1
	v_mov_b32_dpp v15, v14 row_half_mirror row_mask:0xf bank_mask:0xf
	v_add_f32_e32 v14, v14, v15
	s_nop 1
	v_mov_b32_dpp v15, v14 row_mirror row_mask:0xf bank_mask:0xf
	v_add_f32_e32 v14, v14, v15
	s_nop 1
	v_mov_b32_dpp v15, v14 row_bcast:15 row_mask:0xf bank_mask:0xf
	v_add_f32_e32 v14, v14, v15
	s_nop 1
	v_mov_b32_dpp v15, v14 row_bcast:31 row_mask:0xf bank_mask:0xf
	s_and_saveexec_b64 s[8:9], s[0:1]
	s_cbranch_execz .LBB504_5
; %bb.4:
	v_add_f32_e32 v14, v14, v15
	v_lshrrev_b32_e32 v15, 4, v0
	v_and_b32_e32 v15, 60, v15
	ds_write_b32 v15, v14 offset:16
.LBB504_5:
	s_or_b64 exec, exec, s[8:9]
	v_and_b32_e32 v14, 3, v0
	v_lshlrev_b32_e32 v14, 2, v14
	s_waitcnt lgkmcnt(0)
	s_barrier
	ds_read_b32 v15, v14 offset:16
	s_load_dwordx2 s[28:29], s[4:5], 0x18
	s_waitcnt lgkmcnt(0)
	v_mov_b32_dpp v16, v15 quad_perm:[1,0,3,2] row_mask:0xf bank_mask:0xf
	v_add_f32_e32 v15, v15, v16
	s_nop 1
	v_mov_b32_dpp v16, v15 quad_perm:[2,3,0,1] row_mask:0xf bank_mask:0xf
	s_and_saveexec_b64 s[8:9], s[2:3]
	s_cbranch_execz .LBB504_7
; %bb.6:
	v_cvt_f32_u32_e32 v17, s7
	v_add_f32_e32 v15, v15, v16
	v_mov_b32_e32 v19, s17
	v_mov_b32_e32 v20, s16
	v_div_scale_f32 v16, s[24:25], v17, v17, v15
	v_rcp_f32_e32 v18, v16
	v_cndmask_b32_e32 v19, v19, v20, vcc
	s_mov_b32 s7, 0x800000
	v_fma_f32 v20, -v16, v18, 1.0
	v_fmac_f32_e32 v18, v20, v18
	v_div_scale_f32 v20, vcc, v15, v17, v15
	v_mul_f32_e32 v21, v20, v18
	v_fma_f32 v22, -v16, v21, v20
	v_fmac_f32_e32 v21, v22, v18
	v_fma_f32 v16, -v16, v21, v20
	v_div_fmas_f32 v16, v16, v18, v21
	v_div_fixup_f32 v15, v16, v17, v15
	v_add_f32_e32 v15, v19, v15
	v_mul_f32_e32 v16, 0x4b800000, v15
	v_cmp_gt_f32_e32 vcc, s7, v15
	v_cndmask_b32_e32 v15, v15, v16, vcc
	v_rsq_f32_e32 v15, v15
	s_waitcnt vmcnt(0)
	v_cvt_f32_u32_sdwa v19, v3 dst_sel:DWORD dst_unused:UNUSED_PAD src0_sel:WORD_1
	v_cvt_f32_u32_sdwa v18, v3 dst_sel:DWORD dst_unused:UNUSED_PAD src0_sel:WORD_0
	v_cvt_f32_u32_sdwa v3, v4 dst_sel:DWORD dst_unused:UNUSED_PAD src0_sel:WORD_1
	v_mul_f32_e32 v16, 0x45800000, v15
	v_cndmask_b32_e32 v16, v15, v16, vcc
	v_mov_b32_e32 v17, v16
	;;#ASMSTART
	v_pk_mul_f32 v[12:13], v[12:13], v[16:17]
	;;#ASMEND
	;;#ASMSTART
	v_pk_mul_f32 v[10:11], v[10:11], v[16:17]
	;;#ASMEND
	;; [unrolled: 3-line block ×4, first 2 shown]
	v_cvt_f32_u32_sdwa v17, v2 dst_sel:DWORD dst_unused:UNUSED_PAD src0_sel:WORD_1
	v_cvt_f32_u32_sdwa v16, v2 dst_sel:DWORD dst_unused:UNUSED_PAD src0_sel:WORD_0
	v_cvt_f32_u32_sdwa v2, v4 dst_sel:DWORD dst_unused:UNUSED_PAD src0_sel:WORD_0
	v_cvt_f32_u32_sdwa v21, v5 dst_sel:DWORD dst_unused:UNUSED_PAD src0_sel:WORD_1
	v_cvt_f32_u32_sdwa v20, v5 dst_sel:DWORD dst_unused:UNUSED_PAD src0_sel:WORD_0
	;;#ASMSTART
	v_pk_mul_f32 v[12:13], v[12:13], v[16:17]
	;;#ASMEND
	;;#ASMSTART
	v_pk_mul_f32 v[10:11], v[10:11], v[18:19]
	;;#ASMEND
	;; [unrolled: 3-line block ×4, first 2 shown]
.LBB504_7:
	s_or_b64 exec, exec, s[8:9]
	s_load_dword s7, s[4:5], 0x80
	s_mov_b64 s[8:9], -1
	s_and_b64 vcc, exec, s[14:15]
	s_cbranch_vccnz .LBB504_11
; %bb.8:
	s_andn2_b64 vcc, exec, s[8:9]
	s_cbranch_vccz .LBB504_14
.LBB504_9:
	s_cmp_lt_i32 s20, 1
	s_cbranch_scc0 .LBB504_21
.LBB504_10:
	s_endpgm
.LBB504_11:
	s_and_saveexec_b64 s[14:15], s[2:3]
	s_cbranch_execz .LBB504_13
; %bb.12:
	s_waitcnt lgkmcnt(0)
	s_mul_hi_i32 s9, s7, s6
	s_mul_i32 s8, s7, s6
	s_lshl_b64 s[8:9], s[8:9], 1
	s_add_u32 s8, s28, s8
	s_addc_u32 s9, s29, s9
	s_mov_b32 s16, 0x7060302
	s_and_b32 s9, s9, 0xffff
	s_mov_b32 s11, 0x20000
	s_waitcnt vmcnt(0)
	v_perm_b32 v2, v13, v12, s16
	v_perm_b32 v3, v11, v10, s16
	;; [unrolled: 1-line block ×4, first 2 shown]
	v_lshlrev_b32_e32 v15, 4, v0
	buffer_store_dwordx4 v[2:5], v15, s[8:11], 0 offen
	;;#ASMSTART
	s_nop 0
	;;#ASMEND
.LBB504_13:
	s_or_b64 exec, exec, s[14:15]
	s_cbranch_execnz .LBB504_9
.LBB504_14:
	s_waitcnt vmcnt(0)
	v_mov_b32_e32 v2, 0
	s_and_saveexec_b64 s[8:9], s[2:3]
	s_cbranch_execz .LBB504_16
; %bb.15:
	v_and_b32_e32 v2, 0x7fffffff, v12
	v_and_b32_e32 v3, 0x7fffffff, v13
	v_mov_b32_e32 v4, 0x2edbe6ff
	;;#ASMSTART
	v_max3_f32 v2, v4, v2, v3

	;;#ASMEND
	v_and_b32_e32 v3, 0x7fffffff, v10
	v_and_b32_e32 v4, 0x7fffffff, v11
	;;#ASMSTART
	v_max3_f32 v2, v2, v3, v4

	;;#ASMEND
	v_and_b32_e32 v3, 0x7fffffff, v8
	v_and_b32_e32 v4, 0x7fffffff, v9
	;; [unrolled: 6-line block ×3, first 2 shown]
	;;#ASMSTART
	v_max3_f32 v2, v2, v3, v4

	;;#ASMEND
.LBB504_16:
	s_or_b64 exec, exec, s[8:9]
	s_load_dwordx4 s[24:27], s[4:5], 0x70
	;;#ASMSTART
	v_max_f32 v3, v2, v2 quad_perm:[1,0,3,2] row_mask:0xf bank_mask:0xf bound_ctrl:1
	;;#ASMEND
	;;#ASMSTART
	v_max_f32 v2, v3, v3 quad_perm:[2,3,0,1] row_mask:0xf bank_mask:0xf bound_ctrl:1
	;;#ASMEND
	;;#ASMSTART
	v_max_f32 v3, v2, v2 row_half_mirror row_mask:0xf bank_mask:0xf bound_ctrl:1
	;;#ASMEND
	;;#ASMSTART
	v_max_f32 v2, v3, v3 row_mirror row_mask:0xf bank_mask:0xf bound_ctrl:1
	;;#ASMEND
	v_and_b32_e32 v3, 15, v0
	v_cmp_eq_u32_e32 vcc, 0, v3
	v_cmp_gt_i32_e64 s[8:9], s19, v1
	s_and_b64 s[10:11], vcc, s[8:9]
	s_and_saveexec_b64 s[8:9], s[10:11]
	s_cbranch_execz .LBB504_18
; %bb.17:
	s_load_dwordx2 s[10:11], s[4:5], 0x8
	v_mul_f32_e32 v2, 0x3e2aaaab, v2
	v_lshrrev_b32_e32 v3, 23, v2
	v_and_b32_e32 v4, 0x7f800000, v2
	v_and_b32_e32 v2, 0x7fffff, v2
	v_cmp_ne_u32_e32 vcc, 0, v2
	s_waitcnt lgkmcnt(0)
	s_mul_i32 s16, s25, s6
	s_mov_b32 s14, 0x7f800000
	v_addc_co_u32_e32 v2, vcc, 0, v3, vcc
	s_mul_hi_i32 s15, s25, s6
	s_add_u32 s10, s10, s16
	v_cmp_ne_u32_e32 vcc, s14, v4
	s_addc_u32 s11, s11, s15
	v_lshrrev_b32_e32 v5, 4, v0
	v_cndmask_b32_e32 v4, -1, v2, vcc
	v_pk_mov_b32 v[2:3], s[10:11], s[10:11] op_sel:[0,1]
	v_mad_i64_i32 v[2:3], s[10:11], s26, v5, v[2:3]
	global_store_byte v[2:3], v4, off
.LBB504_18:
	s_or_b64 exec, exec, s[8:9]
	s_and_saveexec_b64 s[8:9], s[2:3]
	s_cbranch_execz .LBB504_20
; %bb.19:
	s_load_dwordx2 s[2:3], s[4:5], 0x0
	s_waitcnt lgkmcnt(0)
	s_mul_i32 s11, s24, s6
	s_mul_hi_i32 s10, s24, s6
	v_lshlrev_b32_e32 v2, 2, v0
	s_mov_b32 s27, 0x20000
	s_add_u32 s24, s2, s11
	s_addc_u32 s2, s3, s10
	s_lshr_b32 s3, s19, 31
	s_add_i32 s3, s19, s3
	s_ashr_i32 s3, s3, 1
	s_add_i32 s3, s3, 3
	s_ashr_i32 s10, s3, 31
	s_lshr_b32 s10, s10, 30
	s_add_i32 s3, s3, s10
	s_and_b32 s26, s3, -4
	s_and_b32 s25, s2, 0xffff
	v_mov_b32_e32 v3, 0
	buffer_store_dword v3, v2, s[24:27], 0 offen
	;;#ASMSTART
	s_nop 0
	;;#ASMEND
.LBB504_20:
	s_or_b64 exec, exec, s[8:9]
	s_cmp_lt_i32 s20, 1
	s_cbranch_scc1 .LBB504_10
.LBB504_21:
	s_load_dword s2, s[4:5], 0x94
	s_waitcnt lgkmcnt(0)
	s_cmp_lg_u32 s2, 1
	s_cbranch_scc1 .LBB504_10
; %bb.22:
	s_lshl_b32 s2, s20, 1
	s_add_i32 s2, s2, 2
	v_cmp_gt_u32_e32 vcc, s20, v1
	s_and_b32 s14, s2, -4
	v_mov_b32_e32 v6, 0
	v_lshlrev_b32_e32 v1, 4, v0
	v_mov_b32_e32 v7, 0
	v_mov_b32_e32 v8, 0
	;; [unrolled: 1-line block ×3, first 2 shown]
	s_waitcnt vmcnt(0)
	v_mov_b32_e32 v2, 0
	v_mov_b32_e32 v3, 0
	v_mov_b32_e32 v4, 0
	v_mov_b32_e32 v5, 0
	s_barrier
	s_and_saveexec_b64 s[2:3], vcc
	s_cbranch_execz .LBB504_24
; %bb.23:
	s_mul_hi_i32 s5, s22, s6
	s_mul_i32 s4, s22, s6
	s_and_b32 s13, s13, 0xffff
	s_lshl_b64 s[4:5], s[4:5], 1
	s_add_u32 s8, s30, s4
	s_mov_b32 s15, 0x20000
	s_addc_u32 s4, s31, s5
	s_and_b32 s9, s4, 0xffff
	s_mov_b32 s10, s14
	s_mov_b32 s11, s15
	buffer_load_dwordx4 v[6:9], v1, s[8:11], 0 offen glc slc
	buffer_load_dwordx4 v[2:5], v1, s[12:15], 0 offen
.LBB504_24:
	s_or_b64 exec, exec, s[2:3]
	s_waitcnt vmcnt(1)
	v_cvt_f32_u32_sdwa v13, v6 dst_sel:DWORD dst_unused:UNUSED_PAD src0_sel:WORD_1
	v_cvt_f32_u32_sdwa v12, v6 dst_sel:DWORD dst_unused:UNUSED_PAD src0_sel:WORD_0
	v_cvt_f32_u32_sdwa v6, v9 dst_sel:DWORD dst_unused:UNUSED_PAD src0_sel:WORD_1
	v_cvt_f32_u32_sdwa v9, v9 dst_sel:DWORD dst_unused:UNUSED_PAD src0_sel:WORD_0
	;; [unrolled: 2-line block ×4, first 2 shown]
	v_cndmask_b32_e32 v13, 0, v13, vcc
	v_cndmask_b32_e32 v7, 0, v6, vcc
	;; [unrolled: 1-line block ×5, first 2 shown]
	v_mul_f32_e32 v15, v13, v13
	v_cndmask_b32_e32 v10, 0, v10, vcc
	v_fmac_f32_e32 v15, v12, v12
	v_cndmask_b32_e32 v11, 0, v11, vcc
	v_fmac_f32_e32 v15, v10, v10
	v_cndmask_b32_e32 v8, 0, v8, vcc
	v_fmac_f32_e32 v15, v11, v11
	v_fmac_f32_e32 v15, v8, v8
	v_fmac_f32_e32 v15, v9, v9
	v_fmac_f32_e32 v15, v6, v6
	v_fmac_f32_e32 v15, v7, v7
	s_nop 1
	v_mov_b32_dpp v16, v15 quad_perm:[1,0,3,2] row_mask:0xf bank_mask:0xf
	v_add_f32_e32 v15, v15, v16
	s_nop 1
	v_mov_b32_dpp v16, v15 quad_perm:[2,3,0,1] row_mask:0xf bank_mask:0xf
	v_add_f32_e32 v15, v15, v16
	s_nop 1
	v_mov_b32_dpp v16, v15 row_half_mirror row_mask:0xf bank_mask:0xf
	v_add_f32_e32 v15, v15, v16
	s_nop 1
	v_mov_b32_dpp v16, v15 row_mirror row_mask:0xf bank_mask:0xf
	v_add_f32_e32 v15, v15, v16
	s_nop 1
	v_mov_b32_dpp v16, v15 row_bcast:15 row_mask:0xf bank_mask:0xf
	v_add_f32_e32 v15, v15, v16
	s_nop 1
	v_mov_b32_dpp v16, v15 row_bcast:31 row_mask:0xf bank_mask:0xf
	s_and_saveexec_b64 s[2:3], s[0:1]
	s_cbranch_execz .LBB504_26
; %bb.25:
	v_lshrrev_b32_e32 v0, 4, v0
	v_add_f32_e32 v15, v15, v16
	v_and_b32_e32 v0, 60, v0
	ds_write_b32 v0, v15
.LBB504_26:
	s_or_b64 exec, exec, s[2:3]
	s_waitcnt lgkmcnt(0)
	s_barrier
	ds_read_b32 v0, v14
	s_waitcnt lgkmcnt(0)
	s_nop 0
	v_mov_b32_dpp v14, v0 quad_perm:[1,0,3,2] row_mask:0xf bank_mask:0xf
	v_add_f32_e32 v0, v0, v14
	s_nop 1
	v_mov_b32_dpp v14, v0 quad_perm:[2,3,0,1] row_mask:0xf bank_mask:0xf
	s_and_saveexec_b64 s[0:1], vcc
	s_cbranch_execz .LBB504_10
; %bb.27:
	v_cvt_f32_u32_e32 v15, s20
	v_add_f32_e32 v0, v0, v14
	s_mov_b32 s15, 0x20000
	v_div_scale_f32 v14, s[0:1], v15, v15, v0
	v_rcp_f32_e32 v16, v14
	v_div_scale_f32 v17, vcc, v0, v15, v0
	s_mov_b32 s0, 0x800000
	v_fma_f32 v18, -v14, v16, 1.0
	v_fmac_f32_e32 v16, v18, v16
	v_mul_f32_e32 v18, v17, v16
	v_fma_f32 v19, -v14, v18, v17
	v_fmac_f32_e32 v18, v19, v16
	v_fma_f32 v14, -v14, v18, v17
	v_div_fmas_f32 v14, v14, v16, v18
	v_div_fixup_f32 v0, v14, v15, v0
	v_add_f32_e32 v0, s17, v0
	v_mul_f32_e32 v14, 0x4b800000, v0
	v_cmp_gt_f32_e32 vcc, s0, v0
	v_cndmask_b32_e32 v0, v0, v14, vcc
	v_rsq_f32_e32 v0, v0
	s_mul_hi_i32 s1, s7, s6
	s_mul_i32 s0, s7, s6
	s_lshl_b64 s[0:1], s[0:1], 1
	v_mul_f32_e32 v14, 0x45800000, v0
	v_cndmask_b32_e32 v14, v0, v14, vcc
	s_add_u32 s12, s28, s0
	v_mov_b32_e32 v15, v14
	s_addc_u32 s0, s29, s1
	;;#ASMSTART
	v_pk_mul_f32 v[12:13], v[12:13], v[14:15]
	;;#ASMEND
	;;#ASMSTART
	v_pk_mul_f32 v[10:11], v[10:11], v[14:15]
	;;#ASMEND
	;; [unrolled: 3-line block ×4, first 2 shown]
	s_waitcnt vmcnt(0)
	v_cvt_f32_u32_sdwa v15, v2 dst_sel:DWORD dst_unused:UNUSED_PAD src0_sel:WORD_1
	v_cvt_f32_u32_sdwa v14, v2 dst_sel:DWORD dst_unused:UNUSED_PAD src0_sel:WORD_0
	v_cvt_f32_u32_sdwa v17, v3 dst_sel:DWORD dst_unused:UNUSED_PAD src0_sel:WORD_1
	v_cvt_f32_u32_sdwa v16, v3 dst_sel:DWORD dst_unused:UNUSED_PAD src0_sel:WORD_0
	;; [unrolled: 2-line block ×4, first 2 shown]
	;;#ASMSTART
	v_pk_mul_f32 v[4:5], v[12:13], v[14:15]
	;;#ASMEND
	s_and_b32 s13, s0, 0xffff
	s_mov_b32 s0, 0x7060302
	;;#ASMSTART
	v_pk_mul_f32 v[10:11], v[10:11], v[16:17]
	;;#ASMEND
	;;#ASMSTART
	v_pk_mul_f32 v[8:9], v[8:9], v[2:3]
	;;#ASMEND
	;; [unrolled: 3-line block ×3, first 2 shown]
	v_perm_b32 v2, v5, v4, s0
	v_perm_b32 v3, v11, v10, s0
	;; [unrolled: 1-line block ×4, first 2 shown]
	buffer_store_dwordx4 v[2:5], v1, s[12:15], 0 offen
	;;#ASMSTART
	s_nop 0
	;;#ASMEND
	s_endpgm
	.section	.rodata,"a",@progbits
	.p2align	6, 0x0
	.amdhsa_kernel _ZN5aiter35fused_qk_rmsnorm_group_quant_kernelItN4opus5fp4_tELi256ELi8ELi16ELb0ELb0ELb0ELb0ELb0ELb0EEEvPT0_PvPT_S7_S7_PKS6_S9_S9_S9_S9_ffiiiiiiiiiiiii
		.amdhsa_group_segment_fixed_size 32
		.amdhsa_private_segment_fixed_size 0
		.amdhsa_kernarg_size 400
		.amdhsa_user_sgpr_count 6
		.amdhsa_user_sgpr_private_segment_buffer 1
		.amdhsa_user_sgpr_dispatch_ptr 0
		.amdhsa_user_sgpr_queue_ptr 0
		.amdhsa_user_sgpr_kernarg_segment_ptr 1
		.amdhsa_user_sgpr_dispatch_id 0
		.amdhsa_user_sgpr_flat_scratch_init 0
		.amdhsa_user_sgpr_kernarg_preload_length 0
		.amdhsa_user_sgpr_kernarg_preload_offset 0
		.amdhsa_user_sgpr_private_segment_size 0
		.amdhsa_uses_dynamic_stack 0
		.amdhsa_system_sgpr_private_segment_wavefront_offset 0
		.amdhsa_system_sgpr_workgroup_id_x 1
		.amdhsa_system_sgpr_workgroup_id_y 1
		.amdhsa_system_sgpr_workgroup_id_z 0
		.amdhsa_system_sgpr_workgroup_info 0
		.amdhsa_system_vgpr_workitem_id 0
		.amdhsa_next_free_vgpr 23
		.amdhsa_next_free_sgpr 32
		.amdhsa_accum_offset 24
		.amdhsa_reserve_vcc 1
		.amdhsa_reserve_flat_scratch 0
		.amdhsa_float_round_mode_32 0
		.amdhsa_float_round_mode_16_64 0
		.amdhsa_float_denorm_mode_32 3
		.amdhsa_float_denorm_mode_16_64 3
		.amdhsa_dx10_clamp 1
		.amdhsa_ieee_mode 1
		.amdhsa_fp16_overflow 0
		.amdhsa_tg_split 0
		.amdhsa_exception_fp_ieee_invalid_op 0
		.amdhsa_exception_fp_denorm_src 0
		.amdhsa_exception_fp_ieee_div_zero 0
		.amdhsa_exception_fp_ieee_overflow 0
		.amdhsa_exception_fp_ieee_underflow 0
		.amdhsa_exception_fp_ieee_inexact 0
		.amdhsa_exception_int_div_zero 0
	.end_amdhsa_kernel
	.section	.text._ZN5aiter35fused_qk_rmsnorm_group_quant_kernelItN4opus5fp4_tELi256ELi8ELi16ELb0ELb0ELb0ELb0ELb0ELb0EEEvPT0_PvPT_S7_S7_PKS6_S9_S9_S9_S9_ffiiiiiiiiiiiii,"axG",@progbits,_ZN5aiter35fused_qk_rmsnorm_group_quant_kernelItN4opus5fp4_tELi256ELi8ELi16ELb0ELb0ELb0ELb0ELb0ELb0EEEvPT0_PvPT_S7_S7_PKS6_S9_S9_S9_S9_ffiiiiiiiiiiiii,comdat
.Lfunc_end504:
	.size	_ZN5aiter35fused_qk_rmsnorm_group_quant_kernelItN4opus5fp4_tELi256ELi8ELi16ELb0ELb0ELb0ELb0ELb0ELb0EEEvPT0_PvPT_S7_S7_PKS6_S9_S9_S9_S9_ffiiiiiiiiiiiii, .Lfunc_end504-_ZN5aiter35fused_qk_rmsnorm_group_quant_kernelItN4opus5fp4_tELi256ELi8ELi16ELb0ELb0ELb0ELb0ELb0ELb0EEEvPT0_PvPT_S7_S7_PKS6_S9_S9_S9_S9_ffiiiiiiiiiiiii
                                        ; -- End function
	.section	.AMDGPU.csdata,"",@progbits
; Kernel info:
; codeLenInByte = 2320
; NumSgprs: 36
; NumVgprs: 23
; NumAgprs: 0
; TotalNumVgprs: 23
; ScratchSize: 0
; MemoryBound: 0
; FloatMode: 240
; IeeeMode: 1
; LDSByteSize: 32 bytes/workgroup (compile time only)
; SGPRBlocks: 4
; VGPRBlocks: 2
; NumSGPRsForWavesPerEU: 36
; NumVGPRsForWavesPerEU: 23
; AccumOffset: 24
; Occupancy: 8
; WaveLimiterHint : 0
; COMPUTE_PGM_RSRC2:SCRATCH_EN: 0
; COMPUTE_PGM_RSRC2:USER_SGPR: 6
; COMPUTE_PGM_RSRC2:TRAP_HANDLER: 0
; COMPUTE_PGM_RSRC2:TGID_X_EN: 1
; COMPUTE_PGM_RSRC2:TGID_Y_EN: 1
; COMPUTE_PGM_RSRC2:TGID_Z_EN: 0
; COMPUTE_PGM_RSRC2:TIDIG_COMP_CNT: 0
; COMPUTE_PGM_RSRC3_GFX90A:ACCUM_OFFSET: 5
; COMPUTE_PGM_RSRC3_GFX90A:TG_SPLIT: 0
	.section	.text._ZN5aiter35fused_qk_rmsnorm_group_quant_kernelIDF16_DB8_Li256ELi8ELi8ELb1ELb1ELb1ELb1ELb0ELb0EEEvPT0_PvPT_S6_S6_PKS5_S8_S8_S8_S8_ffiiiiiiiiiiiii,"axG",@progbits,_ZN5aiter35fused_qk_rmsnorm_group_quant_kernelIDF16_DB8_Li256ELi8ELi8ELb1ELb1ELb1ELb1ELb0ELb0EEEvPT0_PvPT_S6_S6_PKS5_S8_S8_S8_S8_ffiiiiiiiiiiiii,comdat
	.protected	_ZN5aiter35fused_qk_rmsnorm_group_quant_kernelIDF16_DB8_Li256ELi8ELi8ELb1ELb1ELb1ELb1ELb0ELb0EEEvPT0_PvPT_S6_S6_PKS5_S8_S8_S8_S8_ffiiiiiiiiiiiii ; -- Begin function _ZN5aiter35fused_qk_rmsnorm_group_quant_kernelIDF16_DB8_Li256ELi8ELi8ELb1ELb1ELb1ELb1ELb0ELb0EEEvPT0_PvPT_S6_S6_PKS5_S8_S8_S8_S8_ffiiiiiiiiiiiii
	.globl	_ZN5aiter35fused_qk_rmsnorm_group_quant_kernelIDF16_DB8_Li256ELi8ELi8ELb1ELb1ELb1ELb1ELb0ELb0EEEvPT0_PvPT_S6_S6_PKS5_S8_S8_S8_S8_ffiiiiiiiiiiiii
	.p2align	8
	.type	_ZN5aiter35fused_qk_rmsnorm_group_quant_kernelIDF16_DB8_Li256ELi8ELi8ELb1ELb1ELb1ELb1ELb0ELb0EEEvPT0_PvPT_S6_S6_PKS5_S8_S8_S8_S8_ffiiiiiiiiiiiii,@function
_ZN5aiter35fused_qk_rmsnorm_group_quant_kernelIDF16_DB8_Li256ELi8ELi8ELb1ELb1ELb1ELb1ELb0ELb0EEEvPT0_PvPT_S6_S6_PKS5_S8_S8_S8_S8_ffiiiiiiiiiiiii: ; @_ZN5aiter35fused_qk_rmsnorm_group_quant_kernelIDF16_DB8_Li256ELi8ELi8ELb1ELb1ELb1ELb1ELb0ELb0EEEvPT0_PvPT_S6_S6_PKS5_S8_S8_S8_S8_ffiiiiiiiiiiiii
; %bb.0:
	s_load_dwordx8 s[12:19], s[4:5], 0x50
	s_waitcnt lgkmcnt(0)
	s_cmp_ge_i32 s6, s14
	s_cbranch_scc1 .LBB505_17
; %bb.1:
	s_cmp_lg_u32 s7, 0
	s_cselect_b64 s[22:23], -1, 0
	s_cmp_eq_u32 s7, 0
	s_cselect_b64 s[2:3], -1, 0
	s_and_b64 s[0:1], s[2:3], exec
	s_cselect_b32 s7, s15, s16
	s_load_dwordx2 s[10:11], s[4:5], 0x30
	s_load_dwordx2 s[20:21], s[4:5], 0x48
	s_add_i32 s0, s7, 1
	s_lshr_b32 s1, s0, 31
	s_add_i32 s0, s0, s1
	s_lshl_b32 s0, s0, 1
	v_lshlrev_b32_e32 v1, 3, v0
	s_and_b32 s30, s0, -4
	v_cmp_gt_i32_e64 s[0:1], s7, v1
	v_mov_b32_e32 v2, 0
	v_mov_b32_e32 v3, 0
	;; [unrolled: 1-line block ×8, first 2 shown]
	s_and_saveexec_b64 s[8:9], s[0:1]
	s_cbranch_execz .LBB505_3
; %bb.2:
	s_load_dwordx2 s[14:15], s[4:5], 0x28
	s_load_dwordx2 s[26:27], s[4:5], 0x40
	s_and_b64 s[24:25], s[2:3], exec
	s_cselect_b32 s17, s17, s18
	s_mov_b32 s31, 0x20000
	s_waitcnt lgkmcnt(0)
	s_cselect_b32 s25, s15, s11
	s_cselect_b32 s24, s14, s10
	s_mul_hi_i32 s15, s17, s6
	s_mul_i32 s14, s17, s6
	s_lshl_b64 s[14:15], s[14:15], 1
	s_add_u32 s24, s24, s14
	s_addc_u32 s17, s25, s15
	s_and_b64 s[14:15], s[2:3], exec
	s_cselect_b32 s28, s26, s20
	s_cselect_b32 s14, s27, s21
	v_lshlrev_b32_e32 v10, 4, v0
	s_and_b32 s25, s17, 0xffff
	s_mov_b32 s26, s30
	s_mov_b32 s27, s31
	s_and_b32 s29, s14, 0xffff
	buffer_load_dwordx4 v[6:9], v10, s[24:27], 0 offen glc slc
	buffer_load_dwordx4 v[2:5], v10, s[28:31], 0 offen
.LBB505_3:
	s_or_b64 exec, exec, s[8:9]
	s_load_dwordx4 s[24:27], s[4:5], 0x7c
	s_and_b64 vcc, exec, s[22:23]
	s_cbranch_vccz .LBB505_7
; %bb.4:
	v_mov_b32_e32 v11, 0
	v_mov_b32_e32 v10, 0
	;; [unrolled: 1-line block ×8, first 2 shown]
	s_and_saveexec_b64 s[8:9], s[0:1]
	s_cbranch_execz .LBB505_6
; %bb.5:
	s_waitcnt vmcnt(1)
	v_cvt_f32_f16_sdwa v13, v6 dst_sel:DWORD dst_unused:UNUSED_PAD src0_sel:WORD_1
	v_cvt_f32_f16_e32 v12, v6
	v_cvt_f32_f16_sdwa v17, v7 dst_sel:DWORD dst_unused:UNUSED_PAD src0_sel:WORD_1
	v_cvt_f32_f16_e32 v16, v7
	;; [unrolled: 2-line block ×4, first 2 shown]
.LBB505_6:
	s_or_b64 exec, exec, s[8:9]
	s_cbranch_execz .LBB505_8
	s_branch .LBB505_11
.LBB505_7:
                                        ; implicit-def: $vgpr11
                                        ; implicit-def: $vgpr15
                                        ; implicit-def: $vgpr17
                                        ; implicit-def: $vgpr13
.LBB505_8:
	v_mov_b32_e32 v11, 0
	v_mov_b32_e32 v10, 0
	;; [unrolled: 1-line block ×8, first 2 shown]
	s_and_saveexec_b64 s[8:9], s[0:1]
	s_cbranch_execz .LBB505_10
; %bb.9:
	s_load_dwordx2 s[14:15], s[4:5], 0x38
	s_mul_hi_i32 s29, s19, s6
	s_mul_i32 s28, s19, s6
	s_lshl_b64 s[28:29], s[28:29], 1
	s_mov_b32 s31, 0x20000
	s_waitcnt lgkmcnt(0)
	s_add_u32 s28, s14, s28
	s_addc_u32 s14, s15, s29
	s_and_b32 s29, s14, 0xffff
	v_lshlrev_b32_e32 v24, 4, v0
	buffer_load_dwordx4 v[10:13], v24, s[28:31], 0 offen glc slc
	s_waitcnt vmcnt(2)
	v_cvt_f32_f16_sdwa v15, v6 dst_sel:DWORD dst_unused:UNUSED_PAD src0_sel:WORD_1
	v_cvt_f32_f16_e32 v14, v6
	v_cvt_f32_f16_sdwa v17, v7 dst_sel:DWORD dst_unused:UNUSED_PAD src0_sel:WORD_1
	v_cvt_f32_f16_e32 v16, v7
	;; [unrolled: 2-line block ×4, first 2 shown]
	s_load_dwordx2 s[14:15], s[4:5], 0x20
	s_mul_hi_i32 s27, s26, s6
	s_mul_i32 s26, s26, s6
	s_lshl_b64 s[26:27], s[26:27], 1
	s_waitcnt lgkmcnt(0)
	s_add_u32 s28, s14, s26
	s_addc_u32 s14, s15, s27
	s_and_b32 s29, s14, 0xffff
	s_waitcnt vmcnt(0)
	v_cvt_f32_f16_e32 v8, v10
	v_cvt_f32_f16_sdwa v9, v10 dst_sel:DWORD dst_unused:UNUSED_PAD src0_sel:WORD_1
	v_cvt_f32_f16_e32 v10, v11
	v_cvt_f32_f16_sdwa v11, v11 dst_sel:DWORD dst_unused:UNUSED_PAD src0_sel:WORD_1
	;; [unrolled: 2-line block ×4, first 2 shown]
	v_pk_add_f32 v[12:13], v[14:15], v[8:9]
	v_pk_add_f32 v[16:17], v[16:17], v[10:11]
	;; [unrolled: 1-line block ×4, first 2 shown]
	v_cvt_f16_f32_e32 v6, v13
	v_cvt_f16_f32_e32 v7, v17
	;; [unrolled: 1-line block ×8, first 2 shown]
	v_pack_b32_f16 v9, v18, v9
	v_pack_b32_f16 v8, v19, v8
	;; [unrolled: 1-line block ×4, first 2 shown]
	buffer_store_dwordx4 v[6:9], v24, s[28:31], 0 offen glc slc
	;;#ASMSTART
	s_nop 0
	;;#ASMEND
.LBB505_10:
	s_or_b64 exec, exec, s[8:9]
.LBB505_11:
	s_waitcnt vmcnt(1)
	v_mul_f32_e32 v6, v13, v13
	v_fmac_f32_e32 v6, v12, v12
	v_fmac_f32_e32 v6, v16, v16
	;; [unrolled: 1-line block ×7, first 2 shown]
	v_and_b32_e32 v8, 63, v0
	v_cmp_eq_u32_e64 s[8:9], 63, v8
	v_mov_b32_dpp v7, v6 quad_perm:[1,0,3,2] row_mask:0xf bank_mask:0xf
	v_add_f32_e32 v6, v6, v7
	s_nop 1
	v_mov_b32_dpp v7, v6 quad_perm:[2,3,0,1] row_mask:0xf bank_mask:0xf
	v_add_f32_e32 v6, v6, v7
	s_nop 1
	v_mov_b32_dpp v7, v6 row_half_mirror row_mask:0xf bank_mask:0xf
	v_add_f32_e32 v6, v6, v7
	s_nop 1
	v_mov_b32_dpp v7, v6 row_mirror row_mask:0xf bank_mask:0xf
	v_add_f32_e32 v6, v6, v7
	s_nop 1
	v_mov_b32_dpp v7, v6 row_bcast:15 row_mask:0xf bank_mask:0xf
	v_add_f32_e32 v6, v6, v7
	s_nop 1
	v_mov_b32_dpp v7, v6 row_bcast:31 row_mask:0xf bank_mask:0xf
	s_and_saveexec_b64 s[14:15], s[8:9]
	s_cbranch_execz .LBB505_13
; %bb.12:
	v_add_f32_e32 v6, v6, v7
	v_lshrrev_b32_e32 v7, 4, v0
	v_and_b32_e32 v7, 60, v7
	ds_write_b32 v7, v6 offset:16
.LBB505_13:
	s_or_b64 exec, exec, s[14:15]
	v_and_b32_e32 v6, 3, v0
	v_lshlrev_b32_e32 v18, 2, v6
	s_waitcnt lgkmcnt(0)
	s_barrier
	ds_read_b32 v6, v18 offset:16
	s_load_dwordx2 s[14:15], s[4:5], 0x18
	s_waitcnt lgkmcnt(0)
	v_mov_b32_dpp v7, v6 quad_perm:[1,0,3,2] row_mask:0xf bank_mask:0xf
	v_add_f32_e32 v6, v6, v7
	s_nop 1
	v_mov_b32_dpp v7, v6 quad_perm:[2,3,0,1] row_mask:0xf bank_mask:0xf
	s_and_saveexec_b64 s[26:27], s[0:1]
	s_cbranch_execnz .LBB505_18
; %bb.14:
	s_or_b64 exec, exec, s[26:27]
	s_mov_b64 s[2:3], -1
	s_and_b64 vcc, exec, s[22:23]
	s_cbranch_vccnz .LBB505_19
.LBB505_15:
	s_andn2_b64 vcc, exec, s[2:3]
	s_cbranch_vccz .LBB505_22
.LBB505_16:
	s_cmp_lt_i32 s16, 1
	s_cbranch_scc0 .LBB505_25
.LBB505_17:
	s_endpgm
.LBB505_18:
	v_cvt_f32_u32_e32 v8, s7
	v_add_f32_e32 v6, v6, v7
	v_mov_b32_e32 v19, s13
	v_mov_b32_e32 v20, s12
	v_div_scale_f32 v7, s[28:29], v8, v8, v6
	v_rcp_f32_e32 v9, v7
	v_cndmask_b32_e64 v19, v19, v20, s[2:3]
	s_mov_b32 s2, 0x800000
	v_fma_f32 v20, -v7, v9, 1.0
	v_fmac_f32_e32 v9, v20, v9
	v_div_scale_f32 v20, vcc, v6, v8, v6
	v_mul_f32_e32 v21, v20, v9
	v_fma_f32 v22, -v7, v21, v20
	v_fmac_f32_e32 v21, v22, v9
	v_fma_f32 v7, -v7, v21, v20
	v_div_fmas_f32 v7, v7, v9, v21
	v_div_fixup_f32 v6, v7, v8, v6
	v_add_f32_e32 v6, v19, v6
	v_mul_f32_e32 v7, 0x4b800000, v6
	v_cmp_gt_f32_e32 vcc, s2, v6
	v_cndmask_b32_e32 v6, v6, v7, vcc
	v_rsq_f32_e32 v6, v6
	s_waitcnt vmcnt(0)
	v_cvt_f32_f16_sdwa v21, v3 dst_sel:DWORD dst_unused:UNUSED_PAD src0_sel:WORD_1
	v_cvt_f32_f16_e32 v20, v3
	v_mul_f32_e32 v7, 0x45800000, v6
	v_cndmask_b32_e32 v6, v6, v7, vcc
	v_mov_b32_e32 v7, v6
	;;#ASMSTART
	v_pk_mul_f32 v[8:9], v[12:13], v[6:7]
	;;#ASMEND
	v_cvt_f32_f16_sdwa v13, v2 dst_sel:DWORD dst_unused:UNUSED_PAD src0_sel:WORD_1
	v_cvt_f32_f16_e32 v12, v2
	;;#ASMSTART
	v_pk_mul_f32 v[16:17], v[16:17], v[6:7]
	;;#ASMEND
	;;#ASMSTART
	v_pk_mul_f32 v[14:15], v[14:15], v[6:7]
	;;#ASMEND
	;; [unrolled: 3-line block ×3, first 2 shown]
	v_pk_add_f32 v[6:7], v[12:13], 1.0 op_sel_hi:[1,0]
	;;#ASMSTART
	v_pk_mul_f32 v[12:13], v[8:9], v[6:7]
	;;#ASMEND
	v_cvt_f32_f16_sdwa v9, v4 dst_sel:DWORD dst_unused:UNUSED_PAD src0_sel:WORD_1
	v_cvt_f32_f16_e32 v8, v4
	v_cvt_f32_f16_sdwa v11, v5 dst_sel:DWORD dst_unused:UNUSED_PAD src0_sel:WORD_1
	v_cvt_f32_f16_e32 v10, v5
	v_pk_add_f32 v[6:7], v[20:21], 1.0 op_sel_hi:[1,0]
	v_pk_add_f32 v[4:5], v[8:9], 1.0 op_sel_hi:[1,0]
	;;#ASMSTART
	v_pk_mul_f32 v[16:17], v[16:17], v[6:7]
	;;#ASMEND
	;;#ASMSTART
	v_pk_mul_f32 v[14:15], v[14:15], v[4:5]
	;;#ASMEND
	v_pk_add_f32 v[4:5], v[10:11], 1.0 op_sel_hi:[1,0]
	;;#ASMSTART
	v_pk_mul_f32 v[10:11], v[2:3], v[4:5]
	;;#ASMEND
	s_or_b64 exec, exec, s[26:27]
	s_mov_b64 s[2:3], -1
	s_and_b64 vcc, exec, s[22:23]
	s_cbranch_vccz .LBB505_15
.LBB505_19:
	s_and_saveexec_b64 s[2:3], s[0:1]
	s_cbranch_execz .LBB505_21
; %bb.20:
	s_mul_hi_i32 s23, s25, s6
	s_mul_i32 s22, s25, s6
	s_waitcnt vmcnt(0)
	v_cvt_f16_f32_e32 v2, v12
	v_cvt_f16_f32_e32 v3, v16
	;; [unrolled: 1-line block ×8, first 2 shown]
	s_lshl_b64 s[22:23], s[22:23], 1
	s_add_u32 s28, s14, s22
	s_addc_u32 s7, s15, s23
	s_and_b32 s29, s7, 0xffff
	s_mov_b32 s31, 0x20000
	v_pack_b32_f16 v5, v5, v6
	v_pack_b32_f16 v4, v4, v7
	;; [unrolled: 1-line block ×4, first 2 shown]
	v_lshlrev_b32_e32 v6, 4, v0
	buffer_store_dwordx4 v[2:5], v6, s[28:31], 0 offen
	;;#ASMSTART
	s_nop 0
	;;#ASMEND
.LBB505_21:
	s_or_b64 exec, exec, s[2:3]
	s_cbranch_execnz .LBB505_16
.LBB505_22:
	s_and_saveexec_b64 s[2:3], s[0:1]
	s_cbranch_execz .LBB505_24
; %bb.23:
	s_load_dwordx2 s[0:1], s[4:5], 0x10
	s_mul_hi_i32 s23, s24, s6
	s_mul_i32 s22, s24, s6
	s_waitcnt vmcnt(0)
	v_cvt_f16_f32_e32 v2, v12
	v_cvt_f16_f32_e32 v3, v16
	;; [unrolled: 1-line block ×8, first 2 shown]
	s_lshl_b64 s[22:23], s[22:23], 1
	s_waitcnt lgkmcnt(0)
	s_add_u32 s28, s0, s22
	s_addc_u32 s0, s1, s23
	s_mov_b32 s31, 0x20000
	s_and_b32 s29, s0, 0xffff
	v_pack_b32_f16 v5, v5, v6
	v_pack_b32_f16 v4, v4, v7
	;; [unrolled: 1-line block ×4, first 2 shown]
	v_lshlrev_b32_e32 v6, 4, v0
	buffer_store_dwordx4 v[2:5], v6, s[28:31], 0 offen
	;;#ASMSTART
	s_nop 0
	;;#ASMEND
.LBB505_24:
	s_or_b64 exec, exec, s[2:3]
	s_cmp_lt_i32 s16, 1
	s_cbranch_scc1 .LBB505_17
.LBB505_25:
	s_load_dword s0, s[4:5], 0x94
	s_waitcnt lgkmcnt(0)
	s_cmp_lg_u32 s0, 1
	s_cbranch_scc1 .LBB505_17
; %bb.26:
	s_lshl_b32 s0, s16, 1
	s_add_i32 s0, s0, 2
	v_cmp_gt_u32_e32 vcc, s16, v1
	s_and_b32 s22, s0, -4
	v_mov_b32_e32 v10, 0
	v_lshlrev_b32_e32 v1, 4, v0
	v_mov_b32_e32 v6, 0
	v_mov_b32_e32 v7, 0
	;; [unrolled: 1-line block ×4, first 2 shown]
	s_waitcnt vmcnt(0)
	v_mov_b32_e32 v2, 0
	v_mov_b32_e32 v3, 0
	;; [unrolled: 1-line block ×4, first 2 shown]
	s_barrier
	s_and_saveexec_b64 s[0:1], vcc
	s_cbranch_execz .LBB505_28
; %bb.27:
	s_mul_hi_i32 s3, s18, s6
	s_mul_i32 s2, s18, s6
	s_and_b32 s21, s21, 0xffff
	s_lshl_b64 s[2:3], s[2:3], 1
	s_add_u32 s28, s10, s2
	s_mov_b32 s23, 0x20000
	s_addc_u32 s2, s11, s3
	s_and_b32 s29, s2, 0xffff
	s_mov_b32 s30, s22
	s_mov_b32 s31, s23
	buffer_load_dwordx4 v[6:9], v1, s[28:31], 0 offen glc slc
	buffer_load_dwordx4 v[2:5], v1, s[20:23], 0 offen
.LBB505_28:
	s_or_b64 exec, exec, s[0:1]
	v_mov_b32_e32 v11, 0
	v_mov_b32_e32 v16, 0
	;; [unrolled: 1-line block ×7, first 2 shown]
	s_and_saveexec_b64 s[0:1], vcc
	s_cbranch_execz .LBB505_30
; %bb.29:
	s_waitcnt vmcnt(1)
	v_cvt_f32_f16_sdwa v11, v6 dst_sel:DWORD dst_unused:UNUSED_PAD src0_sel:WORD_1
	v_cvt_f32_f16_e32 v10, v6
	v_cvt_f32_f16_sdwa v17, v7 dst_sel:DWORD dst_unused:UNUSED_PAD src0_sel:WORD_1
	v_cvt_f32_f16_e32 v16, v7
	;; [unrolled: 2-line block ×4, first 2 shown]
.LBB505_30:
	s_or_b64 exec, exec, s[0:1]
	s_waitcnt vmcnt(1)
	v_mul_f32_e32 v6, v11, v11
	v_fmac_f32_e32 v6, v10, v10
	v_fmac_f32_e32 v6, v16, v16
	;; [unrolled: 1-line block ×7, first 2 shown]
	s_nop 1
	v_mov_b32_dpp v7, v6 quad_perm:[1,0,3,2] row_mask:0xf bank_mask:0xf
	v_add_f32_e32 v6, v6, v7
	s_nop 1
	v_mov_b32_dpp v7, v6 quad_perm:[2,3,0,1] row_mask:0xf bank_mask:0xf
	v_add_f32_e32 v6, v6, v7
	s_nop 1
	v_mov_b32_dpp v7, v6 row_half_mirror row_mask:0xf bank_mask:0xf
	v_add_f32_e32 v6, v6, v7
	s_nop 1
	v_mov_b32_dpp v7, v6 row_mirror row_mask:0xf bank_mask:0xf
	v_add_f32_e32 v6, v6, v7
	s_nop 1
	v_mov_b32_dpp v7, v6 row_bcast:15 row_mask:0xf bank_mask:0xf
	v_add_f32_e32 v6, v6, v7
	s_nop 1
	v_mov_b32_dpp v7, v6 row_bcast:31 row_mask:0xf bank_mask:0xf
	s_and_saveexec_b64 s[0:1], s[8:9]
	s_cbranch_execz .LBB505_32
; %bb.31:
	v_lshrrev_b32_e32 v0, 4, v0
	v_add_f32_e32 v6, v6, v7
	v_and_b32_e32 v0, 60, v0
	ds_write_b32 v0, v6
.LBB505_32:
	s_or_b64 exec, exec, s[0:1]
	s_waitcnt lgkmcnt(0)
	s_barrier
	ds_read_b32 v0, v18
	s_waitcnt lgkmcnt(0)
	s_nop 0
	v_mov_b32_dpp v6, v0 quad_perm:[1,0,3,2] row_mask:0xf bank_mask:0xf
	v_add_f32_e32 v0, v0, v6
	s_nop 1
	v_mov_b32_dpp v6, v0 quad_perm:[2,3,0,1] row_mask:0xf bank_mask:0xf
	s_and_saveexec_b64 s[0:1], vcc
	s_cbranch_execz .LBB505_17
; %bb.33:
	v_cvt_f32_u32_e32 v7, s16
	v_add_f32_e32 v0, v0, v6
	s_mov_b32 s23, 0x20000
	v_div_scale_f32 v6, s[0:1], v7, v7, v0
	v_rcp_f32_e32 v8, v6
	v_div_scale_f32 v9, vcc, v0, v7, v0
	s_mov_b32 s0, 0x800000
	v_fma_f32 v18, -v6, v8, 1.0
	v_fmac_f32_e32 v8, v18, v8
	v_mul_f32_e32 v18, v9, v8
	v_fma_f32 v19, -v6, v18, v9
	v_fmac_f32_e32 v18, v19, v8
	v_fma_f32 v6, -v6, v18, v9
	v_div_fmas_f32 v6, v6, v8, v18
	v_div_fixup_f32 v0, v6, v7, v0
	v_add_f32_e32 v0, s13, v0
	v_mul_f32_e32 v6, 0x4b800000, v0
	v_cmp_gt_f32_e32 vcc, s0, v0
	v_cndmask_b32_e32 v0, v0, v6, vcc
	v_rsq_f32_e32 v0, v0
	s_waitcnt vmcnt(0)
	v_cvt_f32_f16_sdwa v19, v3 dst_sel:DWORD dst_unused:UNUSED_PAD src0_sel:WORD_1
	v_cvt_f32_f16_e32 v18, v3
	s_mul_hi_i32 s1, s25, s6
	v_mul_f32_e32 v6, 0x45800000, v0
	v_cndmask_b32_e32 v6, v0, v6, vcc
	v_mov_b32_e32 v7, v6
	;;#ASMSTART
	v_pk_mul_f32 v[8:9], v[10:11], v[6:7]
	;;#ASMEND
	;;#ASMSTART
	v_pk_mul_f32 v[10:11], v[16:17], v[6:7]
	;;#ASMEND
	v_cvt_f32_f16_sdwa v17, v2 dst_sel:DWORD dst_unused:UNUSED_PAD src0_sel:WORD_1
	v_cvt_f32_f16_e32 v16, v2
	;;#ASMSTART
	v_pk_mul_f32 v[14:15], v[14:15], v[6:7]
	;;#ASMEND
	;;#ASMSTART
	v_pk_mul_f32 v[2:3], v[12:13], v[6:7]
	;;#ASMEND
	v_cvt_f32_f16_sdwa v13, v4 dst_sel:DWORD dst_unused:UNUSED_PAD src0_sel:WORD_1
	v_cvt_f32_f16_e32 v12, v4
	v_pk_add_f32 v[6:7], v[16:17], 1.0 op_sel_hi:[1,0]
	v_cvt_f32_f16_sdwa v17, v5 dst_sel:DWORD dst_unused:UNUSED_PAD src0_sel:WORD_1
	v_cvt_f32_f16_e32 v16, v5
	;;#ASMSTART
	v_pk_mul_f32 v[6:7], v[8:9], v[6:7]
	;;#ASMEND
	v_pk_add_f32 v[8:9], v[18:19], 1.0 op_sel_hi:[1,0]
	;;#ASMSTART
	v_pk_mul_f32 v[4:5], v[10:11], v[8:9]
	;;#ASMEND
	v_pk_add_f32 v[8:9], v[12:13], 1.0 op_sel_hi:[1,0]
	;; [unrolled: 4-line block ×3, first 2 shown]
	;;#ASMSTART
	v_pk_mul_f32 v[2:3], v[2:3], v[10:11]
	;;#ASMEND
	s_mul_i32 s0, s25, s6
	v_cvt_f16_f32_e32 v0, v6
	v_cvt_f16_f32_e32 v6, v7
	;; [unrolled: 1-line block ×8, first 2 shown]
	s_lshl_b64 s[0:1], s[0:1], 1
	s_add_u32 s20, s14, s0
	s_addc_u32 s0, s15, s1
	s_and_b32 s21, s0, 0xffff
	v_pack_b32_f16 v2, v0, v6
	v_pack_b32_f16 v3, v4, v5
	;; [unrolled: 1-line block ×4, first 2 shown]
	buffer_store_dwordx4 v[2:5], v1, s[20:23], 0 offen
	;;#ASMSTART
	s_nop 0
	;;#ASMEND
	s_endpgm
	.section	.rodata,"a",@progbits
	.p2align	6, 0x0
	.amdhsa_kernel _ZN5aiter35fused_qk_rmsnorm_group_quant_kernelIDF16_DB8_Li256ELi8ELi8ELb1ELb1ELb1ELb1ELb0ELb0EEEvPT0_PvPT_S6_S6_PKS5_S8_S8_S8_S8_ffiiiiiiiiiiiii
		.amdhsa_group_segment_fixed_size 32
		.amdhsa_private_segment_fixed_size 0
		.amdhsa_kernarg_size 400
		.amdhsa_user_sgpr_count 6
		.amdhsa_user_sgpr_private_segment_buffer 1
		.amdhsa_user_sgpr_dispatch_ptr 0
		.amdhsa_user_sgpr_queue_ptr 0
		.amdhsa_user_sgpr_kernarg_segment_ptr 1
		.amdhsa_user_sgpr_dispatch_id 0
		.amdhsa_user_sgpr_flat_scratch_init 0
		.amdhsa_user_sgpr_kernarg_preload_length 0
		.amdhsa_user_sgpr_kernarg_preload_offset 0
		.amdhsa_user_sgpr_private_segment_size 0
		.amdhsa_uses_dynamic_stack 0
		.amdhsa_system_sgpr_private_segment_wavefront_offset 0
		.amdhsa_system_sgpr_workgroup_id_x 1
		.amdhsa_system_sgpr_workgroup_id_y 1
		.amdhsa_system_sgpr_workgroup_id_z 0
		.amdhsa_system_sgpr_workgroup_info 0
		.amdhsa_system_vgpr_workitem_id 0
		.amdhsa_next_free_vgpr 25
		.amdhsa_next_free_sgpr 32
		.amdhsa_accum_offset 28
		.amdhsa_reserve_vcc 1
		.amdhsa_reserve_flat_scratch 0
		.amdhsa_float_round_mode_32 0
		.amdhsa_float_round_mode_16_64 0
		.amdhsa_float_denorm_mode_32 3
		.amdhsa_float_denorm_mode_16_64 3
		.amdhsa_dx10_clamp 1
		.amdhsa_ieee_mode 1
		.amdhsa_fp16_overflow 0
		.amdhsa_tg_split 0
		.amdhsa_exception_fp_ieee_invalid_op 0
		.amdhsa_exception_fp_denorm_src 0
		.amdhsa_exception_fp_ieee_div_zero 0
		.amdhsa_exception_fp_ieee_overflow 0
		.amdhsa_exception_fp_ieee_underflow 0
		.amdhsa_exception_fp_ieee_inexact 0
		.amdhsa_exception_int_div_zero 0
	.end_amdhsa_kernel
	.section	.text._ZN5aiter35fused_qk_rmsnorm_group_quant_kernelIDF16_DB8_Li256ELi8ELi8ELb1ELb1ELb1ELb1ELb0ELb0EEEvPT0_PvPT_S6_S6_PKS5_S8_S8_S8_S8_ffiiiiiiiiiiiii,"axG",@progbits,_ZN5aiter35fused_qk_rmsnorm_group_quant_kernelIDF16_DB8_Li256ELi8ELi8ELb1ELb1ELb1ELb1ELb0ELb0EEEvPT0_PvPT_S6_S6_PKS5_S8_S8_S8_S8_ffiiiiiiiiiiiii,comdat
.Lfunc_end505:
	.size	_ZN5aiter35fused_qk_rmsnorm_group_quant_kernelIDF16_DB8_Li256ELi8ELi8ELb1ELb1ELb1ELb1ELb0ELb0EEEvPT0_PvPT_S6_S6_PKS5_S8_S8_S8_S8_ffiiiiiiiiiiiii, .Lfunc_end505-_ZN5aiter35fused_qk_rmsnorm_group_quant_kernelIDF16_DB8_Li256ELi8ELi8ELb1ELb1ELb1ELb1ELb0ELb0EEEvPT0_PvPT_S6_S6_PKS5_S8_S8_S8_S8_ffiiiiiiiiiiiii
                                        ; -- End function
	.section	.AMDGPU.csdata,"",@progbits
; Kernel info:
; codeLenInByte = 2480
; NumSgprs: 36
; NumVgprs: 25
; NumAgprs: 0
; TotalNumVgprs: 25
; ScratchSize: 0
; MemoryBound: 0
; FloatMode: 240
; IeeeMode: 1
; LDSByteSize: 32 bytes/workgroup (compile time only)
; SGPRBlocks: 4
; VGPRBlocks: 3
; NumSGPRsForWavesPerEU: 36
; NumVGPRsForWavesPerEU: 25
; AccumOffset: 28
; Occupancy: 8
; WaveLimiterHint : 0
; COMPUTE_PGM_RSRC2:SCRATCH_EN: 0
; COMPUTE_PGM_RSRC2:USER_SGPR: 6
; COMPUTE_PGM_RSRC2:TRAP_HANDLER: 0
; COMPUTE_PGM_RSRC2:TGID_X_EN: 1
; COMPUTE_PGM_RSRC2:TGID_Y_EN: 1
; COMPUTE_PGM_RSRC2:TGID_Z_EN: 0
; COMPUTE_PGM_RSRC2:TIDIG_COMP_CNT: 0
; COMPUTE_PGM_RSRC3_GFX90A:ACCUM_OFFSET: 6
; COMPUTE_PGM_RSRC3_GFX90A:TG_SPLIT: 0
	.section	.text._ZN5aiter35fused_qk_rmsnorm_group_quant_kernelItDB8_Li256ELi8ELi8ELb1ELb1ELb1ELb1ELb0ELb0EEEvPT0_PvPT_S6_S6_PKS5_S8_S8_S8_S8_ffiiiiiiiiiiiii,"axG",@progbits,_ZN5aiter35fused_qk_rmsnorm_group_quant_kernelItDB8_Li256ELi8ELi8ELb1ELb1ELb1ELb1ELb0ELb0EEEvPT0_PvPT_S6_S6_PKS5_S8_S8_S8_S8_ffiiiiiiiiiiiii,comdat
	.protected	_ZN5aiter35fused_qk_rmsnorm_group_quant_kernelItDB8_Li256ELi8ELi8ELb1ELb1ELb1ELb1ELb0ELb0EEEvPT0_PvPT_S6_S6_PKS5_S8_S8_S8_S8_ffiiiiiiiiiiiii ; -- Begin function _ZN5aiter35fused_qk_rmsnorm_group_quant_kernelItDB8_Li256ELi8ELi8ELb1ELb1ELb1ELb1ELb0ELb0EEEvPT0_PvPT_S6_S6_PKS5_S8_S8_S8_S8_ffiiiiiiiiiiiii
	.globl	_ZN5aiter35fused_qk_rmsnorm_group_quant_kernelItDB8_Li256ELi8ELi8ELb1ELb1ELb1ELb1ELb0ELb0EEEvPT0_PvPT_S6_S6_PKS5_S8_S8_S8_S8_ffiiiiiiiiiiiii
	.p2align	8
	.type	_ZN5aiter35fused_qk_rmsnorm_group_quant_kernelItDB8_Li256ELi8ELi8ELb1ELb1ELb1ELb1ELb0ELb0EEEvPT0_PvPT_S6_S6_PKS5_S8_S8_S8_S8_ffiiiiiiiiiiiii,@function
_ZN5aiter35fused_qk_rmsnorm_group_quant_kernelItDB8_Li256ELi8ELi8ELb1ELb1ELb1ELb1ELb0ELb0EEEvPT0_PvPT_S6_S6_PKS5_S8_S8_S8_S8_ffiiiiiiiiiiiii: ; @_ZN5aiter35fused_qk_rmsnorm_group_quant_kernelItDB8_Li256ELi8ELi8ELb1ELb1ELb1ELb1ELb0ELb0EEEvPT0_PvPT_S6_S6_PKS5_S8_S8_S8_S8_ffiiiiiiiiiiiii
; %bb.0:
	s_load_dwordx8 s[12:19], s[4:5], 0x50
	s_waitcnt lgkmcnt(0)
	s_cmp_ge_i32 s6, s14
	s_cbranch_scc1 .LBB506_17
; %bb.1:
	s_cmp_lg_u32 s7, 0
	s_cselect_b64 s[22:23], -1, 0
	s_cmp_eq_u32 s7, 0
	s_cselect_b64 s[8:9], -1, 0
	s_and_b64 s[0:1], s[8:9], exec
	s_cselect_b32 s7, s15, s16
	s_load_dwordx2 s[10:11], s[4:5], 0x30
	s_load_dwordx2 s[20:21], s[4:5], 0x48
	s_add_i32 s0, s7, 1
	s_lshr_b32 s1, s0, 31
	s_add_i32 s0, s0, s1
	s_lshl_b32 s0, s0, 1
	v_lshlrev_b32_e32 v1, 3, v0
	s_and_b32 s30, s0, -4
	v_cmp_gt_i32_e64 s[0:1], s7, v1
	v_mov_b32_e32 v10, 0
	v_mov_b32_e32 v11, 0
	;; [unrolled: 1-line block ×8, first 2 shown]
	s_and_saveexec_b64 s[2:3], s[0:1]
	s_cbranch_execz .LBB506_3
; %bb.2:
	s_load_dwordx2 s[14:15], s[4:5], 0x28
	s_load_dwordx2 s[26:27], s[4:5], 0x40
	s_and_b64 s[24:25], s[8:9], exec
	s_cselect_b32 s17, s17, s18
	s_mov_b32 s31, 0x20000
	s_waitcnt lgkmcnt(0)
	s_cselect_b32 s25, s15, s11
	s_cselect_b32 s24, s14, s10
	s_mul_hi_i32 s15, s17, s6
	s_mul_i32 s14, s17, s6
	s_lshl_b64 s[14:15], s[14:15], 1
	s_add_u32 s24, s24, s14
	s_addc_u32 s17, s25, s15
	s_and_b64 s[14:15], s[8:9], exec
	s_cselect_b32 s28, s26, s20
	s_cselect_b32 s14, s27, s21
	v_lshlrev_b32_e32 v2, 4, v0
	s_and_b32 s25, s17, 0xffff
	s_mov_b32 s26, s30
	s_mov_b32 s27, s31
	s_and_b32 s29, s14, 0xffff
	buffer_load_dwordx4 v[14:17], v2, s[24:27], 0 offen glc slc
	buffer_load_dwordx4 v[10:13], v2, s[28:31], 0 offen
.LBB506_3:
	s_or_b64 exec, exec, s[2:3]
	s_load_dwordx4 s[24:27], s[4:5], 0x7c
	s_and_b64 vcc, exec, s[22:23]
	s_cbranch_vccz .LBB506_7
; %bb.4:
	s_mov_b32 s36, 0
	s_mov_b32 s37, s36
	;; [unrolled: 1-line block ×8, first 2 shown]
	v_pk_mov_b32 v[2:3], s[36:37], s[36:37] op_sel:[0,1]
	v_pk_mov_b32 v[4:5], s[38:39], s[38:39] op_sel:[0,1]
	;; [unrolled: 1-line block ×4, first 2 shown]
	s_and_saveexec_b64 s[2:3], s[0:1]
	s_cbranch_execz .LBB506_6
; %bb.5:
	s_waitcnt vmcnt(1)
	v_cvt_f32_u32_sdwa v3, v14 dst_sel:DWORD dst_unused:UNUSED_PAD src0_sel:WORD_1
	v_cvt_f32_u32_sdwa v2, v14 dst_sel:DWORD dst_unused:UNUSED_PAD src0_sel:WORD_0
	v_cvt_f32_u32_sdwa v5, v15 dst_sel:DWORD dst_unused:UNUSED_PAD src0_sel:WORD_1
	v_cvt_f32_u32_sdwa v4, v15 dst_sel:DWORD dst_unused:UNUSED_PAD src0_sel:WORD_0
	;; [unrolled: 2-line block ×4, first 2 shown]
.LBB506_6:
	s_or_b64 exec, exec, s[2:3]
	s_cbranch_execz .LBB506_8
	s_branch .LBB506_11
.LBB506_7:
                                        ; implicit-def: $vgpr2_vgpr3_vgpr4_vgpr5_vgpr6_vgpr7_vgpr8_vgpr9
.LBB506_8:
	s_mov_b32 s36, 0
	s_mov_b32 s37, s36
	;; [unrolled: 1-line block ×8, first 2 shown]
	v_pk_mov_b32 v[2:3], s[36:37], s[36:37] op_sel:[0,1]
	v_pk_mov_b32 v[4:5], s[38:39], s[38:39] op_sel:[0,1]
	;; [unrolled: 1-line block ×4, first 2 shown]
	s_and_saveexec_b64 s[2:3], s[0:1]
	s_cbranch_execz .LBB506_10
; %bb.9:
	s_load_dwordx2 s[14:15], s[4:5], 0x38
	s_mul_hi_i32 s29, s19, s6
	s_mul_i32 s28, s19, s6
	s_lshl_b64 s[28:29], s[28:29], 1
	s_mov_b32 s31, 0x20000
	s_waitcnt lgkmcnt(0)
	s_add_u32 s28, s14, s28
	s_addc_u32 s14, s15, s29
	s_and_b32 s29, s14, 0xffff
	v_lshlrev_b32_e32 v26, 4, v0
	buffer_load_dwordx4 v[2:5], v26, s[28:31], 0 offen glc slc
	s_load_dwordx2 s[14:15], s[4:5], 0x20
	s_waitcnt vmcnt(2)
	v_cvt_f32_u32_sdwa v7, v14 dst_sel:DWORD dst_unused:UNUSED_PAD src0_sel:WORD_1
	v_cvt_f32_u32_sdwa v6, v14 dst_sel:DWORD dst_unused:UNUSED_PAD src0_sel:WORD_0
	v_cvt_f32_u32_sdwa v9, v15 dst_sel:DWORD dst_unused:UNUSED_PAD src0_sel:WORD_1
	v_cvt_f32_u32_sdwa v8, v15 dst_sel:DWORD dst_unused:UNUSED_PAD src0_sel:WORD_0
	;; [unrolled: 2-line block ×4, first 2 shown]
	s_mul_hi_i32 s27, s26, s6
	s_mul_i32 s26, s26, s6
	s_lshl_b64 s[26:27], s[26:27], 1
	s_waitcnt lgkmcnt(0)
	s_add_u32 s28, s14, s26
	s_mov_b32 s17, 0x7060302
	s_addc_u32 s14, s15, s27
	s_and_b32 s29, s14, 0xffff
	s_waitcnt vmcnt(0)
	v_cvt_f32_u32_sdwa v17, v2 dst_sel:DWORD dst_unused:UNUSED_PAD src0_sel:WORD_1
	v_cvt_f32_u32_sdwa v16, v2 dst_sel:DWORD dst_unused:UNUSED_PAD src0_sel:WORD_0
	v_cvt_f32_u32_sdwa v21, v3 dst_sel:DWORD dst_unused:UNUSED_PAD src0_sel:WORD_1
	v_cvt_f32_u32_sdwa v20, v3 dst_sel:DWORD dst_unused:UNUSED_PAD src0_sel:WORD_0
	;; [unrolled: 2-line block ×4, first 2 shown]
	v_pk_add_f32 v[2:3], v[6:7], v[16:17]
	v_pk_add_f32 v[4:5], v[8:9], v[20:21]
	v_pk_add_f32 v[6:7], v[14:15], v[22:23]
	v_pk_add_f32 v[8:9], v[18:19], v[24:25]
	v_perm_b32 v17, v9, v8, s17
	v_perm_b32 v16, v7, v6, s17
	;; [unrolled: 1-line block ×4, first 2 shown]
	buffer_store_dwordx4 v[14:17], v26, s[28:31], 0 offen glc slc
	;;#ASMSTART
	s_nop 0
	;;#ASMEND
.LBB506_10:
	s_or_b64 exec, exec, s[2:3]
.LBB506_11:
	s_waitcnt vmcnt(1)
	v_mul_f32_e32 v14, v3, v3
	v_fmac_f32_e32 v14, v2, v2
	v_fmac_f32_e32 v14, v4, v4
	;; [unrolled: 1-line block ×7, first 2 shown]
	v_and_b32_e32 v16, 63, v0
	v_cmp_eq_u32_e64 s[2:3], 63, v16
	v_mov_b32_dpp v15, v14 quad_perm:[1,0,3,2] row_mask:0xf bank_mask:0xf
	v_add_f32_e32 v14, v14, v15
	s_nop 1
	v_mov_b32_dpp v15, v14 quad_perm:[2,3,0,1] row_mask:0xf bank_mask:0xf
	v_add_f32_e32 v14, v14, v15
	s_nop 1
	v_mov_b32_dpp v15, v14 row_half_mirror row_mask:0xf bank_mask:0xf
	v_add_f32_e32 v14, v14, v15
	s_nop 1
	v_mov_b32_dpp v15, v14 row_mirror row_mask:0xf bank_mask:0xf
	v_add_f32_e32 v14, v14, v15
	s_nop 1
	v_mov_b32_dpp v15, v14 row_bcast:15 row_mask:0xf bank_mask:0xf
	v_add_f32_e32 v14, v14, v15
	s_nop 1
	v_mov_b32_dpp v15, v14 row_bcast:31 row_mask:0xf bank_mask:0xf
	s_and_saveexec_b64 s[14:15], s[2:3]
	s_cbranch_execz .LBB506_13
; %bb.12:
	v_add_f32_e32 v14, v14, v15
	v_lshrrev_b32_e32 v15, 4, v0
	v_and_b32_e32 v15, 60, v15
	ds_write_b32 v15, v14 offset:16
.LBB506_13:
	s_or_b64 exec, exec, s[14:15]
	v_and_b32_e32 v14, 3, v0
	v_lshlrev_b32_e32 v14, 2, v14
	s_waitcnt lgkmcnt(0)
	s_barrier
	ds_read_b32 v15, v14 offset:16
	s_load_dwordx2 s[14:15], s[4:5], 0x18
	s_waitcnt lgkmcnt(0)
	v_mov_b32_dpp v16, v15 quad_perm:[1,0,3,2] row_mask:0xf bank_mask:0xf
	v_add_f32_e32 v15, v15, v16
	s_nop 1
	v_mov_b32_dpp v16, v15 quad_perm:[2,3,0,1] row_mask:0xf bank_mask:0xf
	s_and_saveexec_b64 s[26:27], s[0:1]
	s_cbranch_execnz .LBB506_18
; %bb.14:
	s_or_b64 exec, exec, s[26:27]
	s_mov_b64 s[8:9], -1
	s_and_b64 vcc, exec, s[22:23]
	s_cbranch_vccnz .LBB506_19
.LBB506_15:
	s_andn2_b64 vcc, exec, s[8:9]
	s_cbranch_vccz .LBB506_22
.LBB506_16:
	s_cmp_lt_i32 s16, 1
	s_cbranch_scc0 .LBB506_25
.LBB506_17:
	s_endpgm
.LBB506_18:
	v_cvt_f32_u32_e32 v17, s7
	v_add_f32_e32 v15, v15, v16
	v_mov_b32_e32 v19, s13
	v_mov_b32_e32 v20, s12
	v_div_scale_f32 v16, s[28:29], v17, v17, v15
	v_rcp_f32_e32 v18, v16
	v_cndmask_b32_e64 v19, v19, v20, s[8:9]
	s_mov_b32 s7, 0x800000
	v_fma_f32 v20, -v16, v18, 1.0
	v_fmac_f32_e32 v18, v20, v18
	v_div_scale_f32 v20, vcc, v15, v17, v15
	v_mul_f32_e32 v21, v20, v18
	v_fma_f32 v22, -v16, v21, v20
	v_fmac_f32_e32 v21, v22, v18
	v_fma_f32 v16, -v16, v21, v20
	v_div_fmas_f32 v16, v16, v18, v21
	v_div_fixup_f32 v15, v16, v17, v15
	v_add_f32_e32 v15, v19, v15
	v_mul_f32_e32 v16, 0x4b800000, v15
	v_cmp_gt_f32_e32 vcc, s7, v15
	v_cndmask_b32_e32 v15, v15, v16, vcc
	v_rsq_f32_e32 v15, v15
	s_waitcnt vmcnt(0)
	v_cvt_f32_u32_sdwa v19, v10 dst_sel:DWORD dst_unused:UNUSED_PAD src0_sel:WORD_1
	v_cvt_f32_u32_sdwa v18, v10 dst_sel:DWORD dst_unused:UNUSED_PAD src0_sel:WORD_0
	v_cvt_f32_u32_sdwa v21, v11 dst_sel:DWORD dst_unused:UNUSED_PAD src0_sel:WORD_1
	v_mul_f32_e32 v16, 0x45800000, v15
	v_cndmask_b32_e32 v16, v15, v16, vcc
	v_mov_b32_e32 v17, v16
	v_cvt_f32_u32_sdwa v20, v11 dst_sel:DWORD dst_unused:UNUSED_PAD src0_sel:WORD_0
	;;#ASMSTART
	v_pk_mul_f32 v[2:3], v[2:3], v[16:17]
	;;#ASMEND
	;;#ASMSTART
	v_pk_mul_f32 v[4:5], v[4:5], v[16:17]
	;;#ASMEND
	;; [unrolled: 3-line block ×4, first 2 shown]
	v_cvt_f32_u32_sdwa v17, v12 dst_sel:DWORD dst_unused:UNUSED_PAD src0_sel:WORD_1
	v_cvt_f32_u32_sdwa v16, v12 dst_sel:DWORD dst_unused:UNUSED_PAD src0_sel:WORD_0
	v_pk_add_f32 v[10:11], v[18:19], 1.0 op_sel_hi:[1,0]
	v_cvt_f32_u32_sdwa v19, v13 dst_sel:DWORD dst_unused:UNUSED_PAD src0_sel:WORD_1
	v_cvt_f32_u32_sdwa v18, v13 dst_sel:DWORD dst_unused:UNUSED_PAD src0_sel:WORD_0
	;;#ASMSTART
	v_pk_mul_f32 v[2:3], v[2:3], v[10:11]
	;;#ASMEND
	v_pk_add_f32 v[10:11], v[20:21], 1.0 op_sel_hi:[1,0]
	;;#ASMSTART
	v_pk_mul_f32 v[4:5], v[4:5], v[10:11]
	;;#ASMEND
	v_pk_add_f32 v[10:11], v[16:17], 1.0 op_sel_hi:[1,0]
	;; [unrolled: 4-line block ×3, first 2 shown]
	;;#ASMSTART
	v_pk_mul_f32 v[8:9], v[8:9], v[10:11]
	;;#ASMEND
	s_or_b64 exec, exec, s[26:27]
	s_mov_b64 s[8:9], -1
	s_and_b64 vcc, exec, s[22:23]
	s_cbranch_vccz .LBB506_15
.LBB506_19:
	s_and_saveexec_b64 s[8:9], s[0:1]
	s_cbranch_execz .LBB506_21
; %bb.20:
	s_mul_hi_i32 s23, s25, s6
	s_mul_i32 s22, s25, s6
	s_lshl_b64 s[22:23], s[22:23], 1
	s_add_u32 s28, s14, s22
	s_addc_u32 s7, s15, s23
	s_and_b32 s29, s7, 0xffff
	s_mov_b32 s7, 0x7060302
	s_mov_b32 s31, 0x20000
	s_waitcnt vmcnt(0)
	v_perm_b32 v10, v3, v2, s7
	v_perm_b32 v11, v5, v4, s7
	;; [unrolled: 1-line block ×4, first 2 shown]
	v_lshlrev_b32_e32 v15, 4, v0
	buffer_store_dwordx4 v[10:13], v15, s[28:31], 0 offen
	;;#ASMSTART
	s_nop 0
	;;#ASMEND
.LBB506_21:
	s_or_b64 exec, exec, s[8:9]
	s_cbranch_execnz .LBB506_16
.LBB506_22:
	s_and_saveexec_b64 s[8:9], s[0:1]
	s_cbranch_execz .LBB506_24
; %bb.23:
	s_load_dwordx2 s[0:1], s[4:5], 0x10
	s_mul_hi_i32 s23, s24, s6
	s_mul_i32 s22, s24, s6
	s_lshl_b64 s[22:23], s[22:23], 1
	s_mov_b32 s31, 0x20000
	s_waitcnt lgkmcnt(0)
	s_add_u32 s28, s0, s22
	s_addc_u32 s0, s1, s23
	s_and_b32 s29, s0, 0xffff
	s_mov_b32 s0, 0x7060302
	v_perm_b32 v2, v3, v2, s0
	v_perm_b32 v3, v5, v4, s0
	;; [unrolled: 1-line block ×4, first 2 shown]
	v_lshlrev_b32_e32 v6, 4, v0
	buffer_store_dwordx4 v[2:5], v6, s[28:31], 0 offen
	;;#ASMSTART
	s_nop 0
	;;#ASMEND
.LBB506_24:
	s_or_b64 exec, exec, s[8:9]
	s_cmp_lt_i32 s16, 1
	s_cbranch_scc1 .LBB506_17
.LBB506_25:
	s_load_dword s0, s[4:5], 0x94
	s_waitcnt lgkmcnt(0)
	s_cmp_lg_u32 s0, 1
	s_cbranch_scc1 .LBB506_17
; %bb.26:
	s_lshl_b32 s0, s16, 1
	s_add_i32 s0, s0, 2
	v_cmp_gt_u32_e32 vcc, s16, v1
	s_and_b32 s22, s0, -4
	v_mov_b32_e32 v6, 0
	v_lshlrev_b32_e32 v1, 4, v0
	v_mov_b32_e32 v7, 0
	v_mov_b32_e32 v8, 0
	;; [unrolled: 1-line block ×7, first 2 shown]
	s_barrier
	s_and_saveexec_b64 s[0:1], vcc
	s_cbranch_execz .LBB506_28
; %bb.27:
	s_mul_hi_i32 s5, s18, s6
	s_mul_i32 s4, s18, s6
	s_and_b32 s21, s21, 0xffff
	s_lshl_b64 s[4:5], s[4:5], 1
	s_add_u32 s8, s10, s4
	s_mov_b32 s23, 0x20000
	s_addc_u32 s4, s11, s5
	s_and_b32 s9, s4, 0xffff
	s_mov_b32 s10, s22
	s_mov_b32 s11, s23
	buffer_load_dwordx4 v[6:9], v1, s[8:11], 0 offen glc slc
	buffer_load_dwordx4 v[2:5], v1, s[20:23], 0 offen
.LBB506_28:
	s_or_b64 exec, exec, s[0:1]
	s_waitcnt vmcnt(0)
	v_cvt_f32_u32_sdwa v13, v6 dst_sel:DWORD dst_unused:UNUSED_PAD src0_sel:WORD_1
	v_cvt_f32_u32_sdwa v12, v6 dst_sel:DWORD dst_unused:UNUSED_PAD src0_sel:WORD_0
	v_cvt_f32_u32_sdwa v6, v9 dst_sel:DWORD dst_unused:UNUSED_PAD src0_sel:WORD_1
	v_cvt_f32_u32_sdwa v9, v9 dst_sel:DWORD dst_unused:UNUSED_PAD src0_sel:WORD_0
	;; [unrolled: 2-line block ×4, first 2 shown]
	v_cndmask_b32_e32 v13, 0, v13, vcc
	v_cndmask_b32_e32 v7, 0, v6, vcc
	;; [unrolled: 1-line block ×5, first 2 shown]
	v_mul_f32_e32 v15, v13, v13
	v_cndmask_b32_e32 v10, 0, v10, vcc
	v_fmac_f32_e32 v15, v12, v12
	v_cndmask_b32_e32 v11, 0, v11, vcc
	v_fmac_f32_e32 v15, v10, v10
	;; [unrolled: 2-line block ×3, first 2 shown]
	v_fmac_f32_e32 v15, v8, v8
	v_fmac_f32_e32 v15, v9, v9
	;; [unrolled: 1-line block ×4, first 2 shown]
	s_nop 1
	v_mov_b32_dpp v16, v15 quad_perm:[1,0,3,2] row_mask:0xf bank_mask:0xf
	v_add_f32_e32 v15, v15, v16
	s_nop 1
	v_mov_b32_dpp v16, v15 quad_perm:[2,3,0,1] row_mask:0xf bank_mask:0xf
	v_add_f32_e32 v15, v15, v16
	s_nop 1
	v_mov_b32_dpp v16, v15 row_half_mirror row_mask:0xf bank_mask:0xf
	v_add_f32_e32 v15, v15, v16
	s_nop 1
	v_mov_b32_dpp v16, v15 row_mirror row_mask:0xf bank_mask:0xf
	v_add_f32_e32 v15, v15, v16
	s_nop 1
	v_mov_b32_dpp v16, v15 row_bcast:15 row_mask:0xf bank_mask:0xf
	v_add_f32_e32 v15, v15, v16
	s_nop 1
	v_mov_b32_dpp v16, v15 row_bcast:31 row_mask:0xf bank_mask:0xf
	s_and_saveexec_b64 s[0:1], s[2:3]
	s_cbranch_execz .LBB506_30
; %bb.29:
	v_lshrrev_b32_e32 v0, 4, v0
	v_add_f32_e32 v15, v15, v16
	v_and_b32_e32 v0, 60, v0
	ds_write_b32 v0, v15
.LBB506_30:
	s_or_b64 exec, exec, s[0:1]
	s_waitcnt lgkmcnt(0)
	s_barrier
	ds_read_b32 v0, v14
	s_waitcnt lgkmcnt(0)
	s_nop 0
	v_mov_b32_dpp v14, v0 quad_perm:[1,0,3,2] row_mask:0xf bank_mask:0xf
	v_add_f32_e32 v0, v0, v14
	s_nop 1
	v_mov_b32_dpp v14, v0 quad_perm:[2,3,0,1] row_mask:0xf bank_mask:0xf
	s_and_saveexec_b64 s[0:1], vcc
	s_cbranch_execz .LBB506_17
; %bb.31:
	v_cvt_f32_u32_e32 v15, s16
	v_add_f32_e32 v0, v0, v14
	s_mov_b32 s23, 0x20000
	v_div_scale_f32 v14, s[0:1], v15, v15, v0
	v_rcp_f32_e32 v16, v14
	v_div_scale_f32 v17, vcc, v0, v15, v0
	s_mov_b32 s0, 0x800000
	v_fma_f32 v18, -v14, v16, 1.0
	v_fmac_f32_e32 v16, v18, v16
	v_mul_f32_e32 v18, v17, v16
	v_fma_f32 v19, -v14, v18, v17
	v_fmac_f32_e32 v18, v19, v16
	v_fma_f32 v14, -v14, v18, v17
	v_div_fmas_f32 v14, v14, v16, v18
	v_div_fixup_f32 v0, v14, v15, v0
	v_add_f32_e32 v0, s13, v0
	v_mul_f32_e32 v14, 0x4b800000, v0
	v_cmp_gt_f32_e32 vcc, s0, v0
	v_cndmask_b32_e32 v0, v0, v14, vcc
	v_rsq_f32_e32 v0, v0
	v_cvt_f32_u32_sdwa v17, v2 dst_sel:DWORD dst_unused:UNUSED_PAD src0_sel:WORD_1
	v_cvt_f32_u32_sdwa v16, v2 dst_sel:DWORD dst_unused:UNUSED_PAD src0_sel:WORD_0
	v_cvt_f32_u32_sdwa v19, v3 dst_sel:DWORD dst_unused:UNUSED_PAD src0_sel:WORD_1
	v_mul_f32_e32 v14, 0x45800000, v0
	v_cndmask_b32_e32 v14, v0, v14, vcc
	v_mov_b32_e32 v15, v14
	;;#ASMSTART
	v_pk_mul_f32 v[12:13], v[12:13], v[14:15]
	;;#ASMEND
	;;#ASMSTART
	v_pk_mul_f32 v[10:11], v[10:11], v[14:15]
	;;#ASMEND
	;;#ASMSTART
	v_pk_mul_f32 v[8:9], v[8:9], v[14:15]
	;;#ASMEND
	v_cvt_f32_u32_sdwa v18, v3 dst_sel:DWORD dst_unused:UNUSED_PAD src0_sel:WORD_0
	;;#ASMSTART
	v_pk_mul_f32 v[2:3], v[6:7], v[14:15]
	;;#ASMEND
	v_cvt_f32_u32_sdwa v15, v4 dst_sel:DWORD dst_unused:UNUSED_PAD src0_sel:WORD_1
	v_cvt_f32_u32_sdwa v14, v4 dst_sel:DWORD dst_unused:UNUSED_PAD src0_sel:WORD_0
	v_pk_add_f32 v[6:7], v[16:17], 1.0 op_sel_hi:[1,0]
	v_cvt_f32_u32_sdwa v17, v5 dst_sel:DWORD dst_unused:UNUSED_PAD src0_sel:WORD_1
	v_cvt_f32_u32_sdwa v16, v5 dst_sel:DWORD dst_unused:UNUSED_PAD src0_sel:WORD_0
	s_mul_hi_i32 s1, s25, s6
	s_mul_i32 s0, s25, s6
	s_lshl_b64 s[0:1], s[0:1], 1
	s_add_u32 s20, s14, s0
	;;#ASMSTART
	v_pk_mul_f32 v[6:7], v[12:13], v[6:7]
	;;#ASMEND
	v_pk_add_f32 v[12:13], v[18:19], 1.0 op_sel_hi:[1,0]
	;;#ASMSTART
	v_pk_mul_f32 v[4:5], v[10:11], v[12:13]
	;;#ASMEND
	v_pk_add_f32 v[10:11], v[14:15], 1.0 op_sel_hi:[1,0]
	s_addc_u32 s0, s15, s1
	;;#ASMSTART
	v_pk_mul_f32 v[8:9], v[8:9], v[10:11]
	;;#ASMEND
	v_pk_add_f32 v[10:11], v[16:17], 1.0 op_sel_hi:[1,0]
	s_and_b32 s21, s0, 0xffff
	s_mov_b32 s0, 0x7060302
	;;#ASMSTART
	v_pk_mul_f32 v[10:11], v[2:3], v[10:11]
	;;#ASMEND
	v_perm_b32 v2, v7, v6, s0
	v_perm_b32 v3, v5, v4, s0
	;; [unrolled: 1-line block ×4, first 2 shown]
	buffer_store_dwordx4 v[2:5], v1, s[20:23], 0 offen
	;;#ASMSTART
	s_nop 0
	;;#ASMEND
	s_endpgm
	.section	.rodata,"a",@progbits
	.p2align	6, 0x0
	.amdhsa_kernel _ZN5aiter35fused_qk_rmsnorm_group_quant_kernelItDB8_Li256ELi8ELi8ELb1ELb1ELb1ELb1ELb0ELb0EEEvPT0_PvPT_S6_S6_PKS5_S8_S8_S8_S8_ffiiiiiiiiiiiii
		.amdhsa_group_segment_fixed_size 32
		.amdhsa_private_segment_fixed_size 0
		.amdhsa_kernarg_size 400
		.amdhsa_user_sgpr_count 6
		.amdhsa_user_sgpr_private_segment_buffer 1
		.amdhsa_user_sgpr_dispatch_ptr 0
		.amdhsa_user_sgpr_queue_ptr 0
		.amdhsa_user_sgpr_kernarg_segment_ptr 1
		.amdhsa_user_sgpr_dispatch_id 0
		.amdhsa_user_sgpr_flat_scratch_init 0
		.amdhsa_user_sgpr_kernarg_preload_length 0
		.amdhsa_user_sgpr_kernarg_preload_offset 0
		.amdhsa_user_sgpr_private_segment_size 0
		.amdhsa_uses_dynamic_stack 0
		.amdhsa_system_sgpr_private_segment_wavefront_offset 0
		.amdhsa_system_sgpr_workgroup_id_x 1
		.amdhsa_system_sgpr_workgroup_id_y 1
		.amdhsa_system_sgpr_workgroup_id_z 0
		.amdhsa_system_sgpr_workgroup_info 0
		.amdhsa_system_vgpr_workitem_id 0
		.amdhsa_next_free_vgpr 27
		.amdhsa_next_free_sgpr 44
		.amdhsa_accum_offset 28
		.amdhsa_reserve_vcc 1
		.amdhsa_reserve_flat_scratch 0
		.amdhsa_float_round_mode_32 0
		.amdhsa_float_round_mode_16_64 0
		.amdhsa_float_denorm_mode_32 3
		.amdhsa_float_denorm_mode_16_64 3
		.amdhsa_dx10_clamp 1
		.amdhsa_ieee_mode 1
		.amdhsa_fp16_overflow 0
		.amdhsa_tg_split 0
		.amdhsa_exception_fp_ieee_invalid_op 0
		.amdhsa_exception_fp_denorm_src 0
		.amdhsa_exception_fp_ieee_div_zero 0
		.amdhsa_exception_fp_ieee_overflow 0
		.amdhsa_exception_fp_ieee_underflow 0
		.amdhsa_exception_fp_ieee_inexact 0
		.amdhsa_exception_int_div_zero 0
	.end_amdhsa_kernel
	.section	.text._ZN5aiter35fused_qk_rmsnorm_group_quant_kernelItDB8_Li256ELi8ELi8ELb1ELb1ELb1ELb1ELb0ELb0EEEvPT0_PvPT_S6_S6_PKS5_S8_S8_S8_S8_ffiiiiiiiiiiiii,"axG",@progbits,_ZN5aiter35fused_qk_rmsnorm_group_quant_kernelItDB8_Li256ELi8ELi8ELb1ELb1ELb1ELb1ELb0ELb0EEEvPT0_PvPT_S6_S6_PKS5_S8_S8_S8_S8_ffiiiiiiiiiiiii,comdat
.Lfunc_end506:
	.size	_ZN5aiter35fused_qk_rmsnorm_group_quant_kernelItDB8_Li256ELi8ELi8ELb1ELb1ELb1ELb1ELb0ELb0EEEvPT0_PvPT_S6_S6_PKS5_S8_S8_S8_S8_ffiiiiiiiiiiiii, .Lfunc_end506-_ZN5aiter35fused_qk_rmsnorm_group_quant_kernelItDB8_Li256ELi8ELi8ELb1ELb1ELb1ELb1ELb0ELb0EEEvPT0_PvPT_S6_S6_PKS5_S8_S8_S8_S8_ffiiiiiiiiiiiii
                                        ; -- End function
	.section	.AMDGPU.csdata,"",@progbits
; Kernel info:
; codeLenInByte = 2516
; NumSgprs: 48
; NumVgprs: 27
; NumAgprs: 0
; TotalNumVgprs: 27
; ScratchSize: 0
; MemoryBound: 0
; FloatMode: 240
; IeeeMode: 1
; LDSByteSize: 32 bytes/workgroup (compile time only)
; SGPRBlocks: 5
; VGPRBlocks: 3
; NumSGPRsForWavesPerEU: 48
; NumVGPRsForWavesPerEU: 27
; AccumOffset: 28
; Occupancy: 8
; WaveLimiterHint : 0
; COMPUTE_PGM_RSRC2:SCRATCH_EN: 0
; COMPUTE_PGM_RSRC2:USER_SGPR: 6
; COMPUTE_PGM_RSRC2:TRAP_HANDLER: 0
; COMPUTE_PGM_RSRC2:TGID_X_EN: 1
; COMPUTE_PGM_RSRC2:TGID_Y_EN: 1
; COMPUTE_PGM_RSRC2:TGID_Z_EN: 0
; COMPUTE_PGM_RSRC2:TIDIG_COMP_CNT: 0
; COMPUTE_PGM_RSRC3_GFX90A:ACCUM_OFFSET: 6
; COMPUTE_PGM_RSRC3_GFX90A:TG_SPLIT: 0
	.section	.text._ZN5aiter35fused_qk_rmsnorm_group_quant_kernelIDF16_N4opus5fp4_tELi256ELi8ELi8ELb1ELb1ELb1ELb1ELb0ELb0EEEvPT0_PvPT_S7_S7_PKS6_S9_S9_S9_S9_ffiiiiiiiiiiiii,"axG",@progbits,_ZN5aiter35fused_qk_rmsnorm_group_quant_kernelIDF16_N4opus5fp4_tELi256ELi8ELi8ELb1ELb1ELb1ELb1ELb0ELb0EEEvPT0_PvPT_S7_S7_PKS6_S9_S9_S9_S9_ffiiiiiiiiiiiii,comdat
	.protected	_ZN5aiter35fused_qk_rmsnorm_group_quant_kernelIDF16_N4opus5fp4_tELi256ELi8ELi8ELb1ELb1ELb1ELb1ELb0ELb0EEEvPT0_PvPT_S7_S7_PKS6_S9_S9_S9_S9_ffiiiiiiiiiiiii ; -- Begin function _ZN5aiter35fused_qk_rmsnorm_group_quant_kernelIDF16_N4opus5fp4_tELi256ELi8ELi8ELb1ELb1ELb1ELb1ELb0ELb0EEEvPT0_PvPT_S7_S7_PKS6_S9_S9_S9_S9_ffiiiiiiiiiiiii
	.globl	_ZN5aiter35fused_qk_rmsnorm_group_quant_kernelIDF16_N4opus5fp4_tELi256ELi8ELi8ELb1ELb1ELb1ELb1ELb0ELb0EEEvPT0_PvPT_S7_S7_PKS6_S9_S9_S9_S9_ffiiiiiiiiiiiii
	.p2align	8
	.type	_ZN5aiter35fused_qk_rmsnorm_group_quant_kernelIDF16_N4opus5fp4_tELi256ELi8ELi8ELb1ELb1ELb1ELb1ELb0ELb0EEEvPT0_PvPT_S7_S7_PKS6_S9_S9_S9_S9_ffiiiiiiiiiiiii,@function
_ZN5aiter35fused_qk_rmsnorm_group_quant_kernelIDF16_N4opus5fp4_tELi256ELi8ELi8ELb1ELb1ELb1ELb1ELb0ELb0EEEvPT0_PvPT_S7_S7_PKS6_S9_S9_S9_S9_ffiiiiiiiiiiiii: ; @_ZN5aiter35fused_qk_rmsnorm_group_quant_kernelIDF16_N4opus5fp4_tELi256ELi8ELi8ELb1ELb1ELb1ELb1ELb0ELb0EEEvPT0_PvPT_S7_S7_PKS6_S9_S9_S9_S9_ffiiiiiiiiiiiii
; %bb.0:
	s_load_dwordx8 s[12:19], s[4:5], 0x50
	s_waitcnt lgkmcnt(0)
	s_cmp_ge_i32 s6, s14
	s_cbranch_scc1 .LBB507_17
; %bb.1:
	s_cmp_lg_u32 s7, 0
	s_cselect_b64 s[22:23], -1, 0
	s_cmp_eq_u32 s7, 0
	s_cselect_b64 s[2:3], -1, 0
	s_and_b64 s[0:1], s[2:3], exec
	s_cselect_b32 s7, s15, s16
	s_load_dwordx2 s[10:11], s[4:5], 0x30
	s_load_dwordx2 s[20:21], s[4:5], 0x48
	s_add_i32 s0, s7, 1
	s_lshr_b32 s1, s0, 31
	s_add_i32 s0, s0, s1
	s_lshl_b32 s0, s0, 1
	v_lshlrev_b32_e32 v1, 3, v0
	s_and_b32 s30, s0, -4
	v_cmp_gt_i32_e64 s[0:1], s7, v1
	v_mov_b32_e32 v2, 0
	v_mov_b32_e32 v3, 0
	;; [unrolled: 1-line block ×8, first 2 shown]
	s_and_saveexec_b64 s[8:9], s[0:1]
	s_cbranch_execz .LBB507_3
; %bb.2:
	s_load_dwordx2 s[14:15], s[4:5], 0x28
	s_load_dwordx2 s[26:27], s[4:5], 0x40
	s_and_b64 s[24:25], s[2:3], exec
	s_cselect_b32 s17, s17, s18
	s_mov_b32 s31, 0x20000
	s_waitcnt lgkmcnt(0)
	s_cselect_b32 s25, s15, s11
	s_cselect_b32 s24, s14, s10
	s_mul_hi_i32 s15, s17, s6
	s_mul_i32 s14, s17, s6
	s_lshl_b64 s[14:15], s[14:15], 1
	s_add_u32 s24, s24, s14
	s_addc_u32 s17, s25, s15
	s_and_b64 s[14:15], s[2:3], exec
	s_cselect_b32 s28, s26, s20
	s_cselect_b32 s14, s27, s21
	v_lshlrev_b32_e32 v10, 4, v0
	s_and_b32 s25, s17, 0xffff
	s_mov_b32 s26, s30
	s_mov_b32 s27, s31
	s_and_b32 s29, s14, 0xffff
	buffer_load_dwordx4 v[6:9], v10, s[24:27], 0 offen glc slc
	buffer_load_dwordx4 v[2:5], v10, s[28:31], 0 offen
.LBB507_3:
	s_or_b64 exec, exec, s[8:9]
	s_load_dwordx4 s[24:27], s[4:5], 0x7c
	s_and_b64 vcc, exec, s[22:23]
	s_cbranch_vccz .LBB507_7
; %bb.4:
	v_mov_b32_e32 v11, 0
	v_mov_b32_e32 v10, 0
	;; [unrolled: 1-line block ×8, first 2 shown]
	s_and_saveexec_b64 s[8:9], s[0:1]
	s_cbranch_execz .LBB507_6
; %bb.5:
	s_waitcnt vmcnt(1)
	v_cvt_f32_f16_sdwa v13, v6 dst_sel:DWORD dst_unused:UNUSED_PAD src0_sel:WORD_1
	v_cvt_f32_f16_e32 v12, v6
	v_cvt_f32_f16_sdwa v17, v7 dst_sel:DWORD dst_unused:UNUSED_PAD src0_sel:WORD_1
	v_cvt_f32_f16_e32 v16, v7
	;; [unrolled: 2-line block ×4, first 2 shown]
.LBB507_6:
	s_or_b64 exec, exec, s[8:9]
	s_cbranch_execz .LBB507_8
	s_branch .LBB507_11
.LBB507_7:
                                        ; implicit-def: $vgpr11
                                        ; implicit-def: $vgpr15
                                        ; implicit-def: $vgpr17
                                        ; implicit-def: $vgpr13
.LBB507_8:
	v_mov_b32_e32 v11, 0
	v_mov_b32_e32 v10, 0
	;; [unrolled: 1-line block ×8, first 2 shown]
	s_and_saveexec_b64 s[8:9], s[0:1]
	s_cbranch_execz .LBB507_10
; %bb.9:
	s_load_dwordx2 s[14:15], s[4:5], 0x38
	s_mul_hi_i32 s29, s19, s6
	s_mul_i32 s28, s19, s6
	s_lshl_b64 s[28:29], s[28:29], 1
	s_mov_b32 s31, 0x20000
	s_waitcnt lgkmcnt(0)
	s_add_u32 s28, s14, s28
	s_addc_u32 s14, s15, s29
	s_and_b32 s29, s14, 0xffff
	v_lshlrev_b32_e32 v24, 4, v0
	buffer_load_dwordx4 v[10:13], v24, s[28:31], 0 offen glc slc
	s_waitcnt vmcnt(2)
	v_cvt_f32_f16_sdwa v15, v6 dst_sel:DWORD dst_unused:UNUSED_PAD src0_sel:WORD_1
	v_cvt_f32_f16_e32 v14, v6
	v_cvt_f32_f16_sdwa v17, v7 dst_sel:DWORD dst_unused:UNUSED_PAD src0_sel:WORD_1
	v_cvt_f32_f16_e32 v16, v7
	;; [unrolled: 2-line block ×4, first 2 shown]
	s_load_dwordx2 s[14:15], s[4:5], 0x20
	s_mul_hi_i32 s27, s26, s6
	s_mul_i32 s26, s26, s6
	s_lshl_b64 s[26:27], s[26:27], 1
	s_waitcnt lgkmcnt(0)
	s_add_u32 s28, s14, s26
	s_addc_u32 s14, s15, s27
	s_and_b32 s29, s14, 0xffff
	s_waitcnt vmcnt(0)
	v_cvt_f32_f16_e32 v8, v10
	v_cvt_f32_f16_sdwa v9, v10 dst_sel:DWORD dst_unused:UNUSED_PAD src0_sel:WORD_1
	v_cvt_f32_f16_e32 v10, v11
	v_cvt_f32_f16_sdwa v11, v11 dst_sel:DWORD dst_unused:UNUSED_PAD src0_sel:WORD_1
	;; [unrolled: 2-line block ×4, first 2 shown]
	v_pk_add_f32 v[12:13], v[14:15], v[8:9]
	v_pk_add_f32 v[16:17], v[16:17], v[10:11]
	;; [unrolled: 1-line block ×4, first 2 shown]
	v_cvt_f16_f32_e32 v6, v13
	v_cvt_f16_f32_e32 v7, v17
	;; [unrolled: 1-line block ×8, first 2 shown]
	v_pack_b32_f16 v9, v18, v9
	v_pack_b32_f16 v8, v19, v8
	v_pack_b32_f16 v7, v20, v7
	v_pack_b32_f16 v6, v21, v6
	buffer_store_dwordx4 v[6:9], v24, s[28:31], 0 offen glc slc
	;;#ASMSTART
	s_nop 0
	;;#ASMEND
.LBB507_10:
	s_or_b64 exec, exec, s[8:9]
.LBB507_11:
	s_waitcnt vmcnt(1)
	v_mul_f32_e32 v6, v13, v13
	v_fmac_f32_e32 v6, v12, v12
	v_fmac_f32_e32 v6, v16, v16
	;; [unrolled: 1-line block ×7, first 2 shown]
	v_and_b32_e32 v8, 63, v0
	v_cmp_eq_u32_e64 s[8:9], 63, v8
	v_mov_b32_dpp v7, v6 quad_perm:[1,0,3,2] row_mask:0xf bank_mask:0xf
	v_add_f32_e32 v6, v6, v7
	s_nop 1
	v_mov_b32_dpp v7, v6 quad_perm:[2,3,0,1] row_mask:0xf bank_mask:0xf
	v_add_f32_e32 v6, v6, v7
	s_nop 1
	v_mov_b32_dpp v7, v6 row_half_mirror row_mask:0xf bank_mask:0xf
	v_add_f32_e32 v6, v6, v7
	s_nop 1
	v_mov_b32_dpp v7, v6 row_mirror row_mask:0xf bank_mask:0xf
	v_add_f32_e32 v6, v6, v7
	s_nop 1
	v_mov_b32_dpp v7, v6 row_bcast:15 row_mask:0xf bank_mask:0xf
	v_add_f32_e32 v6, v6, v7
	s_nop 1
	v_mov_b32_dpp v7, v6 row_bcast:31 row_mask:0xf bank_mask:0xf
	s_and_saveexec_b64 s[14:15], s[8:9]
	s_cbranch_execz .LBB507_13
; %bb.12:
	v_add_f32_e32 v6, v6, v7
	v_lshrrev_b32_e32 v7, 4, v0
	v_and_b32_e32 v7, 60, v7
	ds_write_b32 v7, v6 offset:16
.LBB507_13:
	s_or_b64 exec, exec, s[14:15]
	v_and_b32_e32 v6, 3, v0
	v_lshlrev_b32_e32 v18, 2, v6
	s_waitcnt lgkmcnt(0)
	s_barrier
	ds_read_b32 v6, v18 offset:16
	s_load_dwordx2 s[14:15], s[4:5], 0x18
	s_waitcnt lgkmcnt(0)
	v_mov_b32_dpp v7, v6 quad_perm:[1,0,3,2] row_mask:0xf bank_mask:0xf
	v_add_f32_e32 v6, v6, v7
	s_nop 1
	v_mov_b32_dpp v7, v6 quad_perm:[2,3,0,1] row_mask:0xf bank_mask:0xf
	s_and_saveexec_b64 s[26:27], s[0:1]
	s_cbranch_execnz .LBB507_18
; %bb.14:
	s_or_b64 exec, exec, s[26:27]
	s_mov_b64 s[2:3], -1
	s_and_b64 vcc, exec, s[22:23]
	s_cbranch_vccnz .LBB507_19
.LBB507_15:
	s_andn2_b64 vcc, exec, s[2:3]
	s_cbranch_vccz .LBB507_22
.LBB507_16:
	s_cmp_lt_i32 s16, 1
	s_cbranch_scc0 .LBB507_25
.LBB507_17:
	s_endpgm
.LBB507_18:
	v_cvt_f32_u32_e32 v8, s7
	v_add_f32_e32 v6, v6, v7
	v_mov_b32_e32 v19, s13
	v_mov_b32_e32 v20, s12
	v_div_scale_f32 v7, s[28:29], v8, v8, v6
	v_rcp_f32_e32 v9, v7
	v_cndmask_b32_e64 v19, v19, v20, s[2:3]
	s_mov_b32 s2, 0x800000
	v_fma_f32 v20, -v7, v9, 1.0
	v_fmac_f32_e32 v9, v20, v9
	v_div_scale_f32 v20, vcc, v6, v8, v6
	v_mul_f32_e32 v21, v20, v9
	v_fma_f32 v22, -v7, v21, v20
	v_fmac_f32_e32 v21, v22, v9
	v_fma_f32 v7, -v7, v21, v20
	v_div_fmas_f32 v7, v7, v9, v21
	v_div_fixup_f32 v6, v7, v8, v6
	v_add_f32_e32 v6, v19, v6
	v_mul_f32_e32 v7, 0x4b800000, v6
	v_cmp_gt_f32_e32 vcc, s2, v6
	v_cndmask_b32_e32 v6, v6, v7, vcc
	v_rsq_f32_e32 v6, v6
	s_waitcnt vmcnt(0)
	v_cvt_f32_f16_sdwa v21, v3 dst_sel:DWORD dst_unused:UNUSED_PAD src0_sel:WORD_1
	v_cvt_f32_f16_e32 v20, v3
	v_mul_f32_e32 v7, 0x45800000, v6
	v_cndmask_b32_e32 v6, v6, v7, vcc
	v_mov_b32_e32 v7, v6
	;;#ASMSTART
	v_pk_mul_f32 v[8:9], v[12:13], v[6:7]
	;;#ASMEND
	v_cvt_f32_f16_sdwa v13, v2 dst_sel:DWORD dst_unused:UNUSED_PAD src0_sel:WORD_1
	v_cvt_f32_f16_e32 v12, v2
	;;#ASMSTART
	v_pk_mul_f32 v[16:17], v[16:17], v[6:7]
	;;#ASMEND
	;;#ASMSTART
	v_pk_mul_f32 v[14:15], v[14:15], v[6:7]
	;;#ASMEND
	;; [unrolled: 3-line block ×3, first 2 shown]
	v_pk_add_f32 v[6:7], v[12:13], 1.0 op_sel_hi:[1,0]
	;;#ASMSTART
	v_pk_mul_f32 v[12:13], v[8:9], v[6:7]
	;;#ASMEND
	v_cvt_f32_f16_sdwa v9, v4 dst_sel:DWORD dst_unused:UNUSED_PAD src0_sel:WORD_1
	v_cvt_f32_f16_e32 v8, v4
	v_cvt_f32_f16_sdwa v11, v5 dst_sel:DWORD dst_unused:UNUSED_PAD src0_sel:WORD_1
	v_cvt_f32_f16_e32 v10, v5
	v_pk_add_f32 v[6:7], v[20:21], 1.0 op_sel_hi:[1,0]
	v_pk_add_f32 v[4:5], v[8:9], 1.0 op_sel_hi:[1,0]
	;;#ASMSTART
	v_pk_mul_f32 v[16:17], v[16:17], v[6:7]
	;;#ASMEND
	;;#ASMSTART
	v_pk_mul_f32 v[14:15], v[14:15], v[4:5]
	;;#ASMEND
	v_pk_add_f32 v[4:5], v[10:11], 1.0 op_sel_hi:[1,0]
	;;#ASMSTART
	v_pk_mul_f32 v[10:11], v[2:3], v[4:5]
	;;#ASMEND
	s_or_b64 exec, exec, s[26:27]
	s_mov_b64 s[2:3], -1
	s_and_b64 vcc, exec, s[22:23]
	s_cbranch_vccz .LBB507_15
.LBB507_19:
	s_and_saveexec_b64 s[2:3], s[0:1]
	s_cbranch_execz .LBB507_21
; %bb.20:
	s_mul_hi_i32 s23, s25, s6
	s_mul_i32 s22, s25, s6
	s_waitcnt vmcnt(0)
	v_cvt_f16_f32_e32 v2, v12
	v_cvt_f16_f32_e32 v3, v16
	v_cvt_f16_f32_e32 v4, v14
	v_cvt_f16_f32_e32 v5, v10
	v_cvt_f16_f32_e32 v6, v11
	v_cvt_f16_f32_e32 v7, v15
	v_cvt_f16_f32_e32 v8, v17
	v_cvt_f16_f32_e32 v9, v13
	s_lshl_b64 s[22:23], s[22:23], 1
	s_add_u32 s28, s14, s22
	s_addc_u32 s7, s15, s23
	s_and_b32 s29, s7, 0xffff
	s_mov_b32 s31, 0x20000
	v_pack_b32_f16 v5, v5, v6
	v_pack_b32_f16 v4, v4, v7
	v_pack_b32_f16 v3, v3, v8
	v_pack_b32_f16 v2, v2, v9
	v_lshlrev_b32_e32 v6, 4, v0
	buffer_store_dwordx4 v[2:5], v6, s[28:31], 0 offen
	;;#ASMSTART
	s_nop 0
	;;#ASMEND
.LBB507_21:
	s_or_b64 exec, exec, s[2:3]
	s_cbranch_execnz .LBB507_16
.LBB507_22:
	s_and_saveexec_b64 s[2:3], s[0:1]
	s_cbranch_execz .LBB507_24
; %bb.23:
	s_load_dwordx2 s[0:1], s[4:5], 0x10
	s_mul_hi_i32 s23, s24, s6
	s_mul_i32 s22, s24, s6
	s_waitcnt vmcnt(0)
	v_cvt_f16_f32_e32 v2, v12
	v_cvt_f16_f32_e32 v3, v16
	v_cvt_f16_f32_e32 v4, v14
	v_cvt_f16_f32_e32 v5, v10
	v_cvt_f16_f32_e32 v6, v11
	v_cvt_f16_f32_e32 v7, v15
	v_cvt_f16_f32_e32 v8, v17
	v_cvt_f16_f32_e32 v9, v13
	s_lshl_b64 s[22:23], s[22:23], 1
	s_waitcnt lgkmcnt(0)
	s_add_u32 s28, s0, s22
	s_addc_u32 s0, s1, s23
	s_mov_b32 s31, 0x20000
	s_and_b32 s29, s0, 0xffff
	v_pack_b32_f16 v5, v5, v6
	v_pack_b32_f16 v4, v4, v7
	;; [unrolled: 1-line block ×4, first 2 shown]
	v_lshlrev_b32_e32 v6, 4, v0
	buffer_store_dwordx4 v[2:5], v6, s[28:31], 0 offen
	;;#ASMSTART
	s_nop 0
	;;#ASMEND
.LBB507_24:
	s_or_b64 exec, exec, s[2:3]
	s_cmp_lt_i32 s16, 1
	s_cbranch_scc1 .LBB507_17
.LBB507_25:
	s_load_dword s0, s[4:5], 0x94
	s_waitcnt lgkmcnt(0)
	s_cmp_lg_u32 s0, 1
	s_cbranch_scc1 .LBB507_17
; %bb.26:
	s_lshl_b32 s0, s16, 1
	s_add_i32 s0, s0, 2
	v_cmp_gt_u32_e32 vcc, s16, v1
	s_and_b32 s22, s0, -4
	v_mov_b32_e32 v10, 0
	v_lshlrev_b32_e32 v1, 4, v0
	v_mov_b32_e32 v6, 0
	v_mov_b32_e32 v7, 0
	;; [unrolled: 1-line block ×4, first 2 shown]
	s_waitcnt vmcnt(0)
	v_mov_b32_e32 v2, 0
	v_mov_b32_e32 v3, 0
	;; [unrolled: 1-line block ×4, first 2 shown]
	s_barrier
	s_and_saveexec_b64 s[0:1], vcc
	s_cbranch_execz .LBB507_28
; %bb.27:
	s_mul_hi_i32 s3, s18, s6
	s_mul_i32 s2, s18, s6
	s_and_b32 s21, s21, 0xffff
	s_lshl_b64 s[2:3], s[2:3], 1
	s_add_u32 s28, s10, s2
	s_mov_b32 s23, 0x20000
	s_addc_u32 s2, s11, s3
	s_and_b32 s29, s2, 0xffff
	s_mov_b32 s30, s22
	s_mov_b32 s31, s23
	buffer_load_dwordx4 v[6:9], v1, s[28:31], 0 offen glc slc
	buffer_load_dwordx4 v[2:5], v1, s[20:23], 0 offen
.LBB507_28:
	s_or_b64 exec, exec, s[0:1]
	v_mov_b32_e32 v11, 0
	v_mov_b32_e32 v16, 0
	;; [unrolled: 1-line block ×7, first 2 shown]
	s_and_saveexec_b64 s[0:1], vcc
	s_cbranch_execz .LBB507_30
; %bb.29:
	s_waitcnt vmcnt(1)
	v_cvt_f32_f16_sdwa v11, v6 dst_sel:DWORD dst_unused:UNUSED_PAD src0_sel:WORD_1
	v_cvt_f32_f16_e32 v10, v6
	v_cvt_f32_f16_sdwa v17, v7 dst_sel:DWORD dst_unused:UNUSED_PAD src0_sel:WORD_1
	v_cvt_f32_f16_e32 v16, v7
	;; [unrolled: 2-line block ×4, first 2 shown]
.LBB507_30:
	s_or_b64 exec, exec, s[0:1]
	s_waitcnt vmcnt(1)
	v_mul_f32_e32 v6, v11, v11
	v_fmac_f32_e32 v6, v10, v10
	v_fmac_f32_e32 v6, v16, v16
	;; [unrolled: 1-line block ×7, first 2 shown]
	s_nop 1
	v_mov_b32_dpp v7, v6 quad_perm:[1,0,3,2] row_mask:0xf bank_mask:0xf
	v_add_f32_e32 v6, v6, v7
	s_nop 1
	v_mov_b32_dpp v7, v6 quad_perm:[2,3,0,1] row_mask:0xf bank_mask:0xf
	v_add_f32_e32 v6, v6, v7
	s_nop 1
	v_mov_b32_dpp v7, v6 row_half_mirror row_mask:0xf bank_mask:0xf
	v_add_f32_e32 v6, v6, v7
	s_nop 1
	v_mov_b32_dpp v7, v6 row_mirror row_mask:0xf bank_mask:0xf
	v_add_f32_e32 v6, v6, v7
	s_nop 1
	v_mov_b32_dpp v7, v6 row_bcast:15 row_mask:0xf bank_mask:0xf
	v_add_f32_e32 v6, v6, v7
	s_nop 1
	v_mov_b32_dpp v7, v6 row_bcast:31 row_mask:0xf bank_mask:0xf
	s_and_saveexec_b64 s[0:1], s[8:9]
	s_cbranch_execz .LBB507_32
; %bb.31:
	v_lshrrev_b32_e32 v0, 4, v0
	v_add_f32_e32 v6, v6, v7
	v_and_b32_e32 v0, 60, v0
	ds_write_b32 v0, v6
.LBB507_32:
	s_or_b64 exec, exec, s[0:1]
	s_waitcnt lgkmcnt(0)
	s_barrier
	ds_read_b32 v0, v18
	s_waitcnt lgkmcnt(0)
	s_nop 0
	v_mov_b32_dpp v6, v0 quad_perm:[1,0,3,2] row_mask:0xf bank_mask:0xf
	v_add_f32_e32 v0, v0, v6
	s_nop 1
	v_mov_b32_dpp v6, v0 quad_perm:[2,3,0,1] row_mask:0xf bank_mask:0xf
	s_and_saveexec_b64 s[0:1], vcc
	s_cbranch_execz .LBB507_17
; %bb.33:
	v_cvt_f32_u32_e32 v7, s16
	v_add_f32_e32 v0, v0, v6
	s_mov_b32 s23, 0x20000
	v_div_scale_f32 v6, s[0:1], v7, v7, v0
	v_rcp_f32_e32 v8, v6
	v_div_scale_f32 v9, vcc, v0, v7, v0
	s_mov_b32 s0, 0x800000
	v_fma_f32 v18, -v6, v8, 1.0
	v_fmac_f32_e32 v8, v18, v8
	v_mul_f32_e32 v18, v9, v8
	v_fma_f32 v19, -v6, v18, v9
	v_fmac_f32_e32 v18, v19, v8
	v_fma_f32 v6, -v6, v18, v9
	v_div_fmas_f32 v6, v6, v8, v18
	v_div_fixup_f32 v0, v6, v7, v0
	v_add_f32_e32 v0, s13, v0
	v_mul_f32_e32 v6, 0x4b800000, v0
	v_cmp_gt_f32_e32 vcc, s0, v0
	v_cndmask_b32_e32 v0, v0, v6, vcc
	v_rsq_f32_e32 v0, v0
	s_waitcnt vmcnt(0)
	v_cvt_f32_f16_sdwa v19, v3 dst_sel:DWORD dst_unused:UNUSED_PAD src0_sel:WORD_1
	v_cvt_f32_f16_e32 v18, v3
	s_mul_hi_i32 s1, s25, s6
	v_mul_f32_e32 v6, 0x45800000, v0
	v_cndmask_b32_e32 v6, v0, v6, vcc
	v_mov_b32_e32 v7, v6
	;;#ASMSTART
	v_pk_mul_f32 v[8:9], v[10:11], v[6:7]
	;;#ASMEND
	;;#ASMSTART
	v_pk_mul_f32 v[10:11], v[16:17], v[6:7]
	;;#ASMEND
	v_cvt_f32_f16_sdwa v17, v2 dst_sel:DWORD dst_unused:UNUSED_PAD src0_sel:WORD_1
	v_cvt_f32_f16_e32 v16, v2
	;;#ASMSTART
	v_pk_mul_f32 v[14:15], v[14:15], v[6:7]
	;;#ASMEND
	;;#ASMSTART
	v_pk_mul_f32 v[2:3], v[12:13], v[6:7]
	;;#ASMEND
	v_cvt_f32_f16_sdwa v13, v4 dst_sel:DWORD dst_unused:UNUSED_PAD src0_sel:WORD_1
	v_cvt_f32_f16_e32 v12, v4
	v_pk_add_f32 v[6:7], v[16:17], 1.0 op_sel_hi:[1,0]
	v_cvt_f32_f16_sdwa v17, v5 dst_sel:DWORD dst_unused:UNUSED_PAD src0_sel:WORD_1
	v_cvt_f32_f16_e32 v16, v5
	;;#ASMSTART
	v_pk_mul_f32 v[6:7], v[8:9], v[6:7]
	;;#ASMEND
	v_pk_add_f32 v[8:9], v[18:19], 1.0 op_sel_hi:[1,0]
	;;#ASMSTART
	v_pk_mul_f32 v[4:5], v[10:11], v[8:9]
	;;#ASMEND
	v_pk_add_f32 v[8:9], v[12:13], 1.0 op_sel_hi:[1,0]
	;; [unrolled: 4-line block ×3, first 2 shown]
	;;#ASMSTART
	v_pk_mul_f32 v[2:3], v[2:3], v[10:11]
	;;#ASMEND
	s_mul_i32 s0, s25, s6
	v_cvt_f16_f32_e32 v0, v6
	v_cvt_f16_f32_e32 v6, v7
	;; [unrolled: 1-line block ×8, first 2 shown]
	s_lshl_b64 s[0:1], s[0:1], 1
	s_add_u32 s20, s14, s0
	s_addc_u32 s0, s15, s1
	s_and_b32 s21, s0, 0xffff
	v_pack_b32_f16 v2, v0, v6
	v_pack_b32_f16 v3, v4, v5
	v_pack_b32_f16 v4, v7, v8
	v_pack_b32_f16 v5, v9, v10
	buffer_store_dwordx4 v[2:5], v1, s[20:23], 0 offen
	;;#ASMSTART
	s_nop 0
	;;#ASMEND
	s_endpgm
	.section	.rodata,"a",@progbits
	.p2align	6, 0x0
	.amdhsa_kernel _ZN5aiter35fused_qk_rmsnorm_group_quant_kernelIDF16_N4opus5fp4_tELi256ELi8ELi8ELb1ELb1ELb1ELb1ELb0ELb0EEEvPT0_PvPT_S7_S7_PKS6_S9_S9_S9_S9_ffiiiiiiiiiiiii
		.amdhsa_group_segment_fixed_size 32
		.amdhsa_private_segment_fixed_size 0
		.amdhsa_kernarg_size 400
		.amdhsa_user_sgpr_count 6
		.amdhsa_user_sgpr_private_segment_buffer 1
		.amdhsa_user_sgpr_dispatch_ptr 0
		.amdhsa_user_sgpr_queue_ptr 0
		.amdhsa_user_sgpr_kernarg_segment_ptr 1
		.amdhsa_user_sgpr_dispatch_id 0
		.amdhsa_user_sgpr_flat_scratch_init 0
		.amdhsa_user_sgpr_kernarg_preload_length 0
		.amdhsa_user_sgpr_kernarg_preload_offset 0
		.amdhsa_user_sgpr_private_segment_size 0
		.amdhsa_uses_dynamic_stack 0
		.amdhsa_system_sgpr_private_segment_wavefront_offset 0
		.amdhsa_system_sgpr_workgroup_id_x 1
		.amdhsa_system_sgpr_workgroup_id_y 1
		.amdhsa_system_sgpr_workgroup_id_z 0
		.amdhsa_system_sgpr_workgroup_info 0
		.amdhsa_system_vgpr_workitem_id 0
		.amdhsa_next_free_vgpr 25
		.amdhsa_next_free_sgpr 32
		.amdhsa_accum_offset 28
		.amdhsa_reserve_vcc 1
		.amdhsa_reserve_flat_scratch 0
		.amdhsa_float_round_mode_32 0
		.amdhsa_float_round_mode_16_64 0
		.amdhsa_float_denorm_mode_32 3
		.amdhsa_float_denorm_mode_16_64 3
		.amdhsa_dx10_clamp 1
		.amdhsa_ieee_mode 1
		.amdhsa_fp16_overflow 0
		.amdhsa_tg_split 0
		.amdhsa_exception_fp_ieee_invalid_op 0
		.amdhsa_exception_fp_denorm_src 0
		.amdhsa_exception_fp_ieee_div_zero 0
		.amdhsa_exception_fp_ieee_overflow 0
		.amdhsa_exception_fp_ieee_underflow 0
		.amdhsa_exception_fp_ieee_inexact 0
		.amdhsa_exception_int_div_zero 0
	.end_amdhsa_kernel
	.section	.text._ZN5aiter35fused_qk_rmsnorm_group_quant_kernelIDF16_N4opus5fp4_tELi256ELi8ELi8ELb1ELb1ELb1ELb1ELb0ELb0EEEvPT0_PvPT_S7_S7_PKS6_S9_S9_S9_S9_ffiiiiiiiiiiiii,"axG",@progbits,_ZN5aiter35fused_qk_rmsnorm_group_quant_kernelIDF16_N4opus5fp4_tELi256ELi8ELi8ELb1ELb1ELb1ELb1ELb0ELb0EEEvPT0_PvPT_S7_S7_PKS6_S9_S9_S9_S9_ffiiiiiiiiiiiii,comdat
.Lfunc_end507:
	.size	_ZN5aiter35fused_qk_rmsnorm_group_quant_kernelIDF16_N4opus5fp4_tELi256ELi8ELi8ELb1ELb1ELb1ELb1ELb0ELb0EEEvPT0_PvPT_S7_S7_PKS6_S9_S9_S9_S9_ffiiiiiiiiiiiii, .Lfunc_end507-_ZN5aiter35fused_qk_rmsnorm_group_quant_kernelIDF16_N4opus5fp4_tELi256ELi8ELi8ELb1ELb1ELb1ELb1ELb0ELb0EEEvPT0_PvPT_S7_S7_PKS6_S9_S9_S9_S9_ffiiiiiiiiiiiii
                                        ; -- End function
	.section	.AMDGPU.csdata,"",@progbits
; Kernel info:
; codeLenInByte = 2480
; NumSgprs: 36
; NumVgprs: 25
; NumAgprs: 0
; TotalNumVgprs: 25
; ScratchSize: 0
; MemoryBound: 0
; FloatMode: 240
; IeeeMode: 1
; LDSByteSize: 32 bytes/workgroup (compile time only)
; SGPRBlocks: 4
; VGPRBlocks: 3
; NumSGPRsForWavesPerEU: 36
; NumVGPRsForWavesPerEU: 25
; AccumOffset: 28
; Occupancy: 8
; WaveLimiterHint : 0
; COMPUTE_PGM_RSRC2:SCRATCH_EN: 0
; COMPUTE_PGM_RSRC2:USER_SGPR: 6
; COMPUTE_PGM_RSRC2:TRAP_HANDLER: 0
; COMPUTE_PGM_RSRC2:TGID_X_EN: 1
; COMPUTE_PGM_RSRC2:TGID_Y_EN: 1
; COMPUTE_PGM_RSRC2:TGID_Z_EN: 0
; COMPUTE_PGM_RSRC2:TIDIG_COMP_CNT: 0
; COMPUTE_PGM_RSRC3_GFX90A:ACCUM_OFFSET: 6
; COMPUTE_PGM_RSRC3_GFX90A:TG_SPLIT: 0
	.section	.text._ZN5aiter35fused_qk_rmsnorm_group_quant_kernelItN4opus5fp4_tELi256ELi8ELi8ELb1ELb1ELb1ELb1ELb0ELb0EEEvPT0_PvPT_S7_S7_PKS6_S9_S9_S9_S9_ffiiiiiiiiiiiii,"axG",@progbits,_ZN5aiter35fused_qk_rmsnorm_group_quant_kernelItN4opus5fp4_tELi256ELi8ELi8ELb1ELb1ELb1ELb1ELb0ELb0EEEvPT0_PvPT_S7_S7_PKS6_S9_S9_S9_S9_ffiiiiiiiiiiiii,comdat
	.protected	_ZN5aiter35fused_qk_rmsnorm_group_quant_kernelItN4opus5fp4_tELi256ELi8ELi8ELb1ELb1ELb1ELb1ELb0ELb0EEEvPT0_PvPT_S7_S7_PKS6_S9_S9_S9_S9_ffiiiiiiiiiiiii ; -- Begin function _ZN5aiter35fused_qk_rmsnorm_group_quant_kernelItN4opus5fp4_tELi256ELi8ELi8ELb1ELb1ELb1ELb1ELb0ELb0EEEvPT0_PvPT_S7_S7_PKS6_S9_S9_S9_S9_ffiiiiiiiiiiiii
	.globl	_ZN5aiter35fused_qk_rmsnorm_group_quant_kernelItN4opus5fp4_tELi256ELi8ELi8ELb1ELb1ELb1ELb1ELb0ELb0EEEvPT0_PvPT_S7_S7_PKS6_S9_S9_S9_S9_ffiiiiiiiiiiiii
	.p2align	8
	.type	_ZN5aiter35fused_qk_rmsnorm_group_quant_kernelItN4opus5fp4_tELi256ELi8ELi8ELb1ELb1ELb1ELb1ELb0ELb0EEEvPT0_PvPT_S7_S7_PKS6_S9_S9_S9_S9_ffiiiiiiiiiiiii,@function
_ZN5aiter35fused_qk_rmsnorm_group_quant_kernelItN4opus5fp4_tELi256ELi8ELi8ELb1ELb1ELb1ELb1ELb0ELb0EEEvPT0_PvPT_S7_S7_PKS6_S9_S9_S9_S9_ffiiiiiiiiiiiii: ; @_ZN5aiter35fused_qk_rmsnorm_group_quant_kernelItN4opus5fp4_tELi256ELi8ELi8ELb1ELb1ELb1ELb1ELb0ELb0EEEvPT0_PvPT_S7_S7_PKS6_S9_S9_S9_S9_ffiiiiiiiiiiiii
; %bb.0:
	s_load_dwordx8 s[12:19], s[4:5], 0x50
	s_waitcnt lgkmcnt(0)
	s_cmp_ge_i32 s6, s14
	s_cbranch_scc1 .LBB508_17
; %bb.1:
	s_cmp_lg_u32 s7, 0
	s_cselect_b64 s[22:23], -1, 0
	s_cmp_eq_u32 s7, 0
	s_cselect_b64 s[8:9], -1, 0
	s_and_b64 s[0:1], s[8:9], exec
	s_cselect_b32 s7, s15, s16
	s_load_dwordx2 s[10:11], s[4:5], 0x30
	s_load_dwordx2 s[20:21], s[4:5], 0x48
	s_add_i32 s0, s7, 1
	s_lshr_b32 s1, s0, 31
	s_add_i32 s0, s0, s1
	s_lshl_b32 s0, s0, 1
	v_lshlrev_b32_e32 v1, 3, v0
	s_and_b32 s30, s0, -4
	v_cmp_gt_i32_e64 s[0:1], s7, v1
	v_mov_b32_e32 v10, 0
	v_mov_b32_e32 v11, 0
	;; [unrolled: 1-line block ×8, first 2 shown]
	s_and_saveexec_b64 s[2:3], s[0:1]
	s_cbranch_execz .LBB508_3
; %bb.2:
	s_load_dwordx2 s[14:15], s[4:5], 0x28
	s_load_dwordx2 s[26:27], s[4:5], 0x40
	s_and_b64 s[24:25], s[8:9], exec
	s_cselect_b32 s17, s17, s18
	s_mov_b32 s31, 0x20000
	s_waitcnt lgkmcnt(0)
	s_cselect_b32 s25, s15, s11
	s_cselect_b32 s24, s14, s10
	s_mul_hi_i32 s15, s17, s6
	s_mul_i32 s14, s17, s6
	s_lshl_b64 s[14:15], s[14:15], 1
	s_add_u32 s24, s24, s14
	s_addc_u32 s17, s25, s15
	s_and_b64 s[14:15], s[8:9], exec
	s_cselect_b32 s28, s26, s20
	s_cselect_b32 s14, s27, s21
	v_lshlrev_b32_e32 v2, 4, v0
	s_and_b32 s25, s17, 0xffff
	s_mov_b32 s26, s30
	s_mov_b32 s27, s31
	s_and_b32 s29, s14, 0xffff
	buffer_load_dwordx4 v[14:17], v2, s[24:27], 0 offen glc slc
	buffer_load_dwordx4 v[10:13], v2, s[28:31], 0 offen
.LBB508_3:
	s_or_b64 exec, exec, s[2:3]
	s_load_dwordx4 s[24:27], s[4:5], 0x7c
	s_and_b64 vcc, exec, s[22:23]
	s_cbranch_vccz .LBB508_7
; %bb.4:
	s_mov_b32 s36, 0
	s_mov_b32 s37, s36
	;; [unrolled: 1-line block ×8, first 2 shown]
	v_pk_mov_b32 v[2:3], s[36:37], s[36:37] op_sel:[0,1]
	v_pk_mov_b32 v[4:5], s[38:39], s[38:39] op_sel:[0,1]
	;; [unrolled: 1-line block ×4, first 2 shown]
	s_and_saveexec_b64 s[2:3], s[0:1]
	s_cbranch_execz .LBB508_6
; %bb.5:
	s_waitcnt vmcnt(1)
	v_cvt_f32_u32_sdwa v3, v14 dst_sel:DWORD dst_unused:UNUSED_PAD src0_sel:WORD_1
	v_cvt_f32_u32_sdwa v2, v14 dst_sel:DWORD dst_unused:UNUSED_PAD src0_sel:WORD_0
	v_cvt_f32_u32_sdwa v5, v15 dst_sel:DWORD dst_unused:UNUSED_PAD src0_sel:WORD_1
	v_cvt_f32_u32_sdwa v4, v15 dst_sel:DWORD dst_unused:UNUSED_PAD src0_sel:WORD_0
	;; [unrolled: 2-line block ×4, first 2 shown]
.LBB508_6:
	s_or_b64 exec, exec, s[2:3]
	s_cbranch_execz .LBB508_8
	s_branch .LBB508_11
.LBB508_7:
                                        ; implicit-def: $vgpr2_vgpr3_vgpr4_vgpr5_vgpr6_vgpr7_vgpr8_vgpr9
.LBB508_8:
	s_mov_b32 s36, 0
	s_mov_b32 s37, s36
	s_mov_b32 s38, s36
	s_mov_b32 s39, s36
	s_mov_b32 s40, s36
	s_mov_b32 s41, s36
	s_mov_b32 s42, s36
	s_mov_b32 s43, s36
	v_pk_mov_b32 v[2:3], s[36:37], s[36:37] op_sel:[0,1]
	v_pk_mov_b32 v[4:5], s[38:39], s[38:39] op_sel:[0,1]
	;; [unrolled: 1-line block ×4, first 2 shown]
	s_and_saveexec_b64 s[2:3], s[0:1]
	s_cbranch_execz .LBB508_10
; %bb.9:
	s_load_dwordx2 s[14:15], s[4:5], 0x38
	s_mul_hi_i32 s29, s19, s6
	s_mul_i32 s28, s19, s6
	s_lshl_b64 s[28:29], s[28:29], 1
	s_mov_b32 s31, 0x20000
	s_waitcnt lgkmcnt(0)
	s_add_u32 s28, s14, s28
	s_addc_u32 s14, s15, s29
	s_and_b32 s29, s14, 0xffff
	v_lshlrev_b32_e32 v26, 4, v0
	buffer_load_dwordx4 v[2:5], v26, s[28:31], 0 offen glc slc
	s_load_dwordx2 s[14:15], s[4:5], 0x20
	s_waitcnt vmcnt(2)
	v_cvt_f32_u32_sdwa v7, v14 dst_sel:DWORD dst_unused:UNUSED_PAD src0_sel:WORD_1
	v_cvt_f32_u32_sdwa v6, v14 dst_sel:DWORD dst_unused:UNUSED_PAD src0_sel:WORD_0
	v_cvt_f32_u32_sdwa v9, v15 dst_sel:DWORD dst_unused:UNUSED_PAD src0_sel:WORD_1
	v_cvt_f32_u32_sdwa v8, v15 dst_sel:DWORD dst_unused:UNUSED_PAD src0_sel:WORD_0
	;; [unrolled: 2-line block ×4, first 2 shown]
	s_mul_hi_i32 s27, s26, s6
	s_mul_i32 s26, s26, s6
	s_lshl_b64 s[26:27], s[26:27], 1
	s_waitcnt lgkmcnt(0)
	s_add_u32 s28, s14, s26
	s_mov_b32 s17, 0x7060302
	s_addc_u32 s14, s15, s27
	s_and_b32 s29, s14, 0xffff
	s_waitcnt vmcnt(0)
	v_cvt_f32_u32_sdwa v17, v2 dst_sel:DWORD dst_unused:UNUSED_PAD src0_sel:WORD_1
	v_cvt_f32_u32_sdwa v16, v2 dst_sel:DWORD dst_unused:UNUSED_PAD src0_sel:WORD_0
	v_cvt_f32_u32_sdwa v21, v3 dst_sel:DWORD dst_unused:UNUSED_PAD src0_sel:WORD_1
	v_cvt_f32_u32_sdwa v20, v3 dst_sel:DWORD dst_unused:UNUSED_PAD src0_sel:WORD_0
	;; [unrolled: 2-line block ×4, first 2 shown]
	v_pk_add_f32 v[2:3], v[6:7], v[16:17]
	v_pk_add_f32 v[4:5], v[8:9], v[20:21]
	;; [unrolled: 1-line block ×4, first 2 shown]
	v_perm_b32 v17, v9, v8, s17
	v_perm_b32 v16, v7, v6, s17
	;; [unrolled: 1-line block ×4, first 2 shown]
	buffer_store_dwordx4 v[14:17], v26, s[28:31], 0 offen glc slc
	;;#ASMSTART
	s_nop 0
	;;#ASMEND
.LBB508_10:
	s_or_b64 exec, exec, s[2:3]
.LBB508_11:
	s_waitcnt vmcnt(1)
	v_mul_f32_e32 v14, v3, v3
	v_fmac_f32_e32 v14, v2, v2
	v_fmac_f32_e32 v14, v4, v4
	;; [unrolled: 1-line block ×7, first 2 shown]
	v_and_b32_e32 v16, 63, v0
	v_cmp_eq_u32_e64 s[2:3], 63, v16
	v_mov_b32_dpp v15, v14 quad_perm:[1,0,3,2] row_mask:0xf bank_mask:0xf
	v_add_f32_e32 v14, v14, v15
	s_nop 1
	v_mov_b32_dpp v15, v14 quad_perm:[2,3,0,1] row_mask:0xf bank_mask:0xf
	v_add_f32_e32 v14, v14, v15
	s_nop 1
	v_mov_b32_dpp v15, v14 row_half_mirror row_mask:0xf bank_mask:0xf
	v_add_f32_e32 v14, v14, v15
	s_nop 1
	v_mov_b32_dpp v15, v14 row_mirror row_mask:0xf bank_mask:0xf
	v_add_f32_e32 v14, v14, v15
	s_nop 1
	v_mov_b32_dpp v15, v14 row_bcast:15 row_mask:0xf bank_mask:0xf
	v_add_f32_e32 v14, v14, v15
	s_nop 1
	v_mov_b32_dpp v15, v14 row_bcast:31 row_mask:0xf bank_mask:0xf
	s_and_saveexec_b64 s[14:15], s[2:3]
	s_cbranch_execz .LBB508_13
; %bb.12:
	v_add_f32_e32 v14, v14, v15
	v_lshrrev_b32_e32 v15, 4, v0
	v_and_b32_e32 v15, 60, v15
	ds_write_b32 v15, v14 offset:16
.LBB508_13:
	s_or_b64 exec, exec, s[14:15]
	v_and_b32_e32 v14, 3, v0
	v_lshlrev_b32_e32 v14, 2, v14
	s_waitcnt lgkmcnt(0)
	s_barrier
	ds_read_b32 v15, v14 offset:16
	s_load_dwordx2 s[14:15], s[4:5], 0x18
	s_waitcnt lgkmcnt(0)
	v_mov_b32_dpp v16, v15 quad_perm:[1,0,3,2] row_mask:0xf bank_mask:0xf
	v_add_f32_e32 v15, v15, v16
	s_nop 1
	v_mov_b32_dpp v16, v15 quad_perm:[2,3,0,1] row_mask:0xf bank_mask:0xf
	s_and_saveexec_b64 s[26:27], s[0:1]
	s_cbranch_execnz .LBB508_18
; %bb.14:
	s_or_b64 exec, exec, s[26:27]
	s_mov_b64 s[8:9], -1
	s_and_b64 vcc, exec, s[22:23]
	s_cbranch_vccnz .LBB508_19
.LBB508_15:
	s_andn2_b64 vcc, exec, s[8:9]
	s_cbranch_vccz .LBB508_22
.LBB508_16:
	s_cmp_lt_i32 s16, 1
	s_cbranch_scc0 .LBB508_25
.LBB508_17:
	s_endpgm
.LBB508_18:
	v_cvt_f32_u32_e32 v17, s7
	v_add_f32_e32 v15, v15, v16
	v_mov_b32_e32 v19, s13
	v_mov_b32_e32 v20, s12
	v_div_scale_f32 v16, s[28:29], v17, v17, v15
	v_rcp_f32_e32 v18, v16
	v_cndmask_b32_e64 v19, v19, v20, s[8:9]
	s_mov_b32 s7, 0x800000
	v_fma_f32 v20, -v16, v18, 1.0
	v_fmac_f32_e32 v18, v20, v18
	v_div_scale_f32 v20, vcc, v15, v17, v15
	v_mul_f32_e32 v21, v20, v18
	v_fma_f32 v22, -v16, v21, v20
	v_fmac_f32_e32 v21, v22, v18
	v_fma_f32 v16, -v16, v21, v20
	v_div_fmas_f32 v16, v16, v18, v21
	v_div_fixup_f32 v15, v16, v17, v15
	v_add_f32_e32 v15, v19, v15
	v_mul_f32_e32 v16, 0x4b800000, v15
	v_cmp_gt_f32_e32 vcc, s7, v15
	v_cndmask_b32_e32 v15, v15, v16, vcc
	v_rsq_f32_e32 v15, v15
	s_waitcnt vmcnt(0)
	v_cvt_f32_u32_sdwa v19, v10 dst_sel:DWORD dst_unused:UNUSED_PAD src0_sel:WORD_1
	v_cvt_f32_u32_sdwa v18, v10 dst_sel:DWORD dst_unused:UNUSED_PAD src0_sel:WORD_0
	v_cvt_f32_u32_sdwa v21, v11 dst_sel:DWORD dst_unused:UNUSED_PAD src0_sel:WORD_1
	v_mul_f32_e32 v16, 0x45800000, v15
	v_cndmask_b32_e32 v16, v15, v16, vcc
	v_mov_b32_e32 v17, v16
	v_cvt_f32_u32_sdwa v20, v11 dst_sel:DWORD dst_unused:UNUSED_PAD src0_sel:WORD_0
	;;#ASMSTART
	v_pk_mul_f32 v[2:3], v[2:3], v[16:17]
	;;#ASMEND
	;;#ASMSTART
	v_pk_mul_f32 v[4:5], v[4:5], v[16:17]
	;;#ASMEND
	;; [unrolled: 3-line block ×4, first 2 shown]
	v_cvt_f32_u32_sdwa v17, v12 dst_sel:DWORD dst_unused:UNUSED_PAD src0_sel:WORD_1
	v_cvt_f32_u32_sdwa v16, v12 dst_sel:DWORD dst_unused:UNUSED_PAD src0_sel:WORD_0
	v_pk_add_f32 v[10:11], v[18:19], 1.0 op_sel_hi:[1,0]
	v_cvt_f32_u32_sdwa v19, v13 dst_sel:DWORD dst_unused:UNUSED_PAD src0_sel:WORD_1
	v_cvt_f32_u32_sdwa v18, v13 dst_sel:DWORD dst_unused:UNUSED_PAD src0_sel:WORD_0
	;;#ASMSTART
	v_pk_mul_f32 v[2:3], v[2:3], v[10:11]
	;;#ASMEND
	v_pk_add_f32 v[10:11], v[20:21], 1.0 op_sel_hi:[1,0]
	;;#ASMSTART
	v_pk_mul_f32 v[4:5], v[4:5], v[10:11]
	;;#ASMEND
	v_pk_add_f32 v[10:11], v[16:17], 1.0 op_sel_hi:[1,0]
	;; [unrolled: 4-line block ×3, first 2 shown]
	;;#ASMSTART
	v_pk_mul_f32 v[8:9], v[8:9], v[10:11]
	;;#ASMEND
	s_or_b64 exec, exec, s[26:27]
	s_mov_b64 s[8:9], -1
	s_and_b64 vcc, exec, s[22:23]
	s_cbranch_vccz .LBB508_15
.LBB508_19:
	s_and_saveexec_b64 s[8:9], s[0:1]
	s_cbranch_execz .LBB508_21
; %bb.20:
	s_mul_hi_i32 s23, s25, s6
	s_mul_i32 s22, s25, s6
	s_lshl_b64 s[22:23], s[22:23], 1
	s_add_u32 s28, s14, s22
	s_addc_u32 s7, s15, s23
	s_and_b32 s29, s7, 0xffff
	s_mov_b32 s7, 0x7060302
	s_mov_b32 s31, 0x20000
	s_waitcnt vmcnt(0)
	v_perm_b32 v10, v3, v2, s7
	v_perm_b32 v11, v5, v4, s7
	;; [unrolled: 1-line block ×4, first 2 shown]
	v_lshlrev_b32_e32 v15, 4, v0
	buffer_store_dwordx4 v[10:13], v15, s[28:31], 0 offen
	;;#ASMSTART
	s_nop 0
	;;#ASMEND
.LBB508_21:
	s_or_b64 exec, exec, s[8:9]
	s_cbranch_execnz .LBB508_16
.LBB508_22:
	s_and_saveexec_b64 s[8:9], s[0:1]
	s_cbranch_execz .LBB508_24
; %bb.23:
	s_load_dwordx2 s[0:1], s[4:5], 0x10
	s_mul_hi_i32 s23, s24, s6
	s_mul_i32 s22, s24, s6
	s_lshl_b64 s[22:23], s[22:23], 1
	s_mov_b32 s31, 0x20000
	s_waitcnt lgkmcnt(0)
	s_add_u32 s28, s0, s22
	s_addc_u32 s0, s1, s23
	s_and_b32 s29, s0, 0xffff
	s_mov_b32 s0, 0x7060302
	v_perm_b32 v2, v3, v2, s0
	v_perm_b32 v3, v5, v4, s0
	;; [unrolled: 1-line block ×4, first 2 shown]
	v_lshlrev_b32_e32 v6, 4, v0
	buffer_store_dwordx4 v[2:5], v6, s[28:31], 0 offen
	;;#ASMSTART
	s_nop 0
	;;#ASMEND
.LBB508_24:
	s_or_b64 exec, exec, s[8:9]
	s_cmp_lt_i32 s16, 1
	s_cbranch_scc1 .LBB508_17
.LBB508_25:
	s_load_dword s0, s[4:5], 0x94
	s_waitcnt lgkmcnt(0)
	s_cmp_lg_u32 s0, 1
	s_cbranch_scc1 .LBB508_17
; %bb.26:
	s_lshl_b32 s0, s16, 1
	s_add_i32 s0, s0, 2
	v_cmp_gt_u32_e32 vcc, s16, v1
	s_and_b32 s22, s0, -4
	v_mov_b32_e32 v6, 0
	v_lshlrev_b32_e32 v1, 4, v0
	v_mov_b32_e32 v7, 0
	v_mov_b32_e32 v8, 0
	;; [unrolled: 1-line block ×7, first 2 shown]
	s_barrier
	s_and_saveexec_b64 s[0:1], vcc
	s_cbranch_execz .LBB508_28
; %bb.27:
	s_mul_hi_i32 s5, s18, s6
	s_mul_i32 s4, s18, s6
	s_and_b32 s21, s21, 0xffff
	s_lshl_b64 s[4:5], s[4:5], 1
	s_add_u32 s8, s10, s4
	s_mov_b32 s23, 0x20000
	s_addc_u32 s4, s11, s5
	s_and_b32 s9, s4, 0xffff
	s_mov_b32 s10, s22
	s_mov_b32 s11, s23
	buffer_load_dwordx4 v[6:9], v1, s[8:11], 0 offen glc slc
	buffer_load_dwordx4 v[2:5], v1, s[20:23], 0 offen
.LBB508_28:
	s_or_b64 exec, exec, s[0:1]
	s_waitcnt vmcnt(0)
	v_cvt_f32_u32_sdwa v13, v6 dst_sel:DWORD dst_unused:UNUSED_PAD src0_sel:WORD_1
	v_cvt_f32_u32_sdwa v12, v6 dst_sel:DWORD dst_unused:UNUSED_PAD src0_sel:WORD_0
	v_cvt_f32_u32_sdwa v6, v9 dst_sel:DWORD dst_unused:UNUSED_PAD src0_sel:WORD_1
	v_cvt_f32_u32_sdwa v9, v9 dst_sel:DWORD dst_unused:UNUSED_PAD src0_sel:WORD_0
	;; [unrolled: 2-line block ×4, first 2 shown]
	v_cndmask_b32_e32 v13, 0, v13, vcc
	v_cndmask_b32_e32 v7, 0, v6, vcc
	;; [unrolled: 1-line block ×5, first 2 shown]
	v_mul_f32_e32 v15, v13, v13
	v_cndmask_b32_e32 v10, 0, v10, vcc
	v_fmac_f32_e32 v15, v12, v12
	v_cndmask_b32_e32 v11, 0, v11, vcc
	v_fmac_f32_e32 v15, v10, v10
	;; [unrolled: 2-line block ×3, first 2 shown]
	v_fmac_f32_e32 v15, v8, v8
	v_fmac_f32_e32 v15, v9, v9
	;; [unrolled: 1-line block ×4, first 2 shown]
	s_nop 1
	v_mov_b32_dpp v16, v15 quad_perm:[1,0,3,2] row_mask:0xf bank_mask:0xf
	v_add_f32_e32 v15, v15, v16
	s_nop 1
	v_mov_b32_dpp v16, v15 quad_perm:[2,3,0,1] row_mask:0xf bank_mask:0xf
	v_add_f32_e32 v15, v15, v16
	s_nop 1
	v_mov_b32_dpp v16, v15 row_half_mirror row_mask:0xf bank_mask:0xf
	v_add_f32_e32 v15, v15, v16
	s_nop 1
	v_mov_b32_dpp v16, v15 row_mirror row_mask:0xf bank_mask:0xf
	v_add_f32_e32 v15, v15, v16
	s_nop 1
	v_mov_b32_dpp v16, v15 row_bcast:15 row_mask:0xf bank_mask:0xf
	v_add_f32_e32 v15, v15, v16
	s_nop 1
	v_mov_b32_dpp v16, v15 row_bcast:31 row_mask:0xf bank_mask:0xf
	s_and_saveexec_b64 s[0:1], s[2:3]
	s_cbranch_execz .LBB508_30
; %bb.29:
	v_lshrrev_b32_e32 v0, 4, v0
	v_add_f32_e32 v15, v15, v16
	v_and_b32_e32 v0, 60, v0
	ds_write_b32 v0, v15
.LBB508_30:
	s_or_b64 exec, exec, s[0:1]
	s_waitcnt lgkmcnt(0)
	s_barrier
	ds_read_b32 v0, v14
	s_waitcnt lgkmcnt(0)
	s_nop 0
	v_mov_b32_dpp v14, v0 quad_perm:[1,0,3,2] row_mask:0xf bank_mask:0xf
	v_add_f32_e32 v0, v0, v14
	s_nop 1
	v_mov_b32_dpp v14, v0 quad_perm:[2,3,0,1] row_mask:0xf bank_mask:0xf
	s_and_saveexec_b64 s[0:1], vcc
	s_cbranch_execz .LBB508_17
; %bb.31:
	v_cvt_f32_u32_e32 v15, s16
	v_add_f32_e32 v0, v0, v14
	s_mov_b32 s23, 0x20000
	v_div_scale_f32 v14, s[0:1], v15, v15, v0
	v_rcp_f32_e32 v16, v14
	v_div_scale_f32 v17, vcc, v0, v15, v0
	s_mov_b32 s0, 0x800000
	v_fma_f32 v18, -v14, v16, 1.0
	v_fmac_f32_e32 v16, v18, v16
	v_mul_f32_e32 v18, v17, v16
	v_fma_f32 v19, -v14, v18, v17
	v_fmac_f32_e32 v18, v19, v16
	v_fma_f32 v14, -v14, v18, v17
	v_div_fmas_f32 v14, v14, v16, v18
	v_div_fixup_f32 v0, v14, v15, v0
	v_add_f32_e32 v0, s13, v0
	v_mul_f32_e32 v14, 0x4b800000, v0
	v_cmp_gt_f32_e32 vcc, s0, v0
	v_cndmask_b32_e32 v0, v0, v14, vcc
	v_rsq_f32_e32 v0, v0
	v_cvt_f32_u32_sdwa v17, v2 dst_sel:DWORD dst_unused:UNUSED_PAD src0_sel:WORD_1
	v_cvt_f32_u32_sdwa v16, v2 dst_sel:DWORD dst_unused:UNUSED_PAD src0_sel:WORD_0
	v_cvt_f32_u32_sdwa v19, v3 dst_sel:DWORD dst_unused:UNUSED_PAD src0_sel:WORD_1
	v_mul_f32_e32 v14, 0x45800000, v0
	v_cndmask_b32_e32 v14, v0, v14, vcc
	v_mov_b32_e32 v15, v14
	;;#ASMSTART
	v_pk_mul_f32 v[12:13], v[12:13], v[14:15]
	;;#ASMEND
	;;#ASMSTART
	v_pk_mul_f32 v[10:11], v[10:11], v[14:15]
	;;#ASMEND
	;; [unrolled: 3-line block ×3, first 2 shown]
	v_cvt_f32_u32_sdwa v18, v3 dst_sel:DWORD dst_unused:UNUSED_PAD src0_sel:WORD_0
	;;#ASMSTART
	v_pk_mul_f32 v[2:3], v[6:7], v[14:15]
	;;#ASMEND
	v_cvt_f32_u32_sdwa v15, v4 dst_sel:DWORD dst_unused:UNUSED_PAD src0_sel:WORD_1
	v_cvt_f32_u32_sdwa v14, v4 dst_sel:DWORD dst_unused:UNUSED_PAD src0_sel:WORD_0
	v_pk_add_f32 v[6:7], v[16:17], 1.0 op_sel_hi:[1,0]
	v_cvt_f32_u32_sdwa v17, v5 dst_sel:DWORD dst_unused:UNUSED_PAD src0_sel:WORD_1
	v_cvt_f32_u32_sdwa v16, v5 dst_sel:DWORD dst_unused:UNUSED_PAD src0_sel:WORD_0
	s_mul_hi_i32 s1, s25, s6
	s_mul_i32 s0, s25, s6
	s_lshl_b64 s[0:1], s[0:1], 1
	s_add_u32 s20, s14, s0
	;;#ASMSTART
	v_pk_mul_f32 v[6:7], v[12:13], v[6:7]
	;;#ASMEND
	v_pk_add_f32 v[12:13], v[18:19], 1.0 op_sel_hi:[1,0]
	;;#ASMSTART
	v_pk_mul_f32 v[4:5], v[10:11], v[12:13]
	;;#ASMEND
	v_pk_add_f32 v[10:11], v[14:15], 1.0 op_sel_hi:[1,0]
	s_addc_u32 s0, s15, s1
	;;#ASMSTART
	v_pk_mul_f32 v[8:9], v[8:9], v[10:11]
	;;#ASMEND
	v_pk_add_f32 v[10:11], v[16:17], 1.0 op_sel_hi:[1,0]
	s_and_b32 s21, s0, 0xffff
	s_mov_b32 s0, 0x7060302
	;;#ASMSTART
	v_pk_mul_f32 v[10:11], v[2:3], v[10:11]
	;;#ASMEND
	v_perm_b32 v2, v7, v6, s0
	v_perm_b32 v3, v5, v4, s0
	;; [unrolled: 1-line block ×4, first 2 shown]
	buffer_store_dwordx4 v[2:5], v1, s[20:23], 0 offen
	;;#ASMSTART
	s_nop 0
	;;#ASMEND
	s_endpgm
	.section	.rodata,"a",@progbits
	.p2align	6, 0x0
	.amdhsa_kernel _ZN5aiter35fused_qk_rmsnorm_group_quant_kernelItN4opus5fp4_tELi256ELi8ELi8ELb1ELb1ELb1ELb1ELb0ELb0EEEvPT0_PvPT_S7_S7_PKS6_S9_S9_S9_S9_ffiiiiiiiiiiiii
		.amdhsa_group_segment_fixed_size 32
		.amdhsa_private_segment_fixed_size 0
		.amdhsa_kernarg_size 400
		.amdhsa_user_sgpr_count 6
		.amdhsa_user_sgpr_private_segment_buffer 1
		.amdhsa_user_sgpr_dispatch_ptr 0
		.amdhsa_user_sgpr_queue_ptr 0
		.amdhsa_user_sgpr_kernarg_segment_ptr 1
		.amdhsa_user_sgpr_dispatch_id 0
		.amdhsa_user_sgpr_flat_scratch_init 0
		.amdhsa_user_sgpr_kernarg_preload_length 0
		.amdhsa_user_sgpr_kernarg_preload_offset 0
		.amdhsa_user_sgpr_private_segment_size 0
		.amdhsa_uses_dynamic_stack 0
		.amdhsa_system_sgpr_private_segment_wavefront_offset 0
		.amdhsa_system_sgpr_workgroup_id_x 1
		.amdhsa_system_sgpr_workgroup_id_y 1
		.amdhsa_system_sgpr_workgroup_id_z 0
		.amdhsa_system_sgpr_workgroup_info 0
		.amdhsa_system_vgpr_workitem_id 0
		.amdhsa_next_free_vgpr 27
		.amdhsa_next_free_sgpr 44
		.amdhsa_accum_offset 28
		.amdhsa_reserve_vcc 1
		.amdhsa_reserve_flat_scratch 0
		.amdhsa_float_round_mode_32 0
		.amdhsa_float_round_mode_16_64 0
		.amdhsa_float_denorm_mode_32 3
		.amdhsa_float_denorm_mode_16_64 3
		.amdhsa_dx10_clamp 1
		.amdhsa_ieee_mode 1
		.amdhsa_fp16_overflow 0
		.amdhsa_tg_split 0
		.amdhsa_exception_fp_ieee_invalid_op 0
		.amdhsa_exception_fp_denorm_src 0
		.amdhsa_exception_fp_ieee_div_zero 0
		.amdhsa_exception_fp_ieee_overflow 0
		.amdhsa_exception_fp_ieee_underflow 0
		.amdhsa_exception_fp_ieee_inexact 0
		.amdhsa_exception_int_div_zero 0
	.end_amdhsa_kernel
	.section	.text._ZN5aiter35fused_qk_rmsnorm_group_quant_kernelItN4opus5fp4_tELi256ELi8ELi8ELb1ELb1ELb1ELb1ELb0ELb0EEEvPT0_PvPT_S7_S7_PKS6_S9_S9_S9_S9_ffiiiiiiiiiiiii,"axG",@progbits,_ZN5aiter35fused_qk_rmsnorm_group_quant_kernelItN4opus5fp4_tELi256ELi8ELi8ELb1ELb1ELb1ELb1ELb0ELb0EEEvPT0_PvPT_S7_S7_PKS6_S9_S9_S9_S9_ffiiiiiiiiiiiii,comdat
.Lfunc_end508:
	.size	_ZN5aiter35fused_qk_rmsnorm_group_quant_kernelItN4opus5fp4_tELi256ELi8ELi8ELb1ELb1ELb1ELb1ELb0ELb0EEEvPT0_PvPT_S7_S7_PKS6_S9_S9_S9_S9_ffiiiiiiiiiiiii, .Lfunc_end508-_ZN5aiter35fused_qk_rmsnorm_group_quant_kernelItN4opus5fp4_tELi256ELi8ELi8ELb1ELb1ELb1ELb1ELb0ELb0EEEvPT0_PvPT_S7_S7_PKS6_S9_S9_S9_S9_ffiiiiiiiiiiiii
                                        ; -- End function
	.section	.AMDGPU.csdata,"",@progbits
; Kernel info:
; codeLenInByte = 2516
; NumSgprs: 48
; NumVgprs: 27
; NumAgprs: 0
; TotalNumVgprs: 27
; ScratchSize: 0
; MemoryBound: 0
; FloatMode: 240
; IeeeMode: 1
; LDSByteSize: 32 bytes/workgroup (compile time only)
; SGPRBlocks: 5
; VGPRBlocks: 3
; NumSGPRsForWavesPerEU: 48
; NumVGPRsForWavesPerEU: 27
; AccumOffset: 28
; Occupancy: 8
; WaveLimiterHint : 0
; COMPUTE_PGM_RSRC2:SCRATCH_EN: 0
; COMPUTE_PGM_RSRC2:USER_SGPR: 6
; COMPUTE_PGM_RSRC2:TRAP_HANDLER: 0
; COMPUTE_PGM_RSRC2:TGID_X_EN: 1
; COMPUTE_PGM_RSRC2:TGID_Y_EN: 1
; COMPUTE_PGM_RSRC2:TGID_Z_EN: 0
; COMPUTE_PGM_RSRC2:TIDIG_COMP_CNT: 0
; COMPUTE_PGM_RSRC3_GFX90A:ACCUM_OFFSET: 6
; COMPUTE_PGM_RSRC3_GFX90A:TG_SPLIT: 0
	.section	.text._ZN5aiter35fused_qk_rmsnorm_group_quant_kernelIDF16_DB8_Li256ELi8ELi8ELb1ELb1ELb0ELb1ELb0ELb0EEEvPT0_PvPT_S6_S6_PKS5_S8_S8_S8_S8_ffiiiiiiiiiiiii,"axG",@progbits,_ZN5aiter35fused_qk_rmsnorm_group_quant_kernelIDF16_DB8_Li256ELi8ELi8ELb1ELb1ELb0ELb1ELb0ELb0EEEvPT0_PvPT_S6_S6_PKS5_S8_S8_S8_S8_ffiiiiiiiiiiiii,comdat
	.protected	_ZN5aiter35fused_qk_rmsnorm_group_quant_kernelIDF16_DB8_Li256ELi8ELi8ELb1ELb1ELb0ELb1ELb0ELb0EEEvPT0_PvPT_S6_S6_PKS5_S8_S8_S8_S8_ffiiiiiiiiiiiii ; -- Begin function _ZN5aiter35fused_qk_rmsnorm_group_quant_kernelIDF16_DB8_Li256ELi8ELi8ELb1ELb1ELb0ELb1ELb0ELb0EEEvPT0_PvPT_S6_S6_PKS5_S8_S8_S8_S8_ffiiiiiiiiiiiii
	.globl	_ZN5aiter35fused_qk_rmsnorm_group_quant_kernelIDF16_DB8_Li256ELi8ELi8ELb1ELb1ELb0ELb1ELb0ELb0EEEvPT0_PvPT_S6_S6_PKS5_S8_S8_S8_S8_ffiiiiiiiiiiiii
	.p2align	8
	.type	_ZN5aiter35fused_qk_rmsnorm_group_quant_kernelIDF16_DB8_Li256ELi8ELi8ELb1ELb1ELb0ELb1ELb0ELb0EEEvPT0_PvPT_S6_S6_PKS5_S8_S8_S8_S8_ffiiiiiiiiiiiii,@function
_ZN5aiter35fused_qk_rmsnorm_group_quant_kernelIDF16_DB8_Li256ELi8ELi8ELb1ELb1ELb0ELb1ELb0ELb0EEEvPT0_PvPT_S6_S6_PKS5_S8_S8_S8_S8_ffiiiiiiiiiiiii: ; @_ZN5aiter35fused_qk_rmsnorm_group_quant_kernelIDF16_DB8_Li256ELi8ELi8ELb1ELb1ELb0ELb1ELb0ELb0EEEvPT0_PvPT_S6_S6_PKS5_S8_S8_S8_S8_ffiiiiiiiiiiiii
; %bb.0:
	s_load_dwordx8 s[12:19], s[4:5], 0x50
	s_waitcnt lgkmcnt(0)
	s_cmp_ge_i32 s6, s14
	s_cbranch_scc1 .LBB509_17
; %bb.1:
	s_cmp_lg_u32 s7, 0
	s_cselect_b64 s[22:23], -1, 0
	s_cmp_eq_u32 s7, 0
	s_cselect_b64 s[2:3], -1, 0
	s_and_b64 s[0:1], s[2:3], exec
	s_cselect_b32 s7, s15, s16
	s_load_dwordx2 s[10:11], s[4:5], 0x30
	s_load_dwordx2 s[20:21], s[4:5], 0x48
	s_add_i32 s0, s7, 1
	s_lshr_b32 s1, s0, 31
	s_add_i32 s0, s0, s1
	s_lshl_b32 s0, s0, 1
	v_lshlrev_b32_e32 v1, 3, v0
	s_and_b32 s30, s0, -4
	v_cmp_gt_i32_e64 s[0:1], s7, v1
	v_mov_b32_e32 v2, 0
	v_mov_b32_e32 v3, 0
	v_mov_b32_e32 v4, 0
	v_mov_b32_e32 v5, 0
	v_mov_b32_e32 v6, 0
	v_mov_b32_e32 v7, 0
	v_mov_b32_e32 v8, 0
	v_mov_b32_e32 v9, 0
	s_and_saveexec_b64 s[8:9], s[0:1]
	s_cbranch_execz .LBB509_3
; %bb.2:
	s_load_dwordx2 s[14:15], s[4:5], 0x28
	s_load_dwordx2 s[26:27], s[4:5], 0x40
	s_and_b64 s[24:25], s[2:3], exec
	s_cselect_b32 s17, s17, s18
	s_mov_b32 s31, 0x20000
	s_waitcnt lgkmcnt(0)
	s_cselect_b32 s25, s15, s11
	s_cselect_b32 s24, s14, s10
	s_mul_hi_i32 s15, s17, s6
	s_mul_i32 s14, s17, s6
	s_lshl_b64 s[14:15], s[14:15], 1
	s_add_u32 s24, s24, s14
	s_addc_u32 s17, s25, s15
	s_and_b64 s[14:15], s[2:3], exec
	s_cselect_b32 s28, s26, s20
	s_cselect_b32 s14, s27, s21
	v_lshlrev_b32_e32 v10, 4, v0
	s_and_b32 s25, s17, 0xffff
	s_mov_b32 s26, s30
	s_mov_b32 s27, s31
	s_and_b32 s29, s14, 0xffff
	buffer_load_dwordx4 v[6:9], v10, s[24:27], 0 offen glc slc
	buffer_load_dwordx4 v[2:5], v10, s[28:31], 0 offen
.LBB509_3:
	s_or_b64 exec, exec, s[8:9]
	s_load_dwordx4 s[24:27], s[4:5], 0x7c
	s_and_b64 vcc, exec, s[22:23]
	s_cbranch_vccz .LBB509_7
; %bb.4:
	v_mov_b32_e32 v11, 0
	v_mov_b32_e32 v10, 0
	;; [unrolled: 1-line block ×8, first 2 shown]
	s_and_saveexec_b64 s[8:9], s[0:1]
	s_cbranch_execz .LBB509_6
; %bb.5:
	s_waitcnt vmcnt(1)
	v_cvt_f32_f16_sdwa v17, v6 dst_sel:DWORD dst_unused:UNUSED_PAD src0_sel:WORD_1
	v_cvt_f32_f16_e32 v16, v6
	v_cvt_f32_f16_sdwa v15, v7 dst_sel:DWORD dst_unused:UNUSED_PAD src0_sel:WORD_1
	v_cvt_f32_f16_e32 v14, v7
	;; [unrolled: 2-line block ×4, first 2 shown]
.LBB509_6:
	s_or_b64 exec, exec, s[8:9]
	s_cbranch_execz .LBB509_8
	s_branch .LBB509_11
.LBB509_7:
                                        ; implicit-def: $vgpr11
                                        ; implicit-def: $vgpr13
                                        ; implicit-def: $vgpr15
                                        ; implicit-def: $vgpr17
.LBB509_8:
	v_mov_b32_e32 v11, 0
	v_mov_b32_e32 v10, 0
	;; [unrolled: 1-line block ×8, first 2 shown]
	s_and_saveexec_b64 s[8:9], s[0:1]
	s_cbranch_execz .LBB509_10
; %bb.9:
	s_load_dwordx2 s[14:15], s[4:5], 0x38
	s_mul_hi_i32 s29, s19, s6
	s_mul_i32 s28, s19, s6
	s_lshl_b64 s[28:29], s[28:29], 1
	s_mov_b32 s31, 0x20000
	s_waitcnt lgkmcnt(0)
	s_add_u32 s28, s14, s28
	s_addc_u32 s14, s15, s29
	s_and_b32 s29, s14, 0xffff
	v_lshlrev_b32_e32 v26, 4, v0
	buffer_load_dwordx4 v[10:13], v26, s[28:31], 0 offen glc slc
	s_waitcnt vmcnt(2)
	v_cvt_f32_f16_sdwa v15, v6 dst_sel:DWORD dst_unused:UNUSED_PAD src0_sel:WORD_1
	v_cvt_f32_f16_e32 v14, v6
	v_cvt_f32_f16_sdwa v19, v7 dst_sel:DWORD dst_unused:UNUSED_PAD src0_sel:WORD_1
	v_cvt_f32_f16_e32 v18, v7
	v_cvt_f32_f16_sdwa v7, v8 dst_sel:DWORD dst_unused:UNUSED_PAD src0_sel:WORD_1
	v_cvt_f32_f16_e32 v6, v8
	v_cvt_f32_f16_sdwa v21, v9 dst_sel:DWORD dst_unused:UNUSED_PAD src0_sel:WORD_1
	v_cvt_f32_f16_e32 v20, v9
	s_load_dwordx2 s[14:15], s[4:5], 0x20
	s_mul_hi_i32 s27, s26, s6
	s_mul_i32 s26, s26, s6
	s_lshl_b64 s[26:27], s[26:27], 1
	s_waitcnt lgkmcnt(0)
	s_add_u32 s28, s14, s26
	s_addc_u32 s14, s15, s27
	s_and_b32 s29, s14, 0xffff
	s_waitcnt vmcnt(0)
	v_cvt_f32_f16_e32 v8, v10
	v_cvt_f32_f16_sdwa v9, v10 dst_sel:DWORD dst_unused:UNUSED_PAD src0_sel:WORD_1
	v_cvt_f32_f16_e32 v10, v11
	v_cvt_f32_f16_sdwa v11, v11 dst_sel:DWORD dst_unused:UNUSED_PAD src0_sel:WORD_1
	;; [unrolled: 2-line block ×4, first 2 shown]
	v_pk_add_f32 v[16:17], v[14:15], v[8:9]
	v_pk_add_f32 v[14:15], v[18:19], v[10:11]
	;; [unrolled: 1-line block ×4, first 2 shown]
	v_cvt_f16_f32_e32 v6, v17
	v_cvt_f16_f32_e32 v7, v15
	;; [unrolled: 1-line block ×8, first 2 shown]
	v_pack_b32_f16 v9, v18, v9
	v_pack_b32_f16 v8, v19, v8
	;; [unrolled: 1-line block ×4, first 2 shown]
	buffer_store_dwordx4 v[6:9], v26, s[28:31], 0 offen glc slc
	;;#ASMSTART
	s_nop 0
	;;#ASMEND
.LBB509_10:
	s_or_b64 exec, exec, s[8:9]
.LBB509_11:
	s_waitcnt vmcnt(1)
	v_mul_f32_e32 v6, v17, v17
	v_fmac_f32_e32 v6, v16, v16
	v_fmac_f32_e32 v6, v14, v14
	;; [unrolled: 1-line block ×7, first 2 shown]
	v_and_b32_e32 v8, 63, v0
	v_cmp_eq_u32_e64 s[8:9], 63, v8
	v_mov_b32_dpp v7, v6 quad_perm:[1,0,3,2] row_mask:0xf bank_mask:0xf
	v_add_f32_e32 v6, v6, v7
	s_nop 1
	v_mov_b32_dpp v7, v6 quad_perm:[2,3,0,1] row_mask:0xf bank_mask:0xf
	v_add_f32_e32 v6, v6, v7
	s_nop 1
	v_mov_b32_dpp v7, v6 row_half_mirror row_mask:0xf bank_mask:0xf
	v_add_f32_e32 v6, v6, v7
	s_nop 1
	v_mov_b32_dpp v7, v6 row_mirror row_mask:0xf bank_mask:0xf
	v_add_f32_e32 v6, v6, v7
	s_nop 1
	v_mov_b32_dpp v7, v6 row_bcast:15 row_mask:0xf bank_mask:0xf
	v_add_f32_e32 v6, v6, v7
	s_nop 1
	v_mov_b32_dpp v7, v6 row_bcast:31 row_mask:0xf bank_mask:0xf
	s_and_saveexec_b64 s[14:15], s[8:9]
	s_cbranch_execz .LBB509_13
; %bb.12:
	v_add_f32_e32 v6, v6, v7
	v_lshrrev_b32_e32 v7, 4, v0
	v_and_b32_e32 v7, 60, v7
	ds_write_b32 v7, v6 offset:16
.LBB509_13:
	s_or_b64 exec, exec, s[14:15]
	v_and_b32_e32 v6, 3, v0
	v_lshlrev_b32_e32 v18, 2, v6
	s_waitcnt lgkmcnt(0)
	s_barrier
	ds_read_b32 v6, v18 offset:16
	s_load_dwordx2 s[14:15], s[4:5], 0x18
	s_waitcnt lgkmcnt(0)
	v_mov_b32_dpp v7, v6 quad_perm:[1,0,3,2] row_mask:0xf bank_mask:0xf
	v_add_f32_e32 v6, v6, v7
	s_nop 1
	v_mov_b32_dpp v7, v6 quad_perm:[2,3,0,1] row_mask:0xf bank_mask:0xf
	s_and_saveexec_b64 s[26:27], s[0:1]
	s_cbranch_execnz .LBB509_18
; %bb.14:
	s_or_b64 exec, exec, s[26:27]
	s_mov_b64 s[2:3], -1
	s_and_b64 vcc, exec, s[22:23]
	s_cbranch_vccnz .LBB509_19
.LBB509_15:
	s_andn2_b64 vcc, exec, s[2:3]
	s_cbranch_vccz .LBB509_22
.LBB509_16:
	s_cmp_lt_i32 s16, 1
	s_cbranch_scc0 .LBB509_25
.LBB509_17:
	s_endpgm
.LBB509_18:
	v_cvt_f32_u32_e32 v8, s7
	v_add_f32_e32 v6, v6, v7
	v_mov_b32_e32 v19, s13
	v_mov_b32_e32 v20, s12
	v_div_scale_f32 v7, s[28:29], v8, v8, v6
	v_rcp_f32_e32 v9, v7
	v_cndmask_b32_e64 v19, v19, v20, s[2:3]
	s_mov_b32 s2, 0x800000
	s_waitcnt vmcnt(0)
	v_cvt_f32_f16_sdwa v23, v5 dst_sel:DWORD dst_unused:UNUSED_PAD src0_sel:WORD_1
	v_fma_f32 v20, -v7, v9, 1.0
	v_fmac_f32_e32 v9, v20, v9
	v_div_scale_f32 v20, vcc, v6, v8, v6
	v_mul_f32_e32 v21, v20, v9
	v_fma_f32 v22, -v7, v21, v20
	v_fmac_f32_e32 v21, v22, v9
	v_fma_f32 v7, -v7, v21, v20
	v_div_fmas_f32 v7, v7, v9, v21
	v_div_fixup_f32 v6, v7, v8, v6
	v_add_f32_e32 v6, v19, v6
	v_mul_f32_e32 v7, 0x4b800000, v6
	v_cmp_gt_f32_e32 vcc, s2, v6
	v_cndmask_b32_e32 v6, v6, v7, vcc
	v_rsq_f32_e32 v6, v6
	v_cvt_f32_f16_sdwa v21, v3 dst_sel:DWORD dst_unused:UNUSED_PAD src0_sel:WORD_1
	v_cvt_f32_f16_e32 v20, v3
	v_cvt_f32_f16_sdwa v3, v4 dst_sel:DWORD dst_unused:UNUSED_PAD src0_sel:WORD_1
	v_mul_f32_e32 v7, 0x45800000, v6
	v_cndmask_b32_e32 v6, v6, v7, vcc
	v_mov_b32_e32 v7, v6
	;;#ASMSTART
	v_pk_mul_f32 v[8:9], v[16:17], v[6:7]
	;;#ASMEND
	;;#ASMSTART
	v_pk_mul_f32 v[14:15], v[14:15], v[6:7]
	;;#ASMEND
	;;#ASMSTART
	v_pk_mul_f32 v[12:13], v[12:13], v[6:7]
	;;#ASMEND
	;;#ASMSTART
	v_pk_mul_f32 v[6:7], v[10:11], v[6:7]
	;;#ASMEND
	v_cvt_f32_f16_sdwa v11, v2 dst_sel:DWORD dst_unused:UNUSED_PAD src0_sel:WORD_1
	v_cvt_f32_f16_e32 v10, v2
	v_cvt_f32_f16_e32 v2, v4
	;; [unrolled: 1-line block ×3, first 2 shown]
	;;#ASMSTART
	v_pk_mul_f32 v[16:17], v[8:9], v[10:11]
	;;#ASMEND
	;;#ASMSTART
	v_pk_mul_f32 v[14:15], v[14:15], v[20:21]
	;;#ASMEND
	;; [unrolled: 3-line block ×4, first 2 shown]
	s_or_b64 exec, exec, s[26:27]
	s_mov_b64 s[2:3], -1
	s_and_b64 vcc, exec, s[22:23]
	s_cbranch_vccz .LBB509_15
.LBB509_19:
	s_and_saveexec_b64 s[2:3], s[0:1]
	s_cbranch_execz .LBB509_21
; %bb.20:
	s_mul_hi_i32 s23, s25, s6
	s_mul_i32 s22, s25, s6
	s_waitcnt vmcnt(0)
	v_cvt_f16_f32_e32 v2, v16
	v_cvt_f16_f32_e32 v3, v14
	v_cvt_f16_f32_e32 v4, v12
	v_cvt_f16_f32_e32 v5, v10
	v_cvt_f16_f32_e32 v6, v11
	v_cvt_f16_f32_e32 v7, v13
	v_cvt_f16_f32_e32 v8, v15
	v_cvt_f16_f32_e32 v9, v17
	s_lshl_b64 s[22:23], s[22:23], 1
	s_add_u32 s28, s14, s22
	s_addc_u32 s7, s15, s23
	s_and_b32 s29, s7, 0xffff
	s_mov_b32 s31, 0x20000
	v_pack_b32_f16 v5, v5, v6
	v_pack_b32_f16 v4, v4, v7
	;; [unrolled: 1-line block ×4, first 2 shown]
	v_lshlrev_b32_e32 v6, 4, v0
	buffer_store_dwordx4 v[2:5], v6, s[28:31], 0 offen
	;;#ASMSTART
	s_nop 0
	;;#ASMEND
.LBB509_21:
	s_or_b64 exec, exec, s[2:3]
	s_cbranch_execnz .LBB509_16
.LBB509_22:
	s_and_saveexec_b64 s[2:3], s[0:1]
	s_cbranch_execz .LBB509_24
; %bb.23:
	s_load_dwordx2 s[0:1], s[4:5], 0x10
	s_mul_hi_i32 s23, s24, s6
	s_mul_i32 s22, s24, s6
	s_waitcnt vmcnt(0)
	v_cvt_f16_f32_e32 v2, v16
	v_cvt_f16_f32_e32 v3, v14
	;; [unrolled: 1-line block ×8, first 2 shown]
	s_lshl_b64 s[22:23], s[22:23], 1
	s_waitcnt lgkmcnt(0)
	s_add_u32 s28, s0, s22
	s_addc_u32 s0, s1, s23
	s_mov_b32 s31, 0x20000
	s_and_b32 s29, s0, 0xffff
	v_pack_b32_f16 v5, v5, v6
	v_pack_b32_f16 v4, v4, v7
	;; [unrolled: 1-line block ×4, first 2 shown]
	v_lshlrev_b32_e32 v6, 4, v0
	buffer_store_dwordx4 v[2:5], v6, s[28:31], 0 offen
	;;#ASMSTART
	s_nop 0
	;;#ASMEND
.LBB509_24:
	s_or_b64 exec, exec, s[2:3]
	s_cmp_lt_i32 s16, 1
	s_cbranch_scc1 .LBB509_17
.LBB509_25:
	s_load_dword s0, s[4:5], 0x94
	s_waitcnt lgkmcnt(0)
	s_cmp_lg_u32 s0, 1
	s_cbranch_scc1 .LBB509_17
; %bb.26:
	s_lshl_b32 s0, s16, 1
	s_add_i32 s0, s0, 2
	v_cmp_gt_u32_e32 vcc, s16, v1
	s_and_b32 s22, s0, -4
	v_mov_b32_e32 v10, 0
	v_lshlrev_b32_e32 v1, 4, v0
	v_mov_b32_e32 v6, 0
	v_mov_b32_e32 v7, 0
	;; [unrolled: 1-line block ×4, first 2 shown]
	s_waitcnt vmcnt(0)
	v_mov_b32_e32 v2, 0
	v_mov_b32_e32 v3, 0
	;; [unrolled: 1-line block ×4, first 2 shown]
	s_barrier
	s_and_saveexec_b64 s[0:1], vcc
	s_cbranch_execz .LBB509_28
; %bb.27:
	s_mul_hi_i32 s3, s18, s6
	s_mul_i32 s2, s18, s6
	s_and_b32 s21, s21, 0xffff
	s_lshl_b64 s[2:3], s[2:3], 1
	s_add_u32 s28, s10, s2
	s_mov_b32 s23, 0x20000
	s_addc_u32 s2, s11, s3
	s_and_b32 s29, s2, 0xffff
	s_mov_b32 s30, s22
	s_mov_b32 s31, s23
	buffer_load_dwordx4 v[6:9], v1, s[28:31], 0 offen glc slc
	buffer_load_dwordx4 v[2:5], v1, s[20:23], 0 offen
.LBB509_28:
	s_or_b64 exec, exec, s[0:1]
	v_mov_b32_e32 v11, 0
	v_mov_b32_e32 v16, 0
	v_mov_b32_e32 v17, 0
	v_mov_b32_e32 v14, 0
	v_mov_b32_e32 v15, 0
	v_mov_b32_e32 v12, 0
	v_mov_b32_e32 v13, 0
	s_and_saveexec_b64 s[0:1], vcc
	s_cbranch_execz .LBB509_30
; %bb.29:
	s_waitcnt vmcnt(1)
	v_cvt_f32_f16_sdwa v11, v6 dst_sel:DWORD dst_unused:UNUSED_PAD src0_sel:WORD_1
	v_cvt_f32_f16_e32 v10, v6
	v_cvt_f32_f16_sdwa v17, v7 dst_sel:DWORD dst_unused:UNUSED_PAD src0_sel:WORD_1
	v_cvt_f32_f16_e32 v16, v7
	;; [unrolled: 2-line block ×4, first 2 shown]
.LBB509_30:
	s_or_b64 exec, exec, s[0:1]
	s_waitcnt vmcnt(1)
	v_mul_f32_e32 v6, v11, v11
	v_fmac_f32_e32 v6, v10, v10
	v_fmac_f32_e32 v6, v16, v16
	;; [unrolled: 1-line block ×7, first 2 shown]
	s_nop 1
	v_mov_b32_dpp v7, v6 quad_perm:[1,0,3,2] row_mask:0xf bank_mask:0xf
	v_add_f32_e32 v6, v6, v7
	s_nop 1
	v_mov_b32_dpp v7, v6 quad_perm:[2,3,0,1] row_mask:0xf bank_mask:0xf
	v_add_f32_e32 v6, v6, v7
	s_nop 1
	v_mov_b32_dpp v7, v6 row_half_mirror row_mask:0xf bank_mask:0xf
	v_add_f32_e32 v6, v6, v7
	s_nop 1
	v_mov_b32_dpp v7, v6 row_mirror row_mask:0xf bank_mask:0xf
	v_add_f32_e32 v6, v6, v7
	s_nop 1
	v_mov_b32_dpp v7, v6 row_bcast:15 row_mask:0xf bank_mask:0xf
	v_add_f32_e32 v6, v6, v7
	s_nop 1
	v_mov_b32_dpp v7, v6 row_bcast:31 row_mask:0xf bank_mask:0xf
	s_and_saveexec_b64 s[0:1], s[8:9]
	s_cbranch_execz .LBB509_32
; %bb.31:
	v_lshrrev_b32_e32 v0, 4, v0
	v_add_f32_e32 v6, v6, v7
	v_and_b32_e32 v0, 60, v0
	ds_write_b32 v0, v6
.LBB509_32:
	s_or_b64 exec, exec, s[0:1]
	s_waitcnt lgkmcnt(0)
	s_barrier
	ds_read_b32 v0, v18
	s_waitcnt lgkmcnt(0)
	s_nop 0
	v_mov_b32_dpp v6, v0 quad_perm:[1,0,3,2] row_mask:0xf bank_mask:0xf
	v_add_f32_e32 v0, v0, v6
	s_nop 1
	v_mov_b32_dpp v6, v0 quad_perm:[2,3,0,1] row_mask:0xf bank_mask:0xf
	s_and_saveexec_b64 s[0:1], vcc
	s_cbranch_execz .LBB509_17
; %bb.33:
	v_cvt_f32_u32_e32 v7, s16
	v_add_f32_e32 v0, v0, v6
	s_mov_b32 s23, 0x20000
	v_div_scale_f32 v6, s[0:1], v7, v7, v0
	v_rcp_f32_e32 v8, v6
	v_div_scale_f32 v9, vcc, v0, v7, v0
	s_mov_b32 s0, 0x800000
	v_fma_f32 v18, -v6, v8, 1.0
	v_fmac_f32_e32 v8, v18, v8
	v_mul_f32_e32 v18, v9, v8
	v_fma_f32 v19, -v6, v18, v9
	v_fmac_f32_e32 v18, v19, v8
	v_fma_f32 v6, -v6, v18, v9
	v_div_fmas_f32 v6, v6, v8, v18
	v_div_fixup_f32 v0, v6, v7, v0
	v_add_f32_e32 v0, s13, v0
	v_mul_f32_e32 v6, 0x4b800000, v0
	v_cmp_gt_f32_e32 vcc, s0, v0
	v_cndmask_b32_e32 v0, v0, v6, vcc
	v_rsq_f32_e32 v0, v0
	s_waitcnt vmcnt(0)
	v_cvt_f32_f16_sdwa v19, v5 dst_sel:DWORD dst_unused:UNUSED_PAD src0_sel:WORD_1
	v_cvt_f32_f16_e32 v18, v5
	s_mul_hi_i32 s1, s25, s6
	v_mul_f32_e32 v6, 0x45800000, v0
	v_cndmask_b32_e32 v6, v0, v6, vcc
	v_mov_b32_e32 v7, v6
	;;#ASMSTART
	v_pk_mul_f32 v[8:9], v[10:11], v[6:7]
	;;#ASMEND
	;;#ASMSTART
	v_pk_mul_f32 v[10:11], v[16:17], v[6:7]
	;;#ASMEND
	;; [unrolled: 3-line block ×4, first 2 shown]
	v_cvt_f32_f16_sdwa v13, v2 dst_sel:DWORD dst_unused:UNUSED_PAD src0_sel:WORD_1
	v_cvt_f32_f16_e32 v12, v2
	v_cvt_f32_f16_sdwa v17, v3 dst_sel:DWORD dst_unused:UNUSED_PAD src0_sel:WORD_1
	v_cvt_f32_f16_e32 v16, v3
	;; [unrolled: 2-line block ×3, first 2 shown]
	;;#ASMSTART
	v_pk_mul_f32 v[4:5], v[8:9], v[12:13]
	;;#ASMEND
	;;#ASMSTART
	v_pk_mul_f32 v[8:9], v[10:11], v[16:17]
	;;#ASMEND
	;; [unrolled: 3-line block ×4, first 2 shown]
	s_mul_i32 s0, s25, s6
	v_cvt_f16_f32_e32 v0, v4
	v_cvt_f16_f32_e32 v4, v5
	;; [unrolled: 1-line block ×8, first 2 shown]
	s_lshl_b64 s[0:1], s[0:1], 1
	s_add_u32 s20, s14, s0
	s_addc_u32 s0, s15, s1
	s_and_b32 s21, s0, 0xffff
	v_pack_b32_f16 v2, v0, v4
	v_pack_b32_f16 v3, v5, v8
	;; [unrolled: 1-line block ×4, first 2 shown]
	buffer_store_dwordx4 v[2:5], v1, s[20:23], 0 offen
	;;#ASMSTART
	s_nop 0
	;;#ASMEND
	s_endpgm
	.section	.rodata,"a",@progbits
	.p2align	6, 0x0
	.amdhsa_kernel _ZN5aiter35fused_qk_rmsnorm_group_quant_kernelIDF16_DB8_Li256ELi8ELi8ELb1ELb1ELb0ELb1ELb0ELb0EEEvPT0_PvPT_S6_S6_PKS5_S8_S8_S8_S8_ffiiiiiiiiiiiii
		.amdhsa_group_segment_fixed_size 32
		.amdhsa_private_segment_fixed_size 0
		.amdhsa_kernarg_size 400
		.amdhsa_user_sgpr_count 6
		.amdhsa_user_sgpr_private_segment_buffer 1
		.amdhsa_user_sgpr_dispatch_ptr 0
		.amdhsa_user_sgpr_queue_ptr 0
		.amdhsa_user_sgpr_kernarg_segment_ptr 1
		.amdhsa_user_sgpr_dispatch_id 0
		.amdhsa_user_sgpr_flat_scratch_init 0
		.amdhsa_user_sgpr_kernarg_preload_length 0
		.amdhsa_user_sgpr_kernarg_preload_offset 0
		.amdhsa_user_sgpr_private_segment_size 0
		.amdhsa_uses_dynamic_stack 0
		.amdhsa_system_sgpr_private_segment_wavefront_offset 0
		.amdhsa_system_sgpr_workgroup_id_x 1
		.amdhsa_system_sgpr_workgroup_id_y 1
		.amdhsa_system_sgpr_workgroup_id_z 0
		.amdhsa_system_sgpr_workgroup_info 0
		.amdhsa_system_vgpr_workitem_id 0
		.amdhsa_next_free_vgpr 27
		.amdhsa_next_free_sgpr 32
		.amdhsa_accum_offset 28
		.amdhsa_reserve_vcc 1
		.amdhsa_reserve_flat_scratch 0
		.amdhsa_float_round_mode_32 0
		.amdhsa_float_round_mode_16_64 0
		.amdhsa_float_denorm_mode_32 3
		.amdhsa_float_denorm_mode_16_64 3
		.amdhsa_dx10_clamp 1
		.amdhsa_ieee_mode 1
		.amdhsa_fp16_overflow 0
		.amdhsa_tg_split 0
		.amdhsa_exception_fp_ieee_invalid_op 0
		.amdhsa_exception_fp_denorm_src 0
		.amdhsa_exception_fp_ieee_div_zero 0
		.amdhsa_exception_fp_ieee_overflow 0
		.amdhsa_exception_fp_ieee_underflow 0
		.amdhsa_exception_fp_ieee_inexact 0
		.amdhsa_exception_int_div_zero 0
	.end_amdhsa_kernel
	.section	.text._ZN5aiter35fused_qk_rmsnorm_group_quant_kernelIDF16_DB8_Li256ELi8ELi8ELb1ELb1ELb0ELb1ELb0ELb0EEEvPT0_PvPT_S6_S6_PKS5_S8_S8_S8_S8_ffiiiiiiiiiiiii,"axG",@progbits,_ZN5aiter35fused_qk_rmsnorm_group_quant_kernelIDF16_DB8_Li256ELi8ELi8ELb1ELb1ELb0ELb1ELb0ELb0EEEvPT0_PvPT_S6_S6_PKS5_S8_S8_S8_S8_ffiiiiiiiiiiiii,comdat
.Lfunc_end509:
	.size	_ZN5aiter35fused_qk_rmsnorm_group_quant_kernelIDF16_DB8_Li256ELi8ELi8ELb1ELb1ELb0ELb1ELb0ELb0EEEvPT0_PvPT_S6_S6_PKS5_S8_S8_S8_S8_ffiiiiiiiiiiiii, .Lfunc_end509-_ZN5aiter35fused_qk_rmsnorm_group_quant_kernelIDF16_DB8_Li256ELi8ELi8ELb1ELb1ELb0ELb1ELb0ELb0EEEvPT0_PvPT_S6_S6_PKS5_S8_S8_S8_S8_ffiiiiiiiiiiiii
                                        ; -- End function
	.section	.AMDGPU.csdata,"",@progbits
; Kernel info:
; codeLenInByte = 2416
; NumSgprs: 36
; NumVgprs: 27
; NumAgprs: 0
; TotalNumVgprs: 27
; ScratchSize: 0
; MemoryBound: 0
; FloatMode: 240
; IeeeMode: 1
; LDSByteSize: 32 bytes/workgroup (compile time only)
; SGPRBlocks: 4
; VGPRBlocks: 3
; NumSGPRsForWavesPerEU: 36
; NumVGPRsForWavesPerEU: 27
; AccumOffset: 28
; Occupancy: 8
; WaveLimiterHint : 0
; COMPUTE_PGM_RSRC2:SCRATCH_EN: 0
; COMPUTE_PGM_RSRC2:USER_SGPR: 6
; COMPUTE_PGM_RSRC2:TRAP_HANDLER: 0
; COMPUTE_PGM_RSRC2:TGID_X_EN: 1
; COMPUTE_PGM_RSRC2:TGID_Y_EN: 1
; COMPUTE_PGM_RSRC2:TGID_Z_EN: 0
; COMPUTE_PGM_RSRC2:TIDIG_COMP_CNT: 0
; COMPUTE_PGM_RSRC3_GFX90A:ACCUM_OFFSET: 6
; COMPUTE_PGM_RSRC3_GFX90A:TG_SPLIT: 0
	.section	.text._ZN5aiter35fused_qk_rmsnorm_group_quant_kernelItDB8_Li256ELi8ELi8ELb1ELb1ELb0ELb1ELb0ELb0EEEvPT0_PvPT_S6_S6_PKS5_S8_S8_S8_S8_ffiiiiiiiiiiiii,"axG",@progbits,_ZN5aiter35fused_qk_rmsnorm_group_quant_kernelItDB8_Li256ELi8ELi8ELb1ELb1ELb0ELb1ELb0ELb0EEEvPT0_PvPT_S6_S6_PKS5_S8_S8_S8_S8_ffiiiiiiiiiiiii,comdat
	.protected	_ZN5aiter35fused_qk_rmsnorm_group_quant_kernelItDB8_Li256ELi8ELi8ELb1ELb1ELb0ELb1ELb0ELb0EEEvPT0_PvPT_S6_S6_PKS5_S8_S8_S8_S8_ffiiiiiiiiiiiii ; -- Begin function _ZN5aiter35fused_qk_rmsnorm_group_quant_kernelItDB8_Li256ELi8ELi8ELb1ELb1ELb0ELb1ELb0ELb0EEEvPT0_PvPT_S6_S6_PKS5_S8_S8_S8_S8_ffiiiiiiiiiiiii
	.globl	_ZN5aiter35fused_qk_rmsnorm_group_quant_kernelItDB8_Li256ELi8ELi8ELb1ELb1ELb0ELb1ELb0ELb0EEEvPT0_PvPT_S6_S6_PKS5_S8_S8_S8_S8_ffiiiiiiiiiiiii
	.p2align	8
	.type	_ZN5aiter35fused_qk_rmsnorm_group_quant_kernelItDB8_Li256ELi8ELi8ELb1ELb1ELb0ELb1ELb0ELb0EEEvPT0_PvPT_S6_S6_PKS5_S8_S8_S8_S8_ffiiiiiiiiiiiii,@function
_ZN5aiter35fused_qk_rmsnorm_group_quant_kernelItDB8_Li256ELi8ELi8ELb1ELb1ELb0ELb1ELb0ELb0EEEvPT0_PvPT_S6_S6_PKS5_S8_S8_S8_S8_ffiiiiiiiiiiiii: ; @_ZN5aiter35fused_qk_rmsnorm_group_quant_kernelItDB8_Li256ELi8ELi8ELb1ELb1ELb0ELb1ELb0ELb0EEEvPT0_PvPT_S6_S6_PKS5_S8_S8_S8_S8_ffiiiiiiiiiiiii
; %bb.0:
	s_load_dwordx8 s[12:19], s[4:5], 0x50
	s_waitcnt lgkmcnt(0)
	s_cmp_ge_i32 s6, s14
	s_cbranch_scc1 .LBB510_17
; %bb.1:
	s_cmp_lg_u32 s7, 0
	s_cselect_b64 s[22:23], -1, 0
	s_cmp_eq_u32 s7, 0
	s_cselect_b64 s[8:9], -1, 0
	s_and_b64 s[0:1], s[8:9], exec
	s_cselect_b32 s7, s15, s16
	s_load_dwordx2 s[10:11], s[4:5], 0x30
	s_load_dwordx2 s[20:21], s[4:5], 0x48
	s_add_i32 s0, s7, 1
	s_lshr_b32 s1, s0, 31
	s_add_i32 s0, s0, s1
	s_lshl_b32 s0, s0, 1
	v_lshlrev_b32_e32 v1, 3, v0
	s_and_b32 s30, s0, -4
	v_cmp_gt_i32_e64 s[0:1], s7, v1
	v_mov_b32_e32 v10, 0
	v_mov_b32_e32 v11, 0
	;; [unrolled: 1-line block ×8, first 2 shown]
	s_and_saveexec_b64 s[2:3], s[0:1]
	s_cbranch_execz .LBB510_3
; %bb.2:
	s_load_dwordx2 s[14:15], s[4:5], 0x28
	s_load_dwordx2 s[26:27], s[4:5], 0x40
	s_and_b64 s[24:25], s[8:9], exec
	s_cselect_b32 s17, s17, s18
	s_mov_b32 s31, 0x20000
	s_waitcnt lgkmcnt(0)
	s_cselect_b32 s25, s15, s11
	s_cselect_b32 s24, s14, s10
	s_mul_hi_i32 s15, s17, s6
	s_mul_i32 s14, s17, s6
	s_lshl_b64 s[14:15], s[14:15], 1
	s_add_u32 s24, s24, s14
	s_addc_u32 s17, s25, s15
	s_and_b64 s[14:15], s[8:9], exec
	s_cselect_b32 s28, s26, s20
	s_cselect_b32 s14, s27, s21
	v_lshlrev_b32_e32 v2, 4, v0
	s_and_b32 s25, s17, 0xffff
	s_mov_b32 s26, s30
	s_mov_b32 s27, s31
	s_and_b32 s29, s14, 0xffff
	buffer_load_dwordx4 v[14:17], v2, s[24:27], 0 offen glc slc
	buffer_load_dwordx4 v[10:13], v2, s[28:31], 0 offen
.LBB510_3:
	s_or_b64 exec, exec, s[2:3]
	s_load_dwordx4 s[24:27], s[4:5], 0x7c
	s_and_b64 vcc, exec, s[22:23]
	s_cbranch_vccz .LBB510_7
; %bb.4:
	s_mov_b32 s36, 0
	s_mov_b32 s37, s36
	;; [unrolled: 1-line block ×8, first 2 shown]
	v_pk_mov_b32 v[2:3], s[36:37], s[36:37] op_sel:[0,1]
	v_pk_mov_b32 v[4:5], s[38:39], s[38:39] op_sel:[0,1]
	;; [unrolled: 1-line block ×4, first 2 shown]
	s_and_saveexec_b64 s[2:3], s[0:1]
	s_cbranch_execz .LBB510_6
; %bb.5:
	s_waitcnt vmcnt(1)
	v_cvt_f32_u32_sdwa v3, v14 dst_sel:DWORD dst_unused:UNUSED_PAD src0_sel:WORD_1
	v_cvt_f32_u32_sdwa v2, v14 dst_sel:DWORD dst_unused:UNUSED_PAD src0_sel:WORD_0
	v_cvt_f32_u32_sdwa v5, v15 dst_sel:DWORD dst_unused:UNUSED_PAD src0_sel:WORD_1
	v_cvt_f32_u32_sdwa v4, v15 dst_sel:DWORD dst_unused:UNUSED_PAD src0_sel:WORD_0
	;; [unrolled: 2-line block ×4, first 2 shown]
.LBB510_6:
	s_or_b64 exec, exec, s[2:3]
	s_cbranch_execz .LBB510_8
	s_branch .LBB510_11
.LBB510_7:
                                        ; implicit-def: $vgpr2_vgpr3_vgpr4_vgpr5_vgpr6_vgpr7_vgpr8_vgpr9
.LBB510_8:
	s_mov_b32 s36, 0
	s_mov_b32 s37, s36
	;; [unrolled: 1-line block ×8, first 2 shown]
	v_pk_mov_b32 v[2:3], s[36:37], s[36:37] op_sel:[0,1]
	v_pk_mov_b32 v[4:5], s[38:39], s[38:39] op_sel:[0,1]
	;; [unrolled: 1-line block ×4, first 2 shown]
	s_and_saveexec_b64 s[2:3], s[0:1]
	s_cbranch_execz .LBB510_10
; %bb.9:
	s_load_dwordx2 s[14:15], s[4:5], 0x38
	s_mul_hi_i32 s29, s19, s6
	s_mul_i32 s28, s19, s6
	s_lshl_b64 s[28:29], s[28:29], 1
	s_mov_b32 s31, 0x20000
	s_waitcnt lgkmcnt(0)
	s_add_u32 s28, s14, s28
	s_addc_u32 s14, s15, s29
	s_and_b32 s29, s14, 0xffff
	v_lshlrev_b32_e32 v26, 4, v0
	buffer_load_dwordx4 v[2:5], v26, s[28:31], 0 offen glc slc
	s_load_dwordx2 s[14:15], s[4:5], 0x20
	s_waitcnt vmcnt(2)
	v_cvt_f32_u32_sdwa v7, v14 dst_sel:DWORD dst_unused:UNUSED_PAD src0_sel:WORD_1
	v_cvt_f32_u32_sdwa v6, v14 dst_sel:DWORD dst_unused:UNUSED_PAD src0_sel:WORD_0
	v_cvt_f32_u32_sdwa v9, v15 dst_sel:DWORD dst_unused:UNUSED_PAD src0_sel:WORD_1
	v_cvt_f32_u32_sdwa v8, v15 dst_sel:DWORD dst_unused:UNUSED_PAD src0_sel:WORD_0
	;; [unrolled: 2-line block ×4, first 2 shown]
	s_mul_hi_i32 s27, s26, s6
	s_mul_i32 s26, s26, s6
	s_lshl_b64 s[26:27], s[26:27], 1
	s_waitcnt lgkmcnt(0)
	s_add_u32 s28, s14, s26
	s_mov_b32 s17, 0x7060302
	s_addc_u32 s14, s15, s27
	s_and_b32 s29, s14, 0xffff
	s_waitcnt vmcnt(0)
	v_cvt_f32_u32_sdwa v17, v2 dst_sel:DWORD dst_unused:UNUSED_PAD src0_sel:WORD_1
	v_cvt_f32_u32_sdwa v16, v2 dst_sel:DWORD dst_unused:UNUSED_PAD src0_sel:WORD_0
	v_cvt_f32_u32_sdwa v21, v3 dst_sel:DWORD dst_unused:UNUSED_PAD src0_sel:WORD_1
	v_cvt_f32_u32_sdwa v20, v3 dst_sel:DWORD dst_unused:UNUSED_PAD src0_sel:WORD_0
	;; [unrolled: 2-line block ×4, first 2 shown]
	v_pk_add_f32 v[2:3], v[6:7], v[16:17]
	v_pk_add_f32 v[4:5], v[8:9], v[20:21]
	;; [unrolled: 1-line block ×4, first 2 shown]
	v_perm_b32 v17, v9, v8, s17
	v_perm_b32 v16, v7, v6, s17
	;; [unrolled: 1-line block ×4, first 2 shown]
	buffer_store_dwordx4 v[14:17], v26, s[28:31], 0 offen glc slc
	;;#ASMSTART
	s_nop 0
	;;#ASMEND
.LBB510_10:
	s_or_b64 exec, exec, s[2:3]
.LBB510_11:
	s_waitcnt vmcnt(1)
	v_mul_f32_e32 v14, v3, v3
	v_fmac_f32_e32 v14, v2, v2
	v_fmac_f32_e32 v14, v4, v4
	;; [unrolled: 1-line block ×7, first 2 shown]
	v_and_b32_e32 v16, 63, v0
	v_cmp_eq_u32_e64 s[2:3], 63, v16
	v_mov_b32_dpp v15, v14 quad_perm:[1,0,3,2] row_mask:0xf bank_mask:0xf
	v_add_f32_e32 v14, v14, v15
	s_nop 1
	v_mov_b32_dpp v15, v14 quad_perm:[2,3,0,1] row_mask:0xf bank_mask:0xf
	v_add_f32_e32 v14, v14, v15
	s_nop 1
	v_mov_b32_dpp v15, v14 row_half_mirror row_mask:0xf bank_mask:0xf
	v_add_f32_e32 v14, v14, v15
	s_nop 1
	v_mov_b32_dpp v15, v14 row_mirror row_mask:0xf bank_mask:0xf
	v_add_f32_e32 v14, v14, v15
	s_nop 1
	v_mov_b32_dpp v15, v14 row_bcast:15 row_mask:0xf bank_mask:0xf
	v_add_f32_e32 v14, v14, v15
	s_nop 1
	v_mov_b32_dpp v15, v14 row_bcast:31 row_mask:0xf bank_mask:0xf
	s_and_saveexec_b64 s[14:15], s[2:3]
	s_cbranch_execz .LBB510_13
; %bb.12:
	v_add_f32_e32 v14, v14, v15
	v_lshrrev_b32_e32 v15, 4, v0
	v_and_b32_e32 v15, 60, v15
	ds_write_b32 v15, v14 offset:16
.LBB510_13:
	s_or_b64 exec, exec, s[14:15]
	v_and_b32_e32 v14, 3, v0
	v_lshlrev_b32_e32 v14, 2, v14
	s_waitcnt lgkmcnt(0)
	s_barrier
	ds_read_b32 v15, v14 offset:16
	s_load_dwordx2 s[14:15], s[4:5], 0x18
	s_waitcnt lgkmcnt(0)
	v_mov_b32_dpp v16, v15 quad_perm:[1,0,3,2] row_mask:0xf bank_mask:0xf
	v_add_f32_e32 v15, v15, v16
	s_nop 1
	v_mov_b32_dpp v16, v15 quad_perm:[2,3,0,1] row_mask:0xf bank_mask:0xf
	s_and_saveexec_b64 s[26:27], s[0:1]
	s_cbranch_execnz .LBB510_18
; %bb.14:
	s_or_b64 exec, exec, s[26:27]
	s_mov_b64 s[8:9], -1
	s_and_b64 vcc, exec, s[22:23]
	s_cbranch_vccnz .LBB510_19
.LBB510_15:
	s_andn2_b64 vcc, exec, s[8:9]
	s_cbranch_vccz .LBB510_22
.LBB510_16:
	s_cmp_lt_i32 s16, 1
	s_cbranch_scc0 .LBB510_25
.LBB510_17:
	s_endpgm
.LBB510_18:
	v_cvt_f32_u32_e32 v17, s7
	v_add_f32_e32 v15, v15, v16
	v_mov_b32_e32 v19, s13
	v_mov_b32_e32 v20, s12
	v_div_scale_f32 v16, s[28:29], v17, v17, v15
	v_rcp_f32_e32 v18, v16
	v_cndmask_b32_e64 v19, v19, v20, s[8:9]
	s_mov_b32 s7, 0x800000
	v_fma_f32 v20, -v16, v18, 1.0
	v_fmac_f32_e32 v18, v20, v18
	v_div_scale_f32 v20, vcc, v15, v17, v15
	v_mul_f32_e32 v21, v20, v18
	v_fma_f32 v22, -v16, v21, v20
	v_fmac_f32_e32 v21, v22, v18
	v_fma_f32 v16, -v16, v21, v20
	v_div_fmas_f32 v16, v16, v18, v21
	v_div_fixup_f32 v15, v16, v17, v15
	v_add_f32_e32 v15, v19, v15
	v_mul_f32_e32 v16, 0x4b800000, v15
	v_cmp_gt_f32_e32 vcc, s7, v15
	v_cndmask_b32_e32 v15, v15, v16, vcc
	v_rsq_f32_e32 v15, v15
	s_waitcnt vmcnt(0)
	v_cvt_f32_u32_sdwa v19, v11 dst_sel:DWORD dst_unused:UNUSED_PAD src0_sel:WORD_1
	v_cvt_f32_u32_sdwa v18, v11 dst_sel:DWORD dst_unused:UNUSED_PAD src0_sel:WORD_0
	v_cvt_f32_u32_sdwa v11, v12 dst_sel:DWORD dst_unused:UNUSED_PAD src0_sel:WORD_1
	v_mul_f32_e32 v16, 0x45800000, v15
	v_cndmask_b32_e32 v16, v15, v16, vcc
	v_mov_b32_e32 v17, v16
	;;#ASMSTART
	v_pk_mul_f32 v[2:3], v[2:3], v[16:17]
	;;#ASMEND
	;;#ASMSTART
	v_pk_mul_f32 v[4:5], v[4:5], v[16:17]
	;;#ASMEND
	;; [unrolled: 3-line block ×4, first 2 shown]
	v_cvt_f32_u32_sdwa v17, v10 dst_sel:DWORD dst_unused:UNUSED_PAD src0_sel:WORD_1
	v_cvt_f32_u32_sdwa v16, v10 dst_sel:DWORD dst_unused:UNUSED_PAD src0_sel:WORD_0
	v_cvt_f32_u32_sdwa v10, v12 dst_sel:DWORD dst_unused:UNUSED_PAD src0_sel:WORD_0
	v_cvt_f32_u32_sdwa v21, v13 dst_sel:DWORD dst_unused:UNUSED_PAD src0_sel:WORD_1
	v_cvt_f32_u32_sdwa v20, v13 dst_sel:DWORD dst_unused:UNUSED_PAD src0_sel:WORD_0
	;;#ASMSTART
	v_pk_mul_f32 v[2:3], v[2:3], v[16:17]
	;;#ASMEND
	;;#ASMSTART
	v_pk_mul_f32 v[4:5], v[4:5], v[18:19]
	;;#ASMEND
	;;#ASMSTART
	v_pk_mul_f32 v[6:7], v[6:7], v[10:11]
	;;#ASMEND
	;;#ASMSTART
	v_pk_mul_f32 v[8:9], v[8:9], v[20:21]
	;;#ASMEND
	s_or_b64 exec, exec, s[26:27]
	s_mov_b64 s[8:9], -1
	s_and_b64 vcc, exec, s[22:23]
	s_cbranch_vccz .LBB510_15
.LBB510_19:
	s_and_saveexec_b64 s[8:9], s[0:1]
	s_cbranch_execz .LBB510_21
; %bb.20:
	s_mul_hi_i32 s23, s25, s6
	s_mul_i32 s22, s25, s6
	s_lshl_b64 s[22:23], s[22:23], 1
	s_add_u32 s28, s14, s22
	s_addc_u32 s7, s15, s23
	s_and_b32 s29, s7, 0xffff
	s_mov_b32 s7, 0x7060302
	s_mov_b32 s31, 0x20000
	s_waitcnt vmcnt(0)
	v_perm_b32 v10, v3, v2, s7
	v_perm_b32 v11, v5, v4, s7
	;; [unrolled: 1-line block ×4, first 2 shown]
	v_lshlrev_b32_e32 v15, 4, v0
	buffer_store_dwordx4 v[10:13], v15, s[28:31], 0 offen
	;;#ASMSTART
	s_nop 0
	;;#ASMEND
.LBB510_21:
	s_or_b64 exec, exec, s[8:9]
	s_cbranch_execnz .LBB510_16
.LBB510_22:
	s_and_saveexec_b64 s[8:9], s[0:1]
	s_cbranch_execz .LBB510_24
; %bb.23:
	s_load_dwordx2 s[0:1], s[4:5], 0x10
	s_mul_hi_i32 s23, s24, s6
	s_mul_i32 s22, s24, s6
	s_lshl_b64 s[22:23], s[22:23], 1
	s_mov_b32 s31, 0x20000
	s_waitcnt lgkmcnt(0)
	s_add_u32 s28, s0, s22
	s_addc_u32 s0, s1, s23
	s_and_b32 s29, s0, 0xffff
	s_mov_b32 s0, 0x7060302
	v_perm_b32 v2, v3, v2, s0
	v_perm_b32 v3, v5, v4, s0
	;; [unrolled: 1-line block ×4, first 2 shown]
	v_lshlrev_b32_e32 v6, 4, v0
	buffer_store_dwordx4 v[2:5], v6, s[28:31], 0 offen
	;;#ASMSTART
	s_nop 0
	;;#ASMEND
.LBB510_24:
	s_or_b64 exec, exec, s[8:9]
	s_cmp_lt_i32 s16, 1
	s_cbranch_scc1 .LBB510_17
.LBB510_25:
	s_load_dword s0, s[4:5], 0x94
	s_waitcnt lgkmcnt(0)
	s_cmp_lg_u32 s0, 1
	s_cbranch_scc1 .LBB510_17
; %bb.26:
	s_lshl_b32 s0, s16, 1
	s_add_i32 s0, s0, 2
	v_cmp_gt_u32_e32 vcc, s16, v1
	s_and_b32 s22, s0, -4
	v_mov_b32_e32 v6, 0
	v_lshlrev_b32_e32 v1, 4, v0
	v_mov_b32_e32 v7, 0
	v_mov_b32_e32 v8, 0
	;; [unrolled: 1-line block ×7, first 2 shown]
	s_barrier
	s_and_saveexec_b64 s[0:1], vcc
	s_cbranch_execz .LBB510_28
; %bb.27:
	s_mul_hi_i32 s5, s18, s6
	s_mul_i32 s4, s18, s6
	s_and_b32 s21, s21, 0xffff
	s_lshl_b64 s[4:5], s[4:5], 1
	s_add_u32 s8, s10, s4
	s_mov_b32 s23, 0x20000
	s_addc_u32 s4, s11, s5
	s_and_b32 s9, s4, 0xffff
	s_mov_b32 s10, s22
	s_mov_b32 s11, s23
	buffer_load_dwordx4 v[6:9], v1, s[8:11], 0 offen glc slc
	buffer_load_dwordx4 v[2:5], v1, s[20:23], 0 offen
.LBB510_28:
	s_or_b64 exec, exec, s[0:1]
	s_waitcnt vmcnt(0)
	v_cvt_f32_u32_sdwa v13, v6 dst_sel:DWORD dst_unused:UNUSED_PAD src0_sel:WORD_1
	v_cvt_f32_u32_sdwa v12, v6 dst_sel:DWORD dst_unused:UNUSED_PAD src0_sel:WORD_0
	v_cvt_f32_u32_sdwa v6, v9 dst_sel:DWORD dst_unused:UNUSED_PAD src0_sel:WORD_1
	v_cvt_f32_u32_sdwa v9, v9 dst_sel:DWORD dst_unused:UNUSED_PAD src0_sel:WORD_0
	;; [unrolled: 2-line block ×4, first 2 shown]
	v_cndmask_b32_e32 v13, 0, v13, vcc
	v_cndmask_b32_e32 v7, 0, v6, vcc
	;; [unrolled: 1-line block ×5, first 2 shown]
	v_mul_f32_e32 v15, v13, v13
	v_cndmask_b32_e32 v10, 0, v10, vcc
	v_fmac_f32_e32 v15, v12, v12
	v_cndmask_b32_e32 v11, 0, v11, vcc
	v_fmac_f32_e32 v15, v10, v10
	;; [unrolled: 2-line block ×3, first 2 shown]
	v_fmac_f32_e32 v15, v8, v8
	v_fmac_f32_e32 v15, v9, v9
	;; [unrolled: 1-line block ×4, first 2 shown]
	s_nop 1
	v_mov_b32_dpp v16, v15 quad_perm:[1,0,3,2] row_mask:0xf bank_mask:0xf
	v_add_f32_e32 v15, v15, v16
	s_nop 1
	v_mov_b32_dpp v16, v15 quad_perm:[2,3,0,1] row_mask:0xf bank_mask:0xf
	v_add_f32_e32 v15, v15, v16
	s_nop 1
	v_mov_b32_dpp v16, v15 row_half_mirror row_mask:0xf bank_mask:0xf
	v_add_f32_e32 v15, v15, v16
	s_nop 1
	v_mov_b32_dpp v16, v15 row_mirror row_mask:0xf bank_mask:0xf
	v_add_f32_e32 v15, v15, v16
	s_nop 1
	v_mov_b32_dpp v16, v15 row_bcast:15 row_mask:0xf bank_mask:0xf
	v_add_f32_e32 v15, v15, v16
	s_nop 1
	v_mov_b32_dpp v16, v15 row_bcast:31 row_mask:0xf bank_mask:0xf
	s_and_saveexec_b64 s[0:1], s[2:3]
	s_cbranch_execz .LBB510_30
; %bb.29:
	v_lshrrev_b32_e32 v0, 4, v0
	v_add_f32_e32 v15, v15, v16
	v_and_b32_e32 v0, 60, v0
	ds_write_b32 v0, v15
.LBB510_30:
	s_or_b64 exec, exec, s[0:1]
	s_waitcnt lgkmcnt(0)
	s_barrier
	ds_read_b32 v0, v14
	s_waitcnt lgkmcnt(0)
	s_nop 0
	v_mov_b32_dpp v14, v0 quad_perm:[1,0,3,2] row_mask:0xf bank_mask:0xf
	v_add_f32_e32 v0, v0, v14
	s_nop 1
	v_mov_b32_dpp v14, v0 quad_perm:[2,3,0,1] row_mask:0xf bank_mask:0xf
	s_and_saveexec_b64 s[0:1], vcc
	s_cbranch_execz .LBB510_17
; %bb.31:
	v_cvt_f32_u32_e32 v15, s16
	v_add_f32_e32 v0, v0, v14
	s_mov_b32 s23, 0x20000
	v_div_scale_f32 v14, s[0:1], v15, v15, v0
	v_rcp_f32_e32 v16, v14
	v_div_scale_f32 v17, vcc, v0, v15, v0
	s_mov_b32 s0, 0x800000
	v_fma_f32 v18, -v14, v16, 1.0
	v_fmac_f32_e32 v16, v18, v16
	v_mul_f32_e32 v18, v17, v16
	v_fma_f32 v19, -v14, v18, v17
	v_fmac_f32_e32 v18, v19, v16
	v_fma_f32 v14, -v14, v18, v17
	v_div_fmas_f32 v14, v14, v16, v18
	v_div_fixup_f32 v0, v14, v15, v0
	v_add_f32_e32 v0, s13, v0
	v_mul_f32_e32 v14, 0x4b800000, v0
	v_cmp_gt_f32_e32 vcc, s0, v0
	v_cndmask_b32_e32 v0, v0, v14, vcc
	v_rsq_f32_e32 v0, v0
	s_mul_hi_i32 s1, s25, s6
	s_mul_i32 s0, s25, s6
	s_lshl_b64 s[0:1], s[0:1], 1
	v_mul_f32_e32 v14, 0x45800000, v0
	v_cndmask_b32_e32 v14, v0, v14, vcc
	s_add_u32 s20, s14, s0
	v_mov_b32_e32 v15, v14
	s_addc_u32 s0, s15, s1
	;;#ASMSTART
	v_pk_mul_f32 v[12:13], v[12:13], v[14:15]
	;;#ASMEND
	;;#ASMSTART
	v_pk_mul_f32 v[10:11], v[10:11], v[14:15]
	;;#ASMEND
	;; [unrolled: 3-line block ×4, first 2 shown]
	v_cvt_f32_u32_sdwa v15, v2 dst_sel:DWORD dst_unused:UNUSED_PAD src0_sel:WORD_1
	v_cvt_f32_u32_sdwa v14, v2 dst_sel:DWORD dst_unused:UNUSED_PAD src0_sel:WORD_0
	v_cvt_f32_u32_sdwa v17, v3 dst_sel:DWORD dst_unused:UNUSED_PAD src0_sel:WORD_1
	v_cvt_f32_u32_sdwa v16, v3 dst_sel:DWORD dst_unused:UNUSED_PAD src0_sel:WORD_0
	;; [unrolled: 2-line block ×4, first 2 shown]
	;;#ASMSTART
	v_pk_mul_f32 v[4:5], v[12:13], v[14:15]
	;;#ASMEND
	s_and_b32 s21, s0, 0xffff
	s_mov_b32 s0, 0x7060302
	;;#ASMSTART
	v_pk_mul_f32 v[10:11], v[10:11], v[16:17]
	;;#ASMEND
	;;#ASMSTART
	v_pk_mul_f32 v[8:9], v[8:9], v[2:3]
	;;#ASMEND
	;; [unrolled: 3-line block ×3, first 2 shown]
	v_perm_b32 v2, v5, v4, s0
	v_perm_b32 v3, v11, v10, s0
	;; [unrolled: 1-line block ×4, first 2 shown]
	buffer_store_dwordx4 v[2:5], v1, s[20:23], 0 offen
	;;#ASMSTART
	s_nop 0
	;;#ASMEND
	s_endpgm
	.section	.rodata,"a",@progbits
	.p2align	6, 0x0
	.amdhsa_kernel _ZN5aiter35fused_qk_rmsnorm_group_quant_kernelItDB8_Li256ELi8ELi8ELb1ELb1ELb0ELb1ELb0ELb0EEEvPT0_PvPT_S6_S6_PKS5_S8_S8_S8_S8_ffiiiiiiiiiiiii
		.amdhsa_group_segment_fixed_size 32
		.amdhsa_private_segment_fixed_size 0
		.amdhsa_kernarg_size 400
		.amdhsa_user_sgpr_count 6
		.amdhsa_user_sgpr_private_segment_buffer 1
		.amdhsa_user_sgpr_dispatch_ptr 0
		.amdhsa_user_sgpr_queue_ptr 0
		.amdhsa_user_sgpr_kernarg_segment_ptr 1
		.amdhsa_user_sgpr_dispatch_id 0
		.amdhsa_user_sgpr_flat_scratch_init 0
		.amdhsa_user_sgpr_kernarg_preload_length 0
		.amdhsa_user_sgpr_kernarg_preload_offset 0
		.amdhsa_user_sgpr_private_segment_size 0
		.amdhsa_uses_dynamic_stack 0
		.amdhsa_system_sgpr_private_segment_wavefront_offset 0
		.amdhsa_system_sgpr_workgroup_id_x 1
		.amdhsa_system_sgpr_workgroup_id_y 1
		.amdhsa_system_sgpr_workgroup_id_z 0
		.amdhsa_system_sgpr_workgroup_info 0
		.amdhsa_system_vgpr_workitem_id 0
		.amdhsa_next_free_vgpr 27
		.amdhsa_next_free_sgpr 44
		.amdhsa_accum_offset 28
		.amdhsa_reserve_vcc 1
		.amdhsa_reserve_flat_scratch 0
		.amdhsa_float_round_mode_32 0
		.amdhsa_float_round_mode_16_64 0
		.amdhsa_float_denorm_mode_32 3
		.amdhsa_float_denorm_mode_16_64 3
		.amdhsa_dx10_clamp 1
		.amdhsa_ieee_mode 1
		.amdhsa_fp16_overflow 0
		.amdhsa_tg_split 0
		.amdhsa_exception_fp_ieee_invalid_op 0
		.amdhsa_exception_fp_denorm_src 0
		.amdhsa_exception_fp_ieee_div_zero 0
		.amdhsa_exception_fp_ieee_overflow 0
		.amdhsa_exception_fp_ieee_underflow 0
		.amdhsa_exception_fp_ieee_inexact 0
		.amdhsa_exception_int_div_zero 0
	.end_amdhsa_kernel
	.section	.text._ZN5aiter35fused_qk_rmsnorm_group_quant_kernelItDB8_Li256ELi8ELi8ELb1ELb1ELb0ELb1ELb0ELb0EEEvPT0_PvPT_S6_S6_PKS5_S8_S8_S8_S8_ffiiiiiiiiiiiii,"axG",@progbits,_ZN5aiter35fused_qk_rmsnorm_group_quant_kernelItDB8_Li256ELi8ELi8ELb1ELb1ELb0ELb1ELb0ELb0EEEvPT0_PvPT_S6_S6_PKS5_S8_S8_S8_S8_ffiiiiiiiiiiiii,comdat
.Lfunc_end510:
	.size	_ZN5aiter35fused_qk_rmsnorm_group_quant_kernelItDB8_Li256ELi8ELi8ELb1ELb1ELb0ELb1ELb0ELb0EEEvPT0_PvPT_S6_S6_PKS5_S8_S8_S8_S8_ffiiiiiiiiiiiii, .Lfunc_end510-_ZN5aiter35fused_qk_rmsnorm_group_quant_kernelItDB8_Li256ELi8ELi8ELb1ELb1ELb0ELb1ELb0ELb0EEEvPT0_PvPT_S6_S6_PKS5_S8_S8_S8_S8_ffiiiiiiiiiiiii
                                        ; -- End function
	.section	.AMDGPU.csdata,"",@progbits
; Kernel info:
; codeLenInByte = 2452
; NumSgprs: 48
; NumVgprs: 27
; NumAgprs: 0
; TotalNumVgprs: 27
; ScratchSize: 0
; MemoryBound: 0
; FloatMode: 240
; IeeeMode: 1
; LDSByteSize: 32 bytes/workgroup (compile time only)
; SGPRBlocks: 5
; VGPRBlocks: 3
; NumSGPRsForWavesPerEU: 48
; NumVGPRsForWavesPerEU: 27
; AccumOffset: 28
; Occupancy: 8
; WaveLimiterHint : 0
; COMPUTE_PGM_RSRC2:SCRATCH_EN: 0
; COMPUTE_PGM_RSRC2:USER_SGPR: 6
; COMPUTE_PGM_RSRC2:TRAP_HANDLER: 0
; COMPUTE_PGM_RSRC2:TGID_X_EN: 1
; COMPUTE_PGM_RSRC2:TGID_Y_EN: 1
; COMPUTE_PGM_RSRC2:TGID_Z_EN: 0
; COMPUTE_PGM_RSRC2:TIDIG_COMP_CNT: 0
; COMPUTE_PGM_RSRC3_GFX90A:ACCUM_OFFSET: 6
; COMPUTE_PGM_RSRC3_GFX90A:TG_SPLIT: 0
	.section	.text._ZN5aiter35fused_qk_rmsnorm_group_quant_kernelIDF16_N4opus5fp4_tELi256ELi8ELi8ELb1ELb1ELb0ELb1ELb0ELb0EEEvPT0_PvPT_S7_S7_PKS6_S9_S9_S9_S9_ffiiiiiiiiiiiii,"axG",@progbits,_ZN5aiter35fused_qk_rmsnorm_group_quant_kernelIDF16_N4opus5fp4_tELi256ELi8ELi8ELb1ELb1ELb0ELb1ELb0ELb0EEEvPT0_PvPT_S7_S7_PKS6_S9_S9_S9_S9_ffiiiiiiiiiiiii,comdat
	.protected	_ZN5aiter35fused_qk_rmsnorm_group_quant_kernelIDF16_N4opus5fp4_tELi256ELi8ELi8ELb1ELb1ELb0ELb1ELb0ELb0EEEvPT0_PvPT_S7_S7_PKS6_S9_S9_S9_S9_ffiiiiiiiiiiiii ; -- Begin function _ZN5aiter35fused_qk_rmsnorm_group_quant_kernelIDF16_N4opus5fp4_tELi256ELi8ELi8ELb1ELb1ELb0ELb1ELb0ELb0EEEvPT0_PvPT_S7_S7_PKS6_S9_S9_S9_S9_ffiiiiiiiiiiiii
	.globl	_ZN5aiter35fused_qk_rmsnorm_group_quant_kernelIDF16_N4opus5fp4_tELi256ELi8ELi8ELb1ELb1ELb0ELb1ELb0ELb0EEEvPT0_PvPT_S7_S7_PKS6_S9_S9_S9_S9_ffiiiiiiiiiiiii
	.p2align	8
	.type	_ZN5aiter35fused_qk_rmsnorm_group_quant_kernelIDF16_N4opus5fp4_tELi256ELi8ELi8ELb1ELb1ELb0ELb1ELb0ELb0EEEvPT0_PvPT_S7_S7_PKS6_S9_S9_S9_S9_ffiiiiiiiiiiiii,@function
_ZN5aiter35fused_qk_rmsnorm_group_quant_kernelIDF16_N4opus5fp4_tELi256ELi8ELi8ELb1ELb1ELb0ELb1ELb0ELb0EEEvPT0_PvPT_S7_S7_PKS6_S9_S9_S9_S9_ffiiiiiiiiiiiii: ; @_ZN5aiter35fused_qk_rmsnorm_group_quant_kernelIDF16_N4opus5fp4_tELi256ELi8ELi8ELb1ELb1ELb0ELb1ELb0ELb0EEEvPT0_PvPT_S7_S7_PKS6_S9_S9_S9_S9_ffiiiiiiiiiiiii
; %bb.0:
	s_load_dwordx8 s[12:19], s[4:5], 0x50
	s_waitcnt lgkmcnt(0)
	s_cmp_ge_i32 s6, s14
	s_cbranch_scc1 .LBB511_17
; %bb.1:
	s_cmp_lg_u32 s7, 0
	s_cselect_b64 s[22:23], -1, 0
	s_cmp_eq_u32 s7, 0
	s_cselect_b64 s[2:3], -1, 0
	s_and_b64 s[0:1], s[2:3], exec
	s_cselect_b32 s7, s15, s16
	s_load_dwordx2 s[10:11], s[4:5], 0x30
	s_load_dwordx2 s[20:21], s[4:5], 0x48
	s_add_i32 s0, s7, 1
	s_lshr_b32 s1, s0, 31
	s_add_i32 s0, s0, s1
	s_lshl_b32 s0, s0, 1
	v_lshlrev_b32_e32 v1, 3, v0
	s_and_b32 s30, s0, -4
	v_cmp_gt_i32_e64 s[0:1], s7, v1
	v_mov_b32_e32 v2, 0
	v_mov_b32_e32 v3, 0
	;; [unrolled: 1-line block ×8, first 2 shown]
	s_and_saveexec_b64 s[8:9], s[0:1]
	s_cbranch_execz .LBB511_3
; %bb.2:
	s_load_dwordx2 s[14:15], s[4:5], 0x28
	s_load_dwordx2 s[26:27], s[4:5], 0x40
	s_and_b64 s[24:25], s[2:3], exec
	s_cselect_b32 s17, s17, s18
	s_mov_b32 s31, 0x20000
	s_waitcnt lgkmcnt(0)
	s_cselect_b32 s25, s15, s11
	s_cselect_b32 s24, s14, s10
	s_mul_hi_i32 s15, s17, s6
	s_mul_i32 s14, s17, s6
	s_lshl_b64 s[14:15], s[14:15], 1
	s_add_u32 s24, s24, s14
	s_addc_u32 s17, s25, s15
	s_and_b64 s[14:15], s[2:3], exec
	s_cselect_b32 s28, s26, s20
	s_cselect_b32 s14, s27, s21
	v_lshlrev_b32_e32 v10, 4, v0
	s_and_b32 s25, s17, 0xffff
	s_mov_b32 s26, s30
	s_mov_b32 s27, s31
	s_and_b32 s29, s14, 0xffff
	buffer_load_dwordx4 v[6:9], v10, s[24:27], 0 offen glc slc
	buffer_load_dwordx4 v[2:5], v10, s[28:31], 0 offen
.LBB511_3:
	s_or_b64 exec, exec, s[8:9]
	s_load_dwordx4 s[24:27], s[4:5], 0x7c
	s_and_b64 vcc, exec, s[22:23]
	s_cbranch_vccz .LBB511_7
; %bb.4:
	v_mov_b32_e32 v11, 0
	v_mov_b32_e32 v10, 0
	v_mov_b32_e32 v13, 0
	v_mov_b32_e32 v12, 0
	v_mov_b32_e32 v15, 0
	v_mov_b32_e32 v14, 0
	v_mov_b32_e32 v17, 0
	v_mov_b32_e32 v16, 0
	s_and_saveexec_b64 s[8:9], s[0:1]
	s_cbranch_execz .LBB511_6
; %bb.5:
	s_waitcnt vmcnt(1)
	v_cvt_f32_f16_sdwa v17, v6 dst_sel:DWORD dst_unused:UNUSED_PAD src0_sel:WORD_1
	v_cvt_f32_f16_e32 v16, v6
	v_cvt_f32_f16_sdwa v15, v7 dst_sel:DWORD dst_unused:UNUSED_PAD src0_sel:WORD_1
	v_cvt_f32_f16_e32 v14, v7
	;; [unrolled: 2-line block ×4, first 2 shown]
.LBB511_6:
	s_or_b64 exec, exec, s[8:9]
	s_cbranch_execz .LBB511_8
	s_branch .LBB511_11
.LBB511_7:
                                        ; implicit-def: $vgpr11
                                        ; implicit-def: $vgpr13
                                        ; implicit-def: $vgpr15
                                        ; implicit-def: $vgpr17
.LBB511_8:
	v_mov_b32_e32 v11, 0
	v_mov_b32_e32 v10, 0
	v_mov_b32_e32 v13, 0
	v_mov_b32_e32 v12, 0
	v_mov_b32_e32 v15, 0
	v_mov_b32_e32 v14, 0
	v_mov_b32_e32 v17, 0
	v_mov_b32_e32 v16, 0
	s_and_saveexec_b64 s[8:9], s[0:1]
	s_cbranch_execz .LBB511_10
; %bb.9:
	s_load_dwordx2 s[14:15], s[4:5], 0x38
	s_mul_hi_i32 s29, s19, s6
	s_mul_i32 s28, s19, s6
	s_lshl_b64 s[28:29], s[28:29], 1
	s_mov_b32 s31, 0x20000
	s_waitcnt lgkmcnt(0)
	s_add_u32 s28, s14, s28
	s_addc_u32 s14, s15, s29
	s_and_b32 s29, s14, 0xffff
	v_lshlrev_b32_e32 v26, 4, v0
	buffer_load_dwordx4 v[10:13], v26, s[28:31], 0 offen glc slc
	s_waitcnt vmcnt(2)
	v_cvt_f32_f16_sdwa v15, v6 dst_sel:DWORD dst_unused:UNUSED_PAD src0_sel:WORD_1
	v_cvt_f32_f16_e32 v14, v6
	v_cvt_f32_f16_sdwa v19, v7 dst_sel:DWORD dst_unused:UNUSED_PAD src0_sel:WORD_1
	v_cvt_f32_f16_e32 v18, v7
	;; [unrolled: 2-line block ×4, first 2 shown]
	s_load_dwordx2 s[14:15], s[4:5], 0x20
	s_mul_hi_i32 s27, s26, s6
	s_mul_i32 s26, s26, s6
	s_lshl_b64 s[26:27], s[26:27], 1
	s_waitcnt lgkmcnt(0)
	s_add_u32 s28, s14, s26
	s_addc_u32 s14, s15, s27
	s_and_b32 s29, s14, 0xffff
	s_waitcnt vmcnt(0)
	v_cvt_f32_f16_e32 v8, v10
	v_cvt_f32_f16_sdwa v9, v10 dst_sel:DWORD dst_unused:UNUSED_PAD src0_sel:WORD_1
	v_cvt_f32_f16_e32 v10, v11
	v_cvt_f32_f16_sdwa v11, v11 dst_sel:DWORD dst_unused:UNUSED_PAD src0_sel:WORD_1
	;; [unrolled: 2-line block ×4, first 2 shown]
	v_pk_add_f32 v[16:17], v[14:15], v[8:9]
	v_pk_add_f32 v[14:15], v[18:19], v[10:11]
	;; [unrolled: 1-line block ×4, first 2 shown]
	v_cvt_f16_f32_e32 v6, v17
	v_cvt_f16_f32_e32 v7, v15
	;; [unrolled: 1-line block ×8, first 2 shown]
	v_pack_b32_f16 v9, v18, v9
	v_pack_b32_f16 v8, v19, v8
	;; [unrolled: 1-line block ×4, first 2 shown]
	buffer_store_dwordx4 v[6:9], v26, s[28:31], 0 offen glc slc
	;;#ASMSTART
	s_nop 0
	;;#ASMEND
.LBB511_10:
	s_or_b64 exec, exec, s[8:9]
.LBB511_11:
	s_waitcnt vmcnt(1)
	v_mul_f32_e32 v6, v17, v17
	v_fmac_f32_e32 v6, v16, v16
	v_fmac_f32_e32 v6, v14, v14
	;; [unrolled: 1-line block ×7, first 2 shown]
	v_and_b32_e32 v8, 63, v0
	v_cmp_eq_u32_e64 s[8:9], 63, v8
	v_mov_b32_dpp v7, v6 quad_perm:[1,0,3,2] row_mask:0xf bank_mask:0xf
	v_add_f32_e32 v6, v6, v7
	s_nop 1
	v_mov_b32_dpp v7, v6 quad_perm:[2,3,0,1] row_mask:0xf bank_mask:0xf
	v_add_f32_e32 v6, v6, v7
	s_nop 1
	v_mov_b32_dpp v7, v6 row_half_mirror row_mask:0xf bank_mask:0xf
	v_add_f32_e32 v6, v6, v7
	s_nop 1
	v_mov_b32_dpp v7, v6 row_mirror row_mask:0xf bank_mask:0xf
	v_add_f32_e32 v6, v6, v7
	s_nop 1
	v_mov_b32_dpp v7, v6 row_bcast:15 row_mask:0xf bank_mask:0xf
	v_add_f32_e32 v6, v6, v7
	s_nop 1
	v_mov_b32_dpp v7, v6 row_bcast:31 row_mask:0xf bank_mask:0xf
	s_and_saveexec_b64 s[14:15], s[8:9]
	s_cbranch_execz .LBB511_13
; %bb.12:
	v_add_f32_e32 v6, v6, v7
	v_lshrrev_b32_e32 v7, 4, v0
	v_and_b32_e32 v7, 60, v7
	ds_write_b32 v7, v6 offset:16
.LBB511_13:
	s_or_b64 exec, exec, s[14:15]
	v_and_b32_e32 v6, 3, v0
	v_lshlrev_b32_e32 v18, 2, v6
	s_waitcnt lgkmcnt(0)
	s_barrier
	ds_read_b32 v6, v18 offset:16
	s_load_dwordx2 s[14:15], s[4:5], 0x18
	s_waitcnt lgkmcnt(0)
	v_mov_b32_dpp v7, v6 quad_perm:[1,0,3,2] row_mask:0xf bank_mask:0xf
	v_add_f32_e32 v6, v6, v7
	s_nop 1
	v_mov_b32_dpp v7, v6 quad_perm:[2,3,0,1] row_mask:0xf bank_mask:0xf
	s_and_saveexec_b64 s[26:27], s[0:1]
	s_cbranch_execnz .LBB511_18
; %bb.14:
	s_or_b64 exec, exec, s[26:27]
	s_mov_b64 s[2:3], -1
	s_and_b64 vcc, exec, s[22:23]
	s_cbranch_vccnz .LBB511_19
.LBB511_15:
	s_andn2_b64 vcc, exec, s[2:3]
	s_cbranch_vccz .LBB511_22
.LBB511_16:
	s_cmp_lt_i32 s16, 1
	s_cbranch_scc0 .LBB511_25
.LBB511_17:
	s_endpgm
.LBB511_18:
	v_cvt_f32_u32_e32 v8, s7
	v_add_f32_e32 v6, v6, v7
	v_mov_b32_e32 v19, s13
	v_mov_b32_e32 v20, s12
	v_div_scale_f32 v7, s[28:29], v8, v8, v6
	v_rcp_f32_e32 v9, v7
	v_cndmask_b32_e64 v19, v19, v20, s[2:3]
	s_mov_b32 s2, 0x800000
	s_waitcnt vmcnt(0)
	v_cvt_f32_f16_sdwa v23, v5 dst_sel:DWORD dst_unused:UNUSED_PAD src0_sel:WORD_1
	v_fma_f32 v20, -v7, v9, 1.0
	v_fmac_f32_e32 v9, v20, v9
	v_div_scale_f32 v20, vcc, v6, v8, v6
	v_mul_f32_e32 v21, v20, v9
	v_fma_f32 v22, -v7, v21, v20
	v_fmac_f32_e32 v21, v22, v9
	v_fma_f32 v7, -v7, v21, v20
	v_div_fmas_f32 v7, v7, v9, v21
	v_div_fixup_f32 v6, v7, v8, v6
	v_add_f32_e32 v6, v19, v6
	v_mul_f32_e32 v7, 0x4b800000, v6
	v_cmp_gt_f32_e32 vcc, s2, v6
	v_cndmask_b32_e32 v6, v6, v7, vcc
	v_rsq_f32_e32 v6, v6
	v_cvt_f32_f16_sdwa v21, v3 dst_sel:DWORD dst_unused:UNUSED_PAD src0_sel:WORD_1
	v_cvt_f32_f16_e32 v20, v3
	v_cvt_f32_f16_sdwa v3, v4 dst_sel:DWORD dst_unused:UNUSED_PAD src0_sel:WORD_1
	v_mul_f32_e32 v7, 0x45800000, v6
	v_cndmask_b32_e32 v6, v6, v7, vcc
	v_mov_b32_e32 v7, v6
	;;#ASMSTART
	v_pk_mul_f32 v[8:9], v[16:17], v[6:7]
	;;#ASMEND
	;;#ASMSTART
	v_pk_mul_f32 v[14:15], v[14:15], v[6:7]
	;;#ASMEND
	;; [unrolled: 3-line block ×4, first 2 shown]
	v_cvt_f32_f16_sdwa v11, v2 dst_sel:DWORD dst_unused:UNUSED_PAD src0_sel:WORD_1
	v_cvt_f32_f16_e32 v10, v2
	v_cvt_f32_f16_e32 v2, v4
	;; [unrolled: 1-line block ×3, first 2 shown]
	;;#ASMSTART
	v_pk_mul_f32 v[16:17], v[8:9], v[10:11]
	;;#ASMEND
	;;#ASMSTART
	v_pk_mul_f32 v[14:15], v[14:15], v[20:21]
	;;#ASMEND
	;; [unrolled: 3-line block ×4, first 2 shown]
	s_or_b64 exec, exec, s[26:27]
	s_mov_b64 s[2:3], -1
	s_and_b64 vcc, exec, s[22:23]
	s_cbranch_vccz .LBB511_15
.LBB511_19:
	s_and_saveexec_b64 s[2:3], s[0:1]
	s_cbranch_execz .LBB511_21
; %bb.20:
	s_mul_hi_i32 s23, s25, s6
	s_mul_i32 s22, s25, s6
	s_waitcnt vmcnt(0)
	v_cvt_f16_f32_e32 v2, v16
	v_cvt_f16_f32_e32 v3, v14
	;; [unrolled: 1-line block ×8, first 2 shown]
	s_lshl_b64 s[22:23], s[22:23], 1
	s_add_u32 s28, s14, s22
	s_addc_u32 s7, s15, s23
	s_and_b32 s29, s7, 0xffff
	s_mov_b32 s31, 0x20000
	v_pack_b32_f16 v5, v5, v6
	v_pack_b32_f16 v4, v4, v7
	;; [unrolled: 1-line block ×4, first 2 shown]
	v_lshlrev_b32_e32 v6, 4, v0
	buffer_store_dwordx4 v[2:5], v6, s[28:31], 0 offen
	;;#ASMSTART
	s_nop 0
	;;#ASMEND
.LBB511_21:
	s_or_b64 exec, exec, s[2:3]
	s_cbranch_execnz .LBB511_16
.LBB511_22:
	s_and_saveexec_b64 s[2:3], s[0:1]
	s_cbranch_execz .LBB511_24
; %bb.23:
	s_load_dwordx2 s[0:1], s[4:5], 0x10
	s_mul_hi_i32 s23, s24, s6
	s_mul_i32 s22, s24, s6
	s_waitcnt vmcnt(0)
	v_cvt_f16_f32_e32 v2, v16
	v_cvt_f16_f32_e32 v3, v14
	;; [unrolled: 1-line block ×8, first 2 shown]
	s_lshl_b64 s[22:23], s[22:23], 1
	s_waitcnt lgkmcnt(0)
	s_add_u32 s28, s0, s22
	s_addc_u32 s0, s1, s23
	s_mov_b32 s31, 0x20000
	s_and_b32 s29, s0, 0xffff
	v_pack_b32_f16 v5, v5, v6
	v_pack_b32_f16 v4, v4, v7
	;; [unrolled: 1-line block ×4, first 2 shown]
	v_lshlrev_b32_e32 v6, 4, v0
	buffer_store_dwordx4 v[2:5], v6, s[28:31], 0 offen
	;;#ASMSTART
	s_nop 0
	;;#ASMEND
.LBB511_24:
	s_or_b64 exec, exec, s[2:3]
	s_cmp_lt_i32 s16, 1
	s_cbranch_scc1 .LBB511_17
.LBB511_25:
	s_load_dword s0, s[4:5], 0x94
	s_waitcnt lgkmcnt(0)
	s_cmp_lg_u32 s0, 1
	s_cbranch_scc1 .LBB511_17
; %bb.26:
	s_lshl_b32 s0, s16, 1
	s_add_i32 s0, s0, 2
	v_cmp_gt_u32_e32 vcc, s16, v1
	s_and_b32 s22, s0, -4
	v_mov_b32_e32 v10, 0
	v_lshlrev_b32_e32 v1, 4, v0
	v_mov_b32_e32 v6, 0
	v_mov_b32_e32 v7, 0
	;; [unrolled: 1-line block ×4, first 2 shown]
	s_waitcnt vmcnt(0)
	v_mov_b32_e32 v2, 0
	v_mov_b32_e32 v3, 0
	;; [unrolled: 1-line block ×4, first 2 shown]
	s_barrier
	s_and_saveexec_b64 s[0:1], vcc
	s_cbranch_execz .LBB511_28
; %bb.27:
	s_mul_hi_i32 s3, s18, s6
	s_mul_i32 s2, s18, s6
	s_and_b32 s21, s21, 0xffff
	s_lshl_b64 s[2:3], s[2:3], 1
	s_add_u32 s28, s10, s2
	s_mov_b32 s23, 0x20000
	s_addc_u32 s2, s11, s3
	s_and_b32 s29, s2, 0xffff
	s_mov_b32 s30, s22
	s_mov_b32 s31, s23
	buffer_load_dwordx4 v[6:9], v1, s[28:31], 0 offen glc slc
	buffer_load_dwordx4 v[2:5], v1, s[20:23], 0 offen
.LBB511_28:
	s_or_b64 exec, exec, s[0:1]
	v_mov_b32_e32 v11, 0
	v_mov_b32_e32 v16, 0
	;; [unrolled: 1-line block ×7, first 2 shown]
	s_and_saveexec_b64 s[0:1], vcc
	s_cbranch_execz .LBB511_30
; %bb.29:
	s_waitcnt vmcnt(1)
	v_cvt_f32_f16_sdwa v11, v6 dst_sel:DWORD dst_unused:UNUSED_PAD src0_sel:WORD_1
	v_cvt_f32_f16_e32 v10, v6
	v_cvt_f32_f16_sdwa v17, v7 dst_sel:DWORD dst_unused:UNUSED_PAD src0_sel:WORD_1
	v_cvt_f32_f16_e32 v16, v7
	;; [unrolled: 2-line block ×4, first 2 shown]
.LBB511_30:
	s_or_b64 exec, exec, s[0:1]
	s_waitcnt vmcnt(1)
	v_mul_f32_e32 v6, v11, v11
	v_fmac_f32_e32 v6, v10, v10
	v_fmac_f32_e32 v6, v16, v16
	;; [unrolled: 1-line block ×7, first 2 shown]
	s_nop 1
	v_mov_b32_dpp v7, v6 quad_perm:[1,0,3,2] row_mask:0xf bank_mask:0xf
	v_add_f32_e32 v6, v6, v7
	s_nop 1
	v_mov_b32_dpp v7, v6 quad_perm:[2,3,0,1] row_mask:0xf bank_mask:0xf
	v_add_f32_e32 v6, v6, v7
	s_nop 1
	v_mov_b32_dpp v7, v6 row_half_mirror row_mask:0xf bank_mask:0xf
	v_add_f32_e32 v6, v6, v7
	s_nop 1
	v_mov_b32_dpp v7, v6 row_mirror row_mask:0xf bank_mask:0xf
	v_add_f32_e32 v6, v6, v7
	s_nop 1
	v_mov_b32_dpp v7, v6 row_bcast:15 row_mask:0xf bank_mask:0xf
	v_add_f32_e32 v6, v6, v7
	s_nop 1
	v_mov_b32_dpp v7, v6 row_bcast:31 row_mask:0xf bank_mask:0xf
	s_and_saveexec_b64 s[0:1], s[8:9]
	s_cbranch_execz .LBB511_32
; %bb.31:
	v_lshrrev_b32_e32 v0, 4, v0
	v_add_f32_e32 v6, v6, v7
	v_and_b32_e32 v0, 60, v0
	ds_write_b32 v0, v6
.LBB511_32:
	s_or_b64 exec, exec, s[0:1]
	s_waitcnt lgkmcnt(0)
	s_barrier
	ds_read_b32 v0, v18
	s_waitcnt lgkmcnt(0)
	s_nop 0
	v_mov_b32_dpp v6, v0 quad_perm:[1,0,3,2] row_mask:0xf bank_mask:0xf
	v_add_f32_e32 v0, v0, v6
	s_nop 1
	v_mov_b32_dpp v6, v0 quad_perm:[2,3,0,1] row_mask:0xf bank_mask:0xf
	s_and_saveexec_b64 s[0:1], vcc
	s_cbranch_execz .LBB511_17
; %bb.33:
	v_cvt_f32_u32_e32 v7, s16
	v_add_f32_e32 v0, v0, v6
	s_mov_b32 s23, 0x20000
	v_div_scale_f32 v6, s[0:1], v7, v7, v0
	v_rcp_f32_e32 v8, v6
	v_div_scale_f32 v9, vcc, v0, v7, v0
	s_mov_b32 s0, 0x800000
	v_fma_f32 v18, -v6, v8, 1.0
	v_fmac_f32_e32 v8, v18, v8
	v_mul_f32_e32 v18, v9, v8
	v_fma_f32 v19, -v6, v18, v9
	v_fmac_f32_e32 v18, v19, v8
	v_fma_f32 v6, -v6, v18, v9
	v_div_fmas_f32 v6, v6, v8, v18
	v_div_fixup_f32 v0, v6, v7, v0
	v_add_f32_e32 v0, s13, v0
	v_mul_f32_e32 v6, 0x4b800000, v0
	v_cmp_gt_f32_e32 vcc, s0, v0
	v_cndmask_b32_e32 v0, v0, v6, vcc
	v_rsq_f32_e32 v0, v0
	s_waitcnt vmcnt(0)
	v_cvt_f32_f16_sdwa v19, v5 dst_sel:DWORD dst_unused:UNUSED_PAD src0_sel:WORD_1
	v_cvt_f32_f16_e32 v18, v5
	s_mul_hi_i32 s1, s25, s6
	v_mul_f32_e32 v6, 0x45800000, v0
	v_cndmask_b32_e32 v6, v0, v6, vcc
	v_mov_b32_e32 v7, v6
	;;#ASMSTART
	v_pk_mul_f32 v[8:9], v[10:11], v[6:7]
	;;#ASMEND
	;;#ASMSTART
	v_pk_mul_f32 v[10:11], v[16:17], v[6:7]
	;;#ASMEND
	;; [unrolled: 3-line block ×4, first 2 shown]
	v_cvt_f32_f16_sdwa v13, v2 dst_sel:DWORD dst_unused:UNUSED_PAD src0_sel:WORD_1
	v_cvt_f32_f16_e32 v12, v2
	v_cvt_f32_f16_sdwa v17, v3 dst_sel:DWORD dst_unused:UNUSED_PAD src0_sel:WORD_1
	v_cvt_f32_f16_e32 v16, v3
	;; [unrolled: 2-line block ×3, first 2 shown]
	;;#ASMSTART
	v_pk_mul_f32 v[4:5], v[8:9], v[12:13]
	;;#ASMEND
	;;#ASMSTART
	v_pk_mul_f32 v[8:9], v[10:11], v[16:17]
	;;#ASMEND
	;; [unrolled: 3-line block ×4, first 2 shown]
	s_mul_i32 s0, s25, s6
	v_cvt_f16_f32_e32 v0, v4
	v_cvt_f16_f32_e32 v4, v5
	;; [unrolled: 1-line block ×8, first 2 shown]
	s_lshl_b64 s[0:1], s[0:1], 1
	s_add_u32 s20, s14, s0
	s_addc_u32 s0, s15, s1
	s_and_b32 s21, s0, 0xffff
	v_pack_b32_f16 v2, v0, v4
	v_pack_b32_f16 v3, v5, v8
	;; [unrolled: 1-line block ×4, first 2 shown]
	buffer_store_dwordx4 v[2:5], v1, s[20:23], 0 offen
	;;#ASMSTART
	s_nop 0
	;;#ASMEND
	s_endpgm
	.section	.rodata,"a",@progbits
	.p2align	6, 0x0
	.amdhsa_kernel _ZN5aiter35fused_qk_rmsnorm_group_quant_kernelIDF16_N4opus5fp4_tELi256ELi8ELi8ELb1ELb1ELb0ELb1ELb0ELb0EEEvPT0_PvPT_S7_S7_PKS6_S9_S9_S9_S9_ffiiiiiiiiiiiii
		.amdhsa_group_segment_fixed_size 32
		.amdhsa_private_segment_fixed_size 0
		.amdhsa_kernarg_size 400
		.amdhsa_user_sgpr_count 6
		.amdhsa_user_sgpr_private_segment_buffer 1
		.amdhsa_user_sgpr_dispatch_ptr 0
		.amdhsa_user_sgpr_queue_ptr 0
		.amdhsa_user_sgpr_kernarg_segment_ptr 1
		.amdhsa_user_sgpr_dispatch_id 0
		.amdhsa_user_sgpr_flat_scratch_init 0
		.amdhsa_user_sgpr_kernarg_preload_length 0
		.amdhsa_user_sgpr_kernarg_preload_offset 0
		.amdhsa_user_sgpr_private_segment_size 0
		.amdhsa_uses_dynamic_stack 0
		.amdhsa_system_sgpr_private_segment_wavefront_offset 0
		.amdhsa_system_sgpr_workgroup_id_x 1
		.amdhsa_system_sgpr_workgroup_id_y 1
		.amdhsa_system_sgpr_workgroup_id_z 0
		.amdhsa_system_sgpr_workgroup_info 0
		.amdhsa_system_vgpr_workitem_id 0
		.amdhsa_next_free_vgpr 27
		.amdhsa_next_free_sgpr 32
		.amdhsa_accum_offset 28
		.amdhsa_reserve_vcc 1
		.amdhsa_reserve_flat_scratch 0
		.amdhsa_float_round_mode_32 0
		.amdhsa_float_round_mode_16_64 0
		.amdhsa_float_denorm_mode_32 3
		.amdhsa_float_denorm_mode_16_64 3
		.amdhsa_dx10_clamp 1
		.amdhsa_ieee_mode 1
		.amdhsa_fp16_overflow 0
		.amdhsa_tg_split 0
		.amdhsa_exception_fp_ieee_invalid_op 0
		.amdhsa_exception_fp_denorm_src 0
		.amdhsa_exception_fp_ieee_div_zero 0
		.amdhsa_exception_fp_ieee_overflow 0
		.amdhsa_exception_fp_ieee_underflow 0
		.amdhsa_exception_fp_ieee_inexact 0
		.amdhsa_exception_int_div_zero 0
	.end_amdhsa_kernel
	.section	.text._ZN5aiter35fused_qk_rmsnorm_group_quant_kernelIDF16_N4opus5fp4_tELi256ELi8ELi8ELb1ELb1ELb0ELb1ELb0ELb0EEEvPT0_PvPT_S7_S7_PKS6_S9_S9_S9_S9_ffiiiiiiiiiiiii,"axG",@progbits,_ZN5aiter35fused_qk_rmsnorm_group_quant_kernelIDF16_N4opus5fp4_tELi256ELi8ELi8ELb1ELb1ELb0ELb1ELb0ELb0EEEvPT0_PvPT_S7_S7_PKS6_S9_S9_S9_S9_ffiiiiiiiiiiiii,comdat
.Lfunc_end511:
	.size	_ZN5aiter35fused_qk_rmsnorm_group_quant_kernelIDF16_N4opus5fp4_tELi256ELi8ELi8ELb1ELb1ELb0ELb1ELb0ELb0EEEvPT0_PvPT_S7_S7_PKS6_S9_S9_S9_S9_ffiiiiiiiiiiiii, .Lfunc_end511-_ZN5aiter35fused_qk_rmsnorm_group_quant_kernelIDF16_N4opus5fp4_tELi256ELi8ELi8ELb1ELb1ELb0ELb1ELb0ELb0EEEvPT0_PvPT_S7_S7_PKS6_S9_S9_S9_S9_ffiiiiiiiiiiiii
                                        ; -- End function
	.section	.AMDGPU.csdata,"",@progbits
; Kernel info:
; codeLenInByte = 2416
; NumSgprs: 36
; NumVgprs: 27
; NumAgprs: 0
; TotalNumVgprs: 27
; ScratchSize: 0
; MemoryBound: 0
; FloatMode: 240
; IeeeMode: 1
; LDSByteSize: 32 bytes/workgroup (compile time only)
; SGPRBlocks: 4
; VGPRBlocks: 3
; NumSGPRsForWavesPerEU: 36
; NumVGPRsForWavesPerEU: 27
; AccumOffset: 28
; Occupancy: 8
; WaveLimiterHint : 0
; COMPUTE_PGM_RSRC2:SCRATCH_EN: 0
; COMPUTE_PGM_RSRC2:USER_SGPR: 6
; COMPUTE_PGM_RSRC2:TRAP_HANDLER: 0
; COMPUTE_PGM_RSRC2:TGID_X_EN: 1
; COMPUTE_PGM_RSRC2:TGID_Y_EN: 1
; COMPUTE_PGM_RSRC2:TGID_Z_EN: 0
; COMPUTE_PGM_RSRC2:TIDIG_COMP_CNT: 0
; COMPUTE_PGM_RSRC3_GFX90A:ACCUM_OFFSET: 6
; COMPUTE_PGM_RSRC3_GFX90A:TG_SPLIT: 0
	.section	.text._ZN5aiter35fused_qk_rmsnorm_group_quant_kernelItN4opus5fp4_tELi256ELi8ELi8ELb1ELb1ELb0ELb1ELb0ELb0EEEvPT0_PvPT_S7_S7_PKS6_S9_S9_S9_S9_ffiiiiiiiiiiiii,"axG",@progbits,_ZN5aiter35fused_qk_rmsnorm_group_quant_kernelItN4opus5fp4_tELi256ELi8ELi8ELb1ELb1ELb0ELb1ELb0ELb0EEEvPT0_PvPT_S7_S7_PKS6_S9_S9_S9_S9_ffiiiiiiiiiiiii,comdat
	.protected	_ZN5aiter35fused_qk_rmsnorm_group_quant_kernelItN4opus5fp4_tELi256ELi8ELi8ELb1ELb1ELb0ELb1ELb0ELb0EEEvPT0_PvPT_S7_S7_PKS6_S9_S9_S9_S9_ffiiiiiiiiiiiii ; -- Begin function _ZN5aiter35fused_qk_rmsnorm_group_quant_kernelItN4opus5fp4_tELi256ELi8ELi8ELb1ELb1ELb0ELb1ELb0ELb0EEEvPT0_PvPT_S7_S7_PKS6_S9_S9_S9_S9_ffiiiiiiiiiiiii
	.globl	_ZN5aiter35fused_qk_rmsnorm_group_quant_kernelItN4opus5fp4_tELi256ELi8ELi8ELb1ELb1ELb0ELb1ELb0ELb0EEEvPT0_PvPT_S7_S7_PKS6_S9_S9_S9_S9_ffiiiiiiiiiiiii
	.p2align	8
	.type	_ZN5aiter35fused_qk_rmsnorm_group_quant_kernelItN4opus5fp4_tELi256ELi8ELi8ELb1ELb1ELb0ELb1ELb0ELb0EEEvPT0_PvPT_S7_S7_PKS6_S9_S9_S9_S9_ffiiiiiiiiiiiii,@function
_ZN5aiter35fused_qk_rmsnorm_group_quant_kernelItN4opus5fp4_tELi256ELi8ELi8ELb1ELb1ELb0ELb1ELb0ELb0EEEvPT0_PvPT_S7_S7_PKS6_S9_S9_S9_S9_ffiiiiiiiiiiiii: ; @_ZN5aiter35fused_qk_rmsnorm_group_quant_kernelItN4opus5fp4_tELi256ELi8ELi8ELb1ELb1ELb0ELb1ELb0ELb0EEEvPT0_PvPT_S7_S7_PKS6_S9_S9_S9_S9_ffiiiiiiiiiiiii
; %bb.0:
	s_load_dwordx8 s[12:19], s[4:5], 0x50
	s_waitcnt lgkmcnt(0)
	s_cmp_ge_i32 s6, s14
	s_cbranch_scc1 .LBB512_17
; %bb.1:
	s_cmp_lg_u32 s7, 0
	s_cselect_b64 s[22:23], -1, 0
	s_cmp_eq_u32 s7, 0
	s_cselect_b64 s[8:9], -1, 0
	s_and_b64 s[0:1], s[8:9], exec
	s_cselect_b32 s7, s15, s16
	s_load_dwordx2 s[10:11], s[4:5], 0x30
	s_load_dwordx2 s[20:21], s[4:5], 0x48
	s_add_i32 s0, s7, 1
	s_lshr_b32 s1, s0, 31
	s_add_i32 s0, s0, s1
	s_lshl_b32 s0, s0, 1
	v_lshlrev_b32_e32 v1, 3, v0
	s_and_b32 s30, s0, -4
	v_cmp_gt_i32_e64 s[0:1], s7, v1
	v_mov_b32_e32 v10, 0
	v_mov_b32_e32 v11, 0
	;; [unrolled: 1-line block ×8, first 2 shown]
	s_and_saveexec_b64 s[2:3], s[0:1]
	s_cbranch_execz .LBB512_3
; %bb.2:
	s_load_dwordx2 s[14:15], s[4:5], 0x28
	s_load_dwordx2 s[26:27], s[4:5], 0x40
	s_and_b64 s[24:25], s[8:9], exec
	s_cselect_b32 s17, s17, s18
	s_mov_b32 s31, 0x20000
	s_waitcnt lgkmcnt(0)
	s_cselect_b32 s25, s15, s11
	s_cselect_b32 s24, s14, s10
	s_mul_hi_i32 s15, s17, s6
	s_mul_i32 s14, s17, s6
	s_lshl_b64 s[14:15], s[14:15], 1
	s_add_u32 s24, s24, s14
	s_addc_u32 s17, s25, s15
	s_and_b64 s[14:15], s[8:9], exec
	s_cselect_b32 s28, s26, s20
	s_cselect_b32 s14, s27, s21
	v_lshlrev_b32_e32 v2, 4, v0
	s_and_b32 s25, s17, 0xffff
	s_mov_b32 s26, s30
	s_mov_b32 s27, s31
	s_and_b32 s29, s14, 0xffff
	buffer_load_dwordx4 v[14:17], v2, s[24:27], 0 offen glc slc
	buffer_load_dwordx4 v[10:13], v2, s[28:31], 0 offen
.LBB512_3:
	s_or_b64 exec, exec, s[2:3]
	s_load_dwordx4 s[24:27], s[4:5], 0x7c
	s_and_b64 vcc, exec, s[22:23]
	s_cbranch_vccz .LBB512_7
; %bb.4:
	s_mov_b32 s36, 0
	s_mov_b32 s37, s36
	;; [unrolled: 1-line block ×8, first 2 shown]
	v_pk_mov_b32 v[2:3], s[36:37], s[36:37] op_sel:[0,1]
	v_pk_mov_b32 v[4:5], s[38:39], s[38:39] op_sel:[0,1]
	;; [unrolled: 1-line block ×4, first 2 shown]
	s_and_saveexec_b64 s[2:3], s[0:1]
	s_cbranch_execz .LBB512_6
; %bb.5:
	s_waitcnt vmcnt(1)
	v_cvt_f32_u32_sdwa v3, v14 dst_sel:DWORD dst_unused:UNUSED_PAD src0_sel:WORD_1
	v_cvt_f32_u32_sdwa v2, v14 dst_sel:DWORD dst_unused:UNUSED_PAD src0_sel:WORD_0
	v_cvt_f32_u32_sdwa v5, v15 dst_sel:DWORD dst_unused:UNUSED_PAD src0_sel:WORD_1
	v_cvt_f32_u32_sdwa v4, v15 dst_sel:DWORD dst_unused:UNUSED_PAD src0_sel:WORD_0
	;; [unrolled: 2-line block ×4, first 2 shown]
.LBB512_6:
	s_or_b64 exec, exec, s[2:3]
	s_cbranch_execz .LBB512_8
	s_branch .LBB512_11
.LBB512_7:
                                        ; implicit-def: $vgpr2_vgpr3_vgpr4_vgpr5_vgpr6_vgpr7_vgpr8_vgpr9
.LBB512_8:
	s_mov_b32 s36, 0
	s_mov_b32 s37, s36
	;; [unrolled: 1-line block ×8, first 2 shown]
	v_pk_mov_b32 v[2:3], s[36:37], s[36:37] op_sel:[0,1]
	v_pk_mov_b32 v[4:5], s[38:39], s[38:39] op_sel:[0,1]
	;; [unrolled: 1-line block ×4, first 2 shown]
	s_and_saveexec_b64 s[2:3], s[0:1]
	s_cbranch_execz .LBB512_10
; %bb.9:
	s_load_dwordx2 s[14:15], s[4:5], 0x38
	s_mul_hi_i32 s29, s19, s6
	s_mul_i32 s28, s19, s6
	s_lshl_b64 s[28:29], s[28:29], 1
	s_mov_b32 s31, 0x20000
	s_waitcnt lgkmcnt(0)
	s_add_u32 s28, s14, s28
	s_addc_u32 s14, s15, s29
	s_and_b32 s29, s14, 0xffff
	v_lshlrev_b32_e32 v26, 4, v0
	buffer_load_dwordx4 v[2:5], v26, s[28:31], 0 offen glc slc
	s_load_dwordx2 s[14:15], s[4:5], 0x20
	s_waitcnt vmcnt(2)
	v_cvt_f32_u32_sdwa v7, v14 dst_sel:DWORD dst_unused:UNUSED_PAD src0_sel:WORD_1
	v_cvt_f32_u32_sdwa v6, v14 dst_sel:DWORD dst_unused:UNUSED_PAD src0_sel:WORD_0
	v_cvt_f32_u32_sdwa v9, v15 dst_sel:DWORD dst_unused:UNUSED_PAD src0_sel:WORD_1
	v_cvt_f32_u32_sdwa v8, v15 dst_sel:DWORD dst_unused:UNUSED_PAD src0_sel:WORD_0
	;; [unrolled: 2-line block ×4, first 2 shown]
	s_mul_hi_i32 s27, s26, s6
	s_mul_i32 s26, s26, s6
	s_lshl_b64 s[26:27], s[26:27], 1
	s_waitcnt lgkmcnt(0)
	s_add_u32 s28, s14, s26
	s_mov_b32 s17, 0x7060302
	s_addc_u32 s14, s15, s27
	s_and_b32 s29, s14, 0xffff
	s_waitcnt vmcnt(0)
	v_cvt_f32_u32_sdwa v17, v2 dst_sel:DWORD dst_unused:UNUSED_PAD src0_sel:WORD_1
	v_cvt_f32_u32_sdwa v16, v2 dst_sel:DWORD dst_unused:UNUSED_PAD src0_sel:WORD_0
	v_cvt_f32_u32_sdwa v21, v3 dst_sel:DWORD dst_unused:UNUSED_PAD src0_sel:WORD_1
	v_cvt_f32_u32_sdwa v20, v3 dst_sel:DWORD dst_unused:UNUSED_PAD src0_sel:WORD_0
	;; [unrolled: 2-line block ×4, first 2 shown]
	v_pk_add_f32 v[2:3], v[6:7], v[16:17]
	v_pk_add_f32 v[4:5], v[8:9], v[20:21]
	v_pk_add_f32 v[6:7], v[14:15], v[22:23]
	v_pk_add_f32 v[8:9], v[18:19], v[24:25]
	v_perm_b32 v17, v9, v8, s17
	v_perm_b32 v16, v7, v6, s17
	;; [unrolled: 1-line block ×4, first 2 shown]
	buffer_store_dwordx4 v[14:17], v26, s[28:31], 0 offen glc slc
	;;#ASMSTART
	s_nop 0
	;;#ASMEND
.LBB512_10:
	s_or_b64 exec, exec, s[2:3]
.LBB512_11:
	s_waitcnt vmcnt(1)
	v_mul_f32_e32 v14, v3, v3
	v_fmac_f32_e32 v14, v2, v2
	v_fmac_f32_e32 v14, v4, v4
	;; [unrolled: 1-line block ×7, first 2 shown]
	v_and_b32_e32 v16, 63, v0
	v_cmp_eq_u32_e64 s[2:3], 63, v16
	v_mov_b32_dpp v15, v14 quad_perm:[1,0,3,2] row_mask:0xf bank_mask:0xf
	v_add_f32_e32 v14, v14, v15
	s_nop 1
	v_mov_b32_dpp v15, v14 quad_perm:[2,3,0,1] row_mask:0xf bank_mask:0xf
	v_add_f32_e32 v14, v14, v15
	s_nop 1
	v_mov_b32_dpp v15, v14 row_half_mirror row_mask:0xf bank_mask:0xf
	v_add_f32_e32 v14, v14, v15
	s_nop 1
	v_mov_b32_dpp v15, v14 row_mirror row_mask:0xf bank_mask:0xf
	v_add_f32_e32 v14, v14, v15
	s_nop 1
	v_mov_b32_dpp v15, v14 row_bcast:15 row_mask:0xf bank_mask:0xf
	v_add_f32_e32 v14, v14, v15
	s_nop 1
	v_mov_b32_dpp v15, v14 row_bcast:31 row_mask:0xf bank_mask:0xf
	s_and_saveexec_b64 s[14:15], s[2:3]
	s_cbranch_execz .LBB512_13
; %bb.12:
	v_add_f32_e32 v14, v14, v15
	v_lshrrev_b32_e32 v15, 4, v0
	v_and_b32_e32 v15, 60, v15
	ds_write_b32 v15, v14 offset:16
.LBB512_13:
	s_or_b64 exec, exec, s[14:15]
	v_and_b32_e32 v14, 3, v0
	v_lshlrev_b32_e32 v14, 2, v14
	s_waitcnt lgkmcnt(0)
	s_barrier
	ds_read_b32 v15, v14 offset:16
	s_load_dwordx2 s[14:15], s[4:5], 0x18
	s_waitcnt lgkmcnt(0)
	v_mov_b32_dpp v16, v15 quad_perm:[1,0,3,2] row_mask:0xf bank_mask:0xf
	v_add_f32_e32 v15, v15, v16
	s_nop 1
	v_mov_b32_dpp v16, v15 quad_perm:[2,3,0,1] row_mask:0xf bank_mask:0xf
	s_and_saveexec_b64 s[26:27], s[0:1]
	s_cbranch_execnz .LBB512_18
; %bb.14:
	s_or_b64 exec, exec, s[26:27]
	s_mov_b64 s[8:9], -1
	s_and_b64 vcc, exec, s[22:23]
	s_cbranch_vccnz .LBB512_19
.LBB512_15:
	s_andn2_b64 vcc, exec, s[8:9]
	s_cbranch_vccz .LBB512_22
.LBB512_16:
	s_cmp_lt_i32 s16, 1
	s_cbranch_scc0 .LBB512_25
.LBB512_17:
	s_endpgm
.LBB512_18:
	v_cvt_f32_u32_e32 v17, s7
	v_add_f32_e32 v15, v15, v16
	v_mov_b32_e32 v19, s13
	v_mov_b32_e32 v20, s12
	v_div_scale_f32 v16, s[28:29], v17, v17, v15
	v_rcp_f32_e32 v18, v16
	v_cndmask_b32_e64 v19, v19, v20, s[8:9]
	s_mov_b32 s7, 0x800000
	v_fma_f32 v20, -v16, v18, 1.0
	v_fmac_f32_e32 v18, v20, v18
	v_div_scale_f32 v20, vcc, v15, v17, v15
	v_mul_f32_e32 v21, v20, v18
	v_fma_f32 v22, -v16, v21, v20
	v_fmac_f32_e32 v21, v22, v18
	v_fma_f32 v16, -v16, v21, v20
	v_div_fmas_f32 v16, v16, v18, v21
	v_div_fixup_f32 v15, v16, v17, v15
	v_add_f32_e32 v15, v19, v15
	v_mul_f32_e32 v16, 0x4b800000, v15
	v_cmp_gt_f32_e32 vcc, s7, v15
	v_cndmask_b32_e32 v15, v15, v16, vcc
	v_rsq_f32_e32 v15, v15
	s_waitcnt vmcnt(0)
	v_cvt_f32_u32_sdwa v19, v11 dst_sel:DWORD dst_unused:UNUSED_PAD src0_sel:WORD_1
	v_cvt_f32_u32_sdwa v18, v11 dst_sel:DWORD dst_unused:UNUSED_PAD src0_sel:WORD_0
	v_cvt_f32_u32_sdwa v11, v12 dst_sel:DWORD dst_unused:UNUSED_PAD src0_sel:WORD_1
	v_mul_f32_e32 v16, 0x45800000, v15
	v_cndmask_b32_e32 v16, v15, v16, vcc
	v_mov_b32_e32 v17, v16
	;;#ASMSTART
	v_pk_mul_f32 v[2:3], v[2:3], v[16:17]
	;;#ASMEND
	;;#ASMSTART
	v_pk_mul_f32 v[4:5], v[4:5], v[16:17]
	;;#ASMEND
	;; [unrolled: 3-line block ×4, first 2 shown]
	v_cvt_f32_u32_sdwa v17, v10 dst_sel:DWORD dst_unused:UNUSED_PAD src0_sel:WORD_1
	v_cvt_f32_u32_sdwa v16, v10 dst_sel:DWORD dst_unused:UNUSED_PAD src0_sel:WORD_0
	v_cvt_f32_u32_sdwa v10, v12 dst_sel:DWORD dst_unused:UNUSED_PAD src0_sel:WORD_0
	v_cvt_f32_u32_sdwa v21, v13 dst_sel:DWORD dst_unused:UNUSED_PAD src0_sel:WORD_1
	v_cvt_f32_u32_sdwa v20, v13 dst_sel:DWORD dst_unused:UNUSED_PAD src0_sel:WORD_0
	;;#ASMSTART
	v_pk_mul_f32 v[2:3], v[2:3], v[16:17]
	;;#ASMEND
	;;#ASMSTART
	v_pk_mul_f32 v[4:5], v[4:5], v[18:19]
	;;#ASMEND
	;; [unrolled: 3-line block ×4, first 2 shown]
	s_or_b64 exec, exec, s[26:27]
	s_mov_b64 s[8:9], -1
	s_and_b64 vcc, exec, s[22:23]
	s_cbranch_vccz .LBB512_15
.LBB512_19:
	s_and_saveexec_b64 s[8:9], s[0:1]
	s_cbranch_execz .LBB512_21
; %bb.20:
	s_mul_hi_i32 s23, s25, s6
	s_mul_i32 s22, s25, s6
	s_lshl_b64 s[22:23], s[22:23], 1
	s_add_u32 s28, s14, s22
	s_addc_u32 s7, s15, s23
	s_and_b32 s29, s7, 0xffff
	s_mov_b32 s7, 0x7060302
	s_mov_b32 s31, 0x20000
	s_waitcnt vmcnt(0)
	v_perm_b32 v10, v3, v2, s7
	v_perm_b32 v11, v5, v4, s7
	;; [unrolled: 1-line block ×4, first 2 shown]
	v_lshlrev_b32_e32 v15, 4, v0
	buffer_store_dwordx4 v[10:13], v15, s[28:31], 0 offen
	;;#ASMSTART
	s_nop 0
	;;#ASMEND
.LBB512_21:
	s_or_b64 exec, exec, s[8:9]
	s_cbranch_execnz .LBB512_16
.LBB512_22:
	s_and_saveexec_b64 s[8:9], s[0:1]
	s_cbranch_execz .LBB512_24
; %bb.23:
	s_load_dwordx2 s[0:1], s[4:5], 0x10
	s_mul_hi_i32 s23, s24, s6
	s_mul_i32 s22, s24, s6
	s_lshl_b64 s[22:23], s[22:23], 1
	s_mov_b32 s31, 0x20000
	s_waitcnt lgkmcnt(0)
	s_add_u32 s28, s0, s22
	s_addc_u32 s0, s1, s23
	s_and_b32 s29, s0, 0xffff
	s_mov_b32 s0, 0x7060302
	v_perm_b32 v2, v3, v2, s0
	v_perm_b32 v3, v5, v4, s0
	;; [unrolled: 1-line block ×4, first 2 shown]
	v_lshlrev_b32_e32 v6, 4, v0
	buffer_store_dwordx4 v[2:5], v6, s[28:31], 0 offen
	;;#ASMSTART
	s_nop 0
	;;#ASMEND
.LBB512_24:
	s_or_b64 exec, exec, s[8:9]
	s_cmp_lt_i32 s16, 1
	s_cbranch_scc1 .LBB512_17
.LBB512_25:
	s_load_dword s0, s[4:5], 0x94
	s_waitcnt lgkmcnt(0)
	s_cmp_lg_u32 s0, 1
	s_cbranch_scc1 .LBB512_17
; %bb.26:
	s_lshl_b32 s0, s16, 1
	s_add_i32 s0, s0, 2
	v_cmp_gt_u32_e32 vcc, s16, v1
	s_and_b32 s22, s0, -4
	v_mov_b32_e32 v6, 0
	v_lshlrev_b32_e32 v1, 4, v0
	v_mov_b32_e32 v7, 0
	v_mov_b32_e32 v8, 0
	;; [unrolled: 1-line block ×7, first 2 shown]
	s_barrier
	s_and_saveexec_b64 s[0:1], vcc
	s_cbranch_execz .LBB512_28
; %bb.27:
	s_mul_hi_i32 s5, s18, s6
	s_mul_i32 s4, s18, s6
	s_and_b32 s21, s21, 0xffff
	s_lshl_b64 s[4:5], s[4:5], 1
	s_add_u32 s8, s10, s4
	s_mov_b32 s23, 0x20000
	s_addc_u32 s4, s11, s5
	s_and_b32 s9, s4, 0xffff
	s_mov_b32 s10, s22
	s_mov_b32 s11, s23
	buffer_load_dwordx4 v[6:9], v1, s[8:11], 0 offen glc slc
	buffer_load_dwordx4 v[2:5], v1, s[20:23], 0 offen
.LBB512_28:
	s_or_b64 exec, exec, s[0:1]
	s_waitcnt vmcnt(0)
	v_cvt_f32_u32_sdwa v13, v6 dst_sel:DWORD dst_unused:UNUSED_PAD src0_sel:WORD_1
	v_cvt_f32_u32_sdwa v12, v6 dst_sel:DWORD dst_unused:UNUSED_PAD src0_sel:WORD_0
	v_cvt_f32_u32_sdwa v6, v9 dst_sel:DWORD dst_unused:UNUSED_PAD src0_sel:WORD_1
	v_cvt_f32_u32_sdwa v9, v9 dst_sel:DWORD dst_unused:UNUSED_PAD src0_sel:WORD_0
	;; [unrolled: 2-line block ×4, first 2 shown]
	v_cndmask_b32_e32 v13, 0, v13, vcc
	v_cndmask_b32_e32 v7, 0, v6, vcc
	;; [unrolled: 1-line block ×5, first 2 shown]
	v_mul_f32_e32 v15, v13, v13
	v_cndmask_b32_e32 v10, 0, v10, vcc
	v_fmac_f32_e32 v15, v12, v12
	v_cndmask_b32_e32 v11, 0, v11, vcc
	v_fmac_f32_e32 v15, v10, v10
	;; [unrolled: 2-line block ×3, first 2 shown]
	v_fmac_f32_e32 v15, v8, v8
	v_fmac_f32_e32 v15, v9, v9
	;; [unrolled: 1-line block ×4, first 2 shown]
	s_nop 1
	v_mov_b32_dpp v16, v15 quad_perm:[1,0,3,2] row_mask:0xf bank_mask:0xf
	v_add_f32_e32 v15, v15, v16
	s_nop 1
	v_mov_b32_dpp v16, v15 quad_perm:[2,3,0,1] row_mask:0xf bank_mask:0xf
	v_add_f32_e32 v15, v15, v16
	s_nop 1
	v_mov_b32_dpp v16, v15 row_half_mirror row_mask:0xf bank_mask:0xf
	v_add_f32_e32 v15, v15, v16
	s_nop 1
	v_mov_b32_dpp v16, v15 row_mirror row_mask:0xf bank_mask:0xf
	v_add_f32_e32 v15, v15, v16
	s_nop 1
	v_mov_b32_dpp v16, v15 row_bcast:15 row_mask:0xf bank_mask:0xf
	v_add_f32_e32 v15, v15, v16
	s_nop 1
	v_mov_b32_dpp v16, v15 row_bcast:31 row_mask:0xf bank_mask:0xf
	s_and_saveexec_b64 s[0:1], s[2:3]
	s_cbranch_execz .LBB512_30
; %bb.29:
	v_lshrrev_b32_e32 v0, 4, v0
	v_add_f32_e32 v15, v15, v16
	v_and_b32_e32 v0, 60, v0
	ds_write_b32 v0, v15
.LBB512_30:
	s_or_b64 exec, exec, s[0:1]
	s_waitcnt lgkmcnt(0)
	s_barrier
	ds_read_b32 v0, v14
	s_waitcnt lgkmcnt(0)
	s_nop 0
	v_mov_b32_dpp v14, v0 quad_perm:[1,0,3,2] row_mask:0xf bank_mask:0xf
	v_add_f32_e32 v0, v0, v14
	s_nop 1
	v_mov_b32_dpp v14, v0 quad_perm:[2,3,0,1] row_mask:0xf bank_mask:0xf
	s_and_saveexec_b64 s[0:1], vcc
	s_cbranch_execz .LBB512_17
; %bb.31:
	v_cvt_f32_u32_e32 v15, s16
	v_add_f32_e32 v0, v0, v14
	s_mov_b32 s23, 0x20000
	v_div_scale_f32 v14, s[0:1], v15, v15, v0
	v_rcp_f32_e32 v16, v14
	v_div_scale_f32 v17, vcc, v0, v15, v0
	s_mov_b32 s0, 0x800000
	v_fma_f32 v18, -v14, v16, 1.0
	v_fmac_f32_e32 v16, v18, v16
	v_mul_f32_e32 v18, v17, v16
	v_fma_f32 v19, -v14, v18, v17
	v_fmac_f32_e32 v18, v19, v16
	v_fma_f32 v14, -v14, v18, v17
	v_div_fmas_f32 v14, v14, v16, v18
	v_div_fixup_f32 v0, v14, v15, v0
	v_add_f32_e32 v0, s13, v0
	v_mul_f32_e32 v14, 0x4b800000, v0
	v_cmp_gt_f32_e32 vcc, s0, v0
	v_cndmask_b32_e32 v0, v0, v14, vcc
	v_rsq_f32_e32 v0, v0
	s_mul_hi_i32 s1, s25, s6
	s_mul_i32 s0, s25, s6
	s_lshl_b64 s[0:1], s[0:1], 1
	v_mul_f32_e32 v14, 0x45800000, v0
	v_cndmask_b32_e32 v14, v0, v14, vcc
	s_add_u32 s20, s14, s0
	v_mov_b32_e32 v15, v14
	s_addc_u32 s0, s15, s1
	;;#ASMSTART
	v_pk_mul_f32 v[12:13], v[12:13], v[14:15]
	;;#ASMEND
	;;#ASMSTART
	v_pk_mul_f32 v[10:11], v[10:11], v[14:15]
	;;#ASMEND
	;; [unrolled: 3-line block ×4, first 2 shown]
	v_cvt_f32_u32_sdwa v15, v2 dst_sel:DWORD dst_unused:UNUSED_PAD src0_sel:WORD_1
	v_cvt_f32_u32_sdwa v14, v2 dst_sel:DWORD dst_unused:UNUSED_PAD src0_sel:WORD_0
	v_cvt_f32_u32_sdwa v17, v3 dst_sel:DWORD dst_unused:UNUSED_PAD src0_sel:WORD_1
	v_cvt_f32_u32_sdwa v16, v3 dst_sel:DWORD dst_unused:UNUSED_PAD src0_sel:WORD_0
	;; [unrolled: 2-line block ×4, first 2 shown]
	;;#ASMSTART
	v_pk_mul_f32 v[4:5], v[12:13], v[14:15]
	;;#ASMEND
	s_and_b32 s21, s0, 0xffff
	s_mov_b32 s0, 0x7060302
	;;#ASMSTART
	v_pk_mul_f32 v[10:11], v[10:11], v[16:17]
	;;#ASMEND
	;;#ASMSTART
	v_pk_mul_f32 v[8:9], v[8:9], v[2:3]
	;;#ASMEND
	;; [unrolled: 3-line block ×3, first 2 shown]
	v_perm_b32 v2, v5, v4, s0
	v_perm_b32 v3, v11, v10, s0
	;; [unrolled: 1-line block ×4, first 2 shown]
	buffer_store_dwordx4 v[2:5], v1, s[20:23], 0 offen
	;;#ASMSTART
	s_nop 0
	;;#ASMEND
	s_endpgm
	.section	.rodata,"a",@progbits
	.p2align	6, 0x0
	.amdhsa_kernel _ZN5aiter35fused_qk_rmsnorm_group_quant_kernelItN4opus5fp4_tELi256ELi8ELi8ELb1ELb1ELb0ELb1ELb0ELb0EEEvPT0_PvPT_S7_S7_PKS6_S9_S9_S9_S9_ffiiiiiiiiiiiii
		.amdhsa_group_segment_fixed_size 32
		.amdhsa_private_segment_fixed_size 0
		.amdhsa_kernarg_size 400
		.amdhsa_user_sgpr_count 6
		.amdhsa_user_sgpr_private_segment_buffer 1
		.amdhsa_user_sgpr_dispatch_ptr 0
		.amdhsa_user_sgpr_queue_ptr 0
		.amdhsa_user_sgpr_kernarg_segment_ptr 1
		.amdhsa_user_sgpr_dispatch_id 0
		.amdhsa_user_sgpr_flat_scratch_init 0
		.amdhsa_user_sgpr_kernarg_preload_length 0
		.amdhsa_user_sgpr_kernarg_preload_offset 0
		.amdhsa_user_sgpr_private_segment_size 0
		.amdhsa_uses_dynamic_stack 0
		.amdhsa_system_sgpr_private_segment_wavefront_offset 0
		.amdhsa_system_sgpr_workgroup_id_x 1
		.amdhsa_system_sgpr_workgroup_id_y 1
		.amdhsa_system_sgpr_workgroup_id_z 0
		.amdhsa_system_sgpr_workgroup_info 0
		.amdhsa_system_vgpr_workitem_id 0
		.amdhsa_next_free_vgpr 27
		.amdhsa_next_free_sgpr 44
		.amdhsa_accum_offset 28
		.amdhsa_reserve_vcc 1
		.amdhsa_reserve_flat_scratch 0
		.amdhsa_float_round_mode_32 0
		.amdhsa_float_round_mode_16_64 0
		.amdhsa_float_denorm_mode_32 3
		.amdhsa_float_denorm_mode_16_64 3
		.amdhsa_dx10_clamp 1
		.amdhsa_ieee_mode 1
		.amdhsa_fp16_overflow 0
		.amdhsa_tg_split 0
		.amdhsa_exception_fp_ieee_invalid_op 0
		.amdhsa_exception_fp_denorm_src 0
		.amdhsa_exception_fp_ieee_div_zero 0
		.amdhsa_exception_fp_ieee_overflow 0
		.amdhsa_exception_fp_ieee_underflow 0
		.amdhsa_exception_fp_ieee_inexact 0
		.amdhsa_exception_int_div_zero 0
	.end_amdhsa_kernel
	.section	.text._ZN5aiter35fused_qk_rmsnorm_group_quant_kernelItN4opus5fp4_tELi256ELi8ELi8ELb1ELb1ELb0ELb1ELb0ELb0EEEvPT0_PvPT_S7_S7_PKS6_S9_S9_S9_S9_ffiiiiiiiiiiiii,"axG",@progbits,_ZN5aiter35fused_qk_rmsnorm_group_quant_kernelItN4opus5fp4_tELi256ELi8ELi8ELb1ELb1ELb0ELb1ELb0ELb0EEEvPT0_PvPT_S7_S7_PKS6_S9_S9_S9_S9_ffiiiiiiiiiiiii,comdat
.Lfunc_end512:
	.size	_ZN5aiter35fused_qk_rmsnorm_group_quant_kernelItN4opus5fp4_tELi256ELi8ELi8ELb1ELb1ELb0ELb1ELb0ELb0EEEvPT0_PvPT_S7_S7_PKS6_S9_S9_S9_S9_ffiiiiiiiiiiiii, .Lfunc_end512-_ZN5aiter35fused_qk_rmsnorm_group_quant_kernelItN4opus5fp4_tELi256ELi8ELi8ELb1ELb1ELb0ELb1ELb0ELb0EEEvPT0_PvPT_S7_S7_PKS6_S9_S9_S9_S9_ffiiiiiiiiiiiii
                                        ; -- End function
	.section	.AMDGPU.csdata,"",@progbits
; Kernel info:
; codeLenInByte = 2452
; NumSgprs: 48
; NumVgprs: 27
; NumAgprs: 0
; TotalNumVgprs: 27
; ScratchSize: 0
; MemoryBound: 0
; FloatMode: 240
; IeeeMode: 1
; LDSByteSize: 32 bytes/workgroup (compile time only)
; SGPRBlocks: 5
; VGPRBlocks: 3
; NumSGPRsForWavesPerEU: 48
; NumVGPRsForWavesPerEU: 27
; AccumOffset: 28
; Occupancy: 8
; WaveLimiterHint : 0
; COMPUTE_PGM_RSRC2:SCRATCH_EN: 0
; COMPUTE_PGM_RSRC2:USER_SGPR: 6
; COMPUTE_PGM_RSRC2:TRAP_HANDLER: 0
; COMPUTE_PGM_RSRC2:TGID_X_EN: 1
; COMPUTE_PGM_RSRC2:TGID_Y_EN: 1
; COMPUTE_PGM_RSRC2:TGID_Z_EN: 0
; COMPUTE_PGM_RSRC2:TIDIG_COMP_CNT: 0
; COMPUTE_PGM_RSRC3_GFX90A:ACCUM_OFFSET: 6
; COMPUTE_PGM_RSRC3_GFX90A:TG_SPLIT: 0
	.section	.text._ZN5aiter35fused_qk_rmsnorm_group_quant_kernelIDF16_DB8_Li256ELi8ELi8ELb0ELb1ELb1ELb1ELb0ELb0EEEvPT0_PvPT_S6_S6_PKS5_S8_S8_S8_S8_ffiiiiiiiiiiiii,"axG",@progbits,_ZN5aiter35fused_qk_rmsnorm_group_quant_kernelIDF16_DB8_Li256ELi8ELi8ELb0ELb1ELb1ELb1ELb0ELb0EEEvPT0_PvPT_S6_S6_PKS5_S8_S8_S8_S8_ffiiiiiiiiiiiii,comdat
	.protected	_ZN5aiter35fused_qk_rmsnorm_group_quant_kernelIDF16_DB8_Li256ELi8ELi8ELb0ELb1ELb1ELb1ELb0ELb0EEEvPT0_PvPT_S6_S6_PKS5_S8_S8_S8_S8_ffiiiiiiiiiiiii ; -- Begin function _ZN5aiter35fused_qk_rmsnorm_group_quant_kernelIDF16_DB8_Li256ELi8ELi8ELb0ELb1ELb1ELb1ELb0ELb0EEEvPT0_PvPT_S6_S6_PKS5_S8_S8_S8_S8_ffiiiiiiiiiiiii
	.globl	_ZN5aiter35fused_qk_rmsnorm_group_quant_kernelIDF16_DB8_Li256ELi8ELi8ELb0ELb1ELb1ELb1ELb0ELb0EEEvPT0_PvPT_S6_S6_PKS5_S8_S8_S8_S8_ffiiiiiiiiiiiii
	.p2align	8
	.type	_ZN5aiter35fused_qk_rmsnorm_group_quant_kernelIDF16_DB8_Li256ELi8ELi8ELb0ELb1ELb1ELb1ELb0ELb0EEEvPT0_PvPT_S6_S6_PKS5_S8_S8_S8_S8_ffiiiiiiiiiiiii,@function
_ZN5aiter35fused_qk_rmsnorm_group_quant_kernelIDF16_DB8_Li256ELi8ELi8ELb0ELb1ELb1ELb1ELb0ELb0EEEvPT0_PvPT_S6_S6_PKS5_S8_S8_S8_S8_ffiiiiiiiiiiiii: ; @_ZN5aiter35fused_qk_rmsnorm_group_quant_kernelIDF16_DB8_Li256ELi8ELi8ELb0ELb1ELb1ELb1ELb0ELb0EEEvPT0_PvPT_S6_S6_PKS5_S8_S8_S8_S8_ffiiiiiiiiiiiii
; %bb.0:
	s_load_dwordx4 s[12:15], s[4:5], 0x50
	s_waitcnt lgkmcnt(0)
	s_cmp_ge_i32 s6, s14
	s_cbranch_scc1 .LBB513_12
; %bb.1:
	s_load_dwordx2 s[24:25], s[4:5], 0x30
	s_load_dwordx2 s[8:9], s[4:5], 0x48
	s_load_dwordx4 s[16:19], s[4:5], 0x60
	s_cmp_lg_u32 s7, 0
	s_cselect_b64 s[10:11], -1, 0
	s_cmp_eq_u32 s7, 0
	s_cselect_b64 vcc, -1, 0
	s_and_b64 s[0:1], vcc, exec
	s_waitcnt lgkmcnt(0)
	s_cselect_b32 s7, s15, s16
	s_add_i32 s0, s7, 1
	s_lshr_b32 s1, s0, 31
	s_add_i32 s0, s0, s1
	s_lshl_b32 s0, s0, 1
	v_lshlrev_b32_e32 v1, 3, v0
	s_and_b32 s22, s0, -4
	v_cmp_gt_i32_e64 s[2:3], s7, v1
	v_mov_b32_e32 v10, 0
	v_mov_b32_e32 v2, 0
	v_mov_b32_e32 v3, 0
	v_mov_b32_e32 v4, 0
	v_mov_b32_e32 v5, 0
	v_mov_b32_e32 v6, 0
	v_mov_b32_e32 v7, 0
	v_mov_b32_e32 v8, 0
	v_mov_b32_e32 v9, 0
	s_and_saveexec_b64 s[0:1], s[2:3]
	s_cbranch_execz .LBB513_3
; %bb.2:
	s_load_dwordx2 s[14:15], s[4:5], 0x28
	s_load_dwordx2 s[20:21], s[4:5], 0x40
	s_and_b64 s[26:27], vcc, exec
	s_cselect_b32 s17, s17, s18
	v_lshlrev_b32_e32 v11, 4, v0
	s_waitcnt lgkmcnt(0)
	s_cselect_b32 s19, s15, s25
	s_cselect_b32 s23, s14, s24
	s_mul_hi_i32 s15, s17, s6
	s_mul_i32 s14, s17, s6
	s_lshl_b64 s[14:15], s[14:15], 1
	s_add_u32 s28, s23, s14
	s_addc_u32 s17, s19, s15
	s_and_b64 s[14:15], vcc, exec
	s_mov_b32 s23, 0x20000
	s_cselect_b32 s20, s20, s8
	s_cselect_b32 s14, s21, s9
	s_and_b32 s29, s17, 0xffff
	s_mov_b32 s30, s22
	s_mov_b32 s31, s23
	s_and_b32 s21, s14, 0xffff
	buffer_load_dwordx4 v[6:9], v11, s[28:31], 0 offen glc slc
	buffer_load_dwordx4 v[2:5], v11, s[20:23], 0 offen
.LBB513_3:
	s_or_b64 exec, exec, s[0:1]
	v_mov_b32_e32 v11, 0
	v_mov_b32_e32 v14, 0
	;; [unrolled: 1-line block ×7, first 2 shown]
	s_and_saveexec_b64 s[0:1], s[2:3]
	s_cbranch_execz .LBB513_5
; %bb.4:
	s_waitcnt vmcnt(1)
	v_cvt_f32_f16_sdwa v11, v6 dst_sel:DWORD dst_unused:UNUSED_PAD src0_sel:WORD_1
	v_cvt_f32_f16_e32 v10, v6
	v_cvt_f32_f16_sdwa v15, v7 dst_sel:DWORD dst_unused:UNUSED_PAD src0_sel:WORD_1
	v_cvt_f32_f16_e32 v14, v7
	;; [unrolled: 2-line block ×4, first 2 shown]
.LBB513_5:
	s_or_b64 exec, exec, s[0:1]
	s_waitcnt vmcnt(1)
	v_mul_f32_e32 v6, v11, v11
	v_fmac_f32_e32 v6, v10, v10
	v_fmac_f32_e32 v6, v14, v14
	;; [unrolled: 1-line block ×7, first 2 shown]
	v_and_b32_e32 v8, 63, v0
	v_cmp_eq_u32_e64 s[0:1], 63, v8
	v_mov_b32_dpp v7, v6 quad_perm:[1,0,3,2] row_mask:0xf bank_mask:0xf
	v_add_f32_e32 v6, v6, v7
	s_nop 1
	v_mov_b32_dpp v7, v6 quad_perm:[2,3,0,1] row_mask:0xf bank_mask:0xf
	v_add_f32_e32 v6, v6, v7
	s_nop 1
	v_mov_b32_dpp v7, v6 row_half_mirror row_mask:0xf bank_mask:0xf
	v_add_f32_e32 v6, v6, v7
	s_nop 1
	v_mov_b32_dpp v7, v6 row_mirror row_mask:0xf bank_mask:0xf
	v_add_f32_e32 v6, v6, v7
	s_nop 1
	v_mov_b32_dpp v7, v6 row_bcast:15 row_mask:0xf bank_mask:0xf
	v_add_f32_e32 v6, v6, v7
	s_nop 1
	v_mov_b32_dpp v7, v6 row_bcast:31 row_mask:0xf bank_mask:0xf
	s_and_saveexec_b64 s[14:15], s[0:1]
	s_cbranch_execz .LBB513_7
; %bb.6:
	v_add_f32_e32 v6, v6, v7
	v_lshrrev_b32_e32 v7, 4, v0
	v_and_b32_e32 v7, 60, v7
	ds_write_b32 v7, v6 offset:16
.LBB513_7:
	s_or_b64 exec, exec, s[14:15]
	v_and_b32_e32 v6, 3, v0
	v_lshlrev_b32_e32 v18, 2, v6
	s_waitcnt lgkmcnt(0)
	s_barrier
	ds_read_b32 v6, v18 offset:16
	s_load_dwordx2 s[14:15], s[4:5], 0x18
	s_waitcnt lgkmcnt(0)
	v_mov_b32_dpp v7, v6 quad_perm:[1,0,3,2] row_mask:0xf bank_mask:0xf
	v_add_f32_e32 v6, v6, v7
	s_nop 1
	v_mov_b32_dpp v7, v6 quad_perm:[2,3,0,1] row_mask:0xf bank_mask:0xf
	s_and_saveexec_b64 s[20:21], s[2:3]
	s_cbranch_execz .LBB513_9
; %bb.8:
	v_cvt_f32_u32_e32 v8, s7
	v_add_f32_e32 v6, v6, v7
	v_mov_b32_e32 v19, s13
	v_mov_b32_e32 v20, s12
	v_div_scale_f32 v7, s[26:27], v8, v8, v6
	v_rcp_f32_e32 v9, v7
	v_cndmask_b32_e32 v19, v19, v20, vcc
	s_mov_b32 s7, 0x800000
	v_fma_f32 v20, -v7, v9, 1.0
	v_fmac_f32_e32 v9, v20, v9
	v_div_scale_f32 v20, vcc, v6, v8, v6
	v_mul_f32_e32 v21, v20, v9
	v_fma_f32 v22, -v7, v21, v20
	v_fmac_f32_e32 v21, v22, v9
	v_fma_f32 v7, -v7, v21, v20
	v_div_fmas_f32 v7, v7, v9, v21
	v_div_fixup_f32 v6, v7, v8, v6
	v_add_f32_e32 v6, v19, v6
	v_mul_f32_e32 v7, 0x4b800000, v6
	v_cmp_gt_f32_e32 vcc, s7, v6
	v_cndmask_b32_e32 v6, v6, v7, vcc
	v_rsq_f32_e32 v6, v6
	s_waitcnt vmcnt(0)
	v_cvt_f32_f16_sdwa v21, v3 dst_sel:DWORD dst_unused:UNUSED_PAD src0_sel:WORD_1
	v_cvt_f32_f16_e32 v20, v3
	v_mul_f32_e32 v7, 0x45800000, v6
	v_cndmask_b32_e32 v6, v6, v7, vcc
	v_mov_b32_e32 v7, v6
	;;#ASMSTART
	v_pk_mul_f32 v[8:9], v[10:11], v[6:7]
	;;#ASMEND
	v_cvt_f32_f16_sdwa v11, v2 dst_sel:DWORD dst_unused:UNUSED_PAD src0_sel:WORD_1
	v_cvt_f32_f16_e32 v10, v2
	;;#ASMSTART
	v_pk_mul_f32 v[14:15], v[14:15], v[6:7]
	;;#ASMEND
	;;#ASMSTART
	v_pk_mul_f32 v[16:17], v[16:17], v[6:7]
	;;#ASMEND
	;; [unrolled: 3-line block ×3, first 2 shown]
	v_pk_add_f32 v[6:7], v[10:11], 1.0 op_sel_hi:[1,0]
	;;#ASMSTART
	v_pk_mul_f32 v[10:11], v[8:9], v[6:7]
	;;#ASMEND
	v_cvt_f32_f16_sdwa v9, v4 dst_sel:DWORD dst_unused:UNUSED_PAD src0_sel:WORD_1
	v_cvt_f32_f16_e32 v8, v4
	v_cvt_f32_f16_sdwa v13, v5 dst_sel:DWORD dst_unused:UNUSED_PAD src0_sel:WORD_1
	v_cvt_f32_f16_e32 v12, v5
	v_pk_add_f32 v[6:7], v[20:21], 1.0 op_sel_hi:[1,0]
	v_pk_add_f32 v[4:5], v[8:9], 1.0 op_sel_hi:[1,0]
	;;#ASMSTART
	v_pk_mul_f32 v[14:15], v[14:15], v[6:7]
	;;#ASMEND
	;;#ASMSTART
	v_pk_mul_f32 v[16:17], v[16:17], v[4:5]
	;;#ASMEND
	v_pk_add_f32 v[4:5], v[12:13], 1.0 op_sel_hi:[1,0]
	;;#ASMSTART
	v_pk_mul_f32 v[12:13], v[2:3], v[4:5]
	;;#ASMEND
.LBB513_9:
	s_or_b64 exec, exec, s[20:21]
	s_load_dwordx2 s[26:27], s[4:5], 0x7c
	s_mov_b64 s[20:21], -1
	s_and_b64 vcc, exec, s[10:11]
	s_cbranch_vccnz .LBB513_13
; %bb.10:
	s_andn2_b64 vcc, exec, s[20:21]
	s_cbranch_vccz .LBB513_16
.LBB513_11:
	s_cmp_lt_i32 s16, 1
	s_cbranch_scc0 .LBB513_19
.LBB513_12:
	s_endpgm
.LBB513_13:
	s_and_saveexec_b64 s[10:11], s[2:3]
	s_cbranch_execz .LBB513_15
; %bb.14:
	s_waitcnt lgkmcnt(0)
	s_mul_hi_i32 s21, s27, s6
	s_mul_i32 s20, s27, s6
	s_waitcnt vmcnt(0)
	v_cvt_f16_f32_e32 v2, v10
	v_cvt_f16_f32_e32 v3, v14
	;; [unrolled: 1-line block ×8, first 2 shown]
	s_lshl_b64 s[20:21], s[20:21], 1
	s_add_u32 s20, s14, s20
	s_addc_u32 s7, s15, s21
	s_and_b32 s21, s7, 0xffff
	s_mov_b32 s23, 0x20000
	v_pack_b32_f16 v5, v5, v6
	v_pack_b32_f16 v4, v4, v7
	v_pack_b32_f16 v3, v3, v8
	v_pack_b32_f16 v2, v2, v9
	v_lshlrev_b32_e32 v6, 4, v0
	buffer_store_dwordx4 v[2:5], v6, s[20:23], 0 offen
	;;#ASMSTART
	s_nop 0
	;;#ASMEND
.LBB513_15:
	s_or_b64 exec, exec, s[10:11]
	s_cbranch_execnz .LBB513_11
.LBB513_16:
	s_and_saveexec_b64 s[10:11], s[2:3]
	s_cbranch_execz .LBB513_18
; %bb.17:
	s_load_dwordx2 s[2:3], s[4:5], 0x10
	s_waitcnt lgkmcnt(0)
	s_mul_hi_i32 s21, s26, s6
	s_mul_i32 s20, s26, s6
	s_waitcnt vmcnt(0)
	v_cvt_f16_f32_e32 v2, v10
	v_cvt_f16_f32_e32 v3, v14
	;; [unrolled: 1-line block ×8, first 2 shown]
	s_lshl_b64 s[20:21], s[20:21], 1
	s_add_u32 s20, s2, s20
	s_addc_u32 s2, s3, s21
	s_mov_b32 s23, 0x20000
	s_and_b32 s21, s2, 0xffff
	v_pack_b32_f16 v5, v5, v6
	v_pack_b32_f16 v4, v4, v7
	v_pack_b32_f16 v3, v3, v8
	v_pack_b32_f16 v2, v2, v9
	v_lshlrev_b32_e32 v6, 4, v0
	buffer_store_dwordx4 v[2:5], v6, s[20:23], 0 offen
	;;#ASMSTART
	s_nop 0
	;;#ASMEND
.LBB513_18:
	s_or_b64 exec, exec, s[10:11]
	s_cmp_lt_i32 s16, 1
	s_cbranch_scc1 .LBB513_12
.LBB513_19:
	s_load_dword s2, s[4:5], 0x94
	s_waitcnt lgkmcnt(0)
	s_cmp_lg_u32 s2, 1
	s_cbranch_scc1 .LBB513_12
; %bb.20:
	s_lshl_b32 s2, s16, 1
	s_add_i32 s2, s2, 2
	v_cmp_gt_u32_e32 vcc, s16, v1
	s_and_b32 s10, s2, -4
	v_mov_b32_e32 v10, 0
	v_lshlrev_b32_e32 v1, 4, v0
	v_mov_b32_e32 v6, 0
	v_mov_b32_e32 v7, 0
	;; [unrolled: 1-line block ×4, first 2 shown]
	s_waitcnt vmcnt(0)
	v_mov_b32_e32 v2, 0
	v_mov_b32_e32 v3, 0
	v_mov_b32_e32 v4, 0
	v_mov_b32_e32 v5, 0
	s_barrier
	s_and_saveexec_b64 s[2:3], vcc
	s_cbranch_execz .LBB513_22
; %bb.21:
	s_mul_hi_i32 s5, s18, s6
	s_mul_i32 s4, s18, s6
	s_and_b32 s9, s9, 0xffff
	s_lshl_b64 s[4:5], s[4:5], 1
	s_add_u32 s20, s24, s4
	s_mov_b32 s11, 0x20000
	s_addc_u32 s4, s25, s5
	s_and_b32 s21, s4, 0xffff
	s_mov_b32 s22, s10
	s_mov_b32 s23, s11
	buffer_load_dwordx4 v[6:9], v1, s[20:23], 0 offen glc slc
	buffer_load_dwordx4 v[2:5], v1, s[8:11], 0 offen
.LBB513_22:
	s_or_b64 exec, exec, s[2:3]
	v_mov_b32_e32 v11, 0
	v_mov_b32_e32 v16, 0
	;; [unrolled: 1-line block ×7, first 2 shown]
	s_and_saveexec_b64 s[2:3], vcc
	s_cbranch_execz .LBB513_24
; %bb.23:
	s_waitcnt vmcnt(1)
	v_cvt_f32_f16_sdwa v11, v6 dst_sel:DWORD dst_unused:UNUSED_PAD src0_sel:WORD_1
	v_cvt_f32_f16_e32 v10, v6
	v_cvt_f32_f16_sdwa v17, v7 dst_sel:DWORD dst_unused:UNUSED_PAD src0_sel:WORD_1
	v_cvt_f32_f16_e32 v16, v7
	;; [unrolled: 2-line block ×4, first 2 shown]
.LBB513_24:
	s_or_b64 exec, exec, s[2:3]
	s_waitcnt vmcnt(1)
	v_mul_f32_e32 v6, v11, v11
	v_fmac_f32_e32 v6, v10, v10
	v_fmac_f32_e32 v6, v16, v16
	;; [unrolled: 1-line block ×7, first 2 shown]
	s_nop 1
	v_mov_b32_dpp v7, v6 quad_perm:[1,0,3,2] row_mask:0xf bank_mask:0xf
	v_add_f32_e32 v6, v6, v7
	s_nop 1
	v_mov_b32_dpp v7, v6 quad_perm:[2,3,0,1] row_mask:0xf bank_mask:0xf
	v_add_f32_e32 v6, v6, v7
	s_nop 1
	v_mov_b32_dpp v7, v6 row_half_mirror row_mask:0xf bank_mask:0xf
	v_add_f32_e32 v6, v6, v7
	s_nop 1
	v_mov_b32_dpp v7, v6 row_mirror row_mask:0xf bank_mask:0xf
	v_add_f32_e32 v6, v6, v7
	s_nop 1
	v_mov_b32_dpp v7, v6 row_bcast:15 row_mask:0xf bank_mask:0xf
	v_add_f32_e32 v6, v6, v7
	s_nop 1
	v_mov_b32_dpp v7, v6 row_bcast:31 row_mask:0xf bank_mask:0xf
	s_and_saveexec_b64 s[2:3], s[0:1]
	s_cbranch_execz .LBB513_26
; %bb.25:
	v_lshrrev_b32_e32 v0, 4, v0
	v_add_f32_e32 v6, v6, v7
	v_and_b32_e32 v0, 60, v0
	ds_write_b32 v0, v6
.LBB513_26:
	s_or_b64 exec, exec, s[2:3]
	s_waitcnt lgkmcnt(0)
	s_barrier
	ds_read_b32 v0, v18
	s_waitcnt lgkmcnt(0)
	s_nop 0
	v_mov_b32_dpp v6, v0 quad_perm:[1,0,3,2] row_mask:0xf bank_mask:0xf
	v_add_f32_e32 v0, v0, v6
	s_nop 1
	v_mov_b32_dpp v6, v0 quad_perm:[2,3,0,1] row_mask:0xf bank_mask:0xf
	s_and_saveexec_b64 s[0:1], vcc
	s_cbranch_execz .LBB513_12
; %bb.27:
	v_cvt_f32_u32_e32 v7, s16
	v_add_f32_e32 v0, v0, v6
	s_mov_b32 s11, 0x20000
	v_div_scale_f32 v6, s[0:1], v7, v7, v0
	v_rcp_f32_e32 v8, v6
	v_div_scale_f32 v9, vcc, v0, v7, v0
	s_mov_b32 s0, 0x800000
	v_fma_f32 v18, -v6, v8, 1.0
	v_fmac_f32_e32 v8, v18, v8
	v_mul_f32_e32 v18, v9, v8
	v_fma_f32 v19, -v6, v18, v9
	v_fmac_f32_e32 v18, v19, v8
	v_fma_f32 v6, -v6, v18, v9
	v_div_fmas_f32 v6, v6, v8, v18
	v_div_fixup_f32 v0, v6, v7, v0
	v_add_f32_e32 v0, s13, v0
	v_mul_f32_e32 v6, 0x4b800000, v0
	v_cmp_gt_f32_e32 vcc, s0, v0
	v_cndmask_b32_e32 v0, v0, v6, vcc
	v_rsq_f32_e32 v0, v0
	s_waitcnt vmcnt(0)
	v_cvt_f32_f16_sdwa v19, v3 dst_sel:DWORD dst_unused:UNUSED_PAD src0_sel:WORD_1
	v_cvt_f32_f16_e32 v18, v3
	s_mul_hi_i32 s1, s27, s6
	v_mul_f32_e32 v6, 0x45800000, v0
	v_cndmask_b32_e32 v6, v0, v6, vcc
	v_mov_b32_e32 v7, v6
	;;#ASMSTART
	v_pk_mul_f32 v[8:9], v[10:11], v[6:7]
	;;#ASMEND
	;;#ASMSTART
	v_pk_mul_f32 v[10:11], v[16:17], v[6:7]
	;;#ASMEND
	v_cvt_f32_f16_sdwa v17, v2 dst_sel:DWORD dst_unused:UNUSED_PAD src0_sel:WORD_1
	v_cvt_f32_f16_e32 v16, v2
	;;#ASMSTART
	v_pk_mul_f32 v[14:15], v[14:15], v[6:7]
	;;#ASMEND
	;;#ASMSTART
	v_pk_mul_f32 v[2:3], v[12:13], v[6:7]
	;;#ASMEND
	v_cvt_f32_f16_sdwa v13, v4 dst_sel:DWORD dst_unused:UNUSED_PAD src0_sel:WORD_1
	v_cvt_f32_f16_e32 v12, v4
	v_pk_add_f32 v[6:7], v[16:17], 1.0 op_sel_hi:[1,0]
	v_cvt_f32_f16_sdwa v17, v5 dst_sel:DWORD dst_unused:UNUSED_PAD src0_sel:WORD_1
	v_cvt_f32_f16_e32 v16, v5
	;;#ASMSTART
	v_pk_mul_f32 v[6:7], v[8:9], v[6:7]
	;;#ASMEND
	v_pk_add_f32 v[8:9], v[18:19], 1.0 op_sel_hi:[1,0]
	;;#ASMSTART
	v_pk_mul_f32 v[4:5], v[10:11], v[8:9]
	;;#ASMEND
	v_pk_add_f32 v[8:9], v[12:13], 1.0 op_sel_hi:[1,0]
	;; [unrolled: 4-line block ×3, first 2 shown]
	;;#ASMSTART
	v_pk_mul_f32 v[2:3], v[2:3], v[10:11]
	;;#ASMEND
	s_mul_i32 s0, s27, s6
	v_cvt_f16_f32_e32 v0, v6
	v_cvt_f16_f32_e32 v6, v7
	;; [unrolled: 1-line block ×8, first 2 shown]
	s_lshl_b64 s[0:1], s[0:1], 1
	s_add_u32 s8, s14, s0
	s_addc_u32 s0, s15, s1
	s_and_b32 s9, s0, 0xffff
	v_pack_b32_f16 v2, v0, v6
	v_pack_b32_f16 v3, v4, v5
	;; [unrolled: 1-line block ×4, first 2 shown]
	buffer_store_dwordx4 v[2:5], v1, s[8:11], 0 offen
	;;#ASMSTART
	s_nop 0
	;;#ASMEND
	s_endpgm
	.section	.rodata,"a",@progbits
	.p2align	6, 0x0
	.amdhsa_kernel _ZN5aiter35fused_qk_rmsnorm_group_quant_kernelIDF16_DB8_Li256ELi8ELi8ELb0ELb1ELb1ELb1ELb0ELb0EEEvPT0_PvPT_S6_S6_PKS5_S8_S8_S8_S8_ffiiiiiiiiiiiii
		.amdhsa_group_segment_fixed_size 32
		.amdhsa_private_segment_fixed_size 0
		.amdhsa_kernarg_size 400
		.amdhsa_user_sgpr_count 6
		.amdhsa_user_sgpr_private_segment_buffer 1
		.amdhsa_user_sgpr_dispatch_ptr 0
		.amdhsa_user_sgpr_queue_ptr 0
		.amdhsa_user_sgpr_kernarg_segment_ptr 1
		.amdhsa_user_sgpr_dispatch_id 0
		.amdhsa_user_sgpr_flat_scratch_init 0
		.amdhsa_user_sgpr_kernarg_preload_length 0
		.amdhsa_user_sgpr_kernarg_preload_offset 0
		.amdhsa_user_sgpr_private_segment_size 0
		.amdhsa_uses_dynamic_stack 0
		.amdhsa_system_sgpr_private_segment_wavefront_offset 0
		.amdhsa_system_sgpr_workgroup_id_x 1
		.amdhsa_system_sgpr_workgroup_id_y 1
		.amdhsa_system_sgpr_workgroup_id_z 0
		.amdhsa_system_sgpr_workgroup_info 0
		.amdhsa_system_vgpr_workitem_id 0
		.amdhsa_next_free_vgpr 23
		.amdhsa_next_free_sgpr 32
		.amdhsa_accum_offset 24
		.amdhsa_reserve_vcc 1
		.amdhsa_reserve_flat_scratch 0
		.amdhsa_float_round_mode_32 0
		.amdhsa_float_round_mode_16_64 0
		.amdhsa_float_denorm_mode_32 3
		.amdhsa_float_denorm_mode_16_64 3
		.amdhsa_dx10_clamp 1
		.amdhsa_ieee_mode 1
		.amdhsa_fp16_overflow 0
		.amdhsa_tg_split 0
		.amdhsa_exception_fp_ieee_invalid_op 0
		.amdhsa_exception_fp_denorm_src 0
		.amdhsa_exception_fp_ieee_div_zero 0
		.amdhsa_exception_fp_ieee_overflow 0
		.amdhsa_exception_fp_ieee_underflow 0
		.amdhsa_exception_fp_ieee_inexact 0
		.amdhsa_exception_int_div_zero 0
	.end_amdhsa_kernel
	.section	.text._ZN5aiter35fused_qk_rmsnorm_group_quant_kernelIDF16_DB8_Li256ELi8ELi8ELb0ELb1ELb1ELb1ELb0ELb0EEEvPT0_PvPT_S6_S6_PKS5_S8_S8_S8_S8_ffiiiiiiiiiiiii,"axG",@progbits,_ZN5aiter35fused_qk_rmsnorm_group_quant_kernelIDF16_DB8_Li256ELi8ELi8ELb0ELb1ELb1ELb1ELb0ELb0EEEvPT0_PvPT_S6_S6_PKS5_S8_S8_S8_S8_ffiiiiiiiiiiiii,comdat
.Lfunc_end513:
	.size	_ZN5aiter35fused_qk_rmsnorm_group_quant_kernelIDF16_DB8_Li256ELi8ELi8ELb0ELb1ELb1ELb1ELb0ELb0EEEvPT0_PvPT_S6_S6_PKS5_S8_S8_S8_S8_ffiiiiiiiiiiiii, .Lfunc_end513-_ZN5aiter35fused_qk_rmsnorm_group_quant_kernelIDF16_DB8_Li256ELi8ELi8ELb0ELb1ELb1ELb1ELb0ELb0EEEvPT0_PvPT_S6_S6_PKS5_S8_S8_S8_S8_ffiiiiiiiiiiiii
                                        ; -- End function
	.section	.AMDGPU.csdata,"",@progbits
; Kernel info:
; codeLenInByte = 2100
; NumSgprs: 36
; NumVgprs: 23
; NumAgprs: 0
; TotalNumVgprs: 23
; ScratchSize: 0
; MemoryBound: 0
; FloatMode: 240
; IeeeMode: 1
; LDSByteSize: 32 bytes/workgroup (compile time only)
; SGPRBlocks: 4
; VGPRBlocks: 2
; NumSGPRsForWavesPerEU: 36
; NumVGPRsForWavesPerEU: 23
; AccumOffset: 24
; Occupancy: 8
; WaveLimiterHint : 0
; COMPUTE_PGM_RSRC2:SCRATCH_EN: 0
; COMPUTE_PGM_RSRC2:USER_SGPR: 6
; COMPUTE_PGM_RSRC2:TRAP_HANDLER: 0
; COMPUTE_PGM_RSRC2:TGID_X_EN: 1
; COMPUTE_PGM_RSRC2:TGID_Y_EN: 1
; COMPUTE_PGM_RSRC2:TGID_Z_EN: 0
; COMPUTE_PGM_RSRC2:TIDIG_COMP_CNT: 0
; COMPUTE_PGM_RSRC3_GFX90A:ACCUM_OFFSET: 5
; COMPUTE_PGM_RSRC3_GFX90A:TG_SPLIT: 0
	.section	.text._ZN5aiter35fused_qk_rmsnorm_group_quant_kernelItDB8_Li256ELi8ELi8ELb0ELb1ELb1ELb1ELb0ELb0EEEvPT0_PvPT_S6_S6_PKS5_S8_S8_S8_S8_ffiiiiiiiiiiiii,"axG",@progbits,_ZN5aiter35fused_qk_rmsnorm_group_quant_kernelItDB8_Li256ELi8ELi8ELb0ELb1ELb1ELb1ELb0ELb0EEEvPT0_PvPT_S6_S6_PKS5_S8_S8_S8_S8_ffiiiiiiiiiiiii,comdat
	.protected	_ZN5aiter35fused_qk_rmsnorm_group_quant_kernelItDB8_Li256ELi8ELi8ELb0ELb1ELb1ELb1ELb0ELb0EEEvPT0_PvPT_S6_S6_PKS5_S8_S8_S8_S8_ffiiiiiiiiiiiii ; -- Begin function _ZN5aiter35fused_qk_rmsnorm_group_quant_kernelItDB8_Li256ELi8ELi8ELb0ELb1ELb1ELb1ELb0ELb0EEEvPT0_PvPT_S6_S6_PKS5_S8_S8_S8_S8_ffiiiiiiiiiiiii
	.globl	_ZN5aiter35fused_qk_rmsnorm_group_quant_kernelItDB8_Li256ELi8ELi8ELb0ELb1ELb1ELb1ELb0ELb0EEEvPT0_PvPT_S6_S6_PKS5_S8_S8_S8_S8_ffiiiiiiiiiiiii
	.p2align	8
	.type	_ZN5aiter35fused_qk_rmsnorm_group_quant_kernelItDB8_Li256ELi8ELi8ELb0ELb1ELb1ELb1ELb0ELb0EEEvPT0_PvPT_S6_S6_PKS5_S8_S8_S8_S8_ffiiiiiiiiiiiii,@function
_ZN5aiter35fused_qk_rmsnorm_group_quant_kernelItDB8_Li256ELi8ELi8ELb0ELb1ELb1ELb1ELb0ELb0EEEvPT0_PvPT_S6_S6_PKS5_S8_S8_S8_S8_ffiiiiiiiiiiiii: ; @_ZN5aiter35fused_qk_rmsnorm_group_quant_kernelItDB8_Li256ELi8ELi8ELb0ELb1ELb1ELb1ELb0ELb0EEEvPT0_PvPT_S6_S6_PKS5_S8_S8_S8_S8_ffiiiiiiiiiiiii
; %bb.0:
	s_load_dwordx4 s[12:15], s[4:5], 0x50
	s_waitcnt lgkmcnt(0)
	s_cmp_ge_i32 s6, s14
	s_cbranch_scc1 .LBB514_10
; %bb.1:
	s_load_dwordx2 s[24:25], s[4:5], 0x30
	s_load_dwordx2 s[8:9], s[4:5], 0x48
	s_load_dwordx4 s[16:19], s[4:5], 0x60
	s_cmp_lg_u32 s7, 0
	s_cselect_b64 s[10:11], -1, 0
	s_cmp_eq_u32 s7, 0
	s_cselect_b64 vcc, -1, 0
	s_and_b64 s[0:1], vcc, exec
	s_waitcnt lgkmcnt(0)
	s_cselect_b32 s7, s15, s16
	s_add_i32 s0, s7, 1
	s_lshr_b32 s1, s0, 31
	s_add_i32 s0, s0, s1
	s_lshl_b32 s0, s0, 1
	v_lshlrev_b32_e32 v1, 3, v0
	s_and_b32 s22, s0, -4
	v_cmp_gt_i32_e64 s[2:3], s7, v1
	v_mov_b32_e32 v2, 0
	v_mov_b32_e32 v3, 0
	;; [unrolled: 1-line block ×8, first 2 shown]
	s_and_saveexec_b64 s[0:1], s[2:3]
	s_cbranch_execz .LBB514_3
; %bb.2:
	s_load_dwordx2 s[14:15], s[4:5], 0x28
	s_load_dwordx2 s[20:21], s[4:5], 0x40
	s_and_b64 s[26:27], vcc, exec
	s_cselect_b32 s17, s17, s18
	v_lshlrev_b32_e32 v10, 4, v0
	s_waitcnt lgkmcnt(0)
	s_cselect_b32 s19, s15, s25
	s_cselect_b32 s23, s14, s24
	s_mul_hi_i32 s15, s17, s6
	s_mul_i32 s14, s17, s6
	s_lshl_b64 s[14:15], s[14:15], 1
	s_add_u32 s28, s23, s14
	s_addc_u32 s17, s19, s15
	s_and_b64 s[14:15], vcc, exec
	s_mov_b32 s23, 0x20000
	s_cselect_b32 s20, s20, s8
	s_cselect_b32 s14, s21, s9
	s_and_b32 s29, s17, 0xffff
	s_mov_b32 s30, s22
	s_mov_b32 s31, s23
	s_and_b32 s21, s14, 0xffff
	buffer_load_dwordx4 v[6:9], v10, s[28:31], 0 offen glc slc
	buffer_load_dwordx4 v[2:5], v10, s[20:23], 0 offen
.LBB514_3:
	s_or_b64 exec, exec, s[0:1]
	s_waitcnt vmcnt(1)
	v_cvt_f32_u32_sdwa v14, v6 dst_sel:DWORD dst_unused:UNUSED_PAD src0_sel:WORD_0
	v_cvt_f32_u32_sdwa v15, v6 dst_sel:DWORD dst_unused:UNUSED_PAD src0_sel:WORD_1
	v_cvt_f32_u32_sdwa v6, v9 dst_sel:DWORD dst_unused:UNUSED_PAD src0_sel:WORD_1
	v_cvt_f32_u32_sdwa v9, v9 dst_sel:DWORD dst_unused:UNUSED_PAD src0_sel:WORD_0
	v_cvt_f32_u32_sdwa v10, v8 dst_sel:DWORD dst_unused:UNUSED_PAD src0_sel:WORD_1
	v_cvt_f32_u32_sdwa v8, v8 dst_sel:DWORD dst_unused:UNUSED_PAD src0_sel:WORD_0
	v_cvt_f32_u32_sdwa v12, v7 dst_sel:DWORD dst_unused:UNUSED_PAD src0_sel:WORD_0
	v_cvt_f32_u32_sdwa v13, v7 dst_sel:DWORD dst_unused:UNUSED_PAD src0_sel:WORD_1
	v_cndmask_b32_e64 v7, 0, v6, s[2:3]
	v_cndmask_b32_e64 v6, 0, v9, s[2:3]
	;; [unrolled: 1-line block ×6, first 2 shown]
	v_mul_f32_e32 v14, v9, v9
	v_cndmask_b32_e64 v12, 0, v12, s[2:3]
	v_fmac_f32_e32 v14, v8, v8
	v_cndmask_b32_e64 v13, 0, v13, s[2:3]
	v_fmac_f32_e32 v14, v12, v12
	v_fmac_f32_e32 v14, v13, v13
	;; [unrolled: 1-line block ×6, first 2 shown]
	v_and_b32_e32 v16, 63, v0
	v_cmp_eq_u32_e64 s[0:1], 63, v16
	v_mov_b32_dpp v15, v14 quad_perm:[1,0,3,2] row_mask:0xf bank_mask:0xf
	v_add_f32_e32 v14, v14, v15
	s_nop 1
	v_mov_b32_dpp v15, v14 quad_perm:[2,3,0,1] row_mask:0xf bank_mask:0xf
	v_add_f32_e32 v14, v14, v15
	s_nop 1
	v_mov_b32_dpp v15, v14 row_half_mirror row_mask:0xf bank_mask:0xf
	v_add_f32_e32 v14, v14, v15
	s_nop 1
	v_mov_b32_dpp v15, v14 row_mirror row_mask:0xf bank_mask:0xf
	v_add_f32_e32 v14, v14, v15
	s_nop 1
	v_mov_b32_dpp v15, v14 row_bcast:15 row_mask:0xf bank_mask:0xf
	v_add_f32_e32 v14, v14, v15
	s_nop 1
	v_mov_b32_dpp v15, v14 row_bcast:31 row_mask:0xf bank_mask:0xf
	s_and_saveexec_b64 s[14:15], s[0:1]
	s_cbranch_execz .LBB514_5
; %bb.4:
	v_add_f32_e32 v14, v14, v15
	v_lshrrev_b32_e32 v15, 4, v0
	v_and_b32_e32 v15, 60, v15
	ds_write_b32 v15, v14 offset:16
.LBB514_5:
	s_or_b64 exec, exec, s[14:15]
	v_and_b32_e32 v14, 3, v0
	v_lshlrev_b32_e32 v14, 2, v14
	s_waitcnt lgkmcnt(0)
	s_barrier
	ds_read_b32 v15, v14 offset:16
	s_load_dwordx2 s[14:15], s[4:5], 0x18
	s_waitcnt lgkmcnt(0)
	v_mov_b32_dpp v16, v15 quad_perm:[1,0,3,2] row_mask:0xf bank_mask:0xf
	v_add_f32_e32 v15, v15, v16
	s_nop 1
	v_mov_b32_dpp v16, v15 quad_perm:[2,3,0,1] row_mask:0xf bank_mask:0xf
	s_and_saveexec_b64 s[20:21], s[2:3]
	s_cbranch_execz .LBB514_7
; %bb.6:
	v_cvt_f32_u32_e32 v17, s7
	v_add_f32_e32 v15, v15, v16
	v_mov_b32_e32 v19, s13
	v_mov_b32_e32 v20, s12
	v_div_scale_f32 v16, s[26:27], v17, v17, v15
	v_rcp_f32_e32 v18, v16
	v_cndmask_b32_e32 v19, v19, v20, vcc
	s_mov_b32 s7, 0x800000
	v_fma_f32 v20, -v16, v18, 1.0
	v_fmac_f32_e32 v18, v20, v18
	v_div_scale_f32 v20, vcc, v15, v17, v15
	v_mul_f32_e32 v21, v20, v18
	v_fma_f32 v22, -v16, v21, v20
	v_fmac_f32_e32 v21, v22, v18
	v_fma_f32 v16, -v16, v21, v20
	v_div_fmas_f32 v16, v16, v18, v21
	v_div_fixup_f32 v15, v16, v17, v15
	v_add_f32_e32 v15, v19, v15
	v_mul_f32_e32 v16, 0x4b800000, v15
	v_cmp_gt_f32_e32 vcc, s7, v15
	v_cndmask_b32_e32 v15, v15, v16, vcc
	v_rsq_f32_e32 v15, v15
	s_waitcnt vmcnt(0)
	v_cvt_f32_u32_sdwa v19, v2 dst_sel:DWORD dst_unused:UNUSED_PAD src0_sel:WORD_1
	v_cvt_f32_u32_sdwa v18, v2 dst_sel:DWORD dst_unused:UNUSED_PAD src0_sel:WORD_0
	v_cvt_f32_u32_sdwa v21, v3 dst_sel:DWORD dst_unused:UNUSED_PAD src0_sel:WORD_1
	v_mul_f32_e32 v16, 0x45800000, v15
	v_cndmask_b32_e32 v16, v15, v16, vcc
	v_mov_b32_e32 v17, v16
	;;#ASMSTART
	v_pk_mul_f32 v[8:9], v[8:9], v[16:17]
	;;#ASMEND
	;;#ASMSTART
	v_pk_mul_f32 v[12:13], v[12:13], v[16:17]
	;;#ASMEND
	;; [unrolled: 3-line block ×3, first 2 shown]
	v_cvt_f32_u32_sdwa v20, v3 dst_sel:DWORD dst_unused:UNUSED_PAD src0_sel:WORD_0
	;;#ASMSTART
	v_pk_mul_f32 v[2:3], v[6:7], v[16:17]
	;;#ASMEND
	v_cvt_f32_u32_sdwa v17, v4 dst_sel:DWORD dst_unused:UNUSED_PAD src0_sel:WORD_1
	v_cvt_f32_u32_sdwa v16, v4 dst_sel:DWORD dst_unused:UNUSED_PAD src0_sel:WORD_0
	v_pk_add_f32 v[6:7], v[18:19], 1.0 op_sel_hi:[1,0]
	v_cvt_f32_u32_sdwa v19, v5 dst_sel:DWORD dst_unused:UNUSED_PAD src0_sel:WORD_1
	v_cvt_f32_u32_sdwa v18, v5 dst_sel:DWORD dst_unused:UNUSED_PAD src0_sel:WORD_0
	;;#ASMSTART
	v_pk_mul_f32 v[8:9], v[8:9], v[6:7]
	;;#ASMEND
	v_pk_add_f32 v[6:7], v[20:21], 1.0 op_sel_hi:[1,0]
	v_pk_add_f32 v[4:5], v[16:17], 1.0 op_sel_hi:[1,0]
	;;#ASMSTART
	v_pk_mul_f32 v[12:13], v[12:13], v[6:7]
	;;#ASMEND
	;;#ASMSTART
	v_pk_mul_f32 v[10:11], v[10:11], v[4:5]
	;;#ASMEND
	v_pk_add_f32 v[4:5], v[18:19], 1.0 op_sel_hi:[1,0]
	;;#ASMSTART
	v_pk_mul_f32 v[6:7], v[2:3], v[4:5]
	;;#ASMEND
.LBB514_7:
	s_or_b64 exec, exec, s[20:21]
	s_load_dwordx2 s[26:27], s[4:5], 0x7c
	s_mov_b64 s[20:21], -1
	s_and_b64 vcc, exec, s[10:11]
	s_cbranch_vccnz .LBB514_11
; %bb.8:
	s_andn2_b64 vcc, exec, s[20:21]
	s_cbranch_vccz .LBB514_14
.LBB514_9:
	s_cmp_lt_i32 s16, 1
	s_cbranch_scc0 .LBB514_17
.LBB514_10:
	s_endpgm
.LBB514_11:
	s_and_saveexec_b64 s[10:11], s[2:3]
	s_cbranch_execz .LBB514_13
; %bb.12:
	s_waitcnt lgkmcnt(0)
	s_mul_hi_i32 s21, s27, s6
	s_mul_i32 s20, s27, s6
	s_lshl_b64 s[20:21], s[20:21], 1
	s_add_u32 s20, s14, s20
	s_addc_u32 s7, s15, s21
	s_and_b32 s21, s7, 0xffff
	s_mov_b32 s7, 0x7060302
	s_mov_b32 s23, 0x20000
	s_waitcnt vmcnt(0)
	v_perm_b32 v2, v9, v8, s7
	v_perm_b32 v3, v13, v12, s7
	;; [unrolled: 1-line block ×4, first 2 shown]
	v_lshlrev_b32_e32 v15, 4, v0
	buffer_store_dwordx4 v[2:5], v15, s[20:23], 0 offen
	;;#ASMSTART
	s_nop 0
	;;#ASMEND
.LBB514_13:
	s_or_b64 exec, exec, s[10:11]
	s_cbranch_execnz .LBB514_9
.LBB514_14:
	s_and_saveexec_b64 s[10:11], s[2:3]
	s_cbranch_execz .LBB514_16
; %bb.15:
	s_load_dwordx2 s[2:3], s[4:5], 0x10
	s_waitcnt lgkmcnt(0)
	s_mul_hi_i32 s21, s26, s6
	s_mul_i32 s20, s26, s6
	s_lshl_b64 s[20:21], s[20:21], 1
	s_mov_b32 s23, 0x20000
	s_add_u32 s20, s2, s20
	s_addc_u32 s2, s3, s21
	s_and_b32 s21, s2, 0xffff
	s_mov_b32 s2, 0x7060302
	s_waitcnt vmcnt(0)
	v_perm_b32 v2, v9, v8, s2
	v_perm_b32 v3, v13, v12, s2
	;; [unrolled: 1-line block ×4, first 2 shown]
	v_lshlrev_b32_e32 v6, 4, v0
	buffer_store_dwordx4 v[2:5], v6, s[20:23], 0 offen
	;;#ASMSTART
	s_nop 0
	;;#ASMEND
.LBB514_16:
	s_or_b64 exec, exec, s[10:11]
	s_cmp_lt_i32 s16, 1
	s_cbranch_scc1 .LBB514_10
.LBB514_17:
	s_load_dword s2, s[4:5], 0x94
	s_waitcnt lgkmcnt(0)
	s_cmp_lg_u32 s2, 1
	s_cbranch_scc1 .LBB514_10
; %bb.18:
	s_lshl_b32 s2, s16, 1
	s_add_i32 s2, s2, 2
	v_cmp_gt_u32_e32 vcc, s16, v1
	s_and_b32 s10, s2, -4
	v_mov_b32_e32 v6, 0
	v_lshlrev_b32_e32 v1, 4, v0
	v_mov_b32_e32 v7, 0
	v_mov_b32_e32 v8, 0
	;; [unrolled: 1-line block ×3, first 2 shown]
	s_waitcnt vmcnt(0)
	v_mov_b32_e32 v2, 0
	v_mov_b32_e32 v3, 0
	;; [unrolled: 1-line block ×4, first 2 shown]
	s_barrier
	s_and_saveexec_b64 s[2:3], vcc
	s_cbranch_execz .LBB514_20
; %bb.19:
	s_mul_hi_i32 s5, s18, s6
	s_mul_i32 s4, s18, s6
	s_and_b32 s9, s9, 0xffff
	s_lshl_b64 s[4:5], s[4:5], 1
	s_add_u32 s20, s24, s4
	s_mov_b32 s11, 0x20000
	s_addc_u32 s4, s25, s5
	s_and_b32 s21, s4, 0xffff
	s_mov_b32 s22, s10
	s_mov_b32 s23, s11
	buffer_load_dwordx4 v[6:9], v1, s[20:23], 0 offen glc slc
	buffer_load_dwordx4 v[2:5], v1, s[8:11], 0 offen
.LBB514_20:
	s_or_b64 exec, exec, s[2:3]
	s_waitcnt vmcnt(1)
	v_cvt_f32_u32_sdwa v13, v6 dst_sel:DWORD dst_unused:UNUSED_PAD src0_sel:WORD_1
	v_cvt_f32_u32_sdwa v12, v6 dst_sel:DWORD dst_unused:UNUSED_PAD src0_sel:WORD_0
	v_cvt_f32_u32_sdwa v6, v9 dst_sel:DWORD dst_unused:UNUSED_PAD src0_sel:WORD_1
	v_cvt_f32_u32_sdwa v9, v9 dst_sel:DWORD dst_unused:UNUSED_PAD src0_sel:WORD_0
	;; [unrolled: 2-line block ×4, first 2 shown]
	v_cndmask_b32_e32 v13, 0, v13, vcc
	v_cndmask_b32_e32 v7, 0, v6, vcc
	;; [unrolled: 1-line block ×5, first 2 shown]
	v_mul_f32_e32 v15, v13, v13
	v_cndmask_b32_e32 v10, 0, v10, vcc
	v_fmac_f32_e32 v15, v12, v12
	v_cndmask_b32_e32 v11, 0, v11, vcc
	v_fmac_f32_e32 v15, v10, v10
	;; [unrolled: 2-line block ×3, first 2 shown]
	v_fmac_f32_e32 v15, v8, v8
	v_fmac_f32_e32 v15, v9, v9
	v_fmac_f32_e32 v15, v6, v6
	v_fmac_f32_e32 v15, v7, v7
	s_nop 1
	v_mov_b32_dpp v16, v15 quad_perm:[1,0,3,2] row_mask:0xf bank_mask:0xf
	v_add_f32_e32 v15, v15, v16
	s_nop 1
	v_mov_b32_dpp v16, v15 quad_perm:[2,3,0,1] row_mask:0xf bank_mask:0xf
	v_add_f32_e32 v15, v15, v16
	s_nop 1
	v_mov_b32_dpp v16, v15 row_half_mirror row_mask:0xf bank_mask:0xf
	v_add_f32_e32 v15, v15, v16
	s_nop 1
	v_mov_b32_dpp v16, v15 row_mirror row_mask:0xf bank_mask:0xf
	v_add_f32_e32 v15, v15, v16
	s_nop 1
	v_mov_b32_dpp v16, v15 row_bcast:15 row_mask:0xf bank_mask:0xf
	v_add_f32_e32 v15, v15, v16
	s_nop 1
	v_mov_b32_dpp v16, v15 row_bcast:31 row_mask:0xf bank_mask:0xf
	s_and_saveexec_b64 s[2:3], s[0:1]
	s_cbranch_execz .LBB514_22
; %bb.21:
	v_lshrrev_b32_e32 v0, 4, v0
	v_add_f32_e32 v15, v15, v16
	v_and_b32_e32 v0, 60, v0
	ds_write_b32 v0, v15
.LBB514_22:
	s_or_b64 exec, exec, s[2:3]
	s_waitcnt lgkmcnt(0)
	s_barrier
	ds_read_b32 v0, v14
	s_waitcnt lgkmcnt(0)
	s_nop 0
	v_mov_b32_dpp v14, v0 quad_perm:[1,0,3,2] row_mask:0xf bank_mask:0xf
	v_add_f32_e32 v0, v0, v14
	s_nop 1
	v_mov_b32_dpp v14, v0 quad_perm:[2,3,0,1] row_mask:0xf bank_mask:0xf
	s_and_saveexec_b64 s[0:1], vcc
	s_cbranch_execz .LBB514_10
; %bb.23:
	v_cvt_f32_u32_e32 v15, s16
	v_add_f32_e32 v0, v0, v14
	s_mov_b32 s11, 0x20000
	v_div_scale_f32 v14, s[0:1], v15, v15, v0
	v_rcp_f32_e32 v16, v14
	v_div_scale_f32 v17, vcc, v0, v15, v0
	s_mov_b32 s0, 0x800000
	v_fma_f32 v18, -v14, v16, 1.0
	v_fmac_f32_e32 v16, v18, v16
	v_mul_f32_e32 v18, v17, v16
	v_fma_f32 v19, -v14, v18, v17
	v_fmac_f32_e32 v18, v19, v16
	v_fma_f32 v14, -v14, v18, v17
	v_div_fmas_f32 v14, v14, v16, v18
	v_div_fixup_f32 v0, v14, v15, v0
	v_add_f32_e32 v0, s13, v0
	v_mul_f32_e32 v14, 0x4b800000, v0
	v_cmp_gt_f32_e32 vcc, s0, v0
	v_cndmask_b32_e32 v0, v0, v14, vcc
	v_rsq_f32_e32 v0, v0
	s_waitcnt vmcnt(0)
	v_cvt_f32_u32_sdwa v17, v2 dst_sel:DWORD dst_unused:UNUSED_PAD src0_sel:WORD_1
	v_cvt_f32_u32_sdwa v16, v2 dst_sel:DWORD dst_unused:UNUSED_PAD src0_sel:WORD_0
	v_cvt_f32_u32_sdwa v19, v3 dst_sel:DWORD dst_unused:UNUSED_PAD src0_sel:WORD_1
	v_mul_f32_e32 v14, 0x45800000, v0
	v_cndmask_b32_e32 v14, v0, v14, vcc
	v_mov_b32_e32 v15, v14
	;;#ASMSTART
	v_pk_mul_f32 v[12:13], v[12:13], v[14:15]
	;;#ASMEND
	;;#ASMSTART
	v_pk_mul_f32 v[10:11], v[10:11], v[14:15]
	;;#ASMEND
	;; [unrolled: 3-line block ×3, first 2 shown]
	v_cvt_f32_u32_sdwa v18, v3 dst_sel:DWORD dst_unused:UNUSED_PAD src0_sel:WORD_0
	;;#ASMSTART
	v_pk_mul_f32 v[2:3], v[6:7], v[14:15]
	;;#ASMEND
	v_cvt_f32_u32_sdwa v15, v4 dst_sel:DWORD dst_unused:UNUSED_PAD src0_sel:WORD_1
	v_cvt_f32_u32_sdwa v14, v4 dst_sel:DWORD dst_unused:UNUSED_PAD src0_sel:WORD_0
	v_pk_add_f32 v[6:7], v[16:17], 1.0 op_sel_hi:[1,0]
	v_cvt_f32_u32_sdwa v17, v5 dst_sel:DWORD dst_unused:UNUSED_PAD src0_sel:WORD_1
	v_cvt_f32_u32_sdwa v16, v5 dst_sel:DWORD dst_unused:UNUSED_PAD src0_sel:WORD_0
	s_mul_hi_i32 s1, s27, s6
	s_mul_i32 s0, s27, s6
	s_lshl_b64 s[0:1], s[0:1], 1
	s_add_u32 s8, s14, s0
	;;#ASMSTART
	v_pk_mul_f32 v[6:7], v[12:13], v[6:7]
	;;#ASMEND
	v_pk_add_f32 v[12:13], v[18:19], 1.0 op_sel_hi:[1,0]
	;;#ASMSTART
	v_pk_mul_f32 v[4:5], v[10:11], v[12:13]
	;;#ASMEND
	v_pk_add_f32 v[10:11], v[14:15], 1.0 op_sel_hi:[1,0]
	s_addc_u32 s0, s15, s1
	;;#ASMSTART
	v_pk_mul_f32 v[8:9], v[8:9], v[10:11]
	;;#ASMEND
	v_pk_add_f32 v[10:11], v[16:17], 1.0 op_sel_hi:[1,0]
	s_and_b32 s9, s0, 0xffff
	s_mov_b32 s0, 0x7060302
	;;#ASMSTART
	v_pk_mul_f32 v[10:11], v[2:3], v[10:11]
	;;#ASMEND
	v_perm_b32 v2, v7, v6, s0
	v_perm_b32 v3, v5, v4, s0
	;; [unrolled: 1-line block ×4, first 2 shown]
	buffer_store_dwordx4 v[2:5], v1, s[8:11], 0 offen
	;;#ASMSTART
	s_nop 0
	;;#ASMEND
	s_endpgm
	.section	.rodata,"a",@progbits
	.p2align	6, 0x0
	.amdhsa_kernel _ZN5aiter35fused_qk_rmsnorm_group_quant_kernelItDB8_Li256ELi8ELi8ELb0ELb1ELb1ELb1ELb0ELb0EEEvPT0_PvPT_S6_S6_PKS5_S8_S8_S8_S8_ffiiiiiiiiiiiii
		.amdhsa_group_segment_fixed_size 32
		.amdhsa_private_segment_fixed_size 0
		.amdhsa_kernarg_size 400
		.amdhsa_user_sgpr_count 6
		.amdhsa_user_sgpr_private_segment_buffer 1
		.amdhsa_user_sgpr_dispatch_ptr 0
		.amdhsa_user_sgpr_queue_ptr 0
		.amdhsa_user_sgpr_kernarg_segment_ptr 1
		.amdhsa_user_sgpr_dispatch_id 0
		.amdhsa_user_sgpr_flat_scratch_init 0
		.amdhsa_user_sgpr_kernarg_preload_length 0
		.amdhsa_user_sgpr_kernarg_preload_offset 0
		.amdhsa_user_sgpr_private_segment_size 0
		.amdhsa_uses_dynamic_stack 0
		.amdhsa_system_sgpr_private_segment_wavefront_offset 0
		.amdhsa_system_sgpr_workgroup_id_x 1
		.amdhsa_system_sgpr_workgroup_id_y 1
		.amdhsa_system_sgpr_workgroup_id_z 0
		.amdhsa_system_sgpr_workgroup_info 0
		.amdhsa_system_vgpr_workitem_id 0
		.amdhsa_next_free_vgpr 23
		.amdhsa_next_free_sgpr 32
		.amdhsa_accum_offset 24
		.amdhsa_reserve_vcc 1
		.amdhsa_reserve_flat_scratch 0
		.amdhsa_float_round_mode_32 0
		.amdhsa_float_round_mode_16_64 0
		.amdhsa_float_denorm_mode_32 3
		.amdhsa_float_denorm_mode_16_64 3
		.amdhsa_dx10_clamp 1
		.amdhsa_ieee_mode 1
		.amdhsa_fp16_overflow 0
		.amdhsa_tg_split 0
		.amdhsa_exception_fp_ieee_invalid_op 0
		.amdhsa_exception_fp_denorm_src 0
		.amdhsa_exception_fp_ieee_div_zero 0
		.amdhsa_exception_fp_ieee_overflow 0
		.amdhsa_exception_fp_ieee_underflow 0
		.amdhsa_exception_fp_ieee_inexact 0
		.amdhsa_exception_int_div_zero 0
	.end_amdhsa_kernel
	.section	.text._ZN5aiter35fused_qk_rmsnorm_group_quant_kernelItDB8_Li256ELi8ELi8ELb0ELb1ELb1ELb1ELb0ELb0EEEvPT0_PvPT_S6_S6_PKS5_S8_S8_S8_S8_ffiiiiiiiiiiiii,"axG",@progbits,_ZN5aiter35fused_qk_rmsnorm_group_quant_kernelItDB8_Li256ELi8ELi8ELb0ELb1ELb1ELb1ELb0ELb0EEEvPT0_PvPT_S6_S6_PKS5_S8_S8_S8_S8_ffiiiiiiiiiiiii,comdat
.Lfunc_end514:
	.size	_ZN5aiter35fused_qk_rmsnorm_group_quant_kernelItDB8_Li256ELi8ELi8ELb0ELb1ELb1ELb1ELb0ELb0EEEvPT0_PvPT_S6_S6_PKS5_S8_S8_S8_S8_ffiiiiiiiiiiiii, .Lfunc_end514-_ZN5aiter35fused_qk_rmsnorm_group_quant_kernelItDB8_Li256ELi8ELi8ELb0ELb1ELb1ELb1ELb0ELb0EEEvPT0_PvPT_S6_S6_PKS5_S8_S8_S8_S8_ffiiiiiiiiiiiii
                                        ; -- End function
	.section	.AMDGPU.csdata,"",@progbits
; Kernel info:
; codeLenInByte = 2092
; NumSgprs: 36
; NumVgprs: 23
; NumAgprs: 0
; TotalNumVgprs: 23
; ScratchSize: 0
; MemoryBound: 0
; FloatMode: 240
; IeeeMode: 1
; LDSByteSize: 32 bytes/workgroup (compile time only)
; SGPRBlocks: 4
; VGPRBlocks: 2
; NumSGPRsForWavesPerEU: 36
; NumVGPRsForWavesPerEU: 23
; AccumOffset: 24
; Occupancy: 8
; WaveLimiterHint : 0
; COMPUTE_PGM_RSRC2:SCRATCH_EN: 0
; COMPUTE_PGM_RSRC2:USER_SGPR: 6
; COMPUTE_PGM_RSRC2:TRAP_HANDLER: 0
; COMPUTE_PGM_RSRC2:TGID_X_EN: 1
; COMPUTE_PGM_RSRC2:TGID_Y_EN: 1
; COMPUTE_PGM_RSRC2:TGID_Z_EN: 0
; COMPUTE_PGM_RSRC2:TIDIG_COMP_CNT: 0
; COMPUTE_PGM_RSRC3_GFX90A:ACCUM_OFFSET: 5
; COMPUTE_PGM_RSRC3_GFX90A:TG_SPLIT: 0
	.section	.text._ZN5aiter35fused_qk_rmsnorm_group_quant_kernelIDF16_N4opus5fp4_tELi256ELi8ELi8ELb0ELb1ELb1ELb1ELb0ELb0EEEvPT0_PvPT_S7_S7_PKS6_S9_S9_S9_S9_ffiiiiiiiiiiiii,"axG",@progbits,_ZN5aiter35fused_qk_rmsnorm_group_quant_kernelIDF16_N4opus5fp4_tELi256ELi8ELi8ELb0ELb1ELb1ELb1ELb0ELb0EEEvPT0_PvPT_S7_S7_PKS6_S9_S9_S9_S9_ffiiiiiiiiiiiii,comdat
	.protected	_ZN5aiter35fused_qk_rmsnorm_group_quant_kernelIDF16_N4opus5fp4_tELi256ELi8ELi8ELb0ELb1ELb1ELb1ELb0ELb0EEEvPT0_PvPT_S7_S7_PKS6_S9_S9_S9_S9_ffiiiiiiiiiiiii ; -- Begin function _ZN5aiter35fused_qk_rmsnorm_group_quant_kernelIDF16_N4opus5fp4_tELi256ELi8ELi8ELb0ELb1ELb1ELb1ELb0ELb0EEEvPT0_PvPT_S7_S7_PKS6_S9_S9_S9_S9_ffiiiiiiiiiiiii
	.globl	_ZN5aiter35fused_qk_rmsnorm_group_quant_kernelIDF16_N4opus5fp4_tELi256ELi8ELi8ELb0ELb1ELb1ELb1ELb0ELb0EEEvPT0_PvPT_S7_S7_PKS6_S9_S9_S9_S9_ffiiiiiiiiiiiii
	.p2align	8
	.type	_ZN5aiter35fused_qk_rmsnorm_group_quant_kernelIDF16_N4opus5fp4_tELi256ELi8ELi8ELb0ELb1ELb1ELb1ELb0ELb0EEEvPT0_PvPT_S7_S7_PKS6_S9_S9_S9_S9_ffiiiiiiiiiiiii,@function
_ZN5aiter35fused_qk_rmsnorm_group_quant_kernelIDF16_N4opus5fp4_tELi256ELi8ELi8ELb0ELb1ELb1ELb1ELb0ELb0EEEvPT0_PvPT_S7_S7_PKS6_S9_S9_S9_S9_ffiiiiiiiiiiiii: ; @_ZN5aiter35fused_qk_rmsnorm_group_quant_kernelIDF16_N4opus5fp4_tELi256ELi8ELi8ELb0ELb1ELb1ELb1ELb0ELb0EEEvPT0_PvPT_S7_S7_PKS6_S9_S9_S9_S9_ffiiiiiiiiiiiii
; %bb.0:
	s_load_dwordx4 s[12:15], s[4:5], 0x50
	s_waitcnt lgkmcnt(0)
	s_cmp_ge_i32 s6, s14
	s_cbranch_scc1 .LBB515_12
; %bb.1:
	s_load_dwordx2 s[24:25], s[4:5], 0x30
	s_load_dwordx2 s[8:9], s[4:5], 0x48
	s_load_dwordx4 s[16:19], s[4:5], 0x60
	s_cmp_lg_u32 s7, 0
	s_cselect_b64 s[10:11], -1, 0
	s_cmp_eq_u32 s7, 0
	s_cselect_b64 vcc, -1, 0
	s_and_b64 s[0:1], vcc, exec
	s_waitcnt lgkmcnt(0)
	s_cselect_b32 s7, s15, s16
	s_add_i32 s0, s7, 1
	s_lshr_b32 s1, s0, 31
	s_add_i32 s0, s0, s1
	s_lshl_b32 s0, s0, 1
	v_lshlrev_b32_e32 v1, 3, v0
	s_and_b32 s22, s0, -4
	v_cmp_gt_i32_e64 s[2:3], s7, v1
	v_mov_b32_e32 v10, 0
	v_mov_b32_e32 v2, 0
	;; [unrolled: 1-line block ×9, first 2 shown]
	s_and_saveexec_b64 s[0:1], s[2:3]
	s_cbranch_execz .LBB515_3
; %bb.2:
	s_load_dwordx2 s[14:15], s[4:5], 0x28
	s_load_dwordx2 s[20:21], s[4:5], 0x40
	s_and_b64 s[26:27], vcc, exec
	s_cselect_b32 s17, s17, s18
	v_lshlrev_b32_e32 v11, 4, v0
	s_waitcnt lgkmcnt(0)
	s_cselect_b32 s19, s15, s25
	s_cselect_b32 s23, s14, s24
	s_mul_hi_i32 s15, s17, s6
	s_mul_i32 s14, s17, s6
	s_lshl_b64 s[14:15], s[14:15], 1
	s_add_u32 s28, s23, s14
	s_addc_u32 s17, s19, s15
	s_and_b64 s[14:15], vcc, exec
	s_mov_b32 s23, 0x20000
	s_cselect_b32 s20, s20, s8
	s_cselect_b32 s14, s21, s9
	s_and_b32 s29, s17, 0xffff
	s_mov_b32 s30, s22
	s_mov_b32 s31, s23
	s_and_b32 s21, s14, 0xffff
	buffer_load_dwordx4 v[6:9], v11, s[28:31], 0 offen glc slc
	buffer_load_dwordx4 v[2:5], v11, s[20:23], 0 offen
.LBB515_3:
	s_or_b64 exec, exec, s[0:1]
	v_mov_b32_e32 v11, 0
	v_mov_b32_e32 v14, 0
	;; [unrolled: 1-line block ×7, first 2 shown]
	s_and_saveexec_b64 s[0:1], s[2:3]
	s_cbranch_execz .LBB515_5
; %bb.4:
	s_waitcnt vmcnt(1)
	v_cvt_f32_f16_sdwa v11, v6 dst_sel:DWORD dst_unused:UNUSED_PAD src0_sel:WORD_1
	v_cvt_f32_f16_e32 v10, v6
	v_cvt_f32_f16_sdwa v15, v7 dst_sel:DWORD dst_unused:UNUSED_PAD src0_sel:WORD_1
	v_cvt_f32_f16_e32 v14, v7
	;; [unrolled: 2-line block ×4, first 2 shown]
.LBB515_5:
	s_or_b64 exec, exec, s[0:1]
	s_waitcnt vmcnt(1)
	v_mul_f32_e32 v6, v11, v11
	v_fmac_f32_e32 v6, v10, v10
	v_fmac_f32_e32 v6, v14, v14
	;; [unrolled: 1-line block ×7, first 2 shown]
	v_and_b32_e32 v8, 63, v0
	v_cmp_eq_u32_e64 s[0:1], 63, v8
	v_mov_b32_dpp v7, v6 quad_perm:[1,0,3,2] row_mask:0xf bank_mask:0xf
	v_add_f32_e32 v6, v6, v7
	s_nop 1
	v_mov_b32_dpp v7, v6 quad_perm:[2,3,0,1] row_mask:0xf bank_mask:0xf
	v_add_f32_e32 v6, v6, v7
	s_nop 1
	v_mov_b32_dpp v7, v6 row_half_mirror row_mask:0xf bank_mask:0xf
	v_add_f32_e32 v6, v6, v7
	s_nop 1
	v_mov_b32_dpp v7, v6 row_mirror row_mask:0xf bank_mask:0xf
	v_add_f32_e32 v6, v6, v7
	s_nop 1
	v_mov_b32_dpp v7, v6 row_bcast:15 row_mask:0xf bank_mask:0xf
	v_add_f32_e32 v6, v6, v7
	s_nop 1
	v_mov_b32_dpp v7, v6 row_bcast:31 row_mask:0xf bank_mask:0xf
	s_and_saveexec_b64 s[14:15], s[0:1]
	s_cbranch_execz .LBB515_7
; %bb.6:
	v_add_f32_e32 v6, v6, v7
	v_lshrrev_b32_e32 v7, 4, v0
	v_and_b32_e32 v7, 60, v7
	ds_write_b32 v7, v6 offset:16
.LBB515_7:
	s_or_b64 exec, exec, s[14:15]
	v_and_b32_e32 v6, 3, v0
	v_lshlrev_b32_e32 v18, 2, v6
	s_waitcnt lgkmcnt(0)
	s_barrier
	ds_read_b32 v6, v18 offset:16
	s_load_dwordx2 s[14:15], s[4:5], 0x18
	s_waitcnt lgkmcnt(0)
	v_mov_b32_dpp v7, v6 quad_perm:[1,0,3,2] row_mask:0xf bank_mask:0xf
	v_add_f32_e32 v6, v6, v7
	s_nop 1
	v_mov_b32_dpp v7, v6 quad_perm:[2,3,0,1] row_mask:0xf bank_mask:0xf
	s_and_saveexec_b64 s[20:21], s[2:3]
	s_cbranch_execz .LBB515_9
; %bb.8:
	v_cvt_f32_u32_e32 v8, s7
	v_add_f32_e32 v6, v6, v7
	v_mov_b32_e32 v19, s13
	v_mov_b32_e32 v20, s12
	v_div_scale_f32 v7, s[26:27], v8, v8, v6
	v_rcp_f32_e32 v9, v7
	v_cndmask_b32_e32 v19, v19, v20, vcc
	s_mov_b32 s7, 0x800000
	v_fma_f32 v20, -v7, v9, 1.0
	v_fmac_f32_e32 v9, v20, v9
	v_div_scale_f32 v20, vcc, v6, v8, v6
	v_mul_f32_e32 v21, v20, v9
	v_fma_f32 v22, -v7, v21, v20
	v_fmac_f32_e32 v21, v22, v9
	v_fma_f32 v7, -v7, v21, v20
	v_div_fmas_f32 v7, v7, v9, v21
	v_div_fixup_f32 v6, v7, v8, v6
	v_add_f32_e32 v6, v19, v6
	v_mul_f32_e32 v7, 0x4b800000, v6
	v_cmp_gt_f32_e32 vcc, s7, v6
	v_cndmask_b32_e32 v6, v6, v7, vcc
	v_rsq_f32_e32 v6, v6
	s_waitcnt vmcnt(0)
	v_cvt_f32_f16_sdwa v21, v3 dst_sel:DWORD dst_unused:UNUSED_PAD src0_sel:WORD_1
	v_cvt_f32_f16_e32 v20, v3
	v_mul_f32_e32 v7, 0x45800000, v6
	v_cndmask_b32_e32 v6, v6, v7, vcc
	v_mov_b32_e32 v7, v6
	;;#ASMSTART
	v_pk_mul_f32 v[8:9], v[10:11], v[6:7]
	;;#ASMEND
	v_cvt_f32_f16_sdwa v11, v2 dst_sel:DWORD dst_unused:UNUSED_PAD src0_sel:WORD_1
	v_cvt_f32_f16_e32 v10, v2
	;;#ASMSTART
	v_pk_mul_f32 v[14:15], v[14:15], v[6:7]
	;;#ASMEND
	;;#ASMSTART
	v_pk_mul_f32 v[16:17], v[16:17], v[6:7]
	;;#ASMEND
	;; [unrolled: 3-line block ×3, first 2 shown]
	v_pk_add_f32 v[6:7], v[10:11], 1.0 op_sel_hi:[1,0]
	;;#ASMSTART
	v_pk_mul_f32 v[10:11], v[8:9], v[6:7]
	;;#ASMEND
	v_cvt_f32_f16_sdwa v9, v4 dst_sel:DWORD dst_unused:UNUSED_PAD src0_sel:WORD_1
	v_cvt_f32_f16_e32 v8, v4
	v_cvt_f32_f16_sdwa v13, v5 dst_sel:DWORD dst_unused:UNUSED_PAD src0_sel:WORD_1
	v_cvt_f32_f16_e32 v12, v5
	v_pk_add_f32 v[6:7], v[20:21], 1.0 op_sel_hi:[1,0]
	v_pk_add_f32 v[4:5], v[8:9], 1.0 op_sel_hi:[1,0]
	;;#ASMSTART
	v_pk_mul_f32 v[14:15], v[14:15], v[6:7]
	;;#ASMEND
	;;#ASMSTART
	v_pk_mul_f32 v[16:17], v[16:17], v[4:5]
	;;#ASMEND
	v_pk_add_f32 v[4:5], v[12:13], 1.0 op_sel_hi:[1,0]
	;;#ASMSTART
	v_pk_mul_f32 v[12:13], v[2:3], v[4:5]
	;;#ASMEND
.LBB515_9:
	s_or_b64 exec, exec, s[20:21]
	s_load_dwordx2 s[26:27], s[4:5], 0x7c
	s_mov_b64 s[20:21], -1
	s_and_b64 vcc, exec, s[10:11]
	s_cbranch_vccnz .LBB515_13
; %bb.10:
	s_andn2_b64 vcc, exec, s[20:21]
	s_cbranch_vccz .LBB515_16
.LBB515_11:
	s_cmp_lt_i32 s16, 1
	s_cbranch_scc0 .LBB515_19
.LBB515_12:
	s_endpgm
.LBB515_13:
	s_and_saveexec_b64 s[10:11], s[2:3]
	s_cbranch_execz .LBB515_15
; %bb.14:
	s_waitcnt lgkmcnt(0)
	s_mul_hi_i32 s21, s27, s6
	s_mul_i32 s20, s27, s6
	s_waitcnt vmcnt(0)
	v_cvt_f16_f32_e32 v2, v10
	v_cvt_f16_f32_e32 v3, v14
	v_cvt_f16_f32_e32 v4, v16
	v_cvt_f16_f32_e32 v5, v12
	v_cvt_f16_f32_e32 v6, v13
	v_cvt_f16_f32_e32 v7, v17
	v_cvt_f16_f32_e32 v8, v15
	v_cvt_f16_f32_e32 v9, v11
	s_lshl_b64 s[20:21], s[20:21], 1
	s_add_u32 s20, s14, s20
	s_addc_u32 s7, s15, s21
	s_and_b32 s21, s7, 0xffff
	s_mov_b32 s23, 0x20000
	v_pack_b32_f16 v5, v5, v6
	v_pack_b32_f16 v4, v4, v7
	;; [unrolled: 1-line block ×4, first 2 shown]
	v_lshlrev_b32_e32 v6, 4, v0
	buffer_store_dwordx4 v[2:5], v6, s[20:23], 0 offen
	;;#ASMSTART
	s_nop 0
	;;#ASMEND
.LBB515_15:
	s_or_b64 exec, exec, s[10:11]
	s_cbranch_execnz .LBB515_11
.LBB515_16:
	s_and_saveexec_b64 s[10:11], s[2:3]
	s_cbranch_execz .LBB515_18
; %bb.17:
	s_load_dwordx2 s[2:3], s[4:5], 0x10
	s_waitcnt lgkmcnt(0)
	s_mul_hi_i32 s21, s26, s6
	s_mul_i32 s20, s26, s6
	s_waitcnt vmcnt(0)
	v_cvt_f16_f32_e32 v2, v10
	v_cvt_f16_f32_e32 v3, v14
	;; [unrolled: 1-line block ×8, first 2 shown]
	s_lshl_b64 s[20:21], s[20:21], 1
	s_add_u32 s20, s2, s20
	s_addc_u32 s2, s3, s21
	s_mov_b32 s23, 0x20000
	s_and_b32 s21, s2, 0xffff
	v_pack_b32_f16 v5, v5, v6
	v_pack_b32_f16 v4, v4, v7
	;; [unrolled: 1-line block ×4, first 2 shown]
	v_lshlrev_b32_e32 v6, 4, v0
	buffer_store_dwordx4 v[2:5], v6, s[20:23], 0 offen
	;;#ASMSTART
	s_nop 0
	;;#ASMEND
.LBB515_18:
	s_or_b64 exec, exec, s[10:11]
	s_cmp_lt_i32 s16, 1
	s_cbranch_scc1 .LBB515_12
.LBB515_19:
	s_load_dword s2, s[4:5], 0x94
	s_waitcnt lgkmcnt(0)
	s_cmp_lg_u32 s2, 1
	s_cbranch_scc1 .LBB515_12
; %bb.20:
	s_lshl_b32 s2, s16, 1
	s_add_i32 s2, s2, 2
	v_cmp_gt_u32_e32 vcc, s16, v1
	s_and_b32 s10, s2, -4
	v_mov_b32_e32 v10, 0
	v_lshlrev_b32_e32 v1, 4, v0
	v_mov_b32_e32 v6, 0
	v_mov_b32_e32 v7, 0
	;; [unrolled: 1-line block ×4, first 2 shown]
	s_waitcnt vmcnt(0)
	v_mov_b32_e32 v2, 0
	v_mov_b32_e32 v3, 0
	;; [unrolled: 1-line block ×4, first 2 shown]
	s_barrier
	s_and_saveexec_b64 s[2:3], vcc
	s_cbranch_execz .LBB515_22
; %bb.21:
	s_mul_hi_i32 s5, s18, s6
	s_mul_i32 s4, s18, s6
	s_and_b32 s9, s9, 0xffff
	s_lshl_b64 s[4:5], s[4:5], 1
	s_add_u32 s20, s24, s4
	s_mov_b32 s11, 0x20000
	s_addc_u32 s4, s25, s5
	s_and_b32 s21, s4, 0xffff
	s_mov_b32 s22, s10
	s_mov_b32 s23, s11
	buffer_load_dwordx4 v[6:9], v1, s[20:23], 0 offen glc slc
	buffer_load_dwordx4 v[2:5], v1, s[8:11], 0 offen
.LBB515_22:
	s_or_b64 exec, exec, s[2:3]
	v_mov_b32_e32 v11, 0
	v_mov_b32_e32 v16, 0
	;; [unrolled: 1-line block ×7, first 2 shown]
	s_and_saveexec_b64 s[2:3], vcc
	s_cbranch_execz .LBB515_24
; %bb.23:
	s_waitcnt vmcnt(1)
	v_cvt_f32_f16_sdwa v11, v6 dst_sel:DWORD dst_unused:UNUSED_PAD src0_sel:WORD_1
	v_cvt_f32_f16_e32 v10, v6
	v_cvt_f32_f16_sdwa v17, v7 dst_sel:DWORD dst_unused:UNUSED_PAD src0_sel:WORD_1
	v_cvt_f32_f16_e32 v16, v7
	;; [unrolled: 2-line block ×4, first 2 shown]
.LBB515_24:
	s_or_b64 exec, exec, s[2:3]
	s_waitcnt vmcnt(1)
	v_mul_f32_e32 v6, v11, v11
	v_fmac_f32_e32 v6, v10, v10
	v_fmac_f32_e32 v6, v16, v16
	;; [unrolled: 1-line block ×7, first 2 shown]
	s_nop 1
	v_mov_b32_dpp v7, v6 quad_perm:[1,0,3,2] row_mask:0xf bank_mask:0xf
	v_add_f32_e32 v6, v6, v7
	s_nop 1
	v_mov_b32_dpp v7, v6 quad_perm:[2,3,0,1] row_mask:0xf bank_mask:0xf
	v_add_f32_e32 v6, v6, v7
	s_nop 1
	v_mov_b32_dpp v7, v6 row_half_mirror row_mask:0xf bank_mask:0xf
	v_add_f32_e32 v6, v6, v7
	s_nop 1
	v_mov_b32_dpp v7, v6 row_mirror row_mask:0xf bank_mask:0xf
	v_add_f32_e32 v6, v6, v7
	s_nop 1
	v_mov_b32_dpp v7, v6 row_bcast:15 row_mask:0xf bank_mask:0xf
	v_add_f32_e32 v6, v6, v7
	s_nop 1
	v_mov_b32_dpp v7, v6 row_bcast:31 row_mask:0xf bank_mask:0xf
	s_and_saveexec_b64 s[2:3], s[0:1]
	s_cbranch_execz .LBB515_26
; %bb.25:
	v_lshrrev_b32_e32 v0, 4, v0
	v_add_f32_e32 v6, v6, v7
	v_and_b32_e32 v0, 60, v0
	ds_write_b32 v0, v6
.LBB515_26:
	s_or_b64 exec, exec, s[2:3]
	s_waitcnt lgkmcnt(0)
	s_barrier
	ds_read_b32 v0, v18
	s_waitcnt lgkmcnt(0)
	s_nop 0
	v_mov_b32_dpp v6, v0 quad_perm:[1,0,3,2] row_mask:0xf bank_mask:0xf
	v_add_f32_e32 v0, v0, v6
	s_nop 1
	v_mov_b32_dpp v6, v0 quad_perm:[2,3,0,1] row_mask:0xf bank_mask:0xf
	s_and_saveexec_b64 s[0:1], vcc
	s_cbranch_execz .LBB515_12
; %bb.27:
	v_cvt_f32_u32_e32 v7, s16
	v_add_f32_e32 v0, v0, v6
	s_mov_b32 s11, 0x20000
	v_div_scale_f32 v6, s[0:1], v7, v7, v0
	v_rcp_f32_e32 v8, v6
	v_div_scale_f32 v9, vcc, v0, v7, v0
	s_mov_b32 s0, 0x800000
	v_fma_f32 v18, -v6, v8, 1.0
	v_fmac_f32_e32 v8, v18, v8
	v_mul_f32_e32 v18, v9, v8
	v_fma_f32 v19, -v6, v18, v9
	v_fmac_f32_e32 v18, v19, v8
	v_fma_f32 v6, -v6, v18, v9
	v_div_fmas_f32 v6, v6, v8, v18
	v_div_fixup_f32 v0, v6, v7, v0
	v_add_f32_e32 v0, s13, v0
	v_mul_f32_e32 v6, 0x4b800000, v0
	v_cmp_gt_f32_e32 vcc, s0, v0
	v_cndmask_b32_e32 v0, v0, v6, vcc
	v_rsq_f32_e32 v0, v0
	s_waitcnt vmcnt(0)
	v_cvt_f32_f16_sdwa v19, v3 dst_sel:DWORD dst_unused:UNUSED_PAD src0_sel:WORD_1
	v_cvt_f32_f16_e32 v18, v3
	s_mul_hi_i32 s1, s27, s6
	v_mul_f32_e32 v6, 0x45800000, v0
	v_cndmask_b32_e32 v6, v0, v6, vcc
	v_mov_b32_e32 v7, v6
	;;#ASMSTART
	v_pk_mul_f32 v[8:9], v[10:11], v[6:7]
	;;#ASMEND
	;;#ASMSTART
	v_pk_mul_f32 v[10:11], v[16:17], v[6:7]
	;;#ASMEND
	v_cvt_f32_f16_sdwa v17, v2 dst_sel:DWORD dst_unused:UNUSED_PAD src0_sel:WORD_1
	v_cvt_f32_f16_e32 v16, v2
	;;#ASMSTART
	v_pk_mul_f32 v[14:15], v[14:15], v[6:7]
	;;#ASMEND
	;;#ASMSTART
	v_pk_mul_f32 v[2:3], v[12:13], v[6:7]
	;;#ASMEND
	v_cvt_f32_f16_sdwa v13, v4 dst_sel:DWORD dst_unused:UNUSED_PAD src0_sel:WORD_1
	v_cvt_f32_f16_e32 v12, v4
	v_pk_add_f32 v[6:7], v[16:17], 1.0 op_sel_hi:[1,0]
	v_cvt_f32_f16_sdwa v17, v5 dst_sel:DWORD dst_unused:UNUSED_PAD src0_sel:WORD_1
	v_cvt_f32_f16_e32 v16, v5
	;;#ASMSTART
	v_pk_mul_f32 v[6:7], v[8:9], v[6:7]
	;;#ASMEND
	v_pk_add_f32 v[8:9], v[18:19], 1.0 op_sel_hi:[1,0]
	;;#ASMSTART
	v_pk_mul_f32 v[4:5], v[10:11], v[8:9]
	;;#ASMEND
	v_pk_add_f32 v[8:9], v[12:13], 1.0 op_sel_hi:[1,0]
	;; [unrolled: 4-line block ×3, first 2 shown]
	;;#ASMSTART
	v_pk_mul_f32 v[2:3], v[2:3], v[10:11]
	;;#ASMEND
	s_mul_i32 s0, s27, s6
	v_cvt_f16_f32_e32 v0, v6
	v_cvt_f16_f32_e32 v6, v7
	;; [unrolled: 1-line block ×8, first 2 shown]
	s_lshl_b64 s[0:1], s[0:1], 1
	s_add_u32 s8, s14, s0
	s_addc_u32 s0, s15, s1
	s_and_b32 s9, s0, 0xffff
	v_pack_b32_f16 v2, v0, v6
	v_pack_b32_f16 v3, v4, v5
	;; [unrolled: 1-line block ×4, first 2 shown]
	buffer_store_dwordx4 v[2:5], v1, s[8:11], 0 offen
	;;#ASMSTART
	s_nop 0
	;;#ASMEND
	s_endpgm
	.section	.rodata,"a",@progbits
	.p2align	6, 0x0
	.amdhsa_kernel _ZN5aiter35fused_qk_rmsnorm_group_quant_kernelIDF16_N4opus5fp4_tELi256ELi8ELi8ELb0ELb1ELb1ELb1ELb0ELb0EEEvPT0_PvPT_S7_S7_PKS6_S9_S9_S9_S9_ffiiiiiiiiiiiii
		.amdhsa_group_segment_fixed_size 32
		.amdhsa_private_segment_fixed_size 0
		.amdhsa_kernarg_size 400
		.amdhsa_user_sgpr_count 6
		.amdhsa_user_sgpr_private_segment_buffer 1
		.amdhsa_user_sgpr_dispatch_ptr 0
		.amdhsa_user_sgpr_queue_ptr 0
		.amdhsa_user_sgpr_kernarg_segment_ptr 1
		.amdhsa_user_sgpr_dispatch_id 0
		.amdhsa_user_sgpr_flat_scratch_init 0
		.amdhsa_user_sgpr_kernarg_preload_length 0
		.amdhsa_user_sgpr_kernarg_preload_offset 0
		.amdhsa_user_sgpr_private_segment_size 0
		.amdhsa_uses_dynamic_stack 0
		.amdhsa_system_sgpr_private_segment_wavefront_offset 0
		.amdhsa_system_sgpr_workgroup_id_x 1
		.amdhsa_system_sgpr_workgroup_id_y 1
		.amdhsa_system_sgpr_workgroup_id_z 0
		.amdhsa_system_sgpr_workgroup_info 0
		.amdhsa_system_vgpr_workitem_id 0
		.amdhsa_next_free_vgpr 23
		.amdhsa_next_free_sgpr 32
		.amdhsa_accum_offset 24
		.amdhsa_reserve_vcc 1
		.amdhsa_reserve_flat_scratch 0
		.amdhsa_float_round_mode_32 0
		.amdhsa_float_round_mode_16_64 0
		.amdhsa_float_denorm_mode_32 3
		.amdhsa_float_denorm_mode_16_64 3
		.amdhsa_dx10_clamp 1
		.amdhsa_ieee_mode 1
		.amdhsa_fp16_overflow 0
		.amdhsa_tg_split 0
		.amdhsa_exception_fp_ieee_invalid_op 0
		.amdhsa_exception_fp_denorm_src 0
		.amdhsa_exception_fp_ieee_div_zero 0
		.amdhsa_exception_fp_ieee_overflow 0
		.amdhsa_exception_fp_ieee_underflow 0
		.amdhsa_exception_fp_ieee_inexact 0
		.amdhsa_exception_int_div_zero 0
	.end_amdhsa_kernel
	.section	.text._ZN5aiter35fused_qk_rmsnorm_group_quant_kernelIDF16_N4opus5fp4_tELi256ELi8ELi8ELb0ELb1ELb1ELb1ELb0ELb0EEEvPT0_PvPT_S7_S7_PKS6_S9_S9_S9_S9_ffiiiiiiiiiiiii,"axG",@progbits,_ZN5aiter35fused_qk_rmsnorm_group_quant_kernelIDF16_N4opus5fp4_tELi256ELi8ELi8ELb0ELb1ELb1ELb1ELb0ELb0EEEvPT0_PvPT_S7_S7_PKS6_S9_S9_S9_S9_ffiiiiiiiiiiiii,comdat
.Lfunc_end515:
	.size	_ZN5aiter35fused_qk_rmsnorm_group_quant_kernelIDF16_N4opus5fp4_tELi256ELi8ELi8ELb0ELb1ELb1ELb1ELb0ELb0EEEvPT0_PvPT_S7_S7_PKS6_S9_S9_S9_S9_ffiiiiiiiiiiiii, .Lfunc_end515-_ZN5aiter35fused_qk_rmsnorm_group_quant_kernelIDF16_N4opus5fp4_tELi256ELi8ELi8ELb0ELb1ELb1ELb1ELb0ELb0EEEvPT0_PvPT_S7_S7_PKS6_S9_S9_S9_S9_ffiiiiiiiiiiiii
                                        ; -- End function
	.section	.AMDGPU.csdata,"",@progbits
; Kernel info:
; codeLenInByte = 2100
; NumSgprs: 36
; NumVgprs: 23
; NumAgprs: 0
; TotalNumVgprs: 23
; ScratchSize: 0
; MemoryBound: 0
; FloatMode: 240
; IeeeMode: 1
; LDSByteSize: 32 bytes/workgroup (compile time only)
; SGPRBlocks: 4
; VGPRBlocks: 2
; NumSGPRsForWavesPerEU: 36
; NumVGPRsForWavesPerEU: 23
; AccumOffset: 24
; Occupancy: 8
; WaveLimiterHint : 0
; COMPUTE_PGM_RSRC2:SCRATCH_EN: 0
; COMPUTE_PGM_RSRC2:USER_SGPR: 6
; COMPUTE_PGM_RSRC2:TRAP_HANDLER: 0
; COMPUTE_PGM_RSRC2:TGID_X_EN: 1
; COMPUTE_PGM_RSRC2:TGID_Y_EN: 1
; COMPUTE_PGM_RSRC2:TGID_Z_EN: 0
; COMPUTE_PGM_RSRC2:TIDIG_COMP_CNT: 0
; COMPUTE_PGM_RSRC3_GFX90A:ACCUM_OFFSET: 5
; COMPUTE_PGM_RSRC3_GFX90A:TG_SPLIT: 0
	.section	.text._ZN5aiter35fused_qk_rmsnorm_group_quant_kernelItN4opus5fp4_tELi256ELi8ELi8ELb0ELb1ELb1ELb1ELb0ELb0EEEvPT0_PvPT_S7_S7_PKS6_S9_S9_S9_S9_ffiiiiiiiiiiiii,"axG",@progbits,_ZN5aiter35fused_qk_rmsnorm_group_quant_kernelItN4opus5fp4_tELi256ELi8ELi8ELb0ELb1ELb1ELb1ELb0ELb0EEEvPT0_PvPT_S7_S7_PKS6_S9_S9_S9_S9_ffiiiiiiiiiiiii,comdat
	.protected	_ZN5aiter35fused_qk_rmsnorm_group_quant_kernelItN4opus5fp4_tELi256ELi8ELi8ELb0ELb1ELb1ELb1ELb0ELb0EEEvPT0_PvPT_S7_S7_PKS6_S9_S9_S9_S9_ffiiiiiiiiiiiii ; -- Begin function _ZN5aiter35fused_qk_rmsnorm_group_quant_kernelItN4opus5fp4_tELi256ELi8ELi8ELb0ELb1ELb1ELb1ELb0ELb0EEEvPT0_PvPT_S7_S7_PKS6_S9_S9_S9_S9_ffiiiiiiiiiiiii
	.globl	_ZN5aiter35fused_qk_rmsnorm_group_quant_kernelItN4opus5fp4_tELi256ELi8ELi8ELb0ELb1ELb1ELb1ELb0ELb0EEEvPT0_PvPT_S7_S7_PKS6_S9_S9_S9_S9_ffiiiiiiiiiiiii
	.p2align	8
	.type	_ZN5aiter35fused_qk_rmsnorm_group_quant_kernelItN4opus5fp4_tELi256ELi8ELi8ELb0ELb1ELb1ELb1ELb0ELb0EEEvPT0_PvPT_S7_S7_PKS6_S9_S9_S9_S9_ffiiiiiiiiiiiii,@function
_ZN5aiter35fused_qk_rmsnorm_group_quant_kernelItN4opus5fp4_tELi256ELi8ELi8ELb0ELb1ELb1ELb1ELb0ELb0EEEvPT0_PvPT_S7_S7_PKS6_S9_S9_S9_S9_ffiiiiiiiiiiiii: ; @_ZN5aiter35fused_qk_rmsnorm_group_quant_kernelItN4opus5fp4_tELi256ELi8ELi8ELb0ELb1ELb1ELb1ELb0ELb0EEEvPT0_PvPT_S7_S7_PKS6_S9_S9_S9_S9_ffiiiiiiiiiiiii
; %bb.0:
	s_load_dwordx4 s[12:15], s[4:5], 0x50
	s_waitcnt lgkmcnt(0)
	s_cmp_ge_i32 s6, s14
	s_cbranch_scc1 .LBB516_10
; %bb.1:
	s_load_dwordx2 s[24:25], s[4:5], 0x30
	s_load_dwordx2 s[8:9], s[4:5], 0x48
	s_load_dwordx4 s[16:19], s[4:5], 0x60
	s_cmp_lg_u32 s7, 0
	s_cselect_b64 s[10:11], -1, 0
	s_cmp_eq_u32 s7, 0
	s_cselect_b64 vcc, -1, 0
	s_and_b64 s[0:1], vcc, exec
	s_waitcnt lgkmcnt(0)
	s_cselect_b32 s7, s15, s16
	s_add_i32 s0, s7, 1
	s_lshr_b32 s1, s0, 31
	s_add_i32 s0, s0, s1
	s_lshl_b32 s0, s0, 1
	v_lshlrev_b32_e32 v1, 3, v0
	s_and_b32 s22, s0, -4
	v_cmp_gt_i32_e64 s[2:3], s7, v1
	v_mov_b32_e32 v2, 0
	v_mov_b32_e32 v3, 0
	;; [unrolled: 1-line block ×8, first 2 shown]
	s_and_saveexec_b64 s[0:1], s[2:3]
	s_cbranch_execz .LBB516_3
; %bb.2:
	s_load_dwordx2 s[14:15], s[4:5], 0x28
	s_load_dwordx2 s[20:21], s[4:5], 0x40
	s_and_b64 s[26:27], vcc, exec
	s_cselect_b32 s17, s17, s18
	v_lshlrev_b32_e32 v10, 4, v0
	s_waitcnt lgkmcnt(0)
	s_cselect_b32 s19, s15, s25
	s_cselect_b32 s23, s14, s24
	s_mul_hi_i32 s15, s17, s6
	s_mul_i32 s14, s17, s6
	s_lshl_b64 s[14:15], s[14:15], 1
	s_add_u32 s28, s23, s14
	s_addc_u32 s17, s19, s15
	s_and_b64 s[14:15], vcc, exec
	s_mov_b32 s23, 0x20000
	s_cselect_b32 s20, s20, s8
	s_cselect_b32 s14, s21, s9
	s_and_b32 s29, s17, 0xffff
	s_mov_b32 s30, s22
	s_mov_b32 s31, s23
	s_and_b32 s21, s14, 0xffff
	buffer_load_dwordx4 v[6:9], v10, s[28:31], 0 offen glc slc
	buffer_load_dwordx4 v[2:5], v10, s[20:23], 0 offen
.LBB516_3:
	s_or_b64 exec, exec, s[0:1]
	s_waitcnt vmcnt(1)
	v_cvt_f32_u32_sdwa v14, v6 dst_sel:DWORD dst_unused:UNUSED_PAD src0_sel:WORD_0
	v_cvt_f32_u32_sdwa v15, v6 dst_sel:DWORD dst_unused:UNUSED_PAD src0_sel:WORD_1
	v_cvt_f32_u32_sdwa v6, v9 dst_sel:DWORD dst_unused:UNUSED_PAD src0_sel:WORD_1
	v_cvt_f32_u32_sdwa v9, v9 dst_sel:DWORD dst_unused:UNUSED_PAD src0_sel:WORD_0
	v_cvt_f32_u32_sdwa v10, v8 dst_sel:DWORD dst_unused:UNUSED_PAD src0_sel:WORD_1
	v_cvt_f32_u32_sdwa v8, v8 dst_sel:DWORD dst_unused:UNUSED_PAD src0_sel:WORD_0
	v_cvt_f32_u32_sdwa v12, v7 dst_sel:DWORD dst_unused:UNUSED_PAD src0_sel:WORD_0
	v_cvt_f32_u32_sdwa v13, v7 dst_sel:DWORD dst_unused:UNUSED_PAD src0_sel:WORD_1
	v_cndmask_b32_e64 v7, 0, v6, s[2:3]
	v_cndmask_b32_e64 v6, 0, v9, s[2:3]
	;; [unrolled: 1-line block ×6, first 2 shown]
	v_mul_f32_e32 v14, v9, v9
	v_cndmask_b32_e64 v12, 0, v12, s[2:3]
	v_fmac_f32_e32 v14, v8, v8
	v_cndmask_b32_e64 v13, 0, v13, s[2:3]
	v_fmac_f32_e32 v14, v12, v12
	v_fmac_f32_e32 v14, v13, v13
	;; [unrolled: 1-line block ×6, first 2 shown]
	v_and_b32_e32 v16, 63, v0
	v_cmp_eq_u32_e64 s[0:1], 63, v16
	v_mov_b32_dpp v15, v14 quad_perm:[1,0,3,2] row_mask:0xf bank_mask:0xf
	v_add_f32_e32 v14, v14, v15
	s_nop 1
	v_mov_b32_dpp v15, v14 quad_perm:[2,3,0,1] row_mask:0xf bank_mask:0xf
	v_add_f32_e32 v14, v14, v15
	s_nop 1
	v_mov_b32_dpp v15, v14 row_half_mirror row_mask:0xf bank_mask:0xf
	v_add_f32_e32 v14, v14, v15
	s_nop 1
	v_mov_b32_dpp v15, v14 row_mirror row_mask:0xf bank_mask:0xf
	v_add_f32_e32 v14, v14, v15
	s_nop 1
	v_mov_b32_dpp v15, v14 row_bcast:15 row_mask:0xf bank_mask:0xf
	v_add_f32_e32 v14, v14, v15
	s_nop 1
	v_mov_b32_dpp v15, v14 row_bcast:31 row_mask:0xf bank_mask:0xf
	s_and_saveexec_b64 s[14:15], s[0:1]
	s_cbranch_execz .LBB516_5
; %bb.4:
	v_add_f32_e32 v14, v14, v15
	v_lshrrev_b32_e32 v15, 4, v0
	v_and_b32_e32 v15, 60, v15
	ds_write_b32 v15, v14 offset:16
.LBB516_5:
	s_or_b64 exec, exec, s[14:15]
	v_and_b32_e32 v14, 3, v0
	v_lshlrev_b32_e32 v14, 2, v14
	s_waitcnt lgkmcnt(0)
	s_barrier
	ds_read_b32 v15, v14 offset:16
	s_load_dwordx2 s[14:15], s[4:5], 0x18
	s_waitcnt lgkmcnt(0)
	v_mov_b32_dpp v16, v15 quad_perm:[1,0,3,2] row_mask:0xf bank_mask:0xf
	v_add_f32_e32 v15, v15, v16
	s_nop 1
	v_mov_b32_dpp v16, v15 quad_perm:[2,3,0,1] row_mask:0xf bank_mask:0xf
	s_and_saveexec_b64 s[20:21], s[2:3]
	s_cbranch_execz .LBB516_7
; %bb.6:
	v_cvt_f32_u32_e32 v17, s7
	v_add_f32_e32 v15, v15, v16
	v_mov_b32_e32 v19, s13
	v_mov_b32_e32 v20, s12
	v_div_scale_f32 v16, s[26:27], v17, v17, v15
	v_rcp_f32_e32 v18, v16
	v_cndmask_b32_e32 v19, v19, v20, vcc
	s_mov_b32 s7, 0x800000
	v_fma_f32 v20, -v16, v18, 1.0
	v_fmac_f32_e32 v18, v20, v18
	v_div_scale_f32 v20, vcc, v15, v17, v15
	v_mul_f32_e32 v21, v20, v18
	v_fma_f32 v22, -v16, v21, v20
	v_fmac_f32_e32 v21, v22, v18
	v_fma_f32 v16, -v16, v21, v20
	v_div_fmas_f32 v16, v16, v18, v21
	v_div_fixup_f32 v15, v16, v17, v15
	v_add_f32_e32 v15, v19, v15
	v_mul_f32_e32 v16, 0x4b800000, v15
	v_cmp_gt_f32_e32 vcc, s7, v15
	v_cndmask_b32_e32 v15, v15, v16, vcc
	v_rsq_f32_e32 v15, v15
	s_waitcnt vmcnt(0)
	v_cvt_f32_u32_sdwa v19, v2 dst_sel:DWORD dst_unused:UNUSED_PAD src0_sel:WORD_1
	v_cvt_f32_u32_sdwa v18, v2 dst_sel:DWORD dst_unused:UNUSED_PAD src0_sel:WORD_0
	v_cvt_f32_u32_sdwa v21, v3 dst_sel:DWORD dst_unused:UNUSED_PAD src0_sel:WORD_1
	v_mul_f32_e32 v16, 0x45800000, v15
	v_cndmask_b32_e32 v16, v15, v16, vcc
	v_mov_b32_e32 v17, v16
	;;#ASMSTART
	v_pk_mul_f32 v[8:9], v[8:9], v[16:17]
	;;#ASMEND
	;;#ASMSTART
	v_pk_mul_f32 v[12:13], v[12:13], v[16:17]
	;;#ASMEND
	;; [unrolled: 3-line block ×3, first 2 shown]
	v_cvt_f32_u32_sdwa v20, v3 dst_sel:DWORD dst_unused:UNUSED_PAD src0_sel:WORD_0
	;;#ASMSTART
	v_pk_mul_f32 v[2:3], v[6:7], v[16:17]
	;;#ASMEND
	v_cvt_f32_u32_sdwa v17, v4 dst_sel:DWORD dst_unused:UNUSED_PAD src0_sel:WORD_1
	v_cvt_f32_u32_sdwa v16, v4 dst_sel:DWORD dst_unused:UNUSED_PAD src0_sel:WORD_0
	v_pk_add_f32 v[6:7], v[18:19], 1.0 op_sel_hi:[1,0]
	v_cvt_f32_u32_sdwa v19, v5 dst_sel:DWORD dst_unused:UNUSED_PAD src0_sel:WORD_1
	v_cvt_f32_u32_sdwa v18, v5 dst_sel:DWORD dst_unused:UNUSED_PAD src0_sel:WORD_0
	;;#ASMSTART
	v_pk_mul_f32 v[8:9], v[8:9], v[6:7]
	;;#ASMEND
	v_pk_add_f32 v[6:7], v[20:21], 1.0 op_sel_hi:[1,0]
	v_pk_add_f32 v[4:5], v[16:17], 1.0 op_sel_hi:[1,0]
	;;#ASMSTART
	v_pk_mul_f32 v[12:13], v[12:13], v[6:7]
	;;#ASMEND
	;;#ASMSTART
	v_pk_mul_f32 v[10:11], v[10:11], v[4:5]
	;;#ASMEND
	v_pk_add_f32 v[4:5], v[18:19], 1.0 op_sel_hi:[1,0]
	;;#ASMSTART
	v_pk_mul_f32 v[6:7], v[2:3], v[4:5]
	;;#ASMEND
.LBB516_7:
	s_or_b64 exec, exec, s[20:21]
	s_load_dwordx2 s[26:27], s[4:5], 0x7c
	s_mov_b64 s[20:21], -1
	s_and_b64 vcc, exec, s[10:11]
	s_cbranch_vccnz .LBB516_11
; %bb.8:
	s_andn2_b64 vcc, exec, s[20:21]
	s_cbranch_vccz .LBB516_14
.LBB516_9:
	s_cmp_lt_i32 s16, 1
	s_cbranch_scc0 .LBB516_17
.LBB516_10:
	s_endpgm
.LBB516_11:
	s_and_saveexec_b64 s[10:11], s[2:3]
	s_cbranch_execz .LBB516_13
; %bb.12:
	s_waitcnt lgkmcnt(0)
	s_mul_hi_i32 s21, s27, s6
	s_mul_i32 s20, s27, s6
	s_lshl_b64 s[20:21], s[20:21], 1
	s_add_u32 s20, s14, s20
	s_addc_u32 s7, s15, s21
	s_and_b32 s21, s7, 0xffff
	s_mov_b32 s7, 0x7060302
	s_mov_b32 s23, 0x20000
	s_waitcnt vmcnt(0)
	v_perm_b32 v2, v9, v8, s7
	v_perm_b32 v3, v13, v12, s7
	;; [unrolled: 1-line block ×4, first 2 shown]
	v_lshlrev_b32_e32 v15, 4, v0
	buffer_store_dwordx4 v[2:5], v15, s[20:23], 0 offen
	;;#ASMSTART
	s_nop 0
	;;#ASMEND
.LBB516_13:
	s_or_b64 exec, exec, s[10:11]
	s_cbranch_execnz .LBB516_9
.LBB516_14:
	s_and_saveexec_b64 s[10:11], s[2:3]
	s_cbranch_execz .LBB516_16
; %bb.15:
	s_load_dwordx2 s[2:3], s[4:5], 0x10
	s_waitcnt lgkmcnt(0)
	s_mul_hi_i32 s21, s26, s6
	s_mul_i32 s20, s26, s6
	s_lshl_b64 s[20:21], s[20:21], 1
	s_mov_b32 s23, 0x20000
	s_add_u32 s20, s2, s20
	s_addc_u32 s2, s3, s21
	s_and_b32 s21, s2, 0xffff
	s_mov_b32 s2, 0x7060302
	s_waitcnt vmcnt(0)
	v_perm_b32 v2, v9, v8, s2
	v_perm_b32 v3, v13, v12, s2
	;; [unrolled: 1-line block ×4, first 2 shown]
	v_lshlrev_b32_e32 v6, 4, v0
	buffer_store_dwordx4 v[2:5], v6, s[20:23], 0 offen
	;;#ASMSTART
	s_nop 0
	;;#ASMEND
.LBB516_16:
	s_or_b64 exec, exec, s[10:11]
	s_cmp_lt_i32 s16, 1
	s_cbranch_scc1 .LBB516_10
.LBB516_17:
	s_load_dword s2, s[4:5], 0x94
	s_waitcnt lgkmcnt(0)
	s_cmp_lg_u32 s2, 1
	s_cbranch_scc1 .LBB516_10
; %bb.18:
	s_lshl_b32 s2, s16, 1
	s_add_i32 s2, s2, 2
	v_cmp_gt_u32_e32 vcc, s16, v1
	s_and_b32 s10, s2, -4
	v_mov_b32_e32 v6, 0
	v_lshlrev_b32_e32 v1, 4, v0
	v_mov_b32_e32 v7, 0
	v_mov_b32_e32 v8, 0
	;; [unrolled: 1-line block ×3, first 2 shown]
	s_waitcnt vmcnt(0)
	v_mov_b32_e32 v2, 0
	v_mov_b32_e32 v3, 0
	;; [unrolled: 1-line block ×4, first 2 shown]
	s_barrier
	s_and_saveexec_b64 s[2:3], vcc
	s_cbranch_execz .LBB516_20
; %bb.19:
	s_mul_hi_i32 s5, s18, s6
	s_mul_i32 s4, s18, s6
	s_and_b32 s9, s9, 0xffff
	s_lshl_b64 s[4:5], s[4:5], 1
	s_add_u32 s20, s24, s4
	s_mov_b32 s11, 0x20000
	s_addc_u32 s4, s25, s5
	s_and_b32 s21, s4, 0xffff
	s_mov_b32 s22, s10
	s_mov_b32 s23, s11
	buffer_load_dwordx4 v[6:9], v1, s[20:23], 0 offen glc slc
	buffer_load_dwordx4 v[2:5], v1, s[8:11], 0 offen
.LBB516_20:
	s_or_b64 exec, exec, s[2:3]
	s_waitcnt vmcnt(1)
	v_cvt_f32_u32_sdwa v13, v6 dst_sel:DWORD dst_unused:UNUSED_PAD src0_sel:WORD_1
	v_cvt_f32_u32_sdwa v12, v6 dst_sel:DWORD dst_unused:UNUSED_PAD src0_sel:WORD_0
	v_cvt_f32_u32_sdwa v6, v9 dst_sel:DWORD dst_unused:UNUSED_PAD src0_sel:WORD_1
	v_cvt_f32_u32_sdwa v9, v9 dst_sel:DWORD dst_unused:UNUSED_PAD src0_sel:WORD_0
	;; [unrolled: 2-line block ×4, first 2 shown]
	v_cndmask_b32_e32 v13, 0, v13, vcc
	v_cndmask_b32_e32 v7, 0, v6, vcc
	;; [unrolled: 1-line block ×5, first 2 shown]
	v_mul_f32_e32 v15, v13, v13
	v_cndmask_b32_e32 v10, 0, v10, vcc
	v_fmac_f32_e32 v15, v12, v12
	v_cndmask_b32_e32 v11, 0, v11, vcc
	v_fmac_f32_e32 v15, v10, v10
	;; [unrolled: 2-line block ×3, first 2 shown]
	v_fmac_f32_e32 v15, v8, v8
	v_fmac_f32_e32 v15, v9, v9
	;; [unrolled: 1-line block ×4, first 2 shown]
	s_nop 1
	v_mov_b32_dpp v16, v15 quad_perm:[1,0,3,2] row_mask:0xf bank_mask:0xf
	v_add_f32_e32 v15, v15, v16
	s_nop 1
	v_mov_b32_dpp v16, v15 quad_perm:[2,3,0,1] row_mask:0xf bank_mask:0xf
	v_add_f32_e32 v15, v15, v16
	s_nop 1
	v_mov_b32_dpp v16, v15 row_half_mirror row_mask:0xf bank_mask:0xf
	v_add_f32_e32 v15, v15, v16
	s_nop 1
	v_mov_b32_dpp v16, v15 row_mirror row_mask:0xf bank_mask:0xf
	v_add_f32_e32 v15, v15, v16
	s_nop 1
	v_mov_b32_dpp v16, v15 row_bcast:15 row_mask:0xf bank_mask:0xf
	v_add_f32_e32 v15, v15, v16
	s_nop 1
	v_mov_b32_dpp v16, v15 row_bcast:31 row_mask:0xf bank_mask:0xf
	s_and_saveexec_b64 s[2:3], s[0:1]
	s_cbranch_execz .LBB516_22
; %bb.21:
	v_lshrrev_b32_e32 v0, 4, v0
	v_add_f32_e32 v15, v15, v16
	v_and_b32_e32 v0, 60, v0
	ds_write_b32 v0, v15
.LBB516_22:
	s_or_b64 exec, exec, s[2:3]
	s_waitcnt lgkmcnt(0)
	s_barrier
	ds_read_b32 v0, v14
	s_waitcnt lgkmcnt(0)
	s_nop 0
	v_mov_b32_dpp v14, v0 quad_perm:[1,0,3,2] row_mask:0xf bank_mask:0xf
	v_add_f32_e32 v0, v0, v14
	s_nop 1
	v_mov_b32_dpp v14, v0 quad_perm:[2,3,0,1] row_mask:0xf bank_mask:0xf
	s_and_saveexec_b64 s[0:1], vcc
	s_cbranch_execz .LBB516_10
; %bb.23:
	v_cvt_f32_u32_e32 v15, s16
	v_add_f32_e32 v0, v0, v14
	s_mov_b32 s11, 0x20000
	v_div_scale_f32 v14, s[0:1], v15, v15, v0
	v_rcp_f32_e32 v16, v14
	v_div_scale_f32 v17, vcc, v0, v15, v0
	s_mov_b32 s0, 0x800000
	v_fma_f32 v18, -v14, v16, 1.0
	v_fmac_f32_e32 v16, v18, v16
	v_mul_f32_e32 v18, v17, v16
	v_fma_f32 v19, -v14, v18, v17
	v_fmac_f32_e32 v18, v19, v16
	v_fma_f32 v14, -v14, v18, v17
	v_div_fmas_f32 v14, v14, v16, v18
	v_div_fixup_f32 v0, v14, v15, v0
	v_add_f32_e32 v0, s13, v0
	v_mul_f32_e32 v14, 0x4b800000, v0
	v_cmp_gt_f32_e32 vcc, s0, v0
	v_cndmask_b32_e32 v0, v0, v14, vcc
	v_rsq_f32_e32 v0, v0
	s_waitcnt vmcnt(0)
	v_cvt_f32_u32_sdwa v17, v2 dst_sel:DWORD dst_unused:UNUSED_PAD src0_sel:WORD_1
	v_cvt_f32_u32_sdwa v16, v2 dst_sel:DWORD dst_unused:UNUSED_PAD src0_sel:WORD_0
	v_cvt_f32_u32_sdwa v19, v3 dst_sel:DWORD dst_unused:UNUSED_PAD src0_sel:WORD_1
	v_mul_f32_e32 v14, 0x45800000, v0
	v_cndmask_b32_e32 v14, v0, v14, vcc
	v_mov_b32_e32 v15, v14
	;;#ASMSTART
	v_pk_mul_f32 v[12:13], v[12:13], v[14:15]
	;;#ASMEND
	;;#ASMSTART
	v_pk_mul_f32 v[10:11], v[10:11], v[14:15]
	;;#ASMEND
	;;#ASMSTART
	v_pk_mul_f32 v[8:9], v[8:9], v[14:15]
	;;#ASMEND
	v_cvt_f32_u32_sdwa v18, v3 dst_sel:DWORD dst_unused:UNUSED_PAD src0_sel:WORD_0
	;;#ASMSTART
	v_pk_mul_f32 v[2:3], v[6:7], v[14:15]
	;;#ASMEND
	v_cvt_f32_u32_sdwa v15, v4 dst_sel:DWORD dst_unused:UNUSED_PAD src0_sel:WORD_1
	v_cvt_f32_u32_sdwa v14, v4 dst_sel:DWORD dst_unused:UNUSED_PAD src0_sel:WORD_0
	v_pk_add_f32 v[6:7], v[16:17], 1.0 op_sel_hi:[1,0]
	v_cvt_f32_u32_sdwa v17, v5 dst_sel:DWORD dst_unused:UNUSED_PAD src0_sel:WORD_1
	v_cvt_f32_u32_sdwa v16, v5 dst_sel:DWORD dst_unused:UNUSED_PAD src0_sel:WORD_0
	s_mul_hi_i32 s1, s27, s6
	s_mul_i32 s0, s27, s6
	s_lshl_b64 s[0:1], s[0:1], 1
	s_add_u32 s8, s14, s0
	;;#ASMSTART
	v_pk_mul_f32 v[6:7], v[12:13], v[6:7]
	;;#ASMEND
	v_pk_add_f32 v[12:13], v[18:19], 1.0 op_sel_hi:[1,0]
	;;#ASMSTART
	v_pk_mul_f32 v[4:5], v[10:11], v[12:13]
	;;#ASMEND
	v_pk_add_f32 v[10:11], v[14:15], 1.0 op_sel_hi:[1,0]
	s_addc_u32 s0, s15, s1
	;;#ASMSTART
	v_pk_mul_f32 v[8:9], v[8:9], v[10:11]
	;;#ASMEND
	v_pk_add_f32 v[10:11], v[16:17], 1.0 op_sel_hi:[1,0]
	s_and_b32 s9, s0, 0xffff
	s_mov_b32 s0, 0x7060302
	;;#ASMSTART
	v_pk_mul_f32 v[10:11], v[2:3], v[10:11]
	;;#ASMEND
	v_perm_b32 v2, v7, v6, s0
	v_perm_b32 v3, v5, v4, s0
	;; [unrolled: 1-line block ×4, first 2 shown]
	buffer_store_dwordx4 v[2:5], v1, s[8:11], 0 offen
	;;#ASMSTART
	s_nop 0
	;;#ASMEND
	s_endpgm
	.section	.rodata,"a",@progbits
	.p2align	6, 0x0
	.amdhsa_kernel _ZN5aiter35fused_qk_rmsnorm_group_quant_kernelItN4opus5fp4_tELi256ELi8ELi8ELb0ELb1ELb1ELb1ELb0ELb0EEEvPT0_PvPT_S7_S7_PKS6_S9_S9_S9_S9_ffiiiiiiiiiiiii
		.amdhsa_group_segment_fixed_size 32
		.amdhsa_private_segment_fixed_size 0
		.amdhsa_kernarg_size 400
		.amdhsa_user_sgpr_count 6
		.amdhsa_user_sgpr_private_segment_buffer 1
		.amdhsa_user_sgpr_dispatch_ptr 0
		.amdhsa_user_sgpr_queue_ptr 0
		.amdhsa_user_sgpr_kernarg_segment_ptr 1
		.amdhsa_user_sgpr_dispatch_id 0
		.amdhsa_user_sgpr_flat_scratch_init 0
		.amdhsa_user_sgpr_kernarg_preload_length 0
		.amdhsa_user_sgpr_kernarg_preload_offset 0
		.amdhsa_user_sgpr_private_segment_size 0
		.amdhsa_uses_dynamic_stack 0
		.amdhsa_system_sgpr_private_segment_wavefront_offset 0
		.amdhsa_system_sgpr_workgroup_id_x 1
		.amdhsa_system_sgpr_workgroup_id_y 1
		.amdhsa_system_sgpr_workgroup_id_z 0
		.amdhsa_system_sgpr_workgroup_info 0
		.amdhsa_system_vgpr_workitem_id 0
		.amdhsa_next_free_vgpr 23
		.amdhsa_next_free_sgpr 32
		.amdhsa_accum_offset 24
		.amdhsa_reserve_vcc 1
		.amdhsa_reserve_flat_scratch 0
		.amdhsa_float_round_mode_32 0
		.amdhsa_float_round_mode_16_64 0
		.amdhsa_float_denorm_mode_32 3
		.amdhsa_float_denorm_mode_16_64 3
		.amdhsa_dx10_clamp 1
		.amdhsa_ieee_mode 1
		.amdhsa_fp16_overflow 0
		.amdhsa_tg_split 0
		.amdhsa_exception_fp_ieee_invalid_op 0
		.amdhsa_exception_fp_denorm_src 0
		.amdhsa_exception_fp_ieee_div_zero 0
		.amdhsa_exception_fp_ieee_overflow 0
		.amdhsa_exception_fp_ieee_underflow 0
		.amdhsa_exception_fp_ieee_inexact 0
		.amdhsa_exception_int_div_zero 0
	.end_amdhsa_kernel
	.section	.text._ZN5aiter35fused_qk_rmsnorm_group_quant_kernelItN4opus5fp4_tELi256ELi8ELi8ELb0ELb1ELb1ELb1ELb0ELb0EEEvPT0_PvPT_S7_S7_PKS6_S9_S9_S9_S9_ffiiiiiiiiiiiii,"axG",@progbits,_ZN5aiter35fused_qk_rmsnorm_group_quant_kernelItN4opus5fp4_tELi256ELi8ELi8ELb0ELb1ELb1ELb1ELb0ELb0EEEvPT0_PvPT_S7_S7_PKS6_S9_S9_S9_S9_ffiiiiiiiiiiiii,comdat
.Lfunc_end516:
	.size	_ZN5aiter35fused_qk_rmsnorm_group_quant_kernelItN4opus5fp4_tELi256ELi8ELi8ELb0ELb1ELb1ELb1ELb0ELb0EEEvPT0_PvPT_S7_S7_PKS6_S9_S9_S9_S9_ffiiiiiiiiiiiii, .Lfunc_end516-_ZN5aiter35fused_qk_rmsnorm_group_quant_kernelItN4opus5fp4_tELi256ELi8ELi8ELb0ELb1ELb1ELb1ELb0ELb0EEEvPT0_PvPT_S7_S7_PKS6_S9_S9_S9_S9_ffiiiiiiiiiiiii
                                        ; -- End function
	.section	.AMDGPU.csdata,"",@progbits
; Kernel info:
; codeLenInByte = 2092
; NumSgprs: 36
; NumVgprs: 23
; NumAgprs: 0
; TotalNumVgprs: 23
; ScratchSize: 0
; MemoryBound: 0
; FloatMode: 240
; IeeeMode: 1
; LDSByteSize: 32 bytes/workgroup (compile time only)
; SGPRBlocks: 4
; VGPRBlocks: 2
; NumSGPRsForWavesPerEU: 36
; NumVGPRsForWavesPerEU: 23
; AccumOffset: 24
; Occupancy: 8
; WaveLimiterHint : 0
; COMPUTE_PGM_RSRC2:SCRATCH_EN: 0
; COMPUTE_PGM_RSRC2:USER_SGPR: 6
; COMPUTE_PGM_RSRC2:TRAP_HANDLER: 0
; COMPUTE_PGM_RSRC2:TGID_X_EN: 1
; COMPUTE_PGM_RSRC2:TGID_Y_EN: 1
; COMPUTE_PGM_RSRC2:TGID_Z_EN: 0
; COMPUTE_PGM_RSRC2:TIDIG_COMP_CNT: 0
; COMPUTE_PGM_RSRC3_GFX90A:ACCUM_OFFSET: 5
; COMPUTE_PGM_RSRC3_GFX90A:TG_SPLIT: 0
	.section	.text._ZN5aiter35fused_qk_rmsnorm_group_quant_kernelIDF16_DB8_Li256ELi8ELi8ELb0ELb1ELb0ELb1ELb0ELb0EEEvPT0_PvPT_S6_S6_PKS5_S8_S8_S8_S8_ffiiiiiiiiiiiii,"axG",@progbits,_ZN5aiter35fused_qk_rmsnorm_group_quant_kernelIDF16_DB8_Li256ELi8ELi8ELb0ELb1ELb0ELb1ELb0ELb0EEEvPT0_PvPT_S6_S6_PKS5_S8_S8_S8_S8_ffiiiiiiiiiiiii,comdat
	.protected	_ZN5aiter35fused_qk_rmsnorm_group_quant_kernelIDF16_DB8_Li256ELi8ELi8ELb0ELb1ELb0ELb1ELb0ELb0EEEvPT0_PvPT_S6_S6_PKS5_S8_S8_S8_S8_ffiiiiiiiiiiiii ; -- Begin function _ZN5aiter35fused_qk_rmsnorm_group_quant_kernelIDF16_DB8_Li256ELi8ELi8ELb0ELb1ELb0ELb1ELb0ELb0EEEvPT0_PvPT_S6_S6_PKS5_S8_S8_S8_S8_ffiiiiiiiiiiiii
	.globl	_ZN5aiter35fused_qk_rmsnorm_group_quant_kernelIDF16_DB8_Li256ELi8ELi8ELb0ELb1ELb0ELb1ELb0ELb0EEEvPT0_PvPT_S6_S6_PKS5_S8_S8_S8_S8_ffiiiiiiiiiiiii
	.p2align	8
	.type	_ZN5aiter35fused_qk_rmsnorm_group_quant_kernelIDF16_DB8_Li256ELi8ELi8ELb0ELb1ELb0ELb1ELb0ELb0EEEvPT0_PvPT_S6_S6_PKS5_S8_S8_S8_S8_ffiiiiiiiiiiiii,@function
_ZN5aiter35fused_qk_rmsnorm_group_quant_kernelIDF16_DB8_Li256ELi8ELi8ELb0ELb1ELb0ELb1ELb0ELb0EEEvPT0_PvPT_S6_S6_PKS5_S8_S8_S8_S8_ffiiiiiiiiiiiii: ; @_ZN5aiter35fused_qk_rmsnorm_group_quant_kernelIDF16_DB8_Li256ELi8ELi8ELb0ELb1ELb0ELb1ELb0ELb0EEEvPT0_PvPT_S6_S6_PKS5_S8_S8_S8_S8_ffiiiiiiiiiiiii
; %bb.0:
	s_load_dwordx4 s[12:15], s[4:5], 0x50
	s_waitcnt lgkmcnt(0)
	s_cmp_ge_i32 s6, s14
	s_cbranch_scc1 .LBB517_12
; %bb.1:
	s_load_dwordx2 s[24:25], s[4:5], 0x30
	s_load_dwordx2 s[8:9], s[4:5], 0x48
	s_load_dwordx4 s[16:19], s[4:5], 0x60
	s_cmp_lg_u32 s7, 0
	s_cselect_b64 s[10:11], -1, 0
	s_cmp_eq_u32 s7, 0
	s_cselect_b64 vcc, -1, 0
	s_and_b64 s[0:1], vcc, exec
	s_waitcnt lgkmcnt(0)
	s_cselect_b32 s7, s15, s16
	s_add_i32 s0, s7, 1
	s_lshr_b32 s1, s0, 31
	s_add_i32 s0, s0, s1
	s_lshl_b32 s0, s0, 1
	v_lshlrev_b32_e32 v1, 3, v0
	s_and_b32 s22, s0, -4
	v_cmp_gt_i32_e64 s[2:3], s7, v1
	v_mov_b32_e32 v10, 0
	v_mov_b32_e32 v2, 0
	;; [unrolled: 1-line block ×9, first 2 shown]
	s_and_saveexec_b64 s[0:1], s[2:3]
	s_cbranch_execz .LBB517_3
; %bb.2:
	s_load_dwordx2 s[14:15], s[4:5], 0x28
	s_load_dwordx2 s[20:21], s[4:5], 0x40
	s_and_b64 s[26:27], vcc, exec
	s_cselect_b32 s17, s17, s18
	v_lshlrev_b32_e32 v11, 4, v0
	s_waitcnt lgkmcnt(0)
	s_cselect_b32 s19, s15, s25
	s_cselect_b32 s23, s14, s24
	s_mul_hi_i32 s15, s17, s6
	s_mul_i32 s14, s17, s6
	s_lshl_b64 s[14:15], s[14:15], 1
	s_add_u32 s28, s23, s14
	s_addc_u32 s17, s19, s15
	s_and_b64 s[14:15], vcc, exec
	s_mov_b32 s23, 0x20000
	s_cselect_b32 s20, s20, s8
	s_cselect_b32 s14, s21, s9
	s_and_b32 s29, s17, 0xffff
	s_mov_b32 s30, s22
	s_mov_b32 s31, s23
	s_and_b32 s21, s14, 0xffff
	buffer_load_dwordx4 v[6:9], v11, s[28:31], 0 offen glc slc
	buffer_load_dwordx4 v[2:5], v11, s[20:23], 0 offen
.LBB517_3:
	s_or_b64 exec, exec, s[0:1]
	v_mov_b32_e32 v11, 0
	v_mov_b32_e32 v12, 0
	;; [unrolled: 1-line block ×7, first 2 shown]
	s_and_saveexec_b64 s[0:1], s[2:3]
	s_cbranch_execz .LBB517_5
; %bb.4:
	s_waitcnt vmcnt(1)
	v_cvt_f32_f16_sdwa v11, v6 dst_sel:DWORD dst_unused:UNUSED_PAD src0_sel:WORD_1
	v_cvt_f32_f16_e32 v10, v6
	v_cvt_f32_f16_sdwa v13, v7 dst_sel:DWORD dst_unused:UNUSED_PAD src0_sel:WORD_1
	v_cvt_f32_f16_e32 v12, v7
	;; [unrolled: 2-line block ×4, first 2 shown]
.LBB517_5:
	s_or_b64 exec, exec, s[0:1]
	s_waitcnt vmcnt(1)
	v_mul_f32_e32 v6, v11, v11
	v_fmac_f32_e32 v6, v10, v10
	v_fmac_f32_e32 v6, v12, v12
	;; [unrolled: 1-line block ×7, first 2 shown]
	v_and_b32_e32 v8, 63, v0
	v_cmp_eq_u32_e64 s[0:1], 63, v8
	v_mov_b32_dpp v7, v6 quad_perm:[1,0,3,2] row_mask:0xf bank_mask:0xf
	v_add_f32_e32 v6, v6, v7
	s_nop 1
	v_mov_b32_dpp v7, v6 quad_perm:[2,3,0,1] row_mask:0xf bank_mask:0xf
	v_add_f32_e32 v6, v6, v7
	s_nop 1
	v_mov_b32_dpp v7, v6 row_half_mirror row_mask:0xf bank_mask:0xf
	v_add_f32_e32 v6, v6, v7
	s_nop 1
	v_mov_b32_dpp v7, v6 row_mirror row_mask:0xf bank_mask:0xf
	v_add_f32_e32 v6, v6, v7
	s_nop 1
	v_mov_b32_dpp v7, v6 row_bcast:15 row_mask:0xf bank_mask:0xf
	v_add_f32_e32 v6, v6, v7
	s_nop 1
	v_mov_b32_dpp v7, v6 row_bcast:31 row_mask:0xf bank_mask:0xf
	s_and_saveexec_b64 s[14:15], s[0:1]
	s_cbranch_execz .LBB517_7
; %bb.6:
	v_add_f32_e32 v6, v6, v7
	v_lshrrev_b32_e32 v7, 4, v0
	v_and_b32_e32 v7, 60, v7
	ds_write_b32 v7, v6 offset:16
.LBB517_7:
	s_or_b64 exec, exec, s[14:15]
	v_and_b32_e32 v6, 3, v0
	v_lshlrev_b32_e32 v18, 2, v6
	s_waitcnt lgkmcnt(0)
	s_barrier
	ds_read_b32 v6, v18 offset:16
	s_load_dwordx2 s[14:15], s[4:5], 0x18
	s_waitcnt lgkmcnt(0)
	v_mov_b32_dpp v7, v6 quad_perm:[1,0,3,2] row_mask:0xf bank_mask:0xf
	v_add_f32_e32 v6, v6, v7
	s_nop 1
	v_mov_b32_dpp v7, v6 quad_perm:[2,3,0,1] row_mask:0xf bank_mask:0xf
	s_and_saveexec_b64 s[20:21], s[2:3]
	s_cbranch_execz .LBB517_9
; %bb.8:
	v_cvt_f32_u32_e32 v8, s7
	v_add_f32_e32 v6, v6, v7
	v_mov_b32_e32 v19, s13
	v_mov_b32_e32 v20, s12
	v_div_scale_f32 v7, s[26:27], v8, v8, v6
	v_rcp_f32_e32 v9, v7
	v_cndmask_b32_e32 v19, v19, v20, vcc
	s_mov_b32 s7, 0x800000
	v_fma_f32 v20, -v7, v9, 1.0
	v_fmac_f32_e32 v9, v20, v9
	v_div_scale_f32 v20, vcc, v6, v8, v6
	v_mul_f32_e32 v21, v20, v9
	v_fma_f32 v22, -v7, v21, v20
	v_fmac_f32_e32 v21, v22, v9
	v_fma_f32 v7, -v7, v21, v20
	v_div_fmas_f32 v7, v7, v9, v21
	v_div_fixup_f32 v6, v7, v8, v6
	v_add_f32_e32 v6, v19, v6
	v_mul_f32_e32 v7, 0x4b800000, v6
	v_cmp_gt_f32_e32 vcc, s7, v6
	v_cndmask_b32_e32 v6, v6, v7, vcc
	v_rsq_f32_e32 v6, v6
	s_waitcnt vmcnt(0)
	v_cvt_f32_f16_sdwa v21, v5 dst_sel:DWORD dst_unused:UNUSED_PAD src0_sel:WORD_1
	v_cvt_f32_f16_e32 v20, v5
	v_mul_f32_e32 v7, 0x45800000, v6
	v_cndmask_b32_e32 v6, v6, v7, vcc
	v_mov_b32_e32 v7, v6
	;;#ASMSTART
	v_pk_mul_f32 v[8:9], v[10:11], v[6:7]
	;;#ASMEND
	;;#ASMSTART
	v_pk_mul_f32 v[12:13], v[12:13], v[6:7]
	;;#ASMEND
	;; [unrolled: 3-line block ×4, first 2 shown]
	v_cvt_f32_f16_sdwa v11, v2 dst_sel:DWORD dst_unused:UNUSED_PAD src0_sel:WORD_1
	v_cvt_f32_f16_e32 v10, v2
	v_cvt_f32_f16_sdwa v17, v3 dst_sel:DWORD dst_unused:UNUSED_PAD src0_sel:WORD_1
	v_cvt_f32_f16_e32 v16, v3
	;; [unrolled: 2-line block ×3, first 2 shown]
	;;#ASMSTART
	v_pk_mul_f32 v[10:11], v[8:9], v[10:11]
	;;#ASMEND
	;;#ASMSTART
	v_pk_mul_f32 v[12:13], v[12:13], v[16:17]
	;;#ASMEND
	;; [unrolled: 3-line block ×4, first 2 shown]
.LBB517_9:
	s_or_b64 exec, exec, s[20:21]
	s_load_dwordx2 s[26:27], s[4:5], 0x7c
	s_mov_b64 s[20:21], -1
	s_and_b64 vcc, exec, s[10:11]
	s_cbranch_vccnz .LBB517_13
; %bb.10:
	s_andn2_b64 vcc, exec, s[20:21]
	s_cbranch_vccz .LBB517_16
.LBB517_11:
	s_cmp_lt_i32 s16, 1
	s_cbranch_scc0 .LBB517_19
.LBB517_12:
	s_endpgm
.LBB517_13:
	s_and_saveexec_b64 s[10:11], s[2:3]
	s_cbranch_execz .LBB517_15
; %bb.14:
	s_waitcnt lgkmcnt(0)
	s_mul_hi_i32 s21, s27, s6
	s_mul_i32 s20, s27, s6
	s_waitcnt vmcnt(0)
	v_cvt_f16_f32_e32 v2, v10
	v_cvt_f16_f32_e32 v3, v12
	;; [unrolled: 1-line block ×8, first 2 shown]
	s_lshl_b64 s[20:21], s[20:21], 1
	s_add_u32 s20, s14, s20
	s_addc_u32 s7, s15, s21
	s_and_b32 s21, s7, 0xffff
	s_mov_b32 s23, 0x20000
	v_pack_b32_f16 v5, v5, v6
	v_pack_b32_f16 v4, v4, v7
	;; [unrolled: 1-line block ×4, first 2 shown]
	v_lshlrev_b32_e32 v6, 4, v0
	buffer_store_dwordx4 v[2:5], v6, s[20:23], 0 offen
	;;#ASMSTART
	s_nop 0
	;;#ASMEND
.LBB517_15:
	s_or_b64 exec, exec, s[10:11]
	s_cbranch_execnz .LBB517_11
.LBB517_16:
	s_and_saveexec_b64 s[10:11], s[2:3]
	s_cbranch_execz .LBB517_18
; %bb.17:
	s_load_dwordx2 s[2:3], s[4:5], 0x10
	s_waitcnt lgkmcnt(0)
	s_mul_hi_i32 s21, s26, s6
	s_mul_i32 s20, s26, s6
	s_waitcnt vmcnt(0)
	v_cvt_f16_f32_e32 v2, v10
	v_cvt_f16_f32_e32 v3, v12
	;; [unrolled: 1-line block ×8, first 2 shown]
	s_lshl_b64 s[20:21], s[20:21], 1
	s_add_u32 s20, s2, s20
	s_addc_u32 s2, s3, s21
	s_mov_b32 s23, 0x20000
	s_and_b32 s21, s2, 0xffff
	v_pack_b32_f16 v5, v5, v6
	v_pack_b32_f16 v4, v4, v7
	;; [unrolled: 1-line block ×4, first 2 shown]
	v_lshlrev_b32_e32 v6, 4, v0
	buffer_store_dwordx4 v[2:5], v6, s[20:23], 0 offen
	;;#ASMSTART
	s_nop 0
	;;#ASMEND
.LBB517_18:
	s_or_b64 exec, exec, s[10:11]
	s_cmp_lt_i32 s16, 1
	s_cbranch_scc1 .LBB517_12
.LBB517_19:
	s_load_dword s2, s[4:5], 0x94
	s_waitcnt lgkmcnt(0)
	s_cmp_lg_u32 s2, 1
	s_cbranch_scc1 .LBB517_12
; %bb.20:
	s_lshl_b32 s2, s16, 1
	s_add_i32 s2, s2, 2
	v_cmp_gt_u32_e32 vcc, s16, v1
	s_and_b32 s10, s2, -4
	v_mov_b32_e32 v10, 0
	v_lshlrev_b32_e32 v1, 4, v0
	v_mov_b32_e32 v6, 0
	v_mov_b32_e32 v7, 0
	;; [unrolled: 1-line block ×4, first 2 shown]
	s_waitcnt vmcnt(0)
	v_mov_b32_e32 v2, 0
	v_mov_b32_e32 v3, 0
	;; [unrolled: 1-line block ×4, first 2 shown]
	s_barrier
	s_and_saveexec_b64 s[2:3], vcc
	s_cbranch_execz .LBB517_22
; %bb.21:
	s_mul_hi_i32 s5, s18, s6
	s_mul_i32 s4, s18, s6
	s_and_b32 s9, s9, 0xffff
	s_lshl_b64 s[4:5], s[4:5], 1
	s_add_u32 s20, s24, s4
	s_mov_b32 s11, 0x20000
	s_addc_u32 s4, s25, s5
	s_and_b32 s21, s4, 0xffff
	s_mov_b32 s22, s10
	s_mov_b32 s23, s11
	buffer_load_dwordx4 v[6:9], v1, s[20:23], 0 offen glc slc
	buffer_load_dwordx4 v[2:5], v1, s[8:11], 0 offen
.LBB517_22:
	s_or_b64 exec, exec, s[2:3]
	v_mov_b32_e32 v11, 0
	v_mov_b32_e32 v16, 0
	;; [unrolled: 1-line block ×7, first 2 shown]
	s_and_saveexec_b64 s[2:3], vcc
	s_cbranch_execz .LBB517_24
; %bb.23:
	s_waitcnt vmcnt(1)
	v_cvt_f32_f16_sdwa v11, v6 dst_sel:DWORD dst_unused:UNUSED_PAD src0_sel:WORD_1
	v_cvt_f32_f16_e32 v10, v6
	v_cvt_f32_f16_sdwa v17, v7 dst_sel:DWORD dst_unused:UNUSED_PAD src0_sel:WORD_1
	v_cvt_f32_f16_e32 v16, v7
	;; [unrolled: 2-line block ×4, first 2 shown]
.LBB517_24:
	s_or_b64 exec, exec, s[2:3]
	s_waitcnt vmcnt(1)
	v_mul_f32_e32 v6, v11, v11
	v_fmac_f32_e32 v6, v10, v10
	v_fmac_f32_e32 v6, v16, v16
	;; [unrolled: 1-line block ×7, first 2 shown]
	s_nop 1
	v_mov_b32_dpp v7, v6 quad_perm:[1,0,3,2] row_mask:0xf bank_mask:0xf
	v_add_f32_e32 v6, v6, v7
	s_nop 1
	v_mov_b32_dpp v7, v6 quad_perm:[2,3,0,1] row_mask:0xf bank_mask:0xf
	v_add_f32_e32 v6, v6, v7
	s_nop 1
	v_mov_b32_dpp v7, v6 row_half_mirror row_mask:0xf bank_mask:0xf
	v_add_f32_e32 v6, v6, v7
	s_nop 1
	v_mov_b32_dpp v7, v6 row_mirror row_mask:0xf bank_mask:0xf
	v_add_f32_e32 v6, v6, v7
	s_nop 1
	v_mov_b32_dpp v7, v6 row_bcast:15 row_mask:0xf bank_mask:0xf
	v_add_f32_e32 v6, v6, v7
	s_nop 1
	v_mov_b32_dpp v7, v6 row_bcast:31 row_mask:0xf bank_mask:0xf
	s_and_saveexec_b64 s[2:3], s[0:1]
	s_cbranch_execz .LBB517_26
; %bb.25:
	v_lshrrev_b32_e32 v0, 4, v0
	v_add_f32_e32 v6, v6, v7
	v_and_b32_e32 v0, 60, v0
	ds_write_b32 v0, v6
.LBB517_26:
	s_or_b64 exec, exec, s[2:3]
	s_waitcnt lgkmcnt(0)
	s_barrier
	ds_read_b32 v0, v18
	s_waitcnt lgkmcnt(0)
	s_nop 0
	v_mov_b32_dpp v6, v0 quad_perm:[1,0,3,2] row_mask:0xf bank_mask:0xf
	v_add_f32_e32 v0, v0, v6
	s_nop 1
	v_mov_b32_dpp v6, v0 quad_perm:[2,3,0,1] row_mask:0xf bank_mask:0xf
	s_and_saveexec_b64 s[0:1], vcc
	s_cbranch_execz .LBB517_12
; %bb.27:
	v_cvt_f32_u32_e32 v7, s16
	v_add_f32_e32 v0, v0, v6
	s_mov_b32 s11, 0x20000
	v_div_scale_f32 v6, s[0:1], v7, v7, v0
	v_rcp_f32_e32 v8, v6
	v_div_scale_f32 v9, vcc, v0, v7, v0
	s_mov_b32 s0, 0x800000
	v_fma_f32 v18, -v6, v8, 1.0
	v_fmac_f32_e32 v8, v18, v8
	v_mul_f32_e32 v18, v9, v8
	v_fma_f32 v19, -v6, v18, v9
	v_fmac_f32_e32 v18, v19, v8
	v_fma_f32 v6, -v6, v18, v9
	v_div_fmas_f32 v6, v6, v8, v18
	v_div_fixup_f32 v0, v6, v7, v0
	v_add_f32_e32 v0, s13, v0
	v_mul_f32_e32 v6, 0x4b800000, v0
	v_cmp_gt_f32_e32 vcc, s0, v0
	v_cndmask_b32_e32 v0, v0, v6, vcc
	v_rsq_f32_e32 v0, v0
	s_waitcnt vmcnt(0)
	v_cvt_f32_f16_sdwa v19, v5 dst_sel:DWORD dst_unused:UNUSED_PAD src0_sel:WORD_1
	v_cvt_f32_f16_e32 v18, v5
	s_mul_hi_i32 s1, s27, s6
	v_mul_f32_e32 v6, 0x45800000, v0
	v_cndmask_b32_e32 v6, v0, v6, vcc
	v_mov_b32_e32 v7, v6
	;;#ASMSTART
	v_pk_mul_f32 v[8:9], v[10:11], v[6:7]
	;;#ASMEND
	;;#ASMSTART
	v_pk_mul_f32 v[10:11], v[16:17], v[6:7]
	;;#ASMEND
	;; [unrolled: 3-line block ×4, first 2 shown]
	v_cvt_f32_f16_sdwa v13, v2 dst_sel:DWORD dst_unused:UNUSED_PAD src0_sel:WORD_1
	v_cvt_f32_f16_e32 v12, v2
	v_cvt_f32_f16_sdwa v17, v3 dst_sel:DWORD dst_unused:UNUSED_PAD src0_sel:WORD_1
	v_cvt_f32_f16_e32 v16, v3
	;; [unrolled: 2-line block ×3, first 2 shown]
	;;#ASMSTART
	v_pk_mul_f32 v[4:5], v[8:9], v[12:13]
	;;#ASMEND
	;;#ASMSTART
	v_pk_mul_f32 v[8:9], v[10:11], v[16:17]
	;;#ASMEND
	;;#ASMSTART
	v_pk_mul_f32 v[2:3], v[14:15], v[2:3]
	;;#ASMEND
	;;#ASMSTART
	v_pk_mul_f32 v[6:7], v[6:7], v[18:19]
	;;#ASMEND
	s_mul_i32 s0, s27, s6
	v_cvt_f16_f32_e32 v0, v4
	v_cvt_f16_f32_e32 v4, v5
	;; [unrolled: 1-line block ×8, first 2 shown]
	s_lshl_b64 s[0:1], s[0:1], 1
	s_add_u32 s8, s14, s0
	s_addc_u32 s0, s15, s1
	s_and_b32 s9, s0, 0xffff
	v_pack_b32_f16 v2, v0, v4
	v_pack_b32_f16 v3, v5, v8
	;; [unrolled: 1-line block ×4, first 2 shown]
	buffer_store_dwordx4 v[2:5], v1, s[8:11], 0 offen
	;;#ASMSTART
	s_nop 0
	;;#ASMEND
	s_endpgm
	.section	.rodata,"a",@progbits
	.p2align	6, 0x0
	.amdhsa_kernel _ZN5aiter35fused_qk_rmsnorm_group_quant_kernelIDF16_DB8_Li256ELi8ELi8ELb0ELb1ELb0ELb1ELb0ELb0EEEvPT0_PvPT_S6_S6_PKS5_S8_S8_S8_S8_ffiiiiiiiiiiiii
		.amdhsa_group_segment_fixed_size 32
		.amdhsa_private_segment_fixed_size 0
		.amdhsa_kernarg_size 400
		.amdhsa_user_sgpr_count 6
		.amdhsa_user_sgpr_private_segment_buffer 1
		.amdhsa_user_sgpr_dispatch_ptr 0
		.amdhsa_user_sgpr_queue_ptr 0
		.amdhsa_user_sgpr_kernarg_segment_ptr 1
		.amdhsa_user_sgpr_dispatch_id 0
		.amdhsa_user_sgpr_flat_scratch_init 0
		.amdhsa_user_sgpr_kernarg_preload_length 0
		.amdhsa_user_sgpr_kernarg_preload_offset 0
		.amdhsa_user_sgpr_private_segment_size 0
		.amdhsa_uses_dynamic_stack 0
		.amdhsa_system_sgpr_private_segment_wavefront_offset 0
		.amdhsa_system_sgpr_workgroup_id_x 1
		.amdhsa_system_sgpr_workgroup_id_y 1
		.amdhsa_system_sgpr_workgroup_id_z 0
		.amdhsa_system_sgpr_workgroup_info 0
		.amdhsa_system_vgpr_workitem_id 0
		.amdhsa_next_free_vgpr 23
		.amdhsa_next_free_sgpr 32
		.amdhsa_accum_offset 24
		.amdhsa_reserve_vcc 1
		.amdhsa_reserve_flat_scratch 0
		.amdhsa_float_round_mode_32 0
		.amdhsa_float_round_mode_16_64 0
		.amdhsa_float_denorm_mode_32 3
		.amdhsa_float_denorm_mode_16_64 3
		.amdhsa_dx10_clamp 1
		.amdhsa_ieee_mode 1
		.amdhsa_fp16_overflow 0
		.amdhsa_tg_split 0
		.amdhsa_exception_fp_ieee_invalid_op 0
		.amdhsa_exception_fp_denorm_src 0
		.amdhsa_exception_fp_ieee_div_zero 0
		.amdhsa_exception_fp_ieee_overflow 0
		.amdhsa_exception_fp_ieee_underflow 0
		.amdhsa_exception_fp_ieee_inexact 0
		.amdhsa_exception_int_div_zero 0
	.end_amdhsa_kernel
	.section	.text._ZN5aiter35fused_qk_rmsnorm_group_quant_kernelIDF16_DB8_Li256ELi8ELi8ELb0ELb1ELb0ELb1ELb0ELb0EEEvPT0_PvPT_S6_S6_PKS5_S8_S8_S8_S8_ffiiiiiiiiiiiii,"axG",@progbits,_ZN5aiter35fused_qk_rmsnorm_group_quant_kernelIDF16_DB8_Li256ELi8ELi8ELb0ELb1ELb0ELb1ELb0ELb0EEEvPT0_PvPT_S6_S6_PKS5_S8_S8_S8_S8_ffiiiiiiiiiiiii,comdat
.Lfunc_end517:
	.size	_ZN5aiter35fused_qk_rmsnorm_group_quant_kernelIDF16_DB8_Li256ELi8ELi8ELb0ELb1ELb0ELb1ELb0ELb0EEEvPT0_PvPT_S6_S6_PKS5_S8_S8_S8_S8_ffiiiiiiiiiiiii, .Lfunc_end517-_ZN5aiter35fused_qk_rmsnorm_group_quant_kernelIDF16_DB8_Li256ELi8ELi8ELb0ELb1ELb0ELb1ELb0ELb0EEEvPT0_PvPT_S6_S6_PKS5_S8_S8_S8_S8_ffiiiiiiiiiiiii
                                        ; -- End function
	.section	.AMDGPU.csdata,"",@progbits
; Kernel info:
; codeLenInByte = 2036
; NumSgprs: 36
; NumVgprs: 23
; NumAgprs: 0
; TotalNumVgprs: 23
; ScratchSize: 0
; MemoryBound: 0
; FloatMode: 240
; IeeeMode: 1
; LDSByteSize: 32 bytes/workgroup (compile time only)
; SGPRBlocks: 4
; VGPRBlocks: 2
; NumSGPRsForWavesPerEU: 36
; NumVGPRsForWavesPerEU: 23
; AccumOffset: 24
; Occupancy: 8
; WaveLimiterHint : 0
; COMPUTE_PGM_RSRC2:SCRATCH_EN: 0
; COMPUTE_PGM_RSRC2:USER_SGPR: 6
; COMPUTE_PGM_RSRC2:TRAP_HANDLER: 0
; COMPUTE_PGM_RSRC2:TGID_X_EN: 1
; COMPUTE_PGM_RSRC2:TGID_Y_EN: 1
; COMPUTE_PGM_RSRC2:TGID_Z_EN: 0
; COMPUTE_PGM_RSRC2:TIDIG_COMP_CNT: 0
; COMPUTE_PGM_RSRC3_GFX90A:ACCUM_OFFSET: 5
; COMPUTE_PGM_RSRC3_GFX90A:TG_SPLIT: 0
	.section	.text._ZN5aiter35fused_qk_rmsnorm_group_quant_kernelItDB8_Li256ELi8ELi8ELb0ELb1ELb0ELb1ELb0ELb0EEEvPT0_PvPT_S6_S6_PKS5_S8_S8_S8_S8_ffiiiiiiiiiiiii,"axG",@progbits,_ZN5aiter35fused_qk_rmsnorm_group_quant_kernelItDB8_Li256ELi8ELi8ELb0ELb1ELb0ELb1ELb0ELb0EEEvPT0_PvPT_S6_S6_PKS5_S8_S8_S8_S8_ffiiiiiiiiiiiii,comdat
	.protected	_ZN5aiter35fused_qk_rmsnorm_group_quant_kernelItDB8_Li256ELi8ELi8ELb0ELb1ELb0ELb1ELb0ELb0EEEvPT0_PvPT_S6_S6_PKS5_S8_S8_S8_S8_ffiiiiiiiiiiiii ; -- Begin function _ZN5aiter35fused_qk_rmsnorm_group_quant_kernelItDB8_Li256ELi8ELi8ELb0ELb1ELb0ELb1ELb0ELb0EEEvPT0_PvPT_S6_S6_PKS5_S8_S8_S8_S8_ffiiiiiiiiiiiii
	.globl	_ZN5aiter35fused_qk_rmsnorm_group_quant_kernelItDB8_Li256ELi8ELi8ELb0ELb1ELb0ELb1ELb0ELb0EEEvPT0_PvPT_S6_S6_PKS5_S8_S8_S8_S8_ffiiiiiiiiiiiii
	.p2align	8
	.type	_ZN5aiter35fused_qk_rmsnorm_group_quant_kernelItDB8_Li256ELi8ELi8ELb0ELb1ELb0ELb1ELb0ELb0EEEvPT0_PvPT_S6_S6_PKS5_S8_S8_S8_S8_ffiiiiiiiiiiiii,@function
_ZN5aiter35fused_qk_rmsnorm_group_quant_kernelItDB8_Li256ELi8ELi8ELb0ELb1ELb0ELb1ELb0ELb0EEEvPT0_PvPT_S6_S6_PKS5_S8_S8_S8_S8_ffiiiiiiiiiiiii: ; @_ZN5aiter35fused_qk_rmsnorm_group_quant_kernelItDB8_Li256ELi8ELi8ELb0ELb1ELb0ELb1ELb0ELb0EEEvPT0_PvPT_S6_S6_PKS5_S8_S8_S8_S8_ffiiiiiiiiiiiii
; %bb.0:
	s_load_dwordx4 s[12:15], s[4:5], 0x50
	s_waitcnt lgkmcnt(0)
	s_cmp_ge_i32 s6, s14
	s_cbranch_scc1 .LBB518_10
; %bb.1:
	s_load_dwordx2 s[24:25], s[4:5], 0x30
	s_load_dwordx2 s[8:9], s[4:5], 0x48
	s_load_dwordx4 s[16:19], s[4:5], 0x60
	s_cmp_lg_u32 s7, 0
	s_cselect_b64 s[10:11], -1, 0
	s_cmp_eq_u32 s7, 0
	s_cselect_b64 vcc, -1, 0
	s_and_b64 s[0:1], vcc, exec
	s_waitcnt lgkmcnt(0)
	s_cselect_b32 s7, s15, s16
	s_add_i32 s0, s7, 1
	s_lshr_b32 s1, s0, 31
	s_add_i32 s0, s0, s1
	s_lshl_b32 s0, s0, 1
	v_lshlrev_b32_e32 v1, 3, v0
	s_and_b32 s22, s0, -4
	v_cmp_gt_i32_e64 s[2:3], s7, v1
	v_mov_b32_e32 v2, 0
	v_mov_b32_e32 v3, 0
	;; [unrolled: 1-line block ×8, first 2 shown]
	s_and_saveexec_b64 s[0:1], s[2:3]
	s_cbranch_execz .LBB518_3
; %bb.2:
	s_load_dwordx2 s[14:15], s[4:5], 0x28
	s_load_dwordx2 s[20:21], s[4:5], 0x40
	s_and_b64 s[26:27], vcc, exec
	s_cselect_b32 s17, s17, s18
	v_lshlrev_b32_e32 v10, 4, v0
	s_waitcnt lgkmcnt(0)
	s_cselect_b32 s19, s15, s25
	s_cselect_b32 s23, s14, s24
	s_mul_hi_i32 s15, s17, s6
	s_mul_i32 s14, s17, s6
	s_lshl_b64 s[14:15], s[14:15], 1
	s_add_u32 s28, s23, s14
	s_addc_u32 s17, s19, s15
	s_and_b64 s[14:15], vcc, exec
	s_mov_b32 s23, 0x20000
	s_cselect_b32 s20, s20, s8
	s_cselect_b32 s14, s21, s9
	s_and_b32 s29, s17, 0xffff
	s_mov_b32 s30, s22
	s_mov_b32 s31, s23
	s_and_b32 s21, s14, 0xffff
	buffer_load_dwordx4 v[6:9], v10, s[28:31], 0 offen glc slc
	buffer_load_dwordx4 v[2:5], v10, s[20:23], 0 offen
.LBB518_3:
	s_or_b64 exec, exec, s[0:1]
	s_waitcnt vmcnt(1)
	v_cvt_f32_u32_sdwa v13, v6 dst_sel:DWORD dst_unused:UNUSED_PAD src0_sel:WORD_1
	v_cvt_f32_u32_sdwa v12, v6 dst_sel:DWORD dst_unused:UNUSED_PAD src0_sel:WORD_0
	v_cvt_f32_u32_sdwa v6, v9 dst_sel:DWORD dst_unused:UNUSED_PAD src0_sel:WORD_1
	v_cvt_f32_u32_sdwa v9, v9 dst_sel:DWORD dst_unused:UNUSED_PAD src0_sel:WORD_0
	;; [unrolled: 2-line block ×4, first 2 shown]
	v_cndmask_b32_e64 v13, 0, v13, s[2:3]
	v_cndmask_b32_e64 v7, 0, v6, s[2:3]
	;; [unrolled: 1-line block ×5, first 2 shown]
	v_mul_f32_e32 v14, v13, v13
	v_cndmask_b32_e64 v10, 0, v10, s[2:3]
	v_fmac_f32_e32 v14, v12, v12
	v_cndmask_b32_e64 v11, 0, v11, s[2:3]
	v_fmac_f32_e32 v14, v10, v10
	;; [unrolled: 2-line block ×3, first 2 shown]
	v_fmac_f32_e32 v14, v8, v8
	v_fmac_f32_e32 v14, v9, v9
	v_fmac_f32_e32 v14, v6, v6
	v_fmac_f32_e32 v14, v7, v7
	v_and_b32_e32 v16, 63, v0
	v_cmp_eq_u32_e64 s[0:1], 63, v16
	v_mov_b32_dpp v15, v14 quad_perm:[1,0,3,2] row_mask:0xf bank_mask:0xf
	v_add_f32_e32 v14, v14, v15
	s_nop 1
	v_mov_b32_dpp v15, v14 quad_perm:[2,3,0,1] row_mask:0xf bank_mask:0xf
	v_add_f32_e32 v14, v14, v15
	s_nop 1
	v_mov_b32_dpp v15, v14 row_half_mirror row_mask:0xf bank_mask:0xf
	v_add_f32_e32 v14, v14, v15
	s_nop 1
	v_mov_b32_dpp v15, v14 row_mirror row_mask:0xf bank_mask:0xf
	v_add_f32_e32 v14, v14, v15
	s_nop 1
	v_mov_b32_dpp v15, v14 row_bcast:15 row_mask:0xf bank_mask:0xf
	v_add_f32_e32 v14, v14, v15
	s_nop 1
	v_mov_b32_dpp v15, v14 row_bcast:31 row_mask:0xf bank_mask:0xf
	s_and_saveexec_b64 s[14:15], s[0:1]
	s_cbranch_execz .LBB518_5
; %bb.4:
	v_add_f32_e32 v14, v14, v15
	v_lshrrev_b32_e32 v15, 4, v0
	v_and_b32_e32 v15, 60, v15
	ds_write_b32 v15, v14 offset:16
.LBB518_5:
	s_or_b64 exec, exec, s[14:15]
	v_and_b32_e32 v14, 3, v0
	v_lshlrev_b32_e32 v14, 2, v14
	s_waitcnt lgkmcnt(0)
	s_barrier
	ds_read_b32 v15, v14 offset:16
	s_load_dwordx2 s[14:15], s[4:5], 0x18
	s_waitcnt lgkmcnt(0)
	v_mov_b32_dpp v16, v15 quad_perm:[1,0,3,2] row_mask:0xf bank_mask:0xf
	v_add_f32_e32 v15, v15, v16
	s_nop 1
	v_mov_b32_dpp v16, v15 quad_perm:[2,3,0,1] row_mask:0xf bank_mask:0xf
	s_and_saveexec_b64 s[20:21], s[2:3]
	s_cbranch_execz .LBB518_7
; %bb.6:
	v_cvt_f32_u32_e32 v17, s7
	v_add_f32_e32 v15, v15, v16
	v_mov_b32_e32 v19, s13
	v_mov_b32_e32 v20, s12
	v_div_scale_f32 v16, s[26:27], v17, v17, v15
	v_rcp_f32_e32 v18, v16
	v_cndmask_b32_e32 v19, v19, v20, vcc
	s_mov_b32 s7, 0x800000
	v_fma_f32 v20, -v16, v18, 1.0
	v_fmac_f32_e32 v18, v20, v18
	v_div_scale_f32 v20, vcc, v15, v17, v15
	v_mul_f32_e32 v21, v20, v18
	v_fma_f32 v22, -v16, v21, v20
	v_fmac_f32_e32 v21, v22, v18
	v_fma_f32 v16, -v16, v21, v20
	v_div_fmas_f32 v16, v16, v18, v21
	v_div_fixup_f32 v15, v16, v17, v15
	v_add_f32_e32 v15, v19, v15
	v_mul_f32_e32 v16, 0x4b800000, v15
	v_cmp_gt_f32_e32 vcc, s7, v15
	v_cndmask_b32_e32 v15, v15, v16, vcc
	v_rsq_f32_e32 v15, v15
	s_waitcnt vmcnt(0)
	v_cvt_f32_u32_sdwa v19, v3 dst_sel:DWORD dst_unused:UNUSED_PAD src0_sel:WORD_1
	v_cvt_f32_u32_sdwa v18, v3 dst_sel:DWORD dst_unused:UNUSED_PAD src0_sel:WORD_0
	v_cvt_f32_u32_sdwa v3, v4 dst_sel:DWORD dst_unused:UNUSED_PAD src0_sel:WORD_1
	v_mul_f32_e32 v16, 0x45800000, v15
	v_cndmask_b32_e32 v16, v15, v16, vcc
	v_mov_b32_e32 v17, v16
	;;#ASMSTART
	v_pk_mul_f32 v[12:13], v[12:13], v[16:17]
	;;#ASMEND
	;;#ASMSTART
	v_pk_mul_f32 v[10:11], v[10:11], v[16:17]
	;;#ASMEND
	;; [unrolled: 3-line block ×4, first 2 shown]
	v_cvt_f32_u32_sdwa v17, v2 dst_sel:DWORD dst_unused:UNUSED_PAD src0_sel:WORD_1
	v_cvt_f32_u32_sdwa v16, v2 dst_sel:DWORD dst_unused:UNUSED_PAD src0_sel:WORD_0
	v_cvt_f32_u32_sdwa v2, v4 dst_sel:DWORD dst_unused:UNUSED_PAD src0_sel:WORD_0
	v_cvt_f32_u32_sdwa v21, v5 dst_sel:DWORD dst_unused:UNUSED_PAD src0_sel:WORD_1
	v_cvt_f32_u32_sdwa v20, v5 dst_sel:DWORD dst_unused:UNUSED_PAD src0_sel:WORD_0
	;;#ASMSTART
	v_pk_mul_f32 v[12:13], v[12:13], v[16:17]
	;;#ASMEND
	;;#ASMSTART
	v_pk_mul_f32 v[10:11], v[10:11], v[18:19]
	;;#ASMEND
	;; [unrolled: 3-line block ×4, first 2 shown]
.LBB518_7:
	s_or_b64 exec, exec, s[20:21]
	s_load_dwordx2 s[26:27], s[4:5], 0x7c
	s_mov_b64 s[20:21], -1
	s_and_b64 vcc, exec, s[10:11]
	s_cbranch_vccnz .LBB518_11
; %bb.8:
	s_andn2_b64 vcc, exec, s[20:21]
	s_cbranch_vccz .LBB518_14
.LBB518_9:
	s_cmp_lt_i32 s16, 1
	s_cbranch_scc0 .LBB518_17
.LBB518_10:
	s_endpgm
.LBB518_11:
	s_and_saveexec_b64 s[10:11], s[2:3]
	s_cbranch_execz .LBB518_13
; %bb.12:
	s_waitcnt lgkmcnt(0)
	s_mul_hi_i32 s21, s27, s6
	s_mul_i32 s20, s27, s6
	s_lshl_b64 s[20:21], s[20:21], 1
	s_add_u32 s20, s14, s20
	s_addc_u32 s7, s15, s21
	s_and_b32 s21, s7, 0xffff
	s_mov_b32 s7, 0x7060302
	s_mov_b32 s23, 0x20000
	s_waitcnt vmcnt(0)
	v_perm_b32 v2, v13, v12, s7
	v_perm_b32 v3, v11, v10, s7
	;; [unrolled: 1-line block ×4, first 2 shown]
	v_lshlrev_b32_e32 v15, 4, v0
	buffer_store_dwordx4 v[2:5], v15, s[20:23], 0 offen
	;;#ASMSTART
	s_nop 0
	;;#ASMEND
.LBB518_13:
	s_or_b64 exec, exec, s[10:11]
	s_cbranch_execnz .LBB518_9
.LBB518_14:
	s_and_saveexec_b64 s[10:11], s[2:3]
	s_cbranch_execz .LBB518_16
; %bb.15:
	s_load_dwordx2 s[2:3], s[4:5], 0x10
	s_waitcnt lgkmcnt(0)
	s_mul_hi_i32 s21, s26, s6
	s_mul_i32 s20, s26, s6
	s_lshl_b64 s[20:21], s[20:21], 1
	s_mov_b32 s23, 0x20000
	s_add_u32 s20, s2, s20
	s_addc_u32 s2, s3, s21
	s_and_b32 s21, s2, 0xffff
	s_mov_b32 s2, 0x7060302
	s_waitcnt vmcnt(0)
	v_perm_b32 v2, v13, v12, s2
	v_perm_b32 v3, v11, v10, s2
	;; [unrolled: 1-line block ×4, first 2 shown]
	v_lshlrev_b32_e32 v6, 4, v0
	buffer_store_dwordx4 v[2:5], v6, s[20:23], 0 offen
	;;#ASMSTART
	s_nop 0
	;;#ASMEND
.LBB518_16:
	s_or_b64 exec, exec, s[10:11]
	s_cmp_lt_i32 s16, 1
	s_cbranch_scc1 .LBB518_10
.LBB518_17:
	s_load_dword s2, s[4:5], 0x94
	s_waitcnt lgkmcnt(0)
	s_cmp_lg_u32 s2, 1
	s_cbranch_scc1 .LBB518_10
; %bb.18:
	s_lshl_b32 s2, s16, 1
	s_add_i32 s2, s2, 2
	v_cmp_gt_u32_e32 vcc, s16, v1
	s_and_b32 s10, s2, -4
	v_mov_b32_e32 v6, 0
	v_lshlrev_b32_e32 v1, 4, v0
	v_mov_b32_e32 v7, 0
	v_mov_b32_e32 v8, 0
	;; [unrolled: 1-line block ×3, first 2 shown]
	s_waitcnt vmcnt(0)
	v_mov_b32_e32 v2, 0
	v_mov_b32_e32 v3, 0
	;; [unrolled: 1-line block ×4, first 2 shown]
	s_barrier
	s_and_saveexec_b64 s[2:3], vcc
	s_cbranch_execz .LBB518_20
; %bb.19:
	s_mul_hi_i32 s5, s18, s6
	s_mul_i32 s4, s18, s6
	s_and_b32 s9, s9, 0xffff
	s_lshl_b64 s[4:5], s[4:5], 1
	s_add_u32 s20, s24, s4
	s_mov_b32 s11, 0x20000
	s_addc_u32 s4, s25, s5
	s_and_b32 s21, s4, 0xffff
	s_mov_b32 s22, s10
	s_mov_b32 s23, s11
	buffer_load_dwordx4 v[6:9], v1, s[20:23], 0 offen glc slc
	buffer_load_dwordx4 v[2:5], v1, s[8:11], 0 offen
.LBB518_20:
	s_or_b64 exec, exec, s[2:3]
	s_waitcnt vmcnt(1)
	v_cvt_f32_u32_sdwa v13, v6 dst_sel:DWORD dst_unused:UNUSED_PAD src0_sel:WORD_1
	v_cvt_f32_u32_sdwa v12, v6 dst_sel:DWORD dst_unused:UNUSED_PAD src0_sel:WORD_0
	v_cvt_f32_u32_sdwa v6, v9 dst_sel:DWORD dst_unused:UNUSED_PAD src0_sel:WORD_1
	v_cvt_f32_u32_sdwa v9, v9 dst_sel:DWORD dst_unused:UNUSED_PAD src0_sel:WORD_0
	v_cvt_f32_u32_sdwa v15, v8 dst_sel:DWORD dst_unused:UNUSED_PAD src0_sel:WORD_1
	v_cvt_f32_u32_sdwa v10, v7 dst_sel:DWORD dst_unused:UNUSED_PAD src0_sel:WORD_0
	v_cvt_f32_u32_sdwa v11, v7 dst_sel:DWORD dst_unused:UNUSED_PAD src0_sel:WORD_1
	v_cvt_f32_u32_sdwa v8, v8 dst_sel:DWORD dst_unused:UNUSED_PAD src0_sel:WORD_0
	v_cndmask_b32_e32 v13, 0, v13, vcc
	v_cndmask_b32_e32 v7, 0, v6, vcc
	;; [unrolled: 1-line block ×5, first 2 shown]
	v_mul_f32_e32 v15, v13, v13
	v_cndmask_b32_e32 v10, 0, v10, vcc
	v_fmac_f32_e32 v15, v12, v12
	v_cndmask_b32_e32 v11, 0, v11, vcc
	v_fmac_f32_e32 v15, v10, v10
	;; [unrolled: 2-line block ×3, first 2 shown]
	v_fmac_f32_e32 v15, v8, v8
	v_fmac_f32_e32 v15, v9, v9
	;; [unrolled: 1-line block ×4, first 2 shown]
	s_nop 1
	v_mov_b32_dpp v16, v15 quad_perm:[1,0,3,2] row_mask:0xf bank_mask:0xf
	v_add_f32_e32 v15, v15, v16
	s_nop 1
	v_mov_b32_dpp v16, v15 quad_perm:[2,3,0,1] row_mask:0xf bank_mask:0xf
	v_add_f32_e32 v15, v15, v16
	s_nop 1
	v_mov_b32_dpp v16, v15 row_half_mirror row_mask:0xf bank_mask:0xf
	v_add_f32_e32 v15, v15, v16
	s_nop 1
	v_mov_b32_dpp v16, v15 row_mirror row_mask:0xf bank_mask:0xf
	v_add_f32_e32 v15, v15, v16
	s_nop 1
	v_mov_b32_dpp v16, v15 row_bcast:15 row_mask:0xf bank_mask:0xf
	v_add_f32_e32 v15, v15, v16
	s_nop 1
	v_mov_b32_dpp v16, v15 row_bcast:31 row_mask:0xf bank_mask:0xf
	s_and_saveexec_b64 s[2:3], s[0:1]
	s_cbranch_execz .LBB518_22
; %bb.21:
	v_lshrrev_b32_e32 v0, 4, v0
	v_add_f32_e32 v15, v15, v16
	v_and_b32_e32 v0, 60, v0
	ds_write_b32 v0, v15
.LBB518_22:
	s_or_b64 exec, exec, s[2:3]
	s_waitcnt lgkmcnt(0)
	s_barrier
	ds_read_b32 v0, v14
	s_waitcnt lgkmcnt(0)
	s_nop 0
	v_mov_b32_dpp v14, v0 quad_perm:[1,0,3,2] row_mask:0xf bank_mask:0xf
	v_add_f32_e32 v0, v0, v14
	s_nop 1
	v_mov_b32_dpp v14, v0 quad_perm:[2,3,0,1] row_mask:0xf bank_mask:0xf
	s_and_saveexec_b64 s[0:1], vcc
	s_cbranch_execz .LBB518_10
; %bb.23:
	v_cvt_f32_u32_e32 v15, s16
	v_add_f32_e32 v0, v0, v14
	s_mov_b32 s11, 0x20000
	v_div_scale_f32 v14, s[0:1], v15, v15, v0
	v_rcp_f32_e32 v16, v14
	v_div_scale_f32 v17, vcc, v0, v15, v0
	s_mov_b32 s0, 0x800000
	v_fma_f32 v18, -v14, v16, 1.0
	v_fmac_f32_e32 v16, v18, v16
	v_mul_f32_e32 v18, v17, v16
	v_fma_f32 v19, -v14, v18, v17
	v_fmac_f32_e32 v18, v19, v16
	v_fma_f32 v14, -v14, v18, v17
	v_div_fmas_f32 v14, v14, v16, v18
	v_div_fixup_f32 v0, v14, v15, v0
	v_add_f32_e32 v0, s13, v0
	v_mul_f32_e32 v14, 0x4b800000, v0
	v_cmp_gt_f32_e32 vcc, s0, v0
	v_cndmask_b32_e32 v0, v0, v14, vcc
	v_rsq_f32_e32 v0, v0
	s_mul_hi_i32 s1, s27, s6
	s_mul_i32 s0, s27, s6
	s_lshl_b64 s[0:1], s[0:1], 1
	v_mul_f32_e32 v14, 0x45800000, v0
	v_cndmask_b32_e32 v14, v0, v14, vcc
	s_add_u32 s8, s14, s0
	v_mov_b32_e32 v15, v14
	s_addc_u32 s0, s15, s1
	;;#ASMSTART
	v_pk_mul_f32 v[12:13], v[12:13], v[14:15]
	;;#ASMEND
	;;#ASMSTART
	v_pk_mul_f32 v[10:11], v[10:11], v[14:15]
	;;#ASMEND
	;; [unrolled: 3-line block ×4, first 2 shown]
	s_waitcnt vmcnt(0)
	v_cvt_f32_u32_sdwa v15, v2 dst_sel:DWORD dst_unused:UNUSED_PAD src0_sel:WORD_1
	v_cvt_f32_u32_sdwa v14, v2 dst_sel:DWORD dst_unused:UNUSED_PAD src0_sel:WORD_0
	v_cvt_f32_u32_sdwa v17, v3 dst_sel:DWORD dst_unused:UNUSED_PAD src0_sel:WORD_1
	v_cvt_f32_u32_sdwa v16, v3 dst_sel:DWORD dst_unused:UNUSED_PAD src0_sel:WORD_0
	;; [unrolled: 2-line block ×4, first 2 shown]
	;;#ASMSTART
	v_pk_mul_f32 v[4:5], v[12:13], v[14:15]
	;;#ASMEND
	s_and_b32 s9, s0, 0xffff
	s_mov_b32 s0, 0x7060302
	;;#ASMSTART
	v_pk_mul_f32 v[10:11], v[10:11], v[16:17]
	;;#ASMEND
	;;#ASMSTART
	v_pk_mul_f32 v[8:9], v[8:9], v[2:3]
	;;#ASMEND
	;; [unrolled: 3-line block ×3, first 2 shown]
	v_perm_b32 v2, v5, v4, s0
	v_perm_b32 v3, v11, v10, s0
	v_perm_b32 v4, v9, v8, s0
	v_perm_b32 v5, v7, v6, s0
	buffer_store_dwordx4 v[2:5], v1, s[8:11], 0 offen
	;;#ASMSTART
	s_nop 0
	;;#ASMEND
	s_endpgm
	.section	.rodata,"a",@progbits
	.p2align	6, 0x0
	.amdhsa_kernel _ZN5aiter35fused_qk_rmsnorm_group_quant_kernelItDB8_Li256ELi8ELi8ELb0ELb1ELb0ELb1ELb0ELb0EEEvPT0_PvPT_S6_S6_PKS5_S8_S8_S8_S8_ffiiiiiiiiiiiii
		.amdhsa_group_segment_fixed_size 32
		.amdhsa_private_segment_fixed_size 0
		.amdhsa_kernarg_size 400
		.amdhsa_user_sgpr_count 6
		.amdhsa_user_sgpr_private_segment_buffer 1
		.amdhsa_user_sgpr_dispatch_ptr 0
		.amdhsa_user_sgpr_queue_ptr 0
		.amdhsa_user_sgpr_kernarg_segment_ptr 1
		.amdhsa_user_sgpr_dispatch_id 0
		.amdhsa_user_sgpr_flat_scratch_init 0
		.amdhsa_user_sgpr_kernarg_preload_length 0
		.amdhsa_user_sgpr_kernarg_preload_offset 0
		.amdhsa_user_sgpr_private_segment_size 0
		.amdhsa_uses_dynamic_stack 0
		.amdhsa_system_sgpr_private_segment_wavefront_offset 0
		.amdhsa_system_sgpr_workgroup_id_x 1
		.amdhsa_system_sgpr_workgroup_id_y 1
		.amdhsa_system_sgpr_workgroup_id_z 0
		.amdhsa_system_sgpr_workgroup_info 0
		.amdhsa_system_vgpr_workitem_id 0
		.amdhsa_next_free_vgpr 23
		.amdhsa_next_free_sgpr 32
		.amdhsa_accum_offset 24
		.amdhsa_reserve_vcc 1
		.amdhsa_reserve_flat_scratch 0
		.amdhsa_float_round_mode_32 0
		.amdhsa_float_round_mode_16_64 0
		.amdhsa_float_denorm_mode_32 3
		.amdhsa_float_denorm_mode_16_64 3
		.amdhsa_dx10_clamp 1
		.amdhsa_ieee_mode 1
		.amdhsa_fp16_overflow 0
		.amdhsa_tg_split 0
		.amdhsa_exception_fp_ieee_invalid_op 0
		.amdhsa_exception_fp_denorm_src 0
		.amdhsa_exception_fp_ieee_div_zero 0
		.amdhsa_exception_fp_ieee_overflow 0
		.amdhsa_exception_fp_ieee_underflow 0
		.amdhsa_exception_fp_ieee_inexact 0
		.amdhsa_exception_int_div_zero 0
	.end_amdhsa_kernel
	.section	.text._ZN5aiter35fused_qk_rmsnorm_group_quant_kernelItDB8_Li256ELi8ELi8ELb0ELb1ELb0ELb1ELb0ELb0EEEvPT0_PvPT_S6_S6_PKS5_S8_S8_S8_S8_ffiiiiiiiiiiiii,"axG",@progbits,_ZN5aiter35fused_qk_rmsnorm_group_quant_kernelItDB8_Li256ELi8ELi8ELb0ELb1ELb0ELb1ELb0ELb0EEEvPT0_PvPT_S6_S6_PKS5_S8_S8_S8_S8_ffiiiiiiiiiiiii,comdat
.Lfunc_end518:
	.size	_ZN5aiter35fused_qk_rmsnorm_group_quant_kernelItDB8_Li256ELi8ELi8ELb0ELb1ELb0ELb1ELb0ELb0EEEvPT0_PvPT_S6_S6_PKS5_S8_S8_S8_S8_ffiiiiiiiiiiiii, .Lfunc_end518-_ZN5aiter35fused_qk_rmsnorm_group_quant_kernelItDB8_Li256ELi8ELi8ELb0ELb1ELb0ELb1ELb0ELb0EEEvPT0_PvPT_S6_S6_PKS5_S8_S8_S8_S8_ffiiiiiiiiiiiii
                                        ; -- End function
	.section	.AMDGPU.csdata,"",@progbits
; Kernel info:
; codeLenInByte = 2028
; NumSgprs: 36
; NumVgprs: 23
; NumAgprs: 0
; TotalNumVgprs: 23
; ScratchSize: 0
; MemoryBound: 0
; FloatMode: 240
; IeeeMode: 1
; LDSByteSize: 32 bytes/workgroup (compile time only)
; SGPRBlocks: 4
; VGPRBlocks: 2
; NumSGPRsForWavesPerEU: 36
; NumVGPRsForWavesPerEU: 23
; AccumOffset: 24
; Occupancy: 8
; WaveLimiterHint : 0
; COMPUTE_PGM_RSRC2:SCRATCH_EN: 0
; COMPUTE_PGM_RSRC2:USER_SGPR: 6
; COMPUTE_PGM_RSRC2:TRAP_HANDLER: 0
; COMPUTE_PGM_RSRC2:TGID_X_EN: 1
; COMPUTE_PGM_RSRC2:TGID_Y_EN: 1
; COMPUTE_PGM_RSRC2:TGID_Z_EN: 0
; COMPUTE_PGM_RSRC2:TIDIG_COMP_CNT: 0
; COMPUTE_PGM_RSRC3_GFX90A:ACCUM_OFFSET: 5
; COMPUTE_PGM_RSRC3_GFX90A:TG_SPLIT: 0
	.section	.text._ZN5aiter35fused_qk_rmsnorm_group_quant_kernelIDF16_N4opus5fp4_tELi256ELi8ELi8ELb0ELb1ELb0ELb1ELb0ELb0EEEvPT0_PvPT_S7_S7_PKS6_S9_S9_S9_S9_ffiiiiiiiiiiiii,"axG",@progbits,_ZN5aiter35fused_qk_rmsnorm_group_quant_kernelIDF16_N4opus5fp4_tELi256ELi8ELi8ELb0ELb1ELb0ELb1ELb0ELb0EEEvPT0_PvPT_S7_S7_PKS6_S9_S9_S9_S9_ffiiiiiiiiiiiii,comdat
	.protected	_ZN5aiter35fused_qk_rmsnorm_group_quant_kernelIDF16_N4opus5fp4_tELi256ELi8ELi8ELb0ELb1ELb0ELb1ELb0ELb0EEEvPT0_PvPT_S7_S7_PKS6_S9_S9_S9_S9_ffiiiiiiiiiiiii ; -- Begin function _ZN5aiter35fused_qk_rmsnorm_group_quant_kernelIDF16_N4opus5fp4_tELi256ELi8ELi8ELb0ELb1ELb0ELb1ELb0ELb0EEEvPT0_PvPT_S7_S7_PKS6_S9_S9_S9_S9_ffiiiiiiiiiiiii
	.globl	_ZN5aiter35fused_qk_rmsnorm_group_quant_kernelIDF16_N4opus5fp4_tELi256ELi8ELi8ELb0ELb1ELb0ELb1ELb0ELb0EEEvPT0_PvPT_S7_S7_PKS6_S9_S9_S9_S9_ffiiiiiiiiiiiii
	.p2align	8
	.type	_ZN5aiter35fused_qk_rmsnorm_group_quant_kernelIDF16_N4opus5fp4_tELi256ELi8ELi8ELb0ELb1ELb0ELb1ELb0ELb0EEEvPT0_PvPT_S7_S7_PKS6_S9_S9_S9_S9_ffiiiiiiiiiiiii,@function
_ZN5aiter35fused_qk_rmsnorm_group_quant_kernelIDF16_N4opus5fp4_tELi256ELi8ELi8ELb0ELb1ELb0ELb1ELb0ELb0EEEvPT0_PvPT_S7_S7_PKS6_S9_S9_S9_S9_ffiiiiiiiiiiiii: ; @_ZN5aiter35fused_qk_rmsnorm_group_quant_kernelIDF16_N4opus5fp4_tELi256ELi8ELi8ELb0ELb1ELb0ELb1ELb0ELb0EEEvPT0_PvPT_S7_S7_PKS6_S9_S9_S9_S9_ffiiiiiiiiiiiii
; %bb.0:
	s_load_dwordx4 s[12:15], s[4:5], 0x50
	s_waitcnt lgkmcnt(0)
	s_cmp_ge_i32 s6, s14
	s_cbranch_scc1 .LBB519_12
; %bb.1:
	s_load_dwordx2 s[24:25], s[4:5], 0x30
	s_load_dwordx2 s[8:9], s[4:5], 0x48
	s_load_dwordx4 s[16:19], s[4:5], 0x60
	s_cmp_lg_u32 s7, 0
	s_cselect_b64 s[10:11], -1, 0
	s_cmp_eq_u32 s7, 0
	s_cselect_b64 vcc, -1, 0
	s_and_b64 s[0:1], vcc, exec
	s_waitcnt lgkmcnt(0)
	s_cselect_b32 s7, s15, s16
	s_add_i32 s0, s7, 1
	s_lshr_b32 s1, s0, 31
	s_add_i32 s0, s0, s1
	s_lshl_b32 s0, s0, 1
	v_lshlrev_b32_e32 v1, 3, v0
	s_and_b32 s22, s0, -4
	v_cmp_gt_i32_e64 s[2:3], s7, v1
	v_mov_b32_e32 v10, 0
	v_mov_b32_e32 v2, 0
	;; [unrolled: 1-line block ×9, first 2 shown]
	s_and_saveexec_b64 s[0:1], s[2:3]
	s_cbranch_execz .LBB519_3
; %bb.2:
	s_load_dwordx2 s[14:15], s[4:5], 0x28
	s_load_dwordx2 s[20:21], s[4:5], 0x40
	s_and_b64 s[26:27], vcc, exec
	s_cselect_b32 s17, s17, s18
	v_lshlrev_b32_e32 v11, 4, v0
	s_waitcnt lgkmcnt(0)
	s_cselect_b32 s19, s15, s25
	s_cselect_b32 s23, s14, s24
	s_mul_hi_i32 s15, s17, s6
	s_mul_i32 s14, s17, s6
	s_lshl_b64 s[14:15], s[14:15], 1
	s_add_u32 s28, s23, s14
	s_addc_u32 s17, s19, s15
	s_and_b64 s[14:15], vcc, exec
	s_mov_b32 s23, 0x20000
	s_cselect_b32 s20, s20, s8
	s_cselect_b32 s14, s21, s9
	s_and_b32 s29, s17, 0xffff
	s_mov_b32 s30, s22
	s_mov_b32 s31, s23
	s_and_b32 s21, s14, 0xffff
	buffer_load_dwordx4 v[6:9], v11, s[28:31], 0 offen glc slc
	buffer_load_dwordx4 v[2:5], v11, s[20:23], 0 offen
.LBB519_3:
	s_or_b64 exec, exec, s[0:1]
	v_mov_b32_e32 v11, 0
	v_mov_b32_e32 v12, 0
	;; [unrolled: 1-line block ×7, first 2 shown]
	s_and_saveexec_b64 s[0:1], s[2:3]
	s_cbranch_execz .LBB519_5
; %bb.4:
	s_waitcnt vmcnt(1)
	v_cvt_f32_f16_sdwa v11, v6 dst_sel:DWORD dst_unused:UNUSED_PAD src0_sel:WORD_1
	v_cvt_f32_f16_e32 v10, v6
	v_cvt_f32_f16_sdwa v13, v7 dst_sel:DWORD dst_unused:UNUSED_PAD src0_sel:WORD_1
	v_cvt_f32_f16_e32 v12, v7
	;; [unrolled: 2-line block ×4, first 2 shown]
.LBB519_5:
	s_or_b64 exec, exec, s[0:1]
	s_waitcnt vmcnt(1)
	v_mul_f32_e32 v6, v11, v11
	v_fmac_f32_e32 v6, v10, v10
	v_fmac_f32_e32 v6, v12, v12
	;; [unrolled: 1-line block ×7, first 2 shown]
	v_and_b32_e32 v8, 63, v0
	v_cmp_eq_u32_e64 s[0:1], 63, v8
	v_mov_b32_dpp v7, v6 quad_perm:[1,0,3,2] row_mask:0xf bank_mask:0xf
	v_add_f32_e32 v6, v6, v7
	s_nop 1
	v_mov_b32_dpp v7, v6 quad_perm:[2,3,0,1] row_mask:0xf bank_mask:0xf
	v_add_f32_e32 v6, v6, v7
	s_nop 1
	v_mov_b32_dpp v7, v6 row_half_mirror row_mask:0xf bank_mask:0xf
	v_add_f32_e32 v6, v6, v7
	s_nop 1
	v_mov_b32_dpp v7, v6 row_mirror row_mask:0xf bank_mask:0xf
	v_add_f32_e32 v6, v6, v7
	s_nop 1
	v_mov_b32_dpp v7, v6 row_bcast:15 row_mask:0xf bank_mask:0xf
	v_add_f32_e32 v6, v6, v7
	s_nop 1
	v_mov_b32_dpp v7, v6 row_bcast:31 row_mask:0xf bank_mask:0xf
	s_and_saveexec_b64 s[14:15], s[0:1]
	s_cbranch_execz .LBB519_7
; %bb.6:
	v_add_f32_e32 v6, v6, v7
	v_lshrrev_b32_e32 v7, 4, v0
	v_and_b32_e32 v7, 60, v7
	ds_write_b32 v7, v6 offset:16
.LBB519_7:
	s_or_b64 exec, exec, s[14:15]
	v_and_b32_e32 v6, 3, v0
	v_lshlrev_b32_e32 v18, 2, v6
	s_waitcnt lgkmcnt(0)
	s_barrier
	ds_read_b32 v6, v18 offset:16
	s_load_dwordx2 s[14:15], s[4:5], 0x18
	s_waitcnt lgkmcnt(0)
	v_mov_b32_dpp v7, v6 quad_perm:[1,0,3,2] row_mask:0xf bank_mask:0xf
	v_add_f32_e32 v6, v6, v7
	s_nop 1
	v_mov_b32_dpp v7, v6 quad_perm:[2,3,0,1] row_mask:0xf bank_mask:0xf
	s_and_saveexec_b64 s[20:21], s[2:3]
	s_cbranch_execz .LBB519_9
; %bb.8:
	v_cvt_f32_u32_e32 v8, s7
	v_add_f32_e32 v6, v6, v7
	v_mov_b32_e32 v19, s13
	v_mov_b32_e32 v20, s12
	v_div_scale_f32 v7, s[26:27], v8, v8, v6
	v_rcp_f32_e32 v9, v7
	v_cndmask_b32_e32 v19, v19, v20, vcc
	s_mov_b32 s7, 0x800000
	v_fma_f32 v20, -v7, v9, 1.0
	v_fmac_f32_e32 v9, v20, v9
	v_div_scale_f32 v20, vcc, v6, v8, v6
	v_mul_f32_e32 v21, v20, v9
	v_fma_f32 v22, -v7, v21, v20
	v_fmac_f32_e32 v21, v22, v9
	v_fma_f32 v7, -v7, v21, v20
	v_div_fmas_f32 v7, v7, v9, v21
	v_div_fixup_f32 v6, v7, v8, v6
	v_add_f32_e32 v6, v19, v6
	v_mul_f32_e32 v7, 0x4b800000, v6
	v_cmp_gt_f32_e32 vcc, s7, v6
	v_cndmask_b32_e32 v6, v6, v7, vcc
	v_rsq_f32_e32 v6, v6
	s_waitcnt vmcnt(0)
	v_cvt_f32_f16_sdwa v21, v5 dst_sel:DWORD dst_unused:UNUSED_PAD src0_sel:WORD_1
	v_cvt_f32_f16_e32 v20, v5
	v_mul_f32_e32 v7, 0x45800000, v6
	v_cndmask_b32_e32 v6, v6, v7, vcc
	v_mov_b32_e32 v7, v6
	;;#ASMSTART
	v_pk_mul_f32 v[8:9], v[10:11], v[6:7]
	;;#ASMEND
	;;#ASMSTART
	v_pk_mul_f32 v[12:13], v[12:13], v[6:7]
	;;#ASMEND
	;; [unrolled: 3-line block ×4, first 2 shown]
	v_cvt_f32_f16_sdwa v11, v2 dst_sel:DWORD dst_unused:UNUSED_PAD src0_sel:WORD_1
	v_cvt_f32_f16_e32 v10, v2
	v_cvt_f32_f16_sdwa v17, v3 dst_sel:DWORD dst_unused:UNUSED_PAD src0_sel:WORD_1
	v_cvt_f32_f16_e32 v16, v3
	;; [unrolled: 2-line block ×3, first 2 shown]
	;;#ASMSTART
	v_pk_mul_f32 v[10:11], v[8:9], v[10:11]
	;;#ASMEND
	;;#ASMSTART
	v_pk_mul_f32 v[12:13], v[12:13], v[16:17]
	;;#ASMEND
	;; [unrolled: 3-line block ×4, first 2 shown]
.LBB519_9:
	s_or_b64 exec, exec, s[20:21]
	s_load_dwordx2 s[26:27], s[4:5], 0x7c
	s_mov_b64 s[20:21], -1
	s_and_b64 vcc, exec, s[10:11]
	s_cbranch_vccnz .LBB519_13
; %bb.10:
	s_andn2_b64 vcc, exec, s[20:21]
	s_cbranch_vccz .LBB519_16
.LBB519_11:
	s_cmp_lt_i32 s16, 1
	s_cbranch_scc0 .LBB519_19
.LBB519_12:
	s_endpgm
.LBB519_13:
	s_and_saveexec_b64 s[10:11], s[2:3]
	s_cbranch_execz .LBB519_15
; %bb.14:
	s_waitcnt lgkmcnt(0)
	s_mul_hi_i32 s21, s27, s6
	s_mul_i32 s20, s27, s6
	s_waitcnt vmcnt(0)
	v_cvt_f16_f32_e32 v2, v10
	v_cvt_f16_f32_e32 v3, v12
	;; [unrolled: 1-line block ×8, first 2 shown]
	s_lshl_b64 s[20:21], s[20:21], 1
	s_add_u32 s20, s14, s20
	s_addc_u32 s7, s15, s21
	s_and_b32 s21, s7, 0xffff
	s_mov_b32 s23, 0x20000
	v_pack_b32_f16 v5, v5, v6
	v_pack_b32_f16 v4, v4, v7
	;; [unrolled: 1-line block ×4, first 2 shown]
	v_lshlrev_b32_e32 v6, 4, v0
	buffer_store_dwordx4 v[2:5], v6, s[20:23], 0 offen
	;;#ASMSTART
	s_nop 0
	;;#ASMEND
.LBB519_15:
	s_or_b64 exec, exec, s[10:11]
	s_cbranch_execnz .LBB519_11
.LBB519_16:
	s_and_saveexec_b64 s[10:11], s[2:3]
	s_cbranch_execz .LBB519_18
; %bb.17:
	s_load_dwordx2 s[2:3], s[4:5], 0x10
	s_waitcnt lgkmcnt(0)
	s_mul_hi_i32 s21, s26, s6
	s_mul_i32 s20, s26, s6
	s_waitcnt vmcnt(0)
	v_cvt_f16_f32_e32 v2, v10
	v_cvt_f16_f32_e32 v3, v12
	;; [unrolled: 1-line block ×8, first 2 shown]
	s_lshl_b64 s[20:21], s[20:21], 1
	s_add_u32 s20, s2, s20
	s_addc_u32 s2, s3, s21
	s_mov_b32 s23, 0x20000
	s_and_b32 s21, s2, 0xffff
	v_pack_b32_f16 v5, v5, v6
	v_pack_b32_f16 v4, v4, v7
	;; [unrolled: 1-line block ×4, first 2 shown]
	v_lshlrev_b32_e32 v6, 4, v0
	buffer_store_dwordx4 v[2:5], v6, s[20:23], 0 offen
	;;#ASMSTART
	s_nop 0
	;;#ASMEND
.LBB519_18:
	s_or_b64 exec, exec, s[10:11]
	s_cmp_lt_i32 s16, 1
	s_cbranch_scc1 .LBB519_12
.LBB519_19:
	s_load_dword s2, s[4:5], 0x94
	s_waitcnt lgkmcnt(0)
	s_cmp_lg_u32 s2, 1
	s_cbranch_scc1 .LBB519_12
; %bb.20:
	s_lshl_b32 s2, s16, 1
	s_add_i32 s2, s2, 2
	v_cmp_gt_u32_e32 vcc, s16, v1
	s_and_b32 s10, s2, -4
	v_mov_b32_e32 v10, 0
	v_lshlrev_b32_e32 v1, 4, v0
	v_mov_b32_e32 v6, 0
	v_mov_b32_e32 v7, 0
	;; [unrolled: 1-line block ×4, first 2 shown]
	s_waitcnt vmcnt(0)
	v_mov_b32_e32 v2, 0
	v_mov_b32_e32 v3, 0
	;; [unrolled: 1-line block ×4, first 2 shown]
	s_barrier
	s_and_saveexec_b64 s[2:3], vcc
	s_cbranch_execz .LBB519_22
; %bb.21:
	s_mul_hi_i32 s5, s18, s6
	s_mul_i32 s4, s18, s6
	s_and_b32 s9, s9, 0xffff
	s_lshl_b64 s[4:5], s[4:5], 1
	s_add_u32 s20, s24, s4
	s_mov_b32 s11, 0x20000
	s_addc_u32 s4, s25, s5
	s_and_b32 s21, s4, 0xffff
	s_mov_b32 s22, s10
	s_mov_b32 s23, s11
	buffer_load_dwordx4 v[6:9], v1, s[20:23], 0 offen glc slc
	buffer_load_dwordx4 v[2:5], v1, s[8:11], 0 offen
.LBB519_22:
	s_or_b64 exec, exec, s[2:3]
	v_mov_b32_e32 v11, 0
	v_mov_b32_e32 v16, 0
	;; [unrolled: 1-line block ×7, first 2 shown]
	s_and_saveexec_b64 s[2:3], vcc
	s_cbranch_execz .LBB519_24
; %bb.23:
	s_waitcnt vmcnt(1)
	v_cvt_f32_f16_sdwa v11, v6 dst_sel:DWORD dst_unused:UNUSED_PAD src0_sel:WORD_1
	v_cvt_f32_f16_e32 v10, v6
	v_cvt_f32_f16_sdwa v17, v7 dst_sel:DWORD dst_unused:UNUSED_PAD src0_sel:WORD_1
	v_cvt_f32_f16_e32 v16, v7
	;; [unrolled: 2-line block ×4, first 2 shown]
.LBB519_24:
	s_or_b64 exec, exec, s[2:3]
	s_waitcnt vmcnt(1)
	v_mul_f32_e32 v6, v11, v11
	v_fmac_f32_e32 v6, v10, v10
	v_fmac_f32_e32 v6, v16, v16
	;; [unrolled: 1-line block ×7, first 2 shown]
	s_nop 1
	v_mov_b32_dpp v7, v6 quad_perm:[1,0,3,2] row_mask:0xf bank_mask:0xf
	v_add_f32_e32 v6, v6, v7
	s_nop 1
	v_mov_b32_dpp v7, v6 quad_perm:[2,3,0,1] row_mask:0xf bank_mask:0xf
	v_add_f32_e32 v6, v6, v7
	s_nop 1
	v_mov_b32_dpp v7, v6 row_half_mirror row_mask:0xf bank_mask:0xf
	v_add_f32_e32 v6, v6, v7
	s_nop 1
	v_mov_b32_dpp v7, v6 row_mirror row_mask:0xf bank_mask:0xf
	v_add_f32_e32 v6, v6, v7
	s_nop 1
	v_mov_b32_dpp v7, v6 row_bcast:15 row_mask:0xf bank_mask:0xf
	v_add_f32_e32 v6, v6, v7
	s_nop 1
	v_mov_b32_dpp v7, v6 row_bcast:31 row_mask:0xf bank_mask:0xf
	s_and_saveexec_b64 s[2:3], s[0:1]
	s_cbranch_execz .LBB519_26
; %bb.25:
	v_lshrrev_b32_e32 v0, 4, v0
	v_add_f32_e32 v6, v6, v7
	v_and_b32_e32 v0, 60, v0
	ds_write_b32 v0, v6
.LBB519_26:
	s_or_b64 exec, exec, s[2:3]
	s_waitcnt lgkmcnt(0)
	s_barrier
	ds_read_b32 v0, v18
	s_waitcnt lgkmcnt(0)
	s_nop 0
	v_mov_b32_dpp v6, v0 quad_perm:[1,0,3,2] row_mask:0xf bank_mask:0xf
	v_add_f32_e32 v0, v0, v6
	s_nop 1
	v_mov_b32_dpp v6, v0 quad_perm:[2,3,0,1] row_mask:0xf bank_mask:0xf
	s_and_saveexec_b64 s[0:1], vcc
	s_cbranch_execz .LBB519_12
; %bb.27:
	v_cvt_f32_u32_e32 v7, s16
	v_add_f32_e32 v0, v0, v6
	s_mov_b32 s11, 0x20000
	v_div_scale_f32 v6, s[0:1], v7, v7, v0
	v_rcp_f32_e32 v8, v6
	v_div_scale_f32 v9, vcc, v0, v7, v0
	s_mov_b32 s0, 0x800000
	v_fma_f32 v18, -v6, v8, 1.0
	v_fmac_f32_e32 v8, v18, v8
	v_mul_f32_e32 v18, v9, v8
	v_fma_f32 v19, -v6, v18, v9
	v_fmac_f32_e32 v18, v19, v8
	v_fma_f32 v6, -v6, v18, v9
	v_div_fmas_f32 v6, v6, v8, v18
	v_div_fixup_f32 v0, v6, v7, v0
	v_add_f32_e32 v0, s13, v0
	v_mul_f32_e32 v6, 0x4b800000, v0
	v_cmp_gt_f32_e32 vcc, s0, v0
	v_cndmask_b32_e32 v0, v0, v6, vcc
	v_rsq_f32_e32 v0, v0
	s_waitcnt vmcnt(0)
	v_cvt_f32_f16_sdwa v19, v5 dst_sel:DWORD dst_unused:UNUSED_PAD src0_sel:WORD_1
	v_cvt_f32_f16_e32 v18, v5
	s_mul_hi_i32 s1, s27, s6
	v_mul_f32_e32 v6, 0x45800000, v0
	v_cndmask_b32_e32 v6, v0, v6, vcc
	v_mov_b32_e32 v7, v6
	;;#ASMSTART
	v_pk_mul_f32 v[8:9], v[10:11], v[6:7]
	;;#ASMEND
	;;#ASMSTART
	v_pk_mul_f32 v[10:11], v[16:17], v[6:7]
	;;#ASMEND
	;; [unrolled: 3-line block ×4, first 2 shown]
	v_cvt_f32_f16_sdwa v13, v2 dst_sel:DWORD dst_unused:UNUSED_PAD src0_sel:WORD_1
	v_cvt_f32_f16_e32 v12, v2
	v_cvt_f32_f16_sdwa v17, v3 dst_sel:DWORD dst_unused:UNUSED_PAD src0_sel:WORD_1
	v_cvt_f32_f16_e32 v16, v3
	;; [unrolled: 2-line block ×3, first 2 shown]
	;;#ASMSTART
	v_pk_mul_f32 v[4:5], v[8:9], v[12:13]
	;;#ASMEND
	;;#ASMSTART
	v_pk_mul_f32 v[8:9], v[10:11], v[16:17]
	;;#ASMEND
	;; [unrolled: 3-line block ×4, first 2 shown]
	s_mul_i32 s0, s27, s6
	v_cvt_f16_f32_e32 v0, v4
	v_cvt_f16_f32_e32 v4, v5
	;; [unrolled: 1-line block ×8, first 2 shown]
	s_lshl_b64 s[0:1], s[0:1], 1
	s_add_u32 s8, s14, s0
	s_addc_u32 s0, s15, s1
	s_and_b32 s9, s0, 0xffff
	v_pack_b32_f16 v2, v0, v4
	v_pack_b32_f16 v3, v5, v8
	;; [unrolled: 1-line block ×4, first 2 shown]
	buffer_store_dwordx4 v[2:5], v1, s[8:11], 0 offen
	;;#ASMSTART
	s_nop 0
	;;#ASMEND
	s_endpgm
	.section	.rodata,"a",@progbits
	.p2align	6, 0x0
	.amdhsa_kernel _ZN5aiter35fused_qk_rmsnorm_group_quant_kernelIDF16_N4opus5fp4_tELi256ELi8ELi8ELb0ELb1ELb0ELb1ELb0ELb0EEEvPT0_PvPT_S7_S7_PKS6_S9_S9_S9_S9_ffiiiiiiiiiiiii
		.amdhsa_group_segment_fixed_size 32
		.amdhsa_private_segment_fixed_size 0
		.amdhsa_kernarg_size 400
		.amdhsa_user_sgpr_count 6
		.amdhsa_user_sgpr_private_segment_buffer 1
		.amdhsa_user_sgpr_dispatch_ptr 0
		.amdhsa_user_sgpr_queue_ptr 0
		.amdhsa_user_sgpr_kernarg_segment_ptr 1
		.amdhsa_user_sgpr_dispatch_id 0
		.amdhsa_user_sgpr_flat_scratch_init 0
		.amdhsa_user_sgpr_kernarg_preload_length 0
		.amdhsa_user_sgpr_kernarg_preload_offset 0
		.amdhsa_user_sgpr_private_segment_size 0
		.amdhsa_uses_dynamic_stack 0
		.amdhsa_system_sgpr_private_segment_wavefront_offset 0
		.amdhsa_system_sgpr_workgroup_id_x 1
		.amdhsa_system_sgpr_workgroup_id_y 1
		.amdhsa_system_sgpr_workgroup_id_z 0
		.amdhsa_system_sgpr_workgroup_info 0
		.amdhsa_system_vgpr_workitem_id 0
		.amdhsa_next_free_vgpr 23
		.amdhsa_next_free_sgpr 32
		.amdhsa_accum_offset 24
		.amdhsa_reserve_vcc 1
		.amdhsa_reserve_flat_scratch 0
		.amdhsa_float_round_mode_32 0
		.amdhsa_float_round_mode_16_64 0
		.amdhsa_float_denorm_mode_32 3
		.amdhsa_float_denorm_mode_16_64 3
		.amdhsa_dx10_clamp 1
		.amdhsa_ieee_mode 1
		.amdhsa_fp16_overflow 0
		.amdhsa_tg_split 0
		.amdhsa_exception_fp_ieee_invalid_op 0
		.amdhsa_exception_fp_denorm_src 0
		.amdhsa_exception_fp_ieee_div_zero 0
		.amdhsa_exception_fp_ieee_overflow 0
		.amdhsa_exception_fp_ieee_underflow 0
		.amdhsa_exception_fp_ieee_inexact 0
		.amdhsa_exception_int_div_zero 0
	.end_amdhsa_kernel
	.section	.text._ZN5aiter35fused_qk_rmsnorm_group_quant_kernelIDF16_N4opus5fp4_tELi256ELi8ELi8ELb0ELb1ELb0ELb1ELb0ELb0EEEvPT0_PvPT_S7_S7_PKS6_S9_S9_S9_S9_ffiiiiiiiiiiiii,"axG",@progbits,_ZN5aiter35fused_qk_rmsnorm_group_quant_kernelIDF16_N4opus5fp4_tELi256ELi8ELi8ELb0ELb1ELb0ELb1ELb0ELb0EEEvPT0_PvPT_S7_S7_PKS6_S9_S9_S9_S9_ffiiiiiiiiiiiii,comdat
.Lfunc_end519:
	.size	_ZN5aiter35fused_qk_rmsnorm_group_quant_kernelIDF16_N4opus5fp4_tELi256ELi8ELi8ELb0ELb1ELb0ELb1ELb0ELb0EEEvPT0_PvPT_S7_S7_PKS6_S9_S9_S9_S9_ffiiiiiiiiiiiii, .Lfunc_end519-_ZN5aiter35fused_qk_rmsnorm_group_quant_kernelIDF16_N4opus5fp4_tELi256ELi8ELi8ELb0ELb1ELb0ELb1ELb0ELb0EEEvPT0_PvPT_S7_S7_PKS6_S9_S9_S9_S9_ffiiiiiiiiiiiii
                                        ; -- End function
	.section	.AMDGPU.csdata,"",@progbits
; Kernel info:
; codeLenInByte = 2036
; NumSgprs: 36
; NumVgprs: 23
; NumAgprs: 0
; TotalNumVgprs: 23
; ScratchSize: 0
; MemoryBound: 0
; FloatMode: 240
; IeeeMode: 1
; LDSByteSize: 32 bytes/workgroup (compile time only)
; SGPRBlocks: 4
; VGPRBlocks: 2
; NumSGPRsForWavesPerEU: 36
; NumVGPRsForWavesPerEU: 23
; AccumOffset: 24
; Occupancy: 8
; WaveLimiterHint : 0
; COMPUTE_PGM_RSRC2:SCRATCH_EN: 0
; COMPUTE_PGM_RSRC2:USER_SGPR: 6
; COMPUTE_PGM_RSRC2:TRAP_HANDLER: 0
; COMPUTE_PGM_RSRC2:TGID_X_EN: 1
; COMPUTE_PGM_RSRC2:TGID_Y_EN: 1
; COMPUTE_PGM_RSRC2:TGID_Z_EN: 0
; COMPUTE_PGM_RSRC2:TIDIG_COMP_CNT: 0
; COMPUTE_PGM_RSRC3_GFX90A:ACCUM_OFFSET: 5
; COMPUTE_PGM_RSRC3_GFX90A:TG_SPLIT: 0
	.section	.text._ZN5aiter35fused_qk_rmsnorm_group_quant_kernelItN4opus5fp4_tELi256ELi8ELi8ELb0ELb1ELb0ELb1ELb0ELb0EEEvPT0_PvPT_S7_S7_PKS6_S9_S9_S9_S9_ffiiiiiiiiiiiii,"axG",@progbits,_ZN5aiter35fused_qk_rmsnorm_group_quant_kernelItN4opus5fp4_tELi256ELi8ELi8ELb0ELb1ELb0ELb1ELb0ELb0EEEvPT0_PvPT_S7_S7_PKS6_S9_S9_S9_S9_ffiiiiiiiiiiiii,comdat
	.protected	_ZN5aiter35fused_qk_rmsnorm_group_quant_kernelItN4opus5fp4_tELi256ELi8ELi8ELb0ELb1ELb0ELb1ELb0ELb0EEEvPT0_PvPT_S7_S7_PKS6_S9_S9_S9_S9_ffiiiiiiiiiiiii ; -- Begin function _ZN5aiter35fused_qk_rmsnorm_group_quant_kernelItN4opus5fp4_tELi256ELi8ELi8ELb0ELb1ELb0ELb1ELb0ELb0EEEvPT0_PvPT_S7_S7_PKS6_S9_S9_S9_S9_ffiiiiiiiiiiiii
	.globl	_ZN5aiter35fused_qk_rmsnorm_group_quant_kernelItN4opus5fp4_tELi256ELi8ELi8ELb0ELb1ELb0ELb1ELb0ELb0EEEvPT0_PvPT_S7_S7_PKS6_S9_S9_S9_S9_ffiiiiiiiiiiiii
	.p2align	8
	.type	_ZN5aiter35fused_qk_rmsnorm_group_quant_kernelItN4opus5fp4_tELi256ELi8ELi8ELb0ELb1ELb0ELb1ELb0ELb0EEEvPT0_PvPT_S7_S7_PKS6_S9_S9_S9_S9_ffiiiiiiiiiiiii,@function
_ZN5aiter35fused_qk_rmsnorm_group_quant_kernelItN4opus5fp4_tELi256ELi8ELi8ELb0ELb1ELb0ELb1ELb0ELb0EEEvPT0_PvPT_S7_S7_PKS6_S9_S9_S9_S9_ffiiiiiiiiiiiii: ; @_ZN5aiter35fused_qk_rmsnorm_group_quant_kernelItN4opus5fp4_tELi256ELi8ELi8ELb0ELb1ELb0ELb1ELb0ELb0EEEvPT0_PvPT_S7_S7_PKS6_S9_S9_S9_S9_ffiiiiiiiiiiiii
; %bb.0:
	s_load_dwordx4 s[12:15], s[4:5], 0x50
	s_waitcnt lgkmcnt(0)
	s_cmp_ge_i32 s6, s14
	s_cbranch_scc1 .LBB520_10
; %bb.1:
	s_load_dwordx2 s[24:25], s[4:5], 0x30
	s_load_dwordx2 s[8:9], s[4:5], 0x48
	s_load_dwordx4 s[16:19], s[4:5], 0x60
	s_cmp_lg_u32 s7, 0
	s_cselect_b64 s[10:11], -1, 0
	s_cmp_eq_u32 s7, 0
	s_cselect_b64 vcc, -1, 0
	s_and_b64 s[0:1], vcc, exec
	s_waitcnt lgkmcnt(0)
	s_cselect_b32 s7, s15, s16
	s_add_i32 s0, s7, 1
	s_lshr_b32 s1, s0, 31
	s_add_i32 s0, s0, s1
	s_lshl_b32 s0, s0, 1
	v_lshlrev_b32_e32 v1, 3, v0
	s_and_b32 s22, s0, -4
	v_cmp_gt_i32_e64 s[2:3], s7, v1
	v_mov_b32_e32 v2, 0
	v_mov_b32_e32 v3, 0
	;; [unrolled: 1-line block ×8, first 2 shown]
	s_and_saveexec_b64 s[0:1], s[2:3]
	s_cbranch_execz .LBB520_3
; %bb.2:
	s_load_dwordx2 s[14:15], s[4:5], 0x28
	s_load_dwordx2 s[20:21], s[4:5], 0x40
	s_and_b64 s[26:27], vcc, exec
	s_cselect_b32 s17, s17, s18
	v_lshlrev_b32_e32 v10, 4, v0
	s_waitcnt lgkmcnt(0)
	s_cselect_b32 s19, s15, s25
	s_cselect_b32 s23, s14, s24
	s_mul_hi_i32 s15, s17, s6
	s_mul_i32 s14, s17, s6
	s_lshl_b64 s[14:15], s[14:15], 1
	s_add_u32 s28, s23, s14
	s_addc_u32 s17, s19, s15
	s_and_b64 s[14:15], vcc, exec
	s_mov_b32 s23, 0x20000
	s_cselect_b32 s20, s20, s8
	s_cselect_b32 s14, s21, s9
	s_and_b32 s29, s17, 0xffff
	s_mov_b32 s30, s22
	s_mov_b32 s31, s23
	s_and_b32 s21, s14, 0xffff
	buffer_load_dwordx4 v[6:9], v10, s[28:31], 0 offen glc slc
	buffer_load_dwordx4 v[2:5], v10, s[20:23], 0 offen
.LBB520_3:
	s_or_b64 exec, exec, s[0:1]
	s_waitcnt vmcnt(1)
	v_cvt_f32_u32_sdwa v13, v6 dst_sel:DWORD dst_unused:UNUSED_PAD src0_sel:WORD_1
	v_cvt_f32_u32_sdwa v12, v6 dst_sel:DWORD dst_unused:UNUSED_PAD src0_sel:WORD_0
	v_cvt_f32_u32_sdwa v6, v9 dst_sel:DWORD dst_unused:UNUSED_PAD src0_sel:WORD_1
	v_cvt_f32_u32_sdwa v9, v9 dst_sel:DWORD dst_unused:UNUSED_PAD src0_sel:WORD_0
	;; [unrolled: 2-line block ×4, first 2 shown]
	v_cndmask_b32_e64 v13, 0, v13, s[2:3]
	v_cndmask_b32_e64 v7, 0, v6, s[2:3]
	;; [unrolled: 1-line block ×5, first 2 shown]
	v_mul_f32_e32 v14, v13, v13
	v_cndmask_b32_e64 v10, 0, v10, s[2:3]
	v_fmac_f32_e32 v14, v12, v12
	v_cndmask_b32_e64 v11, 0, v11, s[2:3]
	v_fmac_f32_e32 v14, v10, v10
	;; [unrolled: 2-line block ×3, first 2 shown]
	v_fmac_f32_e32 v14, v8, v8
	v_fmac_f32_e32 v14, v9, v9
	;; [unrolled: 1-line block ×4, first 2 shown]
	v_and_b32_e32 v16, 63, v0
	v_cmp_eq_u32_e64 s[0:1], 63, v16
	v_mov_b32_dpp v15, v14 quad_perm:[1,0,3,2] row_mask:0xf bank_mask:0xf
	v_add_f32_e32 v14, v14, v15
	s_nop 1
	v_mov_b32_dpp v15, v14 quad_perm:[2,3,0,1] row_mask:0xf bank_mask:0xf
	v_add_f32_e32 v14, v14, v15
	s_nop 1
	v_mov_b32_dpp v15, v14 row_half_mirror row_mask:0xf bank_mask:0xf
	v_add_f32_e32 v14, v14, v15
	s_nop 1
	v_mov_b32_dpp v15, v14 row_mirror row_mask:0xf bank_mask:0xf
	v_add_f32_e32 v14, v14, v15
	s_nop 1
	v_mov_b32_dpp v15, v14 row_bcast:15 row_mask:0xf bank_mask:0xf
	v_add_f32_e32 v14, v14, v15
	s_nop 1
	v_mov_b32_dpp v15, v14 row_bcast:31 row_mask:0xf bank_mask:0xf
	s_and_saveexec_b64 s[14:15], s[0:1]
	s_cbranch_execz .LBB520_5
; %bb.4:
	v_add_f32_e32 v14, v14, v15
	v_lshrrev_b32_e32 v15, 4, v0
	v_and_b32_e32 v15, 60, v15
	ds_write_b32 v15, v14 offset:16
.LBB520_5:
	s_or_b64 exec, exec, s[14:15]
	v_and_b32_e32 v14, 3, v0
	v_lshlrev_b32_e32 v14, 2, v14
	s_waitcnt lgkmcnt(0)
	s_barrier
	ds_read_b32 v15, v14 offset:16
	s_load_dwordx2 s[14:15], s[4:5], 0x18
	s_waitcnt lgkmcnt(0)
	v_mov_b32_dpp v16, v15 quad_perm:[1,0,3,2] row_mask:0xf bank_mask:0xf
	v_add_f32_e32 v15, v15, v16
	s_nop 1
	v_mov_b32_dpp v16, v15 quad_perm:[2,3,0,1] row_mask:0xf bank_mask:0xf
	s_and_saveexec_b64 s[20:21], s[2:3]
	s_cbranch_execz .LBB520_7
; %bb.6:
	v_cvt_f32_u32_e32 v17, s7
	v_add_f32_e32 v15, v15, v16
	v_mov_b32_e32 v19, s13
	v_mov_b32_e32 v20, s12
	v_div_scale_f32 v16, s[26:27], v17, v17, v15
	v_rcp_f32_e32 v18, v16
	v_cndmask_b32_e32 v19, v19, v20, vcc
	s_mov_b32 s7, 0x800000
	v_fma_f32 v20, -v16, v18, 1.0
	v_fmac_f32_e32 v18, v20, v18
	v_div_scale_f32 v20, vcc, v15, v17, v15
	v_mul_f32_e32 v21, v20, v18
	v_fma_f32 v22, -v16, v21, v20
	v_fmac_f32_e32 v21, v22, v18
	v_fma_f32 v16, -v16, v21, v20
	v_div_fmas_f32 v16, v16, v18, v21
	v_div_fixup_f32 v15, v16, v17, v15
	v_add_f32_e32 v15, v19, v15
	v_mul_f32_e32 v16, 0x4b800000, v15
	v_cmp_gt_f32_e32 vcc, s7, v15
	v_cndmask_b32_e32 v15, v15, v16, vcc
	v_rsq_f32_e32 v15, v15
	s_waitcnt vmcnt(0)
	v_cvt_f32_u32_sdwa v19, v3 dst_sel:DWORD dst_unused:UNUSED_PAD src0_sel:WORD_1
	v_cvt_f32_u32_sdwa v18, v3 dst_sel:DWORD dst_unused:UNUSED_PAD src0_sel:WORD_0
	v_cvt_f32_u32_sdwa v3, v4 dst_sel:DWORD dst_unused:UNUSED_PAD src0_sel:WORD_1
	v_mul_f32_e32 v16, 0x45800000, v15
	v_cndmask_b32_e32 v16, v15, v16, vcc
	v_mov_b32_e32 v17, v16
	;;#ASMSTART
	v_pk_mul_f32 v[12:13], v[12:13], v[16:17]
	;;#ASMEND
	;;#ASMSTART
	v_pk_mul_f32 v[10:11], v[10:11], v[16:17]
	;;#ASMEND
	;; [unrolled: 3-line block ×4, first 2 shown]
	v_cvt_f32_u32_sdwa v17, v2 dst_sel:DWORD dst_unused:UNUSED_PAD src0_sel:WORD_1
	v_cvt_f32_u32_sdwa v16, v2 dst_sel:DWORD dst_unused:UNUSED_PAD src0_sel:WORD_0
	v_cvt_f32_u32_sdwa v2, v4 dst_sel:DWORD dst_unused:UNUSED_PAD src0_sel:WORD_0
	v_cvt_f32_u32_sdwa v21, v5 dst_sel:DWORD dst_unused:UNUSED_PAD src0_sel:WORD_1
	v_cvt_f32_u32_sdwa v20, v5 dst_sel:DWORD dst_unused:UNUSED_PAD src0_sel:WORD_0
	;;#ASMSTART
	v_pk_mul_f32 v[12:13], v[12:13], v[16:17]
	;;#ASMEND
	;;#ASMSTART
	v_pk_mul_f32 v[10:11], v[10:11], v[18:19]
	;;#ASMEND
	;; [unrolled: 3-line block ×4, first 2 shown]
.LBB520_7:
	s_or_b64 exec, exec, s[20:21]
	s_load_dwordx2 s[26:27], s[4:5], 0x7c
	s_mov_b64 s[20:21], -1
	s_and_b64 vcc, exec, s[10:11]
	s_cbranch_vccnz .LBB520_11
; %bb.8:
	s_andn2_b64 vcc, exec, s[20:21]
	s_cbranch_vccz .LBB520_14
.LBB520_9:
	s_cmp_lt_i32 s16, 1
	s_cbranch_scc0 .LBB520_17
.LBB520_10:
	s_endpgm
.LBB520_11:
	s_and_saveexec_b64 s[10:11], s[2:3]
	s_cbranch_execz .LBB520_13
; %bb.12:
	s_waitcnt lgkmcnt(0)
	s_mul_hi_i32 s21, s27, s6
	s_mul_i32 s20, s27, s6
	s_lshl_b64 s[20:21], s[20:21], 1
	s_add_u32 s20, s14, s20
	s_addc_u32 s7, s15, s21
	s_and_b32 s21, s7, 0xffff
	s_mov_b32 s7, 0x7060302
	s_mov_b32 s23, 0x20000
	s_waitcnt vmcnt(0)
	v_perm_b32 v2, v13, v12, s7
	v_perm_b32 v3, v11, v10, s7
	v_perm_b32 v4, v9, v8, s7
	v_perm_b32 v5, v7, v6, s7
	v_lshlrev_b32_e32 v15, 4, v0
	buffer_store_dwordx4 v[2:5], v15, s[20:23], 0 offen
	;;#ASMSTART
	s_nop 0
	;;#ASMEND
.LBB520_13:
	s_or_b64 exec, exec, s[10:11]
	s_cbranch_execnz .LBB520_9
.LBB520_14:
	s_and_saveexec_b64 s[10:11], s[2:3]
	s_cbranch_execz .LBB520_16
; %bb.15:
	s_load_dwordx2 s[2:3], s[4:5], 0x10
	s_waitcnt lgkmcnt(0)
	s_mul_hi_i32 s21, s26, s6
	s_mul_i32 s20, s26, s6
	s_lshl_b64 s[20:21], s[20:21], 1
	s_mov_b32 s23, 0x20000
	s_add_u32 s20, s2, s20
	s_addc_u32 s2, s3, s21
	s_and_b32 s21, s2, 0xffff
	s_mov_b32 s2, 0x7060302
	s_waitcnt vmcnt(0)
	v_perm_b32 v2, v13, v12, s2
	v_perm_b32 v3, v11, v10, s2
	;; [unrolled: 1-line block ×4, first 2 shown]
	v_lshlrev_b32_e32 v6, 4, v0
	buffer_store_dwordx4 v[2:5], v6, s[20:23], 0 offen
	;;#ASMSTART
	s_nop 0
	;;#ASMEND
.LBB520_16:
	s_or_b64 exec, exec, s[10:11]
	s_cmp_lt_i32 s16, 1
	s_cbranch_scc1 .LBB520_10
.LBB520_17:
	s_load_dword s2, s[4:5], 0x94
	s_waitcnt lgkmcnt(0)
	s_cmp_lg_u32 s2, 1
	s_cbranch_scc1 .LBB520_10
; %bb.18:
	s_lshl_b32 s2, s16, 1
	s_add_i32 s2, s2, 2
	v_cmp_gt_u32_e32 vcc, s16, v1
	s_and_b32 s10, s2, -4
	v_mov_b32_e32 v6, 0
	v_lshlrev_b32_e32 v1, 4, v0
	v_mov_b32_e32 v7, 0
	v_mov_b32_e32 v8, 0
	;; [unrolled: 1-line block ×3, first 2 shown]
	s_waitcnt vmcnt(0)
	v_mov_b32_e32 v2, 0
	v_mov_b32_e32 v3, 0
	;; [unrolled: 1-line block ×4, first 2 shown]
	s_barrier
	s_and_saveexec_b64 s[2:3], vcc
	s_cbranch_execz .LBB520_20
; %bb.19:
	s_mul_hi_i32 s5, s18, s6
	s_mul_i32 s4, s18, s6
	s_and_b32 s9, s9, 0xffff
	s_lshl_b64 s[4:5], s[4:5], 1
	s_add_u32 s20, s24, s4
	s_mov_b32 s11, 0x20000
	s_addc_u32 s4, s25, s5
	s_and_b32 s21, s4, 0xffff
	s_mov_b32 s22, s10
	s_mov_b32 s23, s11
	buffer_load_dwordx4 v[6:9], v1, s[20:23], 0 offen glc slc
	buffer_load_dwordx4 v[2:5], v1, s[8:11], 0 offen
.LBB520_20:
	s_or_b64 exec, exec, s[2:3]
	s_waitcnt vmcnt(1)
	v_cvt_f32_u32_sdwa v13, v6 dst_sel:DWORD dst_unused:UNUSED_PAD src0_sel:WORD_1
	v_cvt_f32_u32_sdwa v12, v6 dst_sel:DWORD dst_unused:UNUSED_PAD src0_sel:WORD_0
	v_cvt_f32_u32_sdwa v6, v9 dst_sel:DWORD dst_unused:UNUSED_PAD src0_sel:WORD_1
	v_cvt_f32_u32_sdwa v9, v9 dst_sel:DWORD dst_unused:UNUSED_PAD src0_sel:WORD_0
	;; [unrolled: 2-line block ×4, first 2 shown]
	v_cndmask_b32_e32 v13, 0, v13, vcc
	v_cndmask_b32_e32 v7, 0, v6, vcc
	;; [unrolled: 1-line block ×5, first 2 shown]
	v_mul_f32_e32 v15, v13, v13
	v_cndmask_b32_e32 v10, 0, v10, vcc
	v_fmac_f32_e32 v15, v12, v12
	v_cndmask_b32_e32 v11, 0, v11, vcc
	v_fmac_f32_e32 v15, v10, v10
	;; [unrolled: 2-line block ×3, first 2 shown]
	v_fmac_f32_e32 v15, v8, v8
	v_fmac_f32_e32 v15, v9, v9
	;; [unrolled: 1-line block ×4, first 2 shown]
	s_nop 1
	v_mov_b32_dpp v16, v15 quad_perm:[1,0,3,2] row_mask:0xf bank_mask:0xf
	v_add_f32_e32 v15, v15, v16
	s_nop 1
	v_mov_b32_dpp v16, v15 quad_perm:[2,3,0,1] row_mask:0xf bank_mask:0xf
	v_add_f32_e32 v15, v15, v16
	s_nop 1
	v_mov_b32_dpp v16, v15 row_half_mirror row_mask:0xf bank_mask:0xf
	v_add_f32_e32 v15, v15, v16
	s_nop 1
	v_mov_b32_dpp v16, v15 row_mirror row_mask:0xf bank_mask:0xf
	v_add_f32_e32 v15, v15, v16
	s_nop 1
	v_mov_b32_dpp v16, v15 row_bcast:15 row_mask:0xf bank_mask:0xf
	v_add_f32_e32 v15, v15, v16
	s_nop 1
	v_mov_b32_dpp v16, v15 row_bcast:31 row_mask:0xf bank_mask:0xf
	s_and_saveexec_b64 s[2:3], s[0:1]
	s_cbranch_execz .LBB520_22
; %bb.21:
	v_lshrrev_b32_e32 v0, 4, v0
	v_add_f32_e32 v15, v15, v16
	v_and_b32_e32 v0, 60, v0
	ds_write_b32 v0, v15
.LBB520_22:
	s_or_b64 exec, exec, s[2:3]
	s_waitcnt lgkmcnt(0)
	s_barrier
	ds_read_b32 v0, v14
	s_waitcnt lgkmcnt(0)
	s_nop 0
	v_mov_b32_dpp v14, v0 quad_perm:[1,0,3,2] row_mask:0xf bank_mask:0xf
	v_add_f32_e32 v0, v0, v14
	s_nop 1
	v_mov_b32_dpp v14, v0 quad_perm:[2,3,0,1] row_mask:0xf bank_mask:0xf
	s_and_saveexec_b64 s[0:1], vcc
	s_cbranch_execz .LBB520_10
; %bb.23:
	v_cvt_f32_u32_e32 v15, s16
	v_add_f32_e32 v0, v0, v14
	s_mov_b32 s11, 0x20000
	v_div_scale_f32 v14, s[0:1], v15, v15, v0
	v_rcp_f32_e32 v16, v14
	v_div_scale_f32 v17, vcc, v0, v15, v0
	s_mov_b32 s0, 0x800000
	v_fma_f32 v18, -v14, v16, 1.0
	v_fmac_f32_e32 v16, v18, v16
	v_mul_f32_e32 v18, v17, v16
	v_fma_f32 v19, -v14, v18, v17
	v_fmac_f32_e32 v18, v19, v16
	v_fma_f32 v14, -v14, v18, v17
	v_div_fmas_f32 v14, v14, v16, v18
	v_div_fixup_f32 v0, v14, v15, v0
	v_add_f32_e32 v0, s13, v0
	v_mul_f32_e32 v14, 0x4b800000, v0
	v_cmp_gt_f32_e32 vcc, s0, v0
	v_cndmask_b32_e32 v0, v0, v14, vcc
	v_rsq_f32_e32 v0, v0
	s_mul_hi_i32 s1, s27, s6
	s_mul_i32 s0, s27, s6
	s_lshl_b64 s[0:1], s[0:1], 1
	v_mul_f32_e32 v14, 0x45800000, v0
	v_cndmask_b32_e32 v14, v0, v14, vcc
	s_add_u32 s8, s14, s0
	v_mov_b32_e32 v15, v14
	s_addc_u32 s0, s15, s1
	;;#ASMSTART
	v_pk_mul_f32 v[12:13], v[12:13], v[14:15]
	;;#ASMEND
	;;#ASMSTART
	v_pk_mul_f32 v[10:11], v[10:11], v[14:15]
	;;#ASMEND
	;;#ASMSTART
	v_pk_mul_f32 v[8:9], v[8:9], v[14:15]
	;;#ASMEND
	;;#ASMSTART
	v_pk_mul_f32 v[6:7], v[6:7], v[14:15]
	;;#ASMEND
	s_waitcnt vmcnt(0)
	v_cvt_f32_u32_sdwa v15, v2 dst_sel:DWORD dst_unused:UNUSED_PAD src0_sel:WORD_1
	v_cvt_f32_u32_sdwa v14, v2 dst_sel:DWORD dst_unused:UNUSED_PAD src0_sel:WORD_0
	v_cvt_f32_u32_sdwa v17, v3 dst_sel:DWORD dst_unused:UNUSED_PAD src0_sel:WORD_1
	v_cvt_f32_u32_sdwa v16, v3 dst_sel:DWORD dst_unused:UNUSED_PAD src0_sel:WORD_0
	;; [unrolled: 2-line block ×4, first 2 shown]
	;;#ASMSTART
	v_pk_mul_f32 v[4:5], v[12:13], v[14:15]
	;;#ASMEND
	s_and_b32 s9, s0, 0xffff
	s_mov_b32 s0, 0x7060302
	;;#ASMSTART
	v_pk_mul_f32 v[10:11], v[10:11], v[16:17]
	;;#ASMEND
	;;#ASMSTART
	v_pk_mul_f32 v[8:9], v[8:9], v[2:3]
	;;#ASMEND
	;;#ASMSTART
	v_pk_mul_f32 v[6:7], v[6:7], v[18:19]
	;;#ASMEND
	v_perm_b32 v2, v5, v4, s0
	v_perm_b32 v3, v11, v10, s0
	;; [unrolled: 1-line block ×4, first 2 shown]
	buffer_store_dwordx4 v[2:5], v1, s[8:11], 0 offen
	;;#ASMSTART
	s_nop 0
	;;#ASMEND
	s_endpgm
	.section	.rodata,"a",@progbits
	.p2align	6, 0x0
	.amdhsa_kernel _ZN5aiter35fused_qk_rmsnorm_group_quant_kernelItN4opus5fp4_tELi256ELi8ELi8ELb0ELb1ELb0ELb1ELb0ELb0EEEvPT0_PvPT_S7_S7_PKS6_S9_S9_S9_S9_ffiiiiiiiiiiiii
		.amdhsa_group_segment_fixed_size 32
		.amdhsa_private_segment_fixed_size 0
		.amdhsa_kernarg_size 400
		.amdhsa_user_sgpr_count 6
		.amdhsa_user_sgpr_private_segment_buffer 1
		.amdhsa_user_sgpr_dispatch_ptr 0
		.amdhsa_user_sgpr_queue_ptr 0
		.amdhsa_user_sgpr_kernarg_segment_ptr 1
		.amdhsa_user_sgpr_dispatch_id 0
		.amdhsa_user_sgpr_flat_scratch_init 0
		.amdhsa_user_sgpr_kernarg_preload_length 0
		.amdhsa_user_sgpr_kernarg_preload_offset 0
		.amdhsa_user_sgpr_private_segment_size 0
		.amdhsa_uses_dynamic_stack 0
		.amdhsa_system_sgpr_private_segment_wavefront_offset 0
		.amdhsa_system_sgpr_workgroup_id_x 1
		.amdhsa_system_sgpr_workgroup_id_y 1
		.amdhsa_system_sgpr_workgroup_id_z 0
		.amdhsa_system_sgpr_workgroup_info 0
		.amdhsa_system_vgpr_workitem_id 0
		.amdhsa_next_free_vgpr 23
		.amdhsa_next_free_sgpr 32
		.amdhsa_accum_offset 24
		.amdhsa_reserve_vcc 1
		.amdhsa_reserve_flat_scratch 0
		.amdhsa_float_round_mode_32 0
		.amdhsa_float_round_mode_16_64 0
		.amdhsa_float_denorm_mode_32 3
		.amdhsa_float_denorm_mode_16_64 3
		.amdhsa_dx10_clamp 1
		.amdhsa_ieee_mode 1
		.amdhsa_fp16_overflow 0
		.amdhsa_tg_split 0
		.amdhsa_exception_fp_ieee_invalid_op 0
		.amdhsa_exception_fp_denorm_src 0
		.amdhsa_exception_fp_ieee_div_zero 0
		.amdhsa_exception_fp_ieee_overflow 0
		.amdhsa_exception_fp_ieee_underflow 0
		.amdhsa_exception_fp_ieee_inexact 0
		.amdhsa_exception_int_div_zero 0
	.end_amdhsa_kernel
	.section	.text._ZN5aiter35fused_qk_rmsnorm_group_quant_kernelItN4opus5fp4_tELi256ELi8ELi8ELb0ELb1ELb0ELb1ELb0ELb0EEEvPT0_PvPT_S7_S7_PKS6_S9_S9_S9_S9_ffiiiiiiiiiiiii,"axG",@progbits,_ZN5aiter35fused_qk_rmsnorm_group_quant_kernelItN4opus5fp4_tELi256ELi8ELi8ELb0ELb1ELb0ELb1ELb0ELb0EEEvPT0_PvPT_S7_S7_PKS6_S9_S9_S9_S9_ffiiiiiiiiiiiii,comdat
.Lfunc_end520:
	.size	_ZN5aiter35fused_qk_rmsnorm_group_quant_kernelItN4opus5fp4_tELi256ELi8ELi8ELb0ELb1ELb0ELb1ELb0ELb0EEEvPT0_PvPT_S7_S7_PKS6_S9_S9_S9_S9_ffiiiiiiiiiiiii, .Lfunc_end520-_ZN5aiter35fused_qk_rmsnorm_group_quant_kernelItN4opus5fp4_tELi256ELi8ELi8ELb0ELb1ELb0ELb1ELb0ELb0EEEvPT0_PvPT_S7_S7_PKS6_S9_S9_S9_S9_ffiiiiiiiiiiiii
                                        ; -- End function
	.section	.AMDGPU.csdata,"",@progbits
; Kernel info:
; codeLenInByte = 2028
; NumSgprs: 36
; NumVgprs: 23
; NumAgprs: 0
; TotalNumVgprs: 23
; ScratchSize: 0
; MemoryBound: 0
; FloatMode: 240
; IeeeMode: 1
; LDSByteSize: 32 bytes/workgroup (compile time only)
; SGPRBlocks: 4
; VGPRBlocks: 2
; NumSGPRsForWavesPerEU: 36
; NumVGPRsForWavesPerEU: 23
; AccumOffset: 24
; Occupancy: 8
; WaveLimiterHint : 0
; COMPUTE_PGM_RSRC2:SCRATCH_EN: 0
; COMPUTE_PGM_RSRC2:USER_SGPR: 6
; COMPUTE_PGM_RSRC2:TRAP_HANDLER: 0
; COMPUTE_PGM_RSRC2:TGID_X_EN: 1
; COMPUTE_PGM_RSRC2:TGID_Y_EN: 1
; COMPUTE_PGM_RSRC2:TGID_Z_EN: 0
; COMPUTE_PGM_RSRC2:TIDIG_COMP_CNT: 0
; COMPUTE_PGM_RSRC3_GFX90A:ACCUM_OFFSET: 5
; COMPUTE_PGM_RSRC3_GFX90A:TG_SPLIT: 0
	.section	.text._ZN5aiter35fused_qk_rmsnorm_group_quant_kernelIDF16_DB8_Li256ELi8ELi8ELb1ELb1ELb1ELb0ELb0ELb0EEEvPT0_PvPT_S6_S6_PKS5_S8_S8_S8_S8_ffiiiiiiiiiiiii,"axG",@progbits,_ZN5aiter35fused_qk_rmsnorm_group_quant_kernelIDF16_DB8_Li256ELi8ELi8ELb1ELb1ELb1ELb0ELb0ELb0EEEvPT0_PvPT_S6_S6_PKS5_S8_S8_S8_S8_ffiiiiiiiiiiiii,comdat
	.protected	_ZN5aiter35fused_qk_rmsnorm_group_quant_kernelIDF16_DB8_Li256ELi8ELi8ELb1ELb1ELb1ELb0ELb0ELb0EEEvPT0_PvPT_S6_S6_PKS5_S8_S8_S8_S8_ffiiiiiiiiiiiii ; -- Begin function _ZN5aiter35fused_qk_rmsnorm_group_quant_kernelIDF16_DB8_Li256ELi8ELi8ELb1ELb1ELb1ELb0ELb0ELb0EEEvPT0_PvPT_S6_S6_PKS5_S8_S8_S8_S8_ffiiiiiiiiiiiii
	.globl	_ZN5aiter35fused_qk_rmsnorm_group_quant_kernelIDF16_DB8_Li256ELi8ELi8ELb1ELb1ELb1ELb0ELb0ELb0EEEvPT0_PvPT_S6_S6_PKS5_S8_S8_S8_S8_ffiiiiiiiiiiiii
	.p2align	8
	.type	_ZN5aiter35fused_qk_rmsnorm_group_quant_kernelIDF16_DB8_Li256ELi8ELi8ELb1ELb1ELb1ELb0ELb0ELb0EEEvPT0_PvPT_S6_S6_PKS5_S8_S8_S8_S8_ffiiiiiiiiiiiii,@function
_ZN5aiter35fused_qk_rmsnorm_group_quant_kernelIDF16_DB8_Li256ELi8ELi8ELb1ELb1ELb1ELb0ELb0ELb0EEEvPT0_PvPT_S6_S6_PKS5_S8_S8_S8_S8_ffiiiiiiiiiiiii: ; @_ZN5aiter35fused_qk_rmsnorm_group_quant_kernelIDF16_DB8_Li256ELi8ELi8ELb1ELb1ELb1ELb0ELb0ELb0EEEvPT0_PvPT_S6_S6_PKS5_S8_S8_S8_S8_ffiiiiiiiiiiiii
; %bb.0:
	s_load_dwordx8 s[20:27], s[4:5], 0x50
	s_waitcnt lgkmcnt(0)
	s_cmp_ge_i32 s6, s22
	s_cbranch_scc1 .LBB521_17
; %bb.1:
	s_cmp_lg_u32 s7, 0
	s_cselect_b64 s[10:11], -1, 0
	s_cmp_eq_u32 s7, 0
	s_cselect_b64 s[8:9], -1, 0
	s_and_b64 s[0:1], s[8:9], exec
	s_load_dwordx2 s[28:29], s[4:5], 0x48
	s_load_dwordx2 s[34:35], s[4:5], 0x30
	s_load_dwordx8 s[12:19], s[4:5], 0x70
	s_cselect_b32 s7, s23, s24
	s_add_i32 s0, s7, 1
	s_lshr_b32 s1, s0, 31
	s_add_i32 s0, s0, s1
	s_lshl_b32 s0, s0, 1
	v_lshlrev_b32_e32 v1, 3, v0
	s_and_b32 s38, s0, -4
	v_cmp_gt_i32_e64 s[0:1], s7, v1
	v_mov_b32_e32 v20, 0
	v_mov_b32_e32 v21, 0
	;; [unrolled: 1-line block ×8, first 2 shown]
	s_and_saveexec_b64 s[2:3], s[0:1]
	s_cbranch_execz .LBB521_3
; %bb.2:
	s_waitcnt lgkmcnt(0)
	s_load_dwordx2 s[18:19], s[4:5], 0x28
	s_load_dwordx2 s[30:31], s[4:5], 0x40
	s_and_b64 s[36:37], s[8:9], exec
	s_cselect_b32 s22, s25, s26
	s_mov_b32 s39, 0x20000
	s_waitcnt lgkmcnt(0)
	s_cselect_b32 s25, s19, s35
	s_cselect_b32 s33, s18, s34
	s_mul_hi_i32 s19, s22, s6
	s_mul_i32 s18, s22, s6
	s_lshl_b64 s[18:19], s[18:19], 1
	s_add_u32 s40, s33, s18
	s_addc_u32 s22, s25, s19
	s_and_b64 s[18:19], s[8:9], exec
	s_cselect_b32 s36, s30, s28
	s_cselect_b32 s18, s31, s29
	v_lshlrev_b32_e32 v2, 4, v0
	s_and_b32 s41, s22, 0xffff
	s_mov_b32 s42, s38
	s_mov_b32 s43, s39
	s_and_b32 s37, s18, 0xffff
	buffer_load_dwordx4 v[24:27], v2, s[40:43], 0 offen glc slc
	buffer_load_dwordx4 v[20:23], v2, s[36:39], 0 offen
.LBB521_3:
	s_or_b64 exec, exec, s[2:3]
	s_and_b64 vcc, exec, s[10:11]
	s_cbranch_vccz .LBB521_7
; %bb.4:
	v_mov_b32_e32 v29, 0
	v_mov_b32_e32 v28, 0
	;; [unrolled: 1-line block ×8, first 2 shown]
	s_and_saveexec_b64 s[2:3], s[0:1]
	s_cbranch_execz .LBB521_6
; %bb.5:
	s_waitcnt vmcnt(1)
	v_cvt_f32_f16_sdwa v11, v24 dst_sel:DWORD dst_unused:UNUSED_PAD src0_sel:WORD_1
	v_cvt_f32_f16_e32 v10, v24
	v_cvt_f32_f16_sdwa v15, v25 dst_sel:DWORD dst_unused:UNUSED_PAD src0_sel:WORD_1
	v_cvt_f32_f16_e32 v14, v25
	;; [unrolled: 2-line block ×4, first 2 shown]
.LBB521_6:
	s_or_b64 exec, exec, s[2:3]
	s_cbranch_execz .LBB521_8
	s_branch .LBB521_11
.LBB521_7:
                                        ; implicit-def: $vgpr10_vgpr11_vgpr12_vgpr13_vgpr14_vgpr15_vgpr16_vgpr17
                                        ; implicit-def: $vgpr29
                                        ; implicit-def: $vgpr12_vgpr13_vgpr14_vgpr15_vgpr16_vgpr17_vgpr18_vgpr19
                                        ; implicit-def: $vgpr2_vgpr3_vgpr4_vgpr5_vgpr6_vgpr7_vgpr8_vgpr9
.LBB521_8:
	v_mov_b32_e32 v29, 0
	v_mov_b32_e32 v28, 0
	;; [unrolled: 1-line block ×8, first 2 shown]
	s_and_saveexec_b64 s[2:3], s[0:1]
	s_cbranch_execz .LBB521_10
; %bb.9:
	s_waitcnt lgkmcnt(0)
	s_load_dwordx2 s[18:19], s[4:5], 0x38
	s_mul_hi_i32 s31, s27, s6
	s_mul_i32 s30, s27, s6
	s_lshl_b64 s[30:31], s[30:31], 1
	s_mov_b32 s39, 0x20000
	s_waitcnt lgkmcnt(0)
	s_add_u32 s36, s18, s30
	s_addc_u32 s18, s19, s31
	s_and_b32 s37, s18, 0xffff
	v_lshlrev_b32_e32 v30, 4, v0
	buffer_load_dwordx4 v[2:5], v30, s[36:39], 0 offen glc slc
	s_waitcnt vmcnt(2)
	v_cvt_f32_f16_sdwa v7, v24 dst_sel:DWORD dst_unused:UNUSED_PAD src0_sel:WORD_1
	v_cvt_f32_f16_e32 v6, v24
	v_cvt_f32_f16_sdwa v9, v25 dst_sel:DWORD dst_unused:UNUSED_PAD src0_sel:WORD_1
	v_cvt_f32_f16_e32 v8, v25
	;; [unrolled: 2-line block ×4, first 2 shown]
	s_load_dwordx2 s[18:19], s[4:5], 0x20
	s_mul_hi_i32 s31, s17, s6
	s_mul_i32 s30, s17, s6
	s_lshl_b64 s[30:31], s[30:31], 1
	s_waitcnt lgkmcnt(0)
	s_add_u32 s36, s18, s30
	s_addc_u32 s17, s19, s31
	s_and_b32 s37, s17, 0xffff
	s_waitcnt vmcnt(0)
	v_cvt_f32_f16_e32 v10, v2
	v_cvt_f32_f16_sdwa v11, v2 dst_sel:DWORD dst_unused:UNUSED_PAD src0_sel:WORD_1
	v_cvt_f32_f16_e32 v2, v3
	v_cvt_f32_f16_sdwa v3, v3 dst_sel:DWORD dst_unused:UNUSED_PAD src0_sel:WORD_1
	;; [unrolled: 2-line block ×4, first 2 shown]
	v_pk_add_f32 v[10:11], v[6:7], v[10:11]
	v_pk_add_f32 v[14:15], v[8:9], v[2:3]
	v_pk_add_f32 v[6:7], v[12:13], v[18:19]
	v_pk_add_f32 v[28:29], v[16:17], v[4:5]
	v_cvt_f16_f32_e32 v2, v11
	v_cvt_f16_f32_e32 v3, v15
	;; [unrolled: 1-line block ×8, first 2 shown]
	v_pack_b32_f16 v5, v8, v5
	v_pack_b32_f16 v4, v9, v4
	;; [unrolled: 1-line block ×4, first 2 shown]
	buffer_store_dwordx4 v[2:5], v30, s[36:39], 0 offen glc slc
	;;#ASMSTART
	s_nop 0
	;;#ASMEND
.LBB521_10:
	s_or_b64 exec, exec, s[2:3]
.LBB521_11:
	v_mul_f32_e32 v2, v11, v11
	v_fmac_f32_e32 v2, v10, v10
	v_fmac_f32_e32 v2, v14, v14
	;; [unrolled: 1-line block ×7, first 2 shown]
	v_and_b32_e32 v4, 63, v0
	v_cmp_eq_u32_e64 s[2:3], 63, v4
	v_mov_b32_dpp v3, v2 quad_perm:[1,0,3,2] row_mask:0xf bank_mask:0xf
	v_add_f32_e32 v2, v2, v3
	s_nop 1
	v_mov_b32_dpp v3, v2 quad_perm:[2,3,0,1] row_mask:0xf bank_mask:0xf
	v_add_f32_e32 v2, v2, v3
	s_nop 1
	v_mov_b32_dpp v3, v2 row_half_mirror row_mask:0xf bank_mask:0xf
	v_add_f32_e32 v2, v2, v3
	s_nop 1
	v_mov_b32_dpp v3, v2 row_mirror row_mask:0xf bank_mask:0xf
	v_add_f32_e32 v2, v2, v3
	s_nop 1
	v_mov_b32_dpp v3, v2 row_bcast:15 row_mask:0xf bank_mask:0xf
	v_add_f32_e32 v2, v2, v3
	s_nop 1
	v_mov_b32_dpp v3, v2 row_bcast:31 row_mask:0xf bank_mask:0xf
	s_waitcnt lgkmcnt(0)
	s_and_saveexec_b64 s[18:19], s[2:3]
	s_cbranch_execz .LBB521_13
; %bb.12:
	v_add_f32_e32 v2, v2, v3
	v_lshrrev_b32_e32 v3, 4, v0
	v_and_b32_e32 v3, 60, v3
	ds_write_b32 v3, v2 offset:16
.LBB521_13:
	s_or_b64 exec, exec, s[18:19]
	v_and_b32_e32 v2, 3, v0
	v_lshlrev_b32_e32 v18, 2, v2
	s_waitcnt lgkmcnt(0)
	s_barrier
	ds_read_b32 v2, v18 offset:16
	s_load_dwordx2 s[18:19], s[4:5], 0x18
	s_waitcnt lgkmcnt(0)
	v_mov_b32_dpp v3, v2 quad_perm:[1,0,3,2] row_mask:0xf bank_mask:0xf
	v_add_f32_e32 v2, v2, v3
	s_nop 1
	v_mov_b32_dpp v3, v2 quad_perm:[2,3,0,1] row_mask:0xf bank_mask:0xf
	s_and_saveexec_b64 s[30:31], s[0:1]
	s_cbranch_execnz .LBB521_18
; %bb.14:
	s_or_b64 exec, exec, s[30:31]
	s_mov_b64 s[8:9], -1
	s_and_b64 vcc, exec, s[10:11]
	s_cbranch_vccnz .LBB521_19
.LBB521_15:
	s_andn2_b64 vcc, exec, s[8:9]
	s_cbranch_vccz .LBB521_22
.LBB521_16:
	s_cmp_lt_i32 s24, 1
	s_cbranch_scc0 .LBB521_31
.LBB521_17:
	s_endpgm
.LBB521_18:
	v_cvt_f32_u32_e32 v4, s7
	v_add_f32_e32 v2, v2, v3
	v_mov_b32_e32 v8, s21
	v_mov_b32_e32 v9, s20
	v_div_scale_f32 v3, s[36:37], v4, v4, v2
	v_rcp_f32_e32 v5, v3
	v_cndmask_b32_e64 v8, v8, v9, s[8:9]
	s_mov_b32 s7, 0x800000
	s_waitcnt vmcnt(0)
	v_cvt_f32_f16_sdwa v17, v23 dst_sel:DWORD dst_unused:UNUSED_PAD src0_sel:WORD_1
	v_fma_f32 v9, -v3, v5, 1.0
	v_fmac_f32_e32 v5, v9, v5
	v_div_scale_f32 v9, vcc, v2, v4, v2
	v_mul_f32_e32 v12, v9, v5
	v_fma_f32 v13, -v3, v12, v9
	v_fmac_f32_e32 v12, v13, v5
	v_fma_f32 v3, -v3, v12, v9
	v_div_fmas_f32 v3, v3, v5, v12
	v_div_fixup_f32 v2, v3, v4, v2
	v_add_f32_e32 v2, v8, v2
	v_mul_f32_e32 v3, 0x4b800000, v2
	v_cmp_gt_f32_e32 vcc, s7, v2
	v_cndmask_b32_e32 v2, v2, v3, vcc
	v_rsq_f32_e32 v2, v2
	v_cvt_f32_f16_sdwa v13, v21 dst_sel:DWORD dst_unused:UNUSED_PAD src0_sel:WORD_1
	v_cvt_f32_f16_e32 v12, v21
	v_cvt_f32_f16_e32 v16, v23
	v_mul_f32_e32 v3, 0x45800000, v2
	v_cndmask_b32_e32 v2, v2, v3, vcc
	v_mov_b32_e32 v3, v2
	;;#ASMSTART
	v_pk_mul_f32 v[4:5], v[10:11], v[2:3]
	;;#ASMEND
	v_cvt_f32_f16_sdwa v11, v20 dst_sel:DWORD dst_unused:UNUSED_PAD src0_sel:WORD_1
	v_cvt_f32_f16_e32 v10, v20
	;;#ASMSTART
	v_pk_mul_f32 v[8:9], v[14:15], v[2:3]
	;;#ASMEND
	;;#ASMSTART
	v_pk_mul_f32 v[6:7], v[6:7], v[2:3]
	;;#ASMEND
	;;#ASMSTART
	v_pk_mul_f32 v[2:3], v[28:29], v[2:3]
	;;#ASMEND
	v_pk_add_f32 v[10:11], v[10:11], 1.0 op_sel_hi:[1,0]
	;;#ASMSTART
	v_pk_mul_f32 v[10:11], v[4:5], v[10:11]
	;;#ASMEND
	v_pk_add_f32 v[4:5], v[12:13], 1.0 op_sel_hi:[1,0]
	v_cvt_f32_f16_sdwa v13, v22 dst_sel:DWORD dst_unused:UNUSED_PAD src0_sel:WORD_1
	v_cvt_f32_f16_e32 v12, v22
	;;#ASMSTART
	v_pk_mul_f32 v[14:15], v[8:9], v[4:5]
	;;#ASMEND
	v_pk_add_f32 v[4:5], v[12:13], 1.0 op_sel_hi:[1,0]
	;;#ASMSTART
	v_pk_mul_f32 v[6:7], v[6:7], v[4:5]
	;;#ASMEND
	v_pk_add_f32 v[4:5], v[16:17], 1.0 op_sel_hi:[1,0]
	;;#ASMSTART
	v_pk_mul_f32 v[28:29], v[2:3], v[4:5]
	;;#ASMEND
	s_or_b64 exec, exec, s[30:31]
	s_mov_b64 s[8:9], -1
	s_and_b64 vcc, exec, s[10:11]
	s_cbranch_vccz .LBB521_15
.LBB521_19:
	s_and_saveexec_b64 s[8:9], s[0:1]
	s_cbranch_execz .LBB521_21
; %bb.20:
	s_mul_hi_i32 s11, s16, s6
	s_mul_i32 s10, s16, s6
	v_cvt_f16_f32_e32 v2, v10
	v_cvt_f16_f32_e32 v3, v14
	;; [unrolled: 1-line block ×8, first 2 shown]
	s_lshl_b64 s[10:11], s[10:11], 1
	s_add_u32 s36, s18, s10
	s_addc_u32 s7, s19, s11
	s_and_b32 s37, s7, 0xffff
	s_mov_b32 s39, 0x20000
	v_pack_b32_f16 v5, v5, v8
	v_pack_b32_f16 v4, v4, v9
	;; [unrolled: 1-line block ×4, first 2 shown]
	v_lshlrev_b32_e32 v8, 4, v0
	buffer_store_dwordx4 v[2:5], v8, s[36:39], 0 offen
	;;#ASMSTART
	s_nop 0
	;;#ASMEND
.LBB521_21:
	s_or_b64 exec, exec, s[8:9]
	s_cbranch_execnz .LBB521_16
.LBB521_22:
	v_mov_b32_e32 v2, 0
	s_and_saveexec_b64 s[8:9], s[0:1]
	s_cbranch_execz .LBB521_24
; %bb.23:
	s_load_dwordx2 s[10:11], s[4:5], 0x10
	s_mul_hi_i32 s31, s15, s6
	s_mul_i32 s30, s15, s6
	v_cvt_f16_f32_e32 v2, v10
	v_cvt_f16_f32_e32 v3, v14
	;; [unrolled: 1-line block ×8, first 2 shown]
	s_lshl_b64 s[30:31], s[30:31], 1
	s_waitcnt lgkmcnt(0)
	s_add_u32 s36, s10, s30
	s_addc_u32 s7, s11, s31
	s_mov_b32 s39, 0x20000
	s_and_b32 s37, s7, 0xffff
	v_pack_b32_f16 v5, v5, v8
	v_pack_b32_f16 v4, v4, v9
	;; [unrolled: 1-line block ×4, first 2 shown]
	v_lshlrev_b32_e32 v8, 4, v0
	buffer_store_dwordx4 v[2:5], v8, s[36:39], 0 offen
	;;#ASMSTART
	s_nop 0
	;;#ASMEND
	s_nop 0
	v_mov_b32_e32 v2, 0x2edbe6ff
.LBB521_24:
	s_or_b64 exec, exec, s[8:9]
	s_and_saveexec_b64 s[8:9], s[0:1]
	s_cbranch_execz .LBB521_26
; %bb.25:
	v_and_b32_e32 v3, 0x7fffffff, v10
	v_and_b32_e32 v4, 0x7fffffff, v11
	;;#ASMSTART
	v_max3_f32 v2, v2, v3, v4

	;;#ASMEND
	v_and_b32_e32 v3, 0x7fffffff, v14
	v_and_b32_e32 v4, 0x7fffffff, v15
	;;#ASMSTART
	v_max3_f32 v2, v2, v3, v4

	;;#ASMEND
	;; [unrolled: 6-line block ×4, first 2 shown]
.LBB521_26:
	s_or_b64 exec, exec, s[8:9]
	;;#ASMSTART
	v_max_f32 v3, v2, v2 quad_perm:[1,0,3,2] row_mask:0xf bank_mask:0xf bound_ctrl:1
	;;#ASMEND
	;;#ASMSTART
	v_max_f32 v2, v3, v3 quad_perm:[2,3,0,1] row_mask:0xf bank_mask:0xf bound_ctrl:1
	;;#ASMEND
	;;#ASMSTART
	v_max_f32 v3, v2, v2 row_half_mirror row_mask:0xf bank_mask:0xf bound_ctrl:1
	;;#ASMEND
	v_mul_f32_e32 v2, 0x3b124925, v3
	v_and_b32_e32 v3, 7, v0
	v_cmp_eq_u32_e32 vcc, 0, v3
	v_cmp_gt_i32_e64 s[8:9], s23, v1
	s_and_b64 s[10:11], vcc, s[8:9]
	s_and_saveexec_b64 s[8:9], s[10:11]
	s_cbranch_execz .LBB521_28
; %bb.27:
	s_load_dwordx2 s[10:11], s[4:5], 0x8
	v_lshrrev_b32_e32 v3, 3, v0
	s_mul_hi_i32 s31, s13, s6
	s_mul_i32 s30, s13, s6
	v_mad_i64_i32 v[4:5], s[14:15], s14, v3, 0
	s_lshl_b64 s[14:15], s[30:31], 2
	s_waitcnt lgkmcnt(0)
	s_add_u32 s7, s10, s14
	s_addc_u32 s10, s11, s15
	v_lshlrev_b64 v[4:5], 2, v[4:5]
	v_mov_b32_e32 v3, s10
	v_add_co_u32_e32 v4, vcc, s7, v4
	v_addc_co_u32_e32 v5, vcc, v3, v5, vcc
	global_store_dword v[4:5], v2, off
.LBB521_28:
	s_or_b64 exec, exec, s[8:9]
	;;#ASMSTART
	v_rcp_f32 v2, v2
	;;#ASMEND
	s_and_saveexec_b64 s[14:15], s[0:1]
	s_cbranch_execz .LBB521_30
; %bb.29:
	s_load_dwordx2 s[0:1], s[4:5], 0x0
	s_mul_i32 s8, s12, s6
	v_mov_b32_e32 v3, v2
	;;#ASMSTART
	v_pk_mul_f32 v[4:5], v[10:11], v[2:3]
	;;#ASMEND
	s_mul_hi_i32 s7, s12, s6
	s_waitcnt lgkmcnt(0)
	s_add_u32 s8, s0, s8
	v_mov_b32_e32 v8, 0xc3e00000
	v_mov_b32_e32 v9, 0x43e00000
	;;#ASMSTART
	v_med3_f32 v4, v4, v8, v9
v_med3_f32 v5, v5, v8, v9
v_cvt_pk_fp8_f32 v10, v4, v5
	;;#ASMEND
	s_addc_u32 s0, s1, s7
	;;#ASMSTART
	v_pk_mul_f32 v[4:5], v[14:15], v[2:3]
	;;#ASMEND
	s_and_b32 s9, s0, 0xffff
	;;#ASMSTART
	v_med3_f32 v4, v4, v8, v9
v_med3_f32 v5, v5, v8, v9
v_cvt_pk_fp8_f32 v11, v4, v5
	;;#ASMEND
	s_mov_b32 s0, 0x5040100
	v_perm_b32 v5, v11, v10, s0
	s_movk_i32 s0, 0xff
	v_and_b32_e32 v4, 0xffffff00, v11
	v_and_b32_sdwa v10, v5, s0 dst_sel:DWORD dst_unused:UNUSED_PAD src0_sel:WORD_1 src1_sel:DWORD
	s_mov_b32 s12, 0xffff
	v_or_b32_sdwa v4, v10, v4 dst_sel:WORD_1 dst_unused:UNUSED_PAD src0_sel:DWORD src1_sel:DWORD
	s_add_i32 s1, s23, 3
	v_and_or_b32 v4, v5, s12, v4
	;;#ASMSTART
	v_pk_mul_f32 v[6:7], v[6:7], v[2:3]
	;;#ASMEND
	v_mov_b32_e32 v5, v7
	s_ashr_i32 s7, s1, 31
	;;#ASMSTART
	v_med3_f32 v6, v6, v8, v9
v_med3_f32 v5, v5, v8, v9
v_cvt_pk_fp8_f32 v7, v6, v5
	;;#ASMEND
	;;#ASMSTART
	v_pk_mul_f32 v[2:3], v[28:29], v[2:3]
	;;#ASMEND
	s_lshr_b32 s7, s7, 30
	;;#ASMSTART
	v_med3_f32 v2, v2, v8, v9
v_med3_f32 v3, v3, v8, v9
v_cvt_pk_fp8_f32 v5, v2, v3
	;;#ASMEND
	s_add_i32 s1, s1, s7
	v_lshlrev_b32_e32 v2, 16, v5
	s_and_b32 s10, s1, -4
	s_mov_b32 s11, 0x20000
	v_and_or_b32 v5, v7, s12, v2
	buffer_store_dwordx2 v[4:5], v1, s[8:11], 0 offen
	;;#ASMSTART
	s_nop 0
	;;#ASMEND
.LBB521_30:
	s_or_b64 exec, exec, s[14:15]
	s_cmp_lt_i32 s24, 1
	s_cbranch_scc1 .LBB521_17
.LBB521_31:
	s_load_dword s0, s[4:5], 0x94
	s_waitcnt lgkmcnt(0)
	s_cmp_lg_u32 s0, 1
	s_cbranch_scc1 .LBB521_17
; %bb.32:
	s_lshl_b32 s0, s24, 1
	s_add_i32 s0, s0, 2
	v_cmp_gt_u32_e32 vcc, s24, v1
	s_and_b32 s30, s0, -4
	v_mov_b32_e32 v10, 0
	v_lshlrev_b32_e32 v1, 4, v0
	v_mov_b32_e32 v6, 0
	v_mov_b32_e32 v7, 0
	;; [unrolled: 1-line block ×8, first 2 shown]
	s_barrier
	s_and_saveexec_b64 s[0:1], vcc
	s_cbranch_execz .LBB521_34
; %bb.33:
	s_mul_hi_i32 s5, s26, s6
	s_mul_i32 s4, s26, s6
	s_and_b32 s29, s29, 0xffff
	s_lshl_b64 s[4:5], s[4:5], 1
	s_add_u32 s8, s34, s4
	s_mov_b32 s31, 0x20000
	s_addc_u32 s4, s35, s5
	s_and_b32 s9, s4, 0xffff
	s_mov_b32 s10, s30
	s_mov_b32 s11, s31
	buffer_load_dwordx4 v[6:9], v1, s[8:11], 0 offen glc slc
	buffer_load_dwordx4 v[2:5], v1, s[28:31], 0 offen
.LBB521_34:
	s_or_b64 exec, exec, s[0:1]
	v_mov_b32_e32 v11, 0
	v_mov_b32_e32 v16, 0
	;; [unrolled: 1-line block ×7, first 2 shown]
	s_and_saveexec_b64 s[0:1], vcc
	s_cbranch_execz .LBB521_36
; %bb.35:
	s_waitcnt vmcnt(1)
	v_cvt_f32_f16_sdwa v11, v6 dst_sel:DWORD dst_unused:UNUSED_PAD src0_sel:WORD_1
	v_cvt_f32_f16_e32 v10, v6
	v_cvt_f32_f16_sdwa v17, v7 dst_sel:DWORD dst_unused:UNUSED_PAD src0_sel:WORD_1
	v_cvt_f32_f16_e32 v16, v7
	;; [unrolled: 2-line block ×4, first 2 shown]
.LBB521_36:
	s_or_b64 exec, exec, s[0:1]
	s_waitcnt vmcnt(1)
	v_mul_f32_e32 v6, v11, v11
	v_fmac_f32_e32 v6, v10, v10
	v_fmac_f32_e32 v6, v16, v16
	;; [unrolled: 1-line block ×7, first 2 shown]
	s_nop 1
	v_mov_b32_dpp v7, v6 quad_perm:[1,0,3,2] row_mask:0xf bank_mask:0xf
	v_add_f32_e32 v6, v6, v7
	s_nop 1
	v_mov_b32_dpp v7, v6 quad_perm:[2,3,0,1] row_mask:0xf bank_mask:0xf
	v_add_f32_e32 v6, v6, v7
	s_nop 1
	v_mov_b32_dpp v7, v6 row_half_mirror row_mask:0xf bank_mask:0xf
	v_add_f32_e32 v6, v6, v7
	s_nop 1
	v_mov_b32_dpp v7, v6 row_mirror row_mask:0xf bank_mask:0xf
	v_add_f32_e32 v6, v6, v7
	s_nop 1
	v_mov_b32_dpp v7, v6 row_bcast:15 row_mask:0xf bank_mask:0xf
	v_add_f32_e32 v6, v6, v7
	s_nop 1
	v_mov_b32_dpp v7, v6 row_bcast:31 row_mask:0xf bank_mask:0xf
	s_and_saveexec_b64 s[0:1], s[2:3]
	s_cbranch_execz .LBB521_38
; %bb.37:
	v_lshrrev_b32_e32 v0, 4, v0
	v_add_f32_e32 v6, v6, v7
	v_and_b32_e32 v0, 60, v0
	ds_write_b32 v0, v6
.LBB521_38:
	s_or_b64 exec, exec, s[0:1]
	s_waitcnt lgkmcnt(0)
	s_barrier
	ds_read_b32 v0, v18
	s_waitcnt lgkmcnt(0)
	s_nop 0
	v_mov_b32_dpp v6, v0 quad_perm:[1,0,3,2] row_mask:0xf bank_mask:0xf
	v_add_f32_e32 v0, v0, v6
	s_nop 1
	v_mov_b32_dpp v6, v0 quad_perm:[2,3,0,1] row_mask:0xf bank_mask:0xf
	s_and_saveexec_b64 s[0:1], vcc
	s_cbranch_execz .LBB521_17
; %bb.39:
	v_cvt_f32_u32_e32 v7, s24
	v_add_f32_e32 v0, v0, v6
	s_mov_b32 s31, 0x20000
	v_div_scale_f32 v6, s[0:1], v7, v7, v0
	v_rcp_f32_e32 v8, v6
	v_div_scale_f32 v9, vcc, v0, v7, v0
	s_mov_b32 s0, 0x800000
	v_fma_f32 v18, -v6, v8, 1.0
	v_fmac_f32_e32 v8, v18, v8
	v_mul_f32_e32 v18, v9, v8
	v_fma_f32 v19, -v6, v18, v9
	v_fmac_f32_e32 v18, v19, v8
	v_fma_f32 v6, -v6, v18, v9
	v_div_fmas_f32 v6, v6, v8, v18
	v_div_fixup_f32 v0, v6, v7, v0
	v_add_f32_e32 v0, s21, v0
	v_mul_f32_e32 v6, 0x4b800000, v0
	v_cmp_gt_f32_e32 vcc, s0, v0
	v_cndmask_b32_e32 v0, v0, v6, vcc
	v_rsq_f32_e32 v0, v0
	s_waitcnt vmcnt(0)
	v_cvt_f32_f16_sdwa v19, v3 dst_sel:DWORD dst_unused:UNUSED_PAD src0_sel:WORD_1
	v_cvt_f32_f16_e32 v18, v3
	s_mul_hi_i32 s1, s16, s6
	v_mul_f32_e32 v6, 0x45800000, v0
	v_cndmask_b32_e32 v6, v0, v6, vcc
	v_mov_b32_e32 v7, v6
	;;#ASMSTART
	v_pk_mul_f32 v[8:9], v[10:11], v[6:7]
	;;#ASMEND
	;;#ASMSTART
	v_pk_mul_f32 v[10:11], v[16:17], v[6:7]
	;;#ASMEND
	v_cvt_f32_f16_sdwa v17, v2 dst_sel:DWORD dst_unused:UNUSED_PAD src0_sel:WORD_1
	v_cvt_f32_f16_e32 v16, v2
	;;#ASMSTART
	v_pk_mul_f32 v[14:15], v[14:15], v[6:7]
	;;#ASMEND
	;;#ASMSTART
	v_pk_mul_f32 v[2:3], v[12:13], v[6:7]
	;;#ASMEND
	v_cvt_f32_f16_sdwa v13, v4 dst_sel:DWORD dst_unused:UNUSED_PAD src0_sel:WORD_1
	v_cvt_f32_f16_e32 v12, v4
	v_pk_add_f32 v[6:7], v[16:17], 1.0 op_sel_hi:[1,0]
	v_cvt_f32_f16_sdwa v17, v5 dst_sel:DWORD dst_unused:UNUSED_PAD src0_sel:WORD_1
	v_cvt_f32_f16_e32 v16, v5
	;;#ASMSTART
	v_pk_mul_f32 v[6:7], v[8:9], v[6:7]
	;;#ASMEND
	v_pk_add_f32 v[8:9], v[18:19], 1.0 op_sel_hi:[1,0]
	;;#ASMSTART
	v_pk_mul_f32 v[4:5], v[10:11], v[8:9]
	;;#ASMEND
	v_pk_add_f32 v[8:9], v[12:13], 1.0 op_sel_hi:[1,0]
	;; [unrolled: 4-line block ×3, first 2 shown]
	;;#ASMSTART
	v_pk_mul_f32 v[2:3], v[2:3], v[10:11]
	;;#ASMEND
	s_mul_i32 s0, s16, s6
	v_cvt_f16_f32_e32 v0, v6
	v_cvt_f16_f32_e32 v6, v7
	;; [unrolled: 1-line block ×8, first 2 shown]
	s_lshl_b64 s[0:1], s[0:1], 1
	s_add_u32 s28, s18, s0
	s_addc_u32 s0, s19, s1
	s_and_b32 s29, s0, 0xffff
	v_pack_b32_f16 v2, v0, v6
	v_pack_b32_f16 v3, v4, v5
	;; [unrolled: 1-line block ×4, first 2 shown]
	buffer_store_dwordx4 v[2:5], v1, s[28:31], 0 offen
	;;#ASMSTART
	s_nop 0
	;;#ASMEND
	s_endpgm
	.section	.rodata,"a",@progbits
	.p2align	6, 0x0
	.amdhsa_kernel _ZN5aiter35fused_qk_rmsnorm_group_quant_kernelIDF16_DB8_Li256ELi8ELi8ELb1ELb1ELb1ELb0ELb0ELb0EEEvPT0_PvPT_S6_S6_PKS5_S8_S8_S8_S8_ffiiiiiiiiiiiii
		.amdhsa_group_segment_fixed_size 32
		.amdhsa_private_segment_fixed_size 0
		.amdhsa_kernarg_size 400
		.amdhsa_user_sgpr_count 6
		.amdhsa_user_sgpr_private_segment_buffer 1
		.amdhsa_user_sgpr_dispatch_ptr 0
		.amdhsa_user_sgpr_queue_ptr 0
		.amdhsa_user_sgpr_kernarg_segment_ptr 1
		.amdhsa_user_sgpr_dispatch_id 0
		.amdhsa_user_sgpr_flat_scratch_init 0
		.amdhsa_user_sgpr_kernarg_preload_length 0
		.amdhsa_user_sgpr_kernarg_preload_offset 0
		.amdhsa_user_sgpr_private_segment_size 0
		.amdhsa_uses_dynamic_stack 0
		.amdhsa_system_sgpr_private_segment_wavefront_offset 0
		.amdhsa_system_sgpr_workgroup_id_x 1
		.amdhsa_system_sgpr_workgroup_id_y 1
		.amdhsa_system_sgpr_workgroup_id_z 0
		.amdhsa_system_sgpr_workgroup_info 0
		.amdhsa_system_vgpr_workitem_id 0
		.amdhsa_next_free_vgpr 31
		.amdhsa_next_free_sgpr 44
		.amdhsa_accum_offset 32
		.amdhsa_reserve_vcc 1
		.amdhsa_reserve_flat_scratch 0
		.amdhsa_float_round_mode_32 0
		.amdhsa_float_round_mode_16_64 0
		.amdhsa_float_denorm_mode_32 3
		.amdhsa_float_denorm_mode_16_64 3
		.amdhsa_dx10_clamp 1
		.amdhsa_ieee_mode 1
		.amdhsa_fp16_overflow 0
		.amdhsa_tg_split 0
		.amdhsa_exception_fp_ieee_invalid_op 0
		.amdhsa_exception_fp_denorm_src 0
		.amdhsa_exception_fp_ieee_div_zero 0
		.amdhsa_exception_fp_ieee_overflow 0
		.amdhsa_exception_fp_ieee_underflow 0
		.amdhsa_exception_fp_ieee_inexact 0
		.amdhsa_exception_int_div_zero 0
	.end_amdhsa_kernel
	.section	.text._ZN5aiter35fused_qk_rmsnorm_group_quant_kernelIDF16_DB8_Li256ELi8ELi8ELb1ELb1ELb1ELb0ELb0ELb0EEEvPT0_PvPT_S6_S6_PKS5_S8_S8_S8_S8_ffiiiiiiiiiiiii,"axG",@progbits,_ZN5aiter35fused_qk_rmsnorm_group_quant_kernelIDF16_DB8_Li256ELi8ELi8ELb1ELb1ELb1ELb0ELb0ELb0EEEvPT0_PvPT_S6_S6_PKS5_S8_S8_S8_S8_ffiiiiiiiiiiiii,comdat
.Lfunc_end521:
	.size	_ZN5aiter35fused_qk_rmsnorm_group_quant_kernelIDF16_DB8_Li256ELi8ELi8ELb1ELb1ELb1ELb0ELb0ELb0EEEvPT0_PvPT_S6_S6_PKS5_S8_S8_S8_S8_ffiiiiiiiiiiiii, .Lfunc_end521-_ZN5aiter35fused_qk_rmsnorm_group_quant_kernelIDF16_DB8_Li256ELi8ELi8ELb1ELb1ELb1ELb0ELb0ELb0EEEvPT0_PvPT_S6_S6_PKS5_S8_S8_S8_S8_ffiiiiiiiiiiiii
                                        ; -- End function
	.section	.AMDGPU.csdata,"",@progbits
; Kernel info:
; codeLenInByte = 3060
; NumSgprs: 48
; NumVgprs: 31
; NumAgprs: 0
; TotalNumVgprs: 31
; ScratchSize: 0
; MemoryBound: 0
; FloatMode: 240
; IeeeMode: 1
; LDSByteSize: 32 bytes/workgroup (compile time only)
; SGPRBlocks: 5
; VGPRBlocks: 3
; NumSGPRsForWavesPerEU: 48
; NumVGPRsForWavesPerEU: 31
; AccumOffset: 32
; Occupancy: 8
; WaveLimiterHint : 0
; COMPUTE_PGM_RSRC2:SCRATCH_EN: 0
; COMPUTE_PGM_RSRC2:USER_SGPR: 6
; COMPUTE_PGM_RSRC2:TRAP_HANDLER: 0
; COMPUTE_PGM_RSRC2:TGID_X_EN: 1
; COMPUTE_PGM_RSRC2:TGID_Y_EN: 1
; COMPUTE_PGM_RSRC2:TGID_Z_EN: 0
; COMPUTE_PGM_RSRC2:TIDIG_COMP_CNT: 0
; COMPUTE_PGM_RSRC3_GFX90A:ACCUM_OFFSET: 7
; COMPUTE_PGM_RSRC3_GFX90A:TG_SPLIT: 0
	.section	.text._ZN5aiter35fused_qk_rmsnorm_group_quant_kernelItDB8_Li256ELi8ELi8ELb1ELb1ELb1ELb0ELb0ELb0EEEvPT0_PvPT_S6_S6_PKS5_S8_S8_S8_S8_ffiiiiiiiiiiiii,"axG",@progbits,_ZN5aiter35fused_qk_rmsnorm_group_quant_kernelItDB8_Li256ELi8ELi8ELb1ELb1ELb1ELb0ELb0ELb0EEEvPT0_PvPT_S6_S6_PKS5_S8_S8_S8_S8_ffiiiiiiiiiiiii,comdat
	.protected	_ZN5aiter35fused_qk_rmsnorm_group_quant_kernelItDB8_Li256ELi8ELi8ELb1ELb1ELb1ELb0ELb0ELb0EEEvPT0_PvPT_S6_S6_PKS5_S8_S8_S8_S8_ffiiiiiiiiiiiii ; -- Begin function _ZN5aiter35fused_qk_rmsnorm_group_quant_kernelItDB8_Li256ELi8ELi8ELb1ELb1ELb1ELb0ELb0ELb0EEEvPT0_PvPT_S6_S6_PKS5_S8_S8_S8_S8_ffiiiiiiiiiiiii
	.globl	_ZN5aiter35fused_qk_rmsnorm_group_quant_kernelItDB8_Li256ELi8ELi8ELb1ELb1ELb1ELb0ELb0ELb0EEEvPT0_PvPT_S6_S6_PKS5_S8_S8_S8_S8_ffiiiiiiiiiiiii
	.p2align	8
	.type	_ZN5aiter35fused_qk_rmsnorm_group_quant_kernelItDB8_Li256ELi8ELi8ELb1ELb1ELb1ELb0ELb0ELb0EEEvPT0_PvPT_S6_S6_PKS5_S8_S8_S8_S8_ffiiiiiiiiiiiii,@function
_ZN5aiter35fused_qk_rmsnorm_group_quant_kernelItDB8_Li256ELi8ELi8ELb1ELb1ELb1ELb0ELb0ELb0EEEvPT0_PvPT_S6_S6_PKS5_S8_S8_S8_S8_ffiiiiiiiiiiiii: ; @_ZN5aiter35fused_qk_rmsnorm_group_quant_kernelItDB8_Li256ELi8ELi8ELb1ELb1ELb1ELb0ELb0ELb0EEEvPT0_PvPT_S6_S6_PKS5_S8_S8_S8_S8_ffiiiiiiiiiiiii
; %bb.0:
	s_load_dwordx8 s[20:27], s[4:5], 0x50
	s_waitcnt lgkmcnt(0)
	s_cmp_ge_i32 s6, s22
	s_cbranch_scc1 .LBB522_17
; %bb.1:
	s_cmp_lg_u32 s7, 0
	s_cselect_b64 s[10:11], -1, 0
	s_cmp_eq_u32 s7, 0
	s_cselect_b64 s[8:9], -1, 0
	s_and_b64 s[0:1], s[8:9], exec
	s_load_dwordx2 s[28:29], s[4:5], 0x48
	s_load_dwordx2 s[34:35], s[4:5], 0x30
	s_load_dwordx8 s[12:19], s[4:5], 0x70
	s_cselect_b32 s7, s23, s24
	s_add_i32 s0, s7, 1
	s_lshr_b32 s1, s0, 31
	s_add_i32 s0, s0, s1
	s_lshl_b32 s0, s0, 1
	v_lshlrev_b32_e32 v1, 3, v0
	s_and_b32 s38, s0, -4
	v_cmp_gt_i32_e64 s[0:1], s7, v1
	v_mov_b32_e32 v10, 0
	v_mov_b32_e32 v11, 0
	;; [unrolled: 1-line block ×8, first 2 shown]
	s_and_saveexec_b64 s[2:3], s[0:1]
	s_cbranch_execz .LBB522_3
; %bb.2:
	s_waitcnt lgkmcnt(0)
	s_load_dwordx2 s[18:19], s[4:5], 0x28
	s_load_dwordx2 s[30:31], s[4:5], 0x40
	s_and_b64 s[36:37], s[8:9], exec
	s_cselect_b32 s22, s25, s26
	s_mov_b32 s39, 0x20000
	s_waitcnt lgkmcnt(0)
	s_cselect_b32 s25, s19, s35
	s_cselect_b32 s33, s18, s34
	s_mul_hi_i32 s19, s22, s6
	s_mul_i32 s18, s22, s6
	s_lshl_b64 s[18:19], s[18:19], 1
	s_add_u32 s40, s33, s18
	s_addc_u32 s22, s25, s19
	s_and_b64 s[18:19], s[8:9], exec
	s_cselect_b32 s36, s30, s28
	s_cselect_b32 s18, s31, s29
	v_lshlrev_b32_e32 v2, 4, v0
	s_and_b32 s41, s22, 0xffff
	s_mov_b32 s42, s38
	s_mov_b32 s43, s39
	s_and_b32 s37, s18, 0xffff
	buffer_load_dwordx4 v[14:17], v2, s[40:43], 0 offen glc slc
	buffer_load_dwordx4 v[10:13], v2, s[36:39], 0 offen
.LBB522_3:
	s_or_b64 exec, exec, s[2:3]
	s_and_b64 vcc, exec, s[10:11]
	s_cbranch_vccz .LBB522_7
; %bb.4:
	s_mov_b32 s40, 0
	s_mov_b32 s41, s40
	;; [unrolled: 1-line block ×8, first 2 shown]
	v_pk_mov_b32 v[2:3], s[40:41], s[40:41] op_sel:[0,1]
	v_pk_mov_b32 v[4:5], s[42:43], s[42:43] op_sel:[0,1]
	;; [unrolled: 1-line block ×4, first 2 shown]
	s_and_saveexec_b64 s[2:3], s[0:1]
	s_cbranch_execz .LBB522_6
; %bb.5:
	s_waitcnt vmcnt(1)
	v_cvt_f32_u32_sdwa v3, v14 dst_sel:DWORD dst_unused:UNUSED_PAD src0_sel:WORD_1
	v_cvt_f32_u32_sdwa v2, v14 dst_sel:DWORD dst_unused:UNUSED_PAD src0_sel:WORD_0
	v_cvt_f32_u32_sdwa v5, v15 dst_sel:DWORD dst_unused:UNUSED_PAD src0_sel:WORD_1
	v_cvt_f32_u32_sdwa v4, v15 dst_sel:DWORD dst_unused:UNUSED_PAD src0_sel:WORD_0
	;; [unrolled: 2-line block ×4, first 2 shown]
.LBB522_6:
	s_or_b64 exec, exec, s[2:3]
	s_cbranch_execz .LBB522_8
	s_branch .LBB522_11
.LBB522_7:
                                        ; implicit-def: $vgpr2_vgpr3_vgpr4_vgpr5_vgpr6_vgpr7_vgpr8_vgpr9
.LBB522_8:
	s_mov_b32 s40, 0
	s_mov_b32 s41, s40
	s_mov_b32 s42, s40
	s_mov_b32 s43, s40
	s_mov_b32 s44, s40
	s_mov_b32 s45, s40
	s_mov_b32 s46, s40
	s_mov_b32 s47, s40
	v_pk_mov_b32 v[2:3], s[40:41], s[40:41] op_sel:[0,1]
	v_pk_mov_b32 v[4:5], s[42:43], s[42:43] op_sel:[0,1]
	v_pk_mov_b32 v[6:7], s[44:45], s[44:45] op_sel:[0,1]
	v_pk_mov_b32 v[8:9], s[46:47], s[46:47] op_sel:[0,1]
	s_and_saveexec_b64 s[2:3], s[0:1]
	s_cbranch_execz .LBB522_10
; %bb.9:
	s_waitcnt lgkmcnt(0)
	s_load_dwordx2 s[18:19], s[4:5], 0x38
	s_mul_hi_i32 s31, s27, s6
	s_mul_i32 s30, s27, s6
	s_lshl_b64 s[30:31], s[30:31], 1
	s_mov_b32 s39, 0x20000
	s_waitcnt lgkmcnt(0)
	s_add_u32 s36, s18, s30
	s_addc_u32 s18, s19, s31
	s_and_b32 s37, s18, 0xffff
	v_lshlrev_b32_e32 v26, 4, v0
	buffer_load_dwordx4 v[2:5], v26, s[36:39], 0 offen glc slc
	s_load_dwordx2 s[18:19], s[4:5], 0x20
	s_waitcnt vmcnt(2)
	v_cvt_f32_u32_sdwa v7, v14 dst_sel:DWORD dst_unused:UNUSED_PAD src0_sel:WORD_1
	v_cvt_f32_u32_sdwa v6, v14 dst_sel:DWORD dst_unused:UNUSED_PAD src0_sel:WORD_0
	v_cvt_f32_u32_sdwa v9, v15 dst_sel:DWORD dst_unused:UNUSED_PAD src0_sel:WORD_1
	v_cvt_f32_u32_sdwa v8, v15 dst_sel:DWORD dst_unused:UNUSED_PAD src0_sel:WORD_0
	;; [unrolled: 2-line block ×4, first 2 shown]
	s_mul_hi_i32 s31, s17, s6
	s_mul_i32 s30, s17, s6
	s_lshl_b64 s[30:31], s[30:31], 1
	s_waitcnt lgkmcnt(0)
	s_add_u32 s36, s18, s30
	s_mov_b32 s17, 0x7060302
	s_addc_u32 s18, s19, s31
	s_and_b32 s37, s18, 0xffff
	s_waitcnt vmcnt(0)
	v_cvt_f32_u32_sdwa v17, v2 dst_sel:DWORD dst_unused:UNUSED_PAD src0_sel:WORD_1
	v_cvt_f32_u32_sdwa v16, v2 dst_sel:DWORD dst_unused:UNUSED_PAD src0_sel:WORD_0
	v_cvt_f32_u32_sdwa v21, v3 dst_sel:DWORD dst_unused:UNUSED_PAD src0_sel:WORD_1
	v_cvt_f32_u32_sdwa v20, v3 dst_sel:DWORD dst_unused:UNUSED_PAD src0_sel:WORD_0
	;; [unrolled: 2-line block ×4, first 2 shown]
	v_pk_add_f32 v[2:3], v[6:7], v[16:17]
	v_pk_add_f32 v[4:5], v[8:9], v[20:21]
	;; [unrolled: 1-line block ×4, first 2 shown]
	v_perm_b32 v17, v9, v8, s17
	v_perm_b32 v16, v7, v6, s17
	;; [unrolled: 1-line block ×4, first 2 shown]
	buffer_store_dwordx4 v[14:17], v26, s[36:39], 0 offen glc slc
	;;#ASMSTART
	s_nop 0
	;;#ASMEND
.LBB522_10:
	s_or_b64 exec, exec, s[2:3]
.LBB522_11:
	s_waitcnt vmcnt(1)
	v_mul_f32_e32 v14, v3, v3
	v_fmac_f32_e32 v14, v2, v2
	v_fmac_f32_e32 v14, v4, v4
	;; [unrolled: 1-line block ×7, first 2 shown]
	v_and_b32_e32 v16, 63, v0
	v_cmp_eq_u32_e64 s[2:3], 63, v16
	v_mov_b32_dpp v15, v14 quad_perm:[1,0,3,2] row_mask:0xf bank_mask:0xf
	v_add_f32_e32 v14, v14, v15
	s_nop 1
	v_mov_b32_dpp v15, v14 quad_perm:[2,3,0,1] row_mask:0xf bank_mask:0xf
	v_add_f32_e32 v14, v14, v15
	s_nop 1
	v_mov_b32_dpp v15, v14 row_half_mirror row_mask:0xf bank_mask:0xf
	v_add_f32_e32 v14, v14, v15
	s_nop 1
	v_mov_b32_dpp v15, v14 row_mirror row_mask:0xf bank_mask:0xf
	v_add_f32_e32 v14, v14, v15
	s_nop 1
	v_mov_b32_dpp v15, v14 row_bcast:15 row_mask:0xf bank_mask:0xf
	v_add_f32_e32 v14, v14, v15
	s_nop 1
	v_mov_b32_dpp v15, v14 row_bcast:31 row_mask:0xf bank_mask:0xf
	s_waitcnt lgkmcnt(0)
	s_and_saveexec_b64 s[18:19], s[2:3]
	s_cbranch_execz .LBB522_13
; %bb.12:
	v_add_f32_e32 v14, v14, v15
	v_lshrrev_b32_e32 v15, 4, v0
	v_and_b32_e32 v15, 60, v15
	ds_write_b32 v15, v14 offset:16
.LBB522_13:
	s_or_b64 exec, exec, s[18:19]
	v_and_b32_e32 v14, 3, v0
	v_lshlrev_b32_e32 v14, 2, v14
	s_waitcnt lgkmcnt(0)
	s_barrier
	ds_read_b32 v15, v14 offset:16
	s_load_dwordx2 s[18:19], s[4:5], 0x18
	s_waitcnt lgkmcnt(0)
	v_mov_b32_dpp v16, v15 quad_perm:[1,0,3,2] row_mask:0xf bank_mask:0xf
	v_add_f32_e32 v15, v15, v16
	s_nop 1
	v_mov_b32_dpp v16, v15 quad_perm:[2,3,0,1] row_mask:0xf bank_mask:0xf
	s_and_saveexec_b64 s[30:31], s[0:1]
	s_cbranch_execnz .LBB522_18
; %bb.14:
	s_or_b64 exec, exec, s[30:31]
	s_mov_b64 s[8:9], -1
	s_and_b64 vcc, exec, s[10:11]
	s_cbranch_vccnz .LBB522_19
.LBB522_15:
	s_andn2_b64 vcc, exec, s[8:9]
	s_cbranch_vccz .LBB522_22
.LBB522_16:
	s_cmp_lt_i32 s24, 1
	s_cbranch_scc0 .LBB522_31
.LBB522_17:
	s_endpgm
.LBB522_18:
	v_cvt_f32_u32_e32 v17, s7
	v_add_f32_e32 v15, v15, v16
	v_mov_b32_e32 v19, s21
	v_mov_b32_e32 v20, s20
	v_div_scale_f32 v16, s[36:37], v17, v17, v15
	v_rcp_f32_e32 v18, v16
	v_cndmask_b32_e64 v19, v19, v20, s[8:9]
	s_mov_b32 s7, 0x800000
	v_fma_f32 v20, -v16, v18, 1.0
	v_fmac_f32_e32 v18, v20, v18
	v_div_scale_f32 v20, vcc, v15, v17, v15
	v_mul_f32_e32 v21, v20, v18
	v_fma_f32 v22, -v16, v21, v20
	v_fmac_f32_e32 v21, v22, v18
	v_fma_f32 v16, -v16, v21, v20
	v_div_fmas_f32 v16, v16, v18, v21
	v_div_fixup_f32 v15, v16, v17, v15
	v_add_f32_e32 v15, v19, v15
	v_mul_f32_e32 v16, 0x4b800000, v15
	v_cmp_gt_f32_e32 vcc, s7, v15
	v_cndmask_b32_e32 v15, v15, v16, vcc
	v_rsq_f32_e32 v15, v15
	s_waitcnt vmcnt(0)
	v_cvt_f32_u32_sdwa v19, v10 dst_sel:DWORD dst_unused:UNUSED_PAD src0_sel:WORD_1
	v_cvt_f32_u32_sdwa v18, v10 dst_sel:DWORD dst_unused:UNUSED_PAD src0_sel:WORD_0
	v_cvt_f32_u32_sdwa v21, v11 dst_sel:DWORD dst_unused:UNUSED_PAD src0_sel:WORD_1
	v_mul_f32_e32 v16, 0x45800000, v15
	v_cndmask_b32_e32 v16, v15, v16, vcc
	v_mov_b32_e32 v17, v16
	v_cvt_f32_u32_sdwa v20, v11 dst_sel:DWORD dst_unused:UNUSED_PAD src0_sel:WORD_0
	;;#ASMSTART
	v_pk_mul_f32 v[2:3], v[2:3], v[16:17]
	;;#ASMEND
	;;#ASMSTART
	v_pk_mul_f32 v[4:5], v[4:5], v[16:17]
	;;#ASMEND
	;; [unrolled: 3-line block ×4, first 2 shown]
	v_cvt_f32_u32_sdwa v17, v12 dst_sel:DWORD dst_unused:UNUSED_PAD src0_sel:WORD_1
	v_cvt_f32_u32_sdwa v16, v12 dst_sel:DWORD dst_unused:UNUSED_PAD src0_sel:WORD_0
	v_pk_add_f32 v[10:11], v[18:19], 1.0 op_sel_hi:[1,0]
	v_cvt_f32_u32_sdwa v19, v13 dst_sel:DWORD dst_unused:UNUSED_PAD src0_sel:WORD_1
	v_cvt_f32_u32_sdwa v18, v13 dst_sel:DWORD dst_unused:UNUSED_PAD src0_sel:WORD_0
	;;#ASMSTART
	v_pk_mul_f32 v[2:3], v[2:3], v[10:11]
	;;#ASMEND
	v_pk_add_f32 v[10:11], v[20:21], 1.0 op_sel_hi:[1,0]
	;;#ASMSTART
	v_pk_mul_f32 v[4:5], v[4:5], v[10:11]
	;;#ASMEND
	v_pk_add_f32 v[10:11], v[16:17], 1.0 op_sel_hi:[1,0]
	;; [unrolled: 4-line block ×3, first 2 shown]
	;;#ASMSTART
	v_pk_mul_f32 v[8:9], v[8:9], v[10:11]
	;;#ASMEND
	s_or_b64 exec, exec, s[30:31]
	s_mov_b64 s[8:9], -1
	s_and_b64 vcc, exec, s[10:11]
	s_cbranch_vccz .LBB522_15
.LBB522_19:
	s_and_saveexec_b64 s[8:9], s[0:1]
	s_cbranch_execz .LBB522_21
; %bb.20:
	s_mul_hi_i32 s11, s16, s6
	s_mul_i32 s10, s16, s6
	s_lshl_b64 s[10:11], s[10:11], 1
	s_add_u32 s36, s18, s10
	s_addc_u32 s7, s19, s11
	s_and_b32 s37, s7, 0xffff
	s_mov_b32 s7, 0x7060302
	s_mov_b32 s39, 0x20000
	s_waitcnt vmcnt(0)
	v_perm_b32 v10, v3, v2, s7
	v_perm_b32 v11, v5, v4, s7
	;; [unrolled: 1-line block ×4, first 2 shown]
	v_lshlrev_b32_e32 v15, 4, v0
	buffer_store_dwordx4 v[10:13], v15, s[36:39], 0 offen
	;;#ASMSTART
	s_nop 0
	;;#ASMEND
.LBB522_21:
	s_or_b64 exec, exec, s[8:9]
	s_cbranch_execnz .LBB522_16
.LBB522_22:
	s_waitcnt vmcnt(0)
	v_mov_b32_e32 v10, 0
	s_and_saveexec_b64 s[8:9], s[0:1]
	s_cbranch_execz .LBB522_24
; %bb.23:
	s_load_dwordx2 s[10:11], s[4:5], 0x10
	s_mul_hi_i32 s31, s15, s6
	s_mul_i32 s30, s15, s6
	s_lshl_b64 s[30:31], s[30:31], 1
	s_mov_b32 s39, 0x20000
	s_waitcnt lgkmcnt(0)
	s_add_u32 s36, s10, s30
	s_addc_u32 s7, s11, s31
	s_and_b32 s37, s7, 0xffff
	s_mov_b32 s7, 0x7060302
	v_perm_b32 v10, v3, v2, s7
	v_perm_b32 v11, v5, v4, s7
	;; [unrolled: 1-line block ×4, first 2 shown]
	v_lshlrev_b32_e32 v15, 4, v0
	buffer_store_dwordx4 v[10:13], v15, s[36:39], 0 offen
	;;#ASMSTART
	s_nop 0
	;;#ASMEND
	s_nop 0
	v_mov_b32_e32 v10, 0x2edbe6ff
.LBB522_24:
	s_or_b64 exec, exec, s[8:9]
	s_and_saveexec_b64 s[8:9], s[0:1]
	s_cbranch_execz .LBB522_26
; %bb.25:
	v_and_b32_e32 v11, 0x7fffffff, v2
	v_and_b32_e32 v12, 0x7fffffff, v3
	;;#ASMSTART
	v_max3_f32 v10, v10, v11, v12

	;;#ASMEND
	v_and_b32_e32 v11, 0x7fffffff, v4
	v_and_b32_e32 v12, 0x7fffffff, v5
	;;#ASMSTART
	v_max3_f32 v10, v10, v11, v12

	;;#ASMEND
	;; [unrolled: 6-line block ×4, first 2 shown]
.LBB522_26:
	s_or_b64 exec, exec, s[8:9]
	;;#ASMSTART
	v_max_f32 v11, v10, v10 quad_perm:[1,0,3,2] row_mask:0xf bank_mask:0xf bound_ctrl:1
	;;#ASMEND
	;;#ASMSTART
	v_max_f32 v10, v11, v11 quad_perm:[2,3,0,1] row_mask:0xf bank_mask:0xf bound_ctrl:1
	;;#ASMEND
	;;#ASMSTART
	v_max_f32 v11, v10, v10 row_half_mirror row_mask:0xf bank_mask:0xf bound_ctrl:1
	;;#ASMEND
	v_mul_f32_e32 v10, 0x3b124925, v11
	v_and_b32_e32 v11, 7, v0
	v_cmp_eq_u32_e32 vcc, 0, v11
	v_cmp_gt_i32_e64 s[8:9], s23, v1
	s_and_b64 s[10:11], vcc, s[8:9]
	s_and_saveexec_b64 s[8:9], s[10:11]
	s_cbranch_execz .LBB522_28
; %bb.27:
	s_load_dwordx2 s[10:11], s[4:5], 0x8
	v_lshrrev_b32_e32 v11, 3, v0
	s_mul_hi_i32 s31, s13, s6
	s_mul_i32 s30, s13, s6
	v_mad_i64_i32 v[12:13], s[14:15], s14, v11, 0
	s_lshl_b64 s[14:15], s[30:31], 2
	s_waitcnt lgkmcnt(0)
	s_add_u32 s7, s10, s14
	s_addc_u32 s10, s11, s15
	v_lshlrev_b64 v[12:13], 2, v[12:13]
	v_mov_b32_e32 v11, s10
	v_add_co_u32_e32 v12, vcc, s7, v12
	v_addc_co_u32_e32 v13, vcc, v11, v13, vcc
	global_store_dword v[12:13], v10, off
.LBB522_28:
	s_or_b64 exec, exec, s[8:9]
	;;#ASMSTART
	v_rcp_f32 v10, v10
	;;#ASMEND
	s_and_saveexec_b64 s[14:15], s[0:1]
	s_cbranch_execz .LBB522_30
; %bb.29:
	s_load_dwordx2 s[0:1], s[4:5], 0x0
	s_mul_i32 s8, s12, s6
	v_mov_b32_e32 v11, v10
	;;#ASMSTART
	v_pk_mul_f32 v[2:3], v[2:3], v[10:11]
	;;#ASMEND
	s_mul_hi_i32 s7, s12, s6
	s_waitcnt lgkmcnt(0)
	s_add_u32 s8, s0, s8
	v_mov_b32_e32 v12, 0xc3e00000
	v_mov_b32_e32 v13, 0x43e00000
	;;#ASMSTART
	v_med3_f32 v2, v2, v12, v13
v_med3_f32 v3, v3, v12, v13
v_cvt_pk_fp8_f32 v15, v2, v3
	;;#ASMEND
	s_addc_u32 s0, s1, s7
	;;#ASMSTART
	v_pk_mul_f32 v[2:3], v[4:5], v[10:11]
	;;#ASMEND
	s_and_b32 s9, s0, 0xffff
	;;#ASMSTART
	v_med3_f32 v2, v2, v12, v13
v_med3_f32 v3, v3, v12, v13
v_cvt_pk_fp8_f32 v4, v2, v3
	;;#ASMEND
	s_mov_b32 s0, 0x5040100
	v_perm_b32 v3, v4, v15, s0
	s_movk_i32 s0, 0xff
	v_and_b32_e32 v2, 0xffffff00, v4
	v_and_b32_sdwa v4, v3, s0 dst_sel:DWORD dst_unused:UNUSED_PAD src0_sel:WORD_1 src1_sel:DWORD
	s_mov_b32 s12, 0xffff
	v_or_b32_sdwa v2, v4, v2 dst_sel:WORD_1 dst_unused:UNUSED_PAD src0_sel:DWORD src1_sel:DWORD
	v_and_or_b32 v2, v3, s12, v2
	;;#ASMSTART
	v_pk_mul_f32 v[4:5], v[6:7], v[10:11]
	;;#ASMEND
	v_mov_b32_e32 v3, v5
	s_add_i32 s1, s23, 3
	;;#ASMSTART
	v_med3_f32 v4, v4, v12, v13
v_med3_f32 v3, v3, v12, v13
v_cvt_pk_fp8_f32 v6, v4, v3
	;;#ASMEND
	s_ashr_i32 s7, s1, 31
	;;#ASMSTART
	v_pk_mul_f32 v[4:5], v[8:9], v[10:11]
	;;#ASMEND
	v_mov_b32_e32 v3, v4
	s_lshr_b32 s7, s7, 30
	;;#ASMSTART
	v_med3_f32 v3, v3, v12, v13
v_med3_f32 v5, v5, v12, v13
v_cvt_pk_fp8_f32 v4, v3, v5
	;;#ASMEND
	s_add_i32 s1, s1, s7
	v_lshlrev_b32_e32 v3, 16, v4
	s_and_b32 s10, s1, -4
	s_mov_b32 s11, 0x20000
	v_and_or_b32 v3, v6, s12, v3
	buffer_store_dwordx2 v[2:3], v1, s[8:11], 0 offen
	;;#ASMSTART
	s_nop 0
	;;#ASMEND
.LBB522_30:
	s_or_b64 exec, exec, s[14:15]
	s_cmp_lt_i32 s24, 1
	s_cbranch_scc1 .LBB522_17
.LBB522_31:
	s_load_dword s0, s[4:5], 0x94
	s_waitcnt lgkmcnt(0)
	s_cmp_lg_u32 s0, 1
	s_cbranch_scc1 .LBB522_17
; %bb.32:
	s_lshl_b32 s0, s24, 1
	s_add_i32 s0, s0, 2
	v_cmp_gt_u32_e32 vcc, s24, v1
	s_and_b32 s30, s0, -4
	v_mov_b32_e32 v6, 0
	v_lshlrev_b32_e32 v1, 4, v0
	v_mov_b32_e32 v7, 0
	v_mov_b32_e32 v8, 0
	;; [unrolled: 1-line block ×7, first 2 shown]
	s_barrier
	s_and_saveexec_b64 s[0:1], vcc
	s_cbranch_execz .LBB522_34
; %bb.33:
	s_mul_hi_i32 s5, s26, s6
	s_mul_i32 s4, s26, s6
	s_and_b32 s29, s29, 0xffff
	s_lshl_b64 s[4:5], s[4:5], 1
	s_add_u32 s8, s34, s4
	s_mov_b32 s31, 0x20000
	s_addc_u32 s4, s35, s5
	s_and_b32 s9, s4, 0xffff
	s_mov_b32 s10, s30
	s_mov_b32 s11, s31
	buffer_load_dwordx4 v[6:9], v1, s[8:11], 0 offen glc slc
	buffer_load_dwordx4 v[2:5], v1, s[28:31], 0 offen
.LBB522_34:
	s_or_b64 exec, exec, s[0:1]
	s_waitcnt vmcnt(0)
	v_cvt_f32_u32_sdwa v13, v6 dst_sel:DWORD dst_unused:UNUSED_PAD src0_sel:WORD_1
	v_cvt_f32_u32_sdwa v12, v6 dst_sel:DWORD dst_unused:UNUSED_PAD src0_sel:WORD_0
	v_cvt_f32_u32_sdwa v6, v9 dst_sel:DWORD dst_unused:UNUSED_PAD src0_sel:WORD_1
	v_cvt_f32_u32_sdwa v9, v9 dst_sel:DWORD dst_unused:UNUSED_PAD src0_sel:WORD_0
	;; [unrolled: 2-line block ×4, first 2 shown]
	v_cndmask_b32_e32 v13, 0, v13, vcc
	v_cndmask_b32_e32 v7, 0, v6, vcc
	v_cndmask_b32_e32 v6, 0, v9, vcc
	v_cndmask_b32_e32 v9, 0, v15, vcc
	v_cndmask_b32_e32 v12, 0, v12, vcc
	v_mul_f32_e32 v15, v13, v13
	v_cndmask_b32_e32 v10, 0, v10, vcc
	v_fmac_f32_e32 v15, v12, v12
	v_cndmask_b32_e32 v11, 0, v11, vcc
	v_fmac_f32_e32 v15, v10, v10
	;; [unrolled: 2-line block ×3, first 2 shown]
	v_fmac_f32_e32 v15, v8, v8
	v_fmac_f32_e32 v15, v9, v9
	;; [unrolled: 1-line block ×4, first 2 shown]
	s_nop 1
	v_mov_b32_dpp v16, v15 quad_perm:[1,0,3,2] row_mask:0xf bank_mask:0xf
	v_add_f32_e32 v15, v15, v16
	s_nop 1
	v_mov_b32_dpp v16, v15 quad_perm:[2,3,0,1] row_mask:0xf bank_mask:0xf
	v_add_f32_e32 v15, v15, v16
	s_nop 1
	v_mov_b32_dpp v16, v15 row_half_mirror row_mask:0xf bank_mask:0xf
	v_add_f32_e32 v15, v15, v16
	s_nop 1
	v_mov_b32_dpp v16, v15 row_mirror row_mask:0xf bank_mask:0xf
	v_add_f32_e32 v15, v15, v16
	s_nop 1
	v_mov_b32_dpp v16, v15 row_bcast:15 row_mask:0xf bank_mask:0xf
	v_add_f32_e32 v15, v15, v16
	s_nop 1
	v_mov_b32_dpp v16, v15 row_bcast:31 row_mask:0xf bank_mask:0xf
	s_and_saveexec_b64 s[0:1], s[2:3]
	s_cbranch_execz .LBB522_36
; %bb.35:
	v_lshrrev_b32_e32 v0, 4, v0
	v_add_f32_e32 v15, v15, v16
	v_and_b32_e32 v0, 60, v0
	ds_write_b32 v0, v15
.LBB522_36:
	s_or_b64 exec, exec, s[0:1]
	s_waitcnt lgkmcnt(0)
	s_barrier
	ds_read_b32 v0, v14
	s_waitcnt lgkmcnt(0)
	s_nop 0
	v_mov_b32_dpp v14, v0 quad_perm:[1,0,3,2] row_mask:0xf bank_mask:0xf
	v_add_f32_e32 v0, v0, v14
	s_nop 1
	v_mov_b32_dpp v14, v0 quad_perm:[2,3,0,1] row_mask:0xf bank_mask:0xf
	s_and_saveexec_b64 s[0:1], vcc
	s_cbranch_execz .LBB522_17
; %bb.37:
	v_cvt_f32_u32_e32 v15, s24
	v_add_f32_e32 v0, v0, v14
	s_mov_b32 s31, 0x20000
	v_div_scale_f32 v14, s[0:1], v15, v15, v0
	v_rcp_f32_e32 v16, v14
	v_div_scale_f32 v17, vcc, v0, v15, v0
	s_mov_b32 s0, 0x800000
	v_fma_f32 v18, -v14, v16, 1.0
	v_fmac_f32_e32 v16, v18, v16
	v_mul_f32_e32 v18, v17, v16
	v_fma_f32 v19, -v14, v18, v17
	v_fmac_f32_e32 v18, v19, v16
	v_fma_f32 v14, -v14, v18, v17
	v_div_fmas_f32 v14, v14, v16, v18
	v_div_fixup_f32 v0, v14, v15, v0
	v_add_f32_e32 v0, s21, v0
	v_mul_f32_e32 v14, 0x4b800000, v0
	v_cmp_gt_f32_e32 vcc, s0, v0
	v_cndmask_b32_e32 v0, v0, v14, vcc
	v_rsq_f32_e32 v0, v0
	v_cvt_f32_u32_sdwa v17, v2 dst_sel:DWORD dst_unused:UNUSED_PAD src0_sel:WORD_1
	v_cvt_f32_u32_sdwa v16, v2 dst_sel:DWORD dst_unused:UNUSED_PAD src0_sel:WORD_0
	v_cvt_f32_u32_sdwa v19, v3 dst_sel:DWORD dst_unused:UNUSED_PAD src0_sel:WORD_1
	v_mul_f32_e32 v14, 0x45800000, v0
	v_cndmask_b32_e32 v14, v0, v14, vcc
	v_mov_b32_e32 v15, v14
	;;#ASMSTART
	v_pk_mul_f32 v[12:13], v[12:13], v[14:15]
	;;#ASMEND
	;;#ASMSTART
	v_pk_mul_f32 v[10:11], v[10:11], v[14:15]
	;;#ASMEND
	;;#ASMSTART
	v_pk_mul_f32 v[8:9], v[8:9], v[14:15]
	;;#ASMEND
	v_cvt_f32_u32_sdwa v18, v3 dst_sel:DWORD dst_unused:UNUSED_PAD src0_sel:WORD_0
	;;#ASMSTART
	v_pk_mul_f32 v[2:3], v[6:7], v[14:15]
	;;#ASMEND
	v_cvt_f32_u32_sdwa v15, v4 dst_sel:DWORD dst_unused:UNUSED_PAD src0_sel:WORD_1
	v_cvt_f32_u32_sdwa v14, v4 dst_sel:DWORD dst_unused:UNUSED_PAD src0_sel:WORD_0
	v_pk_add_f32 v[6:7], v[16:17], 1.0 op_sel_hi:[1,0]
	v_cvt_f32_u32_sdwa v17, v5 dst_sel:DWORD dst_unused:UNUSED_PAD src0_sel:WORD_1
	v_cvt_f32_u32_sdwa v16, v5 dst_sel:DWORD dst_unused:UNUSED_PAD src0_sel:WORD_0
	s_mul_hi_i32 s1, s16, s6
	s_mul_i32 s0, s16, s6
	s_lshl_b64 s[0:1], s[0:1], 1
	s_add_u32 s28, s18, s0
	;;#ASMSTART
	v_pk_mul_f32 v[6:7], v[12:13], v[6:7]
	;;#ASMEND
	v_pk_add_f32 v[12:13], v[18:19], 1.0 op_sel_hi:[1,0]
	;;#ASMSTART
	v_pk_mul_f32 v[4:5], v[10:11], v[12:13]
	;;#ASMEND
	v_pk_add_f32 v[10:11], v[14:15], 1.0 op_sel_hi:[1,0]
	s_addc_u32 s0, s19, s1
	;;#ASMSTART
	v_pk_mul_f32 v[8:9], v[8:9], v[10:11]
	;;#ASMEND
	v_pk_add_f32 v[10:11], v[16:17], 1.0 op_sel_hi:[1,0]
	s_and_b32 s29, s0, 0xffff
	s_mov_b32 s0, 0x7060302
	;;#ASMSTART
	v_pk_mul_f32 v[10:11], v[2:3], v[10:11]
	;;#ASMEND
	v_perm_b32 v2, v7, v6, s0
	v_perm_b32 v3, v5, v4, s0
	;; [unrolled: 1-line block ×4, first 2 shown]
	buffer_store_dwordx4 v[2:5], v1, s[28:31], 0 offen
	;;#ASMSTART
	s_nop 0
	;;#ASMEND
	s_endpgm
	.section	.rodata,"a",@progbits
	.p2align	6, 0x0
	.amdhsa_kernel _ZN5aiter35fused_qk_rmsnorm_group_quant_kernelItDB8_Li256ELi8ELi8ELb1ELb1ELb1ELb0ELb0ELb0EEEvPT0_PvPT_S6_S6_PKS5_S8_S8_S8_S8_ffiiiiiiiiiiiii
		.amdhsa_group_segment_fixed_size 32
		.amdhsa_private_segment_fixed_size 0
		.amdhsa_kernarg_size 400
		.amdhsa_user_sgpr_count 6
		.amdhsa_user_sgpr_private_segment_buffer 1
		.amdhsa_user_sgpr_dispatch_ptr 0
		.amdhsa_user_sgpr_queue_ptr 0
		.amdhsa_user_sgpr_kernarg_segment_ptr 1
		.amdhsa_user_sgpr_dispatch_id 0
		.amdhsa_user_sgpr_flat_scratch_init 0
		.amdhsa_user_sgpr_kernarg_preload_length 0
		.amdhsa_user_sgpr_kernarg_preload_offset 0
		.amdhsa_user_sgpr_private_segment_size 0
		.amdhsa_uses_dynamic_stack 0
		.amdhsa_system_sgpr_private_segment_wavefront_offset 0
		.amdhsa_system_sgpr_workgroup_id_x 1
		.amdhsa_system_sgpr_workgroup_id_y 1
		.amdhsa_system_sgpr_workgroup_id_z 0
		.amdhsa_system_sgpr_workgroup_info 0
		.amdhsa_system_vgpr_workitem_id 0
		.amdhsa_next_free_vgpr 27
		.amdhsa_next_free_sgpr 48
		.amdhsa_accum_offset 28
		.amdhsa_reserve_vcc 1
		.amdhsa_reserve_flat_scratch 0
		.amdhsa_float_round_mode_32 0
		.amdhsa_float_round_mode_16_64 0
		.amdhsa_float_denorm_mode_32 3
		.amdhsa_float_denorm_mode_16_64 3
		.amdhsa_dx10_clamp 1
		.amdhsa_ieee_mode 1
		.amdhsa_fp16_overflow 0
		.amdhsa_tg_split 0
		.amdhsa_exception_fp_ieee_invalid_op 0
		.amdhsa_exception_fp_denorm_src 0
		.amdhsa_exception_fp_ieee_div_zero 0
		.amdhsa_exception_fp_ieee_overflow 0
		.amdhsa_exception_fp_ieee_underflow 0
		.amdhsa_exception_fp_ieee_inexact 0
		.amdhsa_exception_int_div_zero 0
	.end_amdhsa_kernel
	.section	.text._ZN5aiter35fused_qk_rmsnorm_group_quant_kernelItDB8_Li256ELi8ELi8ELb1ELb1ELb1ELb0ELb0ELb0EEEvPT0_PvPT_S6_S6_PKS5_S8_S8_S8_S8_ffiiiiiiiiiiiii,"axG",@progbits,_ZN5aiter35fused_qk_rmsnorm_group_quant_kernelItDB8_Li256ELi8ELi8ELb1ELb1ELb1ELb0ELb0ELb0EEEvPT0_PvPT_S6_S6_PKS5_S8_S8_S8_S8_ffiiiiiiiiiiiii,comdat
.Lfunc_end522:
	.size	_ZN5aiter35fused_qk_rmsnorm_group_quant_kernelItDB8_Li256ELi8ELi8ELb1ELb1ELb1ELb0ELb0ELb0EEEvPT0_PvPT_S6_S6_PKS5_S8_S8_S8_S8_ffiiiiiiiiiiiii, .Lfunc_end522-_ZN5aiter35fused_qk_rmsnorm_group_quant_kernelItDB8_Li256ELi8ELi8ELb1ELb1ELb1ELb0ELb0ELb0EEEvPT0_PvPT_S6_S6_PKS5_S8_S8_S8_S8_ffiiiiiiiiiiiii
                                        ; -- End function
	.section	.AMDGPU.csdata,"",@progbits
; Kernel info:
; codeLenInByte = 3120
; NumSgprs: 52
; NumVgprs: 27
; NumAgprs: 0
; TotalNumVgprs: 27
; ScratchSize: 0
; MemoryBound: 0
; FloatMode: 240
; IeeeMode: 1
; LDSByteSize: 32 bytes/workgroup (compile time only)
; SGPRBlocks: 6
; VGPRBlocks: 3
; NumSGPRsForWavesPerEU: 52
; NumVGPRsForWavesPerEU: 27
; AccumOffset: 28
; Occupancy: 8
; WaveLimiterHint : 0
; COMPUTE_PGM_RSRC2:SCRATCH_EN: 0
; COMPUTE_PGM_RSRC2:USER_SGPR: 6
; COMPUTE_PGM_RSRC2:TRAP_HANDLER: 0
; COMPUTE_PGM_RSRC2:TGID_X_EN: 1
; COMPUTE_PGM_RSRC2:TGID_Y_EN: 1
; COMPUTE_PGM_RSRC2:TGID_Z_EN: 0
; COMPUTE_PGM_RSRC2:TIDIG_COMP_CNT: 0
; COMPUTE_PGM_RSRC3_GFX90A:ACCUM_OFFSET: 6
; COMPUTE_PGM_RSRC3_GFX90A:TG_SPLIT: 0
	.section	.text._ZN5aiter35fused_qk_rmsnorm_group_quant_kernelIDF16_N4opus5fp4_tELi256ELi8ELi8ELb1ELb1ELb1ELb0ELb0ELb0EEEvPT0_PvPT_S7_S7_PKS6_S9_S9_S9_S9_ffiiiiiiiiiiiii,"axG",@progbits,_ZN5aiter35fused_qk_rmsnorm_group_quant_kernelIDF16_N4opus5fp4_tELi256ELi8ELi8ELb1ELb1ELb1ELb0ELb0ELb0EEEvPT0_PvPT_S7_S7_PKS6_S9_S9_S9_S9_ffiiiiiiiiiiiii,comdat
	.protected	_ZN5aiter35fused_qk_rmsnorm_group_quant_kernelIDF16_N4opus5fp4_tELi256ELi8ELi8ELb1ELb1ELb1ELb0ELb0ELb0EEEvPT0_PvPT_S7_S7_PKS6_S9_S9_S9_S9_ffiiiiiiiiiiiii ; -- Begin function _ZN5aiter35fused_qk_rmsnorm_group_quant_kernelIDF16_N4opus5fp4_tELi256ELi8ELi8ELb1ELb1ELb1ELb0ELb0ELb0EEEvPT0_PvPT_S7_S7_PKS6_S9_S9_S9_S9_ffiiiiiiiiiiiii
	.globl	_ZN5aiter35fused_qk_rmsnorm_group_quant_kernelIDF16_N4opus5fp4_tELi256ELi8ELi8ELb1ELb1ELb1ELb0ELb0ELb0EEEvPT0_PvPT_S7_S7_PKS6_S9_S9_S9_S9_ffiiiiiiiiiiiii
	.p2align	8
	.type	_ZN5aiter35fused_qk_rmsnorm_group_quant_kernelIDF16_N4opus5fp4_tELi256ELi8ELi8ELb1ELb1ELb1ELb0ELb0ELb0EEEvPT0_PvPT_S7_S7_PKS6_S9_S9_S9_S9_ffiiiiiiiiiiiii,@function
_ZN5aiter35fused_qk_rmsnorm_group_quant_kernelIDF16_N4opus5fp4_tELi256ELi8ELi8ELb1ELb1ELb1ELb0ELb0ELb0EEEvPT0_PvPT_S7_S7_PKS6_S9_S9_S9_S9_ffiiiiiiiiiiiii: ; @_ZN5aiter35fused_qk_rmsnorm_group_quant_kernelIDF16_N4opus5fp4_tELi256ELi8ELi8ELb1ELb1ELb1ELb0ELb0ELb0EEEvPT0_PvPT_S7_S7_PKS6_S9_S9_S9_S9_ffiiiiiiiiiiiii
; %bb.0:
	s_load_dwordx8 s[20:27], s[4:5], 0x50
	s_waitcnt lgkmcnt(0)
	s_cmp_ge_i32 s6, s22
	s_cbranch_scc1 .LBB523_17
; %bb.1:
	s_cmp_lg_u32 s7, 0
	s_cselect_b64 s[30:31], -1, 0
	s_cmp_eq_u32 s7, 0
	s_cselect_b64 s[8:9], -1, 0
	s_and_b64 s[0:1], s[8:9], exec
	s_load_dwordx2 s[28:29], s[4:5], 0x48
	s_load_dwordx2 s[10:11], s[4:5], 0x30
	s_load_dwordx8 s[12:19], s[4:5], 0x70
	s_cselect_b32 s7, s23, s24
	s_add_i32 s0, s7, 1
	s_lshr_b32 s1, s0, 31
	s_add_i32 s0, s0, s1
	s_lshl_b32 s0, s0, 1
	v_lshlrev_b32_e32 v1, 3, v0
	s_and_b32 s38, s0, -4
	v_cmp_gt_i32_e64 s[0:1], s7, v1
	v_mov_b32_e32 v2, 0
	v_mov_b32_e32 v3, 0
	;; [unrolled: 1-line block ×8, first 2 shown]
	s_and_saveexec_b64 s[2:3], s[0:1]
	s_cbranch_execz .LBB523_3
; %bb.2:
	s_waitcnt lgkmcnt(0)
	s_load_dwordx2 s[18:19], s[4:5], 0x28
	s_load_dwordx2 s[34:35], s[4:5], 0x40
	s_and_b64 s[36:37], s[8:9], exec
	s_cselect_b32 s22, s25, s26
	s_mov_b32 s39, 0x20000
	s_waitcnt lgkmcnt(0)
	s_cselect_b32 s25, s19, s11
	s_cselect_b32 s33, s18, s10
	s_mul_hi_i32 s19, s22, s6
	s_mul_i32 s18, s22, s6
	s_lshl_b64 s[18:19], s[18:19], 1
	s_add_u32 s40, s33, s18
	s_addc_u32 s22, s25, s19
	s_and_b64 s[18:19], s[8:9], exec
	s_cselect_b32 s36, s34, s28
	s_cselect_b32 s18, s35, s29
	v_lshlrev_b32_e32 v10, 4, v0
	s_and_b32 s41, s22, 0xffff
	s_mov_b32 s42, s38
	s_mov_b32 s43, s39
	s_and_b32 s37, s18, 0xffff
	buffer_load_dwordx4 v[6:9], v10, s[40:43], 0 offen glc slc
	buffer_load_dwordx4 v[2:5], v10, s[36:39], 0 offen
.LBB523_3:
	s_or_b64 exec, exec, s[2:3]
	s_and_b64 vcc, exec, s[30:31]
	s_cbranch_vccz .LBB523_7
; %bb.4:
	v_mov_b32_e32 v11, 0
	v_mov_b32_e32 v10, 0
	;; [unrolled: 1-line block ×8, first 2 shown]
	s_and_saveexec_b64 s[2:3], s[0:1]
	s_cbranch_execz .LBB523_6
; %bb.5:
	s_waitcnt vmcnt(1)
	v_cvt_f32_f16_sdwa v15, v6 dst_sel:DWORD dst_unused:UNUSED_PAD src0_sel:WORD_1
	v_cvt_f32_f16_e32 v14, v6
	v_cvt_f32_f16_sdwa v17, v7 dst_sel:DWORD dst_unused:UNUSED_PAD src0_sel:WORD_1
	v_cvt_f32_f16_e32 v16, v7
	;; [unrolled: 2-line block ×4, first 2 shown]
.LBB523_6:
	s_or_b64 exec, exec, s[2:3]
	s_cbranch_execz .LBB523_8
	s_branch .LBB523_11
.LBB523_7:
                                        ; implicit-def: $vgpr11
                                        ; implicit-def: $vgpr13
                                        ; implicit-def: $vgpr17
                                        ; implicit-def: $vgpr15
.LBB523_8:
	v_mov_b32_e32 v11, 0
	v_mov_b32_e32 v10, 0
	;; [unrolled: 1-line block ×8, first 2 shown]
	s_and_saveexec_b64 s[2:3], s[0:1]
	s_cbranch_execz .LBB523_10
; %bb.9:
	s_waitcnt lgkmcnt(0)
	s_load_dwordx2 s[18:19], s[4:5], 0x38
	s_mul_hi_i32 s35, s27, s6
	s_mul_i32 s34, s27, s6
	s_lshl_b64 s[34:35], s[34:35], 1
	s_mov_b32 s39, 0x20000
	s_waitcnt lgkmcnt(0)
	s_add_u32 s36, s18, s34
	s_addc_u32 s18, s19, s35
	s_and_b32 s37, s18, 0xffff
	v_lshlrev_b32_e32 v24, 4, v0
	buffer_load_dwordx4 v[10:13], v24, s[36:39], 0 offen glc slc
	s_waitcnt vmcnt(2)
	v_cvt_f32_f16_sdwa v15, v6 dst_sel:DWORD dst_unused:UNUSED_PAD src0_sel:WORD_1
	v_cvt_f32_f16_e32 v14, v6
	v_cvt_f32_f16_sdwa v17, v7 dst_sel:DWORD dst_unused:UNUSED_PAD src0_sel:WORD_1
	v_cvt_f32_f16_e32 v16, v7
	;; [unrolled: 2-line block ×4, first 2 shown]
	s_load_dwordx2 s[18:19], s[4:5], 0x20
	s_mul_hi_i32 s35, s17, s6
	s_mul_i32 s34, s17, s6
	s_lshl_b64 s[34:35], s[34:35], 1
	s_waitcnt lgkmcnt(0)
	s_add_u32 s36, s18, s34
	s_addc_u32 s17, s19, s35
	s_and_b32 s37, s17, 0xffff
	s_waitcnt vmcnt(0)
	v_cvt_f32_f16_e32 v8, v10
	v_cvt_f32_f16_sdwa v9, v10 dst_sel:DWORD dst_unused:UNUSED_PAD src0_sel:WORD_1
	v_cvt_f32_f16_e32 v10, v11
	v_cvt_f32_f16_sdwa v11, v11 dst_sel:DWORD dst_unused:UNUSED_PAD src0_sel:WORD_1
	;; [unrolled: 2-line block ×4, first 2 shown]
	v_pk_add_f32 v[14:15], v[14:15], v[8:9]
	v_pk_add_f32 v[16:17], v[16:17], v[10:11]
	;; [unrolled: 1-line block ×4, first 2 shown]
	v_cvt_f16_f32_e32 v6, v15
	v_cvt_f16_f32_e32 v7, v17
	;; [unrolled: 1-line block ×8, first 2 shown]
	v_pack_b32_f16 v9, v18, v9
	v_pack_b32_f16 v8, v19, v8
	;; [unrolled: 1-line block ×4, first 2 shown]
	buffer_store_dwordx4 v[6:9], v24, s[36:39], 0 offen glc slc
	;;#ASMSTART
	s_nop 0
	;;#ASMEND
.LBB523_10:
	s_or_b64 exec, exec, s[2:3]
.LBB523_11:
	s_waitcnt vmcnt(1)
	v_mul_f32_e32 v6, v15, v15
	v_fmac_f32_e32 v6, v14, v14
	v_fmac_f32_e32 v6, v16, v16
	;; [unrolled: 1-line block ×7, first 2 shown]
	v_and_b32_e32 v8, 63, v0
	v_cmp_eq_u32_e64 s[2:3], 63, v8
	v_mov_b32_dpp v7, v6 quad_perm:[1,0,3,2] row_mask:0xf bank_mask:0xf
	v_add_f32_e32 v6, v6, v7
	s_nop 1
	v_mov_b32_dpp v7, v6 quad_perm:[2,3,0,1] row_mask:0xf bank_mask:0xf
	v_add_f32_e32 v6, v6, v7
	s_nop 1
	v_mov_b32_dpp v7, v6 row_half_mirror row_mask:0xf bank_mask:0xf
	v_add_f32_e32 v6, v6, v7
	s_nop 1
	v_mov_b32_dpp v7, v6 row_mirror row_mask:0xf bank_mask:0xf
	v_add_f32_e32 v6, v6, v7
	s_nop 1
	v_mov_b32_dpp v7, v6 row_bcast:15 row_mask:0xf bank_mask:0xf
	v_add_f32_e32 v6, v6, v7
	s_nop 1
	v_mov_b32_dpp v7, v6 row_bcast:31 row_mask:0xf bank_mask:0xf
	s_waitcnt lgkmcnt(0)
	s_and_saveexec_b64 s[18:19], s[2:3]
	s_cbranch_execz .LBB523_13
; %bb.12:
	v_add_f32_e32 v6, v6, v7
	v_lshrrev_b32_e32 v7, 4, v0
	v_and_b32_e32 v7, 60, v7
	ds_write_b32 v7, v6 offset:16
.LBB523_13:
	s_or_b64 exec, exec, s[18:19]
	v_and_b32_e32 v6, 3, v0
	v_lshlrev_b32_e32 v18, 2, v6
	s_waitcnt lgkmcnt(0)
	s_barrier
	ds_read_b32 v6, v18 offset:16
	s_load_dwordx2 s[18:19], s[4:5], 0x18
	s_waitcnt lgkmcnt(0)
	v_mov_b32_dpp v7, v6 quad_perm:[1,0,3,2] row_mask:0xf bank_mask:0xf
	v_add_f32_e32 v6, v6, v7
	s_nop 1
	v_mov_b32_dpp v7, v6 quad_perm:[2,3,0,1] row_mask:0xf bank_mask:0xf
	s_and_saveexec_b64 s[34:35], s[0:1]
	s_cbranch_execnz .LBB523_18
; %bb.14:
	s_or_b64 exec, exec, s[34:35]
	s_mov_b64 s[8:9], -1
	s_and_b64 vcc, exec, s[30:31]
	s_cbranch_vccnz .LBB523_19
.LBB523_15:
	s_andn2_b64 vcc, exec, s[8:9]
	s_cbranch_vccz .LBB523_22
.LBB523_16:
	s_cmp_lt_i32 s24, 1
	s_cbranch_scc0 .LBB523_31
.LBB523_17:
	s_endpgm
.LBB523_18:
	v_cvt_f32_u32_e32 v8, s7
	v_add_f32_e32 v6, v6, v7
	v_mov_b32_e32 v19, s21
	v_mov_b32_e32 v20, s20
	v_div_scale_f32 v7, s[36:37], v8, v8, v6
	v_rcp_f32_e32 v9, v7
	v_cndmask_b32_e64 v19, v19, v20, s[8:9]
	s_mov_b32 s7, 0x800000
	v_fma_f32 v20, -v7, v9, 1.0
	v_fmac_f32_e32 v9, v20, v9
	v_div_scale_f32 v20, vcc, v6, v8, v6
	v_mul_f32_e32 v21, v20, v9
	v_fma_f32 v22, -v7, v21, v20
	v_fmac_f32_e32 v21, v22, v9
	v_fma_f32 v7, -v7, v21, v20
	v_div_fmas_f32 v7, v7, v9, v21
	v_div_fixup_f32 v6, v7, v8, v6
	v_add_f32_e32 v6, v19, v6
	v_mul_f32_e32 v7, 0x4b800000, v6
	v_cmp_gt_f32_e32 vcc, s7, v6
	v_cndmask_b32_e32 v6, v6, v7, vcc
	v_rsq_f32_e32 v6, v6
	s_waitcnt vmcnt(0)
	v_cvt_f32_f16_sdwa v21, v3 dst_sel:DWORD dst_unused:UNUSED_PAD src0_sel:WORD_1
	v_cvt_f32_f16_e32 v20, v3
	v_mul_f32_e32 v7, 0x45800000, v6
	v_cndmask_b32_e32 v6, v6, v7, vcc
	v_mov_b32_e32 v7, v6
	;;#ASMSTART
	v_pk_mul_f32 v[8:9], v[14:15], v[6:7]
	;;#ASMEND
	v_cvt_f32_f16_sdwa v15, v2 dst_sel:DWORD dst_unused:UNUSED_PAD src0_sel:WORD_1
	v_cvt_f32_f16_e32 v14, v2
	;;#ASMSTART
	v_pk_mul_f32 v[16:17], v[16:17], v[6:7]
	;;#ASMEND
	;;#ASMSTART
	v_pk_mul_f32 v[12:13], v[12:13], v[6:7]
	;;#ASMEND
	;; [unrolled: 3-line block ×3, first 2 shown]
	v_pk_add_f32 v[6:7], v[14:15], 1.0 op_sel_hi:[1,0]
	;;#ASMSTART
	v_pk_mul_f32 v[14:15], v[8:9], v[6:7]
	;;#ASMEND
	v_cvt_f32_f16_sdwa v9, v4 dst_sel:DWORD dst_unused:UNUSED_PAD src0_sel:WORD_1
	v_cvt_f32_f16_e32 v8, v4
	v_cvt_f32_f16_sdwa v11, v5 dst_sel:DWORD dst_unused:UNUSED_PAD src0_sel:WORD_1
	v_cvt_f32_f16_e32 v10, v5
	v_pk_add_f32 v[6:7], v[20:21], 1.0 op_sel_hi:[1,0]
	v_pk_add_f32 v[4:5], v[8:9], 1.0 op_sel_hi:[1,0]
	;;#ASMSTART
	v_pk_mul_f32 v[16:17], v[16:17], v[6:7]
	;;#ASMEND
	;;#ASMSTART
	v_pk_mul_f32 v[12:13], v[12:13], v[4:5]
	;;#ASMEND
	v_pk_add_f32 v[4:5], v[10:11], 1.0 op_sel_hi:[1,0]
	;;#ASMSTART
	v_pk_mul_f32 v[10:11], v[2:3], v[4:5]
	;;#ASMEND
	s_or_b64 exec, exec, s[34:35]
	s_mov_b64 s[8:9], -1
	s_and_b64 vcc, exec, s[30:31]
	s_cbranch_vccz .LBB523_15
.LBB523_19:
	s_and_saveexec_b64 s[8:9], s[0:1]
	s_cbranch_execz .LBB523_21
; %bb.20:
	s_mul_hi_i32 s31, s16, s6
	s_mul_i32 s30, s16, s6
	s_waitcnt vmcnt(0)
	v_cvt_f16_f32_e32 v2, v14
	v_cvt_f16_f32_e32 v3, v16
	;; [unrolled: 1-line block ×8, first 2 shown]
	s_lshl_b64 s[30:31], s[30:31], 1
	s_add_u32 s36, s18, s30
	s_addc_u32 s7, s19, s31
	s_and_b32 s37, s7, 0xffff
	s_mov_b32 s39, 0x20000
	v_pack_b32_f16 v5, v5, v6
	v_pack_b32_f16 v4, v4, v7
	;; [unrolled: 1-line block ×4, first 2 shown]
	v_lshlrev_b32_e32 v6, 4, v0
	buffer_store_dwordx4 v[2:5], v6, s[36:39], 0 offen
	;;#ASMSTART
	s_nop 0
	;;#ASMEND
.LBB523_21:
	s_or_b64 exec, exec, s[8:9]
	s_cbranch_execnz .LBB523_16
.LBB523_22:
	s_waitcnt vmcnt(0)
	v_mov_b32_e32 v2, 0
	s_and_saveexec_b64 s[8:9], s[0:1]
	s_cbranch_execz .LBB523_24
; %bb.23:
	s_load_dwordx2 s[30:31], s[4:5], 0x10
	s_mul_hi_i32 s35, s15, s6
	s_mul_i32 s34, s15, s6
	v_cvt_f16_f32_e32 v2, v14
	v_cvt_f16_f32_e32 v3, v16
	;; [unrolled: 1-line block ×8, first 2 shown]
	s_lshl_b64 s[34:35], s[34:35], 1
	s_waitcnt lgkmcnt(0)
	s_add_u32 s36, s30, s34
	s_addc_u32 s7, s31, s35
	s_mov_b32 s39, 0x20000
	s_and_b32 s37, s7, 0xffff
	v_pack_b32_f16 v5, v5, v6
	v_pack_b32_f16 v4, v4, v7
	;; [unrolled: 1-line block ×4, first 2 shown]
	v_lshlrev_b32_e32 v6, 4, v0
	buffer_store_dwordx4 v[2:5], v6, s[36:39], 0 offen
	;;#ASMSTART
	s_nop 0
	;;#ASMEND
	s_nop 0
	v_mov_b32_e32 v2, 0x2edbe6ff
.LBB523_24:
	s_or_b64 exec, exec, s[8:9]
	s_and_saveexec_b64 s[8:9], s[0:1]
	s_cbranch_execz .LBB523_26
; %bb.25:
	v_and_b32_e32 v3, 0x7fffffff, v14
	v_and_b32_e32 v4, 0x7fffffff, v15
	;;#ASMSTART
	v_max3_f32 v2, v2, v3, v4

	;;#ASMEND
	v_and_b32_e32 v3, 0x7fffffff, v16
	v_and_b32_e32 v4, 0x7fffffff, v17
	;;#ASMSTART
	v_max3_f32 v2, v2, v3, v4

	;;#ASMEND
	;; [unrolled: 6-line block ×4, first 2 shown]
.LBB523_26:
	s_or_b64 exec, exec, s[8:9]
	;;#ASMSTART
	v_max_f32 v3, v2, v2 quad_perm:[1,0,3,2] row_mask:0xf bank_mask:0xf bound_ctrl:1
	;;#ASMEND
	;;#ASMSTART
	v_max_f32 v4, v3, v3 quad_perm:[2,3,0,1] row_mask:0xf bank_mask:0xf bound_ctrl:1
	;;#ASMEND
	v_and_b32_e32 v3, 7, v0
	v_cmp_eq_u32_e32 vcc, 0, v3
	v_cmp_gt_i32_e64 s[8:9], s23, v1
	s_and_b64 s[30:31], vcc, s[8:9]
	;;#ASMSTART
	v_max_f32 v2, v4, v4 row_half_mirror row_mask:0xf bank_mask:0xf bound_ctrl:1
	;;#ASMEND
	s_and_saveexec_b64 s[8:9], s[30:31]
	s_cbranch_execz .LBB523_28
; %bb.27:
	s_load_dwordx2 s[30:31], s[4:5], 0x8
	v_mul_f32_e32 v2, 0x3e2aaaab, v2
	v_lshrrev_b32_e32 v3, 23, v2
	v_and_b32_e32 v4, 0x7f800000, v2
	v_and_b32_e32 v2, 0x7fffff, v2
	v_cmp_ne_u32_e32 vcc, 0, v2
	s_mul_hi_i32 s15, s13, s6
	s_mul_i32 s13, s13, s6
	s_mov_b32 s7, 0x7f800000
	v_addc_co_u32_e32 v2, vcc, 0, v3, vcc
	s_waitcnt lgkmcnt(0)
	s_add_u32 s30, s30, s13
	v_cmp_ne_u32_e32 vcc, s7, v4
	s_addc_u32 s31, s31, s15
	v_lshrrev_b32_e32 v5, 3, v0
	v_cndmask_b32_e32 v4, -1, v2, vcc
	v_pk_mov_b32 v[2:3], s[30:31], s[30:31] op_sel:[0,1]
	v_mad_i64_i32 v[2:3], s[14:15], s14, v5, v[2:3]
	global_store_byte v[2:3], v4, off
.LBB523_28:
	s_or_b64 exec, exec, s[8:9]
	s_and_saveexec_b64 s[8:9], s[0:1]
	s_cbranch_execz .LBB523_30
; %bb.29:
	s_load_dwordx2 s[0:1], s[4:5], 0x0
	s_mul_hi_i32 s7, s12, s6
	s_mul_i32 s12, s12, s6
	v_lshlrev_b32_e32 v2, 2, v0
	s_mov_b32 s15, 0x20000
	s_waitcnt lgkmcnt(0)
	s_add_u32 s12, s0, s12
	s_addc_u32 s0, s1, s7
	s_lshr_b32 s1, s23, 31
	s_add_i32 s1, s23, s1
	s_ashr_i32 s1, s1, 1
	s_add_i32 s1, s1, 3
	s_ashr_i32 s7, s1, 31
	s_lshr_b32 s7, s7, 30
	s_add_i32 s1, s1, s7
	s_and_b32 s14, s1, -4
	s_and_b32 s13, s0, 0xffff
	v_mov_b32_e32 v3, 0
	buffer_store_dword v3, v2, s[12:15], 0 offen
	;;#ASMSTART
	s_nop 0
	;;#ASMEND
.LBB523_30:
	s_or_b64 exec, exec, s[8:9]
	s_cmp_lt_i32 s24, 1
	s_cbranch_scc1 .LBB523_17
.LBB523_31:
	s_load_dword s0, s[4:5], 0x94
	s_waitcnt lgkmcnt(0)
	s_cmp_lg_u32 s0, 1
	s_cbranch_scc1 .LBB523_17
; %bb.32:
	s_lshl_b32 s0, s24, 1
	s_add_i32 s0, s0, 2
	v_cmp_gt_u32_e32 vcc, s24, v1
	s_and_b32 s30, s0, -4
	v_mov_b32_e32 v10, 0
	v_lshlrev_b32_e32 v1, 4, v0
	v_mov_b32_e32 v6, 0
	v_mov_b32_e32 v7, 0
	;; [unrolled: 1-line block ×4, first 2 shown]
	s_waitcnt vmcnt(0)
	v_mov_b32_e32 v2, 0
	v_mov_b32_e32 v3, 0
	;; [unrolled: 1-line block ×4, first 2 shown]
	s_barrier
	s_and_saveexec_b64 s[0:1], vcc
	s_cbranch_execz .LBB523_34
; %bb.33:
	s_mul_hi_i32 s5, s26, s6
	s_mul_i32 s4, s26, s6
	s_and_b32 s29, s29, 0xffff
	s_lshl_b64 s[4:5], s[4:5], 1
	s_add_u32 s8, s10, s4
	s_mov_b32 s31, 0x20000
	s_addc_u32 s4, s11, s5
	s_and_b32 s9, s4, 0xffff
	s_mov_b32 s10, s30
	s_mov_b32 s11, s31
	buffer_load_dwordx4 v[6:9], v1, s[8:11], 0 offen glc slc
	buffer_load_dwordx4 v[2:5], v1, s[28:31], 0 offen
.LBB523_34:
	s_or_b64 exec, exec, s[0:1]
	v_mov_b32_e32 v11, 0
	v_mov_b32_e32 v16, 0
	;; [unrolled: 1-line block ×7, first 2 shown]
	s_and_saveexec_b64 s[0:1], vcc
	s_cbranch_execz .LBB523_36
; %bb.35:
	s_waitcnt vmcnt(1)
	v_cvt_f32_f16_sdwa v11, v6 dst_sel:DWORD dst_unused:UNUSED_PAD src0_sel:WORD_1
	v_cvt_f32_f16_e32 v10, v6
	v_cvt_f32_f16_sdwa v17, v7 dst_sel:DWORD dst_unused:UNUSED_PAD src0_sel:WORD_1
	v_cvt_f32_f16_e32 v16, v7
	;; [unrolled: 2-line block ×4, first 2 shown]
.LBB523_36:
	s_or_b64 exec, exec, s[0:1]
	s_waitcnt vmcnt(1)
	v_mul_f32_e32 v6, v11, v11
	v_fmac_f32_e32 v6, v10, v10
	v_fmac_f32_e32 v6, v16, v16
	v_fmac_f32_e32 v6, v17, v17
	v_fmac_f32_e32 v6, v14, v14
	v_fmac_f32_e32 v6, v15, v15
	v_fmac_f32_e32 v6, v12, v12
	v_fmac_f32_e32 v6, v13, v13
	s_nop 1
	v_mov_b32_dpp v7, v6 quad_perm:[1,0,3,2] row_mask:0xf bank_mask:0xf
	v_add_f32_e32 v6, v6, v7
	s_nop 1
	v_mov_b32_dpp v7, v6 quad_perm:[2,3,0,1] row_mask:0xf bank_mask:0xf
	v_add_f32_e32 v6, v6, v7
	s_nop 1
	v_mov_b32_dpp v7, v6 row_half_mirror row_mask:0xf bank_mask:0xf
	v_add_f32_e32 v6, v6, v7
	s_nop 1
	v_mov_b32_dpp v7, v6 row_mirror row_mask:0xf bank_mask:0xf
	v_add_f32_e32 v6, v6, v7
	s_nop 1
	v_mov_b32_dpp v7, v6 row_bcast:15 row_mask:0xf bank_mask:0xf
	v_add_f32_e32 v6, v6, v7
	s_nop 1
	v_mov_b32_dpp v7, v6 row_bcast:31 row_mask:0xf bank_mask:0xf
	s_and_saveexec_b64 s[0:1], s[2:3]
	s_cbranch_execz .LBB523_38
; %bb.37:
	v_lshrrev_b32_e32 v0, 4, v0
	v_add_f32_e32 v6, v6, v7
	v_and_b32_e32 v0, 60, v0
	ds_write_b32 v0, v6
.LBB523_38:
	s_or_b64 exec, exec, s[0:1]
	s_waitcnt lgkmcnt(0)
	s_barrier
	ds_read_b32 v0, v18
	s_waitcnt lgkmcnt(0)
	s_nop 0
	v_mov_b32_dpp v6, v0 quad_perm:[1,0,3,2] row_mask:0xf bank_mask:0xf
	v_add_f32_e32 v0, v0, v6
	s_nop 1
	v_mov_b32_dpp v6, v0 quad_perm:[2,3,0,1] row_mask:0xf bank_mask:0xf
	s_and_saveexec_b64 s[0:1], vcc
	s_cbranch_execz .LBB523_17
; %bb.39:
	v_cvt_f32_u32_e32 v7, s24
	v_add_f32_e32 v0, v0, v6
	s_mov_b32 s31, 0x20000
	v_div_scale_f32 v6, s[0:1], v7, v7, v0
	v_rcp_f32_e32 v8, v6
	v_div_scale_f32 v9, vcc, v0, v7, v0
	s_mov_b32 s0, 0x800000
	v_fma_f32 v18, -v6, v8, 1.0
	v_fmac_f32_e32 v8, v18, v8
	v_mul_f32_e32 v18, v9, v8
	v_fma_f32 v19, -v6, v18, v9
	v_fmac_f32_e32 v18, v19, v8
	v_fma_f32 v6, -v6, v18, v9
	v_div_fmas_f32 v6, v6, v8, v18
	v_div_fixup_f32 v0, v6, v7, v0
	v_add_f32_e32 v0, s21, v0
	v_mul_f32_e32 v6, 0x4b800000, v0
	v_cmp_gt_f32_e32 vcc, s0, v0
	v_cndmask_b32_e32 v0, v0, v6, vcc
	v_rsq_f32_e32 v0, v0
	s_waitcnt vmcnt(0)
	v_cvt_f32_f16_sdwa v19, v3 dst_sel:DWORD dst_unused:UNUSED_PAD src0_sel:WORD_1
	v_cvt_f32_f16_e32 v18, v3
	s_mul_hi_i32 s1, s16, s6
	v_mul_f32_e32 v6, 0x45800000, v0
	v_cndmask_b32_e32 v6, v0, v6, vcc
	v_mov_b32_e32 v7, v6
	;;#ASMSTART
	v_pk_mul_f32 v[8:9], v[10:11], v[6:7]
	;;#ASMEND
	;;#ASMSTART
	v_pk_mul_f32 v[10:11], v[16:17], v[6:7]
	;;#ASMEND
	v_cvt_f32_f16_sdwa v17, v2 dst_sel:DWORD dst_unused:UNUSED_PAD src0_sel:WORD_1
	v_cvt_f32_f16_e32 v16, v2
	;;#ASMSTART
	v_pk_mul_f32 v[14:15], v[14:15], v[6:7]
	;;#ASMEND
	;;#ASMSTART
	v_pk_mul_f32 v[2:3], v[12:13], v[6:7]
	;;#ASMEND
	v_cvt_f32_f16_sdwa v13, v4 dst_sel:DWORD dst_unused:UNUSED_PAD src0_sel:WORD_1
	v_cvt_f32_f16_e32 v12, v4
	v_pk_add_f32 v[6:7], v[16:17], 1.0 op_sel_hi:[1,0]
	v_cvt_f32_f16_sdwa v17, v5 dst_sel:DWORD dst_unused:UNUSED_PAD src0_sel:WORD_1
	v_cvt_f32_f16_e32 v16, v5
	;;#ASMSTART
	v_pk_mul_f32 v[6:7], v[8:9], v[6:7]
	;;#ASMEND
	v_pk_add_f32 v[8:9], v[18:19], 1.0 op_sel_hi:[1,0]
	;;#ASMSTART
	v_pk_mul_f32 v[4:5], v[10:11], v[8:9]
	;;#ASMEND
	v_pk_add_f32 v[8:9], v[12:13], 1.0 op_sel_hi:[1,0]
	;; [unrolled: 4-line block ×3, first 2 shown]
	;;#ASMSTART
	v_pk_mul_f32 v[2:3], v[2:3], v[10:11]
	;;#ASMEND
	s_mul_i32 s0, s16, s6
	v_cvt_f16_f32_e32 v0, v6
	v_cvt_f16_f32_e32 v6, v7
	;; [unrolled: 1-line block ×8, first 2 shown]
	s_lshl_b64 s[0:1], s[0:1], 1
	s_add_u32 s28, s18, s0
	s_addc_u32 s0, s19, s1
	s_and_b32 s29, s0, 0xffff
	v_pack_b32_f16 v2, v0, v6
	v_pack_b32_f16 v3, v4, v5
	;; [unrolled: 1-line block ×4, first 2 shown]
	buffer_store_dwordx4 v[2:5], v1, s[28:31], 0 offen
	;;#ASMSTART
	s_nop 0
	;;#ASMEND
	s_endpgm
	.section	.rodata,"a",@progbits
	.p2align	6, 0x0
	.amdhsa_kernel _ZN5aiter35fused_qk_rmsnorm_group_quant_kernelIDF16_N4opus5fp4_tELi256ELi8ELi8ELb1ELb1ELb1ELb0ELb0ELb0EEEvPT0_PvPT_S7_S7_PKS6_S9_S9_S9_S9_ffiiiiiiiiiiiii
		.amdhsa_group_segment_fixed_size 32
		.amdhsa_private_segment_fixed_size 0
		.amdhsa_kernarg_size 400
		.amdhsa_user_sgpr_count 6
		.amdhsa_user_sgpr_private_segment_buffer 1
		.amdhsa_user_sgpr_dispatch_ptr 0
		.amdhsa_user_sgpr_queue_ptr 0
		.amdhsa_user_sgpr_kernarg_segment_ptr 1
		.amdhsa_user_sgpr_dispatch_id 0
		.amdhsa_user_sgpr_flat_scratch_init 0
		.amdhsa_user_sgpr_kernarg_preload_length 0
		.amdhsa_user_sgpr_kernarg_preload_offset 0
		.amdhsa_user_sgpr_private_segment_size 0
		.amdhsa_uses_dynamic_stack 0
		.amdhsa_system_sgpr_private_segment_wavefront_offset 0
		.amdhsa_system_sgpr_workgroup_id_x 1
		.amdhsa_system_sgpr_workgroup_id_y 1
		.amdhsa_system_sgpr_workgroup_id_z 0
		.amdhsa_system_sgpr_workgroup_info 0
		.amdhsa_system_vgpr_workitem_id 0
		.amdhsa_next_free_vgpr 25
		.amdhsa_next_free_sgpr 44
		.amdhsa_accum_offset 28
		.amdhsa_reserve_vcc 1
		.amdhsa_reserve_flat_scratch 0
		.amdhsa_float_round_mode_32 0
		.amdhsa_float_round_mode_16_64 0
		.amdhsa_float_denorm_mode_32 3
		.amdhsa_float_denorm_mode_16_64 3
		.amdhsa_dx10_clamp 1
		.amdhsa_ieee_mode 1
		.amdhsa_fp16_overflow 0
		.amdhsa_tg_split 0
		.amdhsa_exception_fp_ieee_invalid_op 0
		.amdhsa_exception_fp_denorm_src 0
		.amdhsa_exception_fp_ieee_div_zero 0
		.amdhsa_exception_fp_ieee_overflow 0
		.amdhsa_exception_fp_ieee_underflow 0
		.amdhsa_exception_fp_ieee_inexact 0
		.amdhsa_exception_int_div_zero 0
	.end_amdhsa_kernel
	.section	.text._ZN5aiter35fused_qk_rmsnorm_group_quant_kernelIDF16_N4opus5fp4_tELi256ELi8ELi8ELb1ELb1ELb1ELb0ELb0ELb0EEEvPT0_PvPT_S7_S7_PKS6_S9_S9_S9_S9_ffiiiiiiiiiiiii,"axG",@progbits,_ZN5aiter35fused_qk_rmsnorm_group_quant_kernelIDF16_N4opus5fp4_tELi256ELi8ELi8ELb1ELb1ELb1ELb0ELb0ELb0EEEvPT0_PvPT_S7_S7_PKS6_S9_S9_S9_S9_ffiiiiiiiiiiiii,comdat
.Lfunc_end523:
	.size	_ZN5aiter35fused_qk_rmsnorm_group_quant_kernelIDF16_N4opus5fp4_tELi256ELi8ELi8ELb1ELb1ELb1ELb0ELb0ELb0EEEvPT0_PvPT_S7_S7_PKS6_S9_S9_S9_S9_ffiiiiiiiiiiiii, .Lfunc_end523-_ZN5aiter35fused_qk_rmsnorm_group_quant_kernelIDF16_N4opus5fp4_tELi256ELi8ELi8ELb1ELb1ELb1ELb0ELb0ELb0EEEvPT0_PvPT_S7_S7_PKS6_S9_S9_S9_S9_ffiiiiiiiiiiiii
                                        ; -- End function
	.section	.AMDGPU.csdata,"",@progbits
; Kernel info:
; codeLenInByte = 2892
; NumSgprs: 48
; NumVgprs: 25
; NumAgprs: 0
; TotalNumVgprs: 25
; ScratchSize: 0
; MemoryBound: 0
; FloatMode: 240
; IeeeMode: 1
; LDSByteSize: 32 bytes/workgroup (compile time only)
; SGPRBlocks: 5
; VGPRBlocks: 3
; NumSGPRsForWavesPerEU: 48
; NumVGPRsForWavesPerEU: 25
; AccumOffset: 28
; Occupancy: 8
; WaveLimiterHint : 0
; COMPUTE_PGM_RSRC2:SCRATCH_EN: 0
; COMPUTE_PGM_RSRC2:USER_SGPR: 6
; COMPUTE_PGM_RSRC2:TRAP_HANDLER: 0
; COMPUTE_PGM_RSRC2:TGID_X_EN: 1
; COMPUTE_PGM_RSRC2:TGID_Y_EN: 1
; COMPUTE_PGM_RSRC2:TGID_Z_EN: 0
; COMPUTE_PGM_RSRC2:TIDIG_COMP_CNT: 0
; COMPUTE_PGM_RSRC3_GFX90A:ACCUM_OFFSET: 6
; COMPUTE_PGM_RSRC3_GFX90A:TG_SPLIT: 0
	.section	.text._ZN5aiter35fused_qk_rmsnorm_group_quant_kernelItN4opus5fp4_tELi256ELi8ELi8ELb1ELb1ELb1ELb0ELb0ELb0EEEvPT0_PvPT_S7_S7_PKS6_S9_S9_S9_S9_ffiiiiiiiiiiiii,"axG",@progbits,_ZN5aiter35fused_qk_rmsnorm_group_quant_kernelItN4opus5fp4_tELi256ELi8ELi8ELb1ELb1ELb1ELb0ELb0ELb0EEEvPT0_PvPT_S7_S7_PKS6_S9_S9_S9_S9_ffiiiiiiiiiiiii,comdat
	.protected	_ZN5aiter35fused_qk_rmsnorm_group_quant_kernelItN4opus5fp4_tELi256ELi8ELi8ELb1ELb1ELb1ELb0ELb0ELb0EEEvPT0_PvPT_S7_S7_PKS6_S9_S9_S9_S9_ffiiiiiiiiiiiii ; -- Begin function _ZN5aiter35fused_qk_rmsnorm_group_quant_kernelItN4opus5fp4_tELi256ELi8ELi8ELb1ELb1ELb1ELb0ELb0ELb0EEEvPT0_PvPT_S7_S7_PKS6_S9_S9_S9_S9_ffiiiiiiiiiiiii
	.globl	_ZN5aiter35fused_qk_rmsnorm_group_quant_kernelItN4opus5fp4_tELi256ELi8ELi8ELb1ELb1ELb1ELb0ELb0ELb0EEEvPT0_PvPT_S7_S7_PKS6_S9_S9_S9_S9_ffiiiiiiiiiiiii
	.p2align	8
	.type	_ZN5aiter35fused_qk_rmsnorm_group_quant_kernelItN4opus5fp4_tELi256ELi8ELi8ELb1ELb1ELb1ELb0ELb0ELb0EEEvPT0_PvPT_S7_S7_PKS6_S9_S9_S9_S9_ffiiiiiiiiiiiii,@function
_ZN5aiter35fused_qk_rmsnorm_group_quant_kernelItN4opus5fp4_tELi256ELi8ELi8ELb1ELb1ELb1ELb0ELb0ELb0EEEvPT0_PvPT_S7_S7_PKS6_S9_S9_S9_S9_ffiiiiiiiiiiiii: ; @_ZN5aiter35fused_qk_rmsnorm_group_quant_kernelItN4opus5fp4_tELi256ELi8ELi8ELb1ELb1ELb1ELb0ELb0ELb0EEEvPT0_PvPT_S7_S7_PKS6_S9_S9_S9_S9_ffiiiiiiiiiiiii
; %bb.0:
	s_load_dwordx8 s[20:27], s[4:5], 0x50
	s_waitcnt lgkmcnt(0)
	s_cmp_ge_i32 s6, s22
	s_cbranch_scc1 .LBB524_17
; %bb.1:
	s_cmp_lg_u32 s7, 0
	s_cselect_b64 s[30:31], -1, 0
	s_cmp_eq_u32 s7, 0
	s_cselect_b64 s[8:9], -1, 0
	s_and_b64 s[0:1], s[8:9], exec
	s_load_dwordx2 s[28:29], s[4:5], 0x48
	s_load_dwordx2 s[10:11], s[4:5], 0x30
	s_load_dwordx8 s[12:19], s[4:5], 0x70
	s_cselect_b32 s7, s23, s24
	s_add_i32 s0, s7, 1
	s_lshr_b32 s1, s0, 31
	s_add_i32 s0, s0, s1
	s_lshl_b32 s0, s0, 1
	v_lshlrev_b32_e32 v1, 3, v0
	s_and_b32 s38, s0, -4
	v_cmp_gt_i32_e64 s[0:1], s7, v1
	v_mov_b32_e32 v10, 0
	v_mov_b32_e32 v11, 0
	;; [unrolled: 1-line block ×8, first 2 shown]
	s_and_saveexec_b64 s[2:3], s[0:1]
	s_cbranch_execz .LBB524_3
; %bb.2:
	s_waitcnt lgkmcnt(0)
	s_load_dwordx2 s[18:19], s[4:5], 0x28
	s_load_dwordx2 s[34:35], s[4:5], 0x40
	s_and_b64 s[36:37], s[8:9], exec
	s_cselect_b32 s22, s25, s26
	s_mov_b32 s39, 0x20000
	s_waitcnt lgkmcnt(0)
	s_cselect_b32 s25, s19, s11
	s_cselect_b32 s33, s18, s10
	s_mul_hi_i32 s19, s22, s6
	s_mul_i32 s18, s22, s6
	s_lshl_b64 s[18:19], s[18:19], 1
	s_add_u32 s40, s33, s18
	s_addc_u32 s22, s25, s19
	s_and_b64 s[18:19], s[8:9], exec
	s_cselect_b32 s36, s34, s28
	s_cselect_b32 s18, s35, s29
	v_lshlrev_b32_e32 v2, 4, v0
	s_and_b32 s41, s22, 0xffff
	s_mov_b32 s42, s38
	s_mov_b32 s43, s39
	s_and_b32 s37, s18, 0xffff
	buffer_load_dwordx4 v[14:17], v2, s[40:43], 0 offen glc slc
	buffer_load_dwordx4 v[10:13], v2, s[36:39], 0 offen
.LBB524_3:
	s_or_b64 exec, exec, s[2:3]
	s_and_b64 vcc, exec, s[30:31]
	s_cbranch_vccz .LBB524_7
; %bb.4:
	s_mov_b32 s40, 0
	s_mov_b32 s41, s40
	;; [unrolled: 1-line block ×8, first 2 shown]
	v_pk_mov_b32 v[2:3], s[40:41], s[40:41] op_sel:[0,1]
	v_pk_mov_b32 v[4:5], s[42:43], s[42:43] op_sel:[0,1]
	;; [unrolled: 1-line block ×4, first 2 shown]
	s_and_saveexec_b64 s[2:3], s[0:1]
	s_cbranch_execz .LBB524_6
; %bb.5:
	s_waitcnt vmcnt(1)
	v_cvt_f32_u32_sdwa v3, v14 dst_sel:DWORD dst_unused:UNUSED_PAD src0_sel:WORD_1
	v_cvt_f32_u32_sdwa v2, v14 dst_sel:DWORD dst_unused:UNUSED_PAD src0_sel:WORD_0
	v_cvt_f32_u32_sdwa v5, v15 dst_sel:DWORD dst_unused:UNUSED_PAD src0_sel:WORD_1
	v_cvt_f32_u32_sdwa v4, v15 dst_sel:DWORD dst_unused:UNUSED_PAD src0_sel:WORD_0
	;; [unrolled: 2-line block ×4, first 2 shown]
.LBB524_6:
	s_or_b64 exec, exec, s[2:3]
	s_cbranch_execz .LBB524_8
	s_branch .LBB524_11
.LBB524_7:
                                        ; implicit-def: $vgpr2_vgpr3_vgpr4_vgpr5_vgpr6_vgpr7_vgpr8_vgpr9
.LBB524_8:
	s_mov_b32 s40, 0
	s_mov_b32 s41, s40
	;; [unrolled: 1-line block ×8, first 2 shown]
	v_pk_mov_b32 v[2:3], s[40:41], s[40:41] op_sel:[0,1]
	v_pk_mov_b32 v[4:5], s[42:43], s[42:43] op_sel:[0,1]
	;; [unrolled: 1-line block ×4, first 2 shown]
	s_and_saveexec_b64 s[2:3], s[0:1]
	s_cbranch_execz .LBB524_10
; %bb.9:
	s_waitcnt lgkmcnt(0)
	s_load_dwordx2 s[18:19], s[4:5], 0x38
	s_mul_hi_i32 s35, s27, s6
	s_mul_i32 s34, s27, s6
	s_lshl_b64 s[34:35], s[34:35], 1
	s_mov_b32 s39, 0x20000
	s_waitcnt lgkmcnt(0)
	s_add_u32 s36, s18, s34
	s_addc_u32 s18, s19, s35
	s_and_b32 s37, s18, 0xffff
	v_lshlrev_b32_e32 v26, 4, v0
	buffer_load_dwordx4 v[2:5], v26, s[36:39], 0 offen glc slc
	s_load_dwordx2 s[18:19], s[4:5], 0x20
	s_waitcnt vmcnt(2)
	v_cvt_f32_u32_sdwa v7, v14 dst_sel:DWORD dst_unused:UNUSED_PAD src0_sel:WORD_1
	v_cvt_f32_u32_sdwa v6, v14 dst_sel:DWORD dst_unused:UNUSED_PAD src0_sel:WORD_0
	v_cvt_f32_u32_sdwa v9, v15 dst_sel:DWORD dst_unused:UNUSED_PAD src0_sel:WORD_1
	v_cvt_f32_u32_sdwa v8, v15 dst_sel:DWORD dst_unused:UNUSED_PAD src0_sel:WORD_0
	;; [unrolled: 2-line block ×4, first 2 shown]
	s_mul_hi_i32 s35, s17, s6
	s_mul_i32 s34, s17, s6
	s_lshl_b64 s[34:35], s[34:35], 1
	s_waitcnt lgkmcnt(0)
	s_add_u32 s36, s18, s34
	s_mov_b32 s17, 0x7060302
	s_addc_u32 s18, s19, s35
	s_and_b32 s37, s18, 0xffff
	s_waitcnt vmcnt(0)
	v_cvt_f32_u32_sdwa v17, v2 dst_sel:DWORD dst_unused:UNUSED_PAD src0_sel:WORD_1
	v_cvt_f32_u32_sdwa v16, v2 dst_sel:DWORD dst_unused:UNUSED_PAD src0_sel:WORD_0
	v_cvt_f32_u32_sdwa v21, v3 dst_sel:DWORD dst_unused:UNUSED_PAD src0_sel:WORD_1
	v_cvt_f32_u32_sdwa v20, v3 dst_sel:DWORD dst_unused:UNUSED_PAD src0_sel:WORD_0
	v_cvt_f32_u32_sdwa v23, v4 dst_sel:DWORD dst_unused:UNUSED_PAD src0_sel:WORD_1
	v_cvt_f32_u32_sdwa v22, v4 dst_sel:DWORD dst_unused:UNUSED_PAD src0_sel:WORD_0
	v_cvt_f32_u32_sdwa v25, v5 dst_sel:DWORD dst_unused:UNUSED_PAD src0_sel:WORD_1
	v_cvt_f32_u32_sdwa v24, v5 dst_sel:DWORD dst_unused:UNUSED_PAD src0_sel:WORD_0
	v_pk_add_f32 v[2:3], v[6:7], v[16:17]
	v_pk_add_f32 v[4:5], v[8:9], v[20:21]
	;; [unrolled: 1-line block ×4, first 2 shown]
	v_perm_b32 v17, v9, v8, s17
	v_perm_b32 v16, v7, v6, s17
	;; [unrolled: 1-line block ×4, first 2 shown]
	buffer_store_dwordx4 v[14:17], v26, s[36:39], 0 offen glc slc
	;;#ASMSTART
	s_nop 0
	;;#ASMEND
.LBB524_10:
	s_or_b64 exec, exec, s[2:3]
.LBB524_11:
	s_waitcnt vmcnt(1)
	v_mul_f32_e32 v14, v3, v3
	v_fmac_f32_e32 v14, v2, v2
	v_fmac_f32_e32 v14, v4, v4
	;; [unrolled: 1-line block ×7, first 2 shown]
	v_and_b32_e32 v16, 63, v0
	v_cmp_eq_u32_e64 s[2:3], 63, v16
	v_mov_b32_dpp v15, v14 quad_perm:[1,0,3,2] row_mask:0xf bank_mask:0xf
	v_add_f32_e32 v14, v14, v15
	s_nop 1
	v_mov_b32_dpp v15, v14 quad_perm:[2,3,0,1] row_mask:0xf bank_mask:0xf
	v_add_f32_e32 v14, v14, v15
	s_nop 1
	v_mov_b32_dpp v15, v14 row_half_mirror row_mask:0xf bank_mask:0xf
	v_add_f32_e32 v14, v14, v15
	s_nop 1
	v_mov_b32_dpp v15, v14 row_mirror row_mask:0xf bank_mask:0xf
	v_add_f32_e32 v14, v14, v15
	s_nop 1
	v_mov_b32_dpp v15, v14 row_bcast:15 row_mask:0xf bank_mask:0xf
	v_add_f32_e32 v14, v14, v15
	s_nop 1
	v_mov_b32_dpp v15, v14 row_bcast:31 row_mask:0xf bank_mask:0xf
	s_waitcnt lgkmcnt(0)
	s_and_saveexec_b64 s[18:19], s[2:3]
	s_cbranch_execz .LBB524_13
; %bb.12:
	v_add_f32_e32 v14, v14, v15
	v_lshrrev_b32_e32 v15, 4, v0
	v_and_b32_e32 v15, 60, v15
	ds_write_b32 v15, v14 offset:16
.LBB524_13:
	s_or_b64 exec, exec, s[18:19]
	v_and_b32_e32 v14, 3, v0
	v_lshlrev_b32_e32 v14, 2, v14
	s_waitcnt lgkmcnt(0)
	s_barrier
	ds_read_b32 v15, v14 offset:16
	s_load_dwordx2 s[18:19], s[4:5], 0x18
	s_waitcnt lgkmcnt(0)
	v_mov_b32_dpp v16, v15 quad_perm:[1,0,3,2] row_mask:0xf bank_mask:0xf
	v_add_f32_e32 v15, v15, v16
	s_nop 1
	v_mov_b32_dpp v16, v15 quad_perm:[2,3,0,1] row_mask:0xf bank_mask:0xf
	s_and_saveexec_b64 s[34:35], s[0:1]
	s_cbranch_execnz .LBB524_18
; %bb.14:
	s_or_b64 exec, exec, s[34:35]
	s_mov_b64 s[8:9], -1
	s_and_b64 vcc, exec, s[30:31]
	s_cbranch_vccnz .LBB524_19
.LBB524_15:
	s_andn2_b64 vcc, exec, s[8:9]
	s_cbranch_vccz .LBB524_22
.LBB524_16:
	s_cmp_lt_i32 s24, 1
	s_cbranch_scc0 .LBB524_31
.LBB524_17:
	s_endpgm
.LBB524_18:
	v_cvt_f32_u32_e32 v17, s7
	v_add_f32_e32 v15, v15, v16
	v_mov_b32_e32 v19, s21
	v_mov_b32_e32 v20, s20
	v_div_scale_f32 v16, s[36:37], v17, v17, v15
	v_rcp_f32_e32 v18, v16
	v_cndmask_b32_e64 v19, v19, v20, s[8:9]
	s_mov_b32 s7, 0x800000
	v_fma_f32 v20, -v16, v18, 1.0
	v_fmac_f32_e32 v18, v20, v18
	v_div_scale_f32 v20, vcc, v15, v17, v15
	v_mul_f32_e32 v21, v20, v18
	v_fma_f32 v22, -v16, v21, v20
	v_fmac_f32_e32 v21, v22, v18
	v_fma_f32 v16, -v16, v21, v20
	v_div_fmas_f32 v16, v16, v18, v21
	v_div_fixup_f32 v15, v16, v17, v15
	v_add_f32_e32 v15, v19, v15
	v_mul_f32_e32 v16, 0x4b800000, v15
	v_cmp_gt_f32_e32 vcc, s7, v15
	v_cndmask_b32_e32 v15, v15, v16, vcc
	v_rsq_f32_e32 v15, v15
	s_waitcnt vmcnt(0)
	v_cvt_f32_u32_sdwa v19, v10 dst_sel:DWORD dst_unused:UNUSED_PAD src0_sel:WORD_1
	v_cvt_f32_u32_sdwa v18, v10 dst_sel:DWORD dst_unused:UNUSED_PAD src0_sel:WORD_0
	v_cvt_f32_u32_sdwa v21, v11 dst_sel:DWORD dst_unused:UNUSED_PAD src0_sel:WORD_1
	v_mul_f32_e32 v16, 0x45800000, v15
	v_cndmask_b32_e32 v16, v15, v16, vcc
	v_mov_b32_e32 v17, v16
	v_cvt_f32_u32_sdwa v20, v11 dst_sel:DWORD dst_unused:UNUSED_PAD src0_sel:WORD_0
	;;#ASMSTART
	v_pk_mul_f32 v[2:3], v[2:3], v[16:17]
	;;#ASMEND
	;;#ASMSTART
	v_pk_mul_f32 v[4:5], v[4:5], v[16:17]
	;;#ASMEND
	;; [unrolled: 3-line block ×4, first 2 shown]
	v_cvt_f32_u32_sdwa v17, v12 dst_sel:DWORD dst_unused:UNUSED_PAD src0_sel:WORD_1
	v_cvt_f32_u32_sdwa v16, v12 dst_sel:DWORD dst_unused:UNUSED_PAD src0_sel:WORD_0
	v_pk_add_f32 v[10:11], v[18:19], 1.0 op_sel_hi:[1,0]
	v_cvt_f32_u32_sdwa v19, v13 dst_sel:DWORD dst_unused:UNUSED_PAD src0_sel:WORD_1
	v_cvt_f32_u32_sdwa v18, v13 dst_sel:DWORD dst_unused:UNUSED_PAD src0_sel:WORD_0
	;;#ASMSTART
	v_pk_mul_f32 v[2:3], v[2:3], v[10:11]
	;;#ASMEND
	v_pk_add_f32 v[10:11], v[20:21], 1.0 op_sel_hi:[1,0]
	;;#ASMSTART
	v_pk_mul_f32 v[4:5], v[4:5], v[10:11]
	;;#ASMEND
	v_pk_add_f32 v[10:11], v[16:17], 1.0 op_sel_hi:[1,0]
	;; [unrolled: 4-line block ×3, first 2 shown]
	;;#ASMSTART
	v_pk_mul_f32 v[8:9], v[8:9], v[10:11]
	;;#ASMEND
	s_or_b64 exec, exec, s[34:35]
	s_mov_b64 s[8:9], -1
	s_and_b64 vcc, exec, s[30:31]
	s_cbranch_vccz .LBB524_15
.LBB524_19:
	s_and_saveexec_b64 s[8:9], s[0:1]
	s_cbranch_execz .LBB524_21
; %bb.20:
	s_mul_hi_i32 s31, s16, s6
	s_mul_i32 s30, s16, s6
	s_lshl_b64 s[30:31], s[30:31], 1
	s_add_u32 s36, s18, s30
	s_addc_u32 s7, s19, s31
	s_and_b32 s37, s7, 0xffff
	s_mov_b32 s7, 0x7060302
	s_mov_b32 s39, 0x20000
	s_waitcnt vmcnt(0)
	v_perm_b32 v10, v3, v2, s7
	v_perm_b32 v11, v5, v4, s7
	;; [unrolled: 1-line block ×4, first 2 shown]
	v_lshlrev_b32_e32 v15, 4, v0
	buffer_store_dwordx4 v[10:13], v15, s[36:39], 0 offen
	;;#ASMSTART
	s_nop 0
	;;#ASMEND
.LBB524_21:
	s_or_b64 exec, exec, s[8:9]
	s_cbranch_execnz .LBB524_16
.LBB524_22:
	s_waitcnt vmcnt(0)
	v_mov_b32_e32 v10, 0
	s_and_saveexec_b64 s[8:9], s[0:1]
	s_cbranch_execz .LBB524_24
; %bb.23:
	s_load_dwordx2 s[30:31], s[4:5], 0x10
	s_mul_hi_i32 s35, s15, s6
	s_mul_i32 s34, s15, s6
	s_lshl_b64 s[34:35], s[34:35], 1
	s_mov_b32 s39, 0x20000
	s_waitcnt lgkmcnt(0)
	s_add_u32 s36, s30, s34
	s_addc_u32 s7, s31, s35
	s_and_b32 s37, s7, 0xffff
	s_mov_b32 s7, 0x7060302
	v_perm_b32 v10, v3, v2, s7
	v_perm_b32 v11, v5, v4, s7
	;; [unrolled: 1-line block ×4, first 2 shown]
	v_lshlrev_b32_e32 v15, 4, v0
	buffer_store_dwordx4 v[10:13], v15, s[36:39], 0 offen
	;;#ASMSTART
	s_nop 0
	;;#ASMEND
	s_nop 0
	v_mov_b32_e32 v10, 0x2edbe6ff
.LBB524_24:
	s_or_b64 exec, exec, s[8:9]
	s_and_saveexec_b64 s[8:9], s[0:1]
	s_cbranch_execz .LBB524_26
; %bb.25:
	v_and_b32_e32 v2, 0x7fffffff, v2
	v_and_b32_e32 v3, 0x7fffffff, v3
	;;#ASMSTART
	v_max3_f32 v2, v10, v2, v3

	;;#ASMEND
	v_and_b32_e32 v3, 0x7fffffff, v4
	v_and_b32_e32 v4, 0x7fffffff, v5
	;;#ASMSTART
	v_max3_f32 v2, v2, v3, v4

	;;#ASMEND
	;; [unrolled: 6-line block ×4, first 2 shown]
.LBB524_26:
	s_or_b64 exec, exec, s[8:9]
	;;#ASMSTART
	v_max_f32 v2, v10, v10 quad_perm:[1,0,3,2] row_mask:0xf bank_mask:0xf bound_ctrl:1
	;;#ASMEND
	;;#ASMSTART
	v_max_f32 v3, v2, v2 quad_perm:[2,3,0,1] row_mask:0xf bank_mask:0xf bound_ctrl:1
	;;#ASMEND
	;;#ASMSTART
	v_max_f32 v2, v3, v3 row_half_mirror row_mask:0xf bank_mask:0xf bound_ctrl:1
	;;#ASMEND
	v_and_b32_e32 v3, 7, v0
	v_cmp_eq_u32_e32 vcc, 0, v3
	v_cmp_gt_i32_e64 s[8:9], s23, v1
	s_and_b64 s[30:31], vcc, s[8:9]
	s_and_saveexec_b64 s[8:9], s[30:31]
	s_cbranch_execz .LBB524_28
; %bb.27:
	s_load_dwordx2 s[30:31], s[4:5], 0x8
	v_mul_f32_e32 v2, 0x3e2aaaab, v2
	v_lshrrev_b32_e32 v3, 23, v2
	v_and_b32_e32 v4, 0x7f800000, v2
	v_and_b32_e32 v2, 0x7fffff, v2
	v_cmp_ne_u32_e32 vcc, 0, v2
	s_mul_hi_i32 s15, s13, s6
	s_mul_i32 s13, s13, s6
	s_mov_b32 s7, 0x7f800000
	v_addc_co_u32_e32 v2, vcc, 0, v3, vcc
	s_waitcnt lgkmcnt(0)
	s_add_u32 s30, s30, s13
	v_cmp_ne_u32_e32 vcc, s7, v4
	s_addc_u32 s31, s31, s15
	v_lshrrev_b32_e32 v5, 3, v0
	v_cndmask_b32_e32 v4, -1, v2, vcc
	v_pk_mov_b32 v[2:3], s[30:31], s[30:31] op_sel:[0,1]
	v_mad_i64_i32 v[2:3], s[14:15], s14, v5, v[2:3]
	global_store_byte v[2:3], v4, off
.LBB524_28:
	s_or_b64 exec, exec, s[8:9]
	s_and_saveexec_b64 s[8:9], s[0:1]
	s_cbranch_execz .LBB524_30
; %bb.29:
	s_load_dwordx2 s[0:1], s[4:5], 0x0
	s_mul_hi_i32 s7, s12, s6
	s_mul_i32 s12, s12, s6
	v_lshlrev_b32_e32 v2, 2, v0
	s_mov_b32 s15, 0x20000
	s_waitcnt lgkmcnt(0)
	s_add_u32 s12, s0, s12
	s_addc_u32 s0, s1, s7
	s_lshr_b32 s1, s23, 31
	s_add_i32 s1, s23, s1
	s_ashr_i32 s1, s1, 1
	s_add_i32 s1, s1, 3
	s_ashr_i32 s7, s1, 31
	s_lshr_b32 s7, s7, 30
	s_add_i32 s1, s1, s7
	s_and_b32 s14, s1, -4
	s_and_b32 s13, s0, 0xffff
	v_mov_b32_e32 v3, 0
	buffer_store_dword v3, v2, s[12:15], 0 offen
	;;#ASMSTART
	s_nop 0
	;;#ASMEND
.LBB524_30:
	s_or_b64 exec, exec, s[8:9]
	s_cmp_lt_i32 s24, 1
	s_cbranch_scc1 .LBB524_17
.LBB524_31:
	s_load_dword s0, s[4:5], 0x94
	s_waitcnt lgkmcnt(0)
	s_cmp_lg_u32 s0, 1
	s_cbranch_scc1 .LBB524_17
; %bb.32:
	s_lshl_b32 s0, s24, 1
	s_add_i32 s0, s0, 2
	v_cmp_gt_u32_e32 vcc, s24, v1
	s_and_b32 s30, s0, -4
	v_mov_b32_e32 v6, 0
	v_lshlrev_b32_e32 v1, 4, v0
	v_mov_b32_e32 v7, 0
	v_mov_b32_e32 v8, 0
	;; [unrolled: 1-line block ×7, first 2 shown]
	s_barrier
	s_and_saveexec_b64 s[0:1], vcc
	s_cbranch_execz .LBB524_34
; %bb.33:
	s_mul_hi_i32 s5, s26, s6
	s_mul_i32 s4, s26, s6
	s_and_b32 s29, s29, 0xffff
	s_lshl_b64 s[4:5], s[4:5], 1
	s_add_u32 s8, s10, s4
	s_mov_b32 s31, 0x20000
	s_addc_u32 s4, s11, s5
	s_and_b32 s9, s4, 0xffff
	s_mov_b32 s10, s30
	s_mov_b32 s11, s31
	buffer_load_dwordx4 v[6:9], v1, s[8:11], 0 offen glc slc
	buffer_load_dwordx4 v[2:5], v1, s[28:31], 0 offen
.LBB524_34:
	s_or_b64 exec, exec, s[0:1]
	s_waitcnt vmcnt(0)
	v_cvt_f32_u32_sdwa v13, v6 dst_sel:DWORD dst_unused:UNUSED_PAD src0_sel:WORD_1
	v_cvt_f32_u32_sdwa v12, v6 dst_sel:DWORD dst_unused:UNUSED_PAD src0_sel:WORD_0
	v_cvt_f32_u32_sdwa v6, v9 dst_sel:DWORD dst_unused:UNUSED_PAD src0_sel:WORD_1
	v_cvt_f32_u32_sdwa v9, v9 dst_sel:DWORD dst_unused:UNUSED_PAD src0_sel:WORD_0
	;; [unrolled: 2-line block ×4, first 2 shown]
	v_cndmask_b32_e32 v13, 0, v13, vcc
	v_cndmask_b32_e32 v7, 0, v6, vcc
	;; [unrolled: 1-line block ×5, first 2 shown]
	v_mul_f32_e32 v15, v13, v13
	v_cndmask_b32_e32 v10, 0, v10, vcc
	v_fmac_f32_e32 v15, v12, v12
	v_cndmask_b32_e32 v11, 0, v11, vcc
	v_fmac_f32_e32 v15, v10, v10
	v_cndmask_b32_e32 v8, 0, v8, vcc
	v_fmac_f32_e32 v15, v11, v11
	v_fmac_f32_e32 v15, v8, v8
	v_fmac_f32_e32 v15, v9, v9
	;; [unrolled: 1-line block ×4, first 2 shown]
	s_nop 1
	v_mov_b32_dpp v16, v15 quad_perm:[1,0,3,2] row_mask:0xf bank_mask:0xf
	v_add_f32_e32 v15, v15, v16
	s_nop 1
	v_mov_b32_dpp v16, v15 quad_perm:[2,3,0,1] row_mask:0xf bank_mask:0xf
	v_add_f32_e32 v15, v15, v16
	s_nop 1
	v_mov_b32_dpp v16, v15 row_half_mirror row_mask:0xf bank_mask:0xf
	v_add_f32_e32 v15, v15, v16
	s_nop 1
	v_mov_b32_dpp v16, v15 row_mirror row_mask:0xf bank_mask:0xf
	v_add_f32_e32 v15, v15, v16
	s_nop 1
	v_mov_b32_dpp v16, v15 row_bcast:15 row_mask:0xf bank_mask:0xf
	v_add_f32_e32 v15, v15, v16
	s_nop 1
	v_mov_b32_dpp v16, v15 row_bcast:31 row_mask:0xf bank_mask:0xf
	s_and_saveexec_b64 s[0:1], s[2:3]
	s_cbranch_execz .LBB524_36
; %bb.35:
	v_lshrrev_b32_e32 v0, 4, v0
	v_add_f32_e32 v15, v15, v16
	v_and_b32_e32 v0, 60, v0
	ds_write_b32 v0, v15
.LBB524_36:
	s_or_b64 exec, exec, s[0:1]
	s_waitcnt lgkmcnt(0)
	s_barrier
	ds_read_b32 v0, v14
	s_waitcnt lgkmcnt(0)
	s_nop 0
	v_mov_b32_dpp v14, v0 quad_perm:[1,0,3,2] row_mask:0xf bank_mask:0xf
	v_add_f32_e32 v0, v0, v14
	s_nop 1
	v_mov_b32_dpp v14, v0 quad_perm:[2,3,0,1] row_mask:0xf bank_mask:0xf
	s_and_saveexec_b64 s[0:1], vcc
	s_cbranch_execz .LBB524_17
; %bb.37:
	v_cvt_f32_u32_e32 v15, s24
	v_add_f32_e32 v0, v0, v14
	s_mov_b32 s31, 0x20000
	v_div_scale_f32 v14, s[0:1], v15, v15, v0
	v_rcp_f32_e32 v16, v14
	v_div_scale_f32 v17, vcc, v0, v15, v0
	s_mov_b32 s0, 0x800000
	v_fma_f32 v18, -v14, v16, 1.0
	v_fmac_f32_e32 v16, v18, v16
	v_mul_f32_e32 v18, v17, v16
	v_fma_f32 v19, -v14, v18, v17
	v_fmac_f32_e32 v18, v19, v16
	v_fma_f32 v14, -v14, v18, v17
	v_div_fmas_f32 v14, v14, v16, v18
	v_div_fixup_f32 v0, v14, v15, v0
	v_add_f32_e32 v0, s21, v0
	v_mul_f32_e32 v14, 0x4b800000, v0
	v_cmp_gt_f32_e32 vcc, s0, v0
	v_cndmask_b32_e32 v0, v0, v14, vcc
	v_rsq_f32_e32 v0, v0
	v_cvt_f32_u32_sdwa v17, v2 dst_sel:DWORD dst_unused:UNUSED_PAD src0_sel:WORD_1
	v_cvt_f32_u32_sdwa v16, v2 dst_sel:DWORD dst_unused:UNUSED_PAD src0_sel:WORD_0
	v_cvt_f32_u32_sdwa v19, v3 dst_sel:DWORD dst_unused:UNUSED_PAD src0_sel:WORD_1
	v_mul_f32_e32 v14, 0x45800000, v0
	v_cndmask_b32_e32 v14, v0, v14, vcc
	v_mov_b32_e32 v15, v14
	;;#ASMSTART
	v_pk_mul_f32 v[12:13], v[12:13], v[14:15]
	;;#ASMEND
	;;#ASMSTART
	v_pk_mul_f32 v[10:11], v[10:11], v[14:15]
	;;#ASMEND
	;; [unrolled: 3-line block ×3, first 2 shown]
	v_cvt_f32_u32_sdwa v18, v3 dst_sel:DWORD dst_unused:UNUSED_PAD src0_sel:WORD_0
	;;#ASMSTART
	v_pk_mul_f32 v[2:3], v[6:7], v[14:15]
	;;#ASMEND
	v_cvt_f32_u32_sdwa v15, v4 dst_sel:DWORD dst_unused:UNUSED_PAD src0_sel:WORD_1
	v_cvt_f32_u32_sdwa v14, v4 dst_sel:DWORD dst_unused:UNUSED_PAD src0_sel:WORD_0
	v_pk_add_f32 v[6:7], v[16:17], 1.0 op_sel_hi:[1,0]
	v_cvt_f32_u32_sdwa v17, v5 dst_sel:DWORD dst_unused:UNUSED_PAD src0_sel:WORD_1
	v_cvt_f32_u32_sdwa v16, v5 dst_sel:DWORD dst_unused:UNUSED_PAD src0_sel:WORD_0
	s_mul_hi_i32 s1, s16, s6
	s_mul_i32 s0, s16, s6
	s_lshl_b64 s[0:1], s[0:1], 1
	s_add_u32 s28, s18, s0
	;;#ASMSTART
	v_pk_mul_f32 v[6:7], v[12:13], v[6:7]
	;;#ASMEND
	v_pk_add_f32 v[12:13], v[18:19], 1.0 op_sel_hi:[1,0]
	;;#ASMSTART
	v_pk_mul_f32 v[4:5], v[10:11], v[12:13]
	;;#ASMEND
	v_pk_add_f32 v[10:11], v[14:15], 1.0 op_sel_hi:[1,0]
	s_addc_u32 s0, s19, s1
	;;#ASMSTART
	v_pk_mul_f32 v[8:9], v[8:9], v[10:11]
	;;#ASMEND
	v_pk_add_f32 v[10:11], v[16:17], 1.0 op_sel_hi:[1,0]
	s_and_b32 s29, s0, 0xffff
	s_mov_b32 s0, 0x7060302
	;;#ASMSTART
	v_pk_mul_f32 v[10:11], v[2:3], v[10:11]
	;;#ASMEND
	v_perm_b32 v2, v7, v6, s0
	v_perm_b32 v3, v5, v4, s0
	;; [unrolled: 1-line block ×4, first 2 shown]
	buffer_store_dwordx4 v[2:5], v1, s[28:31], 0 offen
	;;#ASMSTART
	s_nop 0
	;;#ASMEND
	s_endpgm
	.section	.rodata,"a",@progbits
	.p2align	6, 0x0
	.amdhsa_kernel _ZN5aiter35fused_qk_rmsnorm_group_quant_kernelItN4opus5fp4_tELi256ELi8ELi8ELb1ELb1ELb1ELb0ELb0ELb0EEEvPT0_PvPT_S7_S7_PKS6_S9_S9_S9_S9_ffiiiiiiiiiiiii
		.amdhsa_group_segment_fixed_size 32
		.amdhsa_private_segment_fixed_size 0
		.amdhsa_kernarg_size 400
		.amdhsa_user_sgpr_count 6
		.amdhsa_user_sgpr_private_segment_buffer 1
		.amdhsa_user_sgpr_dispatch_ptr 0
		.amdhsa_user_sgpr_queue_ptr 0
		.amdhsa_user_sgpr_kernarg_segment_ptr 1
		.amdhsa_user_sgpr_dispatch_id 0
		.amdhsa_user_sgpr_flat_scratch_init 0
		.amdhsa_user_sgpr_kernarg_preload_length 0
		.amdhsa_user_sgpr_kernarg_preload_offset 0
		.amdhsa_user_sgpr_private_segment_size 0
		.amdhsa_uses_dynamic_stack 0
		.amdhsa_system_sgpr_private_segment_wavefront_offset 0
		.amdhsa_system_sgpr_workgroup_id_x 1
		.amdhsa_system_sgpr_workgroup_id_y 1
		.amdhsa_system_sgpr_workgroup_id_z 0
		.amdhsa_system_sgpr_workgroup_info 0
		.amdhsa_system_vgpr_workitem_id 0
		.amdhsa_next_free_vgpr 27
		.amdhsa_next_free_sgpr 48
		.amdhsa_accum_offset 28
		.amdhsa_reserve_vcc 1
		.amdhsa_reserve_flat_scratch 0
		.amdhsa_float_round_mode_32 0
		.amdhsa_float_round_mode_16_64 0
		.amdhsa_float_denorm_mode_32 3
		.amdhsa_float_denorm_mode_16_64 3
		.amdhsa_dx10_clamp 1
		.amdhsa_ieee_mode 1
		.amdhsa_fp16_overflow 0
		.amdhsa_tg_split 0
		.amdhsa_exception_fp_ieee_invalid_op 0
		.amdhsa_exception_fp_denorm_src 0
		.amdhsa_exception_fp_ieee_div_zero 0
		.amdhsa_exception_fp_ieee_overflow 0
		.amdhsa_exception_fp_ieee_underflow 0
		.amdhsa_exception_fp_ieee_inexact 0
		.amdhsa_exception_int_div_zero 0
	.end_amdhsa_kernel
	.section	.text._ZN5aiter35fused_qk_rmsnorm_group_quant_kernelItN4opus5fp4_tELi256ELi8ELi8ELb1ELb1ELb1ELb0ELb0ELb0EEEvPT0_PvPT_S7_S7_PKS6_S9_S9_S9_S9_ffiiiiiiiiiiiii,"axG",@progbits,_ZN5aiter35fused_qk_rmsnorm_group_quant_kernelItN4opus5fp4_tELi256ELi8ELi8ELb1ELb1ELb1ELb0ELb0ELb0EEEvPT0_PvPT_S7_S7_PKS6_S9_S9_S9_S9_ffiiiiiiiiiiiii,comdat
.Lfunc_end524:
	.size	_ZN5aiter35fused_qk_rmsnorm_group_quant_kernelItN4opus5fp4_tELi256ELi8ELi8ELb1ELb1ELb1ELb0ELb0ELb0EEEvPT0_PvPT_S7_S7_PKS6_S9_S9_S9_S9_ffiiiiiiiiiiiii, .Lfunc_end524-_ZN5aiter35fused_qk_rmsnorm_group_quant_kernelItN4opus5fp4_tELi256ELi8ELi8ELb1ELb1ELb1ELb0ELb0ELb0EEEvPT0_PvPT_S7_S7_PKS6_S9_S9_S9_S9_ffiiiiiiiiiiiii
                                        ; -- End function
	.section	.AMDGPU.csdata,"",@progbits
; Kernel info:
; codeLenInByte = 2932
; NumSgprs: 52
; NumVgprs: 27
; NumAgprs: 0
; TotalNumVgprs: 27
; ScratchSize: 0
; MemoryBound: 0
; FloatMode: 240
; IeeeMode: 1
; LDSByteSize: 32 bytes/workgroup (compile time only)
; SGPRBlocks: 6
; VGPRBlocks: 3
; NumSGPRsForWavesPerEU: 52
; NumVGPRsForWavesPerEU: 27
; AccumOffset: 28
; Occupancy: 8
; WaveLimiterHint : 0
; COMPUTE_PGM_RSRC2:SCRATCH_EN: 0
; COMPUTE_PGM_RSRC2:USER_SGPR: 6
; COMPUTE_PGM_RSRC2:TRAP_HANDLER: 0
; COMPUTE_PGM_RSRC2:TGID_X_EN: 1
; COMPUTE_PGM_RSRC2:TGID_Y_EN: 1
; COMPUTE_PGM_RSRC2:TGID_Z_EN: 0
; COMPUTE_PGM_RSRC2:TIDIG_COMP_CNT: 0
; COMPUTE_PGM_RSRC3_GFX90A:ACCUM_OFFSET: 6
; COMPUTE_PGM_RSRC3_GFX90A:TG_SPLIT: 0
	.section	.text._ZN5aiter35fused_qk_rmsnorm_group_quant_kernelIDF16_DB8_Li256ELi8ELi8ELb1ELb1ELb0ELb0ELb0ELb0EEEvPT0_PvPT_S6_S6_PKS5_S8_S8_S8_S8_ffiiiiiiiiiiiii,"axG",@progbits,_ZN5aiter35fused_qk_rmsnorm_group_quant_kernelIDF16_DB8_Li256ELi8ELi8ELb1ELb1ELb0ELb0ELb0ELb0EEEvPT0_PvPT_S6_S6_PKS5_S8_S8_S8_S8_ffiiiiiiiiiiiii,comdat
	.protected	_ZN5aiter35fused_qk_rmsnorm_group_quant_kernelIDF16_DB8_Li256ELi8ELi8ELb1ELb1ELb0ELb0ELb0ELb0EEEvPT0_PvPT_S6_S6_PKS5_S8_S8_S8_S8_ffiiiiiiiiiiiii ; -- Begin function _ZN5aiter35fused_qk_rmsnorm_group_quant_kernelIDF16_DB8_Li256ELi8ELi8ELb1ELb1ELb0ELb0ELb0ELb0EEEvPT0_PvPT_S6_S6_PKS5_S8_S8_S8_S8_ffiiiiiiiiiiiii
	.globl	_ZN5aiter35fused_qk_rmsnorm_group_quant_kernelIDF16_DB8_Li256ELi8ELi8ELb1ELb1ELb0ELb0ELb0ELb0EEEvPT0_PvPT_S6_S6_PKS5_S8_S8_S8_S8_ffiiiiiiiiiiiii
	.p2align	8
	.type	_ZN5aiter35fused_qk_rmsnorm_group_quant_kernelIDF16_DB8_Li256ELi8ELi8ELb1ELb1ELb0ELb0ELb0ELb0EEEvPT0_PvPT_S6_S6_PKS5_S8_S8_S8_S8_ffiiiiiiiiiiiii,@function
_ZN5aiter35fused_qk_rmsnorm_group_quant_kernelIDF16_DB8_Li256ELi8ELi8ELb1ELb1ELb0ELb0ELb0ELb0EEEvPT0_PvPT_S6_S6_PKS5_S8_S8_S8_S8_ffiiiiiiiiiiiii: ; @_ZN5aiter35fused_qk_rmsnorm_group_quant_kernelIDF16_DB8_Li256ELi8ELi8ELb1ELb1ELb0ELb0ELb0ELb0EEEvPT0_PvPT_S6_S6_PKS5_S8_S8_S8_S8_ffiiiiiiiiiiiii
; %bb.0:
	s_load_dwordx8 s[20:27], s[4:5], 0x50
	s_waitcnt lgkmcnt(0)
	s_cmp_ge_i32 s6, s22
	s_cbranch_scc1 .LBB525_17
; %bb.1:
	s_cmp_lg_u32 s7, 0
	s_cselect_b64 s[10:11], -1, 0
	s_cmp_eq_u32 s7, 0
	s_cselect_b64 s[8:9], -1, 0
	s_and_b64 s[0:1], s[8:9], exec
	s_load_dwordx2 s[28:29], s[4:5], 0x48
	s_load_dwordx2 s[34:35], s[4:5], 0x30
	s_load_dwordx8 s[12:19], s[4:5], 0x70
	s_cselect_b32 s7, s23, s24
	s_add_i32 s0, s7, 1
	s_lshr_b32 s1, s0, 31
	s_add_i32 s0, s0, s1
	s_lshl_b32 s0, s0, 1
	v_lshlrev_b32_e32 v1, 3, v0
	s_and_b32 s38, s0, -4
	v_cmp_gt_i32_e64 s[0:1], s7, v1
	v_mov_b32_e32 v24, 0
	v_mov_b32_e32 v25, 0
	;; [unrolled: 1-line block ×8, first 2 shown]
	s_and_saveexec_b64 s[2:3], s[0:1]
	s_cbranch_execz .LBB525_3
; %bb.2:
	s_waitcnt lgkmcnt(0)
	s_load_dwordx2 s[18:19], s[4:5], 0x28
	s_load_dwordx2 s[30:31], s[4:5], 0x40
	s_and_b64 s[36:37], s[8:9], exec
	s_cselect_b32 s22, s25, s26
	s_mov_b32 s39, 0x20000
	s_waitcnt lgkmcnt(0)
	s_cselect_b32 s25, s19, s35
	s_cselect_b32 s33, s18, s34
	s_mul_hi_i32 s19, s22, s6
	s_mul_i32 s18, s22, s6
	s_lshl_b64 s[18:19], s[18:19], 1
	s_add_u32 s40, s33, s18
	s_addc_u32 s22, s25, s19
	s_and_b64 s[18:19], s[8:9], exec
	s_cselect_b32 s36, s30, s28
	s_cselect_b32 s18, s31, s29
	v_lshlrev_b32_e32 v2, 4, v0
	s_and_b32 s41, s22, 0xffff
	s_mov_b32 s42, s38
	s_mov_b32 s43, s39
	s_and_b32 s37, s18, 0xffff
	buffer_load_dwordx4 v[28:31], v2, s[40:43], 0 offen glc slc
	buffer_load_dwordx4 v[24:27], v2, s[36:39], 0 offen
.LBB525_3:
	s_or_b64 exec, exec, s[2:3]
	s_and_b64 vcc, exec, s[10:11]
	s_cbranch_vccz .LBB525_7
; %bb.4:
	v_mov_b32_e32 v33, 0
	v_mov_b32_e32 v32, 0
	;; [unrolled: 1-line block ×8, first 2 shown]
	s_and_saveexec_b64 s[2:3], s[0:1]
	s_cbranch_execz .LBB525_6
; %bb.5:
	s_waitcnt vmcnt(1)
	v_cvt_f32_f16_sdwa v17, v28 dst_sel:DWORD dst_unused:UNUSED_PAD src0_sel:WORD_1
	v_cvt_f32_f16_e32 v16, v28
	v_cvt_f32_f16_sdwa v11, v29 dst_sel:DWORD dst_unused:UNUSED_PAD src0_sel:WORD_1
	v_cvt_f32_f16_e32 v10, v29
	;; [unrolled: 2-line block ×4, first 2 shown]
.LBB525_6:
	s_or_b64 exec, exec, s[2:3]
	s_cbranch_execz .LBB525_8
	s_branch .LBB525_11
.LBB525_7:
                                        ; implicit-def: $vgpr8_vgpr9_vgpr10_vgpr11_vgpr12_vgpr13_vgpr14_vgpr15
                                        ; implicit-def: $vgpr33
                                        ; implicit-def: $vgpr16_vgpr17_vgpr18_vgpr19_vgpr20_vgpr21_vgpr22_vgpr23
                                        ; implicit-def: $vgpr2_vgpr3_vgpr4_vgpr5_vgpr6_vgpr7_vgpr8_vgpr9
.LBB525_8:
	v_mov_b32_e32 v33, 0
	v_mov_b32_e32 v32, 0
	;; [unrolled: 1-line block ×8, first 2 shown]
	s_and_saveexec_b64 s[2:3], s[0:1]
	s_cbranch_execz .LBB525_10
; %bb.9:
	s_waitcnt lgkmcnt(0)
	s_load_dwordx2 s[18:19], s[4:5], 0x38
	s_mul_hi_i32 s31, s27, s6
	s_mul_i32 s30, s27, s6
	s_lshl_b64 s[30:31], s[30:31], 1
	s_mov_b32 s39, 0x20000
	s_waitcnt lgkmcnt(0)
	s_add_u32 s36, s18, s30
	s_addc_u32 s18, s19, s31
	s_and_b32 s37, s18, 0xffff
	v_lshlrev_b32_e32 v20, 4, v0
	buffer_load_dwordx4 v[2:5], v20, s[36:39], 0 offen glc slc
	s_waitcnt vmcnt(2)
	v_cvt_f32_f16_sdwa v7, v28 dst_sel:DWORD dst_unused:UNUSED_PAD src0_sel:WORD_1
	v_cvt_f32_f16_e32 v6, v28
	v_cvt_f32_f16_sdwa v9, v29 dst_sel:DWORD dst_unused:UNUSED_PAD src0_sel:WORD_1
	v_cvt_f32_f16_e32 v8, v29
	;; [unrolled: 2-line block ×4, first 2 shown]
	s_load_dwordx2 s[18:19], s[4:5], 0x20
	s_mul_hi_i32 s31, s17, s6
	s_mul_i32 s30, s17, s6
	s_lshl_b64 s[30:31], s[30:31], 1
	s_waitcnt lgkmcnt(0)
	s_add_u32 s36, s18, s30
	s_addc_u32 s17, s19, s31
	s_and_b32 s37, s17, 0xffff
	s_waitcnt vmcnt(0)
	v_cvt_f32_f16_e32 v10, v2
	v_cvt_f32_f16_sdwa v11, v2 dst_sel:DWORD dst_unused:UNUSED_PAD src0_sel:WORD_1
	v_cvt_f32_f16_e32 v2, v3
	v_cvt_f32_f16_sdwa v3, v3 dst_sel:DWORD dst_unused:UNUSED_PAD src0_sel:WORD_1
	;; [unrolled: 2-line block ×4, first 2 shown]
	v_pk_add_f32 v[16:17], v[6:7], v[10:11]
	v_pk_add_f32 v[10:11], v[8:9], v[2:3]
	;; [unrolled: 1-line block ×4, first 2 shown]
	v_cvt_f16_f32_e32 v2, v17
	v_cvt_f16_f32_e32 v3, v11
	;; [unrolled: 1-line block ×8, first 2 shown]
	v_pack_b32_f16 v5, v8, v5
	v_pack_b32_f16 v4, v9, v4
	;; [unrolled: 1-line block ×4, first 2 shown]
	buffer_store_dwordx4 v[2:5], v20, s[36:39], 0 offen glc slc
	;;#ASMSTART
	s_nop 0
	;;#ASMEND
.LBB525_10:
	s_or_b64 exec, exec, s[2:3]
.LBB525_11:
	v_mul_f32_e32 v2, v17, v17
	v_fmac_f32_e32 v2, v16, v16
	v_fmac_f32_e32 v2, v10, v10
	;; [unrolled: 1-line block ×7, first 2 shown]
	v_and_b32_e32 v4, 63, v0
	v_cmp_eq_u32_e64 s[2:3], 63, v4
	v_mov_b32_dpp v3, v2 quad_perm:[1,0,3,2] row_mask:0xf bank_mask:0xf
	v_add_f32_e32 v2, v2, v3
	s_nop 1
	v_mov_b32_dpp v3, v2 quad_perm:[2,3,0,1] row_mask:0xf bank_mask:0xf
	v_add_f32_e32 v2, v2, v3
	s_nop 1
	v_mov_b32_dpp v3, v2 row_half_mirror row_mask:0xf bank_mask:0xf
	v_add_f32_e32 v2, v2, v3
	s_nop 1
	v_mov_b32_dpp v3, v2 row_mirror row_mask:0xf bank_mask:0xf
	v_add_f32_e32 v2, v2, v3
	s_nop 1
	v_mov_b32_dpp v3, v2 row_bcast:15 row_mask:0xf bank_mask:0xf
	v_add_f32_e32 v2, v2, v3
	s_nop 1
	v_mov_b32_dpp v3, v2 row_bcast:31 row_mask:0xf bank_mask:0xf
	s_waitcnt lgkmcnt(0)
	s_and_saveexec_b64 s[18:19], s[2:3]
	s_cbranch_execz .LBB525_13
; %bb.12:
	v_add_f32_e32 v2, v2, v3
	v_lshrrev_b32_e32 v3, 4, v0
	v_and_b32_e32 v3, 60, v3
	ds_write_b32 v3, v2 offset:16
.LBB525_13:
	s_or_b64 exec, exec, s[18:19]
	v_and_b32_e32 v2, 3, v0
	v_lshlrev_b32_e32 v18, 2, v2
	s_waitcnt lgkmcnt(0)
	s_barrier
	ds_read_b32 v2, v18 offset:16
	s_load_dwordx2 s[18:19], s[4:5], 0x18
	s_waitcnt lgkmcnt(0)
	v_mov_b32_dpp v3, v2 quad_perm:[1,0,3,2] row_mask:0xf bank_mask:0xf
	v_add_f32_e32 v2, v2, v3
	s_nop 1
	v_mov_b32_dpp v3, v2 quad_perm:[2,3,0,1] row_mask:0xf bank_mask:0xf
	s_and_saveexec_b64 s[30:31], s[0:1]
	s_cbranch_execnz .LBB525_18
; %bb.14:
	s_or_b64 exec, exec, s[30:31]
	s_mov_b64 s[8:9], -1
	s_and_b64 vcc, exec, s[10:11]
	s_cbranch_vccnz .LBB525_19
.LBB525_15:
	s_andn2_b64 vcc, exec, s[8:9]
	s_cbranch_vccz .LBB525_22
.LBB525_16:
	s_cmp_lt_i32 s24, 1
	s_cbranch_scc0 .LBB525_31
.LBB525_17:
	s_endpgm
.LBB525_18:
	v_cvt_f32_u32_e32 v4, s7
	v_add_f32_e32 v2, v2, v3
	v_mov_b32_e32 v8, s21
	v_mov_b32_e32 v9, s20
	v_div_scale_f32 v3, s[36:37], v4, v4, v2
	v_rcp_f32_e32 v5, v3
	v_cndmask_b32_e64 v8, v8, v9, s[8:9]
	s_mov_b32 s7, 0x800000
	s_waitcnt vmcnt(0)
	v_cvt_f32_f16_sdwa v15, v26 dst_sel:DWORD dst_unused:UNUSED_PAD src0_sel:WORD_1
	v_fma_f32 v9, -v3, v5, 1.0
	v_fmac_f32_e32 v5, v9, v5
	v_div_scale_f32 v9, vcc, v2, v4, v2
	v_mul_f32_e32 v12, v9, v5
	v_fma_f32 v13, -v3, v12, v9
	v_fmac_f32_e32 v12, v13, v5
	v_fma_f32 v3, -v3, v12, v9
	v_div_fmas_f32 v3, v3, v5, v12
	v_div_fixup_f32 v2, v3, v4, v2
	v_add_f32_e32 v2, v8, v2
	v_mul_f32_e32 v3, 0x4b800000, v2
	v_cmp_gt_f32_e32 vcc, s7, v2
	v_cndmask_b32_e32 v2, v2, v3, vcc
	v_rsq_f32_e32 v2, v2
	v_cvt_f32_f16_sdwa v13, v25 dst_sel:DWORD dst_unused:UNUSED_PAD src0_sel:WORD_1
	v_cvt_f32_f16_e32 v12, v25
	v_cvt_f32_f16_e32 v14, v26
	v_mul_f32_e32 v3, 0x45800000, v2
	v_cndmask_b32_e32 v2, v2, v3, vcc
	v_mov_b32_e32 v3, v2
	;;#ASMSTART
	v_pk_mul_f32 v[4:5], v[16:17], v[2:3]
	;;#ASMEND
	;;#ASMSTART
	v_pk_mul_f32 v[8:9], v[10:11], v[2:3]
	;;#ASMEND
	;; [unrolled: 3-line block ×3, first 2 shown]
	v_cvt_f32_f16_sdwa v11, v24 dst_sel:DWORD dst_unused:UNUSED_PAD src0_sel:WORD_1
	v_cvt_f32_f16_e32 v10, v24
	;;#ASMSTART
	v_pk_mul_f32 v[2:3], v[32:33], v[2:3]
	;;#ASMEND
	v_cvt_f32_f16_sdwa v21, v27 dst_sel:DWORD dst_unused:UNUSED_PAD src0_sel:WORD_1
	v_cvt_f32_f16_e32 v20, v27
	;;#ASMSTART
	v_pk_mul_f32 v[16:17], v[4:5], v[10:11]
	;;#ASMEND
	;;#ASMSTART
	v_pk_mul_f32 v[10:11], v[8:9], v[12:13]
	;;#ASMEND
	;; [unrolled: 3-line block ×4, first 2 shown]
	s_or_b64 exec, exec, s[30:31]
	s_mov_b64 s[8:9], -1
	s_and_b64 vcc, exec, s[10:11]
	s_cbranch_vccz .LBB525_15
.LBB525_19:
	s_and_saveexec_b64 s[8:9], s[0:1]
	s_cbranch_execz .LBB525_21
; %bb.20:
	s_mul_hi_i32 s11, s16, s6
	s_mul_i32 s10, s16, s6
	v_cvt_f16_f32_e32 v2, v16
	v_cvt_f16_f32_e32 v3, v10
	;; [unrolled: 1-line block ×8, first 2 shown]
	s_lshl_b64 s[10:11], s[10:11], 1
	s_add_u32 s36, s18, s10
	s_addc_u32 s7, s19, s11
	s_and_b32 s37, s7, 0xffff
	s_mov_b32 s39, 0x20000
	v_pack_b32_f16 v5, v5, v8
	v_pack_b32_f16 v4, v4, v9
	;; [unrolled: 1-line block ×4, first 2 shown]
	v_lshlrev_b32_e32 v8, 4, v0
	buffer_store_dwordx4 v[2:5], v8, s[36:39], 0 offen
	;;#ASMSTART
	s_nop 0
	;;#ASMEND
.LBB525_21:
	s_or_b64 exec, exec, s[8:9]
	s_cbranch_execnz .LBB525_16
.LBB525_22:
	v_mov_b32_e32 v2, 0
	s_and_saveexec_b64 s[8:9], s[0:1]
	s_cbranch_execz .LBB525_24
; %bb.23:
	s_load_dwordx2 s[10:11], s[4:5], 0x10
	s_mul_hi_i32 s31, s15, s6
	s_mul_i32 s30, s15, s6
	v_cvt_f16_f32_e32 v2, v16
	v_cvt_f16_f32_e32 v3, v10
	v_cvt_f16_f32_e32 v4, v6
	v_cvt_f16_f32_e32 v5, v32
	v_cvt_f16_f32_e32 v8, v33
	v_cvt_f16_f32_e32 v9, v7
	v_cvt_f16_f32_e32 v12, v11
	v_cvt_f16_f32_e32 v13, v17
	s_lshl_b64 s[30:31], s[30:31], 1
	s_waitcnt lgkmcnt(0)
	s_add_u32 s36, s10, s30
	s_addc_u32 s7, s11, s31
	s_mov_b32 s39, 0x20000
	s_and_b32 s37, s7, 0xffff
	v_pack_b32_f16 v5, v5, v8
	v_pack_b32_f16 v4, v4, v9
	v_pack_b32_f16 v3, v3, v12
	v_pack_b32_f16 v2, v2, v13
	v_lshlrev_b32_e32 v8, 4, v0
	buffer_store_dwordx4 v[2:5], v8, s[36:39], 0 offen
	;;#ASMSTART
	s_nop 0
	;;#ASMEND
	s_nop 0
	v_mov_b32_e32 v2, 0x2edbe6ff
.LBB525_24:
	s_or_b64 exec, exec, s[8:9]
	s_and_saveexec_b64 s[8:9], s[0:1]
	s_cbranch_execz .LBB525_26
; %bb.25:
	v_and_b32_e32 v3, 0x7fffffff, v16
	v_and_b32_e32 v4, 0x7fffffff, v17
	;;#ASMSTART
	v_max3_f32 v2, v2, v3, v4

	;;#ASMEND
	v_and_b32_e32 v3, 0x7fffffff, v10
	v_and_b32_e32 v4, 0x7fffffff, v11
	;;#ASMSTART
	v_max3_f32 v2, v2, v3, v4

	;;#ASMEND
	;; [unrolled: 6-line block ×4, first 2 shown]
.LBB525_26:
	s_or_b64 exec, exec, s[8:9]
	;;#ASMSTART
	v_max_f32 v3, v2, v2 quad_perm:[1,0,3,2] row_mask:0xf bank_mask:0xf bound_ctrl:1
	;;#ASMEND
	;;#ASMSTART
	v_max_f32 v2, v3, v3 quad_perm:[2,3,0,1] row_mask:0xf bank_mask:0xf bound_ctrl:1
	;;#ASMEND
	;;#ASMSTART
	v_max_f32 v3, v2, v2 row_half_mirror row_mask:0xf bank_mask:0xf bound_ctrl:1
	;;#ASMEND
	v_mul_f32_e32 v2, 0x3b124925, v3
	v_and_b32_e32 v3, 7, v0
	v_cmp_eq_u32_e32 vcc, 0, v3
	v_cmp_gt_i32_e64 s[8:9], s23, v1
	s_and_b64 s[10:11], vcc, s[8:9]
	s_and_saveexec_b64 s[8:9], s[10:11]
	s_cbranch_execz .LBB525_28
; %bb.27:
	s_load_dwordx2 s[10:11], s[4:5], 0x8
	v_lshrrev_b32_e32 v3, 3, v0
	s_mul_hi_i32 s31, s13, s6
	s_mul_i32 s30, s13, s6
	v_mad_i64_i32 v[4:5], s[14:15], s14, v3, 0
	s_lshl_b64 s[14:15], s[30:31], 2
	s_waitcnt lgkmcnt(0)
	s_add_u32 s7, s10, s14
	s_addc_u32 s10, s11, s15
	v_lshlrev_b64 v[4:5], 2, v[4:5]
	v_mov_b32_e32 v3, s10
	v_add_co_u32_e32 v4, vcc, s7, v4
	v_addc_co_u32_e32 v5, vcc, v3, v5, vcc
	global_store_dword v[4:5], v2, off
.LBB525_28:
	s_or_b64 exec, exec, s[8:9]
	;;#ASMSTART
	v_rcp_f32 v2, v2
	;;#ASMEND
	s_and_saveexec_b64 s[14:15], s[0:1]
	s_cbranch_execz .LBB525_30
; %bb.29:
	s_load_dwordx2 s[0:1], s[4:5], 0x0
	s_mul_i32 s8, s12, s6
	v_mov_b32_e32 v3, v2
	;;#ASMSTART
	v_pk_mul_f32 v[4:5], v[16:17], v[2:3]
	;;#ASMEND
	s_mul_hi_i32 s7, s12, s6
	s_waitcnt lgkmcnt(0)
	s_add_u32 s8, s0, s8
	v_mov_b32_e32 v8, 0xc3e00000
	v_mov_b32_e32 v9, 0x43e00000
	;;#ASMSTART
	v_med3_f32 v4, v4, v8, v9
v_med3_f32 v5, v5, v8, v9
v_cvt_pk_fp8_f32 v12, v4, v5
	;;#ASMEND
	s_addc_u32 s0, s1, s7
	;;#ASMSTART
	v_pk_mul_f32 v[4:5], v[10:11], v[2:3]
	;;#ASMEND
	s_and_b32 s9, s0, 0xffff
	;;#ASMSTART
	v_med3_f32 v4, v4, v8, v9
v_med3_f32 v5, v5, v8, v9
v_cvt_pk_fp8_f32 v10, v4, v5
	;;#ASMEND
	s_mov_b32 s0, 0x5040100
	v_perm_b32 v5, v10, v12, s0
	s_movk_i32 s0, 0xff
	v_and_b32_e32 v4, 0xffffff00, v10
	v_and_b32_sdwa v10, v5, s0 dst_sel:DWORD dst_unused:UNUSED_PAD src0_sel:WORD_1 src1_sel:DWORD
	s_mov_b32 s12, 0xffff
	v_or_b32_sdwa v4, v10, v4 dst_sel:WORD_1 dst_unused:UNUSED_PAD src0_sel:DWORD src1_sel:DWORD
	s_add_i32 s1, s23, 3
	v_and_or_b32 v4, v5, s12, v4
	;;#ASMSTART
	v_pk_mul_f32 v[6:7], v[6:7], v[2:3]
	;;#ASMEND
	v_mov_b32_e32 v5, v7
	s_ashr_i32 s7, s1, 31
	;;#ASMSTART
	v_med3_f32 v6, v6, v8, v9
v_med3_f32 v5, v5, v8, v9
v_cvt_pk_fp8_f32 v7, v6, v5
	;;#ASMEND
	;;#ASMSTART
	v_pk_mul_f32 v[2:3], v[32:33], v[2:3]
	;;#ASMEND
	s_lshr_b32 s7, s7, 30
	;;#ASMSTART
	v_med3_f32 v2, v2, v8, v9
v_med3_f32 v3, v3, v8, v9
v_cvt_pk_fp8_f32 v5, v2, v3
	;;#ASMEND
	s_add_i32 s1, s1, s7
	v_lshlrev_b32_e32 v2, 16, v5
	s_and_b32 s10, s1, -4
	s_mov_b32 s11, 0x20000
	v_and_or_b32 v5, v7, s12, v2
	buffer_store_dwordx2 v[4:5], v1, s[8:11], 0 offen
	;;#ASMSTART
	s_nop 0
	;;#ASMEND
.LBB525_30:
	s_or_b64 exec, exec, s[14:15]
	s_cmp_lt_i32 s24, 1
	s_cbranch_scc1 .LBB525_17
.LBB525_31:
	s_load_dword s0, s[4:5], 0x94
	s_waitcnt lgkmcnt(0)
	s_cmp_lg_u32 s0, 1
	s_cbranch_scc1 .LBB525_17
; %bb.32:
	s_lshl_b32 s0, s24, 1
	s_add_i32 s0, s0, 2
	v_cmp_gt_u32_e32 vcc, s24, v1
	s_and_b32 s30, s0, -4
	v_mov_b32_e32 v10, 0
	v_lshlrev_b32_e32 v1, 4, v0
	v_mov_b32_e32 v6, 0
	v_mov_b32_e32 v7, 0
	;; [unrolled: 1-line block ×8, first 2 shown]
	s_barrier
	s_and_saveexec_b64 s[0:1], vcc
	s_cbranch_execz .LBB525_34
; %bb.33:
	s_mul_hi_i32 s5, s26, s6
	s_mul_i32 s4, s26, s6
	s_and_b32 s29, s29, 0xffff
	s_lshl_b64 s[4:5], s[4:5], 1
	s_add_u32 s8, s34, s4
	s_mov_b32 s31, 0x20000
	s_addc_u32 s4, s35, s5
	s_and_b32 s9, s4, 0xffff
	s_mov_b32 s10, s30
	s_mov_b32 s11, s31
	buffer_load_dwordx4 v[6:9], v1, s[8:11], 0 offen glc slc
	buffer_load_dwordx4 v[2:5], v1, s[28:31], 0 offen
.LBB525_34:
	s_or_b64 exec, exec, s[0:1]
	v_mov_b32_e32 v11, 0
	v_mov_b32_e32 v16, 0
	;; [unrolled: 1-line block ×7, first 2 shown]
	s_and_saveexec_b64 s[0:1], vcc
	s_cbranch_execz .LBB525_36
; %bb.35:
	s_waitcnt vmcnt(1)
	v_cvt_f32_f16_sdwa v11, v6 dst_sel:DWORD dst_unused:UNUSED_PAD src0_sel:WORD_1
	v_cvt_f32_f16_e32 v10, v6
	v_cvt_f32_f16_sdwa v17, v7 dst_sel:DWORD dst_unused:UNUSED_PAD src0_sel:WORD_1
	v_cvt_f32_f16_e32 v16, v7
	;; [unrolled: 2-line block ×4, first 2 shown]
.LBB525_36:
	s_or_b64 exec, exec, s[0:1]
	s_waitcnt vmcnt(1)
	v_mul_f32_e32 v6, v11, v11
	v_fmac_f32_e32 v6, v10, v10
	v_fmac_f32_e32 v6, v16, v16
	;; [unrolled: 1-line block ×7, first 2 shown]
	s_nop 1
	v_mov_b32_dpp v7, v6 quad_perm:[1,0,3,2] row_mask:0xf bank_mask:0xf
	v_add_f32_e32 v6, v6, v7
	s_nop 1
	v_mov_b32_dpp v7, v6 quad_perm:[2,3,0,1] row_mask:0xf bank_mask:0xf
	v_add_f32_e32 v6, v6, v7
	s_nop 1
	v_mov_b32_dpp v7, v6 row_half_mirror row_mask:0xf bank_mask:0xf
	v_add_f32_e32 v6, v6, v7
	s_nop 1
	v_mov_b32_dpp v7, v6 row_mirror row_mask:0xf bank_mask:0xf
	v_add_f32_e32 v6, v6, v7
	s_nop 1
	v_mov_b32_dpp v7, v6 row_bcast:15 row_mask:0xf bank_mask:0xf
	v_add_f32_e32 v6, v6, v7
	s_nop 1
	v_mov_b32_dpp v7, v6 row_bcast:31 row_mask:0xf bank_mask:0xf
	s_and_saveexec_b64 s[0:1], s[2:3]
	s_cbranch_execz .LBB525_38
; %bb.37:
	v_lshrrev_b32_e32 v0, 4, v0
	v_add_f32_e32 v6, v6, v7
	v_and_b32_e32 v0, 60, v0
	ds_write_b32 v0, v6
.LBB525_38:
	s_or_b64 exec, exec, s[0:1]
	s_waitcnt lgkmcnt(0)
	s_barrier
	ds_read_b32 v0, v18
	s_waitcnt lgkmcnt(0)
	s_nop 0
	v_mov_b32_dpp v6, v0 quad_perm:[1,0,3,2] row_mask:0xf bank_mask:0xf
	v_add_f32_e32 v0, v0, v6
	s_nop 1
	v_mov_b32_dpp v6, v0 quad_perm:[2,3,0,1] row_mask:0xf bank_mask:0xf
	s_and_saveexec_b64 s[0:1], vcc
	s_cbranch_execz .LBB525_17
; %bb.39:
	v_cvt_f32_u32_e32 v7, s24
	v_add_f32_e32 v0, v0, v6
	s_mov_b32 s31, 0x20000
	v_div_scale_f32 v6, s[0:1], v7, v7, v0
	v_rcp_f32_e32 v8, v6
	v_div_scale_f32 v9, vcc, v0, v7, v0
	s_mov_b32 s0, 0x800000
	v_fma_f32 v18, -v6, v8, 1.0
	v_fmac_f32_e32 v8, v18, v8
	v_mul_f32_e32 v18, v9, v8
	v_fma_f32 v19, -v6, v18, v9
	v_fmac_f32_e32 v18, v19, v8
	v_fma_f32 v6, -v6, v18, v9
	v_div_fmas_f32 v6, v6, v8, v18
	v_div_fixup_f32 v0, v6, v7, v0
	v_add_f32_e32 v0, s21, v0
	v_mul_f32_e32 v6, 0x4b800000, v0
	v_cmp_gt_f32_e32 vcc, s0, v0
	v_cndmask_b32_e32 v0, v0, v6, vcc
	v_rsq_f32_e32 v0, v0
	s_waitcnt vmcnt(0)
	v_cvt_f32_f16_sdwa v19, v5 dst_sel:DWORD dst_unused:UNUSED_PAD src0_sel:WORD_1
	v_cvt_f32_f16_e32 v18, v5
	s_mul_hi_i32 s1, s16, s6
	v_mul_f32_e32 v6, 0x45800000, v0
	v_cndmask_b32_e32 v6, v0, v6, vcc
	v_mov_b32_e32 v7, v6
	;;#ASMSTART
	v_pk_mul_f32 v[8:9], v[10:11], v[6:7]
	;;#ASMEND
	;;#ASMSTART
	v_pk_mul_f32 v[10:11], v[16:17], v[6:7]
	;;#ASMEND
	;; [unrolled: 3-line block ×4, first 2 shown]
	v_cvt_f32_f16_sdwa v13, v2 dst_sel:DWORD dst_unused:UNUSED_PAD src0_sel:WORD_1
	v_cvt_f32_f16_e32 v12, v2
	v_cvt_f32_f16_sdwa v17, v3 dst_sel:DWORD dst_unused:UNUSED_PAD src0_sel:WORD_1
	v_cvt_f32_f16_e32 v16, v3
	;; [unrolled: 2-line block ×3, first 2 shown]
	;;#ASMSTART
	v_pk_mul_f32 v[4:5], v[8:9], v[12:13]
	;;#ASMEND
	;;#ASMSTART
	v_pk_mul_f32 v[8:9], v[10:11], v[16:17]
	;;#ASMEND
	;; [unrolled: 3-line block ×4, first 2 shown]
	s_mul_i32 s0, s16, s6
	v_cvt_f16_f32_e32 v0, v4
	v_cvt_f16_f32_e32 v4, v5
	;; [unrolled: 1-line block ×8, first 2 shown]
	s_lshl_b64 s[0:1], s[0:1], 1
	s_add_u32 s28, s18, s0
	s_addc_u32 s0, s19, s1
	s_and_b32 s29, s0, 0xffff
	v_pack_b32_f16 v2, v0, v4
	v_pack_b32_f16 v3, v5, v8
	;; [unrolled: 1-line block ×4, first 2 shown]
	buffer_store_dwordx4 v[2:5], v1, s[28:31], 0 offen
	;;#ASMSTART
	s_nop 0
	;;#ASMEND
	s_endpgm
	.section	.rodata,"a",@progbits
	.p2align	6, 0x0
	.amdhsa_kernel _ZN5aiter35fused_qk_rmsnorm_group_quant_kernelIDF16_DB8_Li256ELi8ELi8ELb1ELb1ELb0ELb0ELb0ELb0EEEvPT0_PvPT_S6_S6_PKS5_S8_S8_S8_S8_ffiiiiiiiiiiiii
		.amdhsa_group_segment_fixed_size 32
		.amdhsa_private_segment_fixed_size 0
		.amdhsa_kernarg_size 400
		.amdhsa_user_sgpr_count 6
		.amdhsa_user_sgpr_private_segment_buffer 1
		.amdhsa_user_sgpr_dispatch_ptr 0
		.amdhsa_user_sgpr_queue_ptr 0
		.amdhsa_user_sgpr_kernarg_segment_ptr 1
		.amdhsa_user_sgpr_dispatch_id 0
		.amdhsa_user_sgpr_flat_scratch_init 0
		.amdhsa_user_sgpr_kernarg_preload_length 0
		.amdhsa_user_sgpr_kernarg_preload_offset 0
		.amdhsa_user_sgpr_private_segment_size 0
		.amdhsa_uses_dynamic_stack 0
		.amdhsa_system_sgpr_private_segment_wavefront_offset 0
		.amdhsa_system_sgpr_workgroup_id_x 1
		.amdhsa_system_sgpr_workgroup_id_y 1
		.amdhsa_system_sgpr_workgroup_id_z 0
		.amdhsa_system_sgpr_workgroup_info 0
		.amdhsa_system_vgpr_workitem_id 0
		.amdhsa_next_free_vgpr 34
		.amdhsa_next_free_sgpr 44
		.amdhsa_accum_offset 36
		.amdhsa_reserve_vcc 1
		.amdhsa_reserve_flat_scratch 0
		.amdhsa_float_round_mode_32 0
		.amdhsa_float_round_mode_16_64 0
		.amdhsa_float_denorm_mode_32 3
		.amdhsa_float_denorm_mode_16_64 3
		.amdhsa_dx10_clamp 1
		.amdhsa_ieee_mode 1
		.amdhsa_fp16_overflow 0
		.amdhsa_tg_split 0
		.amdhsa_exception_fp_ieee_invalid_op 0
		.amdhsa_exception_fp_denorm_src 0
		.amdhsa_exception_fp_ieee_div_zero 0
		.amdhsa_exception_fp_ieee_overflow 0
		.amdhsa_exception_fp_ieee_underflow 0
		.amdhsa_exception_fp_ieee_inexact 0
		.amdhsa_exception_int_div_zero 0
	.end_amdhsa_kernel
	.section	.text._ZN5aiter35fused_qk_rmsnorm_group_quant_kernelIDF16_DB8_Li256ELi8ELi8ELb1ELb1ELb0ELb0ELb0ELb0EEEvPT0_PvPT_S6_S6_PKS5_S8_S8_S8_S8_ffiiiiiiiiiiiii,"axG",@progbits,_ZN5aiter35fused_qk_rmsnorm_group_quant_kernelIDF16_DB8_Li256ELi8ELi8ELb1ELb1ELb0ELb0ELb0ELb0EEEvPT0_PvPT_S6_S6_PKS5_S8_S8_S8_S8_ffiiiiiiiiiiiii,comdat
.Lfunc_end525:
	.size	_ZN5aiter35fused_qk_rmsnorm_group_quant_kernelIDF16_DB8_Li256ELi8ELi8ELb1ELb1ELb0ELb0ELb0ELb0EEEvPT0_PvPT_S6_S6_PKS5_S8_S8_S8_S8_ffiiiiiiiiiiiii, .Lfunc_end525-_ZN5aiter35fused_qk_rmsnorm_group_quant_kernelIDF16_DB8_Li256ELi8ELi8ELb1ELb1ELb0ELb0ELb0ELb0EEEvPT0_PvPT_S6_S6_PKS5_S8_S8_S8_S8_ffiiiiiiiiiiiii
                                        ; -- End function
	.section	.AMDGPU.csdata,"",@progbits
; Kernel info:
; codeLenInByte = 2996
; NumSgprs: 48
; NumVgprs: 34
; NumAgprs: 0
; TotalNumVgprs: 34
; ScratchSize: 0
; MemoryBound: 0
; FloatMode: 240
; IeeeMode: 1
; LDSByteSize: 32 bytes/workgroup (compile time only)
; SGPRBlocks: 5
; VGPRBlocks: 4
; NumSGPRsForWavesPerEU: 48
; NumVGPRsForWavesPerEU: 34
; AccumOffset: 36
; Occupancy: 8
; WaveLimiterHint : 0
; COMPUTE_PGM_RSRC2:SCRATCH_EN: 0
; COMPUTE_PGM_RSRC2:USER_SGPR: 6
; COMPUTE_PGM_RSRC2:TRAP_HANDLER: 0
; COMPUTE_PGM_RSRC2:TGID_X_EN: 1
; COMPUTE_PGM_RSRC2:TGID_Y_EN: 1
; COMPUTE_PGM_RSRC2:TGID_Z_EN: 0
; COMPUTE_PGM_RSRC2:TIDIG_COMP_CNT: 0
; COMPUTE_PGM_RSRC3_GFX90A:ACCUM_OFFSET: 8
; COMPUTE_PGM_RSRC3_GFX90A:TG_SPLIT: 0
	.section	.text._ZN5aiter35fused_qk_rmsnorm_group_quant_kernelItDB8_Li256ELi8ELi8ELb1ELb1ELb0ELb0ELb0ELb0EEEvPT0_PvPT_S6_S6_PKS5_S8_S8_S8_S8_ffiiiiiiiiiiiii,"axG",@progbits,_ZN5aiter35fused_qk_rmsnorm_group_quant_kernelItDB8_Li256ELi8ELi8ELb1ELb1ELb0ELb0ELb0ELb0EEEvPT0_PvPT_S6_S6_PKS5_S8_S8_S8_S8_ffiiiiiiiiiiiii,comdat
	.protected	_ZN5aiter35fused_qk_rmsnorm_group_quant_kernelItDB8_Li256ELi8ELi8ELb1ELb1ELb0ELb0ELb0ELb0EEEvPT0_PvPT_S6_S6_PKS5_S8_S8_S8_S8_ffiiiiiiiiiiiii ; -- Begin function _ZN5aiter35fused_qk_rmsnorm_group_quant_kernelItDB8_Li256ELi8ELi8ELb1ELb1ELb0ELb0ELb0ELb0EEEvPT0_PvPT_S6_S6_PKS5_S8_S8_S8_S8_ffiiiiiiiiiiiii
	.globl	_ZN5aiter35fused_qk_rmsnorm_group_quant_kernelItDB8_Li256ELi8ELi8ELb1ELb1ELb0ELb0ELb0ELb0EEEvPT0_PvPT_S6_S6_PKS5_S8_S8_S8_S8_ffiiiiiiiiiiiii
	.p2align	8
	.type	_ZN5aiter35fused_qk_rmsnorm_group_quant_kernelItDB8_Li256ELi8ELi8ELb1ELb1ELb0ELb0ELb0ELb0EEEvPT0_PvPT_S6_S6_PKS5_S8_S8_S8_S8_ffiiiiiiiiiiiii,@function
_ZN5aiter35fused_qk_rmsnorm_group_quant_kernelItDB8_Li256ELi8ELi8ELb1ELb1ELb0ELb0ELb0ELb0EEEvPT0_PvPT_S6_S6_PKS5_S8_S8_S8_S8_ffiiiiiiiiiiiii: ; @_ZN5aiter35fused_qk_rmsnorm_group_quant_kernelItDB8_Li256ELi8ELi8ELb1ELb1ELb0ELb0ELb0ELb0EEEvPT0_PvPT_S6_S6_PKS5_S8_S8_S8_S8_ffiiiiiiiiiiiii
; %bb.0:
	s_load_dwordx8 s[20:27], s[4:5], 0x50
	s_waitcnt lgkmcnt(0)
	s_cmp_ge_i32 s6, s22
	s_cbranch_scc1 .LBB526_17
; %bb.1:
	s_cmp_lg_u32 s7, 0
	s_cselect_b64 s[10:11], -1, 0
	s_cmp_eq_u32 s7, 0
	s_cselect_b64 s[8:9], -1, 0
	s_and_b64 s[0:1], s[8:9], exec
	s_load_dwordx2 s[28:29], s[4:5], 0x48
	s_load_dwordx2 s[34:35], s[4:5], 0x30
	s_load_dwordx8 s[12:19], s[4:5], 0x70
	s_cselect_b32 s7, s23, s24
	s_add_i32 s0, s7, 1
	s_lshr_b32 s1, s0, 31
	s_add_i32 s0, s0, s1
	s_lshl_b32 s0, s0, 1
	v_lshlrev_b32_e32 v1, 3, v0
	s_and_b32 s38, s0, -4
	v_cmp_gt_i32_e64 s[0:1], s7, v1
	v_mov_b32_e32 v10, 0
	v_mov_b32_e32 v11, 0
	;; [unrolled: 1-line block ×8, first 2 shown]
	s_and_saveexec_b64 s[2:3], s[0:1]
	s_cbranch_execz .LBB526_3
; %bb.2:
	s_waitcnt lgkmcnt(0)
	s_load_dwordx2 s[18:19], s[4:5], 0x28
	s_load_dwordx2 s[30:31], s[4:5], 0x40
	s_and_b64 s[36:37], s[8:9], exec
	s_cselect_b32 s22, s25, s26
	s_mov_b32 s39, 0x20000
	s_waitcnt lgkmcnt(0)
	s_cselect_b32 s25, s19, s35
	s_cselect_b32 s33, s18, s34
	s_mul_hi_i32 s19, s22, s6
	s_mul_i32 s18, s22, s6
	s_lshl_b64 s[18:19], s[18:19], 1
	s_add_u32 s40, s33, s18
	s_addc_u32 s22, s25, s19
	s_and_b64 s[18:19], s[8:9], exec
	s_cselect_b32 s36, s30, s28
	s_cselect_b32 s18, s31, s29
	v_lshlrev_b32_e32 v2, 4, v0
	s_and_b32 s41, s22, 0xffff
	s_mov_b32 s42, s38
	s_mov_b32 s43, s39
	s_and_b32 s37, s18, 0xffff
	buffer_load_dwordx4 v[14:17], v2, s[40:43], 0 offen glc slc
	buffer_load_dwordx4 v[10:13], v2, s[36:39], 0 offen
.LBB526_3:
	s_or_b64 exec, exec, s[2:3]
	s_and_b64 vcc, exec, s[10:11]
	s_cbranch_vccz .LBB526_7
; %bb.4:
	s_mov_b32 s40, 0
	s_mov_b32 s41, s40
	;; [unrolled: 1-line block ×8, first 2 shown]
	v_pk_mov_b32 v[2:3], s[40:41], s[40:41] op_sel:[0,1]
	v_pk_mov_b32 v[4:5], s[42:43], s[42:43] op_sel:[0,1]
	;; [unrolled: 1-line block ×4, first 2 shown]
	s_and_saveexec_b64 s[2:3], s[0:1]
	s_cbranch_execz .LBB526_6
; %bb.5:
	s_waitcnt vmcnt(1)
	v_cvt_f32_u32_sdwa v3, v14 dst_sel:DWORD dst_unused:UNUSED_PAD src0_sel:WORD_1
	v_cvt_f32_u32_sdwa v2, v14 dst_sel:DWORD dst_unused:UNUSED_PAD src0_sel:WORD_0
	v_cvt_f32_u32_sdwa v5, v15 dst_sel:DWORD dst_unused:UNUSED_PAD src0_sel:WORD_1
	v_cvt_f32_u32_sdwa v4, v15 dst_sel:DWORD dst_unused:UNUSED_PAD src0_sel:WORD_0
	;; [unrolled: 2-line block ×4, first 2 shown]
.LBB526_6:
	s_or_b64 exec, exec, s[2:3]
	s_cbranch_execz .LBB526_8
	s_branch .LBB526_11
.LBB526_7:
                                        ; implicit-def: $vgpr2_vgpr3_vgpr4_vgpr5_vgpr6_vgpr7_vgpr8_vgpr9
.LBB526_8:
	s_mov_b32 s40, 0
	s_mov_b32 s41, s40
	;; [unrolled: 1-line block ×8, first 2 shown]
	v_pk_mov_b32 v[2:3], s[40:41], s[40:41] op_sel:[0,1]
	v_pk_mov_b32 v[4:5], s[42:43], s[42:43] op_sel:[0,1]
	;; [unrolled: 1-line block ×4, first 2 shown]
	s_and_saveexec_b64 s[2:3], s[0:1]
	s_cbranch_execz .LBB526_10
; %bb.9:
	s_waitcnt lgkmcnt(0)
	s_load_dwordx2 s[18:19], s[4:5], 0x38
	s_mul_hi_i32 s31, s27, s6
	s_mul_i32 s30, s27, s6
	s_lshl_b64 s[30:31], s[30:31], 1
	s_mov_b32 s39, 0x20000
	s_waitcnt lgkmcnt(0)
	s_add_u32 s36, s18, s30
	s_addc_u32 s18, s19, s31
	s_and_b32 s37, s18, 0xffff
	v_lshlrev_b32_e32 v26, 4, v0
	buffer_load_dwordx4 v[2:5], v26, s[36:39], 0 offen glc slc
	s_load_dwordx2 s[18:19], s[4:5], 0x20
	s_waitcnt vmcnt(2)
	v_cvt_f32_u32_sdwa v7, v14 dst_sel:DWORD dst_unused:UNUSED_PAD src0_sel:WORD_1
	v_cvt_f32_u32_sdwa v6, v14 dst_sel:DWORD dst_unused:UNUSED_PAD src0_sel:WORD_0
	v_cvt_f32_u32_sdwa v9, v15 dst_sel:DWORD dst_unused:UNUSED_PAD src0_sel:WORD_1
	v_cvt_f32_u32_sdwa v8, v15 dst_sel:DWORD dst_unused:UNUSED_PAD src0_sel:WORD_0
	;; [unrolled: 2-line block ×4, first 2 shown]
	s_mul_hi_i32 s31, s17, s6
	s_mul_i32 s30, s17, s6
	s_lshl_b64 s[30:31], s[30:31], 1
	s_waitcnt lgkmcnt(0)
	s_add_u32 s36, s18, s30
	s_mov_b32 s17, 0x7060302
	s_addc_u32 s18, s19, s31
	s_and_b32 s37, s18, 0xffff
	s_waitcnt vmcnt(0)
	v_cvt_f32_u32_sdwa v17, v2 dst_sel:DWORD dst_unused:UNUSED_PAD src0_sel:WORD_1
	v_cvt_f32_u32_sdwa v16, v2 dst_sel:DWORD dst_unused:UNUSED_PAD src0_sel:WORD_0
	v_cvt_f32_u32_sdwa v21, v3 dst_sel:DWORD dst_unused:UNUSED_PAD src0_sel:WORD_1
	v_cvt_f32_u32_sdwa v20, v3 dst_sel:DWORD dst_unused:UNUSED_PAD src0_sel:WORD_0
	;; [unrolled: 2-line block ×4, first 2 shown]
	v_pk_add_f32 v[2:3], v[6:7], v[16:17]
	v_pk_add_f32 v[4:5], v[8:9], v[20:21]
	;; [unrolled: 1-line block ×4, first 2 shown]
	v_perm_b32 v17, v9, v8, s17
	v_perm_b32 v16, v7, v6, s17
	;; [unrolled: 1-line block ×4, first 2 shown]
	buffer_store_dwordx4 v[14:17], v26, s[36:39], 0 offen glc slc
	;;#ASMSTART
	s_nop 0
	;;#ASMEND
.LBB526_10:
	s_or_b64 exec, exec, s[2:3]
.LBB526_11:
	s_waitcnt vmcnt(1)
	v_mul_f32_e32 v14, v3, v3
	v_fmac_f32_e32 v14, v2, v2
	v_fmac_f32_e32 v14, v4, v4
	;; [unrolled: 1-line block ×7, first 2 shown]
	v_and_b32_e32 v16, 63, v0
	v_cmp_eq_u32_e64 s[2:3], 63, v16
	v_mov_b32_dpp v15, v14 quad_perm:[1,0,3,2] row_mask:0xf bank_mask:0xf
	v_add_f32_e32 v14, v14, v15
	s_nop 1
	v_mov_b32_dpp v15, v14 quad_perm:[2,3,0,1] row_mask:0xf bank_mask:0xf
	v_add_f32_e32 v14, v14, v15
	s_nop 1
	v_mov_b32_dpp v15, v14 row_half_mirror row_mask:0xf bank_mask:0xf
	v_add_f32_e32 v14, v14, v15
	s_nop 1
	v_mov_b32_dpp v15, v14 row_mirror row_mask:0xf bank_mask:0xf
	v_add_f32_e32 v14, v14, v15
	s_nop 1
	v_mov_b32_dpp v15, v14 row_bcast:15 row_mask:0xf bank_mask:0xf
	v_add_f32_e32 v14, v14, v15
	s_nop 1
	v_mov_b32_dpp v15, v14 row_bcast:31 row_mask:0xf bank_mask:0xf
	s_waitcnt lgkmcnt(0)
	s_and_saveexec_b64 s[18:19], s[2:3]
	s_cbranch_execz .LBB526_13
; %bb.12:
	v_add_f32_e32 v14, v14, v15
	v_lshrrev_b32_e32 v15, 4, v0
	v_and_b32_e32 v15, 60, v15
	ds_write_b32 v15, v14 offset:16
.LBB526_13:
	s_or_b64 exec, exec, s[18:19]
	v_and_b32_e32 v14, 3, v0
	v_lshlrev_b32_e32 v14, 2, v14
	s_waitcnt lgkmcnt(0)
	s_barrier
	ds_read_b32 v15, v14 offset:16
	s_load_dwordx2 s[18:19], s[4:5], 0x18
	s_waitcnt lgkmcnt(0)
	v_mov_b32_dpp v16, v15 quad_perm:[1,0,3,2] row_mask:0xf bank_mask:0xf
	v_add_f32_e32 v15, v15, v16
	s_nop 1
	v_mov_b32_dpp v16, v15 quad_perm:[2,3,0,1] row_mask:0xf bank_mask:0xf
	s_and_saveexec_b64 s[30:31], s[0:1]
	s_cbranch_execnz .LBB526_18
; %bb.14:
	s_or_b64 exec, exec, s[30:31]
	s_mov_b64 s[8:9], -1
	s_and_b64 vcc, exec, s[10:11]
	s_cbranch_vccnz .LBB526_19
.LBB526_15:
	s_andn2_b64 vcc, exec, s[8:9]
	s_cbranch_vccz .LBB526_22
.LBB526_16:
	s_cmp_lt_i32 s24, 1
	s_cbranch_scc0 .LBB526_31
.LBB526_17:
	s_endpgm
.LBB526_18:
	v_cvt_f32_u32_e32 v17, s7
	v_add_f32_e32 v15, v15, v16
	v_mov_b32_e32 v19, s21
	v_mov_b32_e32 v20, s20
	v_div_scale_f32 v16, s[36:37], v17, v17, v15
	v_rcp_f32_e32 v18, v16
	v_cndmask_b32_e64 v19, v19, v20, s[8:9]
	s_mov_b32 s7, 0x800000
	v_fma_f32 v20, -v16, v18, 1.0
	v_fmac_f32_e32 v18, v20, v18
	v_div_scale_f32 v20, vcc, v15, v17, v15
	v_mul_f32_e32 v21, v20, v18
	v_fma_f32 v22, -v16, v21, v20
	v_fmac_f32_e32 v21, v22, v18
	v_fma_f32 v16, -v16, v21, v20
	v_div_fmas_f32 v16, v16, v18, v21
	v_div_fixup_f32 v15, v16, v17, v15
	v_add_f32_e32 v15, v19, v15
	v_mul_f32_e32 v16, 0x4b800000, v15
	v_cmp_gt_f32_e32 vcc, s7, v15
	v_cndmask_b32_e32 v15, v15, v16, vcc
	v_rsq_f32_e32 v15, v15
	s_waitcnt vmcnt(0)
	v_cvt_f32_u32_sdwa v19, v11 dst_sel:DWORD dst_unused:UNUSED_PAD src0_sel:WORD_1
	v_cvt_f32_u32_sdwa v18, v11 dst_sel:DWORD dst_unused:UNUSED_PAD src0_sel:WORD_0
	v_cvt_f32_u32_sdwa v11, v12 dst_sel:DWORD dst_unused:UNUSED_PAD src0_sel:WORD_1
	v_mul_f32_e32 v16, 0x45800000, v15
	v_cndmask_b32_e32 v16, v15, v16, vcc
	v_mov_b32_e32 v17, v16
	;;#ASMSTART
	v_pk_mul_f32 v[2:3], v[2:3], v[16:17]
	;;#ASMEND
	;;#ASMSTART
	v_pk_mul_f32 v[4:5], v[4:5], v[16:17]
	;;#ASMEND
	;; [unrolled: 3-line block ×4, first 2 shown]
	v_cvt_f32_u32_sdwa v17, v10 dst_sel:DWORD dst_unused:UNUSED_PAD src0_sel:WORD_1
	v_cvt_f32_u32_sdwa v16, v10 dst_sel:DWORD dst_unused:UNUSED_PAD src0_sel:WORD_0
	v_cvt_f32_u32_sdwa v10, v12 dst_sel:DWORD dst_unused:UNUSED_PAD src0_sel:WORD_0
	v_cvt_f32_u32_sdwa v21, v13 dst_sel:DWORD dst_unused:UNUSED_PAD src0_sel:WORD_1
	v_cvt_f32_u32_sdwa v20, v13 dst_sel:DWORD dst_unused:UNUSED_PAD src0_sel:WORD_0
	;;#ASMSTART
	v_pk_mul_f32 v[2:3], v[2:3], v[16:17]
	;;#ASMEND
	;;#ASMSTART
	v_pk_mul_f32 v[4:5], v[4:5], v[18:19]
	;;#ASMEND
	;; [unrolled: 3-line block ×4, first 2 shown]
	s_or_b64 exec, exec, s[30:31]
	s_mov_b64 s[8:9], -1
	s_and_b64 vcc, exec, s[10:11]
	s_cbranch_vccz .LBB526_15
.LBB526_19:
	s_and_saveexec_b64 s[8:9], s[0:1]
	s_cbranch_execz .LBB526_21
; %bb.20:
	s_mul_hi_i32 s11, s16, s6
	s_mul_i32 s10, s16, s6
	s_lshl_b64 s[10:11], s[10:11], 1
	s_add_u32 s36, s18, s10
	s_addc_u32 s7, s19, s11
	s_and_b32 s37, s7, 0xffff
	s_mov_b32 s7, 0x7060302
	s_mov_b32 s39, 0x20000
	s_waitcnt vmcnt(0)
	v_perm_b32 v10, v3, v2, s7
	v_perm_b32 v11, v5, v4, s7
	;; [unrolled: 1-line block ×4, first 2 shown]
	v_lshlrev_b32_e32 v15, 4, v0
	buffer_store_dwordx4 v[10:13], v15, s[36:39], 0 offen
	;;#ASMSTART
	s_nop 0
	;;#ASMEND
.LBB526_21:
	s_or_b64 exec, exec, s[8:9]
	s_cbranch_execnz .LBB526_16
.LBB526_22:
	s_waitcnt vmcnt(0)
	v_mov_b32_e32 v10, 0
	s_and_saveexec_b64 s[8:9], s[0:1]
	s_cbranch_execz .LBB526_24
; %bb.23:
	s_load_dwordx2 s[10:11], s[4:5], 0x10
	s_mul_hi_i32 s31, s15, s6
	s_mul_i32 s30, s15, s6
	s_lshl_b64 s[30:31], s[30:31], 1
	s_mov_b32 s39, 0x20000
	s_waitcnt lgkmcnt(0)
	s_add_u32 s36, s10, s30
	s_addc_u32 s7, s11, s31
	s_and_b32 s37, s7, 0xffff
	s_mov_b32 s7, 0x7060302
	v_perm_b32 v10, v3, v2, s7
	v_perm_b32 v11, v5, v4, s7
	;; [unrolled: 1-line block ×4, first 2 shown]
	v_lshlrev_b32_e32 v15, 4, v0
	buffer_store_dwordx4 v[10:13], v15, s[36:39], 0 offen
	;;#ASMSTART
	s_nop 0
	;;#ASMEND
	s_nop 0
	v_mov_b32_e32 v10, 0x2edbe6ff
.LBB526_24:
	s_or_b64 exec, exec, s[8:9]
	s_and_saveexec_b64 s[8:9], s[0:1]
	s_cbranch_execz .LBB526_26
; %bb.25:
	v_and_b32_e32 v11, 0x7fffffff, v2
	v_and_b32_e32 v12, 0x7fffffff, v3
	;;#ASMSTART
	v_max3_f32 v10, v10, v11, v12

	;;#ASMEND
	v_and_b32_e32 v11, 0x7fffffff, v4
	v_and_b32_e32 v12, 0x7fffffff, v5
	;;#ASMSTART
	v_max3_f32 v10, v10, v11, v12

	;;#ASMEND
	;; [unrolled: 6-line block ×4, first 2 shown]
.LBB526_26:
	s_or_b64 exec, exec, s[8:9]
	;;#ASMSTART
	v_max_f32 v11, v10, v10 quad_perm:[1,0,3,2] row_mask:0xf bank_mask:0xf bound_ctrl:1
	;;#ASMEND
	;;#ASMSTART
	v_max_f32 v10, v11, v11 quad_perm:[2,3,0,1] row_mask:0xf bank_mask:0xf bound_ctrl:1
	;;#ASMEND
	;;#ASMSTART
	v_max_f32 v11, v10, v10 row_half_mirror row_mask:0xf bank_mask:0xf bound_ctrl:1
	;;#ASMEND
	v_mul_f32_e32 v10, 0x3b124925, v11
	v_and_b32_e32 v11, 7, v0
	v_cmp_eq_u32_e32 vcc, 0, v11
	v_cmp_gt_i32_e64 s[8:9], s23, v1
	s_and_b64 s[10:11], vcc, s[8:9]
	s_and_saveexec_b64 s[8:9], s[10:11]
	s_cbranch_execz .LBB526_28
; %bb.27:
	s_load_dwordx2 s[10:11], s[4:5], 0x8
	v_lshrrev_b32_e32 v11, 3, v0
	s_mul_hi_i32 s31, s13, s6
	s_mul_i32 s30, s13, s6
	v_mad_i64_i32 v[12:13], s[14:15], s14, v11, 0
	s_lshl_b64 s[14:15], s[30:31], 2
	s_waitcnt lgkmcnt(0)
	s_add_u32 s7, s10, s14
	s_addc_u32 s10, s11, s15
	v_lshlrev_b64 v[12:13], 2, v[12:13]
	v_mov_b32_e32 v11, s10
	v_add_co_u32_e32 v12, vcc, s7, v12
	v_addc_co_u32_e32 v13, vcc, v11, v13, vcc
	global_store_dword v[12:13], v10, off
.LBB526_28:
	s_or_b64 exec, exec, s[8:9]
	;;#ASMSTART
	v_rcp_f32 v10, v10
	;;#ASMEND
	s_and_saveexec_b64 s[14:15], s[0:1]
	s_cbranch_execz .LBB526_30
; %bb.29:
	s_load_dwordx2 s[0:1], s[4:5], 0x0
	s_mul_i32 s8, s12, s6
	v_mov_b32_e32 v11, v10
	;;#ASMSTART
	v_pk_mul_f32 v[2:3], v[2:3], v[10:11]
	;;#ASMEND
	s_mul_hi_i32 s7, s12, s6
	s_waitcnt lgkmcnt(0)
	s_add_u32 s8, s0, s8
	v_mov_b32_e32 v12, 0xc3e00000
	v_mov_b32_e32 v13, 0x43e00000
	;;#ASMSTART
	v_med3_f32 v2, v2, v12, v13
v_med3_f32 v3, v3, v12, v13
v_cvt_pk_fp8_f32 v15, v2, v3
	;;#ASMEND
	s_addc_u32 s0, s1, s7
	;;#ASMSTART
	v_pk_mul_f32 v[2:3], v[4:5], v[10:11]
	;;#ASMEND
	s_and_b32 s9, s0, 0xffff
	;;#ASMSTART
	v_med3_f32 v2, v2, v12, v13
v_med3_f32 v3, v3, v12, v13
v_cvt_pk_fp8_f32 v4, v2, v3
	;;#ASMEND
	s_mov_b32 s0, 0x5040100
	v_perm_b32 v3, v4, v15, s0
	s_movk_i32 s0, 0xff
	v_and_b32_e32 v2, 0xffffff00, v4
	v_and_b32_sdwa v4, v3, s0 dst_sel:DWORD dst_unused:UNUSED_PAD src0_sel:WORD_1 src1_sel:DWORD
	s_mov_b32 s12, 0xffff
	v_or_b32_sdwa v2, v4, v2 dst_sel:WORD_1 dst_unused:UNUSED_PAD src0_sel:DWORD src1_sel:DWORD
	v_and_or_b32 v2, v3, s12, v2
	;;#ASMSTART
	v_pk_mul_f32 v[4:5], v[6:7], v[10:11]
	;;#ASMEND
	v_mov_b32_e32 v3, v5
	s_add_i32 s1, s23, 3
	;;#ASMSTART
	v_med3_f32 v4, v4, v12, v13
v_med3_f32 v3, v3, v12, v13
v_cvt_pk_fp8_f32 v6, v4, v3
	;;#ASMEND
	s_ashr_i32 s7, s1, 31
	;;#ASMSTART
	v_pk_mul_f32 v[4:5], v[8:9], v[10:11]
	;;#ASMEND
	v_mov_b32_e32 v3, v4
	s_lshr_b32 s7, s7, 30
	;;#ASMSTART
	v_med3_f32 v3, v3, v12, v13
v_med3_f32 v5, v5, v12, v13
v_cvt_pk_fp8_f32 v4, v3, v5
	;;#ASMEND
	s_add_i32 s1, s1, s7
	v_lshlrev_b32_e32 v3, 16, v4
	s_and_b32 s10, s1, -4
	s_mov_b32 s11, 0x20000
	v_and_or_b32 v3, v6, s12, v3
	buffer_store_dwordx2 v[2:3], v1, s[8:11], 0 offen
	;;#ASMSTART
	s_nop 0
	;;#ASMEND
.LBB526_30:
	s_or_b64 exec, exec, s[14:15]
	s_cmp_lt_i32 s24, 1
	s_cbranch_scc1 .LBB526_17
.LBB526_31:
	s_load_dword s0, s[4:5], 0x94
	s_waitcnt lgkmcnt(0)
	s_cmp_lg_u32 s0, 1
	s_cbranch_scc1 .LBB526_17
; %bb.32:
	s_lshl_b32 s0, s24, 1
	s_add_i32 s0, s0, 2
	v_cmp_gt_u32_e32 vcc, s24, v1
	s_and_b32 s30, s0, -4
	v_mov_b32_e32 v6, 0
	v_lshlrev_b32_e32 v1, 4, v0
	v_mov_b32_e32 v7, 0
	v_mov_b32_e32 v8, 0
	;; [unrolled: 1-line block ×7, first 2 shown]
	s_barrier
	s_and_saveexec_b64 s[0:1], vcc
	s_cbranch_execz .LBB526_34
; %bb.33:
	s_mul_hi_i32 s5, s26, s6
	s_mul_i32 s4, s26, s6
	s_and_b32 s29, s29, 0xffff
	s_lshl_b64 s[4:5], s[4:5], 1
	s_add_u32 s8, s34, s4
	s_mov_b32 s31, 0x20000
	s_addc_u32 s4, s35, s5
	s_and_b32 s9, s4, 0xffff
	s_mov_b32 s10, s30
	s_mov_b32 s11, s31
	buffer_load_dwordx4 v[6:9], v1, s[8:11], 0 offen glc slc
	buffer_load_dwordx4 v[2:5], v1, s[28:31], 0 offen
.LBB526_34:
	s_or_b64 exec, exec, s[0:1]
	s_waitcnt vmcnt(0)
	v_cvt_f32_u32_sdwa v13, v6 dst_sel:DWORD dst_unused:UNUSED_PAD src0_sel:WORD_1
	v_cvt_f32_u32_sdwa v12, v6 dst_sel:DWORD dst_unused:UNUSED_PAD src0_sel:WORD_0
	v_cvt_f32_u32_sdwa v6, v9 dst_sel:DWORD dst_unused:UNUSED_PAD src0_sel:WORD_1
	v_cvt_f32_u32_sdwa v9, v9 dst_sel:DWORD dst_unused:UNUSED_PAD src0_sel:WORD_0
	;; [unrolled: 2-line block ×4, first 2 shown]
	v_cndmask_b32_e32 v13, 0, v13, vcc
	v_cndmask_b32_e32 v7, 0, v6, vcc
	;; [unrolled: 1-line block ×5, first 2 shown]
	v_mul_f32_e32 v15, v13, v13
	v_cndmask_b32_e32 v10, 0, v10, vcc
	v_fmac_f32_e32 v15, v12, v12
	v_cndmask_b32_e32 v11, 0, v11, vcc
	v_fmac_f32_e32 v15, v10, v10
	;; [unrolled: 2-line block ×3, first 2 shown]
	v_fmac_f32_e32 v15, v8, v8
	v_fmac_f32_e32 v15, v9, v9
	;; [unrolled: 1-line block ×4, first 2 shown]
	s_nop 1
	v_mov_b32_dpp v16, v15 quad_perm:[1,0,3,2] row_mask:0xf bank_mask:0xf
	v_add_f32_e32 v15, v15, v16
	s_nop 1
	v_mov_b32_dpp v16, v15 quad_perm:[2,3,0,1] row_mask:0xf bank_mask:0xf
	v_add_f32_e32 v15, v15, v16
	s_nop 1
	v_mov_b32_dpp v16, v15 row_half_mirror row_mask:0xf bank_mask:0xf
	v_add_f32_e32 v15, v15, v16
	s_nop 1
	v_mov_b32_dpp v16, v15 row_mirror row_mask:0xf bank_mask:0xf
	v_add_f32_e32 v15, v15, v16
	s_nop 1
	v_mov_b32_dpp v16, v15 row_bcast:15 row_mask:0xf bank_mask:0xf
	v_add_f32_e32 v15, v15, v16
	s_nop 1
	v_mov_b32_dpp v16, v15 row_bcast:31 row_mask:0xf bank_mask:0xf
	s_and_saveexec_b64 s[0:1], s[2:3]
	s_cbranch_execz .LBB526_36
; %bb.35:
	v_lshrrev_b32_e32 v0, 4, v0
	v_add_f32_e32 v15, v15, v16
	v_and_b32_e32 v0, 60, v0
	ds_write_b32 v0, v15
.LBB526_36:
	s_or_b64 exec, exec, s[0:1]
	s_waitcnt lgkmcnt(0)
	s_barrier
	ds_read_b32 v0, v14
	s_waitcnt lgkmcnt(0)
	s_nop 0
	v_mov_b32_dpp v14, v0 quad_perm:[1,0,3,2] row_mask:0xf bank_mask:0xf
	v_add_f32_e32 v0, v0, v14
	s_nop 1
	v_mov_b32_dpp v14, v0 quad_perm:[2,3,0,1] row_mask:0xf bank_mask:0xf
	s_and_saveexec_b64 s[0:1], vcc
	s_cbranch_execz .LBB526_17
; %bb.37:
	v_cvt_f32_u32_e32 v15, s24
	v_add_f32_e32 v0, v0, v14
	s_mov_b32 s31, 0x20000
	v_div_scale_f32 v14, s[0:1], v15, v15, v0
	v_rcp_f32_e32 v16, v14
	v_div_scale_f32 v17, vcc, v0, v15, v0
	s_mov_b32 s0, 0x800000
	v_fma_f32 v18, -v14, v16, 1.0
	v_fmac_f32_e32 v16, v18, v16
	v_mul_f32_e32 v18, v17, v16
	v_fma_f32 v19, -v14, v18, v17
	v_fmac_f32_e32 v18, v19, v16
	v_fma_f32 v14, -v14, v18, v17
	v_div_fmas_f32 v14, v14, v16, v18
	v_div_fixup_f32 v0, v14, v15, v0
	v_add_f32_e32 v0, s21, v0
	v_mul_f32_e32 v14, 0x4b800000, v0
	v_cmp_gt_f32_e32 vcc, s0, v0
	v_cndmask_b32_e32 v0, v0, v14, vcc
	v_rsq_f32_e32 v0, v0
	s_mul_hi_i32 s1, s16, s6
	s_mul_i32 s0, s16, s6
	s_lshl_b64 s[0:1], s[0:1], 1
	v_mul_f32_e32 v14, 0x45800000, v0
	v_cndmask_b32_e32 v14, v0, v14, vcc
	s_add_u32 s28, s18, s0
	v_mov_b32_e32 v15, v14
	s_addc_u32 s0, s19, s1
	;;#ASMSTART
	v_pk_mul_f32 v[12:13], v[12:13], v[14:15]
	;;#ASMEND
	;;#ASMSTART
	v_pk_mul_f32 v[10:11], v[10:11], v[14:15]
	;;#ASMEND
	;; [unrolled: 3-line block ×4, first 2 shown]
	v_cvt_f32_u32_sdwa v15, v2 dst_sel:DWORD dst_unused:UNUSED_PAD src0_sel:WORD_1
	v_cvt_f32_u32_sdwa v14, v2 dst_sel:DWORD dst_unused:UNUSED_PAD src0_sel:WORD_0
	v_cvt_f32_u32_sdwa v17, v3 dst_sel:DWORD dst_unused:UNUSED_PAD src0_sel:WORD_1
	v_cvt_f32_u32_sdwa v16, v3 dst_sel:DWORD dst_unused:UNUSED_PAD src0_sel:WORD_0
	;; [unrolled: 2-line block ×4, first 2 shown]
	;;#ASMSTART
	v_pk_mul_f32 v[4:5], v[12:13], v[14:15]
	;;#ASMEND
	s_and_b32 s29, s0, 0xffff
	s_mov_b32 s0, 0x7060302
	;;#ASMSTART
	v_pk_mul_f32 v[10:11], v[10:11], v[16:17]
	;;#ASMEND
	;;#ASMSTART
	v_pk_mul_f32 v[8:9], v[8:9], v[2:3]
	;;#ASMEND
	;; [unrolled: 3-line block ×3, first 2 shown]
	v_perm_b32 v2, v5, v4, s0
	v_perm_b32 v3, v11, v10, s0
	;; [unrolled: 1-line block ×4, first 2 shown]
	buffer_store_dwordx4 v[2:5], v1, s[28:31], 0 offen
	;;#ASMSTART
	s_nop 0
	;;#ASMEND
	s_endpgm
	.section	.rodata,"a",@progbits
	.p2align	6, 0x0
	.amdhsa_kernel _ZN5aiter35fused_qk_rmsnorm_group_quant_kernelItDB8_Li256ELi8ELi8ELb1ELb1ELb0ELb0ELb0ELb0EEEvPT0_PvPT_S6_S6_PKS5_S8_S8_S8_S8_ffiiiiiiiiiiiii
		.amdhsa_group_segment_fixed_size 32
		.amdhsa_private_segment_fixed_size 0
		.amdhsa_kernarg_size 400
		.amdhsa_user_sgpr_count 6
		.amdhsa_user_sgpr_private_segment_buffer 1
		.amdhsa_user_sgpr_dispatch_ptr 0
		.amdhsa_user_sgpr_queue_ptr 0
		.amdhsa_user_sgpr_kernarg_segment_ptr 1
		.amdhsa_user_sgpr_dispatch_id 0
		.amdhsa_user_sgpr_flat_scratch_init 0
		.amdhsa_user_sgpr_kernarg_preload_length 0
		.amdhsa_user_sgpr_kernarg_preload_offset 0
		.amdhsa_user_sgpr_private_segment_size 0
		.amdhsa_uses_dynamic_stack 0
		.amdhsa_system_sgpr_private_segment_wavefront_offset 0
		.amdhsa_system_sgpr_workgroup_id_x 1
		.amdhsa_system_sgpr_workgroup_id_y 1
		.amdhsa_system_sgpr_workgroup_id_z 0
		.amdhsa_system_sgpr_workgroup_info 0
		.amdhsa_system_vgpr_workitem_id 0
		.amdhsa_next_free_vgpr 27
		.amdhsa_next_free_sgpr 48
		.amdhsa_accum_offset 28
		.amdhsa_reserve_vcc 1
		.amdhsa_reserve_flat_scratch 0
		.amdhsa_float_round_mode_32 0
		.amdhsa_float_round_mode_16_64 0
		.amdhsa_float_denorm_mode_32 3
		.amdhsa_float_denorm_mode_16_64 3
		.amdhsa_dx10_clamp 1
		.amdhsa_ieee_mode 1
		.amdhsa_fp16_overflow 0
		.amdhsa_tg_split 0
		.amdhsa_exception_fp_ieee_invalid_op 0
		.amdhsa_exception_fp_denorm_src 0
		.amdhsa_exception_fp_ieee_div_zero 0
		.amdhsa_exception_fp_ieee_overflow 0
		.amdhsa_exception_fp_ieee_underflow 0
		.amdhsa_exception_fp_ieee_inexact 0
		.amdhsa_exception_int_div_zero 0
	.end_amdhsa_kernel
	.section	.text._ZN5aiter35fused_qk_rmsnorm_group_quant_kernelItDB8_Li256ELi8ELi8ELb1ELb1ELb0ELb0ELb0ELb0EEEvPT0_PvPT_S6_S6_PKS5_S8_S8_S8_S8_ffiiiiiiiiiiiii,"axG",@progbits,_ZN5aiter35fused_qk_rmsnorm_group_quant_kernelItDB8_Li256ELi8ELi8ELb1ELb1ELb0ELb0ELb0ELb0EEEvPT0_PvPT_S6_S6_PKS5_S8_S8_S8_S8_ffiiiiiiiiiiiii,comdat
.Lfunc_end526:
	.size	_ZN5aiter35fused_qk_rmsnorm_group_quant_kernelItDB8_Li256ELi8ELi8ELb1ELb1ELb0ELb0ELb0ELb0EEEvPT0_PvPT_S6_S6_PKS5_S8_S8_S8_S8_ffiiiiiiiiiiiii, .Lfunc_end526-_ZN5aiter35fused_qk_rmsnorm_group_quant_kernelItDB8_Li256ELi8ELi8ELb1ELb1ELb0ELb0ELb0ELb0EEEvPT0_PvPT_S6_S6_PKS5_S8_S8_S8_S8_ffiiiiiiiiiiiii
                                        ; -- End function
	.section	.AMDGPU.csdata,"",@progbits
; Kernel info:
; codeLenInByte = 3056
; NumSgprs: 52
; NumVgprs: 27
; NumAgprs: 0
; TotalNumVgprs: 27
; ScratchSize: 0
; MemoryBound: 0
; FloatMode: 240
; IeeeMode: 1
; LDSByteSize: 32 bytes/workgroup (compile time only)
; SGPRBlocks: 6
; VGPRBlocks: 3
; NumSGPRsForWavesPerEU: 52
; NumVGPRsForWavesPerEU: 27
; AccumOffset: 28
; Occupancy: 8
; WaveLimiterHint : 0
; COMPUTE_PGM_RSRC2:SCRATCH_EN: 0
; COMPUTE_PGM_RSRC2:USER_SGPR: 6
; COMPUTE_PGM_RSRC2:TRAP_HANDLER: 0
; COMPUTE_PGM_RSRC2:TGID_X_EN: 1
; COMPUTE_PGM_RSRC2:TGID_Y_EN: 1
; COMPUTE_PGM_RSRC2:TGID_Z_EN: 0
; COMPUTE_PGM_RSRC2:TIDIG_COMP_CNT: 0
; COMPUTE_PGM_RSRC3_GFX90A:ACCUM_OFFSET: 6
; COMPUTE_PGM_RSRC3_GFX90A:TG_SPLIT: 0
	.section	.text._ZN5aiter35fused_qk_rmsnorm_group_quant_kernelIDF16_N4opus5fp4_tELi256ELi8ELi8ELb1ELb1ELb0ELb0ELb0ELb0EEEvPT0_PvPT_S7_S7_PKS6_S9_S9_S9_S9_ffiiiiiiiiiiiii,"axG",@progbits,_ZN5aiter35fused_qk_rmsnorm_group_quant_kernelIDF16_N4opus5fp4_tELi256ELi8ELi8ELb1ELb1ELb0ELb0ELb0ELb0EEEvPT0_PvPT_S7_S7_PKS6_S9_S9_S9_S9_ffiiiiiiiiiiiii,comdat
	.protected	_ZN5aiter35fused_qk_rmsnorm_group_quant_kernelIDF16_N4opus5fp4_tELi256ELi8ELi8ELb1ELb1ELb0ELb0ELb0ELb0EEEvPT0_PvPT_S7_S7_PKS6_S9_S9_S9_S9_ffiiiiiiiiiiiii ; -- Begin function _ZN5aiter35fused_qk_rmsnorm_group_quant_kernelIDF16_N4opus5fp4_tELi256ELi8ELi8ELb1ELb1ELb0ELb0ELb0ELb0EEEvPT0_PvPT_S7_S7_PKS6_S9_S9_S9_S9_ffiiiiiiiiiiiii
	.globl	_ZN5aiter35fused_qk_rmsnorm_group_quant_kernelIDF16_N4opus5fp4_tELi256ELi8ELi8ELb1ELb1ELb0ELb0ELb0ELb0EEEvPT0_PvPT_S7_S7_PKS6_S9_S9_S9_S9_ffiiiiiiiiiiiii
	.p2align	8
	.type	_ZN5aiter35fused_qk_rmsnorm_group_quant_kernelIDF16_N4opus5fp4_tELi256ELi8ELi8ELb1ELb1ELb0ELb0ELb0ELb0EEEvPT0_PvPT_S7_S7_PKS6_S9_S9_S9_S9_ffiiiiiiiiiiiii,@function
_ZN5aiter35fused_qk_rmsnorm_group_quant_kernelIDF16_N4opus5fp4_tELi256ELi8ELi8ELb1ELb1ELb0ELb0ELb0ELb0EEEvPT0_PvPT_S7_S7_PKS6_S9_S9_S9_S9_ffiiiiiiiiiiiii: ; @_ZN5aiter35fused_qk_rmsnorm_group_quant_kernelIDF16_N4opus5fp4_tELi256ELi8ELi8ELb1ELb1ELb0ELb0ELb0ELb0EEEvPT0_PvPT_S7_S7_PKS6_S9_S9_S9_S9_ffiiiiiiiiiiiii
; %bb.0:
	s_load_dwordx8 s[20:27], s[4:5], 0x50
	s_waitcnt lgkmcnt(0)
	s_cmp_ge_i32 s6, s22
	s_cbranch_scc1 .LBB527_17
; %bb.1:
	s_cmp_lg_u32 s7, 0
	s_cselect_b64 s[30:31], -1, 0
	s_cmp_eq_u32 s7, 0
	s_cselect_b64 s[8:9], -1, 0
	s_and_b64 s[0:1], s[8:9], exec
	s_load_dwordx2 s[28:29], s[4:5], 0x48
	s_load_dwordx2 s[10:11], s[4:5], 0x30
	s_load_dwordx8 s[12:19], s[4:5], 0x70
	s_cselect_b32 s7, s23, s24
	s_add_i32 s0, s7, 1
	s_lshr_b32 s1, s0, 31
	s_add_i32 s0, s0, s1
	s_lshl_b32 s0, s0, 1
	v_lshlrev_b32_e32 v1, 3, v0
	s_and_b32 s38, s0, -4
	v_cmp_gt_i32_e64 s[0:1], s7, v1
	v_mov_b32_e32 v2, 0
	v_mov_b32_e32 v3, 0
	;; [unrolled: 1-line block ×8, first 2 shown]
	s_and_saveexec_b64 s[2:3], s[0:1]
	s_cbranch_execz .LBB527_3
; %bb.2:
	s_waitcnt lgkmcnt(0)
	s_load_dwordx2 s[18:19], s[4:5], 0x28
	s_load_dwordx2 s[34:35], s[4:5], 0x40
	s_and_b64 s[36:37], s[8:9], exec
	s_cselect_b32 s22, s25, s26
	s_mov_b32 s39, 0x20000
	s_waitcnt lgkmcnt(0)
	s_cselect_b32 s25, s19, s11
	s_cselect_b32 s33, s18, s10
	s_mul_hi_i32 s19, s22, s6
	s_mul_i32 s18, s22, s6
	s_lshl_b64 s[18:19], s[18:19], 1
	s_add_u32 s40, s33, s18
	s_addc_u32 s22, s25, s19
	s_and_b64 s[18:19], s[8:9], exec
	s_cselect_b32 s36, s34, s28
	s_cselect_b32 s18, s35, s29
	v_lshlrev_b32_e32 v10, 4, v0
	s_and_b32 s41, s22, 0xffff
	s_mov_b32 s42, s38
	s_mov_b32 s43, s39
	s_and_b32 s37, s18, 0xffff
	buffer_load_dwordx4 v[6:9], v10, s[40:43], 0 offen glc slc
	buffer_load_dwordx4 v[2:5], v10, s[36:39], 0 offen
.LBB527_3:
	s_or_b64 exec, exec, s[2:3]
	s_and_b64 vcc, exec, s[30:31]
	s_cbranch_vccz .LBB527_7
; %bb.4:
	v_mov_b32_e32 v11, 0
	v_mov_b32_e32 v10, 0
	;; [unrolled: 1-line block ×8, first 2 shown]
	s_and_saveexec_b64 s[2:3], s[0:1]
	s_cbranch_execz .LBB527_6
; %bb.5:
	s_waitcnt vmcnt(1)
	v_cvt_f32_f16_sdwa v17, v6 dst_sel:DWORD dst_unused:UNUSED_PAD src0_sel:WORD_1
	v_cvt_f32_f16_e32 v16, v6
	v_cvt_f32_f16_sdwa v15, v7 dst_sel:DWORD dst_unused:UNUSED_PAD src0_sel:WORD_1
	v_cvt_f32_f16_e32 v14, v7
	;; [unrolled: 2-line block ×4, first 2 shown]
.LBB527_6:
	s_or_b64 exec, exec, s[2:3]
	s_cbranch_execz .LBB527_8
	s_branch .LBB527_11
.LBB527_7:
                                        ; implicit-def: $vgpr11
                                        ; implicit-def: $vgpr13
                                        ; implicit-def: $vgpr15
                                        ; implicit-def: $vgpr17
.LBB527_8:
	v_mov_b32_e32 v11, 0
	v_mov_b32_e32 v10, 0
	;; [unrolled: 1-line block ×8, first 2 shown]
	s_and_saveexec_b64 s[2:3], s[0:1]
	s_cbranch_execz .LBB527_10
; %bb.9:
	s_waitcnt lgkmcnt(0)
	s_load_dwordx2 s[18:19], s[4:5], 0x38
	s_mul_hi_i32 s35, s27, s6
	s_mul_i32 s34, s27, s6
	s_lshl_b64 s[34:35], s[34:35], 1
	s_mov_b32 s39, 0x20000
	s_waitcnt lgkmcnt(0)
	s_add_u32 s36, s18, s34
	s_addc_u32 s18, s19, s35
	s_and_b32 s37, s18, 0xffff
	v_lshlrev_b32_e32 v26, 4, v0
	buffer_load_dwordx4 v[10:13], v26, s[36:39], 0 offen glc slc
	s_waitcnt vmcnt(2)
	v_cvt_f32_f16_sdwa v15, v6 dst_sel:DWORD dst_unused:UNUSED_PAD src0_sel:WORD_1
	v_cvt_f32_f16_e32 v14, v6
	v_cvt_f32_f16_sdwa v19, v7 dst_sel:DWORD dst_unused:UNUSED_PAD src0_sel:WORD_1
	v_cvt_f32_f16_e32 v18, v7
	;; [unrolled: 2-line block ×4, first 2 shown]
	s_load_dwordx2 s[18:19], s[4:5], 0x20
	s_mul_hi_i32 s35, s17, s6
	s_mul_i32 s34, s17, s6
	s_lshl_b64 s[34:35], s[34:35], 1
	s_waitcnt lgkmcnt(0)
	s_add_u32 s36, s18, s34
	s_addc_u32 s17, s19, s35
	s_and_b32 s37, s17, 0xffff
	s_waitcnt vmcnt(0)
	v_cvt_f32_f16_e32 v8, v10
	v_cvt_f32_f16_sdwa v9, v10 dst_sel:DWORD dst_unused:UNUSED_PAD src0_sel:WORD_1
	v_cvt_f32_f16_e32 v10, v11
	v_cvt_f32_f16_sdwa v11, v11 dst_sel:DWORD dst_unused:UNUSED_PAD src0_sel:WORD_1
	;; [unrolled: 2-line block ×4, first 2 shown]
	v_pk_add_f32 v[16:17], v[14:15], v[8:9]
	v_pk_add_f32 v[14:15], v[18:19], v[10:11]
	;; [unrolled: 1-line block ×4, first 2 shown]
	v_cvt_f16_f32_e32 v6, v17
	v_cvt_f16_f32_e32 v7, v15
	;; [unrolled: 1-line block ×8, first 2 shown]
	v_pack_b32_f16 v9, v18, v9
	v_pack_b32_f16 v8, v19, v8
	;; [unrolled: 1-line block ×4, first 2 shown]
	buffer_store_dwordx4 v[6:9], v26, s[36:39], 0 offen glc slc
	;;#ASMSTART
	s_nop 0
	;;#ASMEND
.LBB527_10:
	s_or_b64 exec, exec, s[2:3]
.LBB527_11:
	s_waitcnt vmcnt(1)
	v_mul_f32_e32 v6, v17, v17
	v_fmac_f32_e32 v6, v16, v16
	v_fmac_f32_e32 v6, v14, v14
	;; [unrolled: 1-line block ×7, first 2 shown]
	v_and_b32_e32 v8, 63, v0
	v_cmp_eq_u32_e64 s[2:3], 63, v8
	v_mov_b32_dpp v7, v6 quad_perm:[1,0,3,2] row_mask:0xf bank_mask:0xf
	v_add_f32_e32 v6, v6, v7
	s_nop 1
	v_mov_b32_dpp v7, v6 quad_perm:[2,3,0,1] row_mask:0xf bank_mask:0xf
	v_add_f32_e32 v6, v6, v7
	s_nop 1
	v_mov_b32_dpp v7, v6 row_half_mirror row_mask:0xf bank_mask:0xf
	v_add_f32_e32 v6, v6, v7
	s_nop 1
	v_mov_b32_dpp v7, v6 row_mirror row_mask:0xf bank_mask:0xf
	v_add_f32_e32 v6, v6, v7
	s_nop 1
	v_mov_b32_dpp v7, v6 row_bcast:15 row_mask:0xf bank_mask:0xf
	v_add_f32_e32 v6, v6, v7
	s_nop 1
	v_mov_b32_dpp v7, v6 row_bcast:31 row_mask:0xf bank_mask:0xf
	s_waitcnt lgkmcnt(0)
	s_and_saveexec_b64 s[18:19], s[2:3]
	s_cbranch_execz .LBB527_13
; %bb.12:
	v_add_f32_e32 v6, v6, v7
	v_lshrrev_b32_e32 v7, 4, v0
	v_and_b32_e32 v7, 60, v7
	ds_write_b32 v7, v6 offset:16
.LBB527_13:
	s_or_b64 exec, exec, s[18:19]
	v_and_b32_e32 v6, 3, v0
	v_lshlrev_b32_e32 v18, 2, v6
	s_waitcnt lgkmcnt(0)
	s_barrier
	ds_read_b32 v6, v18 offset:16
	s_load_dwordx2 s[18:19], s[4:5], 0x18
	s_waitcnt lgkmcnt(0)
	v_mov_b32_dpp v7, v6 quad_perm:[1,0,3,2] row_mask:0xf bank_mask:0xf
	v_add_f32_e32 v6, v6, v7
	s_nop 1
	v_mov_b32_dpp v7, v6 quad_perm:[2,3,0,1] row_mask:0xf bank_mask:0xf
	s_and_saveexec_b64 s[34:35], s[0:1]
	s_cbranch_execnz .LBB527_18
; %bb.14:
	s_or_b64 exec, exec, s[34:35]
	s_mov_b64 s[8:9], -1
	s_and_b64 vcc, exec, s[30:31]
	s_cbranch_vccnz .LBB527_19
.LBB527_15:
	s_andn2_b64 vcc, exec, s[8:9]
	s_cbranch_vccz .LBB527_22
.LBB527_16:
	s_cmp_lt_i32 s24, 1
	s_cbranch_scc0 .LBB527_31
.LBB527_17:
	s_endpgm
.LBB527_18:
	v_cvt_f32_u32_e32 v8, s7
	v_add_f32_e32 v6, v6, v7
	v_mov_b32_e32 v19, s21
	v_mov_b32_e32 v20, s20
	v_div_scale_f32 v7, s[36:37], v8, v8, v6
	v_rcp_f32_e32 v9, v7
	v_cndmask_b32_e64 v19, v19, v20, s[8:9]
	s_mov_b32 s7, 0x800000
	s_waitcnt vmcnt(0)
	v_cvt_f32_f16_sdwa v23, v5 dst_sel:DWORD dst_unused:UNUSED_PAD src0_sel:WORD_1
	v_fma_f32 v20, -v7, v9, 1.0
	v_fmac_f32_e32 v9, v20, v9
	v_div_scale_f32 v20, vcc, v6, v8, v6
	v_mul_f32_e32 v21, v20, v9
	v_fma_f32 v22, -v7, v21, v20
	v_fmac_f32_e32 v21, v22, v9
	v_fma_f32 v7, -v7, v21, v20
	v_div_fmas_f32 v7, v7, v9, v21
	v_div_fixup_f32 v6, v7, v8, v6
	v_add_f32_e32 v6, v19, v6
	v_mul_f32_e32 v7, 0x4b800000, v6
	v_cmp_gt_f32_e32 vcc, s7, v6
	v_cndmask_b32_e32 v6, v6, v7, vcc
	v_rsq_f32_e32 v6, v6
	v_cvt_f32_f16_sdwa v21, v3 dst_sel:DWORD dst_unused:UNUSED_PAD src0_sel:WORD_1
	v_cvt_f32_f16_e32 v20, v3
	v_cvt_f32_f16_sdwa v3, v4 dst_sel:DWORD dst_unused:UNUSED_PAD src0_sel:WORD_1
	v_mul_f32_e32 v7, 0x45800000, v6
	v_cndmask_b32_e32 v6, v6, v7, vcc
	v_mov_b32_e32 v7, v6
	;;#ASMSTART
	v_pk_mul_f32 v[8:9], v[16:17], v[6:7]
	;;#ASMEND
	;;#ASMSTART
	v_pk_mul_f32 v[14:15], v[14:15], v[6:7]
	;;#ASMEND
	;; [unrolled: 3-line block ×4, first 2 shown]
	v_cvt_f32_f16_sdwa v11, v2 dst_sel:DWORD dst_unused:UNUSED_PAD src0_sel:WORD_1
	v_cvt_f32_f16_e32 v10, v2
	v_cvt_f32_f16_e32 v2, v4
	;; [unrolled: 1-line block ×3, first 2 shown]
	;;#ASMSTART
	v_pk_mul_f32 v[16:17], v[8:9], v[10:11]
	;;#ASMEND
	;;#ASMSTART
	v_pk_mul_f32 v[14:15], v[14:15], v[20:21]
	;;#ASMEND
	;; [unrolled: 3-line block ×4, first 2 shown]
	s_or_b64 exec, exec, s[34:35]
	s_mov_b64 s[8:9], -1
	s_and_b64 vcc, exec, s[30:31]
	s_cbranch_vccz .LBB527_15
.LBB527_19:
	s_and_saveexec_b64 s[8:9], s[0:1]
	s_cbranch_execz .LBB527_21
; %bb.20:
	s_mul_hi_i32 s31, s16, s6
	s_mul_i32 s30, s16, s6
	s_waitcnt vmcnt(0)
	v_cvt_f16_f32_e32 v2, v16
	v_cvt_f16_f32_e32 v3, v14
	;; [unrolled: 1-line block ×8, first 2 shown]
	s_lshl_b64 s[30:31], s[30:31], 1
	s_add_u32 s36, s18, s30
	s_addc_u32 s7, s19, s31
	s_and_b32 s37, s7, 0xffff
	s_mov_b32 s39, 0x20000
	v_pack_b32_f16 v5, v5, v6
	v_pack_b32_f16 v4, v4, v7
	;; [unrolled: 1-line block ×4, first 2 shown]
	v_lshlrev_b32_e32 v6, 4, v0
	buffer_store_dwordx4 v[2:5], v6, s[36:39], 0 offen
	;;#ASMSTART
	s_nop 0
	;;#ASMEND
.LBB527_21:
	s_or_b64 exec, exec, s[8:9]
	s_cbranch_execnz .LBB527_16
.LBB527_22:
	s_waitcnt vmcnt(0)
	v_mov_b32_e32 v2, 0
	s_and_saveexec_b64 s[8:9], s[0:1]
	s_cbranch_execz .LBB527_24
; %bb.23:
	s_load_dwordx2 s[30:31], s[4:5], 0x10
	s_mul_hi_i32 s35, s15, s6
	s_mul_i32 s34, s15, s6
	v_cvt_f16_f32_e32 v2, v16
	v_cvt_f16_f32_e32 v3, v14
	;; [unrolled: 1-line block ×8, first 2 shown]
	s_lshl_b64 s[34:35], s[34:35], 1
	s_waitcnt lgkmcnt(0)
	s_add_u32 s36, s30, s34
	s_addc_u32 s7, s31, s35
	s_mov_b32 s39, 0x20000
	s_and_b32 s37, s7, 0xffff
	v_pack_b32_f16 v5, v5, v6
	v_pack_b32_f16 v4, v4, v7
	;; [unrolled: 1-line block ×4, first 2 shown]
	v_lshlrev_b32_e32 v6, 4, v0
	buffer_store_dwordx4 v[2:5], v6, s[36:39], 0 offen
	;;#ASMSTART
	s_nop 0
	;;#ASMEND
	s_nop 0
	v_mov_b32_e32 v2, 0x2edbe6ff
.LBB527_24:
	s_or_b64 exec, exec, s[8:9]
	s_and_saveexec_b64 s[8:9], s[0:1]
	s_cbranch_execz .LBB527_26
; %bb.25:
	v_and_b32_e32 v3, 0x7fffffff, v16
	v_and_b32_e32 v4, 0x7fffffff, v17
	;;#ASMSTART
	v_max3_f32 v2, v2, v3, v4

	;;#ASMEND
	v_and_b32_e32 v3, 0x7fffffff, v14
	v_and_b32_e32 v4, 0x7fffffff, v15
	;;#ASMSTART
	v_max3_f32 v2, v2, v3, v4

	;;#ASMEND
	;; [unrolled: 6-line block ×4, first 2 shown]
.LBB527_26:
	s_or_b64 exec, exec, s[8:9]
	;;#ASMSTART
	v_max_f32 v3, v2, v2 quad_perm:[1,0,3,2] row_mask:0xf bank_mask:0xf bound_ctrl:1
	;;#ASMEND
	;;#ASMSTART
	v_max_f32 v4, v3, v3 quad_perm:[2,3,0,1] row_mask:0xf bank_mask:0xf bound_ctrl:1
	;;#ASMEND
	v_and_b32_e32 v3, 7, v0
	v_cmp_eq_u32_e32 vcc, 0, v3
	v_cmp_gt_i32_e64 s[8:9], s23, v1
	s_and_b64 s[30:31], vcc, s[8:9]
	;;#ASMSTART
	v_max_f32 v2, v4, v4 row_half_mirror row_mask:0xf bank_mask:0xf bound_ctrl:1
	;;#ASMEND
	s_and_saveexec_b64 s[8:9], s[30:31]
	s_cbranch_execz .LBB527_28
; %bb.27:
	s_load_dwordx2 s[30:31], s[4:5], 0x8
	v_mul_f32_e32 v2, 0x3e2aaaab, v2
	v_lshrrev_b32_e32 v3, 23, v2
	v_and_b32_e32 v4, 0x7f800000, v2
	v_and_b32_e32 v2, 0x7fffff, v2
	v_cmp_ne_u32_e32 vcc, 0, v2
	s_mul_hi_i32 s15, s13, s6
	s_mul_i32 s13, s13, s6
	s_mov_b32 s7, 0x7f800000
	v_addc_co_u32_e32 v2, vcc, 0, v3, vcc
	s_waitcnt lgkmcnt(0)
	s_add_u32 s30, s30, s13
	v_cmp_ne_u32_e32 vcc, s7, v4
	s_addc_u32 s31, s31, s15
	v_lshrrev_b32_e32 v5, 3, v0
	v_cndmask_b32_e32 v4, -1, v2, vcc
	v_pk_mov_b32 v[2:3], s[30:31], s[30:31] op_sel:[0,1]
	v_mad_i64_i32 v[2:3], s[14:15], s14, v5, v[2:3]
	global_store_byte v[2:3], v4, off
.LBB527_28:
	s_or_b64 exec, exec, s[8:9]
	s_and_saveexec_b64 s[8:9], s[0:1]
	s_cbranch_execz .LBB527_30
; %bb.29:
	s_load_dwordx2 s[0:1], s[4:5], 0x0
	s_mul_hi_i32 s7, s12, s6
	s_mul_i32 s12, s12, s6
	v_lshlrev_b32_e32 v2, 2, v0
	s_mov_b32 s15, 0x20000
	s_waitcnt lgkmcnt(0)
	s_add_u32 s12, s0, s12
	s_addc_u32 s0, s1, s7
	s_lshr_b32 s1, s23, 31
	s_add_i32 s1, s23, s1
	s_ashr_i32 s1, s1, 1
	s_add_i32 s1, s1, 3
	s_ashr_i32 s7, s1, 31
	s_lshr_b32 s7, s7, 30
	s_add_i32 s1, s1, s7
	s_and_b32 s14, s1, -4
	s_and_b32 s13, s0, 0xffff
	v_mov_b32_e32 v3, 0
	buffer_store_dword v3, v2, s[12:15], 0 offen
	;;#ASMSTART
	s_nop 0
	;;#ASMEND
.LBB527_30:
	s_or_b64 exec, exec, s[8:9]
	s_cmp_lt_i32 s24, 1
	s_cbranch_scc1 .LBB527_17
.LBB527_31:
	s_load_dword s0, s[4:5], 0x94
	s_waitcnt lgkmcnt(0)
	s_cmp_lg_u32 s0, 1
	s_cbranch_scc1 .LBB527_17
; %bb.32:
	s_lshl_b32 s0, s24, 1
	s_add_i32 s0, s0, 2
	v_cmp_gt_u32_e32 vcc, s24, v1
	s_and_b32 s30, s0, -4
	v_mov_b32_e32 v10, 0
	v_lshlrev_b32_e32 v1, 4, v0
	v_mov_b32_e32 v6, 0
	v_mov_b32_e32 v7, 0
	v_mov_b32_e32 v8, 0
	v_mov_b32_e32 v9, 0
	s_waitcnt vmcnt(0)
	v_mov_b32_e32 v2, 0
	v_mov_b32_e32 v3, 0
	;; [unrolled: 1-line block ×4, first 2 shown]
	s_barrier
	s_and_saveexec_b64 s[0:1], vcc
	s_cbranch_execz .LBB527_34
; %bb.33:
	s_mul_hi_i32 s5, s26, s6
	s_mul_i32 s4, s26, s6
	s_and_b32 s29, s29, 0xffff
	s_lshl_b64 s[4:5], s[4:5], 1
	s_add_u32 s8, s10, s4
	s_mov_b32 s31, 0x20000
	s_addc_u32 s4, s11, s5
	s_and_b32 s9, s4, 0xffff
	s_mov_b32 s10, s30
	s_mov_b32 s11, s31
	buffer_load_dwordx4 v[6:9], v1, s[8:11], 0 offen glc slc
	buffer_load_dwordx4 v[2:5], v1, s[28:31], 0 offen
.LBB527_34:
	s_or_b64 exec, exec, s[0:1]
	v_mov_b32_e32 v11, 0
	v_mov_b32_e32 v16, 0
	v_mov_b32_e32 v17, 0
	v_mov_b32_e32 v14, 0
	v_mov_b32_e32 v15, 0
	v_mov_b32_e32 v12, 0
	v_mov_b32_e32 v13, 0
	s_and_saveexec_b64 s[0:1], vcc
	s_cbranch_execz .LBB527_36
; %bb.35:
	s_waitcnt vmcnt(1)
	v_cvt_f32_f16_sdwa v11, v6 dst_sel:DWORD dst_unused:UNUSED_PAD src0_sel:WORD_1
	v_cvt_f32_f16_e32 v10, v6
	v_cvt_f32_f16_sdwa v17, v7 dst_sel:DWORD dst_unused:UNUSED_PAD src0_sel:WORD_1
	v_cvt_f32_f16_e32 v16, v7
	;; [unrolled: 2-line block ×4, first 2 shown]
.LBB527_36:
	s_or_b64 exec, exec, s[0:1]
	s_waitcnt vmcnt(1)
	v_mul_f32_e32 v6, v11, v11
	v_fmac_f32_e32 v6, v10, v10
	v_fmac_f32_e32 v6, v16, v16
	;; [unrolled: 1-line block ×7, first 2 shown]
	s_nop 1
	v_mov_b32_dpp v7, v6 quad_perm:[1,0,3,2] row_mask:0xf bank_mask:0xf
	v_add_f32_e32 v6, v6, v7
	s_nop 1
	v_mov_b32_dpp v7, v6 quad_perm:[2,3,0,1] row_mask:0xf bank_mask:0xf
	v_add_f32_e32 v6, v6, v7
	s_nop 1
	v_mov_b32_dpp v7, v6 row_half_mirror row_mask:0xf bank_mask:0xf
	v_add_f32_e32 v6, v6, v7
	s_nop 1
	v_mov_b32_dpp v7, v6 row_mirror row_mask:0xf bank_mask:0xf
	v_add_f32_e32 v6, v6, v7
	s_nop 1
	v_mov_b32_dpp v7, v6 row_bcast:15 row_mask:0xf bank_mask:0xf
	v_add_f32_e32 v6, v6, v7
	s_nop 1
	v_mov_b32_dpp v7, v6 row_bcast:31 row_mask:0xf bank_mask:0xf
	s_and_saveexec_b64 s[0:1], s[2:3]
	s_cbranch_execz .LBB527_38
; %bb.37:
	v_lshrrev_b32_e32 v0, 4, v0
	v_add_f32_e32 v6, v6, v7
	v_and_b32_e32 v0, 60, v0
	ds_write_b32 v0, v6
.LBB527_38:
	s_or_b64 exec, exec, s[0:1]
	s_waitcnt lgkmcnt(0)
	s_barrier
	ds_read_b32 v0, v18
	s_waitcnt lgkmcnt(0)
	s_nop 0
	v_mov_b32_dpp v6, v0 quad_perm:[1,0,3,2] row_mask:0xf bank_mask:0xf
	v_add_f32_e32 v0, v0, v6
	s_nop 1
	v_mov_b32_dpp v6, v0 quad_perm:[2,3,0,1] row_mask:0xf bank_mask:0xf
	s_and_saveexec_b64 s[0:1], vcc
	s_cbranch_execz .LBB527_17
; %bb.39:
	v_cvt_f32_u32_e32 v7, s24
	v_add_f32_e32 v0, v0, v6
	s_mov_b32 s31, 0x20000
	v_div_scale_f32 v6, s[0:1], v7, v7, v0
	v_rcp_f32_e32 v8, v6
	v_div_scale_f32 v9, vcc, v0, v7, v0
	s_mov_b32 s0, 0x800000
	v_fma_f32 v18, -v6, v8, 1.0
	v_fmac_f32_e32 v8, v18, v8
	v_mul_f32_e32 v18, v9, v8
	v_fma_f32 v19, -v6, v18, v9
	v_fmac_f32_e32 v18, v19, v8
	v_fma_f32 v6, -v6, v18, v9
	v_div_fmas_f32 v6, v6, v8, v18
	v_div_fixup_f32 v0, v6, v7, v0
	v_add_f32_e32 v0, s21, v0
	v_mul_f32_e32 v6, 0x4b800000, v0
	v_cmp_gt_f32_e32 vcc, s0, v0
	v_cndmask_b32_e32 v0, v0, v6, vcc
	v_rsq_f32_e32 v0, v0
	s_waitcnt vmcnt(0)
	v_cvt_f32_f16_sdwa v19, v5 dst_sel:DWORD dst_unused:UNUSED_PAD src0_sel:WORD_1
	v_cvt_f32_f16_e32 v18, v5
	s_mul_hi_i32 s1, s16, s6
	v_mul_f32_e32 v6, 0x45800000, v0
	v_cndmask_b32_e32 v6, v0, v6, vcc
	v_mov_b32_e32 v7, v6
	;;#ASMSTART
	v_pk_mul_f32 v[8:9], v[10:11], v[6:7]
	;;#ASMEND
	;;#ASMSTART
	v_pk_mul_f32 v[10:11], v[16:17], v[6:7]
	;;#ASMEND
	;; [unrolled: 3-line block ×4, first 2 shown]
	v_cvt_f32_f16_sdwa v13, v2 dst_sel:DWORD dst_unused:UNUSED_PAD src0_sel:WORD_1
	v_cvt_f32_f16_e32 v12, v2
	v_cvt_f32_f16_sdwa v17, v3 dst_sel:DWORD dst_unused:UNUSED_PAD src0_sel:WORD_1
	v_cvt_f32_f16_e32 v16, v3
	;; [unrolled: 2-line block ×3, first 2 shown]
	;;#ASMSTART
	v_pk_mul_f32 v[4:5], v[8:9], v[12:13]
	;;#ASMEND
	;;#ASMSTART
	v_pk_mul_f32 v[8:9], v[10:11], v[16:17]
	;;#ASMEND
	;;#ASMSTART
	v_pk_mul_f32 v[2:3], v[14:15], v[2:3]
	;;#ASMEND
	;;#ASMSTART
	v_pk_mul_f32 v[6:7], v[6:7], v[18:19]
	;;#ASMEND
	s_mul_i32 s0, s16, s6
	v_cvt_f16_f32_e32 v0, v4
	v_cvt_f16_f32_e32 v4, v5
	;; [unrolled: 1-line block ×8, first 2 shown]
	s_lshl_b64 s[0:1], s[0:1], 1
	s_add_u32 s28, s18, s0
	s_addc_u32 s0, s19, s1
	s_and_b32 s29, s0, 0xffff
	v_pack_b32_f16 v2, v0, v4
	v_pack_b32_f16 v3, v5, v8
	;; [unrolled: 1-line block ×4, first 2 shown]
	buffer_store_dwordx4 v[2:5], v1, s[28:31], 0 offen
	;;#ASMSTART
	s_nop 0
	;;#ASMEND
	s_endpgm
	.section	.rodata,"a",@progbits
	.p2align	6, 0x0
	.amdhsa_kernel _ZN5aiter35fused_qk_rmsnorm_group_quant_kernelIDF16_N4opus5fp4_tELi256ELi8ELi8ELb1ELb1ELb0ELb0ELb0ELb0EEEvPT0_PvPT_S7_S7_PKS6_S9_S9_S9_S9_ffiiiiiiiiiiiii
		.amdhsa_group_segment_fixed_size 32
		.amdhsa_private_segment_fixed_size 0
		.amdhsa_kernarg_size 400
		.amdhsa_user_sgpr_count 6
		.amdhsa_user_sgpr_private_segment_buffer 1
		.amdhsa_user_sgpr_dispatch_ptr 0
		.amdhsa_user_sgpr_queue_ptr 0
		.amdhsa_user_sgpr_kernarg_segment_ptr 1
		.amdhsa_user_sgpr_dispatch_id 0
		.amdhsa_user_sgpr_flat_scratch_init 0
		.amdhsa_user_sgpr_kernarg_preload_length 0
		.amdhsa_user_sgpr_kernarg_preload_offset 0
		.amdhsa_user_sgpr_private_segment_size 0
		.amdhsa_uses_dynamic_stack 0
		.amdhsa_system_sgpr_private_segment_wavefront_offset 0
		.amdhsa_system_sgpr_workgroup_id_x 1
		.amdhsa_system_sgpr_workgroup_id_y 1
		.amdhsa_system_sgpr_workgroup_id_z 0
		.amdhsa_system_sgpr_workgroup_info 0
		.amdhsa_system_vgpr_workitem_id 0
		.amdhsa_next_free_vgpr 27
		.amdhsa_next_free_sgpr 44
		.amdhsa_accum_offset 28
		.amdhsa_reserve_vcc 1
		.amdhsa_reserve_flat_scratch 0
		.amdhsa_float_round_mode_32 0
		.amdhsa_float_round_mode_16_64 0
		.amdhsa_float_denorm_mode_32 3
		.amdhsa_float_denorm_mode_16_64 3
		.amdhsa_dx10_clamp 1
		.amdhsa_ieee_mode 1
		.amdhsa_fp16_overflow 0
		.amdhsa_tg_split 0
		.amdhsa_exception_fp_ieee_invalid_op 0
		.amdhsa_exception_fp_denorm_src 0
		.amdhsa_exception_fp_ieee_div_zero 0
		.amdhsa_exception_fp_ieee_overflow 0
		.amdhsa_exception_fp_ieee_underflow 0
		.amdhsa_exception_fp_ieee_inexact 0
		.amdhsa_exception_int_div_zero 0
	.end_amdhsa_kernel
	.section	.text._ZN5aiter35fused_qk_rmsnorm_group_quant_kernelIDF16_N4opus5fp4_tELi256ELi8ELi8ELb1ELb1ELb0ELb0ELb0ELb0EEEvPT0_PvPT_S7_S7_PKS6_S9_S9_S9_S9_ffiiiiiiiiiiiii,"axG",@progbits,_ZN5aiter35fused_qk_rmsnorm_group_quant_kernelIDF16_N4opus5fp4_tELi256ELi8ELi8ELb1ELb1ELb0ELb0ELb0ELb0EEEvPT0_PvPT_S7_S7_PKS6_S9_S9_S9_S9_ffiiiiiiiiiiiii,comdat
.Lfunc_end527:
	.size	_ZN5aiter35fused_qk_rmsnorm_group_quant_kernelIDF16_N4opus5fp4_tELi256ELi8ELi8ELb1ELb1ELb0ELb0ELb0ELb0EEEvPT0_PvPT_S7_S7_PKS6_S9_S9_S9_S9_ffiiiiiiiiiiiii, .Lfunc_end527-_ZN5aiter35fused_qk_rmsnorm_group_quant_kernelIDF16_N4opus5fp4_tELi256ELi8ELi8ELb1ELb1ELb0ELb0ELb0ELb0EEEvPT0_PvPT_S7_S7_PKS6_S9_S9_S9_S9_ffiiiiiiiiiiiii
                                        ; -- End function
	.section	.AMDGPU.csdata,"",@progbits
; Kernel info:
; codeLenInByte = 2828
; NumSgprs: 48
; NumVgprs: 27
; NumAgprs: 0
; TotalNumVgprs: 27
; ScratchSize: 0
; MemoryBound: 0
; FloatMode: 240
; IeeeMode: 1
; LDSByteSize: 32 bytes/workgroup (compile time only)
; SGPRBlocks: 5
; VGPRBlocks: 3
; NumSGPRsForWavesPerEU: 48
; NumVGPRsForWavesPerEU: 27
; AccumOffset: 28
; Occupancy: 8
; WaveLimiterHint : 0
; COMPUTE_PGM_RSRC2:SCRATCH_EN: 0
; COMPUTE_PGM_RSRC2:USER_SGPR: 6
; COMPUTE_PGM_RSRC2:TRAP_HANDLER: 0
; COMPUTE_PGM_RSRC2:TGID_X_EN: 1
; COMPUTE_PGM_RSRC2:TGID_Y_EN: 1
; COMPUTE_PGM_RSRC2:TGID_Z_EN: 0
; COMPUTE_PGM_RSRC2:TIDIG_COMP_CNT: 0
; COMPUTE_PGM_RSRC3_GFX90A:ACCUM_OFFSET: 6
; COMPUTE_PGM_RSRC3_GFX90A:TG_SPLIT: 0
	.section	.text._ZN5aiter35fused_qk_rmsnorm_group_quant_kernelItN4opus5fp4_tELi256ELi8ELi8ELb1ELb1ELb0ELb0ELb0ELb0EEEvPT0_PvPT_S7_S7_PKS6_S9_S9_S9_S9_ffiiiiiiiiiiiii,"axG",@progbits,_ZN5aiter35fused_qk_rmsnorm_group_quant_kernelItN4opus5fp4_tELi256ELi8ELi8ELb1ELb1ELb0ELb0ELb0ELb0EEEvPT0_PvPT_S7_S7_PKS6_S9_S9_S9_S9_ffiiiiiiiiiiiii,comdat
	.protected	_ZN5aiter35fused_qk_rmsnorm_group_quant_kernelItN4opus5fp4_tELi256ELi8ELi8ELb1ELb1ELb0ELb0ELb0ELb0EEEvPT0_PvPT_S7_S7_PKS6_S9_S9_S9_S9_ffiiiiiiiiiiiii ; -- Begin function _ZN5aiter35fused_qk_rmsnorm_group_quant_kernelItN4opus5fp4_tELi256ELi8ELi8ELb1ELb1ELb0ELb0ELb0ELb0EEEvPT0_PvPT_S7_S7_PKS6_S9_S9_S9_S9_ffiiiiiiiiiiiii
	.globl	_ZN5aiter35fused_qk_rmsnorm_group_quant_kernelItN4opus5fp4_tELi256ELi8ELi8ELb1ELb1ELb0ELb0ELb0ELb0EEEvPT0_PvPT_S7_S7_PKS6_S9_S9_S9_S9_ffiiiiiiiiiiiii
	.p2align	8
	.type	_ZN5aiter35fused_qk_rmsnorm_group_quant_kernelItN4opus5fp4_tELi256ELi8ELi8ELb1ELb1ELb0ELb0ELb0ELb0EEEvPT0_PvPT_S7_S7_PKS6_S9_S9_S9_S9_ffiiiiiiiiiiiii,@function
_ZN5aiter35fused_qk_rmsnorm_group_quant_kernelItN4opus5fp4_tELi256ELi8ELi8ELb1ELb1ELb0ELb0ELb0ELb0EEEvPT0_PvPT_S7_S7_PKS6_S9_S9_S9_S9_ffiiiiiiiiiiiii: ; @_ZN5aiter35fused_qk_rmsnorm_group_quant_kernelItN4opus5fp4_tELi256ELi8ELi8ELb1ELb1ELb0ELb0ELb0ELb0EEEvPT0_PvPT_S7_S7_PKS6_S9_S9_S9_S9_ffiiiiiiiiiiiii
; %bb.0:
	s_load_dwordx8 s[20:27], s[4:5], 0x50
	s_waitcnt lgkmcnt(0)
	s_cmp_ge_i32 s6, s22
	s_cbranch_scc1 .LBB528_17
; %bb.1:
	s_cmp_lg_u32 s7, 0
	s_cselect_b64 s[30:31], -1, 0
	s_cmp_eq_u32 s7, 0
	s_cselect_b64 s[8:9], -1, 0
	s_and_b64 s[0:1], s[8:9], exec
	s_load_dwordx2 s[28:29], s[4:5], 0x48
	s_load_dwordx2 s[10:11], s[4:5], 0x30
	s_load_dwordx8 s[12:19], s[4:5], 0x70
	s_cselect_b32 s7, s23, s24
	s_add_i32 s0, s7, 1
	s_lshr_b32 s1, s0, 31
	s_add_i32 s0, s0, s1
	s_lshl_b32 s0, s0, 1
	v_lshlrev_b32_e32 v1, 3, v0
	s_and_b32 s38, s0, -4
	v_cmp_gt_i32_e64 s[0:1], s7, v1
	v_mov_b32_e32 v10, 0
	v_mov_b32_e32 v11, 0
	;; [unrolled: 1-line block ×8, first 2 shown]
	s_and_saveexec_b64 s[2:3], s[0:1]
	s_cbranch_execz .LBB528_3
; %bb.2:
	s_waitcnt lgkmcnt(0)
	s_load_dwordx2 s[18:19], s[4:5], 0x28
	s_load_dwordx2 s[34:35], s[4:5], 0x40
	s_and_b64 s[36:37], s[8:9], exec
	s_cselect_b32 s22, s25, s26
	s_mov_b32 s39, 0x20000
	s_waitcnt lgkmcnt(0)
	s_cselect_b32 s25, s19, s11
	s_cselect_b32 s33, s18, s10
	s_mul_hi_i32 s19, s22, s6
	s_mul_i32 s18, s22, s6
	s_lshl_b64 s[18:19], s[18:19], 1
	s_add_u32 s40, s33, s18
	s_addc_u32 s22, s25, s19
	s_and_b64 s[18:19], s[8:9], exec
	s_cselect_b32 s36, s34, s28
	s_cselect_b32 s18, s35, s29
	v_lshlrev_b32_e32 v2, 4, v0
	s_and_b32 s41, s22, 0xffff
	s_mov_b32 s42, s38
	s_mov_b32 s43, s39
	s_and_b32 s37, s18, 0xffff
	buffer_load_dwordx4 v[14:17], v2, s[40:43], 0 offen glc slc
	buffer_load_dwordx4 v[10:13], v2, s[36:39], 0 offen
.LBB528_3:
	s_or_b64 exec, exec, s[2:3]
	s_and_b64 vcc, exec, s[30:31]
	s_cbranch_vccz .LBB528_7
; %bb.4:
	s_mov_b32 s40, 0
	s_mov_b32 s41, s40
	;; [unrolled: 1-line block ×8, first 2 shown]
	v_pk_mov_b32 v[2:3], s[40:41], s[40:41] op_sel:[0,1]
	v_pk_mov_b32 v[4:5], s[42:43], s[42:43] op_sel:[0,1]
	;; [unrolled: 1-line block ×4, first 2 shown]
	s_and_saveexec_b64 s[2:3], s[0:1]
	s_cbranch_execz .LBB528_6
; %bb.5:
	s_waitcnt vmcnt(1)
	v_cvt_f32_u32_sdwa v3, v14 dst_sel:DWORD dst_unused:UNUSED_PAD src0_sel:WORD_1
	v_cvt_f32_u32_sdwa v2, v14 dst_sel:DWORD dst_unused:UNUSED_PAD src0_sel:WORD_0
	v_cvt_f32_u32_sdwa v5, v15 dst_sel:DWORD dst_unused:UNUSED_PAD src0_sel:WORD_1
	v_cvt_f32_u32_sdwa v4, v15 dst_sel:DWORD dst_unused:UNUSED_PAD src0_sel:WORD_0
	;; [unrolled: 2-line block ×4, first 2 shown]
.LBB528_6:
	s_or_b64 exec, exec, s[2:3]
	s_cbranch_execz .LBB528_8
	s_branch .LBB528_11
.LBB528_7:
                                        ; implicit-def: $vgpr2_vgpr3_vgpr4_vgpr5_vgpr6_vgpr7_vgpr8_vgpr9
.LBB528_8:
	s_mov_b32 s40, 0
	s_mov_b32 s41, s40
	;; [unrolled: 1-line block ×8, first 2 shown]
	v_pk_mov_b32 v[2:3], s[40:41], s[40:41] op_sel:[0,1]
	v_pk_mov_b32 v[4:5], s[42:43], s[42:43] op_sel:[0,1]
	;; [unrolled: 1-line block ×4, first 2 shown]
	s_and_saveexec_b64 s[2:3], s[0:1]
	s_cbranch_execz .LBB528_10
; %bb.9:
	s_waitcnt lgkmcnt(0)
	s_load_dwordx2 s[18:19], s[4:5], 0x38
	s_mul_hi_i32 s35, s27, s6
	s_mul_i32 s34, s27, s6
	s_lshl_b64 s[34:35], s[34:35], 1
	s_mov_b32 s39, 0x20000
	s_waitcnt lgkmcnt(0)
	s_add_u32 s36, s18, s34
	s_addc_u32 s18, s19, s35
	s_and_b32 s37, s18, 0xffff
	v_lshlrev_b32_e32 v26, 4, v0
	buffer_load_dwordx4 v[2:5], v26, s[36:39], 0 offen glc slc
	s_load_dwordx2 s[18:19], s[4:5], 0x20
	s_waitcnt vmcnt(2)
	v_cvt_f32_u32_sdwa v7, v14 dst_sel:DWORD dst_unused:UNUSED_PAD src0_sel:WORD_1
	v_cvt_f32_u32_sdwa v6, v14 dst_sel:DWORD dst_unused:UNUSED_PAD src0_sel:WORD_0
	v_cvt_f32_u32_sdwa v9, v15 dst_sel:DWORD dst_unused:UNUSED_PAD src0_sel:WORD_1
	v_cvt_f32_u32_sdwa v8, v15 dst_sel:DWORD dst_unused:UNUSED_PAD src0_sel:WORD_0
	;; [unrolled: 2-line block ×4, first 2 shown]
	s_mul_hi_i32 s35, s17, s6
	s_mul_i32 s34, s17, s6
	s_lshl_b64 s[34:35], s[34:35], 1
	s_waitcnt lgkmcnt(0)
	s_add_u32 s36, s18, s34
	s_mov_b32 s17, 0x7060302
	s_addc_u32 s18, s19, s35
	s_and_b32 s37, s18, 0xffff
	s_waitcnt vmcnt(0)
	v_cvt_f32_u32_sdwa v17, v2 dst_sel:DWORD dst_unused:UNUSED_PAD src0_sel:WORD_1
	v_cvt_f32_u32_sdwa v16, v2 dst_sel:DWORD dst_unused:UNUSED_PAD src0_sel:WORD_0
	v_cvt_f32_u32_sdwa v21, v3 dst_sel:DWORD dst_unused:UNUSED_PAD src0_sel:WORD_1
	v_cvt_f32_u32_sdwa v20, v3 dst_sel:DWORD dst_unused:UNUSED_PAD src0_sel:WORD_0
	v_cvt_f32_u32_sdwa v23, v4 dst_sel:DWORD dst_unused:UNUSED_PAD src0_sel:WORD_1
	v_cvt_f32_u32_sdwa v22, v4 dst_sel:DWORD dst_unused:UNUSED_PAD src0_sel:WORD_0
	v_cvt_f32_u32_sdwa v25, v5 dst_sel:DWORD dst_unused:UNUSED_PAD src0_sel:WORD_1
	v_cvt_f32_u32_sdwa v24, v5 dst_sel:DWORD dst_unused:UNUSED_PAD src0_sel:WORD_0
	v_pk_add_f32 v[2:3], v[6:7], v[16:17]
	v_pk_add_f32 v[4:5], v[8:9], v[20:21]
	;; [unrolled: 1-line block ×4, first 2 shown]
	v_perm_b32 v17, v9, v8, s17
	v_perm_b32 v16, v7, v6, s17
	;; [unrolled: 1-line block ×4, first 2 shown]
	buffer_store_dwordx4 v[14:17], v26, s[36:39], 0 offen glc slc
	;;#ASMSTART
	s_nop 0
	;;#ASMEND
.LBB528_10:
	s_or_b64 exec, exec, s[2:3]
.LBB528_11:
	s_waitcnt vmcnt(1)
	v_mul_f32_e32 v14, v3, v3
	v_fmac_f32_e32 v14, v2, v2
	v_fmac_f32_e32 v14, v4, v4
	;; [unrolled: 1-line block ×7, first 2 shown]
	v_and_b32_e32 v16, 63, v0
	v_cmp_eq_u32_e64 s[2:3], 63, v16
	v_mov_b32_dpp v15, v14 quad_perm:[1,0,3,2] row_mask:0xf bank_mask:0xf
	v_add_f32_e32 v14, v14, v15
	s_nop 1
	v_mov_b32_dpp v15, v14 quad_perm:[2,3,0,1] row_mask:0xf bank_mask:0xf
	v_add_f32_e32 v14, v14, v15
	s_nop 1
	v_mov_b32_dpp v15, v14 row_half_mirror row_mask:0xf bank_mask:0xf
	v_add_f32_e32 v14, v14, v15
	s_nop 1
	v_mov_b32_dpp v15, v14 row_mirror row_mask:0xf bank_mask:0xf
	v_add_f32_e32 v14, v14, v15
	s_nop 1
	v_mov_b32_dpp v15, v14 row_bcast:15 row_mask:0xf bank_mask:0xf
	v_add_f32_e32 v14, v14, v15
	s_nop 1
	v_mov_b32_dpp v15, v14 row_bcast:31 row_mask:0xf bank_mask:0xf
	s_waitcnt lgkmcnt(0)
	s_and_saveexec_b64 s[18:19], s[2:3]
	s_cbranch_execz .LBB528_13
; %bb.12:
	v_add_f32_e32 v14, v14, v15
	v_lshrrev_b32_e32 v15, 4, v0
	v_and_b32_e32 v15, 60, v15
	ds_write_b32 v15, v14 offset:16
.LBB528_13:
	s_or_b64 exec, exec, s[18:19]
	v_and_b32_e32 v14, 3, v0
	v_lshlrev_b32_e32 v14, 2, v14
	s_waitcnt lgkmcnt(0)
	s_barrier
	ds_read_b32 v15, v14 offset:16
	s_load_dwordx2 s[18:19], s[4:5], 0x18
	s_waitcnt lgkmcnt(0)
	v_mov_b32_dpp v16, v15 quad_perm:[1,0,3,2] row_mask:0xf bank_mask:0xf
	v_add_f32_e32 v15, v15, v16
	s_nop 1
	v_mov_b32_dpp v16, v15 quad_perm:[2,3,0,1] row_mask:0xf bank_mask:0xf
	s_and_saveexec_b64 s[34:35], s[0:1]
	s_cbranch_execnz .LBB528_18
; %bb.14:
	s_or_b64 exec, exec, s[34:35]
	s_mov_b64 s[8:9], -1
	s_and_b64 vcc, exec, s[30:31]
	s_cbranch_vccnz .LBB528_19
.LBB528_15:
	s_andn2_b64 vcc, exec, s[8:9]
	s_cbranch_vccz .LBB528_22
.LBB528_16:
	s_cmp_lt_i32 s24, 1
	s_cbranch_scc0 .LBB528_31
.LBB528_17:
	s_endpgm
.LBB528_18:
	v_cvt_f32_u32_e32 v17, s7
	v_add_f32_e32 v15, v15, v16
	v_mov_b32_e32 v19, s21
	v_mov_b32_e32 v20, s20
	v_div_scale_f32 v16, s[36:37], v17, v17, v15
	v_rcp_f32_e32 v18, v16
	v_cndmask_b32_e64 v19, v19, v20, s[8:9]
	s_mov_b32 s7, 0x800000
	v_fma_f32 v20, -v16, v18, 1.0
	v_fmac_f32_e32 v18, v20, v18
	v_div_scale_f32 v20, vcc, v15, v17, v15
	v_mul_f32_e32 v21, v20, v18
	v_fma_f32 v22, -v16, v21, v20
	v_fmac_f32_e32 v21, v22, v18
	v_fma_f32 v16, -v16, v21, v20
	v_div_fmas_f32 v16, v16, v18, v21
	v_div_fixup_f32 v15, v16, v17, v15
	v_add_f32_e32 v15, v19, v15
	v_mul_f32_e32 v16, 0x4b800000, v15
	v_cmp_gt_f32_e32 vcc, s7, v15
	v_cndmask_b32_e32 v15, v15, v16, vcc
	v_rsq_f32_e32 v15, v15
	s_waitcnt vmcnt(0)
	v_cvt_f32_u32_sdwa v19, v11 dst_sel:DWORD dst_unused:UNUSED_PAD src0_sel:WORD_1
	v_cvt_f32_u32_sdwa v18, v11 dst_sel:DWORD dst_unused:UNUSED_PAD src0_sel:WORD_0
	v_cvt_f32_u32_sdwa v11, v12 dst_sel:DWORD dst_unused:UNUSED_PAD src0_sel:WORD_1
	v_mul_f32_e32 v16, 0x45800000, v15
	v_cndmask_b32_e32 v16, v15, v16, vcc
	v_mov_b32_e32 v17, v16
	;;#ASMSTART
	v_pk_mul_f32 v[2:3], v[2:3], v[16:17]
	;;#ASMEND
	;;#ASMSTART
	v_pk_mul_f32 v[4:5], v[4:5], v[16:17]
	;;#ASMEND
	;; [unrolled: 3-line block ×4, first 2 shown]
	v_cvt_f32_u32_sdwa v17, v10 dst_sel:DWORD dst_unused:UNUSED_PAD src0_sel:WORD_1
	v_cvt_f32_u32_sdwa v16, v10 dst_sel:DWORD dst_unused:UNUSED_PAD src0_sel:WORD_0
	v_cvt_f32_u32_sdwa v10, v12 dst_sel:DWORD dst_unused:UNUSED_PAD src0_sel:WORD_0
	v_cvt_f32_u32_sdwa v21, v13 dst_sel:DWORD dst_unused:UNUSED_PAD src0_sel:WORD_1
	v_cvt_f32_u32_sdwa v20, v13 dst_sel:DWORD dst_unused:UNUSED_PAD src0_sel:WORD_0
	;;#ASMSTART
	v_pk_mul_f32 v[2:3], v[2:3], v[16:17]
	;;#ASMEND
	;;#ASMSTART
	v_pk_mul_f32 v[4:5], v[4:5], v[18:19]
	;;#ASMEND
	;; [unrolled: 3-line block ×4, first 2 shown]
	s_or_b64 exec, exec, s[34:35]
	s_mov_b64 s[8:9], -1
	s_and_b64 vcc, exec, s[30:31]
	s_cbranch_vccz .LBB528_15
.LBB528_19:
	s_and_saveexec_b64 s[8:9], s[0:1]
	s_cbranch_execz .LBB528_21
; %bb.20:
	s_mul_hi_i32 s31, s16, s6
	s_mul_i32 s30, s16, s6
	s_lshl_b64 s[30:31], s[30:31], 1
	s_add_u32 s36, s18, s30
	s_addc_u32 s7, s19, s31
	s_and_b32 s37, s7, 0xffff
	s_mov_b32 s7, 0x7060302
	s_mov_b32 s39, 0x20000
	s_waitcnt vmcnt(0)
	v_perm_b32 v10, v3, v2, s7
	v_perm_b32 v11, v5, v4, s7
	;; [unrolled: 1-line block ×4, first 2 shown]
	v_lshlrev_b32_e32 v15, 4, v0
	buffer_store_dwordx4 v[10:13], v15, s[36:39], 0 offen
	;;#ASMSTART
	s_nop 0
	;;#ASMEND
.LBB528_21:
	s_or_b64 exec, exec, s[8:9]
	s_cbranch_execnz .LBB528_16
.LBB528_22:
	s_waitcnt vmcnt(0)
	v_mov_b32_e32 v10, 0
	s_and_saveexec_b64 s[8:9], s[0:1]
	s_cbranch_execz .LBB528_24
; %bb.23:
	s_load_dwordx2 s[30:31], s[4:5], 0x10
	s_mul_hi_i32 s35, s15, s6
	s_mul_i32 s34, s15, s6
	s_lshl_b64 s[34:35], s[34:35], 1
	s_mov_b32 s39, 0x20000
	s_waitcnt lgkmcnt(0)
	s_add_u32 s36, s30, s34
	s_addc_u32 s7, s31, s35
	s_and_b32 s37, s7, 0xffff
	s_mov_b32 s7, 0x7060302
	v_perm_b32 v10, v3, v2, s7
	v_perm_b32 v11, v5, v4, s7
	;; [unrolled: 1-line block ×4, first 2 shown]
	v_lshlrev_b32_e32 v15, 4, v0
	buffer_store_dwordx4 v[10:13], v15, s[36:39], 0 offen
	;;#ASMSTART
	s_nop 0
	;;#ASMEND
	s_nop 0
	v_mov_b32_e32 v10, 0x2edbe6ff
.LBB528_24:
	s_or_b64 exec, exec, s[8:9]
	s_and_saveexec_b64 s[8:9], s[0:1]
	s_cbranch_execz .LBB528_26
; %bb.25:
	v_and_b32_e32 v2, 0x7fffffff, v2
	v_and_b32_e32 v3, 0x7fffffff, v3
	;;#ASMSTART
	v_max3_f32 v2, v10, v2, v3

	;;#ASMEND
	v_and_b32_e32 v3, 0x7fffffff, v4
	v_and_b32_e32 v4, 0x7fffffff, v5
	;;#ASMSTART
	v_max3_f32 v2, v2, v3, v4

	;;#ASMEND
	;; [unrolled: 6-line block ×4, first 2 shown]
.LBB528_26:
	s_or_b64 exec, exec, s[8:9]
	;;#ASMSTART
	v_max_f32 v2, v10, v10 quad_perm:[1,0,3,2] row_mask:0xf bank_mask:0xf bound_ctrl:1
	;;#ASMEND
	;;#ASMSTART
	v_max_f32 v3, v2, v2 quad_perm:[2,3,0,1] row_mask:0xf bank_mask:0xf bound_ctrl:1
	;;#ASMEND
	;;#ASMSTART
	v_max_f32 v2, v3, v3 row_half_mirror row_mask:0xf bank_mask:0xf bound_ctrl:1
	;;#ASMEND
	v_and_b32_e32 v3, 7, v0
	v_cmp_eq_u32_e32 vcc, 0, v3
	v_cmp_gt_i32_e64 s[8:9], s23, v1
	s_and_b64 s[30:31], vcc, s[8:9]
	s_and_saveexec_b64 s[8:9], s[30:31]
	s_cbranch_execz .LBB528_28
; %bb.27:
	s_load_dwordx2 s[30:31], s[4:5], 0x8
	v_mul_f32_e32 v2, 0x3e2aaaab, v2
	v_lshrrev_b32_e32 v3, 23, v2
	v_and_b32_e32 v4, 0x7f800000, v2
	v_and_b32_e32 v2, 0x7fffff, v2
	v_cmp_ne_u32_e32 vcc, 0, v2
	s_mul_hi_i32 s15, s13, s6
	s_mul_i32 s13, s13, s6
	s_mov_b32 s7, 0x7f800000
	v_addc_co_u32_e32 v2, vcc, 0, v3, vcc
	s_waitcnt lgkmcnt(0)
	s_add_u32 s30, s30, s13
	v_cmp_ne_u32_e32 vcc, s7, v4
	s_addc_u32 s31, s31, s15
	v_lshrrev_b32_e32 v5, 3, v0
	v_cndmask_b32_e32 v4, -1, v2, vcc
	v_pk_mov_b32 v[2:3], s[30:31], s[30:31] op_sel:[0,1]
	v_mad_i64_i32 v[2:3], s[14:15], s14, v5, v[2:3]
	global_store_byte v[2:3], v4, off
.LBB528_28:
	s_or_b64 exec, exec, s[8:9]
	s_and_saveexec_b64 s[8:9], s[0:1]
	s_cbranch_execz .LBB528_30
; %bb.29:
	s_load_dwordx2 s[0:1], s[4:5], 0x0
	s_mul_hi_i32 s7, s12, s6
	s_mul_i32 s12, s12, s6
	v_lshlrev_b32_e32 v2, 2, v0
	s_mov_b32 s15, 0x20000
	s_waitcnt lgkmcnt(0)
	s_add_u32 s12, s0, s12
	s_addc_u32 s0, s1, s7
	s_lshr_b32 s1, s23, 31
	s_add_i32 s1, s23, s1
	s_ashr_i32 s1, s1, 1
	s_add_i32 s1, s1, 3
	s_ashr_i32 s7, s1, 31
	s_lshr_b32 s7, s7, 30
	s_add_i32 s1, s1, s7
	s_and_b32 s14, s1, -4
	s_and_b32 s13, s0, 0xffff
	v_mov_b32_e32 v3, 0
	buffer_store_dword v3, v2, s[12:15], 0 offen
	;;#ASMSTART
	s_nop 0
	;;#ASMEND
.LBB528_30:
	s_or_b64 exec, exec, s[8:9]
	s_cmp_lt_i32 s24, 1
	s_cbranch_scc1 .LBB528_17
.LBB528_31:
	s_load_dword s0, s[4:5], 0x94
	s_waitcnt lgkmcnt(0)
	s_cmp_lg_u32 s0, 1
	s_cbranch_scc1 .LBB528_17
; %bb.32:
	s_lshl_b32 s0, s24, 1
	s_add_i32 s0, s0, 2
	v_cmp_gt_u32_e32 vcc, s24, v1
	s_and_b32 s30, s0, -4
	v_mov_b32_e32 v6, 0
	v_lshlrev_b32_e32 v1, 4, v0
	v_mov_b32_e32 v7, 0
	v_mov_b32_e32 v8, 0
	;; [unrolled: 1-line block ×7, first 2 shown]
	s_barrier
	s_and_saveexec_b64 s[0:1], vcc
	s_cbranch_execz .LBB528_34
; %bb.33:
	s_mul_hi_i32 s5, s26, s6
	s_mul_i32 s4, s26, s6
	s_and_b32 s29, s29, 0xffff
	s_lshl_b64 s[4:5], s[4:5], 1
	s_add_u32 s8, s10, s4
	s_mov_b32 s31, 0x20000
	s_addc_u32 s4, s11, s5
	s_and_b32 s9, s4, 0xffff
	s_mov_b32 s10, s30
	s_mov_b32 s11, s31
	buffer_load_dwordx4 v[6:9], v1, s[8:11], 0 offen glc slc
	buffer_load_dwordx4 v[2:5], v1, s[28:31], 0 offen
.LBB528_34:
	s_or_b64 exec, exec, s[0:1]
	s_waitcnt vmcnt(0)
	v_cvt_f32_u32_sdwa v13, v6 dst_sel:DWORD dst_unused:UNUSED_PAD src0_sel:WORD_1
	v_cvt_f32_u32_sdwa v12, v6 dst_sel:DWORD dst_unused:UNUSED_PAD src0_sel:WORD_0
	v_cvt_f32_u32_sdwa v6, v9 dst_sel:DWORD dst_unused:UNUSED_PAD src0_sel:WORD_1
	v_cvt_f32_u32_sdwa v9, v9 dst_sel:DWORD dst_unused:UNUSED_PAD src0_sel:WORD_0
	;; [unrolled: 2-line block ×4, first 2 shown]
	v_cndmask_b32_e32 v13, 0, v13, vcc
	v_cndmask_b32_e32 v7, 0, v6, vcc
	;; [unrolled: 1-line block ×5, first 2 shown]
	v_mul_f32_e32 v15, v13, v13
	v_cndmask_b32_e32 v10, 0, v10, vcc
	v_fmac_f32_e32 v15, v12, v12
	v_cndmask_b32_e32 v11, 0, v11, vcc
	v_fmac_f32_e32 v15, v10, v10
	;; [unrolled: 2-line block ×3, first 2 shown]
	v_fmac_f32_e32 v15, v8, v8
	v_fmac_f32_e32 v15, v9, v9
	v_fmac_f32_e32 v15, v6, v6
	v_fmac_f32_e32 v15, v7, v7
	s_nop 1
	v_mov_b32_dpp v16, v15 quad_perm:[1,0,3,2] row_mask:0xf bank_mask:0xf
	v_add_f32_e32 v15, v15, v16
	s_nop 1
	v_mov_b32_dpp v16, v15 quad_perm:[2,3,0,1] row_mask:0xf bank_mask:0xf
	v_add_f32_e32 v15, v15, v16
	s_nop 1
	v_mov_b32_dpp v16, v15 row_half_mirror row_mask:0xf bank_mask:0xf
	v_add_f32_e32 v15, v15, v16
	s_nop 1
	v_mov_b32_dpp v16, v15 row_mirror row_mask:0xf bank_mask:0xf
	v_add_f32_e32 v15, v15, v16
	s_nop 1
	v_mov_b32_dpp v16, v15 row_bcast:15 row_mask:0xf bank_mask:0xf
	v_add_f32_e32 v15, v15, v16
	s_nop 1
	v_mov_b32_dpp v16, v15 row_bcast:31 row_mask:0xf bank_mask:0xf
	s_and_saveexec_b64 s[0:1], s[2:3]
	s_cbranch_execz .LBB528_36
; %bb.35:
	v_lshrrev_b32_e32 v0, 4, v0
	v_add_f32_e32 v15, v15, v16
	v_and_b32_e32 v0, 60, v0
	ds_write_b32 v0, v15
.LBB528_36:
	s_or_b64 exec, exec, s[0:1]
	s_waitcnt lgkmcnt(0)
	s_barrier
	ds_read_b32 v0, v14
	s_waitcnt lgkmcnt(0)
	s_nop 0
	v_mov_b32_dpp v14, v0 quad_perm:[1,0,3,2] row_mask:0xf bank_mask:0xf
	v_add_f32_e32 v0, v0, v14
	s_nop 1
	v_mov_b32_dpp v14, v0 quad_perm:[2,3,0,1] row_mask:0xf bank_mask:0xf
	s_and_saveexec_b64 s[0:1], vcc
	s_cbranch_execz .LBB528_17
; %bb.37:
	v_cvt_f32_u32_e32 v15, s24
	v_add_f32_e32 v0, v0, v14
	s_mov_b32 s31, 0x20000
	v_div_scale_f32 v14, s[0:1], v15, v15, v0
	v_rcp_f32_e32 v16, v14
	v_div_scale_f32 v17, vcc, v0, v15, v0
	s_mov_b32 s0, 0x800000
	v_fma_f32 v18, -v14, v16, 1.0
	v_fmac_f32_e32 v16, v18, v16
	v_mul_f32_e32 v18, v17, v16
	v_fma_f32 v19, -v14, v18, v17
	v_fmac_f32_e32 v18, v19, v16
	v_fma_f32 v14, -v14, v18, v17
	v_div_fmas_f32 v14, v14, v16, v18
	v_div_fixup_f32 v0, v14, v15, v0
	v_add_f32_e32 v0, s21, v0
	v_mul_f32_e32 v14, 0x4b800000, v0
	v_cmp_gt_f32_e32 vcc, s0, v0
	v_cndmask_b32_e32 v0, v0, v14, vcc
	v_rsq_f32_e32 v0, v0
	s_mul_hi_i32 s1, s16, s6
	s_mul_i32 s0, s16, s6
	s_lshl_b64 s[0:1], s[0:1], 1
	v_mul_f32_e32 v14, 0x45800000, v0
	v_cndmask_b32_e32 v14, v0, v14, vcc
	s_add_u32 s28, s18, s0
	v_mov_b32_e32 v15, v14
	s_addc_u32 s0, s19, s1
	;;#ASMSTART
	v_pk_mul_f32 v[12:13], v[12:13], v[14:15]
	;;#ASMEND
	;;#ASMSTART
	v_pk_mul_f32 v[10:11], v[10:11], v[14:15]
	;;#ASMEND
	;;#ASMSTART
	v_pk_mul_f32 v[8:9], v[8:9], v[14:15]
	;;#ASMEND
	;;#ASMSTART
	v_pk_mul_f32 v[6:7], v[6:7], v[14:15]
	;;#ASMEND
	v_cvt_f32_u32_sdwa v15, v2 dst_sel:DWORD dst_unused:UNUSED_PAD src0_sel:WORD_1
	v_cvt_f32_u32_sdwa v14, v2 dst_sel:DWORD dst_unused:UNUSED_PAD src0_sel:WORD_0
	v_cvt_f32_u32_sdwa v17, v3 dst_sel:DWORD dst_unused:UNUSED_PAD src0_sel:WORD_1
	v_cvt_f32_u32_sdwa v16, v3 dst_sel:DWORD dst_unused:UNUSED_PAD src0_sel:WORD_0
	;; [unrolled: 2-line block ×4, first 2 shown]
	;;#ASMSTART
	v_pk_mul_f32 v[4:5], v[12:13], v[14:15]
	;;#ASMEND
	s_and_b32 s29, s0, 0xffff
	s_mov_b32 s0, 0x7060302
	;;#ASMSTART
	v_pk_mul_f32 v[10:11], v[10:11], v[16:17]
	;;#ASMEND
	;;#ASMSTART
	v_pk_mul_f32 v[8:9], v[8:9], v[2:3]
	;;#ASMEND
	;; [unrolled: 3-line block ×3, first 2 shown]
	v_perm_b32 v2, v5, v4, s0
	v_perm_b32 v3, v11, v10, s0
	;; [unrolled: 1-line block ×4, first 2 shown]
	buffer_store_dwordx4 v[2:5], v1, s[28:31], 0 offen
	;;#ASMSTART
	s_nop 0
	;;#ASMEND
	s_endpgm
	.section	.rodata,"a",@progbits
	.p2align	6, 0x0
	.amdhsa_kernel _ZN5aiter35fused_qk_rmsnorm_group_quant_kernelItN4opus5fp4_tELi256ELi8ELi8ELb1ELb1ELb0ELb0ELb0ELb0EEEvPT0_PvPT_S7_S7_PKS6_S9_S9_S9_S9_ffiiiiiiiiiiiii
		.amdhsa_group_segment_fixed_size 32
		.amdhsa_private_segment_fixed_size 0
		.amdhsa_kernarg_size 400
		.amdhsa_user_sgpr_count 6
		.amdhsa_user_sgpr_private_segment_buffer 1
		.amdhsa_user_sgpr_dispatch_ptr 0
		.amdhsa_user_sgpr_queue_ptr 0
		.amdhsa_user_sgpr_kernarg_segment_ptr 1
		.amdhsa_user_sgpr_dispatch_id 0
		.amdhsa_user_sgpr_flat_scratch_init 0
		.amdhsa_user_sgpr_kernarg_preload_length 0
		.amdhsa_user_sgpr_kernarg_preload_offset 0
		.amdhsa_user_sgpr_private_segment_size 0
		.amdhsa_uses_dynamic_stack 0
		.amdhsa_system_sgpr_private_segment_wavefront_offset 0
		.amdhsa_system_sgpr_workgroup_id_x 1
		.amdhsa_system_sgpr_workgroup_id_y 1
		.amdhsa_system_sgpr_workgroup_id_z 0
		.amdhsa_system_sgpr_workgroup_info 0
		.amdhsa_system_vgpr_workitem_id 0
		.amdhsa_next_free_vgpr 27
		.amdhsa_next_free_sgpr 48
		.amdhsa_accum_offset 28
		.amdhsa_reserve_vcc 1
		.amdhsa_reserve_flat_scratch 0
		.amdhsa_float_round_mode_32 0
		.amdhsa_float_round_mode_16_64 0
		.amdhsa_float_denorm_mode_32 3
		.amdhsa_float_denorm_mode_16_64 3
		.amdhsa_dx10_clamp 1
		.amdhsa_ieee_mode 1
		.amdhsa_fp16_overflow 0
		.amdhsa_tg_split 0
		.amdhsa_exception_fp_ieee_invalid_op 0
		.amdhsa_exception_fp_denorm_src 0
		.amdhsa_exception_fp_ieee_div_zero 0
		.amdhsa_exception_fp_ieee_overflow 0
		.amdhsa_exception_fp_ieee_underflow 0
		.amdhsa_exception_fp_ieee_inexact 0
		.amdhsa_exception_int_div_zero 0
	.end_amdhsa_kernel
	.section	.text._ZN5aiter35fused_qk_rmsnorm_group_quant_kernelItN4opus5fp4_tELi256ELi8ELi8ELb1ELb1ELb0ELb0ELb0ELb0EEEvPT0_PvPT_S7_S7_PKS6_S9_S9_S9_S9_ffiiiiiiiiiiiii,"axG",@progbits,_ZN5aiter35fused_qk_rmsnorm_group_quant_kernelItN4opus5fp4_tELi256ELi8ELi8ELb1ELb1ELb0ELb0ELb0ELb0EEEvPT0_PvPT_S7_S7_PKS6_S9_S9_S9_S9_ffiiiiiiiiiiiii,comdat
.Lfunc_end528:
	.size	_ZN5aiter35fused_qk_rmsnorm_group_quant_kernelItN4opus5fp4_tELi256ELi8ELi8ELb1ELb1ELb0ELb0ELb0ELb0EEEvPT0_PvPT_S7_S7_PKS6_S9_S9_S9_S9_ffiiiiiiiiiiiii, .Lfunc_end528-_ZN5aiter35fused_qk_rmsnorm_group_quant_kernelItN4opus5fp4_tELi256ELi8ELi8ELb1ELb1ELb0ELb0ELb0ELb0EEEvPT0_PvPT_S7_S7_PKS6_S9_S9_S9_S9_ffiiiiiiiiiiiii
                                        ; -- End function
	.section	.AMDGPU.csdata,"",@progbits
; Kernel info:
; codeLenInByte = 2868
; NumSgprs: 52
; NumVgprs: 27
; NumAgprs: 0
; TotalNumVgprs: 27
; ScratchSize: 0
; MemoryBound: 0
; FloatMode: 240
; IeeeMode: 1
; LDSByteSize: 32 bytes/workgroup (compile time only)
; SGPRBlocks: 6
; VGPRBlocks: 3
; NumSGPRsForWavesPerEU: 52
; NumVGPRsForWavesPerEU: 27
; AccumOffset: 28
; Occupancy: 8
; WaveLimiterHint : 0
; COMPUTE_PGM_RSRC2:SCRATCH_EN: 0
; COMPUTE_PGM_RSRC2:USER_SGPR: 6
; COMPUTE_PGM_RSRC2:TRAP_HANDLER: 0
; COMPUTE_PGM_RSRC2:TGID_X_EN: 1
; COMPUTE_PGM_RSRC2:TGID_Y_EN: 1
; COMPUTE_PGM_RSRC2:TGID_Z_EN: 0
; COMPUTE_PGM_RSRC2:TIDIG_COMP_CNT: 0
; COMPUTE_PGM_RSRC3_GFX90A:ACCUM_OFFSET: 6
; COMPUTE_PGM_RSRC3_GFX90A:TG_SPLIT: 0
	.section	.text._ZN5aiter35fused_qk_rmsnorm_group_quant_kernelIDF16_DB8_Li256ELi8ELi8ELb1ELb0ELb1ELb0ELb0ELb0EEEvPT0_PvPT_S6_S6_PKS5_S8_S8_S8_S8_ffiiiiiiiiiiiii,"axG",@progbits,_ZN5aiter35fused_qk_rmsnorm_group_quant_kernelIDF16_DB8_Li256ELi8ELi8ELb1ELb0ELb1ELb0ELb0ELb0EEEvPT0_PvPT_S6_S6_PKS5_S8_S8_S8_S8_ffiiiiiiiiiiiii,comdat
	.protected	_ZN5aiter35fused_qk_rmsnorm_group_quant_kernelIDF16_DB8_Li256ELi8ELi8ELb1ELb0ELb1ELb0ELb0ELb0EEEvPT0_PvPT_S6_S6_PKS5_S8_S8_S8_S8_ffiiiiiiiiiiiii ; -- Begin function _ZN5aiter35fused_qk_rmsnorm_group_quant_kernelIDF16_DB8_Li256ELi8ELi8ELb1ELb0ELb1ELb0ELb0ELb0EEEvPT0_PvPT_S6_S6_PKS5_S8_S8_S8_S8_ffiiiiiiiiiiiii
	.globl	_ZN5aiter35fused_qk_rmsnorm_group_quant_kernelIDF16_DB8_Li256ELi8ELi8ELb1ELb0ELb1ELb0ELb0ELb0EEEvPT0_PvPT_S6_S6_PKS5_S8_S8_S8_S8_ffiiiiiiiiiiiii
	.p2align	8
	.type	_ZN5aiter35fused_qk_rmsnorm_group_quant_kernelIDF16_DB8_Li256ELi8ELi8ELb1ELb0ELb1ELb0ELb0ELb0EEEvPT0_PvPT_S6_S6_PKS5_S8_S8_S8_S8_ffiiiiiiiiiiiii,@function
_ZN5aiter35fused_qk_rmsnorm_group_quant_kernelIDF16_DB8_Li256ELi8ELi8ELb1ELb0ELb1ELb0ELb0ELb0EEEvPT0_PvPT_S6_S6_PKS5_S8_S8_S8_S8_ffiiiiiiiiiiiii: ; @_ZN5aiter35fused_qk_rmsnorm_group_quant_kernelIDF16_DB8_Li256ELi8ELi8ELb1ELb0ELb1ELb0ELb0ELb0EEEvPT0_PvPT_S6_S6_PKS5_S8_S8_S8_S8_ffiiiiiiiiiiiii
; %bb.0:
	s_load_dwordx8 s[12:19], s[4:5], 0x50
	s_waitcnt lgkmcnt(0)
	s_cmp_ge_i32 s6, s14
	s_cbranch_scc1 .LBB529_17
; %bb.1:
	s_cmp_lg_u32 s7, 0
	s_cselect_b64 s[10:11], -1, 0
	s_cmp_eq_u32 s7, 0
	s_cselect_b64 s[8:9], -1, 0
	s_and_b64 s[0:1], s[8:9], exec
	s_load_dwordx2 s[20:21], s[4:5], 0x48
	s_load_dwordx2 s[36:37], s[4:5], 0x30
	s_load_dwordx4 s[24:27], s[4:5], 0x70
	s_cselect_b32 s7, s15, s16
	s_add_i32 s0, s7, 1
	s_lshr_b32 s1, s0, 31
	s_add_i32 s0, s0, s1
	s_lshl_b32 s0, s0, 1
	v_lshlrev_b32_e32 v1, 3, v0
	s_and_b32 s30, s0, -4
	v_cmp_gt_i32_e64 s[0:1], s7, v1
	v_mov_b32_e32 v20, 0
	v_mov_b32_e32 v21, 0
	;; [unrolled: 1-line block ×8, first 2 shown]
	s_and_saveexec_b64 s[2:3], s[0:1]
	s_cbranch_execz .LBB529_3
; %bb.2:
	s_load_dwordx2 s[22:23], s[4:5], 0x28
	s_load_dwordx2 s[28:29], s[4:5], 0x40
	s_and_b64 s[34:35], s[8:9], exec
	s_cselect_b32 s14, s17, s18
	s_mov_b32 s31, 0x20000
	s_waitcnt lgkmcnt(0)
	s_cselect_b32 s17, s23, s37
	s_cselect_b32 s27, s22, s36
	s_mul_hi_i32 s23, s14, s6
	s_mul_i32 s22, s14, s6
	s_lshl_b64 s[22:23], s[22:23], 1
	s_add_u32 s40, s27, s22
	s_addc_u32 s14, s17, s23
	s_and_b64 s[22:23], s[8:9], exec
	s_cselect_b32 s28, s28, s20
	s_cselect_b32 s17, s29, s21
	v_lshlrev_b32_e32 v2, 4, v0
	s_and_b32 s41, s14, 0xffff
	s_mov_b32 s42, s30
	s_mov_b32 s43, s31
	s_and_b32 s29, s17, 0xffff
	buffer_load_dwordx4 v[24:27], v2, s[40:43], 0 offen glc slc
	buffer_load_dwordx4 v[20:23], v2, s[28:31], 0 offen
.LBB529_3:
	s_or_b64 exec, exec, s[2:3]
	s_load_dwordx2 s[34:35], s[4:5], 0x80
	s_and_b64 vcc, exec, s[10:11]
	s_cbranch_vccz .LBB529_7
; %bb.4:
	v_mov_b32_e32 v29, 0
	v_mov_b32_e32 v28, 0
	v_mov_b32_e32 v7, 0
	v_mov_b32_e32 v6, 0
	v_mov_b32_e32 v15, 0
	v_mov_b32_e32 v14, 0
	v_mov_b32_e32 v11, 0
	v_mov_b32_e32 v10, 0
	s_and_saveexec_b64 s[2:3], s[0:1]
	s_cbranch_execz .LBB529_6
; %bb.5:
	s_waitcnt vmcnt(1)
	v_cvt_f32_f16_sdwa v11, v24 dst_sel:DWORD dst_unused:UNUSED_PAD src0_sel:WORD_1
	v_cvt_f32_f16_e32 v10, v24
	v_cvt_f32_f16_sdwa v15, v25 dst_sel:DWORD dst_unused:UNUSED_PAD src0_sel:WORD_1
	v_cvt_f32_f16_e32 v14, v25
	;; [unrolled: 2-line block ×4, first 2 shown]
.LBB529_6:
	s_or_b64 exec, exec, s[2:3]
	s_cbranch_execz .LBB529_8
	s_branch .LBB529_11
.LBB529_7:
                                        ; implicit-def: $vgpr10_vgpr11_vgpr12_vgpr13_vgpr14_vgpr15_vgpr16_vgpr17
                                        ; implicit-def: $vgpr29
                                        ; implicit-def: $vgpr12_vgpr13_vgpr14_vgpr15_vgpr16_vgpr17_vgpr18_vgpr19
                                        ; implicit-def: $vgpr2_vgpr3_vgpr4_vgpr5_vgpr6_vgpr7_vgpr8_vgpr9
.LBB529_8:
	v_mov_b32_e32 v29, 0
	v_mov_b32_e32 v28, 0
	;; [unrolled: 1-line block ×8, first 2 shown]
	s_and_saveexec_b64 s[2:3], s[0:1]
	s_cbranch_execz .LBB529_10
; %bb.9:
	s_load_dwordx2 s[22:23], s[4:5], 0x38
	s_mul_hi_i32 s29, s19, s6
	s_mul_i32 s28, s19, s6
	s_lshl_b64 s[28:29], s[28:29], 1
	s_mov_b32 s31, 0x20000
	s_waitcnt lgkmcnt(0)
	s_add_u32 s28, s22, s28
	s_addc_u32 s14, s23, s29
	s_and_b32 s29, s14, 0xffff
	v_lshlrev_b32_e32 v30, 4, v0
	buffer_load_dwordx4 v[2:5], v30, s[28:31], 0 offen glc slc
	s_waitcnt vmcnt(2)
	v_cvt_f32_f16_sdwa v7, v24 dst_sel:DWORD dst_unused:UNUSED_PAD src0_sel:WORD_1
	v_cvt_f32_f16_e32 v6, v24
	v_cvt_f32_f16_sdwa v9, v25 dst_sel:DWORD dst_unused:UNUSED_PAD src0_sel:WORD_1
	v_cvt_f32_f16_e32 v8, v25
	;; [unrolled: 2-line block ×4, first 2 shown]
	s_load_dwordx2 s[22:23], s[4:5], 0x20
	s_mul_hi_i32 s29, s35, s6
	s_mul_i32 s28, s35, s6
	s_lshl_b64 s[28:29], s[28:29], 1
	s_waitcnt lgkmcnt(0)
	s_add_u32 s28, s22, s28
	s_addc_u32 s14, s23, s29
	s_and_b32 s29, s14, 0xffff
	s_waitcnt vmcnt(0)
	v_cvt_f32_f16_e32 v10, v2
	v_cvt_f32_f16_sdwa v11, v2 dst_sel:DWORD dst_unused:UNUSED_PAD src0_sel:WORD_1
	v_cvt_f32_f16_e32 v2, v3
	v_cvt_f32_f16_sdwa v3, v3 dst_sel:DWORD dst_unused:UNUSED_PAD src0_sel:WORD_1
	;; [unrolled: 2-line block ×4, first 2 shown]
	v_pk_add_f32 v[10:11], v[6:7], v[10:11]
	v_pk_add_f32 v[14:15], v[8:9], v[2:3]
	;; [unrolled: 1-line block ×4, first 2 shown]
	v_cvt_f16_f32_e32 v2, v11
	v_cvt_f16_f32_e32 v3, v15
	;; [unrolled: 1-line block ×8, first 2 shown]
	v_pack_b32_f16 v5, v8, v5
	v_pack_b32_f16 v4, v9, v4
	;; [unrolled: 1-line block ×4, first 2 shown]
	buffer_store_dwordx4 v[2:5], v30, s[28:31], 0 offen glc slc
	;;#ASMSTART
	s_nop 0
	;;#ASMEND
.LBB529_10:
	s_or_b64 exec, exec, s[2:3]
.LBB529_11:
	v_mul_f32_e32 v2, v11, v11
	v_fmac_f32_e32 v2, v10, v10
	v_fmac_f32_e32 v2, v14, v14
	;; [unrolled: 1-line block ×7, first 2 shown]
	v_and_b32_e32 v4, 63, v0
	v_cmp_eq_u32_e64 s[2:3], 63, v4
	v_mov_b32_dpp v3, v2 quad_perm:[1,0,3,2] row_mask:0xf bank_mask:0xf
	v_add_f32_e32 v2, v2, v3
	s_nop 1
	v_mov_b32_dpp v3, v2 quad_perm:[2,3,0,1] row_mask:0xf bank_mask:0xf
	v_add_f32_e32 v2, v2, v3
	s_nop 1
	v_mov_b32_dpp v3, v2 row_half_mirror row_mask:0xf bank_mask:0xf
	v_add_f32_e32 v2, v2, v3
	s_nop 1
	v_mov_b32_dpp v3, v2 row_mirror row_mask:0xf bank_mask:0xf
	v_add_f32_e32 v2, v2, v3
	s_nop 1
	v_mov_b32_dpp v3, v2 row_bcast:15 row_mask:0xf bank_mask:0xf
	v_add_f32_e32 v2, v2, v3
	s_nop 1
	v_mov_b32_dpp v3, v2 row_bcast:31 row_mask:0xf bank_mask:0xf
	s_and_saveexec_b64 s[22:23], s[2:3]
	s_cbranch_execz .LBB529_13
; %bb.12:
	v_add_f32_e32 v2, v2, v3
	v_lshrrev_b32_e32 v3, 4, v0
	v_and_b32_e32 v3, 60, v3
	ds_write_b32 v3, v2 offset:16
.LBB529_13:
	s_or_b64 exec, exec, s[22:23]
	v_and_b32_e32 v2, 3, v0
	v_lshlrev_b32_e32 v18, 2, v2
	s_waitcnt lgkmcnt(0)
	s_barrier
	ds_read_b32 v2, v18 offset:16
	s_load_dwordx2 s[38:39], s[4:5], 0x18
	s_waitcnt lgkmcnt(0)
	v_mov_b32_dpp v3, v2 quad_perm:[1,0,3,2] row_mask:0xf bank_mask:0xf
	v_add_f32_e32 v2, v2, v3
	s_nop 1
	v_mov_b32_dpp v3, v2 quad_perm:[2,3,0,1] row_mask:0xf bank_mask:0xf
	s_and_saveexec_b64 s[22:23], s[0:1]
	s_cbranch_execnz .LBB529_18
; %bb.14:
	s_or_b64 exec, exec, s[22:23]
	s_mov_b64 s[8:9], -1
	s_and_b64 vcc, exec, s[10:11]
	s_cbranch_vccnz .LBB529_19
.LBB529_15:
	s_andn2_b64 vcc, exec, s[8:9]
	s_cbranch_vccz .LBB529_22
.LBB529_16:
	s_cmp_lt_i32 s16, 1
	s_cbranch_scc0 .LBB529_29
.LBB529_17:
	s_endpgm
.LBB529_18:
	v_cvt_f32_u32_e32 v4, s7
	v_add_f32_e32 v2, v2, v3
	v_mov_b32_e32 v8, s13
	v_mov_b32_e32 v9, s12
	v_div_scale_f32 v3, s[28:29], v4, v4, v2
	v_rcp_f32_e32 v5, v3
	v_cndmask_b32_e64 v8, v8, v9, s[8:9]
	s_mov_b32 s7, 0x800000
	s_waitcnt vmcnt(0)
	v_cvt_f32_f16_sdwa v17, v23 dst_sel:DWORD dst_unused:UNUSED_PAD src0_sel:WORD_1
	v_fma_f32 v9, -v3, v5, 1.0
	v_fmac_f32_e32 v5, v9, v5
	v_div_scale_f32 v9, vcc, v2, v4, v2
	v_mul_f32_e32 v12, v9, v5
	v_fma_f32 v13, -v3, v12, v9
	v_fmac_f32_e32 v12, v13, v5
	v_fma_f32 v3, -v3, v12, v9
	v_div_fmas_f32 v3, v3, v5, v12
	v_div_fixup_f32 v2, v3, v4, v2
	v_add_f32_e32 v2, v8, v2
	v_mul_f32_e32 v3, 0x4b800000, v2
	v_cmp_gt_f32_e32 vcc, s7, v2
	v_cndmask_b32_e32 v2, v2, v3, vcc
	v_rsq_f32_e32 v2, v2
	v_cvt_f32_f16_sdwa v13, v21 dst_sel:DWORD dst_unused:UNUSED_PAD src0_sel:WORD_1
	v_cvt_f32_f16_e32 v12, v21
	v_cvt_f32_f16_e32 v16, v23
	v_mul_f32_e32 v3, 0x45800000, v2
	v_cndmask_b32_e32 v2, v2, v3, vcc
	v_mov_b32_e32 v3, v2
	;;#ASMSTART
	v_pk_mul_f32 v[4:5], v[10:11], v[2:3]
	;;#ASMEND
	v_cvt_f32_f16_sdwa v11, v20 dst_sel:DWORD dst_unused:UNUSED_PAD src0_sel:WORD_1
	v_cvt_f32_f16_e32 v10, v20
	;;#ASMSTART
	v_pk_mul_f32 v[8:9], v[14:15], v[2:3]
	;;#ASMEND
	;;#ASMSTART
	v_pk_mul_f32 v[6:7], v[6:7], v[2:3]
	;;#ASMEND
	;; [unrolled: 3-line block ×3, first 2 shown]
	v_pk_add_f32 v[10:11], v[10:11], 1.0 op_sel_hi:[1,0]
	;;#ASMSTART
	v_pk_mul_f32 v[10:11], v[4:5], v[10:11]
	;;#ASMEND
	v_pk_add_f32 v[4:5], v[12:13], 1.0 op_sel_hi:[1,0]
	v_cvt_f32_f16_sdwa v13, v22 dst_sel:DWORD dst_unused:UNUSED_PAD src0_sel:WORD_1
	v_cvt_f32_f16_e32 v12, v22
	;;#ASMSTART
	v_pk_mul_f32 v[14:15], v[8:9], v[4:5]
	;;#ASMEND
	v_pk_add_f32 v[4:5], v[12:13], 1.0 op_sel_hi:[1,0]
	;;#ASMSTART
	v_pk_mul_f32 v[6:7], v[6:7], v[4:5]
	;;#ASMEND
	v_pk_add_f32 v[4:5], v[16:17], 1.0 op_sel_hi:[1,0]
	;;#ASMSTART
	v_pk_mul_f32 v[28:29], v[2:3], v[4:5]
	;;#ASMEND
	s_or_b64 exec, exec, s[22:23]
	s_mov_b64 s[8:9], -1
	s_and_b64 vcc, exec, s[10:11]
	s_cbranch_vccz .LBB529_15
.LBB529_19:
	s_and_saveexec_b64 s[8:9], s[0:1]
	s_cbranch_execz .LBB529_21
; %bb.20:
	s_mul_hi_i32 s11, s34, s6
	s_mul_i32 s10, s34, s6
	v_cvt_f16_f32_e32 v2, v10
	v_cvt_f16_f32_e32 v3, v14
	;; [unrolled: 1-line block ×8, first 2 shown]
	s_lshl_b64 s[10:11], s[10:11], 1
	s_add_u32 s28, s38, s10
	s_addc_u32 s7, s39, s11
	s_and_b32 s29, s7, 0xffff
	s_mov_b32 s31, 0x20000
	v_pack_b32_f16 v5, v5, v8
	v_pack_b32_f16 v4, v4, v9
	;; [unrolled: 1-line block ×4, first 2 shown]
	v_lshlrev_b32_e32 v8, 4, v0
	buffer_store_dwordx4 v[2:5], v8, s[28:31], 0 offen
	;;#ASMSTART
	s_nop 0
	;;#ASMEND
.LBB529_21:
	s_or_b64 exec, exec, s[8:9]
	s_cbranch_execnz .LBB529_16
.LBB529_22:
	v_mov_b32_e32 v2, 0
	s_and_saveexec_b64 s[8:9], s[0:1]
	s_cbranch_execz .LBB529_24
; %bb.23:
	v_and_b32_e32 v2, 0x7fffffff, v10
	v_and_b32_e32 v3, 0x7fffffff, v11
	v_mov_b32_e32 v4, 0x2edbe6ff
	;;#ASMSTART
	v_max3_f32 v2, v4, v2, v3

	;;#ASMEND
	v_and_b32_e32 v3, 0x7fffffff, v14
	v_and_b32_e32 v4, 0x7fffffff, v15
	;;#ASMSTART
	v_max3_f32 v2, v2, v3, v4

	;;#ASMEND
	v_and_b32_e32 v3, 0x7fffffff, v6
	v_and_b32_e32 v4, 0x7fffffff, v7
	;; [unrolled: 6-line block ×3, first 2 shown]
	;;#ASMSTART
	v_max3_f32 v2, v2, v3, v4

	;;#ASMEND
.LBB529_24:
	s_or_b64 exec, exec, s[8:9]
	;;#ASMSTART
	v_max_f32 v3, v2, v2 quad_perm:[1,0,3,2] row_mask:0xf bank_mask:0xf bound_ctrl:1
	;;#ASMEND
	;;#ASMSTART
	v_max_f32 v2, v3, v3 quad_perm:[2,3,0,1] row_mask:0xf bank_mask:0xf bound_ctrl:1
	;;#ASMEND
	;;#ASMSTART
	v_max_f32 v3, v2, v2 row_half_mirror row_mask:0xf bank_mask:0xf bound_ctrl:1
	;;#ASMEND
	v_mul_f32_e32 v2, 0x3b124925, v3
	v_and_b32_e32 v3, 7, v0
	v_cmp_eq_u32_e32 vcc, 0, v3
	v_cmp_gt_i32_e64 s[8:9], s15, v1
	s_and_b64 s[10:11], vcc, s[8:9]
	s_and_saveexec_b64 s[8:9], s[10:11]
	s_cbranch_execz .LBB529_26
; %bb.25:
	s_load_dwordx2 s[10:11], s[4:5], 0x8
	s_mul_hi_i32 s23, s25, s6
	s_mul_i32 s22, s25, s6
	v_lshrrev_b32_e32 v3, 3, v0
	s_lshl_b64 s[22:23], s[22:23], 2
	v_mad_i64_i32 v[4:5], s[26:27], s26, v3, 0
	s_waitcnt lgkmcnt(0)
	s_add_u32 s7, s10, s22
	s_addc_u32 s10, s11, s23
	v_lshlrev_b64 v[4:5], 2, v[4:5]
	v_mov_b32_e32 v3, s10
	v_add_co_u32_e32 v4, vcc, s7, v4
	v_addc_co_u32_e32 v5, vcc, v3, v5, vcc
	global_store_dword v[4:5], v2, off
.LBB529_26:
	s_or_b64 exec, exec, s[8:9]
	;;#ASMSTART
	v_rcp_f32 v2, v2
	;;#ASMEND
	s_and_saveexec_b64 s[22:23], s[0:1]
	s_cbranch_execz .LBB529_28
; %bb.27:
	s_load_dwordx2 s[0:1], s[4:5], 0x0
	s_mul_i32 s8, s24, s6
	v_mov_b32_e32 v3, v2
	;;#ASMSTART
	v_pk_mul_f32 v[4:5], v[10:11], v[2:3]
	;;#ASMEND
	s_mul_hi_i32 s7, s24, s6
	s_waitcnt lgkmcnt(0)
	s_add_u32 s8, s0, s8
	v_mov_b32_e32 v8, 0xc3e00000
	v_mov_b32_e32 v9, 0x43e00000
	;;#ASMSTART
	v_med3_f32 v4, v4, v8, v9
v_med3_f32 v5, v5, v8, v9
v_cvt_pk_fp8_f32 v10, v4, v5
	;;#ASMEND
	s_addc_u32 s0, s1, s7
	;;#ASMSTART
	v_pk_mul_f32 v[4:5], v[14:15], v[2:3]
	;;#ASMEND
	s_and_b32 s9, s0, 0xffff
	;;#ASMSTART
	v_med3_f32 v4, v4, v8, v9
v_med3_f32 v5, v5, v8, v9
v_cvt_pk_fp8_f32 v11, v4, v5
	;;#ASMEND
	s_mov_b32 s0, 0x5040100
	v_perm_b32 v5, v11, v10, s0
	s_movk_i32 s0, 0xff
	v_and_b32_e32 v4, 0xffffff00, v11
	v_and_b32_sdwa v10, v5, s0 dst_sel:DWORD dst_unused:UNUSED_PAD src0_sel:WORD_1 src1_sel:DWORD
	s_mov_b32 s12, 0xffff
	v_or_b32_sdwa v4, v10, v4 dst_sel:WORD_1 dst_unused:UNUSED_PAD src0_sel:DWORD src1_sel:DWORD
	s_add_i32 s1, s15, 3
	v_and_or_b32 v4, v5, s12, v4
	;;#ASMSTART
	v_pk_mul_f32 v[6:7], v[6:7], v[2:3]
	;;#ASMEND
	v_mov_b32_e32 v5, v6
	s_ashr_i32 s7, s1, 31
	;;#ASMSTART
	v_med3_f32 v5, v5, v8, v9
v_med3_f32 v7, v7, v8, v9
v_cvt_pk_fp8_f32 v6, v5, v7
	;;#ASMEND
	;;#ASMSTART
	v_pk_mul_f32 v[2:3], v[28:29], v[2:3]
	;;#ASMEND
	s_lshr_b32 s7, s7, 30
	;;#ASMSTART
	v_med3_f32 v2, v2, v8, v9
v_med3_f32 v3, v3, v8, v9
v_cvt_pk_fp8_f32 v5, v2, v3
	;;#ASMEND
	s_add_i32 s1, s1, s7
	v_lshlrev_b32_e32 v2, 16, v5
	s_and_b32 s10, s1, -4
	s_mov_b32 s11, 0x20000
	v_and_or_b32 v5, v6, s12, v2
	buffer_store_dwordx2 v[4:5], v1, s[8:11], 0 offen
	;;#ASMSTART
	s_nop 0
	;;#ASMEND
.LBB529_28:
	s_or_b64 exec, exec, s[22:23]
	s_cmp_lt_i32 s16, 1
	s_cbranch_scc1 .LBB529_17
.LBB529_29:
	s_load_dword s0, s[4:5], 0x94
	s_waitcnt lgkmcnt(0)
	s_cmp_lg_u32 s0, 1
	s_cbranch_scc1 .LBB529_17
; %bb.30:
	s_lshl_b32 s0, s16, 1
	s_add_i32 s0, s0, 2
	v_cmp_gt_u32_e32 vcc, s16, v1
	s_and_b32 s22, s0, -4
	v_mov_b32_e32 v10, 0
	v_lshlrev_b32_e32 v1, 4, v0
	v_mov_b32_e32 v6, 0
	v_mov_b32_e32 v7, 0
	;; [unrolled: 1-line block ×8, first 2 shown]
	s_barrier
	s_and_saveexec_b64 s[0:1], vcc
	s_cbranch_execz .LBB529_32
; %bb.31:
	s_mul_hi_i32 s5, s18, s6
	s_mul_i32 s4, s18, s6
	s_and_b32 s21, s21, 0xffff
	s_lshl_b64 s[4:5], s[4:5], 1
	s_add_u32 s8, s36, s4
	s_mov_b32 s23, 0x20000
	s_addc_u32 s4, s37, s5
	s_and_b32 s9, s4, 0xffff
	s_mov_b32 s10, s22
	s_mov_b32 s11, s23
	buffer_load_dwordx4 v[6:9], v1, s[8:11], 0 offen glc slc
	buffer_load_dwordx4 v[2:5], v1, s[20:23], 0 offen
.LBB529_32:
	s_or_b64 exec, exec, s[0:1]
	v_mov_b32_e32 v11, 0
	v_mov_b32_e32 v16, 0
	;; [unrolled: 1-line block ×7, first 2 shown]
	s_and_saveexec_b64 s[0:1], vcc
	s_cbranch_execz .LBB529_34
; %bb.33:
	s_waitcnt vmcnt(1)
	v_cvt_f32_f16_sdwa v11, v6 dst_sel:DWORD dst_unused:UNUSED_PAD src0_sel:WORD_1
	v_cvt_f32_f16_e32 v10, v6
	v_cvt_f32_f16_sdwa v17, v7 dst_sel:DWORD dst_unused:UNUSED_PAD src0_sel:WORD_1
	v_cvt_f32_f16_e32 v16, v7
	;; [unrolled: 2-line block ×4, first 2 shown]
.LBB529_34:
	s_or_b64 exec, exec, s[0:1]
	s_waitcnt vmcnt(1)
	v_mul_f32_e32 v6, v11, v11
	v_fmac_f32_e32 v6, v10, v10
	v_fmac_f32_e32 v6, v16, v16
	;; [unrolled: 1-line block ×7, first 2 shown]
	s_nop 1
	v_mov_b32_dpp v7, v6 quad_perm:[1,0,3,2] row_mask:0xf bank_mask:0xf
	v_add_f32_e32 v6, v6, v7
	s_nop 1
	v_mov_b32_dpp v7, v6 quad_perm:[2,3,0,1] row_mask:0xf bank_mask:0xf
	v_add_f32_e32 v6, v6, v7
	s_nop 1
	v_mov_b32_dpp v7, v6 row_half_mirror row_mask:0xf bank_mask:0xf
	v_add_f32_e32 v6, v6, v7
	s_nop 1
	v_mov_b32_dpp v7, v6 row_mirror row_mask:0xf bank_mask:0xf
	v_add_f32_e32 v6, v6, v7
	s_nop 1
	v_mov_b32_dpp v7, v6 row_bcast:15 row_mask:0xf bank_mask:0xf
	v_add_f32_e32 v6, v6, v7
	s_nop 1
	v_mov_b32_dpp v7, v6 row_bcast:31 row_mask:0xf bank_mask:0xf
	s_and_saveexec_b64 s[0:1], s[2:3]
	s_cbranch_execz .LBB529_36
; %bb.35:
	v_lshrrev_b32_e32 v0, 4, v0
	v_add_f32_e32 v6, v6, v7
	v_and_b32_e32 v0, 60, v0
	ds_write_b32 v0, v6
.LBB529_36:
	s_or_b64 exec, exec, s[0:1]
	s_waitcnt lgkmcnt(0)
	s_barrier
	ds_read_b32 v0, v18
	s_waitcnt lgkmcnt(0)
	s_nop 0
	v_mov_b32_dpp v6, v0 quad_perm:[1,0,3,2] row_mask:0xf bank_mask:0xf
	v_add_f32_e32 v0, v0, v6
	s_nop 1
	v_mov_b32_dpp v6, v0 quad_perm:[2,3,0,1] row_mask:0xf bank_mask:0xf
	s_and_saveexec_b64 s[0:1], vcc
	s_cbranch_execz .LBB529_17
; %bb.37:
	v_cvt_f32_u32_e32 v7, s16
	v_add_f32_e32 v0, v0, v6
	s_mov_b32 s23, 0x20000
	v_div_scale_f32 v6, s[0:1], v7, v7, v0
	v_rcp_f32_e32 v8, v6
	v_div_scale_f32 v9, vcc, v0, v7, v0
	s_mov_b32 s0, 0x800000
	v_fma_f32 v18, -v6, v8, 1.0
	v_fmac_f32_e32 v8, v18, v8
	v_mul_f32_e32 v18, v9, v8
	v_fma_f32 v19, -v6, v18, v9
	v_fmac_f32_e32 v18, v19, v8
	v_fma_f32 v6, -v6, v18, v9
	v_div_fmas_f32 v6, v6, v8, v18
	v_div_fixup_f32 v0, v6, v7, v0
	v_add_f32_e32 v0, s13, v0
	v_mul_f32_e32 v6, 0x4b800000, v0
	v_cmp_gt_f32_e32 vcc, s0, v0
	v_cndmask_b32_e32 v0, v0, v6, vcc
	v_rsq_f32_e32 v0, v0
	s_waitcnt vmcnt(0)
	v_cvt_f32_f16_sdwa v19, v3 dst_sel:DWORD dst_unused:UNUSED_PAD src0_sel:WORD_1
	v_cvt_f32_f16_e32 v18, v3
	s_mul_hi_i32 s1, s34, s6
	v_mul_f32_e32 v6, 0x45800000, v0
	v_cndmask_b32_e32 v6, v0, v6, vcc
	v_mov_b32_e32 v7, v6
	;;#ASMSTART
	v_pk_mul_f32 v[8:9], v[10:11], v[6:7]
	;;#ASMEND
	;;#ASMSTART
	v_pk_mul_f32 v[10:11], v[16:17], v[6:7]
	;;#ASMEND
	v_cvt_f32_f16_sdwa v17, v2 dst_sel:DWORD dst_unused:UNUSED_PAD src0_sel:WORD_1
	v_cvt_f32_f16_e32 v16, v2
	;;#ASMSTART
	v_pk_mul_f32 v[14:15], v[14:15], v[6:7]
	;;#ASMEND
	;;#ASMSTART
	v_pk_mul_f32 v[2:3], v[12:13], v[6:7]
	;;#ASMEND
	v_cvt_f32_f16_sdwa v13, v4 dst_sel:DWORD dst_unused:UNUSED_PAD src0_sel:WORD_1
	v_cvt_f32_f16_e32 v12, v4
	v_pk_add_f32 v[6:7], v[16:17], 1.0 op_sel_hi:[1,0]
	v_cvt_f32_f16_sdwa v17, v5 dst_sel:DWORD dst_unused:UNUSED_PAD src0_sel:WORD_1
	v_cvt_f32_f16_e32 v16, v5
	;;#ASMSTART
	v_pk_mul_f32 v[6:7], v[8:9], v[6:7]
	;;#ASMEND
	v_pk_add_f32 v[8:9], v[18:19], 1.0 op_sel_hi:[1,0]
	;;#ASMSTART
	v_pk_mul_f32 v[4:5], v[10:11], v[8:9]
	;;#ASMEND
	v_pk_add_f32 v[8:9], v[12:13], 1.0 op_sel_hi:[1,0]
	;; [unrolled: 4-line block ×3, first 2 shown]
	;;#ASMSTART
	v_pk_mul_f32 v[2:3], v[2:3], v[10:11]
	;;#ASMEND
	s_mul_i32 s0, s34, s6
	v_cvt_f16_f32_e32 v0, v6
	v_cvt_f16_f32_e32 v6, v7
	;; [unrolled: 1-line block ×8, first 2 shown]
	s_lshl_b64 s[0:1], s[0:1], 1
	s_add_u32 s20, s38, s0
	s_addc_u32 s0, s39, s1
	s_and_b32 s21, s0, 0xffff
	v_pack_b32_f16 v2, v0, v6
	v_pack_b32_f16 v3, v4, v5
	;; [unrolled: 1-line block ×4, first 2 shown]
	buffer_store_dwordx4 v[2:5], v1, s[20:23], 0 offen
	;;#ASMSTART
	s_nop 0
	;;#ASMEND
	s_endpgm
	.section	.rodata,"a",@progbits
	.p2align	6, 0x0
	.amdhsa_kernel _ZN5aiter35fused_qk_rmsnorm_group_quant_kernelIDF16_DB8_Li256ELi8ELi8ELb1ELb0ELb1ELb0ELb0ELb0EEEvPT0_PvPT_S6_S6_PKS5_S8_S8_S8_S8_ffiiiiiiiiiiiii
		.amdhsa_group_segment_fixed_size 32
		.amdhsa_private_segment_fixed_size 0
		.amdhsa_kernarg_size 400
		.amdhsa_user_sgpr_count 6
		.amdhsa_user_sgpr_private_segment_buffer 1
		.amdhsa_user_sgpr_dispatch_ptr 0
		.amdhsa_user_sgpr_queue_ptr 0
		.amdhsa_user_sgpr_kernarg_segment_ptr 1
		.amdhsa_user_sgpr_dispatch_id 0
		.amdhsa_user_sgpr_flat_scratch_init 0
		.amdhsa_user_sgpr_kernarg_preload_length 0
		.amdhsa_user_sgpr_kernarg_preload_offset 0
		.amdhsa_user_sgpr_private_segment_size 0
		.amdhsa_uses_dynamic_stack 0
		.amdhsa_system_sgpr_private_segment_wavefront_offset 0
		.amdhsa_system_sgpr_workgroup_id_x 1
		.amdhsa_system_sgpr_workgroup_id_y 1
		.amdhsa_system_sgpr_workgroup_id_z 0
		.amdhsa_system_sgpr_workgroup_info 0
		.amdhsa_system_vgpr_workitem_id 0
		.amdhsa_next_free_vgpr 31
		.amdhsa_next_free_sgpr 44
		.amdhsa_accum_offset 32
		.amdhsa_reserve_vcc 1
		.amdhsa_reserve_flat_scratch 0
		.amdhsa_float_round_mode_32 0
		.amdhsa_float_round_mode_16_64 0
		.amdhsa_float_denorm_mode_32 3
		.amdhsa_float_denorm_mode_16_64 3
		.amdhsa_dx10_clamp 1
		.amdhsa_ieee_mode 1
		.amdhsa_fp16_overflow 0
		.amdhsa_tg_split 0
		.amdhsa_exception_fp_ieee_invalid_op 0
		.amdhsa_exception_fp_denorm_src 0
		.amdhsa_exception_fp_ieee_div_zero 0
		.amdhsa_exception_fp_ieee_overflow 0
		.amdhsa_exception_fp_ieee_underflow 0
		.amdhsa_exception_fp_ieee_inexact 0
		.amdhsa_exception_int_div_zero 0
	.end_amdhsa_kernel
	.section	.text._ZN5aiter35fused_qk_rmsnorm_group_quant_kernelIDF16_DB8_Li256ELi8ELi8ELb1ELb0ELb1ELb0ELb0ELb0EEEvPT0_PvPT_S6_S6_PKS5_S8_S8_S8_S8_ffiiiiiiiiiiiii,"axG",@progbits,_ZN5aiter35fused_qk_rmsnorm_group_quant_kernelIDF16_DB8_Li256ELi8ELi8ELb1ELb0ELb1ELb0ELb0ELb0EEEvPT0_PvPT_S6_S6_PKS5_S8_S8_S8_S8_ffiiiiiiiiiiiii,comdat
.Lfunc_end529:
	.size	_ZN5aiter35fused_qk_rmsnorm_group_quant_kernelIDF16_DB8_Li256ELi8ELi8ELb1ELb0ELb1ELb0ELb0ELb0EEEvPT0_PvPT_S6_S6_PKS5_S8_S8_S8_S8_ffiiiiiiiiiiiii, .Lfunc_end529-_ZN5aiter35fused_qk_rmsnorm_group_quant_kernelIDF16_DB8_Li256ELi8ELi8ELb1ELb0ELb1ELb0ELb0ELb0EEEvPT0_PvPT_S6_S6_PKS5_S8_S8_S8_S8_ffiiiiiiiiiiiii
                                        ; -- End function
	.section	.AMDGPU.csdata,"",@progbits
; Kernel info:
; codeLenInByte = 2908
; NumSgprs: 48
; NumVgprs: 31
; NumAgprs: 0
; TotalNumVgprs: 31
; ScratchSize: 0
; MemoryBound: 0
; FloatMode: 240
; IeeeMode: 1
; LDSByteSize: 32 bytes/workgroup (compile time only)
; SGPRBlocks: 5
; VGPRBlocks: 3
; NumSGPRsForWavesPerEU: 48
; NumVGPRsForWavesPerEU: 31
; AccumOffset: 32
; Occupancy: 8
; WaveLimiterHint : 0
; COMPUTE_PGM_RSRC2:SCRATCH_EN: 0
; COMPUTE_PGM_RSRC2:USER_SGPR: 6
; COMPUTE_PGM_RSRC2:TRAP_HANDLER: 0
; COMPUTE_PGM_RSRC2:TGID_X_EN: 1
; COMPUTE_PGM_RSRC2:TGID_Y_EN: 1
; COMPUTE_PGM_RSRC2:TGID_Z_EN: 0
; COMPUTE_PGM_RSRC2:TIDIG_COMP_CNT: 0
; COMPUTE_PGM_RSRC3_GFX90A:ACCUM_OFFSET: 7
; COMPUTE_PGM_RSRC3_GFX90A:TG_SPLIT: 0
	.section	.text._ZN5aiter35fused_qk_rmsnorm_group_quant_kernelItDB8_Li256ELi8ELi8ELb1ELb0ELb1ELb0ELb0ELb0EEEvPT0_PvPT_S6_S6_PKS5_S8_S8_S8_S8_ffiiiiiiiiiiiii,"axG",@progbits,_ZN5aiter35fused_qk_rmsnorm_group_quant_kernelItDB8_Li256ELi8ELi8ELb1ELb0ELb1ELb0ELb0ELb0EEEvPT0_PvPT_S6_S6_PKS5_S8_S8_S8_S8_ffiiiiiiiiiiiii,comdat
	.protected	_ZN5aiter35fused_qk_rmsnorm_group_quant_kernelItDB8_Li256ELi8ELi8ELb1ELb0ELb1ELb0ELb0ELb0EEEvPT0_PvPT_S6_S6_PKS5_S8_S8_S8_S8_ffiiiiiiiiiiiii ; -- Begin function _ZN5aiter35fused_qk_rmsnorm_group_quant_kernelItDB8_Li256ELi8ELi8ELb1ELb0ELb1ELb0ELb0ELb0EEEvPT0_PvPT_S6_S6_PKS5_S8_S8_S8_S8_ffiiiiiiiiiiiii
	.globl	_ZN5aiter35fused_qk_rmsnorm_group_quant_kernelItDB8_Li256ELi8ELi8ELb1ELb0ELb1ELb0ELb0ELb0EEEvPT0_PvPT_S6_S6_PKS5_S8_S8_S8_S8_ffiiiiiiiiiiiii
	.p2align	8
	.type	_ZN5aiter35fused_qk_rmsnorm_group_quant_kernelItDB8_Li256ELi8ELi8ELb1ELb0ELb1ELb0ELb0ELb0EEEvPT0_PvPT_S6_S6_PKS5_S8_S8_S8_S8_ffiiiiiiiiiiiii,@function
_ZN5aiter35fused_qk_rmsnorm_group_quant_kernelItDB8_Li256ELi8ELi8ELb1ELb0ELb1ELb0ELb0ELb0EEEvPT0_PvPT_S6_S6_PKS5_S8_S8_S8_S8_ffiiiiiiiiiiiii: ; @_ZN5aiter35fused_qk_rmsnorm_group_quant_kernelItDB8_Li256ELi8ELi8ELb1ELb0ELb1ELb0ELb0ELb0EEEvPT0_PvPT_S6_S6_PKS5_S8_S8_S8_S8_ffiiiiiiiiiiiii
; %bb.0:
	s_load_dwordx8 s[12:19], s[4:5], 0x50
	s_waitcnt lgkmcnt(0)
	s_cmp_ge_i32 s6, s14
	s_cbranch_scc1 .LBB530_17
; %bb.1:
	s_cmp_lg_u32 s7, 0
	s_cselect_b64 s[10:11], -1, 0
	s_cmp_eq_u32 s7, 0
	s_cselect_b64 s[8:9], -1, 0
	s_and_b64 s[0:1], s[8:9], exec
	s_load_dwordx2 s[20:21], s[4:5], 0x48
	s_load_dwordx2 s[36:37], s[4:5], 0x30
	s_load_dwordx4 s[24:27], s[4:5], 0x70
	s_cselect_b32 s7, s15, s16
	s_add_i32 s0, s7, 1
	s_lshr_b32 s1, s0, 31
	s_add_i32 s0, s0, s1
	s_lshl_b32 s0, s0, 1
	v_lshlrev_b32_e32 v1, 3, v0
	s_and_b32 s30, s0, -4
	v_cmp_gt_i32_e64 s[0:1], s7, v1
	v_mov_b32_e32 v10, 0
	v_mov_b32_e32 v11, 0
	;; [unrolled: 1-line block ×8, first 2 shown]
	s_and_saveexec_b64 s[2:3], s[0:1]
	s_cbranch_execz .LBB530_3
; %bb.2:
	s_load_dwordx2 s[22:23], s[4:5], 0x28
	s_load_dwordx2 s[28:29], s[4:5], 0x40
	s_and_b64 s[34:35], s[8:9], exec
	s_cselect_b32 s14, s17, s18
	s_mov_b32 s31, 0x20000
	s_waitcnt lgkmcnt(0)
	s_cselect_b32 s17, s23, s37
	s_cselect_b32 s27, s22, s36
	s_mul_hi_i32 s23, s14, s6
	s_mul_i32 s22, s14, s6
	s_lshl_b64 s[22:23], s[22:23], 1
	s_add_u32 s40, s27, s22
	s_addc_u32 s14, s17, s23
	s_and_b64 s[22:23], s[8:9], exec
	s_cselect_b32 s28, s28, s20
	s_cselect_b32 s17, s29, s21
	v_lshlrev_b32_e32 v2, 4, v0
	s_and_b32 s41, s14, 0xffff
	s_mov_b32 s42, s30
	s_mov_b32 s43, s31
	s_and_b32 s29, s17, 0xffff
	buffer_load_dwordx4 v[14:17], v2, s[40:43], 0 offen glc slc
	buffer_load_dwordx4 v[10:13], v2, s[28:31], 0 offen
.LBB530_3:
	s_or_b64 exec, exec, s[2:3]
	s_load_dwordx2 s[34:35], s[4:5], 0x80
	s_and_b64 vcc, exec, s[10:11]
	s_cbranch_vccz .LBB530_7
; %bb.4:
	s_mov_b32 s40, 0
	s_mov_b32 s41, s40
	;; [unrolled: 1-line block ×8, first 2 shown]
	v_pk_mov_b32 v[2:3], s[40:41], s[40:41] op_sel:[0,1]
	v_pk_mov_b32 v[4:5], s[42:43], s[42:43] op_sel:[0,1]
	;; [unrolled: 1-line block ×4, first 2 shown]
	s_and_saveexec_b64 s[2:3], s[0:1]
	s_cbranch_execz .LBB530_6
; %bb.5:
	s_waitcnt vmcnt(1)
	v_cvt_f32_u32_sdwa v3, v14 dst_sel:DWORD dst_unused:UNUSED_PAD src0_sel:WORD_1
	v_cvt_f32_u32_sdwa v2, v14 dst_sel:DWORD dst_unused:UNUSED_PAD src0_sel:WORD_0
	v_cvt_f32_u32_sdwa v5, v15 dst_sel:DWORD dst_unused:UNUSED_PAD src0_sel:WORD_1
	v_cvt_f32_u32_sdwa v4, v15 dst_sel:DWORD dst_unused:UNUSED_PAD src0_sel:WORD_0
	;; [unrolled: 2-line block ×4, first 2 shown]
.LBB530_6:
	s_or_b64 exec, exec, s[2:3]
	s_cbranch_execz .LBB530_8
	s_branch .LBB530_11
.LBB530_7:
                                        ; implicit-def: $vgpr2_vgpr3_vgpr4_vgpr5_vgpr6_vgpr7_vgpr8_vgpr9
.LBB530_8:
	s_mov_b32 s40, 0
	s_mov_b32 s41, s40
	;; [unrolled: 1-line block ×8, first 2 shown]
	v_pk_mov_b32 v[2:3], s[40:41], s[40:41] op_sel:[0,1]
	v_pk_mov_b32 v[4:5], s[42:43], s[42:43] op_sel:[0,1]
	;; [unrolled: 1-line block ×4, first 2 shown]
	s_and_saveexec_b64 s[2:3], s[0:1]
	s_cbranch_execz .LBB530_10
; %bb.9:
	s_load_dwordx2 s[22:23], s[4:5], 0x38
	s_mul_hi_i32 s29, s19, s6
	s_mul_i32 s28, s19, s6
	s_lshl_b64 s[28:29], s[28:29], 1
	s_mov_b32 s31, 0x20000
	s_waitcnt lgkmcnt(0)
	s_add_u32 s28, s22, s28
	s_addc_u32 s14, s23, s29
	s_and_b32 s29, s14, 0xffff
	v_lshlrev_b32_e32 v26, 4, v0
	buffer_load_dwordx4 v[2:5], v26, s[28:31], 0 offen glc slc
	s_load_dwordx2 s[22:23], s[4:5], 0x20
	s_waitcnt vmcnt(2)
	v_cvt_f32_u32_sdwa v7, v14 dst_sel:DWORD dst_unused:UNUSED_PAD src0_sel:WORD_1
	v_cvt_f32_u32_sdwa v6, v14 dst_sel:DWORD dst_unused:UNUSED_PAD src0_sel:WORD_0
	v_cvt_f32_u32_sdwa v9, v15 dst_sel:DWORD dst_unused:UNUSED_PAD src0_sel:WORD_1
	v_cvt_f32_u32_sdwa v8, v15 dst_sel:DWORD dst_unused:UNUSED_PAD src0_sel:WORD_0
	v_cvt_f32_u32_sdwa v15, v16 dst_sel:DWORD dst_unused:UNUSED_PAD src0_sel:WORD_1
	v_cvt_f32_u32_sdwa v14, v16 dst_sel:DWORD dst_unused:UNUSED_PAD src0_sel:WORD_0
	v_cvt_f32_u32_sdwa v19, v17 dst_sel:DWORD dst_unused:UNUSED_PAD src0_sel:WORD_1
	v_cvt_f32_u32_sdwa v18, v17 dst_sel:DWORD dst_unused:UNUSED_PAD src0_sel:WORD_0
	s_mul_hi_i32 s29, s35, s6
	s_mul_i32 s28, s35, s6
	s_lshl_b64 s[28:29], s[28:29], 1
	s_waitcnt lgkmcnt(0)
	s_add_u32 s28, s22, s28
	s_mov_b32 s14, 0x7060302
	s_addc_u32 s17, s23, s29
	s_and_b32 s29, s17, 0xffff
	s_waitcnt vmcnt(0)
	v_cvt_f32_u32_sdwa v17, v2 dst_sel:DWORD dst_unused:UNUSED_PAD src0_sel:WORD_1
	v_cvt_f32_u32_sdwa v16, v2 dst_sel:DWORD dst_unused:UNUSED_PAD src0_sel:WORD_0
	v_cvt_f32_u32_sdwa v21, v3 dst_sel:DWORD dst_unused:UNUSED_PAD src0_sel:WORD_1
	v_cvt_f32_u32_sdwa v20, v3 dst_sel:DWORD dst_unused:UNUSED_PAD src0_sel:WORD_0
	;; [unrolled: 2-line block ×4, first 2 shown]
	v_pk_add_f32 v[2:3], v[6:7], v[16:17]
	v_pk_add_f32 v[4:5], v[8:9], v[20:21]
	;; [unrolled: 1-line block ×4, first 2 shown]
	v_perm_b32 v17, v9, v8, s14
	v_perm_b32 v16, v7, v6, s14
	;; [unrolled: 1-line block ×4, first 2 shown]
	buffer_store_dwordx4 v[14:17], v26, s[28:31], 0 offen glc slc
	;;#ASMSTART
	s_nop 0
	;;#ASMEND
.LBB530_10:
	s_or_b64 exec, exec, s[2:3]
.LBB530_11:
	s_waitcnt vmcnt(1)
	v_mul_f32_e32 v14, v3, v3
	v_fmac_f32_e32 v14, v2, v2
	v_fmac_f32_e32 v14, v4, v4
	;; [unrolled: 1-line block ×7, first 2 shown]
	v_and_b32_e32 v16, 63, v0
	v_cmp_eq_u32_e64 s[2:3], 63, v16
	v_mov_b32_dpp v15, v14 quad_perm:[1,0,3,2] row_mask:0xf bank_mask:0xf
	v_add_f32_e32 v14, v14, v15
	s_nop 1
	v_mov_b32_dpp v15, v14 quad_perm:[2,3,0,1] row_mask:0xf bank_mask:0xf
	v_add_f32_e32 v14, v14, v15
	s_nop 1
	v_mov_b32_dpp v15, v14 row_half_mirror row_mask:0xf bank_mask:0xf
	v_add_f32_e32 v14, v14, v15
	s_nop 1
	v_mov_b32_dpp v15, v14 row_mirror row_mask:0xf bank_mask:0xf
	v_add_f32_e32 v14, v14, v15
	s_nop 1
	v_mov_b32_dpp v15, v14 row_bcast:15 row_mask:0xf bank_mask:0xf
	v_add_f32_e32 v14, v14, v15
	s_nop 1
	v_mov_b32_dpp v15, v14 row_bcast:31 row_mask:0xf bank_mask:0xf
	s_and_saveexec_b64 s[22:23], s[2:3]
	s_cbranch_execz .LBB530_13
; %bb.12:
	v_add_f32_e32 v14, v14, v15
	v_lshrrev_b32_e32 v15, 4, v0
	v_and_b32_e32 v15, 60, v15
	ds_write_b32 v15, v14 offset:16
.LBB530_13:
	s_or_b64 exec, exec, s[22:23]
	v_and_b32_e32 v14, 3, v0
	v_lshlrev_b32_e32 v14, 2, v14
	s_waitcnt lgkmcnt(0)
	s_barrier
	ds_read_b32 v15, v14 offset:16
	s_load_dwordx2 s[38:39], s[4:5], 0x18
	s_waitcnt lgkmcnt(0)
	v_mov_b32_dpp v16, v15 quad_perm:[1,0,3,2] row_mask:0xf bank_mask:0xf
	v_add_f32_e32 v15, v15, v16
	s_nop 1
	v_mov_b32_dpp v16, v15 quad_perm:[2,3,0,1] row_mask:0xf bank_mask:0xf
	s_and_saveexec_b64 s[22:23], s[0:1]
	s_cbranch_execnz .LBB530_18
; %bb.14:
	s_or_b64 exec, exec, s[22:23]
	s_mov_b64 s[8:9], -1
	s_and_b64 vcc, exec, s[10:11]
	s_cbranch_vccnz .LBB530_19
.LBB530_15:
	s_andn2_b64 vcc, exec, s[8:9]
	s_cbranch_vccz .LBB530_22
.LBB530_16:
	s_cmp_lt_i32 s16, 1
	s_cbranch_scc0 .LBB530_29
.LBB530_17:
	s_endpgm
.LBB530_18:
	v_cvt_f32_u32_e32 v17, s7
	v_add_f32_e32 v15, v15, v16
	v_mov_b32_e32 v19, s13
	v_mov_b32_e32 v20, s12
	v_div_scale_f32 v16, s[28:29], v17, v17, v15
	v_rcp_f32_e32 v18, v16
	v_cndmask_b32_e64 v19, v19, v20, s[8:9]
	s_mov_b32 s7, 0x800000
	v_fma_f32 v20, -v16, v18, 1.0
	v_fmac_f32_e32 v18, v20, v18
	v_div_scale_f32 v20, vcc, v15, v17, v15
	v_mul_f32_e32 v21, v20, v18
	v_fma_f32 v22, -v16, v21, v20
	v_fmac_f32_e32 v21, v22, v18
	v_fma_f32 v16, -v16, v21, v20
	v_div_fmas_f32 v16, v16, v18, v21
	v_div_fixup_f32 v15, v16, v17, v15
	v_add_f32_e32 v15, v19, v15
	v_mul_f32_e32 v16, 0x4b800000, v15
	v_cmp_gt_f32_e32 vcc, s7, v15
	v_cndmask_b32_e32 v15, v15, v16, vcc
	v_rsq_f32_e32 v15, v15
	s_waitcnt vmcnt(0)
	v_cvt_f32_u32_sdwa v19, v10 dst_sel:DWORD dst_unused:UNUSED_PAD src0_sel:WORD_1
	v_cvt_f32_u32_sdwa v18, v10 dst_sel:DWORD dst_unused:UNUSED_PAD src0_sel:WORD_0
	v_cvt_f32_u32_sdwa v21, v11 dst_sel:DWORD dst_unused:UNUSED_PAD src0_sel:WORD_1
	v_mul_f32_e32 v16, 0x45800000, v15
	v_cndmask_b32_e32 v16, v15, v16, vcc
	v_mov_b32_e32 v17, v16
	v_cvt_f32_u32_sdwa v20, v11 dst_sel:DWORD dst_unused:UNUSED_PAD src0_sel:WORD_0
	;;#ASMSTART
	v_pk_mul_f32 v[2:3], v[2:3], v[16:17]
	;;#ASMEND
	;;#ASMSTART
	v_pk_mul_f32 v[4:5], v[4:5], v[16:17]
	;;#ASMEND
	;; [unrolled: 3-line block ×4, first 2 shown]
	v_cvt_f32_u32_sdwa v17, v12 dst_sel:DWORD dst_unused:UNUSED_PAD src0_sel:WORD_1
	v_cvt_f32_u32_sdwa v16, v12 dst_sel:DWORD dst_unused:UNUSED_PAD src0_sel:WORD_0
	v_pk_add_f32 v[10:11], v[18:19], 1.0 op_sel_hi:[1,0]
	v_cvt_f32_u32_sdwa v19, v13 dst_sel:DWORD dst_unused:UNUSED_PAD src0_sel:WORD_1
	v_cvt_f32_u32_sdwa v18, v13 dst_sel:DWORD dst_unused:UNUSED_PAD src0_sel:WORD_0
	;;#ASMSTART
	v_pk_mul_f32 v[2:3], v[2:3], v[10:11]
	;;#ASMEND
	v_pk_add_f32 v[10:11], v[20:21], 1.0 op_sel_hi:[1,0]
	;;#ASMSTART
	v_pk_mul_f32 v[4:5], v[4:5], v[10:11]
	;;#ASMEND
	v_pk_add_f32 v[10:11], v[16:17], 1.0 op_sel_hi:[1,0]
	;; [unrolled: 4-line block ×3, first 2 shown]
	;;#ASMSTART
	v_pk_mul_f32 v[8:9], v[8:9], v[10:11]
	;;#ASMEND
	s_or_b64 exec, exec, s[22:23]
	s_mov_b64 s[8:9], -1
	s_and_b64 vcc, exec, s[10:11]
	s_cbranch_vccz .LBB530_15
.LBB530_19:
	s_and_saveexec_b64 s[8:9], s[0:1]
	s_cbranch_execz .LBB530_21
; %bb.20:
	s_mul_hi_i32 s11, s34, s6
	s_mul_i32 s10, s34, s6
	s_lshl_b64 s[10:11], s[10:11], 1
	s_add_u32 s28, s38, s10
	s_addc_u32 s7, s39, s11
	s_and_b32 s29, s7, 0xffff
	s_mov_b32 s7, 0x7060302
	s_mov_b32 s31, 0x20000
	s_waitcnt vmcnt(0)
	v_perm_b32 v10, v3, v2, s7
	v_perm_b32 v11, v5, v4, s7
	;; [unrolled: 1-line block ×4, first 2 shown]
	v_lshlrev_b32_e32 v15, 4, v0
	buffer_store_dwordx4 v[10:13], v15, s[28:31], 0 offen
	;;#ASMSTART
	s_nop 0
	;;#ASMEND
.LBB530_21:
	s_or_b64 exec, exec, s[8:9]
	s_cbranch_execnz .LBB530_16
.LBB530_22:
	s_waitcnt vmcnt(0)
	v_mov_b32_e32 v10, 0
	s_and_saveexec_b64 s[8:9], s[0:1]
	s_cbranch_execz .LBB530_24
; %bb.23:
	v_and_b32_e32 v10, 0x7fffffff, v2
	v_and_b32_e32 v11, 0x7fffffff, v3
	v_mov_b32_e32 v12, 0x2edbe6ff
	;;#ASMSTART
	v_max3_f32 v10, v12, v10, v11

	;;#ASMEND
	v_and_b32_e32 v11, 0x7fffffff, v4
	v_and_b32_e32 v12, 0x7fffffff, v5
	;;#ASMSTART
	v_max3_f32 v10, v10, v11, v12

	;;#ASMEND
	v_and_b32_e32 v11, 0x7fffffff, v6
	v_and_b32_e32 v12, 0x7fffffff, v7
	;; [unrolled: 6-line block ×3, first 2 shown]
	;;#ASMSTART
	v_max3_f32 v10, v10, v11, v12

	;;#ASMEND
.LBB530_24:
	s_or_b64 exec, exec, s[8:9]
	;;#ASMSTART
	v_max_f32 v11, v10, v10 quad_perm:[1,0,3,2] row_mask:0xf bank_mask:0xf bound_ctrl:1
	;;#ASMEND
	;;#ASMSTART
	v_max_f32 v10, v11, v11 quad_perm:[2,3,0,1] row_mask:0xf bank_mask:0xf bound_ctrl:1
	;;#ASMEND
	;;#ASMSTART
	v_max_f32 v11, v10, v10 row_half_mirror row_mask:0xf bank_mask:0xf bound_ctrl:1
	;;#ASMEND
	v_mul_f32_e32 v10, 0x3b124925, v11
	v_and_b32_e32 v11, 7, v0
	v_cmp_eq_u32_e32 vcc, 0, v11
	v_cmp_gt_i32_e64 s[8:9], s15, v1
	s_and_b64 s[10:11], vcc, s[8:9]
	s_and_saveexec_b64 s[8:9], s[10:11]
	s_cbranch_execz .LBB530_26
; %bb.25:
	s_load_dwordx2 s[10:11], s[4:5], 0x8
	s_mul_hi_i32 s23, s25, s6
	s_mul_i32 s22, s25, s6
	v_lshrrev_b32_e32 v11, 3, v0
	s_lshl_b64 s[22:23], s[22:23], 2
	v_mad_i64_i32 v[12:13], s[26:27], s26, v11, 0
	s_waitcnt lgkmcnt(0)
	s_add_u32 s7, s10, s22
	s_addc_u32 s10, s11, s23
	v_lshlrev_b64 v[12:13], 2, v[12:13]
	v_mov_b32_e32 v11, s10
	v_add_co_u32_e32 v12, vcc, s7, v12
	v_addc_co_u32_e32 v13, vcc, v11, v13, vcc
	global_store_dword v[12:13], v10, off
.LBB530_26:
	s_or_b64 exec, exec, s[8:9]
	;;#ASMSTART
	v_rcp_f32 v10, v10
	;;#ASMEND
	s_and_saveexec_b64 s[22:23], s[0:1]
	s_cbranch_execz .LBB530_28
; %bb.27:
	s_load_dwordx2 s[0:1], s[4:5], 0x0
	s_mul_i32 s8, s24, s6
	v_mov_b32_e32 v11, v10
	;;#ASMSTART
	v_pk_mul_f32 v[2:3], v[2:3], v[10:11]
	;;#ASMEND
	s_mul_hi_i32 s7, s24, s6
	s_waitcnt lgkmcnt(0)
	s_add_u32 s8, s0, s8
	v_mov_b32_e32 v12, 0xc3e00000
	v_mov_b32_e32 v13, 0x43e00000
	;;#ASMSTART
	v_med3_f32 v2, v2, v12, v13
v_med3_f32 v3, v3, v12, v13
v_cvt_pk_fp8_f32 v15, v2, v3
	;;#ASMEND
	s_addc_u32 s0, s1, s7
	;;#ASMSTART
	v_pk_mul_f32 v[2:3], v[4:5], v[10:11]
	;;#ASMEND
	s_and_b32 s9, s0, 0xffff
	;;#ASMSTART
	v_med3_f32 v2, v2, v12, v13
v_med3_f32 v3, v3, v12, v13
v_cvt_pk_fp8_f32 v4, v2, v3
	;;#ASMEND
	s_mov_b32 s0, 0x5040100
	v_perm_b32 v3, v4, v15, s0
	s_movk_i32 s0, 0xff
	v_and_b32_e32 v2, 0xffffff00, v4
	v_and_b32_sdwa v4, v3, s0 dst_sel:DWORD dst_unused:UNUSED_PAD src0_sel:WORD_1 src1_sel:DWORD
	s_mov_b32 s12, 0xffff
	v_or_b32_sdwa v2, v4, v2 dst_sel:WORD_1 dst_unused:UNUSED_PAD src0_sel:DWORD src1_sel:DWORD
	v_and_or_b32 v2, v3, s12, v2
	;;#ASMSTART
	v_pk_mul_f32 v[4:5], v[6:7], v[10:11]
	;;#ASMEND
	v_mov_b32_e32 v3, v4
	s_add_i32 s1, s15, 3
	;;#ASMSTART
	v_med3_f32 v3, v3, v12, v13
v_med3_f32 v5, v5, v12, v13
v_cvt_pk_fp8_f32 v6, v3, v5
	;;#ASMEND
	s_ashr_i32 s7, s1, 31
	;;#ASMSTART
	v_pk_mul_f32 v[4:5], v[8:9], v[10:11]
	;;#ASMEND
	v_mov_b32_e32 v3, v5
	s_lshr_b32 s7, s7, 30
	;;#ASMSTART
	v_med3_f32 v4, v4, v12, v13
v_med3_f32 v3, v3, v12, v13
v_cvt_pk_fp8_f32 v5, v4, v3
	;;#ASMEND
	s_add_i32 s1, s1, s7
	v_lshlrev_b32_e32 v3, 16, v5
	s_and_b32 s10, s1, -4
	s_mov_b32 s11, 0x20000
	v_and_or_b32 v3, v6, s12, v3
	buffer_store_dwordx2 v[2:3], v1, s[8:11], 0 offen
	;;#ASMSTART
	s_nop 0
	;;#ASMEND
.LBB530_28:
	s_or_b64 exec, exec, s[22:23]
	s_cmp_lt_i32 s16, 1
	s_cbranch_scc1 .LBB530_17
.LBB530_29:
	s_load_dword s0, s[4:5], 0x94
	s_waitcnt lgkmcnt(0)
	s_cmp_lg_u32 s0, 1
	s_cbranch_scc1 .LBB530_17
; %bb.30:
	s_lshl_b32 s0, s16, 1
	s_add_i32 s0, s0, 2
	v_cmp_gt_u32_e32 vcc, s16, v1
	s_and_b32 s22, s0, -4
	v_mov_b32_e32 v6, 0
	v_lshlrev_b32_e32 v1, 4, v0
	v_mov_b32_e32 v7, 0
	v_mov_b32_e32 v8, 0
	;; [unrolled: 1-line block ×7, first 2 shown]
	s_barrier
	s_and_saveexec_b64 s[0:1], vcc
	s_cbranch_execz .LBB530_32
; %bb.31:
	s_mul_hi_i32 s5, s18, s6
	s_mul_i32 s4, s18, s6
	s_and_b32 s21, s21, 0xffff
	s_lshl_b64 s[4:5], s[4:5], 1
	s_add_u32 s8, s36, s4
	s_mov_b32 s23, 0x20000
	s_addc_u32 s4, s37, s5
	s_and_b32 s9, s4, 0xffff
	s_mov_b32 s10, s22
	s_mov_b32 s11, s23
	buffer_load_dwordx4 v[6:9], v1, s[8:11], 0 offen glc slc
	buffer_load_dwordx4 v[2:5], v1, s[20:23], 0 offen
.LBB530_32:
	s_or_b64 exec, exec, s[0:1]
	s_waitcnt vmcnt(0)
	v_cvt_f32_u32_sdwa v13, v6 dst_sel:DWORD dst_unused:UNUSED_PAD src0_sel:WORD_1
	v_cvt_f32_u32_sdwa v12, v6 dst_sel:DWORD dst_unused:UNUSED_PAD src0_sel:WORD_0
	v_cvt_f32_u32_sdwa v6, v9 dst_sel:DWORD dst_unused:UNUSED_PAD src0_sel:WORD_1
	v_cvt_f32_u32_sdwa v9, v9 dst_sel:DWORD dst_unused:UNUSED_PAD src0_sel:WORD_0
	;; [unrolled: 2-line block ×4, first 2 shown]
	v_cndmask_b32_e32 v13, 0, v13, vcc
	v_cndmask_b32_e32 v7, 0, v6, vcc
	v_cndmask_b32_e32 v6, 0, v9, vcc
	v_cndmask_b32_e32 v9, 0, v15, vcc
	v_cndmask_b32_e32 v12, 0, v12, vcc
	v_mul_f32_e32 v15, v13, v13
	v_cndmask_b32_e32 v10, 0, v10, vcc
	v_fmac_f32_e32 v15, v12, v12
	v_cndmask_b32_e32 v11, 0, v11, vcc
	v_fmac_f32_e32 v15, v10, v10
	;; [unrolled: 2-line block ×3, first 2 shown]
	v_fmac_f32_e32 v15, v8, v8
	v_fmac_f32_e32 v15, v9, v9
	;; [unrolled: 1-line block ×4, first 2 shown]
	s_nop 1
	v_mov_b32_dpp v16, v15 quad_perm:[1,0,3,2] row_mask:0xf bank_mask:0xf
	v_add_f32_e32 v15, v15, v16
	s_nop 1
	v_mov_b32_dpp v16, v15 quad_perm:[2,3,0,1] row_mask:0xf bank_mask:0xf
	v_add_f32_e32 v15, v15, v16
	s_nop 1
	v_mov_b32_dpp v16, v15 row_half_mirror row_mask:0xf bank_mask:0xf
	v_add_f32_e32 v15, v15, v16
	s_nop 1
	v_mov_b32_dpp v16, v15 row_mirror row_mask:0xf bank_mask:0xf
	v_add_f32_e32 v15, v15, v16
	s_nop 1
	v_mov_b32_dpp v16, v15 row_bcast:15 row_mask:0xf bank_mask:0xf
	v_add_f32_e32 v15, v15, v16
	s_nop 1
	v_mov_b32_dpp v16, v15 row_bcast:31 row_mask:0xf bank_mask:0xf
	s_and_saveexec_b64 s[0:1], s[2:3]
	s_cbranch_execz .LBB530_34
; %bb.33:
	v_lshrrev_b32_e32 v0, 4, v0
	v_add_f32_e32 v15, v15, v16
	v_and_b32_e32 v0, 60, v0
	ds_write_b32 v0, v15
.LBB530_34:
	s_or_b64 exec, exec, s[0:1]
	s_waitcnt lgkmcnt(0)
	s_barrier
	ds_read_b32 v0, v14
	s_waitcnt lgkmcnt(0)
	s_nop 0
	v_mov_b32_dpp v14, v0 quad_perm:[1,0,3,2] row_mask:0xf bank_mask:0xf
	v_add_f32_e32 v0, v0, v14
	s_nop 1
	v_mov_b32_dpp v14, v0 quad_perm:[2,3,0,1] row_mask:0xf bank_mask:0xf
	s_and_saveexec_b64 s[0:1], vcc
	s_cbranch_execz .LBB530_17
; %bb.35:
	v_cvt_f32_u32_e32 v15, s16
	v_add_f32_e32 v0, v0, v14
	s_mov_b32 s23, 0x20000
	v_div_scale_f32 v14, s[0:1], v15, v15, v0
	v_rcp_f32_e32 v16, v14
	v_div_scale_f32 v17, vcc, v0, v15, v0
	s_mov_b32 s0, 0x800000
	v_fma_f32 v18, -v14, v16, 1.0
	v_fmac_f32_e32 v16, v18, v16
	v_mul_f32_e32 v18, v17, v16
	v_fma_f32 v19, -v14, v18, v17
	v_fmac_f32_e32 v18, v19, v16
	v_fma_f32 v14, -v14, v18, v17
	v_div_fmas_f32 v14, v14, v16, v18
	v_div_fixup_f32 v0, v14, v15, v0
	v_add_f32_e32 v0, s13, v0
	v_mul_f32_e32 v14, 0x4b800000, v0
	v_cmp_gt_f32_e32 vcc, s0, v0
	v_cndmask_b32_e32 v0, v0, v14, vcc
	v_rsq_f32_e32 v0, v0
	v_cvt_f32_u32_sdwa v17, v2 dst_sel:DWORD dst_unused:UNUSED_PAD src0_sel:WORD_1
	v_cvt_f32_u32_sdwa v16, v2 dst_sel:DWORD dst_unused:UNUSED_PAD src0_sel:WORD_0
	v_cvt_f32_u32_sdwa v19, v3 dst_sel:DWORD dst_unused:UNUSED_PAD src0_sel:WORD_1
	v_mul_f32_e32 v14, 0x45800000, v0
	v_cndmask_b32_e32 v14, v0, v14, vcc
	v_mov_b32_e32 v15, v14
	;;#ASMSTART
	v_pk_mul_f32 v[12:13], v[12:13], v[14:15]
	;;#ASMEND
	;;#ASMSTART
	v_pk_mul_f32 v[10:11], v[10:11], v[14:15]
	;;#ASMEND
	;; [unrolled: 3-line block ×3, first 2 shown]
	v_cvt_f32_u32_sdwa v18, v3 dst_sel:DWORD dst_unused:UNUSED_PAD src0_sel:WORD_0
	;;#ASMSTART
	v_pk_mul_f32 v[2:3], v[6:7], v[14:15]
	;;#ASMEND
	v_cvt_f32_u32_sdwa v15, v4 dst_sel:DWORD dst_unused:UNUSED_PAD src0_sel:WORD_1
	v_cvt_f32_u32_sdwa v14, v4 dst_sel:DWORD dst_unused:UNUSED_PAD src0_sel:WORD_0
	v_pk_add_f32 v[6:7], v[16:17], 1.0 op_sel_hi:[1,0]
	v_cvt_f32_u32_sdwa v17, v5 dst_sel:DWORD dst_unused:UNUSED_PAD src0_sel:WORD_1
	v_cvt_f32_u32_sdwa v16, v5 dst_sel:DWORD dst_unused:UNUSED_PAD src0_sel:WORD_0
	s_mul_hi_i32 s1, s34, s6
	s_mul_i32 s0, s34, s6
	s_lshl_b64 s[0:1], s[0:1], 1
	s_add_u32 s20, s38, s0
	;;#ASMSTART
	v_pk_mul_f32 v[6:7], v[12:13], v[6:7]
	;;#ASMEND
	v_pk_add_f32 v[12:13], v[18:19], 1.0 op_sel_hi:[1,0]
	;;#ASMSTART
	v_pk_mul_f32 v[4:5], v[10:11], v[12:13]
	;;#ASMEND
	v_pk_add_f32 v[10:11], v[14:15], 1.0 op_sel_hi:[1,0]
	s_addc_u32 s0, s39, s1
	;;#ASMSTART
	v_pk_mul_f32 v[8:9], v[8:9], v[10:11]
	;;#ASMEND
	v_pk_add_f32 v[10:11], v[16:17], 1.0 op_sel_hi:[1,0]
	s_and_b32 s21, s0, 0xffff
	s_mov_b32 s0, 0x7060302
	;;#ASMSTART
	v_pk_mul_f32 v[10:11], v[2:3], v[10:11]
	;;#ASMEND
	v_perm_b32 v2, v7, v6, s0
	v_perm_b32 v3, v5, v4, s0
	;; [unrolled: 1-line block ×4, first 2 shown]
	buffer_store_dwordx4 v[2:5], v1, s[20:23], 0 offen
	;;#ASMSTART
	s_nop 0
	;;#ASMEND
	s_endpgm
	.section	.rodata,"a",@progbits
	.p2align	6, 0x0
	.amdhsa_kernel _ZN5aiter35fused_qk_rmsnorm_group_quant_kernelItDB8_Li256ELi8ELi8ELb1ELb0ELb1ELb0ELb0ELb0EEEvPT0_PvPT_S6_S6_PKS5_S8_S8_S8_S8_ffiiiiiiiiiiiii
		.amdhsa_group_segment_fixed_size 32
		.amdhsa_private_segment_fixed_size 0
		.amdhsa_kernarg_size 400
		.amdhsa_user_sgpr_count 6
		.amdhsa_user_sgpr_private_segment_buffer 1
		.amdhsa_user_sgpr_dispatch_ptr 0
		.amdhsa_user_sgpr_queue_ptr 0
		.amdhsa_user_sgpr_kernarg_segment_ptr 1
		.amdhsa_user_sgpr_dispatch_id 0
		.amdhsa_user_sgpr_flat_scratch_init 0
		.amdhsa_user_sgpr_kernarg_preload_length 0
		.amdhsa_user_sgpr_kernarg_preload_offset 0
		.amdhsa_user_sgpr_private_segment_size 0
		.amdhsa_uses_dynamic_stack 0
		.amdhsa_system_sgpr_private_segment_wavefront_offset 0
		.amdhsa_system_sgpr_workgroup_id_x 1
		.amdhsa_system_sgpr_workgroup_id_y 1
		.amdhsa_system_sgpr_workgroup_id_z 0
		.amdhsa_system_sgpr_workgroup_info 0
		.amdhsa_system_vgpr_workitem_id 0
		.amdhsa_next_free_vgpr 27
		.amdhsa_next_free_sgpr 48
		.amdhsa_accum_offset 28
		.amdhsa_reserve_vcc 1
		.amdhsa_reserve_flat_scratch 0
		.amdhsa_float_round_mode_32 0
		.amdhsa_float_round_mode_16_64 0
		.amdhsa_float_denorm_mode_32 3
		.amdhsa_float_denorm_mode_16_64 3
		.amdhsa_dx10_clamp 1
		.amdhsa_ieee_mode 1
		.amdhsa_fp16_overflow 0
		.amdhsa_tg_split 0
		.amdhsa_exception_fp_ieee_invalid_op 0
		.amdhsa_exception_fp_denorm_src 0
		.amdhsa_exception_fp_ieee_div_zero 0
		.amdhsa_exception_fp_ieee_overflow 0
		.amdhsa_exception_fp_ieee_underflow 0
		.amdhsa_exception_fp_ieee_inexact 0
		.amdhsa_exception_int_div_zero 0
	.end_amdhsa_kernel
	.section	.text._ZN5aiter35fused_qk_rmsnorm_group_quant_kernelItDB8_Li256ELi8ELi8ELb1ELb0ELb1ELb0ELb0ELb0EEEvPT0_PvPT_S6_S6_PKS5_S8_S8_S8_S8_ffiiiiiiiiiiiii,"axG",@progbits,_ZN5aiter35fused_qk_rmsnorm_group_quant_kernelItDB8_Li256ELi8ELi8ELb1ELb0ELb1ELb0ELb0ELb0EEEvPT0_PvPT_S6_S6_PKS5_S8_S8_S8_S8_ffiiiiiiiiiiiii,comdat
.Lfunc_end530:
	.size	_ZN5aiter35fused_qk_rmsnorm_group_quant_kernelItDB8_Li256ELi8ELi8ELb1ELb0ELb1ELb0ELb0ELb0EEEvPT0_PvPT_S6_S6_PKS5_S8_S8_S8_S8_ffiiiiiiiiiiiii, .Lfunc_end530-_ZN5aiter35fused_qk_rmsnorm_group_quant_kernelItDB8_Li256ELi8ELi8ELb1ELb0ELb1ELb0ELb0ELb0EEEvPT0_PvPT_S6_S6_PKS5_S8_S8_S8_S8_ffiiiiiiiiiiiii
                                        ; -- End function
	.section	.AMDGPU.csdata,"",@progbits
; Kernel info:
; codeLenInByte = 2992
; NumSgprs: 52
; NumVgprs: 27
; NumAgprs: 0
; TotalNumVgprs: 27
; ScratchSize: 0
; MemoryBound: 0
; FloatMode: 240
; IeeeMode: 1
; LDSByteSize: 32 bytes/workgroup (compile time only)
; SGPRBlocks: 6
; VGPRBlocks: 3
; NumSGPRsForWavesPerEU: 52
; NumVGPRsForWavesPerEU: 27
; AccumOffset: 28
; Occupancy: 8
; WaveLimiterHint : 0
; COMPUTE_PGM_RSRC2:SCRATCH_EN: 0
; COMPUTE_PGM_RSRC2:USER_SGPR: 6
; COMPUTE_PGM_RSRC2:TRAP_HANDLER: 0
; COMPUTE_PGM_RSRC2:TGID_X_EN: 1
; COMPUTE_PGM_RSRC2:TGID_Y_EN: 1
; COMPUTE_PGM_RSRC2:TGID_Z_EN: 0
; COMPUTE_PGM_RSRC2:TIDIG_COMP_CNT: 0
; COMPUTE_PGM_RSRC3_GFX90A:ACCUM_OFFSET: 6
; COMPUTE_PGM_RSRC3_GFX90A:TG_SPLIT: 0
	.section	.text._ZN5aiter35fused_qk_rmsnorm_group_quant_kernelIDF16_N4opus5fp4_tELi256ELi8ELi8ELb1ELb0ELb1ELb0ELb0ELb0EEEvPT0_PvPT_S7_S7_PKS6_S9_S9_S9_S9_ffiiiiiiiiiiiii,"axG",@progbits,_ZN5aiter35fused_qk_rmsnorm_group_quant_kernelIDF16_N4opus5fp4_tELi256ELi8ELi8ELb1ELb0ELb1ELb0ELb0ELb0EEEvPT0_PvPT_S7_S7_PKS6_S9_S9_S9_S9_ffiiiiiiiiiiiii,comdat
	.protected	_ZN5aiter35fused_qk_rmsnorm_group_quant_kernelIDF16_N4opus5fp4_tELi256ELi8ELi8ELb1ELb0ELb1ELb0ELb0ELb0EEEvPT0_PvPT_S7_S7_PKS6_S9_S9_S9_S9_ffiiiiiiiiiiiii ; -- Begin function _ZN5aiter35fused_qk_rmsnorm_group_quant_kernelIDF16_N4opus5fp4_tELi256ELi8ELi8ELb1ELb0ELb1ELb0ELb0ELb0EEEvPT0_PvPT_S7_S7_PKS6_S9_S9_S9_S9_ffiiiiiiiiiiiii
	.globl	_ZN5aiter35fused_qk_rmsnorm_group_quant_kernelIDF16_N4opus5fp4_tELi256ELi8ELi8ELb1ELb0ELb1ELb0ELb0ELb0EEEvPT0_PvPT_S7_S7_PKS6_S9_S9_S9_S9_ffiiiiiiiiiiiii
	.p2align	8
	.type	_ZN5aiter35fused_qk_rmsnorm_group_quant_kernelIDF16_N4opus5fp4_tELi256ELi8ELi8ELb1ELb0ELb1ELb0ELb0ELb0EEEvPT0_PvPT_S7_S7_PKS6_S9_S9_S9_S9_ffiiiiiiiiiiiii,@function
_ZN5aiter35fused_qk_rmsnorm_group_quant_kernelIDF16_N4opus5fp4_tELi256ELi8ELi8ELb1ELb0ELb1ELb0ELb0ELb0EEEvPT0_PvPT_S7_S7_PKS6_S9_S9_S9_S9_ffiiiiiiiiiiiii: ; @_ZN5aiter35fused_qk_rmsnorm_group_quant_kernelIDF16_N4opus5fp4_tELi256ELi8ELi8ELb1ELb0ELb1ELb0ELb0ELb0EEEvPT0_PvPT_S7_S7_PKS6_S9_S9_S9_S9_ffiiiiiiiiiiiii
; %bb.0:
	s_load_dwordx8 s[12:19], s[4:5], 0x50
	s_waitcnt lgkmcnt(0)
	s_cmp_ge_i32 s6, s14
	s_cbranch_scc1 .LBB531_17
; %bb.1:
	s_cmp_lg_u32 s7, 0
	s_cselect_b64 s[22:23], -1, 0
	s_cmp_eq_u32 s7, 0
	s_cselect_b64 s[8:9], -1, 0
	s_and_b64 s[0:1], s[8:9], exec
	s_load_dwordx2 s[20:21], s[4:5], 0x48
	s_load_dwordx2 s[34:35], s[4:5], 0x30
	s_load_dwordx4 s[24:27], s[4:5], 0x70
	s_cselect_b32 s7, s15, s16
	s_add_i32 s0, s7, 1
	s_lshr_b32 s1, s0, 31
	s_add_i32 s0, s0, s1
	s_lshl_b32 s0, s0, 1
	v_lshlrev_b32_e32 v1, 3, v0
	s_and_b32 s30, s0, -4
	v_cmp_gt_i32_e64 s[0:1], s7, v1
	v_mov_b32_e32 v2, 0
	v_mov_b32_e32 v3, 0
	;; [unrolled: 1-line block ×8, first 2 shown]
	s_and_saveexec_b64 s[2:3], s[0:1]
	s_cbranch_execz .LBB531_3
; %bb.2:
	s_load_dwordx2 s[10:11], s[4:5], 0x28
	s_load_dwordx2 s[28:29], s[4:5], 0x40
	s_and_b64 s[36:37], s[8:9], exec
	s_cselect_b32 s14, s17, s18
	s_mov_b32 s31, 0x20000
	s_waitcnt lgkmcnt(0)
	s_cselect_b32 s17, s11, s35
	s_cselect_b32 s27, s10, s34
	s_mul_hi_i32 s11, s14, s6
	s_mul_i32 s10, s14, s6
	s_lshl_b64 s[10:11], s[10:11], 1
	s_add_u32 s36, s27, s10
	s_addc_u32 s14, s17, s11
	s_and_b64 s[10:11], s[8:9], exec
	s_cselect_b32 s28, s28, s20
	s_cselect_b32 s10, s29, s21
	v_lshlrev_b32_e32 v10, 4, v0
	s_and_b32 s37, s14, 0xffff
	s_mov_b32 s38, s30
	s_mov_b32 s39, s31
	s_and_b32 s29, s10, 0xffff
	buffer_load_dwordx4 v[6:9], v10, s[36:39], 0 offen glc slc
	buffer_load_dwordx4 v[2:5], v10, s[28:31], 0 offen
.LBB531_3:
	s_or_b64 exec, exec, s[2:3]
	s_load_dwordx2 s[10:11], s[4:5], 0x80
	s_and_b64 vcc, exec, s[22:23]
	s_cbranch_vccz .LBB531_7
; %bb.4:
	v_mov_b32_e32 v11, 0
	v_mov_b32_e32 v10, 0
	v_mov_b32_e32 v13, 0
	v_mov_b32_e32 v12, 0
	v_mov_b32_e32 v17, 0
	v_mov_b32_e32 v16, 0
	v_mov_b32_e32 v15, 0
	v_mov_b32_e32 v14, 0
	s_and_saveexec_b64 s[2:3], s[0:1]
	s_cbranch_execz .LBB531_6
; %bb.5:
	s_waitcnt vmcnt(1)
	v_cvt_f32_f16_sdwa v15, v6 dst_sel:DWORD dst_unused:UNUSED_PAD src0_sel:WORD_1
	v_cvt_f32_f16_e32 v14, v6
	v_cvt_f32_f16_sdwa v17, v7 dst_sel:DWORD dst_unused:UNUSED_PAD src0_sel:WORD_1
	v_cvt_f32_f16_e32 v16, v7
	;; [unrolled: 2-line block ×4, first 2 shown]
.LBB531_6:
	s_or_b64 exec, exec, s[2:3]
	s_cbranch_execz .LBB531_8
	s_branch .LBB531_11
.LBB531_7:
                                        ; implicit-def: $vgpr11
                                        ; implicit-def: $vgpr13
                                        ; implicit-def: $vgpr17
                                        ; implicit-def: $vgpr15
.LBB531_8:
	v_mov_b32_e32 v11, 0
	v_mov_b32_e32 v10, 0
	v_mov_b32_e32 v13, 0
	v_mov_b32_e32 v12, 0
	v_mov_b32_e32 v17, 0
	v_mov_b32_e32 v16, 0
	v_mov_b32_e32 v15, 0
	v_mov_b32_e32 v14, 0
	s_and_saveexec_b64 s[2:3], s[0:1]
	s_cbranch_execz .LBB531_10
; %bb.9:
	s_load_dwordx2 s[28:29], s[4:5], 0x38
	s_mul_hi_i32 s37, s19, s6
	s_mul_i32 s36, s19, s6
	s_lshl_b64 s[36:37], s[36:37], 1
	s_mov_b32 s31, 0x20000
	s_waitcnt lgkmcnt(0)
	s_add_u32 s28, s28, s36
	s_addc_u32 s14, s29, s37
	s_and_b32 s29, s14, 0xffff
	v_lshlrev_b32_e32 v24, 4, v0
	buffer_load_dwordx4 v[10:13], v24, s[28:31], 0 offen glc slc
	s_waitcnt vmcnt(2)
	v_cvt_f32_f16_sdwa v15, v6 dst_sel:DWORD dst_unused:UNUSED_PAD src0_sel:WORD_1
	v_cvt_f32_f16_e32 v14, v6
	v_cvt_f32_f16_sdwa v17, v7 dst_sel:DWORD dst_unused:UNUSED_PAD src0_sel:WORD_1
	v_cvt_f32_f16_e32 v16, v7
	;; [unrolled: 2-line block ×4, first 2 shown]
	s_load_dwordx2 s[28:29], s[4:5], 0x20
	s_mul_hi_i32 s37, s11, s6
	s_mul_i32 s36, s11, s6
	s_lshl_b64 s[36:37], s[36:37], 1
	s_waitcnt lgkmcnt(0)
	s_add_u32 s28, s28, s36
	s_addc_u32 s11, s29, s37
	s_and_b32 s29, s11, 0xffff
	s_waitcnt vmcnt(0)
	v_cvt_f32_f16_e32 v8, v10
	v_cvt_f32_f16_sdwa v9, v10 dst_sel:DWORD dst_unused:UNUSED_PAD src0_sel:WORD_1
	v_cvt_f32_f16_e32 v10, v11
	v_cvt_f32_f16_sdwa v11, v11 dst_sel:DWORD dst_unused:UNUSED_PAD src0_sel:WORD_1
	;; [unrolled: 2-line block ×4, first 2 shown]
	v_pk_add_f32 v[14:15], v[14:15], v[8:9]
	v_pk_add_f32 v[16:17], v[16:17], v[10:11]
	v_pk_add_f32 v[12:13], v[6:7], v[20:21]
	v_pk_add_f32 v[10:11], v[18:19], v[22:23]
	v_cvt_f16_f32_e32 v6, v15
	v_cvt_f16_f32_e32 v7, v17
	;; [unrolled: 1-line block ×8, first 2 shown]
	v_pack_b32_f16 v9, v18, v9
	v_pack_b32_f16 v8, v19, v8
	;; [unrolled: 1-line block ×4, first 2 shown]
	buffer_store_dwordx4 v[6:9], v24, s[28:31], 0 offen glc slc
	;;#ASMSTART
	s_nop 0
	;;#ASMEND
.LBB531_10:
	s_or_b64 exec, exec, s[2:3]
.LBB531_11:
	s_waitcnt vmcnt(1)
	v_mul_f32_e32 v6, v15, v15
	v_fmac_f32_e32 v6, v14, v14
	v_fmac_f32_e32 v6, v16, v16
	;; [unrolled: 1-line block ×7, first 2 shown]
	v_and_b32_e32 v8, 63, v0
	v_cmp_eq_u32_e64 s[2:3], 63, v8
	v_mov_b32_dpp v7, v6 quad_perm:[1,0,3,2] row_mask:0xf bank_mask:0xf
	v_add_f32_e32 v6, v6, v7
	s_nop 1
	v_mov_b32_dpp v7, v6 quad_perm:[2,3,0,1] row_mask:0xf bank_mask:0xf
	v_add_f32_e32 v6, v6, v7
	s_nop 1
	v_mov_b32_dpp v7, v6 row_half_mirror row_mask:0xf bank_mask:0xf
	v_add_f32_e32 v6, v6, v7
	s_nop 1
	v_mov_b32_dpp v7, v6 row_mirror row_mask:0xf bank_mask:0xf
	v_add_f32_e32 v6, v6, v7
	s_nop 1
	v_mov_b32_dpp v7, v6 row_bcast:15 row_mask:0xf bank_mask:0xf
	v_add_f32_e32 v6, v6, v7
	s_nop 1
	v_mov_b32_dpp v7, v6 row_bcast:31 row_mask:0xf bank_mask:0xf
	s_and_saveexec_b64 s[28:29], s[2:3]
	s_cbranch_execz .LBB531_13
; %bb.12:
	v_add_f32_e32 v6, v6, v7
	v_lshrrev_b32_e32 v7, 4, v0
	v_and_b32_e32 v7, 60, v7
	ds_write_b32 v7, v6 offset:16
.LBB531_13:
	s_or_b64 exec, exec, s[28:29]
	v_and_b32_e32 v6, 3, v0
	v_lshlrev_b32_e32 v18, 2, v6
	s_waitcnt lgkmcnt(0)
	s_barrier
	ds_read_b32 v6, v18 offset:16
	s_load_dwordx2 s[36:37], s[4:5], 0x18
	s_waitcnt lgkmcnt(0)
	v_mov_b32_dpp v7, v6 quad_perm:[1,0,3,2] row_mask:0xf bank_mask:0xf
	v_add_f32_e32 v6, v6, v7
	s_nop 1
	v_mov_b32_dpp v7, v6 quad_perm:[2,3,0,1] row_mask:0xf bank_mask:0xf
	s_and_saveexec_b64 s[28:29], s[0:1]
	s_cbranch_execnz .LBB531_18
; %bb.14:
	s_or_b64 exec, exec, s[28:29]
	s_mov_b64 s[8:9], -1
	s_and_b64 vcc, exec, s[22:23]
	s_cbranch_vccnz .LBB531_19
.LBB531_15:
	s_andn2_b64 vcc, exec, s[8:9]
	s_cbranch_vccz .LBB531_22
.LBB531_16:
	s_cmp_lt_i32 s16, 1
	s_cbranch_scc0 .LBB531_29
.LBB531_17:
	s_endpgm
.LBB531_18:
	v_cvt_f32_u32_e32 v8, s7
	v_add_f32_e32 v6, v6, v7
	v_mov_b32_e32 v19, s13
	v_mov_b32_e32 v20, s12
	v_div_scale_f32 v7, s[38:39], v8, v8, v6
	v_rcp_f32_e32 v9, v7
	v_cndmask_b32_e64 v19, v19, v20, s[8:9]
	s_mov_b32 s7, 0x800000
	v_fma_f32 v20, -v7, v9, 1.0
	v_fmac_f32_e32 v9, v20, v9
	v_div_scale_f32 v20, vcc, v6, v8, v6
	v_mul_f32_e32 v21, v20, v9
	v_fma_f32 v22, -v7, v21, v20
	v_fmac_f32_e32 v21, v22, v9
	v_fma_f32 v7, -v7, v21, v20
	v_div_fmas_f32 v7, v7, v9, v21
	v_div_fixup_f32 v6, v7, v8, v6
	v_add_f32_e32 v6, v19, v6
	v_mul_f32_e32 v7, 0x4b800000, v6
	v_cmp_gt_f32_e32 vcc, s7, v6
	v_cndmask_b32_e32 v6, v6, v7, vcc
	v_rsq_f32_e32 v6, v6
	s_waitcnt vmcnt(0)
	v_cvt_f32_f16_sdwa v21, v3 dst_sel:DWORD dst_unused:UNUSED_PAD src0_sel:WORD_1
	v_cvt_f32_f16_e32 v20, v3
	v_mul_f32_e32 v7, 0x45800000, v6
	v_cndmask_b32_e32 v6, v6, v7, vcc
	v_mov_b32_e32 v7, v6
	;;#ASMSTART
	v_pk_mul_f32 v[8:9], v[14:15], v[6:7]
	;;#ASMEND
	v_cvt_f32_f16_sdwa v15, v2 dst_sel:DWORD dst_unused:UNUSED_PAD src0_sel:WORD_1
	v_cvt_f32_f16_e32 v14, v2
	;;#ASMSTART
	v_pk_mul_f32 v[16:17], v[16:17], v[6:7]
	;;#ASMEND
	;;#ASMSTART
	v_pk_mul_f32 v[12:13], v[12:13], v[6:7]
	;;#ASMEND
	;; [unrolled: 3-line block ×3, first 2 shown]
	v_pk_add_f32 v[6:7], v[14:15], 1.0 op_sel_hi:[1,0]
	;;#ASMSTART
	v_pk_mul_f32 v[14:15], v[8:9], v[6:7]
	;;#ASMEND
	v_cvt_f32_f16_sdwa v9, v4 dst_sel:DWORD dst_unused:UNUSED_PAD src0_sel:WORD_1
	v_cvt_f32_f16_e32 v8, v4
	v_cvt_f32_f16_sdwa v11, v5 dst_sel:DWORD dst_unused:UNUSED_PAD src0_sel:WORD_1
	v_cvt_f32_f16_e32 v10, v5
	v_pk_add_f32 v[6:7], v[20:21], 1.0 op_sel_hi:[1,0]
	v_pk_add_f32 v[4:5], v[8:9], 1.0 op_sel_hi:[1,0]
	;;#ASMSTART
	v_pk_mul_f32 v[16:17], v[16:17], v[6:7]
	;;#ASMEND
	;;#ASMSTART
	v_pk_mul_f32 v[12:13], v[12:13], v[4:5]
	;;#ASMEND
	v_pk_add_f32 v[4:5], v[10:11], 1.0 op_sel_hi:[1,0]
	;;#ASMSTART
	v_pk_mul_f32 v[10:11], v[2:3], v[4:5]
	;;#ASMEND
	s_or_b64 exec, exec, s[28:29]
	s_mov_b64 s[8:9], -1
	s_and_b64 vcc, exec, s[22:23]
	s_cbranch_vccz .LBB531_15
.LBB531_19:
	s_and_saveexec_b64 s[8:9], s[0:1]
	s_cbranch_execz .LBB531_21
; %bb.20:
	s_mul_hi_i32 s23, s10, s6
	s_mul_i32 s22, s10, s6
	s_waitcnt vmcnt(0)
	v_cvt_f16_f32_e32 v2, v14
	v_cvt_f16_f32_e32 v3, v16
	;; [unrolled: 1-line block ×8, first 2 shown]
	s_lshl_b64 s[22:23], s[22:23], 1
	s_add_u32 s28, s36, s22
	s_addc_u32 s7, s37, s23
	s_and_b32 s29, s7, 0xffff
	s_mov_b32 s31, 0x20000
	v_pack_b32_f16 v5, v5, v6
	v_pack_b32_f16 v4, v4, v7
	v_pack_b32_f16 v3, v3, v8
	v_pack_b32_f16 v2, v2, v9
	v_lshlrev_b32_e32 v6, 4, v0
	buffer_store_dwordx4 v[2:5], v6, s[28:31], 0 offen
	;;#ASMSTART
	s_nop 0
	;;#ASMEND
.LBB531_21:
	s_or_b64 exec, exec, s[8:9]
	s_cbranch_execnz .LBB531_16
.LBB531_22:
	s_waitcnt vmcnt(0)
	v_mov_b32_e32 v2, 0
	s_and_saveexec_b64 s[8:9], s[0:1]
	s_cbranch_execz .LBB531_24
; %bb.23:
	v_and_b32_e32 v2, 0x7fffffff, v14
	v_and_b32_e32 v3, 0x7fffffff, v15
	v_mov_b32_e32 v4, 0x2edbe6ff
	;;#ASMSTART
	v_max3_f32 v2, v4, v2, v3

	;;#ASMEND
	v_and_b32_e32 v3, 0x7fffffff, v16
	v_and_b32_e32 v4, 0x7fffffff, v17
	;;#ASMSTART
	v_max3_f32 v2, v2, v3, v4

	;;#ASMEND
	v_and_b32_e32 v3, 0x7fffffff, v12
	v_and_b32_e32 v4, 0x7fffffff, v13
	;; [unrolled: 6-line block ×3, first 2 shown]
	;;#ASMSTART
	v_max3_f32 v2, v2, v3, v4

	;;#ASMEND
.LBB531_24:
	s_or_b64 exec, exec, s[8:9]
	;;#ASMSTART
	v_max_f32 v3, v2, v2 quad_perm:[1,0,3,2] row_mask:0xf bank_mask:0xf bound_ctrl:1
	;;#ASMEND
	;;#ASMSTART
	v_max_f32 v4, v3, v3 quad_perm:[2,3,0,1] row_mask:0xf bank_mask:0xf bound_ctrl:1
	;;#ASMEND
	v_and_b32_e32 v3, 7, v0
	v_cmp_eq_u32_e32 vcc, 0, v3
	v_cmp_gt_i32_e64 s[8:9], s15, v1
	s_and_b64 s[22:23], vcc, s[8:9]
	;;#ASMSTART
	v_max_f32 v2, v4, v4 row_half_mirror row_mask:0xf bank_mask:0xf bound_ctrl:1
	;;#ASMEND
	s_and_saveexec_b64 s[8:9], s[22:23]
	s_cbranch_execz .LBB531_26
; %bb.25:
	s_load_dwordx2 s[22:23], s[4:5], 0x8
	v_mul_f32_e32 v2, 0x3e2aaaab, v2
	v_lshrrev_b32_e32 v3, 23, v2
	v_and_b32_e32 v4, 0x7f800000, v2
	v_and_b32_e32 v2, 0x7fffff, v2
	v_cmp_ne_u32_e32 vcc, 0, v2
	s_mul_i32 s12, s25, s6
	s_mov_b32 s7, 0x7f800000
	v_addc_co_u32_e32 v2, vcc, 0, v3, vcc
	s_mul_hi_i32 s11, s25, s6
	s_waitcnt lgkmcnt(0)
	s_add_u32 s22, s22, s12
	v_cmp_ne_u32_e32 vcc, s7, v4
	s_addc_u32 s23, s23, s11
	v_lshrrev_b32_e32 v5, 3, v0
	v_cndmask_b32_e32 v4, -1, v2, vcc
	v_pk_mov_b32 v[2:3], s[22:23], s[22:23] op_sel:[0,1]
	v_mad_i64_i32 v[2:3], s[22:23], s26, v5, v[2:3]
	global_store_byte v[2:3], v4, off
.LBB531_26:
	s_or_b64 exec, exec, s[8:9]
	s_and_saveexec_b64 s[8:9], s[0:1]
	s_cbranch_execz .LBB531_28
; %bb.27:
	s_load_dwordx2 s[0:1], s[4:5], 0x0
	s_mul_i32 s11, s24, s6
	s_mul_hi_i32 s7, s24, s6
	v_lshlrev_b32_e32 v2, 2, v0
	s_mov_b32 s27, 0x20000
	s_waitcnt lgkmcnt(0)
	s_add_u32 s24, s0, s11
	s_addc_u32 s0, s1, s7
	s_lshr_b32 s1, s15, 31
	s_add_i32 s1, s15, s1
	s_ashr_i32 s1, s1, 1
	s_add_i32 s1, s1, 3
	s_ashr_i32 s7, s1, 31
	s_lshr_b32 s7, s7, 30
	s_add_i32 s1, s1, s7
	s_and_b32 s26, s1, -4
	s_and_b32 s25, s0, 0xffff
	v_mov_b32_e32 v3, 0
	buffer_store_dword v3, v2, s[24:27], 0 offen
	;;#ASMSTART
	s_nop 0
	;;#ASMEND
.LBB531_28:
	s_or_b64 exec, exec, s[8:9]
	s_cmp_lt_i32 s16, 1
	s_cbranch_scc1 .LBB531_17
.LBB531_29:
	s_load_dword s0, s[4:5], 0x94
	s_waitcnt lgkmcnt(0)
	s_cmp_lg_u32 s0, 1
	s_cbranch_scc1 .LBB531_17
; %bb.30:
	s_lshl_b32 s0, s16, 1
	s_add_i32 s0, s0, 2
	v_cmp_gt_u32_e32 vcc, s16, v1
	s_and_b32 s22, s0, -4
	v_mov_b32_e32 v10, 0
	v_lshlrev_b32_e32 v1, 4, v0
	v_mov_b32_e32 v6, 0
	v_mov_b32_e32 v7, 0
	;; [unrolled: 1-line block ×4, first 2 shown]
	s_waitcnt vmcnt(0)
	v_mov_b32_e32 v2, 0
	v_mov_b32_e32 v3, 0
	;; [unrolled: 1-line block ×4, first 2 shown]
	s_barrier
	s_and_saveexec_b64 s[0:1], vcc
	s_cbranch_execz .LBB531_32
; %bb.31:
	s_mul_hi_i32 s5, s18, s6
	s_mul_i32 s4, s18, s6
	s_and_b32 s21, s21, 0xffff
	s_lshl_b64 s[4:5], s[4:5], 1
	s_add_u32 s24, s34, s4
	s_mov_b32 s23, 0x20000
	s_addc_u32 s4, s35, s5
	s_and_b32 s25, s4, 0xffff
	s_mov_b32 s26, s22
	s_mov_b32 s27, s23
	buffer_load_dwordx4 v[6:9], v1, s[24:27], 0 offen glc slc
	buffer_load_dwordx4 v[2:5], v1, s[20:23], 0 offen
.LBB531_32:
	s_or_b64 exec, exec, s[0:1]
	v_mov_b32_e32 v11, 0
	v_mov_b32_e32 v16, 0
	;; [unrolled: 1-line block ×7, first 2 shown]
	s_and_saveexec_b64 s[0:1], vcc
	s_cbranch_execz .LBB531_34
; %bb.33:
	s_waitcnt vmcnt(1)
	v_cvt_f32_f16_sdwa v11, v6 dst_sel:DWORD dst_unused:UNUSED_PAD src0_sel:WORD_1
	v_cvt_f32_f16_e32 v10, v6
	v_cvt_f32_f16_sdwa v17, v7 dst_sel:DWORD dst_unused:UNUSED_PAD src0_sel:WORD_1
	v_cvt_f32_f16_e32 v16, v7
	;; [unrolled: 2-line block ×4, first 2 shown]
.LBB531_34:
	s_or_b64 exec, exec, s[0:1]
	s_waitcnt vmcnt(1)
	v_mul_f32_e32 v6, v11, v11
	v_fmac_f32_e32 v6, v10, v10
	v_fmac_f32_e32 v6, v16, v16
	;; [unrolled: 1-line block ×7, first 2 shown]
	s_nop 1
	v_mov_b32_dpp v7, v6 quad_perm:[1,0,3,2] row_mask:0xf bank_mask:0xf
	v_add_f32_e32 v6, v6, v7
	s_nop 1
	v_mov_b32_dpp v7, v6 quad_perm:[2,3,0,1] row_mask:0xf bank_mask:0xf
	v_add_f32_e32 v6, v6, v7
	s_nop 1
	v_mov_b32_dpp v7, v6 row_half_mirror row_mask:0xf bank_mask:0xf
	v_add_f32_e32 v6, v6, v7
	s_nop 1
	v_mov_b32_dpp v7, v6 row_mirror row_mask:0xf bank_mask:0xf
	v_add_f32_e32 v6, v6, v7
	s_nop 1
	v_mov_b32_dpp v7, v6 row_bcast:15 row_mask:0xf bank_mask:0xf
	v_add_f32_e32 v6, v6, v7
	s_nop 1
	v_mov_b32_dpp v7, v6 row_bcast:31 row_mask:0xf bank_mask:0xf
	s_and_saveexec_b64 s[0:1], s[2:3]
	s_cbranch_execz .LBB531_36
; %bb.35:
	v_lshrrev_b32_e32 v0, 4, v0
	v_add_f32_e32 v6, v6, v7
	v_and_b32_e32 v0, 60, v0
	ds_write_b32 v0, v6
.LBB531_36:
	s_or_b64 exec, exec, s[0:1]
	s_waitcnt lgkmcnt(0)
	s_barrier
	ds_read_b32 v0, v18
	s_waitcnt lgkmcnt(0)
	s_nop 0
	v_mov_b32_dpp v6, v0 quad_perm:[1,0,3,2] row_mask:0xf bank_mask:0xf
	v_add_f32_e32 v0, v0, v6
	s_nop 1
	v_mov_b32_dpp v6, v0 quad_perm:[2,3,0,1] row_mask:0xf bank_mask:0xf
	s_and_saveexec_b64 s[0:1], vcc
	s_cbranch_execz .LBB531_17
; %bb.37:
	v_cvt_f32_u32_e32 v7, s16
	v_add_f32_e32 v0, v0, v6
	s_mov_b32 s23, 0x20000
	v_div_scale_f32 v6, s[0:1], v7, v7, v0
	v_rcp_f32_e32 v8, v6
	v_div_scale_f32 v9, vcc, v0, v7, v0
	s_mov_b32 s0, 0x800000
	v_fma_f32 v18, -v6, v8, 1.0
	v_fmac_f32_e32 v8, v18, v8
	v_mul_f32_e32 v18, v9, v8
	v_fma_f32 v19, -v6, v18, v9
	v_fmac_f32_e32 v18, v19, v8
	v_fma_f32 v6, -v6, v18, v9
	v_div_fmas_f32 v6, v6, v8, v18
	v_div_fixup_f32 v0, v6, v7, v0
	v_add_f32_e32 v0, s13, v0
	v_mul_f32_e32 v6, 0x4b800000, v0
	v_cmp_gt_f32_e32 vcc, s0, v0
	v_cndmask_b32_e32 v0, v0, v6, vcc
	v_rsq_f32_e32 v0, v0
	s_waitcnt vmcnt(0)
	v_cvt_f32_f16_sdwa v19, v3 dst_sel:DWORD dst_unused:UNUSED_PAD src0_sel:WORD_1
	v_cvt_f32_f16_e32 v18, v3
	s_mul_hi_i32 s1, s10, s6
	v_mul_f32_e32 v6, 0x45800000, v0
	v_cndmask_b32_e32 v6, v0, v6, vcc
	v_mov_b32_e32 v7, v6
	;;#ASMSTART
	v_pk_mul_f32 v[8:9], v[10:11], v[6:7]
	;;#ASMEND
	;;#ASMSTART
	v_pk_mul_f32 v[10:11], v[16:17], v[6:7]
	;;#ASMEND
	v_cvt_f32_f16_sdwa v17, v2 dst_sel:DWORD dst_unused:UNUSED_PAD src0_sel:WORD_1
	v_cvt_f32_f16_e32 v16, v2
	;;#ASMSTART
	v_pk_mul_f32 v[14:15], v[14:15], v[6:7]
	;;#ASMEND
	;;#ASMSTART
	v_pk_mul_f32 v[2:3], v[12:13], v[6:7]
	;;#ASMEND
	v_cvt_f32_f16_sdwa v13, v4 dst_sel:DWORD dst_unused:UNUSED_PAD src0_sel:WORD_1
	v_cvt_f32_f16_e32 v12, v4
	v_pk_add_f32 v[6:7], v[16:17], 1.0 op_sel_hi:[1,0]
	v_cvt_f32_f16_sdwa v17, v5 dst_sel:DWORD dst_unused:UNUSED_PAD src0_sel:WORD_1
	v_cvt_f32_f16_e32 v16, v5
	;;#ASMSTART
	v_pk_mul_f32 v[6:7], v[8:9], v[6:7]
	;;#ASMEND
	v_pk_add_f32 v[8:9], v[18:19], 1.0 op_sel_hi:[1,0]
	;;#ASMSTART
	v_pk_mul_f32 v[4:5], v[10:11], v[8:9]
	;;#ASMEND
	v_pk_add_f32 v[8:9], v[12:13], 1.0 op_sel_hi:[1,0]
	;; [unrolled: 4-line block ×3, first 2 shown]
	;;#ASMSTART
	v_pk_mul_f32 v[2:3], v[2:3], v[10:11]
	;;#ASMEND
	s_mul_i32 s0, s10, s6
	v_cvt_f16_f32_e32 v0, v6
	v_cvt_f16_f32_e32 v6, v7
	;; [unrolled: 1-line block ×8, first 2 shown]
	s_lshl_b64 s[0:1], s[0:1], 1
	s_add_u32 s20, s36, s0
	s_addc_u32 s0, s37, s1
	s_and_b32 s21, s0, 0xffff
	v_pack_b32_f16 v2, v0, v6
	v_pack_b32_f16 v3, v4, v5
	;; [unrolled: 1-line block ×4, first 2 shown]
	buffer_store_dwordx4 v[2:5], v1, s[20:23], 0 offen
	;;#ASMSTART
	s_nop 0
	;;#ASMEND
	s_endpgm
	.section	.rodata,"a",@progbits
	.p2align	6, 0x0
	.amdhsa_kernel _ZN5aiter35fused_qk_rmsnorm_group_quant_kernelIDF16_N4opus5fp4_tELi256ELi8ELi8ELb1ELb0ELb1ELb0ELb0ELb0EEEvPT0_PvPT_S7_S7_PKS6_S9_S9_S9_S9_ffiiiiiiiiiiiii
		.amdhsa_group_segment_fixed_size 32
		.amdhsa_private_segment_fixed_size 0
		.amdhsa_kernarg_size 400
		.amdhsa_user_sgpr_count 6
		.amdhsa_user_sgpr_private_segment_buffer 1
		.amdhsa_user_sgpr_dispatch_ptr 0
		.amdhsa_user_sgpr_queue_ptr 0
		.amdhsa_user_sgpr_kernarg_segment_ptr 1
		.amdhsa_user_sgpr_dispatch_id 0
		.amdhsa_user_sgpr_flat_scratch_init 0
		.amdhsa_user_sgpr_kernarg_preload_length 0
		.amdhsa_user_sgpr_kernarg_preload_offset 0
		.amdhsa_user_sgpr_private_segment_size 0
		.amdhsa_uses_dynamic_stack 0
		.amdhsa_system_sgpr_private_segment_wavefront_offset 0
		.amdhsa_system_sgpr_workgroup_id_x 1
		.amdhsa_system_sgpr_workgroup_id_y 1
		.amdhsa_system_sgpr_workgroup_id_z 0
		.amdhsa_system_sgpr_workgroup_info 0
		.amdhsa_system_vgpr_workitem_id 0
		.amdhsa_next_free_vgpr 25
		.amdhsa_next_free_sgpr 40
		.amdhsa_accum_offset 28
		.amdhsa_reserve_vcc 1
		.amdhsa_reserve_flat_scratch 0
		.amdhsa_float_round_mode_32 0
		.amdhsa_float_round_mode_16_64 0
		.amdhsa_float_denorm_mode_32 3
		.amdhsa_float_denorm_mode_16_64 3
		.amdhsa_dx10_clamp 1
		.amdhsa_ieee_mode 1
		.amdhsa_fp16_overflow 0
		.amdhsa_tg_split 0
		.amdhsa_exception_fp_ieee_invalid_op 0
		.amdhsa_exception_fp_denorm_src 0
		.amdhsa_exception_fp_ieee_div_zero 0
		.amdhsa_exception_fp_ieee_overflow 0
		.amdhsa_exception_fp_ieee_underflow 0
		.amdhsa_exception_fp_ieee_inexact 0
		.amdhsa_exception_int_div_zero 0
	.end_amdhsa_kernel
	.section	.text._ZN5aiter35fused_qk_rmsnorm_group_quant_kernelIDF16_N4opus5fp4_tELi256ELi8ELi8ELb1ELb0ELb1ELb0ELb0ELb0EEEvPT0_PvPT_S7_S7_PKS6_S9_S9_S9_S9_ffiiiiiiiiiiiii,"axG",@progbits,_ZN5aiter35fused_qk_rmsnorm_group_quant_kernelIDF16_N4opus5fp4_tELi256ELi8ELi8ELb1ELb0ELb1ELb0ELb0ELb0EEEvPT0_PvPT_S7_S7_PKS6_S9_S9_S9_S9_ffiiiiiiiiiiiii,comdat
.Lfunc_end531:
	.size	_ZN5aiter35fused_qk_rmsnorm_group_quant_kernelIDF16_N4opus5fp4_tELi256ELi8ELi8ELb1ELb0ELb1ELb0ELb0ELb0EEEvPT0_PvPT_S7_S7_PKS6_S9_S9_S9_S9_ffiiiiiiiiiiiii, .Lfunc_end531-_ZN5aiter35fused_qk_rmsnorm_group_quant_kernelIDF16_N4opus5fp4_tELi256ELi8ELi8ELb1ELb0ELb1ELb0ELb0ELb0EEEvPT0_PvPT_S7_S7_PKS6_S9_S9_S9_S9_ffiiiiiiiiiiiii
                                        ; -- End function
	.section	.AMDGPU.csdata,"",@progbits
; Kernel info:
; codeLenInByte = 2740
; NumSgprs: 44
; NumVgprs: 25
; NumAgprs: 0
; TotalNumVgprs: 25
; ScratchSize: 0
; MemoryBound: 0
; FloatMode: 240
; IeeeMode: 1
; LDSByteSize: 32 bytes/workgroup (compile time only)
; SGPRBlocks: 5
; VGPRBlocks: 3
; NumSGPRsForWavesPerEU: 44
; NumVGPRsForWavesPerEU: 25
; AccumOffset: 28
; Occupancy: 8
; WaveLimiterHint : 0
; COMPUTE_PGM_RSRC2:SCRATCH_EN: 0
; COMPUTE_PGM_RSRC2:USER_SGPR: 6
; COMPUTE_PGM_RSRC2:TRAP_HANDLER: 0
; COMPUTE_PGM_RSRC2:TGID_X_EN: 1
; COMPUTE_PGM_RSRC2:TGID_Y_EN: 1
; COMPUTE_PGM_RSRC2:TGID_Z_EN: 0
; COMPUTE_PGM_RSRC2:TIDIG_COMP_CNT: 0
; COMPUTE_PGM_RSRC3_GFX90A:ACCUM_OFFSET: 6
; COMPUTE_PGM_RSRC3_GFX90A:TG_SPLIT: 0
	.section	.text._ZN5aiter35fused_qk_rmsnorm_group_quant_kernelItN4opus5fp4_tELi256ELi8ELi8ELb1ELb0ELb1ELb0ELb0ELb0EEEvPT0_PvPT_S7_S7_PKS6_S9_S9_S9_S9_ffiiiiiiiiiiiii,"axG",@progbits,_ZN5aiter35fused_qk_rmsnorm_group_quant_kernelItN4opus5fp4_tELi256ELi8ELi8ELb1ELb0ELb1ELb0ELb0ELb0EEEvPT0_PvPT_S7_S7_PKS6_S9_S9_S9_S9_ffiiiiiiiiiiiii,comdat
	.protected	_ZN5aiter35fused_qk_rmsnorm_group_quant_kernelItN4opus5fp4_tELi256ELi8ELi8ELb1ELb0ELb1ELb0ELb0ELb0EEEvPT0_PvPT_S7_S7_PKS6_S9_S9_S9_S9_ffiiiiiiiiiiiii ; -- Begin function _ZN5aiter35fused_qk_rmsnorm_group_quant_kernelItN4opus5fp4_tELi256ELi8ELi8ELb1ELb0ELb1ELb0ELb0ELb0EEEvPT0_PvPT_S7_S7_PKS6_S9_S9_S9_S9_ffiiiiiiiiiiiii
	.globl	_ZN5aiter35fused_qk_rmsnorm_group_quant_kernelItN4opus5fp4_tELi256ELi8ELi8ELb1ELb0ELb1ELb0ELb0ELb0EEEvPT0_PvPT_S7_S7_PKS6_S9_S9_S9_S9_ffiiiiiiiiiiiii
	.p2align	8
	.type	_ZN5aiter35fused_qk_rmsnorm_group_quant_kernelItN4opus5fp4_tELi256ELi8ELi8ELb1ELb0ELb1ELb0ELb0ELb0EEEvPT0_PvPT_S7_S7_PKS6_S9_S9_S9_S9_ffiiiiiiiiiiiii,@function
_ZN5aiter35fused_qk_rmsnorm_group_quant_kernelItN4opus5fp4_tELi256ELi8ELi8ELb1ELb0ELb1ELb0ELb0ELb0EEEvPT0_PvPT_S7_S7_PKS6_S9_S9_S9_S9_ffiiiiiiiiiiiii: ; @_ZN5aiter35fused_qk_rmsnorm_group_quant_kernelItN4opus5fp4_tELi256ELi8ELi8ELb1ELb0ELb1ELb0ELb0ELb0EEEvPT0_PvPT_S7_S7_PKS6_S9_S9_S9_S9_ffiiiiiiiiiiiii
; %bb.0:
	s_load_dwordx8 s[12:19], s[4:5], 0x50
	s_waitcnt lgkmcnt(0)
	s_cmp_ge_i32 s6, s14
	s_cbranch_scc1 .LBB532_17
; %bb.1:
	s_cmp_lg_u32 s7, 0
	s_cselect_b64 s[22:23], -1, 0
	s_cmp_eq_u32 s7, 0
	s_cselect_b64 s[8:9], -1, 0
	s_and_b64 s[0:1], s[8:9], exec
	s_load_dwordx2 s[20:21], s[4:5], 0x48
	s_load_dwordx2 s[34:35], s[4:5], 0x30
	s_load_dwordx4 s[24:27], s[4:5], 0x70
	s_cselect_b32 s7, s15, s16
	s_add_i32 s0, s7, 1
	s_lshr_b32 s1, s0, 31
	s_add_i32 s0, s0, s1
	s_lshl_b32 s0, s0, 1
	v_lshlrev_b32_e32 v1, 3, v0
	s_and_b32 s30, s0, -4
	v_cmp_gt_i32_e64 s[0:1], s7, v1
	v_mov_b32_e32 v10, 0
	v_mov_b32_e32 v11, 0
	;; [unrolled: 1-line block ×8, first 2 shown]
	s_and_saveexec_b64 s[2:3], s[0:1]
	s_cbranch_execz .LBB532_3
; %bb.2:
	s_load_dwordx2 s[10:11], s[4:5], 0x28
	s_load_dwordx2 s[28:29], s[4:5], 0x40
	s_and_b64 s[36:37], s[8:9], exec
	s_cselect_b32 s14, s17, s18
	s_mov_b32 s31, 0x20000
	s_waitcnt lgkmcnt(0)
	s_cselect_b32 s17, s11, s35
	s_cselect_b32 s27, s10, s34
	s_mul_hi_i32 s11, s14, s6
	s_mul_i32 s10, s14, s6
	s_lshl_b64 s[10:11], s[10:11], 1
	s_add_u32 s36, s27, s10
	s_addc_u32 s14, s17, s11
	s_and_b64 s[10:11], s[8:9], exec
	s_cselect_b32 s28, s28, s20
	s_cselect_b32 s10, s29, s21
	v_lshlrev_b32_e32 v2, 4, v0
	s_and_b32 s37, s14, 0xffff
	s_mov_b32 s38, s30
	s_mov_b32 s39, s31
	s_and_b32 s29, s10, 0xffff
	buffer_load_dwordx4 v[14:17], v2, s[36:39], 0 offen glc slc
	buffer_load_dwordx4 v[10:13], v2, s[28:31], 0 offen
.LBB532_3:
	s_or_b64 exec, exec, s[2:3]
	s_load_dwordx2 s[10:11], s[4:5], 0x80
	s_and_b64 vcc, exec, s[22:23]
	s_cbranch_vccz .LBB532_7
; %bb.4:
	s_mov_b32 s36, 0
	s_mov_b32 s37, s36
	;; [unrolled: 1-line block ×8, first 2 shown]
	v_pk_mov_b32 v[2:3], s[36:37], s[36:37] op_sel:[0,1]
	v_pk_mov_b32 v[4:5], s[38:39], s[38:39] op_sel:[0,1]
	;; [unrolled: 1-line block ×4, first 2 shown]
	s_and_saveexec_b64 s[2:3], s[0:1]
	s_cbranch_execz .LBB532_6
; %bb.5:
	s_waitcnt vmcnt(1)
	v_cvt_f32_u32_sdwa v3, v14 dst_sel:DWORD dst_unused:UNUSED_PAD src0_sel:WORD_1
	v_cvt_f32_u32_sdwa v2, v14 dst_sel:DWORD dst_unused:UNUSED_PAD src0_sel:WORD_0
	v_cvt_f32_u32_sdwa v5, v15 dst_sel:DWORD dst_unused:UNUSED_PAD src0_sel:WORD_1
	v_cvt_f32_u32_sdwa v4, v15 dst_sel:DWORD dst_unused:UNUSED_PAD src0_sel:WORD_0
	;; [unrolled: 2-line block ×4, first 2 shown]
.LBB532_6:
	s_or_b64 exec, exec, s[2:3]
	s_cbranch_execz .LBB532_8
	s_branch .LBB532_11
.LBB532_7:
                                        ; implicit-def: $vgpr2_vgpr3_vgpr4_vgpr5_vgpr6_vgpr7_vgpr8_vgpr9
.LBB532_8:
	s_mov_b32 s36, 0
	s_mov_b32 s37, s36
	;; [unrolled: 1-line block ×8, first 2 shown]
	v_pk_mov_b32 v[2:3], s[36:37], s[36:37] op_sel:[0,1]
	v_pk_mov_b32 v[4:5], s[38:39], s[38:39] op_sel:[0,1]
	;; [unrolled: 1-line block ×4, first 2 shown]
	s_and_saveexec_b64 s[2:3], s[0:1]
	s_cbranch_execz .LBB532_10
; %bb.9:
	s_load_dwordx2 s[28:29], s[4:5], 0x38
	s_mul_hi_i32 s37, s19, s6
	s_mul_i32 s36, s19, s6
	s_lshl_b64 s[36:37], s[36:37], 1
	s_mov_b32 s31, 0x20000
	s_waitcnt lgkmcnt(0)
	s_add_u32 s28, s28, s36
	s_addc_u32 s14, s29, s37
	s_and_b32 s29, s14, 0xffff
	v_lshlrev_b32_e32 v26, 4, v0
	buffer_load_dwordx4 v[2:5], v26, s[28:31], 0 offen glc slc
	s_load_dwordx2 s[28:29], s[4:5], 0x20
	s_waitcnt vmcnt(2)
	v_cvt_f32_u32_sdwa v7, v14 dst_sel:DWORD dst_unused:UNUSED_PAD src0_sel:WORD_1
	v_cvt_f32_u32_sdwa v6, v14 dst_sel:DWORD dst_unused:UNUSED_PAD src0_sel:WORD_0
	v_cvt_f32_u32_sdwa v9, v15 dst_sel:DWORD dst_unused:UNUSED_PAD src0_sel:WORD_1
	v_cvt_f32_u32_sdwa v8, v15 dst_sel:DWORD dst_unused:UNUSED_PAD src0_sel:WORD_0
	;; [unrolled: 2-line block ×4, first 2 shown]
	s_mul_hi_i32 s37, s11, s6
	s_mul_i32 s36, s11, s6
	s_lshl_b64 s[36:37], s[36:37], 1
	s_waitcnt lgkmcnt(0)
	s_add_u32 s28, s28, s36
	s_mov_b32 s11, 0x7060302
	s_addc_u32 s14, s29, s37
	s_and_b32 s29, s14, 0xffff
	s_waitcnt vmcnt(0)
	v_cvt_f32_u32_sdwa v17, v2 dst_sel:DWORD dst_unused:UNUSED_PAD src0_sel:WORD_1
	v_cvt_f32_u32_sdwa v16, v2 dst_sel:DWORD dst_unused:UNUSED_PAD src0_sel:WORD_0
	v_cvt_f32_u32_sdwa v21, v3 dst_sel:DWORD dst_unused:UNUSED_PAD src0_sel:WORD_1
	v_cvt_f32_u32_sdwa v20, v3 dst_sel:DWORD dst_unused:UNUSED_PAD src0_sel:WORD_0
	;; [unrolled: 2-line block ×4, first 2 shown]
	v_pk_add_f32 v[2:3], v[6:7], v[16:17]
	v_pk_add_f32 v[4:5], v[8:9], v[20:21]
	v_pk_add_f32 v[6:7], v[14:15], v[22:23]
	v_pk_add_f32 v[8:9], v[18:19], v[24:25]
	v_perm_b32 v17, v9, v8, s11
	v_perm_b32 v16, v7, v6, s11
	v_perm_b32 v15, v5, v4, s11
	v_perm_b32 v14, v3, v2, s11
	buffer_store_dwordx4 v[14:17], v26, s[28:31], 0 offen glc slc
	;;#ASMSTART
	s_nop 0
	;;#ASMEND
.LBB532_10:
	s_or_b64 exec, exec, s[2:3]
.LBB532_11:
	s_waitcnt vmcnt(1)
	v_mul_f32_e32 v14, v3, v3
	v_fmac_f32_e32 v14, v2, v2
	v_fmac_f32_e32 v14, v4, v4
	;; [unrolled: 1-line block ×7, first 2 shown]
	v_and_b32_e32 v16, 63, v0
	v_cmp_eq_u32_e64 s[2:3], 63, v16
	v_mov_b32_dpp v15, v14 quad_perm:[1,0,3,2] row_mask:0xf bank_mask:0xf
	v_add_f32_e32 v14, v14, v15
	s_nop 1
	v_mov_b32_dpp v15, v14 quad_perm:[2,3,0,1] row_mask:0xf bank_mask:0xf
	v_add_f32_e32 v14, v14, v15
	s_nop 1
	v_mov_b32_dpp v15, v14 row_half_mirror row_mask:0xf bank_mask:0xf
	v_add_f32_e32 v14, v14, v15
	s_nop 1
	v_mov_b32_dpp v15, v14 row_mirror row_mask:0xf bank_mask:0xf
	v_add_f32_e32 v14, v14, v15
	s_nop 1
	v_mov_b32_dpp v15, v14 row_bcast:15 row_mask:0xf bank_mask:0xf
	v_add_f32_e32 v14, v14, v15
	s_nop 1
	v_mov_b32_dpp v15, v14 row_bcast:31 row_mask:0xf bank_mask:0xf
	s_and_saveexec_b64 s[28:29], s[2:3]
	s_cbranch_execz .LBB532_13
; %bb.12:
	v_add_f32_e32 v14, v14, v15
	v_lshrrev_b32_e32 v15, 4, v0
	v_and_b32_e32 v15, 60, v15
	ds_write_b32 v15, v14 offset:16
.LBB532_13:
	s_or_b64 exec, exec, s[28:29]
	v_and_b32_e32 v14, 3, v0
	v_lshlrev_b32_e32 v14, 2, v14
	s_waitcnt lgkmcnt(0)
	s_barrier
	ds_read_b32 v15, v14 offset:16
	s_load_dwordx2 s[36:37], s[4:5], 0x18
	s_waitcnt lgkmcnt(0)
	v_mov_b32_dpp v16, v15 quad_perm:[1,0,3,2] row_mask:0xf bank_mask:0xf
	v_add_f32_e32 v15, v15, v16
	s_nop 1
	v_mov_b32_dpp v16, v15 quad_perm:[2,3,0,1] row_mask:0xf bank_mask:0xf
	s_and_saveexec_b64 s[28:29], s[0:1]
	s_cbranch_execnz .LBB532_18
; %bb.14:
	s_or_b64 exec, exec, s[28:29]
	s_mov_b64 s[8:9], -1
	s_and_b64 vcc, exec, s[22:23]
	s_cbranch_vccnz .LBB532_19
.LBB532_15:
	s_andn2_b64 vcc, exec, s[8:9]
	s_cbranch_vccz .LBB532_22
.LBB532_16:
	s_cmp_lt_i32 s16, 1
	s_cbranch_scc0 .LBB532_29
.LBB532_17:
	s_endpgm
.LBB532_18:
	v_cvt_f32_u32_e32 v17, s7
	v_add_f32_e32 v15, v15, v16
	v_mov_b32_e32 v19, s13
	v_mov_b32_e32 v20, s12
	v_div_scale_f32 v16, s[38:39], v17, v17, v15
	v_rcp_f32_e32 v18, v16
	v_cndmask_b32_e64 v19, v19, v20, s[8:9]
	s_mov_b32 s7, 0x800000
	v_fma_f32 v20, -v16, v18, 1.0
	v_fmac_f32_e32 v18, v20, v18
	v_div_scale_f32 v20, vcc, v15, v17, v15
	v_mul_f32_e32 v21, v20, v18
	v_fma_f32 v22, -v16, v21, v20
	v_fmac_f32_e32 v21, v22, v18
	v_fma_f32 v16, -v16, v21, v20
	v_div_fmas_f32 v16, v16, v18, v21
	v_div_fixup_f32 v15, v16, v17, v15
	v_add_f32_e32 v15, v19, v15
	v_mul_f32_e32 v16, 0x4b800000, v15
	v_cmp_gt_f32_e32 vcc, s7, v15
	v_cndmask_b32_e32 v15, v15, v16, vcc
	v_rsq_f32_e32 v15, v15
	s_waitcnt vmcnt(0)
	v_cvt_f32_u32_sdwa v19, v10 dst_sel:DWORD dst_unused:UNUSED_PAD src0_sel:WORD_1
	v_cvt_f32_u32_sdwa v18, v10 dst_sel:DWORD dst_unused:UNUSED_PAD src0_sel:WORD_0
	v_cvt_f32_u32_sdwa v21, v11 dst_sel:DWORD dst_unused:UNUSED_PAD src0_sel:WORD_1
	v_mul_f32_e32 v16, 0x45800000, v15
	v_cndmask_b32_e32 v16, v15, v16, vcc
	v_mov_b32_e32 v17, v16
	v_cvt_f32_u32_sdwa v20, v11 dst_sel:DWORD dst_unused:UNUSED_PAD src0_sel:WORD_0
	;;#ASMSTART
	v_pk_mul_f32 v[2:3], v[2:3], v[16:17]
	;;#ASMEND
	;;#ASMSTART
	v_pk_mul_f32 v[4:5], v[4:5], v[16:17]
	;;#ASMEND
	;; [unrolled: 3-line block ×4, first 2 shown]
	v_cvt_f32_u32_sdwa v17, v12 dst_sel:DWORD dst_unused:UNUSED_PAD src0_sel:WORD_1
	v_cvt_f32_u32_sdwa v16, v12 dst_sel:DWORD dst_unused:UNUSED_PAD src0_sel:WORD_0
	v_pk_add_f32 v[10:11], v[18:19], 1.0 op_sel_hi:[1,0]
	v_cvt_f32_u32_sdwa v19, v13 dst_sel:DWORD dst_unused:UNUSED_PAD src0_sel:WORD_1
	v_cvt_f32_u32_sdwa v18, v13 dst_sel:DWORD dst_unused:UNUSED_PAD src0_sel:WORD_0
	;;#ASMSTART
	v_pk_mul_f32 v[2:3], v[2:3], v[10:11]
	;;#ASMEND
	v_pk_add_f32 v[10:11], v[20:21], 1.0 op_sel_hi:[1,0]
	;;#ASMSTART
	v_pk_mul_f32 v[4:5], v[4:5], v[10:11]
	;;#ASMEND
	v_pk_add_f32 v[10:11], v[16:17], 1.0 op_sel_hi:[1,0]
	;; [unrolled: 4-line block ×3, first 2 shown]
	;;#ASMSTART
	v_pk_mul_f32 v[8:9], v[8:9], v[10:11]
	;;#ASMEND
	s_or_b64 exec, exec, s[28:29]
	s_mov_b64 s[8:9], -1
	s_and_b64 vcc, exec, s[22:23]
	s_cbranch_vccz .LBB532_15
.LBB532_19:
	s_and_saveexec_b64 s[8:9], s[0:1]
	s_cbranch_execz .LBB532_21
; %bb.20:
	s_mul_hi_i32 s23, s10, s6
	s_mul_i32 s22, s10, s6
	s_lshl_b64 s[22:23], s[22:23], 1
	s_add_u32 s28, s36, s22
	s_addc_u32 s7, s37, s23
	s_and_b32 s29, s7, 0xffff
	s_mov_b32 s7, 0x7060302
	s_mov_b32 s31, 0x20000
	s_waitcnt vmcnt(0)
	v_perm_b32 v10, v3, v2, s7
	v_perm_b32 v11, v5, v4, s7
	;; [unrolled: 1-line block ×4, first 2 shown]
	v_lshlrev_b32_e32 v15, 4, v0
	buffer_store_dwordx4 v[10:13], v15, s[28:31], 0 offen
	;;#ASMSTART
	s_nop 0
	;;#ASMEND
.LBB532_21:
	s_or_b64 exec, exec, s[8:9]
	s_cbranch_execnz .LBB532_16
.LBB532_22:
	s_waitcnt vmcnt(0)
	v_mov_b32_e32 v10, 0
	s_and_saveexec_b64 s[8:9], s[0:1]
	s_cbranch_execz .LBB532_24
; %bb.23:
	v_and_b32_e32 v2, 0x7fffffff, v2
	v_and_b32_e32 v3, 0x7fffffff, v3
	v_mov_b32_e32 v10, 0x2edbe6ff
	;;#ASMSTART
	v_max3_f32 v2, v10, v2, v3

	;;#ASMEND
	v_and_b32_e32 v3, 0x7fffffff, v4
	v_and_b32_e32 v4, 0x7fffffff, v5
	;;#ASMSTART
	v_max3_f32 v2, v2, v3, v4

	;;#ASMEND
	v_and_b32_e32 v3, 0x7fffffff, v6
	v_and_b32_e32 v4, 0x7fffffff, v7
	;; [unrolled: 6-line block ×3, first 2 shown]
	;;#ASMSTART
	v_max3_f32 v10, v2, v3, v4

	;;#ASMEND
.LBB532_24:
	s_or_b64 exec, exec, s[8:9]
	;;#ASMSTART
	v_max_f32 v2, v10, v10 quad_perm:[1,0,3,2] row_mask:0xf bank_mask:0xf bound_ctrl:1
	;;#ASMEND
	;;#ASMSTART
	v_max_f32 v3, v2, v2 quad_perm:[2,3,0,1] row_mask:0xf bank_mask:0xf bound_ctrl:1
	;;#ASMEND
	;;#ASMSTART
	v_max_f32 v2, v3, v3 row_half_mirror row_mask:0xf bank_mask:0xf bound_ctrl:1
	;;#ASMEND
	v_and_b32_e32 v3, 7, v0
	v_cmp_eq_u32_e32 vcc, 0, v3
	v_cmp_gt_i32_e64 s[8:9], s15, v1
	s_and_b64 s[22:23], vcc, s[8:9]
	s_and_saveexec_b64 s[8:9], s[22:23]
	s_cbranch_execz .LBB532_26
; %bb.25:
	s_load_dwordx2 s[22:23], s[4:5], 0x8
	v_mul_f32_e32 v2, 0x3e2aaaab, v2
	v_lshrrev_b32_e32 v3, 23, v2
	v_and_b32_e32 v4, 0x7f800000, v2
	v_and_b32_e32 v2, 0x7fffff, v2
	v_cmp_ne_u32_e32 vcc, 0, v2
	s_mul_i32 s12, s25, s6
	s_mov_b32 s7, 0x7f800000
	v_addc_co_u32_e32 v2, vcc, 0, v3, vcc
	s_mul_hi_i32 s11, s25, s6
	s_waitcnt lgkmcnt(0)
	s_add_u32 s22, s22, s12
	v_cmp_ne_u32_e32 vcc, s7, v4
	s_addc_u32 s23, s23, s11
	v_lshrrev_b32_e32 v5, 3, v0
	v_cndmask_b32_e32 v4, -1, v2, vcc
	v_pk_mov_b32 v[2:3], s[22:23], s[22:23] op_sel:[0,1]
	v_mad_i64_i32 v[2:3], s[22:23], s26, v5, v[2:3]
	global_store_byte v[2:3], v4, off
.LBB532_26:
	s_or_b64 exec, exec, s[8:9]
	s_and_saveexec_b64 s[8:9], s[0:1]
	s_cbranch_execz .LBB532_28
; %bb.27:
	s_load_dwordx2 s[0:1], s[4:5], 0x0
	s_mul_i32 s11, s24, s6
	s_mul_hi_i32 s7, s24, s6
	v_lshlrev_b32_e32 v2, 2, v0
	s_mov_b32 s27, 0x20000
	s_waitcnt lgkmcnt(0)
	s_add_u32 s24, s0, s11
	s_addc_u32 s0, s1, s7
	s_lshr_b32 s1, s15, 31
	s_add_i32 s1, s15, s1
	s_ashr_i32 s1, s1, 1
	s_add_i32 s1, s1, 3
	s_ashr_i32 s7, s1, 31
	s_lshr_b32 s7, s7, 30
	s_add_i32 s1, s1, s7
	s_and_b32 s26, s1, -4
	s_and_b32 s25, s0, 0xffff
	v_mov_b32_e32 v3, 0
	buffer_store_dword v3, v2, s[24:27], 0 offen
	;;#ASMSTART
	s_nop 0
	;;#ASMEND
.LBB532_28:
	s_or_b64 exec, exec, s[8:9]
	s_cmp_lt_i32 s16, 1
	s_cbranch_scc1 .LBB532_17
.LBB532_29:
	s_load_dword s0, s[4:5], 0x94
	s_waitcnt lgkmcnt(0)
	s_cmp_lg_u32 s0, 1
	s_cbranch_scc1 .LBB532_17
; %bb.30:
	s_lshl_b32 s0, s16, 1
	s_add_i32 s0, s0, 2
	v_cmp_gt_u32_e32 vcc, s16, v1
	s_and_b32 s22, s0, -4
	v_mov_b32_e32 v6, 0
	v_lshlrev_b32_e32 v1, 4, v0
	v_mov_b32_e32 v7, 0
	v_mov_b32_e32 v8, 0
	;; [unrolled: 1-line block ×7, first 2 shown]
	s_barrier
	s_and_saveexec_b64 s[0:1], vcc
	s_cbranch_execz .LBB532_32
; %bb.31:
	s_mul_hi_i32 s5, s18, s6
	s_mul_i32 s4, s18, s6
	s_and_b32 s21, s21, 0xffff
	s_lshl_b64 s[4:5], s[4:5], 1
	s_add_u32 s24, s34, s4
	s_mov_b32 s23, 0x20000
	s_addc_u32 s4, s35, s5
	s_and_b32 s25, s4, 0xffff
	s_mov_b32 s26, s22
	s_mov_b32 s27, s23
	buffer_load_dwordx4 v[6:9], v1, s[24:27], 0 offen glc slc
	buffer_load_dwordx4 v[2:5], v1, s[20:23], 0 offen
.LBB532_32:
	s_or_b64 exec, exec, s[0:1]
	s_waitcnt vmcnt(0)
	v_cvt_f32_u32_sdwa v13, v6 dst_sel:DWORD dst_unused:UNUSED_PAD src0_sel:WORD_1
	v_cvt_f32_u32_sdwa v12, v6 dst_sel:DWORD dst_unused:UNUSED_PAD src0_sel:WORD_0
	v_cvt_f32_u32_sdwa v6, v9 dst_sel:DWORD dst_unused:UNUSED_PAD src0_sel:WORD_1
	v_cvt_f32_u32_sdwa v9, v9 dst_sel:DWORD dst_unused:UNUSED_PAD src0_sel:WORD_0
	;; [unrolled: 2-line block ×4, first 2 shown]
	v_cndmask_b32_e32 v13, 0, v13, vcc
	v_cndmask_b32_e32 v7, 0, v6, vcc
	;; [unrolled: 1-line block ×5, first 2 shown]
	v_mul_f32_e32 v15, v13, v13
	v_cndmask_b32_e32 v10, 0, v10, vcc
	v_fmac_f32_e32 v15, v12, v12
	v_cndmask_b32_e32 v11, 0, v11, vcc
	v_fmac_f32_e32 v15, v10, v10
	;; [unrolled: 2-line block ×3, first 2 shown]
	v_fmac_f32_e32 v15, v8, v8
	v_fmac_f32_e32 v15, v9, v9
	;; [unrolled: 1-line block ×4, first 2 shown]
	s_nop 1
	v_mov_b32_dpp v16, v15 quad_perm:[1,0,3,2] row_mask:0xf bank_mask:0xf
	v_add_f32_e32 v15, v15, v16
	s_nop 1
	v_mov_b32_dpp v16, v15 quad_perm:[2,3,0,1] row_mask:0xf bank_mask:0xf
	v_add_f32_e32 v15, v15, v16
	s_nop 1
	v_mov_b32_dpp v16, v15 row_half_mirror row_mask:0xf bank_mask:0xf
	v_add_f32_e32 v15, v15, v16
	s_nop 1
	v_mov_b32_dpp v16, v15 row_mirror row_mask:0xf bank_mask:0xf
	v_add_f32_e32 v15, v15, v16
	s_nop 1
	v_mov_b32_dpp v16, v15 row_bcast:15 row_mask:0xf bank_mask:0xf
	v_add_f32_e32 v15, v15, v16
	s_nop 1
	v_mov_b32_dpp v16, v15 row_bcast:31 row_mask:0xf bank_mask:0xf
	s_and_saveexec_b64 s[0:1], s[2:3]
	s_cbranch_execz .LBB532_34
; %bb.33:
	v_lshrrev_b32_e32 v0, 4, v0
	v_add_f32_e32 v15, v15, v16
	v_and_b32_e32 v0, 60, v0
	ds_write_b32 v0, v15
.LBB532_34:
	s_or_b64 exec, exec, s[0:1]
	s_waitcnt lgkmcnt(0)
	s_barrier
	ds_read_b32 v0, v14
	s_waitcnt lgkmcnt(0)
	s_nop 0
	v_mov_b32_dpp v14, v0 quad_perm:[1,0,3,2] row_mask:0xf bank_mask:0xf
	v_add_f32_e32 v0, v0, v14
	s_nop 1
	v_mov_b32_dpp v14, v0 quad_perm:[2,3,0,1] row_mask:0xf bank_mask:0xf
	s_and_saveexec_b64 s[0:1], vcc
	s_cbranch_execz .LBB532_17
; %bb.35:
	v_cvt_f32_u32_e32 v15, s16
	v_add_f32_e32 v0, v0, v14
	s_mov_b32 s23, 0x20000
	v_div_scale_f32 v14, s[0:1], v15, v15, v0
	v_rcp_f32_e32 v16, v14
	v_div_scale_f32 v17, vcc, v0, v15, v0
	s_mov_b32 s0, 0x800000
	v_fma_f32 v18, -v14, v16, 1.0
	v_fmac_f32_e32 v16, v18, v16
	v_mul_f32_e32 v18, v17, v16
	v_fma_f32 v19, -v14, v18, v17
	v_fmac_f32_e32 v18, v19, v16
	v_fma_f32 v14, -v14, v18, v17
	v_div_fmas_f32 v14, v14, v16, v18
	v_div_fixup_f32 v0, v14, v15, v0
	v_add_f32_e32 v0, s13, v0
	v_mul_f32_e32 v14, 0x4b800000, v0
	v_cmp_gt_f32_e32 vcc, s0, v0
	v_cndmask_b32_e32 v0, v0, v14, vcc
	v_rsq_f32_e32 v0, v0
	v_cvt_f32_u32_sdwa v17, v2 dst_sel:DWORD dst_unused:UNUSED_PAD src0_sel:WORD_1
	v_cvt_f32_u32_sdwa v16, v2 dst_sel:DWORD dst_unused:UNUSED_PAD src0_sel:WORD_0
	v_cvt_f32_u32_sdwa v19, v3 dst_sel:DWORD dst_unused:UNUSED_PAD src0_sel:WORD_1
	v_mul_f32_e32 v14, 0x45800000, v0
	v_cndmask_b32_e32 v14, v0, v14, vcc
	v_mov_b32_e32 v15, v14
	;;#ASMSTART
	v_pk_mul_f32 v[12:13], v[12:13], v[14:15]
	;;#ASMEND
	;;#ASMSTART
	v_pk_mul_f32 v[10:11], v[10:11], v[14:15]
	;;#ASMEND
	;; [unrolled: 3-line block ×3, first 2 shown]
	v_cvt_f32_u32_sdwa v18, v3 dst_sel:DWORD dst_unused:UNUSED_PAD src0_sel:WORD_0
	;;#ASMSTART
	v_pk_mul_f32 v[2:3], v[6:7], v[14:15]
	;;#ASMEND
	v_cvt_f32_u32_sdwa v15, v4 dst_sel:DWORD dst_unused:UNUSED_PAD src0_sel:WORD_1
	v_cvt_f32_u32_sdwa v14, v4 dst_sel:DWORD dst_unused:UNUSED_PAD src0_sel:WORD_0
	v_pk_add_f32 v[6:7], v[16:17], 1.0 op_sel_hi:[1,0]
	v_cvt_f32_u32_sdwa v17, v5 dst_sel:DWORD dst_unused:UNUSED_PAD src0_sel:WORD_1
	v_cvt_f32_u32_sdwa v16, v5 dst_sel:DWORD dst_unused:UNUSED_PAD src0_sel:WORD_0
	s_mul_hi_i32 s1, s10, s6
	s_mul_i32 s0, s10, s6
	s_lshl_b64 s[0:1], s[0:1], 1
	s_add_u32 s20, s36, s0
	;;#ASMSTART
	v_pk_mul_f32 v[6:7], v[12:13], v[6:7]
	;;#ASMEND
	v_pk_add_f32 v[12:13], v[18:19], 1.0 op_sel_hi:[1,0]
	;;#ASMSTART
	v_pk_mul_f32 v[4:5], v[10:11], v[12:13]
	;;#ASMEND
	v_pk_add_f32 v[10:11], v[14:15], 1.0 op_sel_hi:[1,0]
	s_addc_u32 s0, s37, s1
	;;#ASMSTART
	v_pk_mul_f32 v[8:9], v[8:9], v[10:11]
	;;#ASMEND
	v_pk_add_f32 v[10:11], v[16:17], 1.0 op_sel_hi:[1,0]
	s_and_b32 s21, s0, 0xffff
	s_mov_b32 s0, 0x7060302
	;;#ASMSTART
	v_pk_mul_f32 v[10:11], v[2:3], v[10:11]
	;;#ASMEND
	v_perm_b32 v2, v7, v6, s0
	v_perm_b32 v3, v5, v4, s0
	;; [unrolled: 1-line block ×4, first 2 shown]
	buffer_store_dwordx4 v[2:5], v1, s[20:23], 0 offen
	;;#ASMSTART
	s_nop 0
	;;#ASMEND
	s_endpgm
	.section	.rodata,"a",@progbits
	.p2align	6, 0x0
	.amdhsa_kernel _ZN5aiter35fused_qk_rmsnorm_group_quant_kernelItN4opus5fp4_tELi256ELi8ELi8ELb1ELb0ELb1ELb0ELb0ELb0EEEvPT0_PvPT_S7_S7_PKS6_S9_S9_S9_S9_ffiiiiiiiiiiiii
		.amdhsa_group_segment_fixed_size 32
		.amdhsa_private_segment_fixed_size 0
		.amdhsa_kernarg_size 400
		.amdhsa_user_sgpr_count 6
		.amdhsa_user_sgpr_private_segment_buffer 1
		.amdhsa_user_sgpr_dispatch_ptr 0
		.amdhsa_user_sgpr_queue_ptr 0
		.amdhsa_user_sgpr_kernarg_segment_ptr 1
		.amdhsa_user_sgpr_dispatch_id 0
		.amdhsa_user_sgpr_flat_scratch_init 0
		.amdhsa_user_sgpr_kernarg_preload_length 0
		.amdhsa_user_sgpr_kernarg_preload_offset 0
		.amdhsa_user_sgpr_private_segment_size 0
		.amdhsa_uses_dynamic_stack 0
		.amdhsa_system_sgpr_private_segment_wavefront_offset 0
		.amdhsa_system_sgpr_workgroup_id_x 1
		.amdhsa_system_sgpr_workgroup_id_y 1
		.amdhsa_system_sgpr_workgroup_id_z 0
		.amdhsa_system_sgpr_workgroup_info 0
		.amdhsa_system_vgpr_workitem_id 0
		.amdhsa_next_free_vgpr 27
		.amdhsa_next_free_sgpr 44
		.amdhsa_accum_offset 28
		.amdhsa_reserve_vcc 1
		.amdhsa_reserve_flat_scratch 0
		.amdhsa_float_round_mode_32 0
		.amdhsa_float_round_mode_16_64 0
		.amdhsa_float_denorm_mode_32 3
		.amdhsa_float_denorm_mode_16_64 3
		.amdhsa_dx10_clamp 1
		.amdhsa_ieee_mode 1
		.amdhsa_fp16_overflow 0
		.amdhsa_tg_split 0
		.amdhsa_exception_fp_ieee_invalid_op 0
		.amdhsa_exception_fp_denorm_src 0
		.amdhsa_exception_fp_ieee_div_zero 0
		.amdhsa_exception_fp_ieee_overflow 0
		.amdhsa_exception_fp_ieee_underflow 0
		.amdhsa_exception_fp_ieee_inexact 0
		.amdhsa_exception_int_div_zero 0
	.end_amdhsa_kernel
	.section	.text._ZN5aiter35fused_qk_rmsnorm_group_quant_kernelItN4opus5fp4_tELi256ELi8ELi8ELb1ELb0ELb1ELb0ELb0ELb0EEEvPT0_PvPT_S7_S7_PKS6_S9_S9_S9_S9_ffiiiiiiiiiiiii,"axG",@progbits,_ZN5aiter35fused_qk_rmsnorm_group_quant_kernelItN4opus5fp4_tELi256ELi8ELi8ELb1ELb0ELb1ELb0ELb0ELb0EEEvPT0_PvPT_S7_S7_PKS6_S9_S9_S9_S9_ffiiiiiiiiiiiii,comdat
.Lfunc_end532:
	.size	_ZN5aiter35fused_qk_rmsnorm_group_quant_kernelItN4opus5fp4_tELi256ELi8ELi8ELb1ELb0ELb1ELb0ELb0ELb0EEEvPT0_PvPT_S7_S7_PKS6_S9_S9_S9_S9_ffiiiiiiiiiiiii, .Lfunc_end532-_ZN5aiter35fused_qk_rmsnorm_group_quant_kernelItN4opus5fp4_tELi256ELi8ELi8ELb1ELb0ELb1ELb0ELb0ELb0EEEvPT0_PvPT_S7_S7_PKS6_S9_S9_S9_S9_ffiiiiiiiiiiiii
                                        ; -- End function
	.section	.AMDGPU.csdata,"",@progbits
; Kernel info:
; codeLenInByte = 2804
; NumSgprs: 48
; NumVgprs: 27
; NumAgprs: 0
; TotalNumVgprs: 27
; ScratchSize: 0
; MemoryBound: 0
; FloatMode: 240
; IeeeMode: 1
; LDSByteSize: 32 bytes/workgroup (compile time only)
; SGPRBlocks: 5
; VGPRBlocks: 3
; NumSGPRsForWavesPerEU: 48
; NumVGPRsForWavesPerEU: 27
; AccumOffset: 28
; Occupancy: 8
; WaveLimiterHint : 0
; COMPUTE_PGM_RSRC2:SCRATCH_EN: 0
; COMPUTE_PGM_RSRC2:USER_SGPR: 6
; COMPUTE_PGM_RSRC2:TRAP_HANDLER: 0
; COMPUTE_PGM_RSRC2:TGID_X_EN: 1
; COMPUTE_PGM_RSRC2:TGID_Y_EN: 1
; COMPUTE_PGM_RSRC2:TGID_Z_EN: 0
; COMPUTE_PGM_RSRC2:TIDIG_COMP_CNT: 0
; COMPUTE_PGM_RSRC3_GFX90A:ACCUM_OFFSET: 6
; COMPUTE_PGM_RSRC3_GFX90A:TG_SPLIT: 0
	.section	.text._ZN5aiter35fused_qk_rmsnorm_group_quant_kernelIDF16_DB8_Li256ELi8ELi8ELb1ELb0ELb0ELb0ELb0ELb0EEEvPT0_PvPT_S6_S6_PKS5_S8_S8_S8_S8_ffiiiiiiiiiiiii,"axG",@progbits,_ZN5aiter35fused_qk_rmsnorm_group_quant_kernelIDF16_DB8_Li256ELi8ELi8ELb1ELb0ELb0ELb0ELb0ELb0EEEvPT0_PvPT_S6_S6_PKS5_S8_S8_S8_S8_ffiiiiiiiiiiiii,comdat
	.protected	_ZN5aiter35fused_qk_rmsnorm_group_quant_kernelIDF16_DB8_Li256ELi8ELi8ELb1ELb0ELb0ELb0ELb0ELb0EEEvPT0_PvPT_S6_S6_PKS5_S8_S8_S8_S8_ffiiiiiiiiiiiii ; -- Begin function _ZN5aiter35fused_qk_rmsnorm_group_quant_kernelIDF16_DB8_Li256ELi8ELi8ELb1ELb0ELb0ELb0ELb0ELb0EEEvPT0_PvPT_S6_S6_PKS5_S8_S8_S8_S8_ffiiiiiiiiiiiii
	.globl	_ZN5aiter35fused_qk_rmsnorm_group_quant_kernelIDF16_DB8_Li256ELi8ELi8ELb1ELb0ELb0ELb0ELb0ELb0EEEvPT0_PvPT_S6_S6_PKS5_S8_S8_S8_S8_ffiiiiiiiiiiiii
	.p2align	8
	.type	_ZN5aiter35fused_qk_rmsnorm_group_quant_kernelIDF16_DB8_Li256ELi8ELi8ELb1ELb0ELb0ELb0ELb0ELb0EEEvPT0_PvPT_S6_S6_PKS5_S8_S8_S8_S8_ffiiiiiiiiiiiii,@function
_ZN5aiter35fused_qk_rmsnorm_group_quant_kernelIDF16_DB8_Li256ELi8ELi8ELb1ELb0ELb0ELb0ELb0ELb0EEEvPT0_PvPT_S6_S6_PKS5_S8_S8_S8_S8_ffiiiiiiiiiiiii: ; @_ZN5aiter35fused_qk_rmsnorm_group_quant_kernelIDF16_DB8_Li256ELi8ELi8ELb1ELb0ELb0ELb0ELb0ELb0EEEvPT0_PvPT_S6_S6_PKS5_S8_S8_S8_S8_ffiiiiiiiiiiiii
; %bb.0:
	s_load_dwordx8 s[12:19], s[4:5], 0x50
	s_waitcnt lgkmcnt(0)
	s_cmp_ge_i32 s6, s14
	s_cbranch_scc1 .LBB533_17
; %bb.1:
	s_cmp_lg_u32 s7, 0
	s_cselect_b64 s[10:11], -1, 0
	s_cmp_eq_u32 s7, 0
	s_cselect_b64 s[8:9], -1, 0
	s_and_b64 s[0:1], s[8:9], exec
	s_load_dwordx2 s[20:21], s[4:5], 0x48
	s_load_dwordx2 s[36:37], s[4:5], 0x30
	s_load_dwordx4 s[24:27], s[4:5], 0x70
	s_cselect_b32 s7, s15, s16
	s_add_i32 s0, s7, 1
	s_lshr_b32 s1, s0, 31
	s_add_i32 s0, s0, s1
	s_lshl_b32 s0, s0, 1
	v_lshlrev_b32_e32 v1, 3, v0
	s_and_b32 s30, s0, -4
	v_cmp_gt_i32_e64 s[0:1], s7, v1
	v_mov_b32_e32 v24, 0
	v_mov_b32_e32 v25, 0
	;; [unrolled: 1-line block ×8, first 2 shown]
	s_and_saveexec_b64 s[2:3], s[0:1]
	s_cbranch_execz .LBB533_3
; %bb.2:
	s_load_dwordx2 s[22:23], s[4:5], 0x28
	s_load_dwordx2 s[28:29], s[4:5], 0x40
	s_and_b64 s[34:35], s[8:9], exec
	s_cselect_b32 s14, s17, s18
	s_mov_b32 s31, 0x20000
	s_waitcnt lgkmcnt(0)
	s_cselect_b32 s17, s23, s37
	s_cselect_b32 s27, s22, s36
	s_mul_hi_i32 s23, s14, s6
	s_mul_i32 s22, s14, s6
	s_lshl_b64 s[22:23], s[22:23], 1
	s_add_u32 s40, s27, s22
	s_addc_u32 s14, s17, s23
	s_and_b64 s[22:23], s[8:9], exec
	s_cselect_b32 s28, s28, s20
	s_cselect_b32 s17, s29, s21
	v_lshlrev_b32_e32 v2, 4, v0
	s_and_b32 s41, s14, 0xffff
	s_mov_b32 s42, s30
	s_mov_b32 s43, s31
	s_and_b32 s29, s17, 0xffff
	buffer_load_dwordx4 v[28:31], v2, s[40:43], 0 offen glc slc
	buffer_load_dwordx4 v[24:27], v2, s[28:31], 0 offen
.LBB533_3:
	s_or_b64 exec, exec, s[2:3]
	s_load_dwordx2 s[34:35], s[4:5], 0x80
	s_and_b64 vcc, exec, s[10:11]
	s_cbranch_vccz .LBB533_7
; %bb.4:
	v_mov_b32_e32 v33, 0
	v_mov_b32_e32 v32, 0
	;; [unrolled: 1-line block ×8, first 2 shown]
	s_and_saveexec_b64 s[2:3], s[0:1]
	s_cbranch_execz .LBB533_6
; %bb.5:
	s_waitcnt vmcnt(1)
	v_cvt_f32_f16_sdwa v17, v28 dst_sel:DWORD dst_unused:UNUSED_PAD src0_sel:WORD_1
	v_cvt_f32_f16_e32 v16, v28
	v_cvt_f32_f16_sdwa v11, v29 dst_sel:DWORD dst_unused:UNUSED_PAD src0_sel:WORD_1
	v_cvt_f32_f16_e32 v10, v29
	;; [unrolled: 2-line block ×4, first 2 shown]
.LBB533_6:
	s_or_b64 exec, exec, s[2:3]
	s_cbranch_execz .LBB533_8
	s_branch .LBB533_11
.LBB533_7:
                                        ; implicit-def: $vgpr8_vgpr9_vgpr10_vgpr11_vgpr12_vgpr13_vgpr14_vgpr15
                                        ; implicit-def: $vgpr33
                                        ; implicit-def: $vgpr16_vgpr17_vgpr18_vgpr19_vgpr20_vgpr21_vgpr22_vgpr23
                                        ; implicit-def: $vgpr2_vgpr3_vgpr4_vgpr5_vgpr6_vgpr7_vgpr8_vgpr9
.LBB533_8:
	v_mov_b32_e32 v33, 0
	v_mov_b32_e32 v32, 0
	;; [unrolled: 1-line block ×8, first 2 shown]
	s_and_saveexec_b64 s[2:3], s[0:1]
	s_cbranch_execz .LBB533_10
; %bb.9:
	s_load_dwordx2 s[22:23], s[4:5], 0x38
	s_mul_hi_i32 s29, s19, s6
	s_mul_i32 s28, s19, s6
	s_lshl_b64 s[28:29], s[28:29], 1
	s_mov_b32 s31, 0x20000
	s_waitcnt lgkmcnt(0)
	s_add_u32 s28, s22, s28
	s_addc_u32 s14, s23, s29
	s_and_b32 s29, s14, 0xffff
	v_lshlrev_b32_e32 v20, 4, v0
	buffer_load_dwordx4 v[2:5], v20, s[28:31], 0 offen glc slc
	s_waitcnt vmcnt(2)
	v_cvt_f32_f16_sdwa v7, v28 dst_sel:DWORD dst_unused:UNUSED_PAD src0_sel:WORD_1
	v_cvt_f32_f16_e32 v6, v28
	v_cvt_f32_f16_sdwa v9, v29 dst_sel:DWORD dst_unused:UNUSED_PAD src0_sel:WORD_1
	v_cvt_f32_f16_e32 v8, v29
	;; [unrolled: 2-line block ×4, first 2 shown]
	s_load_dwordx2 s[22:23], s[4:5], 0x20
	s_mul_hi_i32 s29, s35, s6
	s_mul_i32 s28, s35, s6
	s_lshl_b64 s[28:29], s[28:29], 1
	s_waitcnt lgkmcnt(0)
	s_add_u32 s28, s22, s28
	s_addc_u32 s14, s23, s29
	s_and_b32 s29, s14, 0xffff
	s_waitcnt vmcnt(0)
	v_cvt_f32_f16_e32 v10, v2
	v_cvt_f32_f16_sdwa v11, v2 dst_sel:DWORD dst_unused:UNUSED_PAD src0_sel:WORD_1
	v_cvt_f32_f16_e32 v2, v3
	v_cvt_f32_f16_sdwa v3, v3 dst_sel:DWORD dst_unused:UNUSED_PAD src0_sel:WORD_1
	v_cvt_f32_f16_e32 v18, v4
	v_cvt_f32_f16_sdwa v19, v4 dst_sel:DWORD dst_unused:UNUSED_PAD src0_sel:WORD_1
	v_cvt_f32_f16_e32 v4, v5
	v_cvt_f32_f16_sdwa v5, v5 dst_sel:DWORD dst_unused:UNUSED_PAD src0_sel:WORD_1
	v_pk_add_f32 v[16:17], v[6:7], v[10:11]
	v_pk_add_f32 v[10:11], v[8:9], v[2:3]
	v_pk_add_f32 v[6:7], v[12:13], v[18:19]
	v_pk_add_f32 v[32:33], v[14:15], v[4:5]
	v_cvt_f16_f32_e32 v2, v17
	v_cvt_f16_f32_e32 v3, v11
	;; [unrolled: 1-line block ×8, first 2 shown]
	v_pack_b32_f16 v5, v8, v5
	v_pack_b32_f16 v4, v9, v4
	;; [unrolled: 1-line block ×4, first 2 shown]
	buffer_store_dwordx4 v[2:5], v20, s[28:31], 0 offen glc slc
	;;#ASMSTART
	s_nop 0
	;;#ASMEND
.LBB533_10:
	s_or_b64 exec, exec, s[2:3]
.LBB533_11:
	v_mul_f32_e32 v2, v17, v17
	v_fmac_f32_e32 v2, v16, v16
	v_fmac_f32_e32 v2, v10, v10
	;; [unrolled: 1-line block ×7, first 2 shown]
	v_and_b32_e32 v4, 63, v0
	v_cmp_eq_u32_e64 s[2:3], 63, v4
	v_mov_b32_dpp v3, v2 quad_perm:[1,0,3,2] row_mask:0xf bank_mask:0xf
	v_add_f32_e32 v2, v2, v3
	s_nop 1
	v_mov_b32_dpp v3, v2 quad_perm:[2,3,0,1] row_mask:0xf bank_mask:0xf
	v_add_f32_e32 v2, v2, v3
	s_nop 1
	v_mov_b32_dpp v3, v2 row_half_mirror row_mask:0xf bank_mask:0xf
	v_add_f32_e32 v2, v2, v3
	s_nop 1
	v_mov_b32_dpp v3, v2 row_mirror row_mask:0xf bank_mask:0xf
	v_add_f32_e32 v2, v2, v3
	s_nop 1
	v_mov_b32_dpp v3, v2 row_bcast:15 row_mask:0xf bank_mask:0xf
	v_add_f32_e32 v2, v2, v3
	s_nop 1
	v_mov_b32_dpp v3, v2 row_bcast:31 row_mask:0xf bank_mask:0xf
	s_and_saveexec_b64 s[22:23], s[2:3]
	s_cbranch_execz .LBB533_13
; %bb.12:
	v_add_f32_e32 v2, v2, v3
	v_lshrrev_b32_e32 v3, 4, v0
	v_and_b32_e32 v3, 60, v3
	ds_write_b32 v3, v2 offset:16
.LBB533_13:
	s_or_b64 exec, exec, s[22:23]
	v_and_b32_e32 v2, 3, v0
	v_lshlrev_b32_e32 v18, 2, v2
	s_waitcnt lgkmcnt(0)
	s_barrier
	ds_read_b32 v2, v18 offset:16
	s_load_dwordx2 s[38:39], s[4:5], 0x18
	s_waitcnt lgkmcnt(0)
	v_mov_b32_dpp v3, v2 quad_perm:[1,0,3,2] row_mask:0xf bank_mask:0xf
	v_add_f32_e32 v2, v2, v3
	s_nop 1
	v_mov_b32_dpp v3, v2 quad_perm:[2,3,0,1] row_mask:0xf bank_mask:0xf
	s_and_saveexec_b64 s[22:23], s[0:1]
	s_cbranch_execnz .LBB533_18
; %bb.14:
	s_or_b64 exec, exec, s[22:23]
	s_mov_b64 s[8:9], -1
	s_and_b64 vcc, exec, s[10:11]
	s_cbranch_vccnz .LBB533_19
.LBB533_15:
	s_andn2_b64 vcc, exec, s[8:9]
	s_cbranch_vccz .LBB533_22
.LBB533_16:
	s_cmp_lt_i32 s16, 1
	s_cbranch_scc0 .LBB533_29
.LBB533_17:
	s_endpgm
.LBB533_18:
	v_cvt_f32_u32_e32 v4, s7
	v_add_f32_e32 v2, v2, v3
	v_mov_b32_e32 v8, s13
	v_mov_b32_e32 v9, s12
	v_div_scale_f32 v3, s[28:29], v4, v4, v2
	v_rcp_f32_e32 v5, v3
	v_cndmask_b32_e64 v8, v8, v9, s[8:9]
	s_mov_b32 s7, 0x800000
	s_waitcnt vmcnt(0)
	v_cvt_f32_f16_sdwa v15, v26 dst_sel:DWORD dst_unused:UNUSED_PAD src0_sel:WORD_1
	v_fma_f32 v9, -v3, v5, 1.0
	v_fmac_f32_e32 v5, v9, v5
	v_div_scale_f32 v9, vcc, v2, v4, v2
	v_mul_f32_e32 v12, v9, v5
	v_fma_f32 v13, -v3, v12, v9
	v_fmac_f32_e32 v12, v13, v5
	v_fma_f32 v3, -v3, v12, v9
	v_div_fmas_f32 v3, v3, v5, v12
	v_div_fixup_f32 v2, v3, v4, v2
	v_add_f32_e32 v2, v8, v2
	v_mul_f32_e32 v3, 0x4b800000, v2
	v_cmp_gt_f32_e32 vcc, s7, v2
	v_cndmask_b32_e32 v2, v2, v3, vcc
	v_rsq_f32_e32 v2, v2
	v_cvt_f32_f16_sdwa v13, v25 dst_sel:DWORD dst_unused:UNUSED_PAD src0_sel:WORD_1
	v_cvt_f32_f16_e32 v12, v25
	v_cvt_f32_f16_e32 v14, v26
	v_mul_f32_e32 v3, 0x45800000, v2
	v_cndmask_b32_e32 v2, v2, v3, vcc
	v_mov_b32_e32 v3, v2
	;;#ASMSTART
	v_pk_mul_f32 v[4:5], v[16:17], v[2:3]
	;;#ASMEND
	;;#ASMSTART
	v_pk_mul_f32 v[8:9], v[10:11], v[2:3]
	;;#ASMEND
	;; [unrolled: 3-line block ×3, first 2 shown]
	v_cvt_f32_f16_sdwa v11, v24 dst_sel:DWORD dst_unused:UNUSED_PAD src0_sel:WORD_1
	v_cvt_f32_f16_e32 v10, v24
	;;#ASMSTART
	v_pk_mul_f32 v[2:3], v[32:33], v[2:3]
	;;#ASMEND
	v_cvt_f32_f16_sdwa v21, v27 dst_sel:DWORD dst_unused:UNUSED_PAD src0_sel:WORD_1
	v_cvt_f32_f16_e32 v20, v27
	;;#ASMSTART
	v_pk_mul_f32 v[16:17], v[4:5], v[10:11]
	;;#ASMEND
	;;#ASMSTART
	v_pk_mul_f32 v[10:11], v[8:9], v[12:13]
	;;#ASMEND
	;;#ASMSTART
	v_pk_mul_f32 v[6:7], v[6:7], v[14:15]
	;;#ASMEND
	;;#ASMSTART
	v_pk_mul_f32 v[32:33], v[2:3], v[20:21]
	;;#ASMEND
	s_or_b64 exec, exec, s[22:23]
	s_mov_b64 s[8:9], -1
	s_and_b64 vcc, exec, s[10:11]
	s_cbranch_vccz .LBB533_15
.LBB533_19:
	s_and_saveexec_b64 s[8:9], s[0:1]
	s_cbranch_execz .LBB533_21
; %bb.20:
	s_mul_hi_i32 s11, s34, s6
	s_mul_i32 s10, s34, s6
	v_cvt_f16_f32_e32 v2, v16
	v_cvt_f16_f32_e32 v3, v10
	;; [unrolled: 1-line block ×8, first 2 shown]
	s_lshl_b64 s[10:11], s[10:11], 1
	s_add_u32 s28, s38, s10
	s_addc_u32 s7, s39, s11
	s_and_b32 s29, s7, 0xffff
	s_mov_b32 s31, 0x20000
	v_pack_b32_f16 v5, v5, v8
	v_pack_b32_f16 v4, v4, v9
	;; [unrolled: 1-line block ×4, first 2 shown]
	v_lshlrev_b32_e32 v8, 4, v0
	buffer_store_dwordx4 v[2:5], v8, s[28:31], 0 offen
	;;#ASMSTART
	s_nop 0
	;;#ASMEND
.LBB533_21:
	s_or_b64 exec, exec, s[8:9]
	s_cbranch_execnz .LBB533_16
.LBB533_22:
	v_mov_b32_e32 v2, 0
	s_and_saveexec_b64 s[8:9], s[0:1]
	s_cbranch_execz .LBB533_24
; %bb.23:
	v_and_b32_e32 v2, 0x7fffffff, v16
	v_and_b32_e32 v3, 0x7fffffff, v17
	v_mov_b32_e32 v4, 0x2edbe6ff
	;;#ASMSTART
	v_max3_f32 v2, v4, v2, v3

	;;#ASMEND
	v_and_b32_e32 v3, 0x7fffffff, v10
	v_and_b32_e32 v4, 0x7fffffff, v11
	;;#ASMSTART
	v_max3_f32 v2, v2, v3, v4

	;;#ASMEND
	v_and_b32_e32 v3, 0x7fffffff, v6
	v_and_b32_e32 v4, 0x7fffffff, v7
	;; [unrolled: 6-line block ×3, first 2 shown]
	;;#ASMSTART
	v_max3_f32 v2, v2, v3, v4

	;;#ASMEND
.LBB533_24:
	s_or_b64 exec, exec, s[8:9]
	;;#ASMSTART
	v_max_f32 v3, v2, v2 quad_perm:[1,0,3,2] row_mask:0xf bank_mask:0xf bound_ctrl:1
	;;#ASMEND
	;;#ASMSTART
	v_max_f32 v2, v3, v3 quad_perm:[2,3,0,1] row_mask:0xf bank_mask:0xf bound_ctrl:1
	;;#ASMEND
	;;#ASMSTART
	v_max_f32 v3, v2, v2 row_half_mirror row_mask:0xf bank_mask:0xf bound_ctrl:1
	;;#ASMEND
	v_mul_f32_e32 v2, 0x3b124925, v3
	v_and_b32_e32 v3, 7, v0
	v_cmp_eq_u32_e32 vcc, 0, v3
	v_cmp_gt_i32_e64 s[8:9], s15, v1
	s_and_b64 s[10:11], vcc, s[8:9]
	s_and_saveexec_b64 s[8:9], s[10:11]
	s_cbranch_execz .LBB533_26
; %bb.25:
	s_load_dwordx2 s[10:11], s[4:5], 0x8
	s_mul_hi_i32 s23, s25, s6
	s_mul_i32 s22, s25, s6
	v_lshrrev_b32_e32 v3, 3, v0
	s_lshl_b64 s[22:23], s[22:23], 2
	v_mad_i64_i32 v[4:5], s[26:27], s26, v3, 0
	s_waitcnt lgkmcnt(0)
	s_add_u32 s7, s10, s22
	s_addc_u32 s10, s11, s23
	v_lshlrev_b64 v[4:5], 2, v[4:5]
	v_mov_b32_e32 v3, s10
	v_add_co_u32_e32 v4, vcc, s7, v4
	v_addc_co_u32_e32 v5, vcc, v3, v5, vcc
	global_store_dword v[4:5], v2, off
.LBB533_26:
	s_or_b64 exec, exec, s[8:9]
	;;#ASMSTART
	v_rcp_f32 v2, v2
	;;#ASMEND
	s_and_saveexec_b64 s[22:23], s[0:1]
	s_cbranch_execz .LBB533_28
; %bb.27:
	s_load_dwordx2 s[0:1], s[4:5], 0x0
	s_mul_i32 s8, s24, s6
	v_mov_b32_e32 v3, v2
	;;#ASMSTART
	v_pk_mul_f32 v[4:5], v[16:17], v[2:3]
	;;#ASMEND
	s_mul_hi_i32 s7, s24, s6
	s_waitcnt lgkmcnt(0)
	s_add_u32 s8, s0, s8
	v_mov_b32_e32 v8, 0xc3e00000
	v_mov_b32_e32 v9, 0x43e00000
	;;#ASMSTART
	v_med3_f32 v4, v4, v8, v9
v_med3_f32 v5, v5, v8, v9
v_cvt_pk_fp8_f32 v12, v4, v5
	;;#ASMEND
	s_addc_u32 s0, s1, s7
	;;#ASMSTART
	v_pk_mul_f32 v[4:5], v[10:11], v[2:3]
	;;#ASMEND
	s_and_b32 s9, s0, 0xffff
	;;#ASMSTART
	v_med3_f32 v4, v4, v8, v9
v_med3_f32 v5, v5, v8, v9
v_cvt_pk_fp8_f32 v10, v4, v5
	;;#ASMEND
	s_mov_b32 s0, 0x5040100
	v_perm_b32 v5, v10, v12, s0
	s_movk_i32 s0, 0xff
	v_and_b32_e32 v4, 0xffffff00, v10
	v_and_b32_sdwa v10, v5, s0 dst_sel:DWORD dst_unused:UNUSED_PAD src0_sel:WORD_1 src1_sel:DWORD
	s_mov_b32 s12, 0xffff
	v_or_b32_sdwa v4, v10, v4 dst_sel:WORD_1 dst_unused:UNUSED_PAD src0_sel:DWORD src1_sel:DWORD
	s_add_i32 s1, s15, 3
	v_and_or_b32 v4, v5, s12, v4
	;;#ASMSTART
	v_pk_mul_f32 v[6:7], v[6:7], v[2:3]
	;;#ASMEND
	v_mov_b32_e32 v5, v6
	s_ashr_i32 s7, s1, 31
	;;#ASMSTART
	v_med3_f32 v5, v5, v8, v9
v_med3_f32 v7, v7, v8, v9
v_cvt_pk_fp8_f32 v6, v5, v7
	;;#ASMEND
	;;#ASMSTART
	v_pk_mul_f32 v[2:3], v[32:33], v[2:3]
	;;#ASMEND
	s_lshr_b32 s7, s7, 30
	;;#ASMSTART
	v_med3_f32 v2, v2, v8, v9
v_med3_f32 v3, v3, v8, v9
v_cvt_pk_fp8_f32 v5, v2, v3
	;;#ASMEND
	s_add_i32 s1, s1, s7
	v_lshlrev_b32_e32 v2, 16, v5
	s_and_b32 s10, s1, -4
	s_mov_b32 s11, 0x20000
	v_and_or_b32 v5, v6, s12, v2
	buffer_store_dwordx2 v[4:5], v1, s[8:11], 0 offen
	;;#ASMSTART
	s_nop 0
	;;#ASMEND
.LBB533_28:
	s_or_b64 exec, exec, s[22:23]
	s_cmp_lt_i32 s16, 1
	s_cbranch_scc1 .LBB533_17
.LBB533_29:
	s_load_dword s0, s[4:5], 0x94
	s_waitcnt lgkmcnt(0)
	s_cmp_lg_u32 s0, 1
	s_cbranch_scc1 .LBB533_17
; %bb.30:
	s_lshl_b32 s0, s16, 1
	s_add_i32 s0, s0, 2
	v_cmp_gt_u32_e32 vcc, s16, v1
	s_and_b32 s22, s0, -4
	v_mov_b32_e32 v10, 0
	v_lshlrev_b32_e32 v1, 4, v0
	v_mov_b32_e32 v6, 0
	v_mov_b32_e32 v7, 0
	;; [unrolled: 1-line block ×8, first 2 shown]
	s_barrier
	s_and_saveexec_b64 s[0:1], vcc
	s_cbranch_execz .LBB533_32
; %bb.31:
	s_mul_hi_i32 s5, s18, s6
	s_mul_i32 s4, s18, s6
	s_and_b32 s21, s21, 0xffff
	s_lshl_b64 s[4:5], s[4:5], 1
	s_add_u32 s8, s36, s4
	s_mov_b32 s23, 0x20000
	s_addc_u32 s4, s37, s5
	s_and_b32 s9, s4, 0xffff
	s_mov_b32 s10, s22
	s_mov_b32 s11, s23
	buffer_load_dwordx4 v[6:9], v1, s[8:11], 0 offen glc slc
	buffer_load_dwordx4 v[2:5], v1, s[20:23], 0 offen
.LBB533_32:
	s_or_b64 exec, exec, s[0:1]
	v_mov_b32_e32 v11, 0
	v_mov_b32_e32 v16, 0
	;; [unrolled: 1-line block ×7, first 2 shown]
	s_and_saveexec_b64 s[0:1], vcc
	s_cbranch_execz .LBB533_34
; %bb.33:
	s_waitcnt vmcnt(1)
	v_cvt_f32_f16_sdwa v11, v6 dst_sel:DWORD dst_unused:UNUSED_PAD src0_sel:WORD_1
	v_cvt_f32_f16_e32 v10, v6
	v_cvt_f32_f16_sdwa v17, v7 dst_sel:DWORD dst_unused:UNUSED_PAD src0_sel:WORD_1
	v_cvt_f32_f16_e32 v16, v7
	;; [unrolled: 2-line block ×4, first 2 shown]
.LBB533_34:
	s_or_b64 exec, exec, s[0:1]
	s_waitcnt vmcnt(1)
	v_mul_f32_e32 v6, v11, v11
	v_fmac_f32_e32 v6, v10, v10
	v_fmac_f32_e32 v6, v16, v16
	;; [unrolled: 1-line block ×7, first 2 shown]
	s_nop 1
	v_mov_b32_dpp v7, v6 quad_perm:[1,0,3,2] row_mask:0xf bank_mask:0xf
	v_add_f32_e32 v6, v6, v7
	s_nop 1
	v_mov_b32_dpp v7, v6 quad_perm:[2,3,0,1] row_mask:0xf bank_mask:0xf
	v_add_f32_e32 v6, v6, v7
	s_nop 1
	v_mov_b32_dpp v7, v6 row_half_mirror row_mask:0xf bank_mask:0xf
	v_add_f32_e32 v6, v6, v7
	s_nop 1
	v_mov_b32_dpp v7, v6 row_mirror row_mask:0xf bank_mask:0xf
	v_add_f32_e32 v6, v6, v7
	s_nop 1
	v_mov_b32_dpp v7, v6 row_bcast:15 row_mask:0xf bank_mask:0xf
	v_add_f32_e32 v6, v6, v7
	s_nop 1
	v_mov_b32_dpp v7, v6 row_bcast:31 row_mask:0xf bank_mask:0xf
	s_and_saveexec_b64 s[0:1], s[2:3]
	s_cbranch_execz .LBB533_36
; %bb.35:
	v_lshrrev_b32_e32 v0, 4, v0
	v_add_f32_e32 v6, v6, v7
	v_and_b32_e32 v0, 60, v0
	ds_write_b32 v0, v6
.LBB533_36:
	s_or_b64 exec, exec, s[0:1]
	s_waitcnt lgkmcnt(0)
	s_barrier
	ds_read_b32 v0, v18
	s_waitcnt lgkmcnt(0)
	s_nop 0
	v_mov_b32_dpp v6, v0 quad_perm:[1,0,3,2] row_mask:0xf bank_mask:0xf
	v_add_f32_e32 v0, v0, v6
	s_nop 1
	v_mov_b32_dpp v6, v0 quad_perm:[2,3,0,1] row_mask:0xf bank_mask:0xf
	s_and_saveexec_b64 s[0:1], vcc
	s_cbranch_execz .LBB533_17
; %bb.37:
	v_cvt_f32_u32_e32 v7, s16
	v_add_f32_e32 v0, v0, v6
	s_mov_b32 s23, 0x20000
	v_div_scale_f32 v6, s[0:1], v7, v7, v0
	v_rcp_f32_e32 v8, v6
	v_div_scale_f32 v9, vcc, v0, v7, v0
	s_mov_b32 s0, 0x800000
	v_fma_f32 v18, -v6, v8, 1.0
	v_fmac_f32_e32 v8, v18, v8
	v_mul_f32_e32 v18, v9, v8
	v_fma_f32 v19, -v6, v18, v9
	v_fmac_f32_e32 v18, v19, v8
	v_fma_f32 v6, -v6, v18, v9
	v_div_fmas_f32 v6, v6, v8, v18
	v_div_fixup_f32 v0, v6, v7, v0
	v_add_f32_e32 v0, s13, v0
	v_mul_f32_e32 v6, 0x4b800000, v0
	v_cmp_gt_f32_e32 vcc, s0, v0
	v_cndmask_b32_e32 v0, v0, v6, vcc
	v_rsq_f32_e32 v0, v0
	s_waitcnt vmcnt(0)
	v_cvt_f32_f16_sdwa v19, v5 dst_sel:DWORD dst_unused:UNUSED_PAD src0_sel:WORD_1
	v_cvt_f32_f16_e32 v18, v5
	s_mul_hi_i32 s1, s34, s6
	v_mul_f32_e32 v6, 0x45800000, v0
	v_cndmask_b32_e32 v6, v0, v6, vcc
	v_mov_b32_e32 v7, v6
	;;#ASMSTART
	v_pk_mul_f32 v[8:9], v[10:11], v[6:7]
	;;#ASMEND
	;;#ASMSTART
	v_pk_mul_f32 v[10:11], v[16:17], v[6:7]
	;;#ASMEND
	;; [unrolled: 3-line block ×4, first 2 shown]
	v_cvt_f32_f16_sdwa v13, v2 dst_sel:DWORD dst_unused:UNUSED_PAD src0_sel:WORD_1
	v_cvt_f32_f16_e32 v12, v2
	v_cvt_f32_f16_sdwa v17, v3 dst_sel:DWORD dst_unused:UNUSED_PAD src0_sel:WORD_1
	v_cvt_f32_f16_e32 v16, v3
	v_cvt_f32_f16_sdwa v3, v4 dst_sel:DWORD dst_unused:UNUSED_PAD src0_sel:WORD_1
	v_cvt_f32_f16_e32 v2, v4
	;;#ASMSTART
	v_pk_mul_f32 v[4:5], v[8:9], v[12:13]
	;;#ASMEND
	;;#ASMSTART
	v_pk_mul_f32 v[8:9], v[10:11], v[16:17]
	;;#ASMEND
	;; [unrolled: 3-line block ×4, first 2 shown]
	s_mul_i32 s0, s34, s6
	v_cvt_f16_f32_e32 v0, v4
	v_cvt_f16_f32_e32 v4, v5
	;; [unrolled: 1-line block ×8, first 2 shown]
	s_lshl_b64 s[0:1], s[0:1], 1
	s_add_u32 s20, s38, s0
	s_addc_u32 s0, s39, s1
	s_and_b32 s21, s0, 0xffff
	v_pack_b32_f16 v2, v0, v4
	v_pack_b32_f16 v3, v5, v8
	;; [unrolled: 1-line block ×4, first 2 shown]
	buffer_store_dwordx4 v[2:5], v1, s[20:23], 0 offen
	;;#ASMSTART
	s_nop 0
	;;#ASMEND
	s_endpgm
	.section	.rodata,"a",@progbits
	.p2align	6, 0x0
	.amdhsa_kernel _ZN5aiter35fused_qk_rmsnorm_group_quant_kernelIDF16_DB8_Li256ELi8ELi8ELb1ELb0ELb0ELb0ELb0ELb0EEEvPT0_PvPT_S6_S6_PKS5_S8_S8_S8_S8_ffiiiiiiiiiiiii
		.amdhsa_group_segment_fixed_size 32
		.amdhsa_private_segment_fixed_size 0
		.amdhsa_kernarg_size 400
		.amdhsa_user_sgpr_count 6
		.amdhsa_user_sgpr_private_segment_buffer 1
		.amdhsa_user_sgpr_dispatch_ptr 0
		.amdhsa_user_sgpr_queue_ptr 0
		.amdhsa_user_sgpr_kernarg_segment_ptr 1
		.amdhsa_user_sgpr_dispatch_id 0
		.amdhsa_user_sgpr_flat_scratch_init 0
		.amdhsa_user_sgpr_kernarg_preload_length 0
		.amdhsa_user_sgpr_kernarg_preload_offset 0
		.amdhsa_user_sgpr_private_segment_size 0
		.amdhsa_uses_dynamic_stack 0
		.amdhsa_system_sgpr_private_segment_wavefront_offset 0
		.amdhsa_system_sgpr_workgroup_id_x 1
		.amdhsa_system_sgpr_workgroup_id_y 1
		.amdhsa_system_sgpr_workgroup_id_z 0
		.amdhsa_system_sgpr_workgroup_info 0
		.amdhsa_system_vgpr_workitem_id 0
		.amdhsa_next_free_vgpr 34
		.amdhsa_next_free_sgpr 44
		.amdhsa_accum_offset 36
		.amdhsa_reserve_vcc 1
		.amdhsa_reserve_flat_scratch 0
		.amdhsa_float_round_mode_32 0
		.amdhsa_float_round_mode_16_64 0
		.amdhsa_float_denorm_mode_32 3
		.amdhsa_float_denorm_mode_16_64 3
		.amdhsa_dx10_clamp 1
		.amdhsa_ieee_mode 1
		.amdhsa_fp16_overflow 0
		.amdhsa_tg_split 0
		.amdhsa_exception_fp_ieee_invalid_op 0
		.amdhsa_exception_fp_denorm_src 0
		.amdhsa_exception_fp_ieee_div_zero 0
		.amdhsa_exception_fp_ieee_overflow 0
		.amdhsa_exception_fp_ieee_underflow 0
		.amdhsa_exception_fp_ieee_inexact 0
		.amdhsa_exception_int_div_zero 0
	.end_amdhsa_kernel
	.section	.text._ZN5aiter35fused_qk_rmsnorm_group_quant_kernelIDF16_DB8_Li256ELi8ELi8ELb1ELb0ELb0ELb0ELb0ELb0EEEvPT0_PvPT_S6_S6_PKS5_S8_S8_S8_S8_ffiiiiiiiiiiiii,"axG",@progbits,_ZN5aiter35fused_qk_rmsnorm_group_quant_kernelIDF16_DB8_Li256ELi8ELi8ELb1ELb0ELb0ELb0ELb0ELb0EEEvPT0_PvPT_S6_S6_PKS5_S8_S8_S8_S8_ffiiiiiiiiiiiii,comdat
.Lfunc_end533:
	.size	_ZN5aiter35fused_qk_rmsnorm_group_quant_kernelIDF16_DB8_Li256ELi8ELi8ELb1ELb0ELb0ELb0ELb0ELb0EEEvPT0_PvPT_S6_S6_PKS5_S8_S8_S8_S8_ffiiiiiiiiiiiii, .Lfunc_end533-_ZN5aiter35fused_qk_rmsnorm_group_quant_kernelIDF16_DB8_Li256ELi8ELi8ELb1ELb0ELb0ELb0ELb0ELb0EEEvPT0_PvPT_S6_S6_PKS5_S8_S8_S8_S8_ffiiiiiiiiiiiii
                                        ; -- End function
	.section	.AMDGPU.csdata,"",@progbits
; Kernel info:
; codeLenInByte = 2844
; NumSgprs: 48
; NumVgprs: 34
; NumAgprs: 0
; TotalNumVgprs: 34
; ScratchSize: 0
; MemoryBound: 0
; FloatMode: 240
; IeeeMode: 1
; LDSByteSize: 32 bytes/workgroup (compile time only)
; SGPRBlocks: 5
; VGPRBlocks: 4
; NumSGPRsForWavesPerEU: 48
; NumVGPRsForWavesPerEU: 34
; AccumOffset: 36
; Occupancy: 8
; WaveLimiterHint : 0
; COMPUTE_PGM_RSRC2:SCRATCH_EN: 0
; COMPUTE_PGM_RSRC2:USER_SGPR: 6
; COMPUTE_PGM_RSRC2:TRAP_HANDLER: 0
; COMPUTE_PGM_RSRC2:TGID_X_EN: 1
; COMPUTE_PGM_RSRC2:TGID_Y_EN: 1
; COMPUTE_PGM_RSRC2:TGID_Z_EN: 0
; COMPUTE_PGM_RSRC2:TIDIG_COMP_CNT: 0
; COMPUTE_PGM_RSRC3_GFX90A:ACCUM_OFFSET: 8
; COMPUTE_PGM_RSRC3_GFX90A:TG_SPLIT: 0
	.section	.text._ZN5aiter35fused_qk_rmsnorm_group_quant_kernelItDB8_Li256ELi8ELi8ELb1ELb0ELb0ELb0ELb0ELb0EEEvPT0_PvPT_S6_S6_PKS5_S8_S8_S8_S8_ffiiiiiiiiiiiii,"axG",@progbits,_ZN5aiter35fused_qk_rmsnorm_group_quant_kernelItDB8_Li256ELi8ELi8ELb1ELb0ELb0ELb0ELb0ELb0EEEvPT0_PvPT_S6_S6_PKS5_S8_S8_S8_S8_ffiiiiiiiiiiiii,comdat
	.protected	_ZN5aiter35fused_qk_rmsnorm_group_quant_kernelItDB8_Li256ELi8ELi8ELb1ELb0ELb0ELb0ELb0ELb0EEEvPT0_PvPT_S6_S6_PKS5_S8_S8_S8_S8_ffiiiiiiiiiiiii ; -- Begin function _ZN5aiter35fused_qk_rmsnorm_group_quant_kernelItDB8_Li256ELi8ELi8ELb1ELb0ELb0ELb0ELb0ELb0EEEvPT0_PvPT_S6_S6_PKS5_S8_S8_S8_S8_ffiiiiiiiiiiiii
	.globl	_ZN5aiter35fused_qk_rmsnorm_group_quant_kernelItDB8_Li256ELi8ELi8ELb1ELb0ELb0ELb0ELb0ELb0EEEvPT0_PvPT_S6_S6_PKS5_S8_S8_S8_S8_ffiiiiiiiiiiiii
	.p2align	8
	.type	_ZN5aiter35fused_qk_rmsnorm_group_quant_kernelItDB8_Li256ELi8ELi8ELb1ELb0ELb0ELb0ELb0ELb0EEEvPT0_PvPT_S6_S6_PKS5_S8_S8_S8_S8_ffiiiiiiiiiiiii,@function
_ZN5aiter35fused_qk_rmsnorm_group_quant_kernelItDB8_Li256ELi8ELi8ELb1ELb0ELb0ELb0ELb0ELb0EEEvPT0_PvPT_S6_S6_PKS5_S8_S8_S8_S8_ffiiiiiiiiiiiii: ; @_ZN5aiter35fused_qk_rmsnorm_group_quant_kernelItDB8_Li256ELi8ELi8ELb1ELb0ELb0ELb0ELb0ELb0EEEvPT0_PvPT_S6_S6_PKS5_S8_S8_S8_S8_ffiiiiiiiiiiiii
; %bb.0:
	s_load_dwordx8 s[12:19], s[4:5], 0x50
	s_waitcnt lgkmcnt(0)
	s_cmp_ge_i32 s6, s14
	s_cbranch_scc1 .LBB534_17
; %bb.1:
	s_cmp_lg_u32 s7, 0
	s_cselect_b64 s[10:11], -1, 0
	s_cmp_eq_u32 s7, 0
	s_cselect_b64 s[8:9], -1, 0
	s_and_b64 s[0:1], s[8:9], exec
	s_load_dwordx2 s[20:21], s[4:5], 0x48
	s_load_dwordx2 s[36:37], s[4:5], 0x30
	s_load_dwordx4 s[24:27], s[4:5], 0x70
	s_cselect_b32 s7, s15, s16
	s_add_i32 s0, s7, 1
	s_lshr_b32 s1, s0, 31
	s_add_i32 s0, s0, s1
	s_lshl_b32 s0, s0, 1
	v_lshlrev_b32_e32 v1, 3, v0
	s_and_b32 s30, s0, -4
	v_cmp_gt_i32_e64 s[0:1], s7, v1
	v_mov_b32_e32 v10, 0
	v_mov_b32_e32 v11, 0
	;; [unrolled: 1-line block ×8, first 2 shown]
	s_and_saveexec_b64 s[2:3], s[0:1]
	s_cbranch_execz .LBB534_3
; %bb.2:
	s_load_dwordx2 s[22:23], s[4:5], 0x28
	s_load_dwordx2 s[28:29], s[4:5], 0x40
	s_and_b64 s[34:35], s[8:9], exec
	s_cselect_b32 s14, s17, s18
	s_mov_b32 s31, 0x20000
	s_waitcnt lgkmcnt(0)
	s_cselect_b32 s17, s23, s37
	s_cselect_b32 s27, s22, s36
	s_mul_hi_i32 s23, s14, s6
	s_mul_i32 s22, s14, s6
	s_lshl_b64 s[22:23], s[22:23], 1
	s_add_u32 s40, s27, s22
	s_addc_u32 s14, s17, s23
	s_and_b64 s[22:23], s[8:9], exec
	s_cselect_b32 s28, s28, s20
	s_cselect_b32 s17, s29, s21
	v_lshlrev_b32_e32 v2, 4, v0
	s_and_b32 s41, s14, 0xffff
	s_mov_b32 s42, s30
	s_mov_b32 s43, s31
	s_and_b32 s29, s17, 0xffff
	buffer_load_dwordx4 v[14:17], v2, s[40:43], 0 offen glc slc
	buffer_load_dwordx4 v[10:13], v2, s[28:31], 0 offen
.LBB534_3:
	s_or_b64 exec, exec, s[2:3]
	s_load_dwordx2 s[34:35], s[4:5], 0x80
	s_and_b64 vcc, exec, s[10:11]
	s_cbranch_vccz .LBB534_7
; %bb.4:
	s_mov_b32 s40, 0
	s_mov_b32 s41, s40
	;; [unrolled: 1-line block ×8, first 2 shown]
	v_pk_mov_b32 v[2:3], s[40:41], s[40:41] op_sel:[0,1]
	v_pk_mov_b32 v[4:5], s[42:43], s[42:43] op_sel:[0,1]
	v_pk_mov_b32 v[6:7], s[44:45], s[44:45] op_sel:[0,1]
	v_pk_mov_b32 v[8:9], s[46:47], s[46:47] op_sel:[0,1]
	s_and_saveexec_b64 s[2:3], s[0:1]
	s_cbranch_execz .LBB534_6
; %bb.5:
	s_waitcnt vmcnt(1)
	v_cvt_f32_u32_sdwa v3, v14 dst_sel:DWORD dst_unused:UNUSED_PAD src0_sel:WORD_1
	v_cvt_f32_u32_sdwa v2, v14 dst_sel:DWORD dst_unused:UNUSED_PAD src0_sel:WORD_0
	v_cvt_f32_u32_sdwa v5, v15 dst_sel:DWORD dst_unused:UNUSED_PAD src0_sel:WORD_1
	v_cvt_f32_u32_sdwa v4, v15 dst_sel:DWORD dst_unused:UNUSED_PAD src0_sel:WORD_0
	;; [unrolled: 2-line block ×4, first 2 shown]
.LBB534_6:
	s_or_b64 exec, exec, s[2:3]
	s_cbranch_execz .LBB534_8
	s_branch .LBB534_11
.LBB534_7:
                                        ; implicit-def: $vgpr2_vgpr3_vgpr4_vgpr5_vgpr6_vgpr7_vgpr8_vgpr9
.LBB534_8:
	s_mov_b32 s40, 0
	s_mov_b32 s41, s40
	;; [unrolled: 1-line block ×8, first 2 shown]
	v_pk_mov_b32 v[2:3], s[40:41], s[40:41] op_sel:[0,1]
	v_pk_mov_b32 v[4:5], s[42:43], s[42:43] op_sel:[0,1]
	;; [unrolled: 1-line block ×4, first 2 shown]
	s_and_saveexec_b64 s[2:3], s[0:1]
	s_cbranch_execz .LBB534_10
; %bb.9:
	s_load_dwordx2 s[22:23], s[4:5], 0x38
	s_mul_hi_i32 s29, s19, s6
	s_mul_i32 s28, s19, s6
	s_lshl_b64 s[28:29], s[28:29], 1
	s_mov_b32 s31, 0x20000
	s_waitcnt lgkmcnt(0)
	s_add_u32 s28, s22, s28
	s_addc_u32 s14, s23, s29
	s_and_b32 s29, s14, 0xffff
	v_lshlrev_b32_e32 v26, 4, v0
	buffer_load_dwordx4 v[2:5], v26, s[28:31], 0 offen glc slc
	s_load_dwordx2 s[22:23], s[4:5], 0x20
	s_waitcnt vmcnt(2)
	v_cvt_f32_u32_sdwa v7, v14 dst_sel:DWORD dst_unused:UNUSED_PAD src0_sel:WORD_1
	v_cvt_f32_u32_sdwa v6, v14 dst_sel:DWORD dst_unused:UNUSED_PAD src0_sel:WORD_0
	v_cvt_f32_u32_sdwa v9, v15 dst_sel:DWORD dst_unused:UNUSED_PAD src0_sel:WORD_1
	v_cvt_f32_u32_sdwa v8, v15 dst_sel:DWORD dst_unused:UNUSED_PAD src0_sel:WORD_0
	;; [unrolled: 2-line block ×4, first 2 shown]
	s_mul_hi_i32 s29, s35, s6
	s_mul_i32 s28, s35, s6
	s_lshl_b64 s[28:29], s[28:29], 1
	s_waitcnt lgkmcnt(0)
	s_add_u32 s28, s22, s28
	s_mov_b32 s14, 0x7060302
	s_addc_u32 s17, s23, s29
	s_and_b32 s29, s17, 0xffff
	s_waitcnt vmcnt(0)
	v_cvt_f32_u32_sdwa v17, v2 dst_sel:DWORD dst_unused:UNUSED_PAD src0_sel:WORD_1
	v_cvt_f32_u32_sdwa v16, v2 dst_sel:DWORD dst_unused:UNUSED_PAD src0_sel:WORD_0
	v_cvt_f32_u32_sdwa v21, v3 dst_sel:DWORD dst_unused:UNUSED_PAD src0_sel:WORD_1
	v_cvt_f32_u32_sdwa v20, v3 dst_sel:DWORD dst_unused:UNUSED_PAD src0_sel:WORD_0
	;; [unrolled: 2-line block ×4, first 2 shown]
	v_pk_add_f32 v[2:3], v[6:7], v[16:17]
	v_pk_add_f32 v[4:5], v[8:9], v[20:21]
	v_pk_add_f32 v[6:7], v[14:15], v[22:23]
	v_pk_add_f32 v[8:9], v[18:19], v[24:25]
	v_perm_b32 v17, v9, v8, s14
	v_perm_b32 v16, v7, v6, s14
	;; [unrolled: 1-line block ×4, first 2 shown]
	buffer_store_dwordx4 v[14:17], v26, s[28:31], 0 offen glc slc
	;;#ASMSTART
	s_nop 0
	;;#ASMEND
.LBB534_10:
	s_or_b64 exec, exec, s[2:3]
.LBB534_11:
	s_waitcnt vmcnt(1)
	v_mul_f32_e32 v14, v3, v3
	v_fmac_f32_e32 v14, v2, v2
	v_fmac_f32_e32 v14, v4, v4
	v_fmac_f32_e32 v14, v5, v5
	v_fmac_f32_e32 v14, v6, v6
	v_fmac_f32_e32 v14, v7, v7
	v_fmac_f32_e32 v14, v8, v8
	v_fmac_f32_e32 v14, v9, v9
	v_and_b32_e32 v16, 63, v0
	v_cmp_eq_u32_e64 s[2:3], 63, v16
	v_mov_b32_dpp v15, v14 quad_perm:[1,0,3,2] row_mask:0xf bank_mask:0xf
	v_add_f32_e32 v14, v14, v15
	s_nop 1
	v_mov_b32_dpp v15, v14 quad_perm:[2,3,0,1] row_mask:0xf bank_mask:0xf
	v_add_f32_e32 v14, v14, v15
	s_nop 1
	v_mov_b32_dpp v15, v14 row_half_mirror row_mask:0xf bank_mask:0xf
	v_add_f32_e32 v14, v14, v15
	s_nop 1
	v_mov_b32_dpp v15, v14 row_mirror row_mask:0xf bank_mask:0xf
	v_add_f32_e32 v14, v14, v15
	s_nop 1
	v_mov_b32_dpp v15, v14 row_bcast:15 row_mask:0xf bank_mask:0xf
	v_add_f32_e32 v14, v14, v15
	s_nop 1
	v_mov_b32_dpp v15, v14 row_bcast:31 row_mask:0xf bank_mask:0xf
	s_and_saveexec_b64 s[22:23], s[2:3]
	s_cbranch_execz .LBB534_13
; %bb.12:
	v_add_f32_e32 v14, v14, v15
	v_lshrrev_b32_e32 v15, 4, v0
	v_and_b32_e32 v15, 60, v15
	ds_write_b32 v15, v14 offset:16
.LBB534_13:
	s_or_b64 exec, exec, s[22:23]
	v_and_b32_e32 v14, 3, v0
	v_lshlrev_b32_e32 v14, 2, v14
	s_waitcnt lgkmcnt(0)
	s_barrier
	ds_read_b32 v15, v14 offset:16
	s_load_dwordx2 s[38:39], s[4:5], 0x18
	s_waitcnt lgkmcnt(0)
	v_mov_b32_dpp v16, v15 quad_perm:[1,0,3,2] row_mask:0xf bank_mask:0xf
	v_add_f32_e32 v15, v15, v16
	s_nop 1
	v_mov_b32_dpp v16, v15 quad_perm:[2,3,0,1] row_mask:0xf bank_mask:0xf
	s_and_saveexec_b64 s[22:23], s[0:1]
	s_cbranch_execnz .LBB534_18
; %bb.14:
	s_or_b64 exec, exec, s[22:23]
	s_mov_b64 s[8:9], -1
	s_and_b64 vcc, exec, s[10:11]
	s_cbranch_vccnz .LBB534_19
.LBB534_15:
	s_andn2_b64 vcc, exec, s[8:9]
	s_cbranch_vccz .LBB534_22
.LBB534_16:
	s_cmp_lt_i32 s16, 1
	s_cbranch_scc0 .LBB534_29
.LBB534_17:
	s_endpgm
.LBB534_18:
	v_cvt_f32_u32_e32 v17, s7
	v_add_f32_e32 v15, v15, v16
	v_mov_b32_e32 v19, s13
	v_mov_b32_e32 v20, s12
	v_div_scale_f32 v16, s[28:29], v17, v17, v15
	v_rcp_f32_e32 v18, v16
	v_cndmask_b32_e64 v19, v19, v20, s[8:9]
	s_mov_b32 s7, 0x800000
	v_fma_f32 v20, -v16, v18, 1.0
	v_fmac_f32_e32 v18, v20, v18
	v_div_scale_f32 v20, vcc, v15, v17, v15
	v_mul_f32_e32 v21, v20, v18
	v_fma_f32 v22, -v16, v21, v20
	v_fmac_f32_e32 v21, v22, v18
	v_fma_f32 v16, -v16, v21, v20
	v_div_fmas_f32 v16, v16, v18, v21
	v_div_fixup_f32 v15, v16, v17, v15
	v_add_f32_e32 v15, v19, v15
	v_mul_f32_e32 v16, 0x4b800000, v15
	v_cmp_gt_f32_e32 vcc, s7, v15
	v_cndmask_b32_e32 v15, v15, v16, vcc
	v_rsq_f32_e32 v15, v15
	s_waitcnt vmcnt(0)
	v_cvt_f32_u32_sdwa v19, v11 dst_sel:DWORD dst_unused:UNUSED_PAD src0_sel:WORD_1
	v_cvt_f32_u32_sdwa v18, v11 dst_sel:DWORD dst_unused:UNUSED_PAD src0_sel:WORD_0
	v_cvt_f32_u32_sdwa v11, v12 dst_sel:DWORD dst_unused:UNUSED_PAD src0_sel:WORD_1
	v_mul_f32_e32 v16, 0x45800000, v15
	v_cndmask_b32_e32 v16, v15, v16, vcc
	v_mov_b32_e32 v17, v16
	;;#ASMSTART
	v_pk_mul_f32 v[2:3], v[2:3], v[16:17]
	;;#ASMEND
	;;#ASMSTART
	v_pk_mul_f32 v[4:5], v[4:5], v[16:17]
	;;#ASMEND
	;; [unrolled: 3-line block ×4, first 2 shown]
	v_cvt_f32_u32_sdwa v17, v10 dst_sel:DWORD dst_unused:UNUSED_PAD src0_sel:WORD_1
	v_cvt_f32_u32_sdwa v16, v10 dst_sel:DWORD dst_unused:UNUSED_PAD src0_sel:WORD_0
	v_cvt_f32_u32_sdwa v10, v12 dst_sel:DWORD dst_unused:UNUSED_PAD src0_sel:WORD_0
	v_cvt_f32_u32_sdwa v21, v13 dst_sel:DWORD dst_unused:UNUSED_PAD src0_sel:WORD_1
	v_cvt_f32_u32_sdwa v20, v13 dst_sel:DWORD dst_unused:UNUSED_PAD src0_sel:WORD_0
	;;#ASMSTART
	v_pk_mul_f32 v[2:3], v[2:3], v[16:17]
	;;#ASMEND
	;;#ASMSTART
	v_pk_mul_f32 v[4:5], v[4:5], v[18:19]
	;;#ASMEND
	;; [unrolled: 3-line block ×4, first 2 shown]
	s_or_b64 exec, exec, s[22:23]
	s_mov_b64 s[8:9], -1
	s_and_b64 vcc, exec, s[10:11]
	s_cbranch_vccz .LBB534_15
.LBB534_19:
	s_and_saveexec_b64 s[8:9], s[0:1]
	s_cbranch_execz .LBB534_21
; %bb.20:
	s_mul_hi_i32 s11, s34, s6
	s_mul_i32 s10, s34, s6
	s_lshl_b64 s[10:11], s[10:11], 1
	s_add_u32 s28, s38, s10
	s_addc_u32 s7, s39, s11
	s_and_b32 s29, s7, 0xffff
	s_mov_b32 s7, 0x7060302
	s_mov_b32 s31, 0x20000
	s_waitcnt vmcnt(0)
	v_perm_b32 v10, v3, v2, s7
	v_perm_b32 v11, v5, v4, s7
	v_perm_b32 v12, v7, v6, s7
	v_perm_b32 v13, v9, v8, s7
	v_lshlrev_b32_e32 v15, 4, v0
	buffer_store_dwordx4 v[10:13], v15, s[28:31], 0 offen
	;;#ASMSTART
	s_nop 0
	;;#ASMEND
.LBB534_21:
	s_or_b64 exec, exec, s[8:9]
	s_cbranch_execnz .LBB534_16
.LBB534_22:
	s_waitcnt vmcnt(0)
	v_mov_b32_e32 v10, 0
	s_and_saveexec_b64 s[8:9], s[0:1]
	s_cbranch_execz .LBB534_24
; %bb.23:
	v_and_b32_e32 v10, 0x7fffffff, v2
	v_and_b32_e32 v11, 0x7fffffff, v3
	v_mov_b32_e32 v12, 0x2edbe6ff
	;;#ASMSTART
	v_max3_f32 v10, v12, v10, v11

	;;#ASMEND
	v_and_b32_e32 v11, 0x7fffffff, v4
	v_and_b32_e32 v12, 0x7fffffff, v5
	;;#ASMSTART
	v_max3_f32 v10, v10, v11, v12

	;;#ASMEND
	v_and_b32_e32 v11, 0x7fffffff, v6
	v_and_b32_e32 v12, 0x7fffffff, v7
	;; [unrolled: 6-line block ×3, first 2 shown]
	;;#ASMSTART
	v_max3_f32 v10, v10, v11, v12

	;;#ASMEND
.LBB534_24:
	s_or_b64 exec, exec, s[8:9]
	;;#ASMSTART
	v_max_f32 v11, v10, v10 quad_perm:[1,0,3,2] row_mask:0xf bank_mask:0xf bound_ctrl:1
	;;#ASMEND
	;;#ASMSTART
	v_max_f32 v10, v11, v11 quad_perm:[2,3,0,1] row_mask:0xf bank_mask:0xf bound_ctrl:1
	;;#ASMEND
	;;#ASMSTART
	v_max_f32 v11, v10, v10 row_half_mirror row_mask:0xf bank_mask:0xf bound_ctrl:1
	;;#ASMEND
	v_mul_f32_e32 v10, 0x3b124925, v11
	v_and_b32_e32 v11, 7, v0
	v_cmp_eq_u32_e32 vcc, 0, v11
	v_cmp_gt_i32_e64 s[8:9], s15, v1
	s_and_b64 s[10:11], vcc, s[8:9]
	s_and_saveexec_b64 s[8:9], s[10:11]
	s_cbranch_execz .LBB534_26
; %bb.25:
	s_load_dwordx2 s[10:11], s[4:5], 0x8
	s_mul_hi_i32 s23, s25, s6
	s_mul_i32 s22, s25, s6
	v_lshrrev_b32_e32 v11, 3, v0
	s_lshl_b64 s[22:23], s[22:23], 2
	v_mad_i64_i32 v[12:13], s[26:27], s26, v11, 0
	s_waitcnt lgkmcnt(0)
	s_add_u32 s7, s10, s22
	s_addc_u32 s10, s11, s23
	v_lshlrev_b64 v[12:13], 2, v[12:13]
	v_mov_b32_e32 v11, s10
	v_add_co_u32_e32 v12, vcc, s7, v12
	v_addc_co_u32_e32 v13, vcc, v11, v13, vcc
	global_store_dword v[12:13], v10, off
.LBB534_26:
	s_or_b64 exec, exec, s[8:9]
	;;#ASMSTART
	v_rcp_f32 v10, v10
	;;#ASMEND
	s_and_saveexec_b64 s[22:23], s[0:1]
	s_cbranch_execz .LBB534_28
; %bb.27:
	s_load_dwordx2 s[0:1], s[4:5], 0x0
	s_mul_i32 s8, s24, s6
	v_mov_b32_e32 v11, v10
	;;#ASMSTART
	v_pk_mul_f32 v[2:3], v[2:3], v[10:11]
	;;#ASMEND
	s_mul_hi_i32 s7, s24, s6
	s_waitcnt lgkmcnt(0)
	s_add_u32 s8, s0, s8
	v_mov_b32_e32 v12, 0xc3e00000
	v_mov_b32_e32 v13, 0x43e00000
	;;#ASMSTART
	v_med3_f32 v2, v2, v12, v13
v_med3_f32 v3, v3, v12, v13
v_cvt_pk_fp8_f32 v15, v2, v3
	;;#ASMEND
	s_addc_u32 s0, s1, s7
	;;#ASMSTART
	v_pk_mul_f32 v[2:3], v[4:5], v[10:11]
	;;#ASMEND
	s_and_b32 s9, s0, 0xffff
	;;#ASMSTART
	v_med3_f32 v2, v2, v12, v13
v_med3_f32 v3, v3, v12, v13
v_cvt_pk_fp8_f32 v4, v2, v3
	;;#ASMEND
	s_mov_b32 s0, 0x5040100
	v_perm_b32 v3, v4, v15, s0
	s_movk_i32 s0, 0xff
	v_and_b32_e32 v2, 0xffffff00, v4
	v_and_b32_sdwa v4, v3, s0 dst_sel:DWORD dst_unused:UNUSED_PAD src0_sel:WORD_1 src1_sel:DWORD
	s_mov_b32 s12, 0xffff
	v_or_b32_sdwa v2, v4, v2 dst_sel:WORD_1 dst_unused:UNUSED_PAD src0_sel:DWORD src1_sel:DWORD
	v_and_or_b32 v2, v3, s12, v2
	;;#ASMSTART
	v_pk_mul_f32 v[4:5], v[6:7], v[10:11]
	;;#ASMEND
	v_mov_b32_e32 v3, v4
	s_add_i32 s1, s15, 3
	;;#ASMSTART
	v_med3_f32 v3, v3, v12, v13
v_med3_f32 v5, v5, v12, v13
v_cvt_pk_fp8_f32 v6, v3, v5
	;;#ASMEND
	s_ashr_i32 s7, s1, 31
	;;#ASMSTART
	v_pk_mul_f32 v[4:5], v[8:9], v[10:11]
	;;#ASMEND
	v_mov_b32_e32 v3, v5
	s_lshr_b32 s7, s7, 30
	;;#ASMSTART
	v_med3_f32 v4, v4, v12, v13
v_med3_f32 v3, v3, v12, v13
v_cvt_pk_fp8_f32 v5, v4, v3
	;;#ASMEND
	s_add_i32 s1, s1, s7
	v_lshlrev_b32_e32 v3, 16, v5
	s_and_b32 s10, s1, -4
	s_mov_b32 s11, 0x20000
	v_and_or_b32 v3, v6, s12, v3
	buffer_store_dwordx2 v[2:3], v1, s[8:11], 0 offen
	;;#ASMSTART
	s_nop 0
	;;#ASMEND
.LBB534_28:
	s_or_b64 exec, exec, s[22:23]
	s_cmp_lt_i32 s16, 1
	s_cbranch_scc1 .LBB534_17
.LBB534_29:
	s_load_dword s0, s[4:5], 0x94
	s_waitcnt lgkmcnt(0)
	s_cmp_lg_u32 s0, 1
	s_cbranch_scc1 .LBB534_17
; %bb.30:
	s_lshl_b32 s0, s16, 1
	s_add_i32 s0, s0, 2
	v_cmp_gt_u32_e32 vcc, s16, v1
	s_and_b32 s22, s0, -4
	v_mov_b32_e32 v6, 0
	v_lshlrev_b32_e32 v1, 4, v0
	v_mov_b32_e32 v7, 0
	v_mov_b32_e32 v8, 0
	;; [unrolled: 1-line block ×7, first 2 shown]
	s_barrier
	s_and_saveexec_b64 s[0:1], vcc
	s_cbranch_execz .LBB534_32
; %bb.31:
	s_mul_hi_i32 s5, s18, s6
	s_mul_i32 s4, s18, s6
	s_and_b32 s21, s21, 0xffff
	s_lshl_b64 s[4:5], s[4:5], 1
	s_add_u32 s8, s36, s4
	s_mov_b32 s23, 0x20000
	s_addc_u32 s4, s37, s5
	s_and_b32 s9, s4, 0xffff
	s_mov_b32 s10, s22
	s_mov_b32 s11, s23
	buffer_load_dwordx4 v[6:9], v1, s[8:11], 0 offen glc slc
	buffer_load_dwordx4 v[2:5], v1, s[20:23], 0 offen
.LBB534_32:
	s_or_b64 exec, exec, s[0:1]
	s_waitcnt vmcnt(0)
	v_cvt_f32_u32_sdwa v13, v6 dst_sel:DWORD dst_unused:UNUSED_PAD src0_sel:WORD_1
	v_cvt_f32_u32_sdwa v12, v6 dst_sel:DWORD dst_unused:UNUSED_PAD src0_sel:WORD_0
	v_cvt_f32_u32_sdwa v6, v9 dst_sel:DWORD dst_unused:UNUSED_PAD src0_sel:WORD_1
	v_cvt_f32_u32_sdwa v9, v9 dst_sel:DWORD dst_unused:UNUSED_PAD src0_sel:WORD_0
	;; [unrolled: 2-line block ×4, first 2 shown]
	v_cndmask_b32_e32 v13, 0, v13, vcc
	v_cndmask_b32_e32 v7, 0, v6, vcc
	;; [unrolled: 1-line block ×5, first 2 shown]
	v_mul_f32_e32 v15, v13, v13
	v_cndmask_b32_e32 v10, 0, v10, vcc
	v_fmac_f32_e32 v15, v12, v12
	v_cndmask_b32_e32 v11, 0, v11, vcc
	v_fmac_f32_e32 v15, v10, v10
	;; [unrolled: 2-line block ×3, first 2 shown]
	v_fmac_f32_e32 v15, v8, v8
	v_fmac_f32_e32 v15, v9, v9
	;; [unrolled: 1-line block ×4, first 2 shown]
	s_nop 1
	v_mov_b32_dpp v16, v15 quad_perm:[1,0,3,2] row_mask:0xf bank_mask:0xf
	v_add_f32_e32 v15, v15, v16
	s_nop 1
	v_mov_b32_dpp v16, v15 quad_perm:[2,3,0,1] row_mask:0xf bank_mask:0xf
	v_add_f32_e32 v15, v15, v16
	s_nop 1
	v_mov_b32_dpp v16, v15 row_half_mirror row_mask:0xf bank_mask:0xf
	v_add_f32_e32 v15, v15, v16
	s_nop 1
	v_mov_b32_dpp v16, v15 row_mirror row_mask:0xf bank_mask:0xf
	v_add_f32_e32 v15, v15, v16
	s_nop 1
	v_mov_b32_dpp v16, v15 row_bcast:15 row_mask:0xf bank_mask:0xf
	v_add_f32_e32 v15, v15, v16
	s_nop 1
	v_mov_b32_dpp v16, v15 row_bcast:31 row_mask:0xf bank_mask:0xf
	s_and_saveexec_b64 s[0:1], s[2:3]
	s_cbranch_execz .LBB534_34
; %bb.33:
	v_lshrrev_b32_e32 v0, 4, v0
	v_add_f32_e32 v15, v15, v16
	v_and_b32_e32 v0, 60, v0
	ds_write_b32 v0, v15
.LBB534_34:
	s_or_b64 exec, exec, s[0:1]
	s_waitcnt lgkmcnt(0)
	s_barrier
	ds_read_b32 v0, v14
	s_waitcnt lgkmcnt(0)
	s_nop 0
	v_mov_b32_dpp v14, v0 quad_perm:[1,0,3,2] row_mask:0xf bank_mask:0xf
	v_add_f32_e32 v0, v0, v14
	s_nop 1
	v_mov_b32_dpp v14, v0 quad_perm:[2,3,0,1] row_mask:0xf bank_mask:0xf
	s_and_saveexec_b64 s[0:1], vcc
	s_cbranch_execz .LBB534_17
; %bb.35:
	v_cvt_f32_u32_e32 v15, s16
	v_add_f32_e32 v0, v0, v14
	s_mov_b32 s23, 0x20000
	v_div_scale_f32 v14, s[0:1], v15, v15, v0
	v_rcp_f32_e32 v16, v14
	v_div_scale_f32 v17, vcc, v0, v15, v0
	s_mov_b32 s0, 0x800000
	v_fma_f32 v18, -v14, v16, 1.0
	v_fmac_f32_e32 v16, v18, v16
	v_mul_f32_e32 v18, v17, v16
	v_fma_f32 v19, -v14, v18, v17
	v_fmac_f32_e32 v18, v19, v16
	v_fma_f32 v14, -v14, v18, v17
	v_div_fmas_f32 v14, v14, v16, v18
	v_div_fixup_f32 v0, v14, v15, v0
	v_add_f32_e32 v0, s13, v0
	v_mul_f32_e32 v14, 0x4b800000, v0
	v_cmp_gt_f32_e32 vcc, s0, v0
	v_cndmask_b32_e32 v0, v0, v14, vcc
	v_rsq_f32_e32 v0, v0
	s_mul_hi_i32 s1, s34, s6
	s_mul_i32 s0, s34, s6
	s_lshl_b64 s[0:1], s[0:1], 1
	v_mul_f32_e32 v14, 0x45800000, v0
	v_cndmask_b32_e32 v14, v0, v14, vcc
	s_add_u32 s20, s38, s0
	v_mov_b32_e32 v15, v14
	s_addc_u32 s0, s39, s1
	;;#ASMSTART
	v_pk_mul_f32 v[12:13], v[12:13], v[14:15]
	;;#ASMEND
	;;#ASMSTART
	v_pk_mul_f32 v[10:11], v[10:11], v[14:15]
	;;#ASMEND
	;; [unrolled: 3-line block ×4, first 2 shown]
	v_cvt_f32_u32_sdwa v15, v2 dst_sel:DWORD dst_unused:UNUSED_PAD src0_sel:WORD_1
	v_cvt_f32_u32_sdwa v14, v2 dst_sel:DWORD dst_unused:UNUSED_PAD src0_sel:WORD_0
	v_cvt_f32_u32_sdwa v17, v3 dst_sel:DWORD dst_unused:UNUSED_PAD src0_sel:WORD_1
	v_cvt_f32_u32_sdwa v16, v3 dst_sel:DWORD dst_unused:UNUSED_PAD src0_sel:WORD_0
	;; [unrolled: 2-line block ×4, first 2 shown]
	;;#ASMSTART
	v_pk_mul_f32 v[4:5], v[12:13], v[14:15]
	;;#ASMEND
	s_and_b32 s21, s0, 0xffff
	s_mov_b32 s0, 0x7060302
	;;#ASMSTART
	v_pk_mul_f32 v[10:11], v[10:11], v[16:17]
	;;#ASMEND
	;;#ASMSTART
	v_pk_mul_f32 v[8:9], v[8:9], v[2:3]
	;;#ASMEND
	;; [unrolled: 3-line block ×3, first 2 shown]
	v_perm_b32 v2, v5, v4, s0
	v_perm_b32 v3, v11, v10, s0
	;; [unrolled: 1-line block ×4, first 2 shown]
	buffer_store_dwordx4 v[2:5], v1, s[20:23], 0 offen
	;;#ASMSTART
	s_nop 0
	;;#ASMEND
	s_endpgm
	.section	.rodata,"a",@progbits
	.p2align	6, 0x0
	.amdhsa_kernel _ZN5aiter35fused_qk_rmsnorm_group_quant_kernelItDB8_Li256ELi8ELi8ELb1ELb0ELb0ELb0ELb0ELb0EEEvPT0_PvPT_S6_S6_PKS5_S8_S8_S8_S8_ffiiiiiiiiiiiii
		.amdhsa_group_segment_fixed_size 32
		.amdhsa_private_segment_fixed_size 0
		.amdhsa_kernarg_size 400
		.amdhsa_user_sgpr_count 6
		.amdhsa_user_sgpr_private_segment_buffer 1
		.amdhsa_user_sgpr_dispatch_ptr 0
		.amdhsa_user_sgpr_queue_ptr 0
		.amdhsa_user_sgpr_kernarg_segment_ptr 1
		.amdhsa_user_sgpr_dispatch_id 0
		.amdhsa_user_sgpr_flat_scratch_init 0
		.amdhsa_user_sgpr_kernarg_preload_length 0
		.amdhsa_user_sgpr_kernarg_preload_offset 0
		.amdhsa_user_sgpr_private_segment_size 0
		.amdhsa_uses_dynamic_stack 0
		.amdhsa_system_sgpr_private_segment_wavefront_offset 0
		.amdhsa_system_sgpr_workgroup_id_x 1
		.amdhsa_system_sgpr_workgroup_id_y 1
		.amdhsa_system_sgpr_workgroup_id_z 0
		.amdhsa_system_sgpr_workgroup_info 0
		.amdhsa_system_vgpr_workitem_id 0
		.amdhsa_next_free_vgpr 27
		.amdhsa_next_free_sgpr 48
		.amdhsa_accum_offset 28
		.amdhsa_reserve_vcc 1
		.amdhsa_reserve_flat_scratch 0
		.amdhsa_float_round_mode_32 0
		.amdhsa_float_round_mode_16_64 0
		.amdhsa_float_denorm_mode_32 3
		.amdhsa_float_denorm_mode_16_64 3
		.amdhsa_dx10_clamp 1
		.amdhsa_ieee_mode 1
		.amdhsa_fp16_overflow 0
		.amdhsa_tg_split 0
		.amdhsa_exception_fp_ieee_invalid_op 0
		.amdhsa_exception_fp_denorm_src 0
		.amdhsa_exception_fp_ieee_div_zero 0
		.amdhsa_exception_fp_ieee_overflow 0
		.amdhsa_exception_fp_ieee_underflow 0
		.amdhsa_exception_fp_ieee_inexact 0
		.amdhsa_exception_int_div_zero 0
	.end_amdhsa_kernel
	.section	.text._ZN5aiter35fused_qk_rmsnorm_group_quant_kernelItDB8_Li256ELi8ELi8ELb1ELb0ELb0ELb0ELb0ELb0EEEvPT0_PvPT_S6_S6_PKS5_S8_S8_S8_S8_ffiiiiiiiiiiiii,"axG",@progbits,_ZN5aiter35fused_qk_rmsnorm_group_quant_kernelItDB8_Li256ELi8ELi8ELb1ELb0ELb0ELb0ELb0ELb0EEEvPT0_PvPT_S6_S6_PKS5_S8_S8_S8_S8_ffiiiiiiiiiiiii,comdat
.Lfunc_end534:
	.size	_ZN5aiter35fused_qk_rmsnorm_group_quant_kernelItDB8_Li256ELi8ELi8ELb1ELb0ELb0ELb0ELb0ELb0EEEvPT0_PvPT_S6_S6_PKS5_S8_S8_S8_S8_ffiiiiiiiiiiiii, .Lfunc_end534-_ZN5aiter35fused_qk_rmsnorm_group_quant_kernelItDB8_Li256ELi8ELi8ELb1ELb0ELb0ELb0ELb0ELb0EEEvPT0_PvPT_S6_S6_PKS5_S8_S8_S8_S8_ffiiiiiiiiiiiii
                                        ; -- End function
	.section	.AMDGPU.csdata,"",@progbits
; Kernel info:
; codeLenInByte = 2928
; NumSgprs: 52
; NumVgprs: 27
; NumAgprs: 0
; TotalNumVgprs: 27
; ScratchSize: 0
; MemoryBound: 0
; FloatMode: 240
; IeeeMode: 1
; LDSByteSize: 32 bytes/workgroup (compile time only)
; SGPRBlocks: 6
; VGPRBlocks: 3
; NumSGPRsForWavesPerEU: 52
; NumVGPRsForWavesPerEU: 27
; AccumOffset: 28
; Occupancy: 8
; WaveLimiterHint : 0
; COMPUTE_PGM_RSRC2:SCRATCH_EN: 0
; COMPUTE_PGM_RSRC2:USER_SGPR: 6
; COMPUTE_PGM_RSRC2:TRAP_HANDLER: 0
; COMPUTE_PGM_RSRC2:TGID_X_EN: 1
; COMPUTE_PGM_RSRC2:TGID_Y_EN: 1
; COMPUTE_PGM_RSRC2:TGID_Z_EN: 0
; COMPUTE_PGM_RSRC2:TIDIG_COMP_CNT: 0
; COMPUTE_PGM_RSRC3_GFX90A:ACCUM_OFFSET: 6
; COMPUTE_PGM_RSRC3_GFX90A:TG_SPLIT: 0
	.section	.text._ZN5aiter35fused_qk_rmsnorm_group_quant_kernelIDF16_N4opus5fp4_tELi256ELi8ELi8ELb1ELb0ELb0ELb0ELb0ELb0EEEvPT0_PvPT_S7_S7_PKS6_S9_S9_S9_S9_ffiiiiiiiiiiiii,"axG",@progbits,_ZN5aiter35fused_qk_rmsnorm_group_quant_kernelIDF16_N4opus5fp4_tELi256ELi8ELi8ELb1ELb0ELb0ELb0ELb0ELb0EEEvPT0_PvPT_S7_S7_PKS6_S9_S9_S9_S9_ffiiiiiiiiiiiii,comdat
	.protected	_ZN5aiter35fused_qk_rmsnorm_group_quant_kernelIDF16_N4opus5fp4_tELi256ELi8ELi8ELb1ELb0ELb0ELb0ELb0ELb0EEEvPT0_PvPT_S7_S7_PKS6_S9_S9_S9_S9_ffiiiiiiiiiiiii ; -- Begin function _ZN5aiter35fused_qk_rmsnorm_group_quant_kernelIDF16_N4opus5fp4_tELi256ELi8ELi8ELb1ELb0ELb0ELb0ELb0ELb0EEEvPT0_PvPT_S7_S7_PKS6_S9_S9_S9_S9_ffiiiiiiiiiiiii
	.globl	_ZN5aiter35fused_qk_rmsnorm_group_quant_kernelIDF16_N4opus5fp4_tELi256ELi8ELi8ELb1ELb0ELb0ELb0ELb0ELb0EEEvPT0_PvPT_S7_S7_PKS6_S9_S9_S9_S9_ffiiiiiiiiiiiii
	.p2align	8
	.type	_ZN5aiter35fused_qk_rmsnorm_group_quant_kernelIDF16_N4opus5fp4_tELi256ELi8ELi8ELb1ELb0ELb0ELb0ELb0ELb0EEEvPT0_PvPT_S7_S7_PKS6_S9_S9_S9_S9_ffiiiiiiiiiiiii,@function
_ZN5aiter35fused_qk_rmsnorm_group_quant_kernelIDF16_N4opus5fp4_tELi256ELi8ELi8ELb1ELb0ELb0ELb0ELb0ELb0EEEvPT0_PvPT_S7_S7_PKS6_S9_S9_S9_S9_ffiiiiiiiiiiiii: ; @_ZN5aiter35fused_qk_rmsnorm_group_quant_kernelIDF16_N4opus5fp4_tELi256ELi8ELi8ELb1ELb0ELb0ELb0ELb0ELb0EEEvPT0_PvPT_S7_S7_PKS6_S9_S9_S9_S9_ffiiiiiiiiiiiii
; %bb.0:
	s_load_dwordx8 s[12:19], s[4:5], 0x50
	s_waitcnt lgkmcnt(0)
	s_cmp_ge_i32 s6, s14
	s_cbranch_scc1 .LBB535_17
; %bb.1:
	s_cmp_lg_u32 s7, 0
	s_cselect_b64 s[22:23], -1, 0
	s_cmp_eq_u32 s7, 0
	s_cselect_b64 s[8:9], -1, 0
	s_and_b64 s[0:1], s[8:9], exec
	s_load_dwordx2 s[20:21], s[4:5], 0x48
	s_load_dwordx2 s[34:35], s[4:5], 0x30
	s_load_dwordx4 s[24:27], s[4:5], 0x70
	s_cselect_b32 s7, s15, s16
	s_add_i32 s0, s7, 1
	s_lshr_b32 s1, s0, 31
	s_add_i32 s0, s0, s1
	s_lshl_b32 s0, s0, 1
	v_lshlrev_b32_e32 v1, 3, v0
	s_and_b32 s30, s0, -4
	v_cmp_gt_i32_e64 s[0:1], s7, v1
	v_mov_b32_e32 v2, 0
	v_mov_b32_e32 v3, 0
	;; [unrolled: 1-line block ×8, first 2 shown]
	s_and_saveexec_b64 s[2:3], s[0:1]
	s_cbranch_execz .LBB535_3
; %bb.2:
	s_load_dwordx2 s[10:11], s[4:5], 0x28
	s_load_dwordx2 s[28:29], s[4:5], 0x40
	s_and_b64 s[36:37], s[8:9], exec
	s_cselect_b32 s14, s17, s18
	s_mov_b32 s31, 0x20000
	s_waitcnt lgkmcnt(0)
	s_cselect_b32 s17, s11, s35
	s_cselect_b32 s27, s10, s34
	s_mul_hi_i32 s11, s14, s6
	s_mul_i32 s10, s14, s6
	s_lshl_b64 s[10:11], s[10:11], 1
	s_add_u32 s36, s27, s10
	s_addc_u32 s14, s17, s11
	s_and_b64 s[10:11], s[8:9], exec
	s_cselect_b32 s28, s28, s20
	s_cselect_b32 s10, s29, s21
	v_lshlrev_b32_e32 v10, 4, v0
	s_and_b32 s37, s14, 0xffff
	s_mov_b32 s38, s30
	s_mov_b32 s39, s31
	s_and_b32 s29, s10, 0xffff
	buffer_load_dwordx4 v[6:9], v10, s[36:39], 0 offen glc slc
	buffer_load_dwordx4 v[2:5], v10, s[28:31], 0 offen
.LBB535_3:
	s_or_b64 exec, exec, s[2:3]
	s_load_dwordx2 s[10:11], s[4:5], 0x80
	s_and_b64 vcc, exec, s[22:23]
	s_cbranch_vccz .LBB535_7
; %bb.4:
	v_mov_b32_e32 v11, 0
	v_mov_b32_e32 v10, 0
	;; [unrolled: 1-line block ×8, first 2 shown]
	s_and_saveexec_b64 s[2:3], s[0:1]
	s_cbranch_execz .LBB535_6
; %bb.5:
	s_waitcnt vmcnt(1)
	v_cvt_f32_f16_sdwa v17, v6 dst_sel:DWORD dst_unused:UNUSED_PAD src0_sel:WORD_1
	v_cvt_f32_f16_e32 v16, v6
	v_cvt_f32_f16_sdwa v15, v7 dst_sel:DWORD dst_unused:UNUSED_PAD src0_sel:WORD_1
	v_cvt_f32_f16_e32 v14, v7
	;; [unrolled: 2-line block ×4, first 2 shown]
.LBB535_6:
	s_or_b64 exec, exec, s[2:3]
	s_cbranch_execz .LBB535_8
	s_branch .LBB535_11
.LBB535_7:
                                        ; implicit-def: $vgpr11
                                        ; implicit-def: $vgpr13
                                        ; implicit-def: $vgpr15
                                        ; implicit-def: $vgpr17
.LBB535_8:
	v_mov_b32_e32 v11, 0
	v_mov_b32_e32 v10, 0
	;; [unrolled: 1-line block ×8, first 2 shown]
	s_and_saveexec_b64 s[2:3], s[0:1]
	s_cbranch_execz .LBB535_10
; %bb.9:
	s_load_dwordx2 s[28:29], s[4:5], 0x38
	s_mul_hi_i32 s37, s19, s6
	s_mul_i32 s36, s19, s6
	s_lshl_b64 s[36:37], s[36:37], 1
	s_mov_b32 s31, 0x20000
	s_waitcnt lgkmcnt(0)
	s_add_u32 s28, s28, s36
	s_addc_u32 s14, s29, s37
	s_and_b32 s29, s14, 0xffff
	v_lshlrev_b32_e32 v26, 4, v0
	buffer_load_dwordx4 v[10:13], v26, s[28:31], 0 offen glc slc
	s_waitcnt vmcnt(2)
	v_cvt_f32_f16_sdwa v15, v6 dst_sel:DWORD dst_unused:UNUSED_PAD src0_sel:WORD_1
	v_cvt_f32_f16_e32 v14, v6
	v_cvt_f32_f16_sdwa v19, v7 dst_sel:DWORD dst_unused:UNUSED_PAD src0_sel:WORD_1
	v_cvt_f32_f16_e32 v18, v7
	;; [unrolled: 2-line block ×4, first 2 shown]
	s_load_dwordx2 s[28:29], s[4:5], 0x20
	s_mul_hi_i32 s37, s11, s6
	s_mul_i32 s36, s11, s6
	s_lshl_b64 s[36:37], s[36:37], 1
	s_waitcnt lgkmcnt(0)
	s_add_u32 s28, s28, s36
	s_addc_u32 s11, s29, s37
	s_and_b32 s29, s11, 0xffff
	s_waitcnt vmcnt(0)
	v_cvt_f32_f16_e32 v8, v10
	v_cvt_f32_f16_sdwa v9, v10 dst_sel:DWORD dst_unused:UNUSED_PAD src0_sel:WORD_1
	v_cvt_f32_f16_e32 v10, v11
	v_cvt_f32_f16_sdwa v11, v11 dst_sel:DWORD dst_unused:UNUSED_PAD src0_sel:WORD_1
	;; [unrolled: 2-line block ×4, first 2 shown]
	v_pk_add_f32 v[16:17], v[14:15], v[8:9]
	v_pk_add_f32 v[14:15], v[18:19], v[10:11]
	;; [unrolled: 1-line block ×4, first 2 shown]
	v_cvt_f16_f32_e32 v6, v17
	v_cvt_f16_f32_e32 v7, v15
	;; [unrolled: 1-line block ×8, first 2 shown]
	v_pack_b32_f16 v9, v18, v9
	v_pack_b32_f16 v8, v19, v8
	;; [unrolled: 1-line block ×4, first 2 shown]
	buffer_store_dwordx4 v[6:9], v26, s[28:31], 0 offen glc slc
	;;#ASMSTART
	s_nop 0
	;;#ASMEND
.LBB535_10:
	s_or_b64 exec, exec, s[2:3]
.LBB535_11:
	s_waitcnt vmcnt(1)
	v_mul_f32_e32 v6, v17, v17
	v_fmac_f32_e32 v6, v16, v16
	v_fmac_f32_e32 v6, v14, v14
	;; [unrolled: 1-line block ×7, first 2 shown]
	v_and_b32_e32 v8, 63, v0
	v_cmp_eq_u32_e64 s[2:3], 63, v8
	v_mov_b32_dpp v7, v6 quad_perm:[1,0,3,2] row_mask:0xf bank_mask:0xf
	v_add_f32_e32 v6, v6, v7
	s_nop 1
	v_mov_b32_dpp v7, v6 quad_perm:[2,3,0,1] row_mask:0xf bank_mask:0xf
	v_add_f32_e32 v6, v6, v7
	s_nop 1
	v_mov_b32_dpp v7, v6 row_half_mirror row_mask:0xf bank_mask:0xf
	v_add_f32_e32 v6, v6, v7
	s_nop 1
	v_mov_b32_dpp v7, v6 row_mirror row_mask:0xf bank_mask:0xf
	v_add_f32_e32 v6, v6, v7
	s_nop 1
	v_mov_b32_dpp v7, v6 row_bcast:15 row_mask:0xf bank_mask:0xf
	v_add_f32_e32 v6, v6, v7
	s_nop 1
	v_mov_b32_dpp v7, v6 row_bcast:31 row_mask:0xf bank_mask:0xf
	s_and_saveexec_b64 s[28:29], s[2:3]
	s_cbranch_execz .LBB535_13
; %bb.12:
	v_add_f32_e32 v6, v6, v7
	v_lshrrev_b32_e32 v7, 4, v0
	v_and_b32_e32 v7, 60, v7
	ds_write_b32 v7, v6 offset:16
.LBB535_13:
	s_or_b64 exec, exec, s[28:29]
	v_and_b32_e32 v6, 3, v0
	v_lshlrev_b32_e32 v18, 2, v6
	s_waitcnt lgkmcnt(0)
	s_barrier
	ds_read_b32 v6, v18 offset:16
	s_load_dwordx2 s[36:37], s[4:5], 0x18
	s_waitcnt lgkmcnt(0)
	v_mov_b32_dpp v7, v6 quad_perm:[1,0,3,2] row_mask:0xf bank_mask:0xf
	v_add_f32_e32 v6, v6, v7
	s_nop 1
	v_mov_b32_dpp v7, v6 quad_perm:[2,3,0,1] row_mask:0xf bank_mask:0xf
	s_and_saveexec_b64 s[28:29], s[0:1]
	s_cbranch_execnz .LBB535_18
; %bb.14:
	s_or_b64 exec, exec, s[28:29]
	s_mov_b64 s[8:9], -1
	s_and_b64 vcc, exec, s[22:23]
	s_cbranch_vccnz .LBB535_19
.LBB535_15:
	s_andn2_b64 vcc, exec, s[8:9]
	s_cbranch_vccz .LBB535_22
.LBB535_16:
	s_cmp_lt_i32 s16, 1
	s_cbranch_scc0 .LBB535_29
.LBB535_17:
	s_endpgm
.LBB535_18:
	v_cvt_f32_u32_e32 v8, s7
	v_add_f32_e32 v6, v6, v7
	v_mov_b32_e32 v19, s13
	v_mov_b32_e32 v20, s12
	v_div_scale_f32 v7, s[38:39], v8, v8, v6
	v_rcp_f32_e32 v9, v7
	v_cndmask_b32_e64 v19, v19, v20, s[8:9]
	s_mov_b32 s7, 0x800000
	s_waitcnt vmcnt(0)
	v_cvt_f32_f16_sdwa v23, v5 dst_sel:DWORD dst_unused:UNUSED_PAD src0_sel:WORD_1
	v_fma_f32 v20, -v7, v9, 1.0
	v_fmac_f32_e32 v9, v20, v9
	v_div_scale_f32 v20, vcc, v6, v8, v6
	v_mul_f32_e32 v21, v20, v9
	v_fma_f32 v22, -v7, v21, v20
	v_fmac_f32_e32 v21, v22, v9
	v_fma_f32 v7, -v7, v21, v20
	v_div_fmas_f32 v7, v7, v9, v21
	v_div_fixup_f32 v6, v7, v8, v6
	v_add_f32_e32 v6, v19, v6
	v_mul_f32_e32 v7, 0x4b800000, v6
	v_cmp_gt_f32_e32 vcc, s7, v6
	v_cndmask_b32_e32 v6, v6, v7, vcc
	v_rsq_f32_e32 v6, v6
	v_cvt_f32_f16_sdwa v21, v3 dst_sel:DWORD dst_unused:UNUSED_PAD src0_sel:WORD_1
	v_cvt_f32_f16_e32 v20, v3
	v_cvt_f32_f16_sdwa v3, v4 dst_sel:DWORD dst_unused:UNUSED_PAD src0_sel:WORD_1
	v_mul_f32_e32 v7, 0x45800000, v6
	v_cndmask_b32_e32 v6, v6, v7, vcc
	v_mov_b32_e32 v7, v6
	;;#ASMSTART
	v_pk_mul_f32 v[8:9], v[16:17], v[6:7]
	;;#ASMEND
	;;#ASMSTART
	v_pk_mul_f32 v[14:15], v[14:15], v[6:7]
	;;#ASMEND
	;; [unrolled: 3-line block ×4, first 2 shown]
	v_cvt_f32_f16_sdwa v11, v2 dst_sel:DWORD dst_unused:UNUSED_PAD src0_sel:WORD_1
	v_cvt_f32_f16_e32 v10, v2
	v_cvt_f32_f16_e32 v2, v4
	;; [unrolled: 1-line block ×3, first 2 shown]
	;;#ASMSTART
	v_pk_mul_f32 v[16:17], v[8:9], v[10:11]
	;;#ASMEND
	;;#ASMSTART
	v_pk_mul_f32 v[14:15], v[14:15], v[20:21]
	;;#ASMEND
	;; [unrolled: 3-line block ×4, first 2 shown]
	s_or_b64 exec, exec, s[28:29]
	s_mov_b64 s[8:9], -1
	s_and_b64 vcc, exec, s[22:23]
	s_cbranch_vccz .LBB535_15
.LBB535_19:
	s_and_saveexec_b64 s[8:9], s[0:1]
	s_cbranch_execz .LBB535_21
; %bb.20:
	s_mul_hi_i32 s23, s10, s6
	s_mul_i32 s22, s10, s6
	s_waitcnt vmcnt(0)
	v_cvt_f16_f32_e32 v2, v16
	v_cvt_f16_f32_e32 v3, v14
	;; [unrolled: 1-line block ×8, first 2 shown]
	s_lshl_b64 s[22:23], s[22:23], 1
	s_add_u32 s28, s36, s22
	s_addc_u32 s7, s37, s23
	s_and_b32 s29, s7, 0xffff
	s_mov_b32 s31, 0x20000
	v_pack_b32_f16 v5, v5, v6
	v_pack_b32_f16 v4, v4, v7
	;; [unrolled: 1-line block ×4, first 2 shown]
	v_lshlrev_b32_e32 v6, 4, v0
	buffer_store_dwordx4 v[2:5], v6, s[28:31], 0 offen
	;;#ASMSTART
	s_nop 0
	;;#ASMEND
.LBB535_21:
	s_or_b64 exec, exec, s[8:9]
	s_cbranch_execnz .LBB535_16
.LBB535_22:
	s_waitcnt vmcnt(0)
	v_mov_b32_e32 v2, 0
	s_and_saveexec_b64 s[8:9], s[0:1]
	s_cbranch_execz .LBB535_24
; %bb.23:
	v_and_b32_e32 v2, 0x7fffffff, v16
	v_and_b32_e32 v3, 0x7fffffff, v17
	v_mov_b32_e32 v4, 0x2edbe6ff
	;;#ASMSTART
	v_max3_f32 v2, v4, v2, v3

	;;#ASMEND
	v_and_b32_e32 v3, 0x7fffffff, v14
	v_and_b32_e32 v4, 0x7fffffff, v15
	;;#ASMSTART
	v_max3_f32 v2, v2, v3, v4

	;;#ASMEND
	v_and_b32_e32 v3, 0x7fffffff, v12
	v_and_b32_e32 v4, 0x7fffffff, v13
	;; [unrolled: 6-line block ×3, first 2 shown]
	;;#ASMSTART
	v_max3_f32 v2, v2, v3, v4

	;;#ASMEND
.LBB535_24:
	s_or_b64 exec, exec, s[8:9]
	;;#ASMSTART
	v_max_f32 v3, v2, v2 quad_perm:[1,0,3,2] row_mask:0xf bank_mask:0xf bound_ctrl:1
	;;#ASMEND
	;;#ASMSTART
	v_max_f32 v4, v3, v3 quad_perm:[2,3,0,1] row_mask:0xf bank_mask:0xf bound_ctrl:1
	;;#ASMEND
	v_and_b32_e32 v3, 7, v0
	v_cmp_eq_u32_e32 vcc, 0, v3
	v_cmp_gt_i32_e64 s[8:9], s15, v1
	s_and_b64 s[22:23], vcc, s[8:9]
	;;#ASMSTART
	v_max_f32 v2, v4, v4 row_half_mirror row_mask:0xf bank_mask:0xf bound_ctrl:1
	;;#ASMEND
	s_and_saveexec_b64 s[8:9], s[22:23]
	s_cbranch_execz .LBB535_26
; %bb.25:
	s_load_dwordx2 s[22:23], s[4:5], 0x8
	v_mul_f32_e32 v2, 0x3e2aaaab, v2
	v_lshrrev_b32_e32 v3, 23, v2
	v_and_b32_e32 v4, 0x7f800000, v2
	v_and_b32_e32 v2, 0x7fffff, v2
	v_cmp_ne_u32_e32 vcc, 0, v2
	s_mul_i32 s12, s25, s6
	s_mov_b32 s7, 0x7f800000
	v_addc_co_u32_e32 v2, vcc, 0, v3, vcc
	s_mul_hi_i32 s11, s25, s6
	s_waitcnt lgkmcnt(0)
	s_add_u32 s22, s22, s12
	v_cmp_ne_u32_e32 vcc, s7, v4
	s_addc_u32 s23, s23, s11
	v_lshrrev_b32_e32 v5, 3, v0
	v_cndmask_b32_e32 v4, -1, v2, vcc
	v_pk_mov_b32 v[2:3], s[22:23], s[22:23] op_sel:[0,1]
	v_mad_i64_i32 v[2:3], s[22:23], s26, v5, v[2:3]
	global_store_byte v[2:3], v4, off
.LBB535_26:
	s_or_b64 exec, exec, s[8:9]
	s_and_saveexec_b64 s[8:9], s[0:1]
	s_cbranch_execz .LBB535_28
; %bb.27:
	s_load_dwordx2 s[0:1], s[4:5], 0x0
	s_mul_i32 s11, s24, s6
	s_mul_hi_i32 s7, s24, s6
	v_lshlrev_b32_e32 v2, 2, v0
	s_mov_b32 s27, 0x20000
	s_waitcnt lgkmcnt(0)
	s_add_u32 s24, s0, s11
	s_addc_u32 s0, s1, s7
	s_lshr_b32 s1, s15, 31
	s_add_i32 s1, s15, s1
	s_ashr_i32 s1, s1, 1
	s_add_i32 s1, s1, 3
	s_ashr_i32 s7, s1, 31
	s_lshr_b32 s7, s7, 30
	s_add_i32 s1, s1, s7
	s_and_b32 s26, s1, -4
	s_and_b32 s25, s0, 0xffff
	v_mov_b32_e32 v3, 0
	buffer_store_dword v3, v2, s[24:27], 0 offen
	;;#ASMSTART
	s_nop 0
	;;#ASMEND
.LBB535_28:
	s_or_b64 exec, exec, s[8:9]
	s_cmp_lt_i32 s16, 1
	s_cbranch_scc1 .LBB535_17
.LBB535_29:
	s_load_dword s0, s[4:5], 0x94
	s_waitcnt lgkmcnt(0)
	s_cmp_lg_u32 s0, 1
	s_cbranch_scc1 .LBB535_17
; %bb.30:
	s_lshl_b32 s0, s16, 1
	s_add_i32 s0, s0, 2
	v_cmp_gt_u32_e32 vcc, s16, v1
	s_and_b32 s22, s0, -4
	v_mov_b32_e32 v10, 0
	v_lshlrev_b32_e32 v1, 4, v0
	v_mov_b32_e32 v6, 0
	v_mov_b32_e32 v7, 0
	;; [unrolled: 1-line block ×4, first 2 shown]
	s_waitcnt vmcnt(0)
	v_mov_b32_e32 v2, 0
	v_mov_b32_e32 v3, 0
	v_mov_b32_e32 v4, 0
	v_mov_b32_e32 v5, 0
	s_barrier
	s_and_saveexec_b64 s[0:1], vcc
	s_cbranch_execz .LBB535_32
; %bb.31:
	s_mul_hi_i32 s5, s18, s6
	s_mul_i32 s4, s18, s6
	s_and_b32 s21, s21, 0xffff
	s_lshl_b64 s[4:5], s[4:5], 1
	s_add_u32 s24, s34, s4
	s_mov_b32 s23, 0x20000
	s_addc_u32 s4, s35, s5
	s_and_b32 s25, s4, 0xffff
	s_mov_b32 s26, s22
	s_mov_b32 s27, s23
	buffer_load_dwordx4 v[6:9], v1, s[24:27], 0 offen glc slc
	buffer_load_dwordx4 v[2:5], v1, s[20:23], 0 offen
.LBB535_32:
	s_or_b64 exec, exec, s[0:1]
	v_mov_b32_e32 v11, 0
	v_mov_b32_e32 v16, 0
	;; [unrolled: 1-line block ×7, first 2 shown]
	s_and_saveexec_b64 s[0:1], vcc
	s_cbranch_execz .LBB535_34
; %bb.33:
	s_waitcnt vmcnt(1)
	v_cvt_f32_f16_sdwa v11, v6 dst_sel:DWORD dst_unused:UNUSED_PAD src0_sel:WORD_1
	v_cvt_f32_f16_e32 v10, v6
	v_cvt_f32_f16_sdwa v17, v7 dst_sel:DWORD dst_unused:UNUSED_PAD src0_sel:WORD_1
	v_cvt_f32_f16_e32 v16, v7
	;; [unrolled: 2-line block ×4, first 2 shown]
.LBB535_34:
	s_or_b64 exec, exec, s[0:1]
	s_waitcnt vmcnt(1)
	v_mul_f32_e32 v6, v11, v11
	v_fmac_f32_e32 v6, v10, v10
	v_fmac_f32_e32 v6, v16, v16
	v_fmac_f32_e32 v6, v17, v17
	v_fmac_f32_e32 v6, v14, v14
	v_fmac_f32_e32 v6, v15, v15
	v_fmac_f32_e32 v6, v12, v12
	v_fmac_f32_e32 v6, v13, v13
	s_nop 1
	v_mov_b32_dpp v7, v6 quad_perm:[1,0,3,2] row_mask:0xf bank_mask:0xf
	v_add_f32_e32 v6, v6, v7
	s_nop 1
	v_mov_b32_dpp v7, v6 quad_perm:[2,3,0,1] row_mask:0xf bank_mask:0xf
	v_add_f32_e32 v6, v6, v7
	s_nop 1
	v_mov_b32_dpp v7, v6 row_half_mirror row_mask:0xf bank_mask:0xf
	v_add_f32_e32 v6, v6, v7
	s_nop 1
	v_mov_b32_dpp v7, v6 row_mirror row_mask:0xf bank_mask:0xf
	v_add_f32_e32 v6, v6, v7
	s_nop 1
	v_mov_b32_dpp v7, v6 row_bcast:15 row_mask:0xf bank_mask:0xf
	v_add_f32_e32 v6, v6, v7
	s_nop 1
	v_mov_b32_dpp v7, v6 row_bcast:31 row_mask:0xf bank_mask:0xf
	s_and_saveexec_b64 s[0:1], s[2:3]
	s_cbranch_execz .LBB535_36
; %bb.35:
	v_lshrrev_b32_e32 v0, 4, v0
	v_add_f32_e32 v6, v6, v7
	v_and_b32_e32 v0, 60, v0
	ds_write_b32 v0, v6
.LBB535_36:
	s_or_b64 exec, exec, s[0:1]
	s_waitcnt lgkmcnt(0)
	s_barrier
	ds_read_b32 v0, v18
	s_waitcnt lgkmcnt(0)
	s_nop 0
	v_mov_b32_dpp v6, v0 quad_perm:[1,0,3,2] row_mask:0xf bank_mask:0xf
	v_add_f32_e32 v0, v0, v6
	s_nop 1
	v_mov_b32_dpp v6, v0 quad_perm:[2,3,0,1] row_mask:0xf bank_mask:0xf
	s_and_saveexec_b64 s[0:1], vcc
	s_cbranch_execz .LBB535_17
; %bb.37:
	v_cvt_f32_u32_e32 v7, s16
	v_add_f32_e32 v0, v0, v6
	s_mov_b32 s23, 0x20000
	v_div_scale_f32 v6, s[0:1], v7, v7, v0
	v_rcp_f32_e32 v8, v6
	v_div_scale_f32 v9, vcc, v0, v7, v0
	s_mov_b32 s0, 0x800000
	v_fma_f32 v18, -v6, v8, 1.0
	v_fmac_f32_e32 v8, v18, v8
	v_mul_f32_e32 v18, v9, v8
	v_fma_f32 v19, -v6, v18, v9
	v_fmac_f32_e32 v18, v19, v8
	v_fma_f32 v6, -v6, v18, v9
	v_div_fmas_f32 v6, v6, v8, v18
	v_div_fixup_f32 v0, v6, v7, v0
	v_add_f32_e32 v0, s13, v0
	v_mul_f32_e32 v6, 0x4b800000, v0
	v_cmp_gt_f32_e32 vcc, s0, v0
	v_cndmask_b32_e32 v0, v0, v6, vcc
	v_rsq_f32_e32 v0, v0
	s_waitcnt vmcnt(0)
	v_cvt_f32_f16_sdwa v19, v5 dst_sel:DWORD dst_unused:UNUSED_PAD src0_sel:WORD_1
	v_cvt_f32_f16_e32 v18, v5
	s_mul_hi_i32 s1, s10, s6
	v_mul_f32_e32 v6, 0x45800000, v0
	v_cndmask_b32_e32 v6, v0, v6, vcc
	v_mov_b32_e32 v7, v6
	;;#ASMSTART
	v_pk_mul_f32 v[8:9], v[10:11], v[6:7]
	;;#ASMEND
	;;#ASMSTART
	v_pk_mul_f32 v[10:11], v[16:17], v[6:7]
	;;#ASMEND
	;; [unrolled: 3-line block ×4, first 2 shown]
	v_cvt_f32_f16_sdwa v13, v2 dst_sel:DWORD dst_unused:UNUSED_PAD src0_sel:WORD_1
	v_cvt_f32_f16_e32 v12, v2
	v_cvt_f32_f16_sdwa v17, v3 dst_sel:DWORD dst_unused:UNUSED_PAD src0_sel:WORD_1
	v_cvt_f32_f16_e32 v16, v3
	v_cvt_f32_f16_sdwa v3, v4 dst_sel:DWORD dst_unused:UNUSED_PAD src0_sel:WORD_1
	v_cvt_f32_f16_e32 v2, v4
	;;#ASMSTART
	v_pk_mul_f32 v[4:5], v[8:9], v[12:13]
	;;#ASMEND
	;;#ASMSTART
	v_pk_mul_f32 v[8:9], v[10:11], v[16:17]
	;;#ASMEND
	;; [unrolled: 3-line block ×4, first 2 shown]
	s_mul_i32 s0, s10, s6
	v_cvt_f16_f32_e32 v0, v4
	v_cvt_f16_f32_e32 v4, v5
	;; [unrolled: 1-line block ×8, first 2 shown]
	s_lshl_b64 s[0:1], s[0:1], 1
	s_add_u32 s20, s36, s0
	s_addc_u32 s0, s37, s1
	s_and_b32 s21, s0, 0xffff
	v_pack_b32_f16 v2, v0, v4
	v_pack_b32_f16 v3, v5, v8
	;; [unrolled: 1-line block ×4, first 2 shown]
	buffer_store_dwordx4 v[2:5], v1, s[20:23], 0 offen
	;;#ASMSTART
	s_nop 0
	;;#ASMEND
	s_endpgm
	.section	.rodata,"a",@progbits
	.p2align	6, 0x0
	.amdhsa_kernel _ZN5aiter35fused_qk_rmsnorm_group_quant_kernelIDF16_N4opus5fp4_tELi256ELi8ELi8ELb1ELb0ELb0ELb0ELb0ELb0EEEvPT0_PvPT_S7_S7_PKS6_S9_S9_S9_S9_ffiiiiiiiiiiiii
		.amdhsa_group_segment_fixed_size 32
		.amdhsa_private_segment_fixed_size 0
		.amdhsa_kernarg_size 400
		.amdhsa_user_sgpr_count 6
		.amdhsa_user_sgpr_private_segment_buffer 1
		.amdhsa_user_sgpr_dispatch_ptr 0
		.amdhsa_user_sgpr_queue_ptr 0
		.amdhsa_user_sgpr_kernarg_segment_ptr 1
		.amdhsa_user_sgpr_dispatch_id 0
		.amdhsa_user_sgpr_flat_scratch_init 0
		.amdhsa_user_sgpr_kernarg_preload_length 0
		.amdhsa_user_sgpr_kernarg_preload_offset 0
		.amdhsa_user_sgpr_private_segment_size 0
		.amdhsa_uses_dynamic_stack 0
		.amdhsa_system_sgpr_private_segment_wavefront_offset 0
		.amdhsa_system_sgpr_workgroup_id_x 1
		.amdhsa_system_sgpr_workgroup_id_y 1
		.amdhsa_system_sgpr_workgroup_id_z 0
		.amdhsa_system_sgpr_workgroup_info 0
		.amdhsa_system_vgpr_workitem_id 0
		.amdhsa_next_free_vgpr 27
		.amdhsa_next_free_sgpr 40
		.amdhsa_accum_offset 28
		.amdhsa_reserve_vcc 1
		.amdhsa_reserve_flat_scratch 0
		.amdhsa_float_round_mode_32 0
		.amdhsa_float_round_mode_16_64 0
		.amdhsa_float_denorm_mode_32 3
		.amdhsa_float_denorm_mode_16_64 3
		.amdhsa_dx10_clamp 1
		.amdhsa_ieee_mode 1
		.amdhsa_fp16_overflow 0
		.amdhsa_tg_split 0
		.amdhsa_exception_fp_ieee_invalid_op 0
		.amdhsa_exception_fp_denorm_src 0
		.amdhsa_exception_fp_ieee_div_zero 0
		.amdhsa_exception_fp_ieee_overflow 0
		.amdhsa_exception_fp_ieee_underflow 0
		.amdhsa_exception_fp_ieee_inexact 0
		.amdhsa_exception_int_div_zero 0
	.end_amdhsa_kernel
	.section	.text._ZN5aiter35fused_qk_rmsnorm_group_quant_kernelIDF16_N4opus5fp4_tELi256ELi8ELi8ELb1ELb0ELb0ELb0ELb0ELb0EEEvPT0_PvPT_S7_S7_PKS6_S9_S9_S9_S9_ffiiiiiiiiiiiii,"axG",@progbits,_ZN5aiter35fused_qk_rmsnorm_group_quant_kernelIDF16_N4opus5fp4_tELi256ELi8ELi8ELb1ELb0ELb0ELb0ELb0ELb0EEEvPT0_PvPT_S7_S7_PKS6_S9_S9_S9_S9_ffiiiiiiiiiiiii,comdat
.Lfunc_end535:
	.size	_ZN5aiter35fused_qk_rmsnorm_group_quant_kernelIDF16_N4opus5fp4_tELi256ELi8ELi8ELb1ELb0ELb0ELb0ELb0ELb0EEEvPT0_PvPT_S7_S7_PKS6_S9_S9_S9_S9_ffiiiiiiiiiiiii, .Lfunc_end535-_ZN5aiter35fused_qk_rmsnorm_group_quant_kernelIDF16_N4opus5fp4_tELi256ELi8ELi8ELb1ELb0ELb0ELb0ELb0ELb0EEEvPT0_PvPT_S7_S7_PKS6_S9_S9_S9_S9_ffiiiiiiiiiiiii
                                        ; -- End function
	.section	.AMDGPU.csdata,"",@progbits
; Kernel info:
; codeLenInByte = 2676
; NumSgprs: 44
; NumVgprs: 27
; NumAgprs: 0
; TotalNumVgprs: 27
; ScratchSize: 0
; MemoryBound: 0
; FloatMode: 240
; IeeeMode: 1
; LDSByteSize: 32 bytes/workgroup (compile time only)
; SGPRBlocks: 5
; VGPRBlocks: 3
; NumSGPRsForWavesPerEU: 44
; NumVGPRsForWavesPerEU: 27
; AccumOffset: 28
; Occupancy: 8
; WaveLimiterHint : 0
; COMPUTE_PGM_RSRC2:SCRATCH_EN: 0
; COMPUTE_PGM_RSRC2:USER_SGPR: 6
; COMPUTE_PGM_RSRC2:TRAP_HANDLER: 0
; COMPUTE_PGM_RSRC2:TGID_X_EN: 1
; COMPUTE_PGM_RSRC2:TGID_Y_EN: 1
; COMPUTE_PGM_RSRC2:TGID_Z_EN: 0
; COMPUTE_PGM_RSRC2:TIDIG_COMP_CNT: 0
; COMPUTE_PGM_RSRC3_GFX90A:ACCUM_OFFSET: 6
; COMPUTE_PGM_RSRC3_GFX90A:TG_SPLIT: 0
	.section	.text._ZN5aiter35fused_qk_rmsnorm_group_quant_kernelItN4opus5fp4_tELi256ELi8ELi8ELb1ELb0ELb0ELb0ELb0ELb0EEEvPT0_PvPT_S7_S7_PKS6_S9_S9_S9_S9_ffiiiiiiiiiiiii,"axG",@progbits,_ZN5aiter35fused_qk_rmsnorm_group_quant_kernelItN4opus5fp4_tELi256ELi8ELi8ELb1ELb0ELb0ELb0ELb0ELb0EEEvPT0_PvPT_S7_S7_PKS6_S9_S9_S9_S9_ffiiiiiiiiiiiii,comdat
	.protected	_ZN5aiter35fused_qk_rmsnorm_group_quant_kernelItN4opus5fp4_tELi256ELi8ELi8ELb1ELb0ELb0ELb0ELb0ELb0EEEvPT0_PvPT_S7_S7_PKS6_S9_S9_S9_S9_ffiiiiiiiiiiiii ; -- Begin function _ZN5aiter35fused_qk_rmsnorm_group_quant_kernelItN4opus5fp4_tELi256ELi8ELi8ELb1ELb0ELb0ELb0ELb0ELb0EEEvPT0_PvPT_S7_S7_PKS6_S9_S9_S9_S9_ffiiiiiiiiiiiii
	.globl	_ZN5aiter35fused_qk_rmsnorm_group_quant_kernelItN4opus5fp4_tELi256ELi8ELi8ELb1ELb0ELb0ELb0ELb0ELb0EEEvPT0_PvPT_S7_S7_PKS6_S9_S9_S9_S9_ffiiiiiiiiiiiii
	.p2align	8
	.type	_ZN5aiter35fused_qk_rmsnorm_group_quant_kernelItN4opus5fp4_tELi256ELi8ELi8ELb1ELb0ELb0ELb0ELb0ELb0EEEvPT0_PvPT_S7_S7_PKS6_S9_S9_S9_S9_ffiiiiiiiiiiiii,@function
_ZN5aiter35fused_qk_rmsnorm_group_quant_kernelItN4opus5fp4_tELi256ELi8ELi8ELb1ELb0ELb0ELb0ELb0ELb0EEEvPT0_PvPT_S7_S7_PKS6_S9_S9_S9_S9_ffiiiiiiiiiiiii: ; @_ZN5aiter35fused_qk_rmsnorm_group_quant_kernelItN4opus5fp4_tELi256ELi8ELi8ELb1ELb0ELb0ELb0ELb0ELb0EEEvPT0_PvPT_S7_S7_PKS6_S9_S9_S9_S9_ffiiiiiiiiiiiii
; %bb.0:
	s_load_dwordx8 s[12:19], s[4:5], 0x50
	s_waitcnt lgkmcnt(0)
	s_cmp_ge_i32 s6, s14
	s_cbranch_scc1 .LBB536_17
; %bb.1:
	s_cmp_lg_u32 s7, 0
	s_cselect_b64 s[22:23], -1, 0
	s_cmp_eq_u32 s7, 0
	s_cselect_b64 s[8:9], -1, 0
	s_and_b64 s[0:1], s[8:9], exec
	s_load_dwordx2 s[20:21], s[4:5], 0x48
	s_load_dwordx2 s[34:35], s[4:5], 0x30
	s_load_dwordx4 s[24:27], s[4:5], 0x70
	s_cselect_b32 s7, s15, s16
	s_add_i32 s0, s7, 1
	s_lshr_b32 s1, s0, 31
	s_add_i32 s0, s0, s1
	s_lshl_b32 s0, s0, 1
	v_lshlrev_b32_e32 v1, 3, v0
	s_and_b32 s30, s0, -4
	v_cmp_gt_i32_e64 s[0:1], s7, v1
	v_mov_b32_e32 v10, 0
	v_mov_b32_e32 v11, 0
	;; [unrolled: 1-line block ×8, first 2 shown]
	s_and_saveexec_b64 s[2:3], s[0:1]
	s_cbranch_execz .LBB536_3
; %bb.2:
	s_load_dwordx2 s[10:11], s[4:5], 0x28
	s_load_dwordx2 s[28:29], s[4:5], 0x40
	s_and_b64 s[36:37], s[8:9], exec
	s_cselect_b32 s14, s17, s18
	s_mov_b32 s31, 0x20000
	s_waitcnt lgkmcnt(0)
	s_cselect_b32 s17, s11, s35
	s_cselect_b32 s27, s10, s34
	s_mul_hi_i32 s11, s14, s6
	s_mul_i32 s10, s14, s6
	s_lshl_b64 s[10:11], s[10:11], 1
	s_add_u32 s36, s27, s10
	s_addc_u32 s14, s17, s11
	s_and_b64 s[10:11], s[8:9], exec
	s_cselect_b32 s28, s28, s20
	s_cselect_b32 s10, s29, s21
	v_lshlrev_b32_e32 v2, 4, v0
	s_and_b32 s37, s14, 0xffff
	s_mov_b32 s38, s30
	s_mov_b32 s39, s31
	s_and_b32 s29, s10, 0xffff
	buffer_load_dwordx4 v[14:17], v2, s[36:39], 0 offen glc slc
	buffer_load_dwordx4 v[10:13], v2, s[28:31], 0 offen
.LBB536_3:
	s_or_b64 exec, exec, s[2:3]
	s_load_dwordx2 s[10:11], s[4:5], 0x80
	s_and_b64 vcc, exec, s[22:23]
	s_cbranch_vccz .LBB536_7
; %bb.4:
	s_mov_b32 s36, 0
	s_mov_b32 s37, s36
	;; [unrolled: 1-line block ×8, first 2 shown]
	v_pk_mov_b32 v[2:3], s[36:37], s[36:37] op_sel:[0,1]
	v_pk_mov_b32 v[4:5], s[38:39], s[38:39] op_sel:[0,1]
	;; [unrolled: 1-line block ×4, first 2 shown]
	s_and_saveexec_b64 s[2:3], s[0:1]
	s_cbranch_execz .LBB536_6
; %bb.5:
	s_waitcnt vmcnt(1)
	v_cvt_f32_u32_sdwa v3, v14 dst_sel:DWORD dst_unused:UNUSED_PAD src0_sel:WORD_1
	v_cvt_f32_u32_sdwa v2, v14 dst_sel:DWORD dst_unused:UNUSED_PAD src0_sel:WORD_0
	v_cvt_f32_u32_sdwa v5, v15 dst_sel:DWORD dst_unused:UNUSED_PAD src0_sel:WORD_1
	v_cvt_f32_u32_sdwa v4, v15 dst_sel:DWORD dst_unused:UNUSED_PAD src0_sel:WORD_0
	;; [unrolled: 2-line block ×4, first 2 shown]
.LBB536_6:
	s_or_b64 exec, exec, s[2:3]
	s_cbranch_execz .LBB536_8
	s_branch .LBB536_11
.LBB536_7:
                                        ; implicit-def: $vgpr2_vgpr3_vgpr4_vgpr5_vgpr6_vgpr7_vgpr8_vgpr9
.LBB536_8:
	s_mov_b32 s36, 0
	s_mov_b32 s37, s36
	;; [unrolled: 1-line block ×8, first 2 shown]
	v_pk_mov_b32 v[2:3], s[36:37], s[36:37] op_sel:[0,1]
	v_pk_mov_b32 v[4:5], s[38:39], s[38:39] op_sel:[0,1]
	v_pk_mov_b32 v[6:7], s[40:41], s[40:41] op_sel:[0,1]
	v_pk_mov_b32 v[8:9], s[42:43], s[42:43] op_sel:[0,1]
	s_and_saveexec_b64 s[2:3], s[0:1]
	s_cbranch_execz .LBB536_10
; %bb.9:
	s_load_dwordx2 s[28:29], s[4:5], 0x38
	s_mul_hi_i32 s37, s19, s6
	s_mul_i32 s36, s19, s6
	s_lshl_b64 s[36:37], s[36:37], 1
	s_mov_b32 s31, 0x20000
	s_waitcnt lgkmcnt(0)
	s_add_u32 s28, s28, s36
	s_addc_u32 s14, s29, s37
	s_and_b32 s29, s14, 0xffff
	v_lshlrev_b32_e32 v26, 4, v0
	buffer_load_dwordx4 v[2:5], v26, s[28:31], 0 offen glc slc
	s_load_dwordx2 s[28:29], s[4:5], 0x20
	s_waitcnt vmcnt(2)
	v_cvt_f32_u32_sdwa v7, v14 dst_sel:DWORD dst_unused:UNUSED_PAD src0_sel:WORD_1
	v_cvt_f32_u32_sdwa v6, v14 dst_sel:DWORD dst_unused:UNUSED_PAD src0_sel:WORD_0
	v_cvt_f32_u32_sdwa v9, v15 dst_sel:DWORD dst_unused:UNUSED_PAD src0_sel:WORD_1
	v_cvt_f32_u32_sdwa v8, v15 dst_sel:DWORD dst_unused:UNUSED_PAD src0_sel:WORD_0
	;; [unrolled: 2-line block ×4, first 2 shown]
	s_mul_hi_i32 s37, s11, s6
	s_mul_i32 s36, s11, s6
	s_lshl_b64 s[36:37], s[36:37], 1
	s_waitcnt lgkmcnt(0)
	s_add_u32 s28, s28, s36
	s_mov_b32 s11, 0x7060302
	s_addc_u32 s14, s29, s37
	s_and_b32 s29, s14, 0xffff
	s_waitcnt vmcnt(0)
	v_cvt_f32_u32_sdwa v17, v2 dst_sel:DWORD dst_unused:UNUSED_PAD src0_sel:WORD_1
	v_cvt_f32_u32_sdwa v16, v2 dst_sel:DWORD dst_unused:UNUSED_PAD src0_sel:WORD_0
	v_cvt_f32_u32_sdwa v21, v3 dst_sel:DWORD dst_unused:UNUSED_PAD src0_sel:WORD_1
	v_cvt_f32_u32_sdwa v20, v3 dst_sel:DWORD dst_unused:UNUSED_PAD src0_sel:WORD_0
	;; [unrolled: 2-line block ×4, first 2 shown]
	v_pk_add_f32 v[2:3], v[6:7], v[16:17]
	v_pk_add_f32 v[4:5], v[8:9], v[20:21]
	;; [unrolled: 1-line block ×4, first 2 shown]
	v_perm_b32 v17, v9, v8, s11
	v_perm_b32 v16, v7, v6, s11
	;; [unrolled: 1-line block ×4, first 2 shown]
	buffer_store_dwordx4 v[14:17], v26, s[28:31], 0 offen glc slc
	;;#ASMSTART
	s_nop 0
	;;#ASMEND
.LBB536_10:
	s_or_b64 exec, exec, s[2:3]
.LBB536_11:
	s_waitcnt vmcnt(1)
	v_mul_f32_e32 v14, v3, v3
	v_fmac_f32_e32 v14, v2, v2
	v_fmac_f32_e32 v14, v4, v4
	;; [unrolled: 1-line block ×7, first 2 shown]
	v_and_b32_e32 v16, 63, v0
	v_cmp_eq_u32_e64 s[2:3], 63, v16
	v_mov_b32_dpp v15, v14 quad_perm:[1,0,3,2] row_mask:0xf bank_mask:0xf
	v_add_f32_e32 v14, v14, v15
	s_nop 1
	v_mov_b32_dpp v15, v14 quad_perm:[2,3,0,1] row_mask:0xf bank_mask:0xf
	v_add_f32_e32 v14, v14, v15
	s_nop 1
	v_mov_b32_dpp v15, v14 row_half_mirror row_mask:0xf bank_mask:0xf
	v_add_f32_e32 v14, v14, v15
	s_nop 1
	v_mov_b32_dpp v15, v14 row_mirror row_mask:0xf bank_mask:0xf
	v_add_f32_e32 v14, v14, v15
	s_nop 1
	v_mov_b32_dpp v15, v14 row_bcast:15 row_mask:0xf bank_mask:0xf
	v_add_f32_e32 v14, v14, v15
	s_nop 1
	v_mov_b32_dpp v15, v14 row_bcast:31 row_mask:0xf bank_mask:0xf
	s_and_saveexec_b64 s[28:29], s[2:3]
	s_cbranch_execz .LBB536_13
; %bb.12:
	v_add_f32_e32 v14, v14, v15
	v_lshrrev_b32_e32 v15, 4, v0
	v_and_b32_e32 v15, 60, v15
	ds_write_b32 v15, v14 offset:16
.LBB536_13:
	s_or_b64 exec, exec, s[28:29]
	v_and_b32_e32 v14, 3, v0
	v_lshlrev_b32_e32 v14, 2, v14
	s_waitcnt lgkmcnt(0)
	s_barrier
	ds_read_b32 v15, v14 offset:16
	s_load_dwordx2 s[36:37], s[4:5], 0x18
	s_waitcnt lgkmcnt(0)
	v_mov_b32_dpp v16, v15 quad_perm:[1,0,3,2] row_mask:0xf bank_mask:0xf
	v_add_f32_e32 v15, v15, v16
	s_nop 1
	v_mov_b32_dpp v16, v15 quad_perm:[2,3,0,1] row_mask:0xf bank_mask:0xf
	s_and_saveexec_b64 s[28:29], s[0:1]
	s_cbranch_execnz .LBB536_18
; %bb.14:
	s_or_b64 exec, exec, s[28:29]
	s_mov_b64 s[8:9], -1
	s_and_b64 vcc, exec, s[22:23]
	s_cbranch_vccnz .LBB536_19
.LBB536_15:
	s_andn2_b64 vcc, exec, s[8:9]
	s_cbranch_vccz .LBB536_22
.LBB536_16:
	s_cmp_lt_i32 s16, 1
	s_cbranch_scc0 .LBB536_29
.LBB536_17:
	s_endpgm
.LBB536_18:
	v_cvt_f32_u32_e32 v17, s7
	v_add_f32_e32 v15, v15, v16
	v_mov_b32_e32 v19, s13
	v_mov_b32_e32 v20, s12
	v_div_scale_f32 v16, s[38:39], v17, v17, v15
	v_rcp_f32_e32 v18, v16
	v_cndmask_b32_e64 v19, v19, v20, s[8:9]
	s_mov_b32 s7, 0x800000
	v_fma_f32 v20, -v16, v18, 1.0
	v_fmac_f32_e32 v18, v20, v18
	v_div_scale_f32 v20, vcc, v15, v17, v15
	v_mul_f32_e32 v21, v20, v18
	v_fma_f32 v22, -v16, v21, v20
	v_fmac_f32_e32 v21, v22, v18
	v_fma_f32 v16, -v16, v21, v20
	v_div_fmas_f32 v16, v16, v18, v21
	v_div_fixup_f32 v15, v16, v17, v15
	v_add_f32_e32 v15, v19, v15
	v_mul_f32_e32 v16, 0x4b800000, v15
	v_cmp_gt_f32_e32 vcc, s7, v15
	v_cndmask_b32_e32 v15, v15, v16, vcc
	v_rsq_f32_e32 v15, v15
	s_waitcnt vmcnt(0)
	v_cvt_f32_u32_sdwa v19, v11 dst_sel:DWORD dst_unused:UNUSED_PAD src0_sel:WORD_1
	v_cvt_f32_u32_sdwa v18, v11 dst_sel:DWORD dst_unused:UNUSED_PAD src0_sel:WORD_0
	v_cvt_f32_u32_sdwa v11, v12 dst_sel:DWORD dst_unused:UNUSED_PAD src0_sel:WORD_1
	v_mul_f32_e32 v16, 0x45800000, v15
	v_cndmask_b32_e32 v16, v15, v16, vcc
	v_mov_b32_e32 v17, v16
	;;#ASMSTART
	v_pk_mul_f32 v[2:3], v[2:3], v[16:17]
	;;#ASMEND
	;;#ASMSTART
	v_pk_mul_f32 v[4:5], v[4:5], v[16:17]
	;;#ASMEND
	;; [unrolled: 3-line block ×4, first 2 shown]
	v_cvt_f32_u32_sdwa v17, v10 dst_sel:DWORD dst_unused:UNUSED_PAD src0_sel:WORD_1
	v_cvt_f32_u32_sdwa v16, v10 dst_sel:DWORD dst_unused:UNUSED_PAD src0_sel:WORD_0
	v_cvt_f32_u32_sdwa v10, v12 dst_sel:DWORD dst_unused:UNUSED_PAD src0_sel:WORD_0
	v_cvt_f32_u32_sdwa v21, v13 dst_sel:DWORD dst_unused:UNUSED_PAD src0_sel:WORD_1
	v_cvt_f32_u32_sdwa v20, v13 dst_sel:DWORD dst_unused:UNUSED_PAD src0_sel:WORD_0
	;;#ASMSTART
	v_pk_mul_f32 v[2:3], v[2:3], v[16:17]
	;;#ASMEND
	;;#ASMSTART
	v_pk_mul_f32 v[4:5], v[4:5], v[18:19]
	;;#ASMEND
	;; [unrolled: 3-line block ×4, first 2 shown]
	s_or_b64 exec, exec, s[28:29]
	s_mov_b64 s[8:9], -1
	s_and_b64 vcc, exec, s[22:23]
	s_cbranch_vccz .LBB536_15
.LBB536_19:
	s_and_saveexec_b64 s[8:9], s[0:1]
	s_cbranch_execz .LBB536_21
; %bb.20:
	s_mul_hi_i32 s23, s10, s6
	s_mul_i32 s22, s10, s6
	s_lshl_b64 s[22:23], s[22:23], 1
	s_add_u32 s28, s36, s22
	s_addc_u32 s7, s37, s23
	s_and_b32 s29, s7, 0xffff
	s_mov_b32 s7, 0x7060302
	s_mov_b32 s31, 0x20000
	s_waitcnt vmcnt(0)
	v_perm_b32 v10, v3, v2, s7
	v_perm_b32 v11, v5, v4, s7
	;; [unrolled: 1-line block ×4, first 2 shown]
	v_lshlrev_b32_e32 v15, 4, v0
	buffer_store_dwordx4 v[10:13], v15, s[28:31], 0 offen
	;;#ASMSTART
	s_nop 0
	;;#ASMEND
.LBB536_21:
	s_or_b64 exec, exec, s[8:9]
	s_cbranch_execnz .LBB536_16
.LBB536_22:
	s_waitcnt vmcnt(0)
	v_mov_b32_e32 v10, 0
	s_and_saveexec_b64 s[8:9], s[0:1]
	s_cbranch_execz .LBB536_24
; %bb.23:
	v_and_b32_e32 v2, 0x7fffffff, v2
	v_and_b32_e32 v3, 0x7fffffff, v3
	v_mov_b32_e32 v10, 0x2edbe6ff
	;;#ASMSTART
	v_max3_f32 v2, v10, v2, v3

	;;#ASMEND
	v_and_b32_e32 v3, 0x7fffffff, v4
	v_and_b32_e32 v4, 0x7fffffff, v5
	;;#ASMSTART
	v_max3_f32 v2, v2, v3, v4

	;;#ASMEND
	v_and_b32_e32 v3, 0x7fffffff, v6
	v_and_b32_e32 v4, 0x7fffffff, v7
	;; [unrolled: 6-line block ×3, first 2 shown]
	;;#ASMSTART
	v_max3_f32 v10, v2, v3, v4

	;;#ASMEND
.LBB536_24:
	s_or_b64 exec, exec, s[8:9]
	;;#ASMSTART
	v_max_f32 v2, v10, v10 quad_perm:[1,0,3,2] row_mask:0xf bank_mask:0xf bound_ctrl:1
	;;#ASMEND
	;;#ASMSTART
	v_max_f32 v3, v2, v2 quad_perm:[2,3,0,1] row_mask:0xf bank_mask:0xf bound_ctrl:1
	;;#ASMEND
	;;#ASMSTART
	v_max_f32 v2, v3, v3 row_half_mirror row_mask:0xf bank_mask:0xf bound_ctrl:1
	;;#ASMEND
	v_and_b32_e32 v3, 7, v0
	v_cmp_eq_u32_e32 vcc, 0, v3
	v_cmp_gt_i32_e64 s[8:9], s15, v1
	s_and_b64 s[22:23], vcc, s[8:9]
	s_and_saveexec_b64 s[8:9], s[22:23]
	s_cbranch_execz .LBB536_26
; %bb.25:
	s_load_dwordx2 s[22:23], s[4:5], 0x8
	v_mul_f32_e32 v2, 0x3e2aaaab, v2
	v_lshrrev_b32_e32 v3, 23, v2
	v_and_b32_e32 v4, 0x7f800000, v2
	v_and_b32_e32 v2, 0x7fffff, v2
	v_cmp_ne_u32_e32 vcc, 0, v2
	s_mul_i32 s12, s25, s6
	s_mov_b32 s7, 0x7f800000
	v_addc_co_u32_e32 v2, vcc, 0, v3, vcc
	s_mul_hi_i32 s11, s25, s6
	s_waitcnt lgkmcnt(0)
	s_add_u32 s22, s22, s12
	v_cmp_ne_u32_e32 vcc, s7, v4
	s_addc_u32 s23, s23, s11
	v_lshrrev_b32_e32 v5, 3, v0
	v_cndmask_b32_e32 v4, -1, v2, vcc
	v_pk_mov_b32 v[2:3], s[22:23], s[22:23] op_sel:[0,1]
	v_mad_i64_i32 v[2:3], s[22:23], s26, v5, v[2:3]
	global_store_byte v[2:3], v4, off
.LBB536_26:
	s_or_b64 exec, exec, s[8:9]
	s_and_saveexec_b64 s[8:9], s[0:1]
	s_cbranch_execz .LBB536_28
; %bb.27:
	s_load_dwordx2 s[0:1], s[4:5], 0x0
	s_mul_i32 s11, s24, s6
	s_mul_hi_i32 s7, s24, s6
	v_lshlrev_b32_e32 v2, 2, v0
	s_mov_b32 s27, 0x20000
	s_waitcnt lgkmcnt(0)
	s_add_u32 s24, s0, s11
	s_addc_u32 s0, s1, s7
	s_lshr_b32 s1, s15, 31
	s_add_i32 s1, s15, s1
	s_ashr_i32 s1, s1, 1
	s_add_i32 s1, s1, 3
	s_ashr_i32 s7, s1, 31
	s_lshr_b32 s7, s7, 30
	s_add_i32 s1, s1, s7
	s_and_b32 s26, s1, -4
	s_and_b32 s25, s0, 0xffff
	v_mov_b32_e32 v3, 0
	buffer_store_dword v3, v2, s[24:27], 0 offen
	;;#ASMSTART
	s_nop 0
	;;#ASMEND
.LBB536_28:
	s_or_b64 exec, exec, s[8:9]
	s_cmp_lt_i32 s16, 1
	s_cbranch_scc1 .LBB536_17
.LBB536_29:
	s_load_dword s0, s[4:5], 0x94
	s_waitcnt lgkmcnt(0)
	s_cmp_lg_u32 s0, 1
	s_cbranch_scc1 .LBB536_17
; %bb.30:
	s_lshl_b32 s0, s16, 1
	s_add_i32 s0, s0, 2
	v_cmp_gt_u32_e32 vcc, s16, v1
	s_and_b32 s22, s0, -4
	v_mov_b32_e32 v6, 0
	v_lshlrev_b32_e32 v1, 4, v0
	v_mov_b32_e32 v7, 0
	v_mov_b32_e32 v8, 0
	;; [unrolled: 1-line block ×7, first 2 shown]
	s_barrier
	s_and_saveexec_b64 s[0:1], vcc
	s_cbranch_execz .LBB536_32
; %bb.31:
	s_mul_hi_i32 s5, s18, s6
	s_mul_i32 s4, s18, s6
	s_and_b32 s21, s21, 0xffff
	s_lshl_b64 s[4:5], s[4:5], 1
	s_add_u32 s24, s34, s4
	s_mov_b32 s23, 0x20000
	s_addc_u32 s4, s35, s5
	s_and_b32 s25, s4, 0xffff
	s_mov_b32 s26, s22
	s_mov_b32 s27, s23
	buffer_load_dwordx4 v[6:9], v1, s[24:27], 0 offen glc slc
	buffer_load_dwordx4 v[2:5], v1, s[20:23], 0 offen
.LBB536_32:
	s_or_b64 exec, exec, s[0:1]
	s_waitcnt vmcnt(0)
	v_cvt_f32_u32_sdwa v13, v6 dst_sel:DWORD dst_unused:UNUSED_PAD src0_sel:WORD_1
	v_cvt_f32_u32_sdwa v12, v6 dst_sel:DWORD dst_unused:UNUSED_PAD src0_sel:WORD_0
	v_cvt_f32_u32_sdwa v6, v9 dst_sel:DWORD dst_unused:UNUSED_PAD src0_sel:WORD_1
	v_cvt_f32_u32_sdwa v9, v9 dst_sel:DWORD dst_unused:UNUSED_PAD src0_sel:WORD_0
	;; [unrolled: 2-line block ×4, first 2 shown]
	v_cndmask_b32_e32 v13, 0, v13, vcc
	v_cndmask_b32_e32 v7, 0, v6, vcc
	;; [unrolled: 1-line block ×5, first 2 shown]
	v_mul_f32_e32 v15, v13, v13
	v_cndmask_b32_e32 v10, 0, v10, vcc
	v_fmac_f32_e32 v15, v12, v12
	v_cndmask_b32_e32 v11, 0, v11, vcc
	v_fmac_f32_e32 v15, v10, v10
	;; [unrolled: 2-line block ×3, first 2 shown]
	v_fmac_f32_e32 v15, v8, v8
	v_fmac_f32_e32 v15, v9, v9
	;; [unrolled: 1-line block ×4, first 2 shown]
	s_nop 1
	v_mov_b32_dpp v16, v15 quad_perm:[1,0,3,2] row_mask:0xf bank_mask:0xf
	v_add_f32_e32 v15, v15, v16
	s_nop 1
	v_mov_b32_dpp v16, v15 quad_perm:[2,3,0,1] row_mask:0xf bank_mask:0xf
	v_add_f32_e32 v15, v15, v16
	s_nop 1
	v_mov_b32_dpp v16, v15 row_half_mirror row_mask:0xf bank_mask:0xf
	v_add_f32_e32 v15, v15, v16
	s_nop 1
	v_mov_b32_dpp v16, v15 row_mirror row_mask:0xf bank_mask:0xf
	v_add_f32_e32 v15, v15, v16
	s_nop 1
	v_mov_b32_dpp v16, v15 row_bcast:15 row_mask:0xf bank_mask:0xf
	v_add_f32_e32 v15, v15, v16
	s_nop 1
	v_mov_b32_dpp v16, v15 row_bcast:31 row_mask:0xf bank_mask:0xf
	s_and_saveexec_b64 s[0:1], s[2:3]
	s_cbranch_execz .LBB536_34
; %bb.33:
	v_lshrrev_b32_e32 v0, 4, v0
	v_add_f32_e32 v15, v15, v16
	v_and_b32_e32 v0, 60, v0
	ds_write_b32 v0, v15
.LBB536_34:
	s_or_b64 exec, exec, s[0:1]
	s_waitcnt lgkmcnt(0)
	s_barrier
	ds_read_b32 v0, v14
	s_waitcnt lgkmcnt(0)
	s_nop 0
	v_mov_b32_dpp v14, v0 quad_perm:[1,0,3,2] row_mask:0xf bank_mask:0xf
	v_add_f32_e32 v0, v0, v14
	s_nop 1
	v_mov_b32_dpp v14, v0 quad_perm:[2,3,0,1] row_mask:0xf bank_mask:0xf
	s_and_saveexec_b64 s[0:1], vcc
	s_cbranch_execz .LBB536_17
; %bb.35:
	v_cvt_f32_u32_e32 v15, s16
	v_add_f32_e32 v0, v0, v14
	s_mov_b32 s23, 0x20000
	v_div_scale_f32 v14, s[0:1], v15, v15, v0
	v_rcp_f32_e32 v16, v14
	v_div_scale_f32 v17, vcc, v0, v15, v0
	s_mov_b32 s0, 0x800000
	v_fma_f32 v18, -v14, v16, 1.0
	v_fmac_f32_e32 v16, v18, v16
	v_mul_f32_e32 v18, v17, v16
	v_fma_f32 v19, -v14, v18, v17
	v_fmac_f32_e32 v18, v19, v16
	v_fma_f32 v14, -v14, v18, v17
	v_div_fmas_f32 v14, v14, v16, v18
	v_div_fixup_f32 v0, v14, v15, v0
	v_add_f32_e32 v0, s13, v0
	v_mul_f32_e32 v14, 0x4b800000, v0
	v_cmp_gt_f32_e32 vcc, s0, v0
	v_cndmask_b32_e32 v0, v0, v14, vcc
	v_rsq_f32_e32 v0, v0
	s_mul_hi_i32 s1, s10, s6
	s_mul_i32 s0, s10, s6
	s_lshl_b64 s[0:1], s[0:1], 1
	v_mul_f32_e32 v14, 0x45800000, v0
	v_cndmask_b32_e32 v14, v0, v14, vcc
	s_add_u32 s20, s36, s0
	v_mov_b32_e32 v15, v14
	s_addc_u32 s0, s37, s1
	;;#ASMSTART
	v_pk_mul_f32 v[12:13], v[12:13], v[14:15]
	;;#ASMEND
	;;#ASMSTART
	v_pk_mul_f32 v[10:11], v[10:11], v[14:15]
	;;#ASMEND
	;;#ASMSTART
	v_pk_mul_f32 v[8:9], v[8:9], v[14:15]
	;;#ASMEND
	;;#ASMSTART
	v_pk_mul_f32 v[6:7], v[6:7], v[14:15]
	;;#ASMEND
	v_cvt_f32_u32_sdwa v15, v2 dst_sel:DWORD dst_unused:UNUSED_PAD src0_sel:WORD_1
	v_cvt_f32_u32_sdwa v14, v2 dst_sel:DWORD dst_unused:UNUSED_PAD src0_sel:WORD_0
	v_cvt_f32_u32_sdwa v17, v3 dst_sel:DWORD dst_unused:UNUSED_PAD src0_sel:WORD_1
	v_cvt_f32_u32_sdwa v16, v3 dst_sel:DWORD dst_unused:UNUSED_PAD src0_sel:WORD_0
	;; [unrolled: 2-line block ×4, first 2 shown]
	;;#ASMSTART
	v_pk_mul_f32 v[4:5], v[12:13], v[14:15]
	;;#ASMEND
	s_and_b32 s21, s0, 0xffff
	s_mov_b32 s0, 0x7060302
	;;#ASMSTART
	v_pk_mul_f32 v[10:11], v[10:11], v[16:17]
	;;#ASMEND
	;;#ASMSTART
	v_pk_mul_f32 v[8:9], v[8:9], v[2:3]
	;;#ASMEND
	;; [unrolled: 3-line block ×3, first 2 shown]
	v_perm_b32 v2, v5, v4, s0
	v_perm_b32 v3, v11, v10, s0
	;; [unrolled: 1-line block ×4, first 2 shown]
	buffer_store_dwordx4 v[2:5], v1, s[20:23], 0 offen
	;;#ASMSTART
	s_nop 0
	;;#ASMEND
	s_endpgm
	.section	.rodata,"a",@progbits
	.p2align	6, 0x0
	.amdhsa_kernel _ZN5aiter35fused_qk_rmsnorm_group_quant_kernelItN4opus5fp4_tELi256ELi8ELi8ELb1ELb0ELb0ELb0ELb0ELb0EEEvPT0_PvPT_S7_S7_PKS6_S9_S9_S9_S9_ffiiiiiiiiiiiii
		.amdhsa_group_segment_fixed_size 32
		.amdhsa_private_segment_fixed_size 0
		.amdhsa_kernarg_size 400
		.amdhsa_user_sgpr_count 6
		.amdhsa_user_sgpr_private_segment_buffer 1
		.amdhsa_user_sgpr_dispatch_ptr 0
		.amdhsa_user_sgpr_queue_ptr 0
		.amdhsa_user_sgpr_kernarg_segment_ptr 1
		.amdhsa_user_sgpr_dispatch_id 0
		.amdhsa_user_sgpr_flat_scratch_init 0
		.amdhsa_user_sgpr_kernarg_preload_length 0
		.amdhsa_user_sgpr_kernarg_preload_offset 0
		.amdhsa_user_sgpr_private_segment_size 0
		.amdhsa_uses_dynamic_stack 0
		.amdhsa_system_sgpr_private_segment_wavefront_offset 0
		.amdhsa_system_sgpr_workgroup_id_x 1
		.amdhsa_system_sgpr_workgroup_id_y 1
		.amdhsa_system_sgpr_workgroup_id_z 0
		.amdhsa_system_sgpr_workgroup_info 0
		.amdhsa_system_vgpr_workitem_id 0
		.amdhsa_next_free_vgpr 27
		.amdhsa_next_free_sgpr 44
		.amdhsa_accum_offset 28
		.amdhsa_reserve_vcc 1
		.amdhsa_reserve_flat_scratch 0
		.amdhsa_float_round_mode_32 0
		.amdhsa_float_round_mode_16_64 0
		.amdhsa_float_denorm_mode_32 3
		.amdhsa_float_denorm_mode_16_64 3
		.amdhsa_dx10_clamp 1
		.amdhsa_ieee_mode 1
		.amdhsa_fp16_overflow 0
		.amdhsa_tg_split 0
		.amdhsa_exception_fp_ieee_invalid_op 0
		.amdhsa_exception_fp_denorm_src 0
		.amdhsa_exception_fp_ieee_div_zero 0
		.amdhsa_exception_fp_ieee_overflow 0
		.amdhsa_exception_fp_ieee_underflow 0
		.amdhsa_exception_fp_ieee_inexact 0
		.amdhsa_exception_int_div_zero 0
	.end_amdhsa_kernel
	.section	.text._ZN5aiter35fused_qk_rmsnorm_group_quant_kernelItN4opus5fp4_tELi256ELi8ELi8ELb1ELb0ELb0ELb0ELb0ELb0EEEvPT0_PvPT_S7_S7_PKS6_S9_S9_S9_S9_ffiiiiiiiiiiiii,"axG",@progbits,_ZN5aiter35fused_qk_rmsnorm_group_quant_kernelItN4opus5fp4_tELi256ELi8ELi8ELb1ELb0ELb0ELb0ELb0ELb0EEEvPT0_PvPT_S7_S7_PKS6_S9_S9_S9_S9_ffiiiiiiiiiiiii,comdat
.Lfunc_end536:
	.size	_ZN5aiter35fused_qk_rmsnorm_group_quant_kernelItN4opus5fp4_tELi256ELi8ELi8ELb1ELb0ELb0ELb0ELb0ELb0EEEvPT0_PvPT_S7_S7_PKS6_S9_S9_S9_S9_ffiiiiiiiiiiiii, .Lfunc_end536-_ZN5aiter35fused_qk_rmsnorm_group_quant_kernelItN4opus5fp4_tELi256ELi8ELi8ELb1ELb0ELb0ELb0ELb0ELb0EEEvPT0_PvPT_S7_S7_PKS6_S9_S9_S9_S9_ffiiiiiiiiiiiii
                                        ; -- End function
	.section	.AMDGPU.csdata,"",@progbits
; Kernel info:
; codeLenInByte = 2740
; NumSgprs: 48
; NumVgprs: 27
; NumAgprs: 0
; TotalNumVgprs: 27
; ScratchSize: 0
; MemoryBound: 0
; FloatMode: 240
; IeeeMode: 1
; LDSByteSize: 32 bytes/workgroup (compile time only)
; SGPRBlocks: 5
; VGPRBlocks: 3
; NumSGPRsForWavesPerEU: 48
; NumVGPRsForWavesPerEU: 27
; AccumOffset: 28
; Occupancy: 8
; WaveLimiterHint : 0
; COMPUTE_PGM_RSRC2:SCRATCH_EN: 0
; COMPUTE_PGM_RSRC2:USER_SGPR: 6
; COMPUTE_PGM_RSRC2:TRAP_HANDLER: 0
; COMPUTE_PGM_RSRC2:TGID_X_EN: 1
; COMPUTE_PGM_RSRC2:TGID_Y_EN: 1
; COMPUTE_PGM_RSRC2:TGID_Z_EN: 0
; COMPUTE_PGM_RSRC2:TIDIG_COMP_CNT: 0
; COMPUTE_PGM_RSRC3_GFX90A:ACCUM_OFFSET: 6
; COMPUTE_PGM_RSRC3_GFX90A:TG_SPLIT: 0
	.section	.text._ZN5aiter35fused_qk_rmsnorm_group_quant_kernelIDF16_DB8_Li256ELi8ELi8ELb0ELb1ELb1ELb0ELb0ELb0EEEvPT0_PvPT_S6_S6_PKS5_S8_S8_S8_S8_ffiiiiiiiiiiiii,"axG",@progbits,_ZN5aiter35fused_qk_rmsnorm_group_quant_kernelIDF16_DB8_Li256ELi8ELi8ELb0ELb1ELb1ELb0ELb0ELb0EEEvPT0_PvPT_S6_S6_PKS5_S8_S8_S8_S8_ffiiiiiiiiiiiii,comdat
	.protected	_ZN5aiter35fused_qk_rmsnorm_group_quant_kernelIDF16_DB8_Li256ELi8ELi8ELb0ELb1ELb1ELb0ELb0ELb0EEEvPT0_PvPT_S6_S6_PKS5_S8_S8_S8_S8_ffiiiiiiiiiiiii ; -- Begin function _ZN5aiter35fused_qk_rmsnorm_group_quant_kernelIDF16_DB8_Li256ELi8ELi8ELb0ELb1ELb1ELb0ELb0ELb0EEEvPT0_PvPT_S6_S6_PKS5_S8_S8_S8_S8_ffiiiiiiiiiiiii
	.globl	_ZN5aiter35fused_qk_rmsnorm_group_quant_kernelIDF16_DB8_Li256ELi8ELi8ELb0ELb1ELb1ELb0ELb0ELb0EEEvPT0_PvPT_S6_S6_PKS5_S8_S8_S8_S8_ffiiiiiiiiiiiii
	.p2align	8
	.type	_ZN5aiter35fused_qk_rmsnorm_group_quant_kernelIDF16_DB8_Li256ELi8ELi8ELb0ELb1ELb1ELb0ELb0ELb0EEEvPT0_PvPT_S6_S6_PKS5_S8_S8_S8_S8_ffiiiiiiiiiiiii,@function
_ZN5aiter35fused_qk_rmsnorm_group_quant_kernelIDF16_DB8_Li256ELi8ELi8ELb0ELb1ELb1ELb0ELb0ELb0EEEvPT0_PvPT_S6_S6_PKS5_S8_S8_S8_S8_ffiiiiiiiiiiiii: ; @_ZN5aiter35fused_qk_rmsnorm_group_quant_kernelIDF16_DB8_Li256ELi8ELi8ELb0ELb1ELb1ELb0ELb0ELb0EEEvPT0_PvPT_S6_S6_PKS5_S8_S8_S8_S8_ffiiiiiiiiiiiii
; %bb.0:
	s_load_dwordx4 s[16:19], s[4:5], 0x50
	s_waitcnt lgkmcnt(0)
	s_cmp_ge_i32 s6, s18
	s_cbranch_scc1 .LBB537_12
; %bb.1:
	s_load_dwordx2 s[12:13], s[4:5], 0x48
	s_load_dwordx2 s[30:31], s[4:5], 0x30
	s_load_dwordx4 s[20:23], s[4:5], 0x60
	s_cmp_lg_u32 s7, 0
	s_cselect_b64 s[14:15], -1, 0
	s_cmp_eq_u32 s7, 0
	s_cselect_b64 vcc, -1, 0
	s_and_b64 s[0:1], vcc, exec
	s_waitcnt lgkmcnt(0)
	s_cselect_b32 s7, s19, s20
	s_add_i32 s0, s7, 1
	s_lshr_b32 s1, s0, 31
	s_add_i32 s0, s0, s1
	s_lshl_b32 s0, s0, 1
	v_lshlrev_b32_e32 v1, 3, v0
	s_and_b32 s10, s0, -4
	v_cmp_gt_i32_e64 s[2:3], s7, v1
	v_mov_b32_e32 v10, 0
	v_mov_b32_e32 v2, 0
	;; [unrolled: 1-line block ×9, first 2 shown]
	s_and_saveexec_b64 s[0:1], s[2:3]
	s_cbranch_execz .LBB537_3
; %bb.2:
	s_load_dwordx2 s[8:9], s[4:5], 0x28
	s_load_dwordx2 s[26:27], s[4:5], 0x40
	s_and_b64 s[24:25], vcc, exec
	s_cselect_b32 s11, s21, s22
	v_lshlrev_b32_e32 v11, 4, v0
	s_waitcnt lgkmcnt(0)
	s_cselect_b32 s18, s9, s31
	s_cselect_b32 s21, s8, s30
	s_mul_hi_i32 s9, s11, s6
	s_mul_i32 s8, s11, s6
	s_lshl_b64 s[8:9], s[8:9], 1
	s_add_u32 s24, s21, s8
	s_addc_u32 s18, s18, s9
	s_and_b64 s[8:9], vcc, exec
	s_mov_b32 s11, 0x20000
	s_cselect_b32 s8, s26, s12
	s_cselect_b32 s9, s27, s13
	s_and_b32 s25, s18, 0xffff
	s_mov_b32 s26, s10
	s_mov_b32 s27, s11
	s_and_b32 s9, s9, 0xffff
	buffer_load_dwordx4 v[6:9], v11, s[24:27], 0 offen glc slc
	buffer_load_dwordx4 v[2:5], v11, s[8:11], 0 offen
.LBB537_3:
	s_or_b64 exec, exec, s[0:1]
	v_mov_b32_e32 v11, 0
	v_mov_b32_e32 v16, 0
	;; [unrolled: 1-line block ×7, first 2 shown]
	s_and_saveexec_b64 s[0:1], s[2:3]
	s_cbranch_execz .LBB537_5
; %bb.4:
	s_waitcnt vmcnt(1)
	v_cvt_f32_f16_sdwa v11, v6 dst_sel:DWORD dst_unused:UNUSED_PAD src0_sel:WORD_1
	v_cvt_f32_f16_e32 v10, v6
	v_cvt_f32_f16_sdwa v17, v7 dst_sel:DWORD dst_unused:UNUSED_PAD src0_sel:WORD_1
	v_cvt_f32_f16_e32 v16, v7
	;; [unrolled: 2-line block ×4, first 2 shown]
.LBB537_5:
	s_or_b64 exec, exec, s[0:1]
	s_waitcnt vmcnt(1)
	v_mul_f32_e32 v6, v11, v11
	v_fmac_f32_e32 v6, v10, v10
	v_fmac_f32_e32 v6, v16, v16
	;; [unrolled: 1-line block ×7, first 2 shown]
	v_and_b32_e32 v8, 63, v0
	v_cmp_eq_u32_e64 s[0:1], 63, v8
	v_mov_b32_dpp v7, v6 quad_perm:[1,0,3,2] row_mask:0xf bank_mask:0xf
	v_add_f32_e32 v6, v6, v7
	s_nop 1
	v_mov_b32_dpp v7, v6 quad_perm:[2,3,0,1] row_mask:0xf bank_mask:0xf
	v_add_f32_e32 v6, v6, v7
	s_nop 1
	v_mov_b32_dpp v7, v6 row_half_mirror row_mask:0xf bank_mask:0xf
	v_add_f32_e32 v6, v6, v7
	s_nop 1
	v_mov_b32_dpp v7, v6 row_mirror row_mask:0xf bank_mask:0xf
	v_add_f32_e32 v6, v6, v7
	s_nop 1
	v_mov_b32_dpp v7, v6 row_bcast:15 row_mask:0xf bank_mask:0xf
	v_add_f32_e32 v6, v6, v7
	s_nop 1
	v_mov_b32_dpp v7, v6 row_bcast:31 row_mask:0xf bank_mask:0xf
	s_and_saveexec_b64 s[8:9], s[0:1]
	s_cbranch_execz .LBB537_7
; %bb.6:
	v_add_f32_e32 v6, v6, v7
	v_lshrrev_b32_e32 v7, 4, v0
	v_and_b32_e32 v7, 60, v7
	ds_write_b32 v7, v6 offset:16
.LBB537_7:
	s_or_b64 exec, exec, s[8:9]
	v_and_b32_e32 v6, 3, v0
	v_lshlrev_b32_e32 v18, 2, v6
	s_waitcnt lgkmcnt(0)
	s_barrier
	ds_read_b32 v6, v18 offset:16
	s_load_dwordx2 s[28:29], s[4:5], 0x18
	s_waitcnt lgkmcnt(0)
	v_mov_b32_dpp v7, v6 quad_perm:[1,0,3,2] row_mask:0xf bank_mask:0xf
	v_add_f32_e32 v6, v6, v7
	s_nop 1
	v_mov_b32_dpp v7, v6 quad_perm:[2,3,0,1] row_mask:0xf bank_mask:0xf
	s_and_saveexec_b64 s[8:9], s[2:3]
	s_cbranch_execz .LBB537_9
; %bb.8:
	v_cvt_f32_u32_e32 v8, s7
	v_add_f32_e32 v6, v6, v7
	v_mov_b32_e32 v19, s17
	v_mov_b32_e32 v20, s16
	v_div_scale_f32 v7, s[24:25], v8, v8, v6
	v_rcp_f32_e32 v9, v7
	v_cndmask_b32_e32 v19, v19, v20, vcc
	s_mov_b32 s7, 0x800000
	v_fma_f32 v20, -v7, v9, 1.0
	v_fmac_f32_e32 v9, v20, v9
	v_div_scale_f32 v20, vcc, v6, v8, v6
	v_mul_f32_e32 v21, v20, v9
	v_fma_f32 v22, -v7, v21, v20
	v_fmac_f32_e32 v21, v22, v9
	v_fma_f32 v7, -v7, v21, v20
	v_div_fmas_f32 v7, v7, v9, v21
	v_div_fixup_f32 v6, v7, v8, v6
	v_add_f32_e32 v6, v19, v6
	v_mul_f32_e32 v7, 0x4b800000, v6
	v_cmp_gt_f32_e32 vcc, s7, v6
	v_cndmask_b32_e32 v6, v6, v7, vcc
	v_rsq_f32_e32 v6, v6
	s_waitcnt vmcnt(0)
	v_cvt_f32_f16_sdwa v21, v3 dst_sel:DWORD dst_unused:UNUSED_PAD src0_sel:WORD_1
	v_cvt_f32_f16_e32 v20, v3
	v_mul_f32_e32 v7, 0x45800000, v6
	v_cndmask_b32_e32 v6, v6, v7, vcc
	v_mov_b32_e32 v7, v6
	;;#ASMSTART
	v_pk_mul_f32 v[8:9], v[10:11], v[6:7]
	;;#ASMEND
	v_cvt_f32_f16_sdwa v11, v2 dst_sel:DWORD dst_unused:UNUSED_PAD src0_sel:WORD_1
	v_cvt_f32_f16_e32 v10, v2
	;;#ASMSTART
	v_pk_mul_f32 v[16:17], v[16:17], v[6:7]
	;;#ASMEND
	;;#ASMSTART
	v_pk_mul_f32 v[14:15], v[14:15], v[6:7]
	;;#ASMEND
	;; [unrolled: 3-line block ×3, first 2 shown]
	v_pk_add_f32 v[6:7], v[10:11], 1.0 op_sel_hi:[1,0]
	;;#ASMSTART
	v_pk_mul_f32 v[10:11], v[8:9], v[6:7]
	;;#ASMEND
	v_cvt_f32_f16_sdwa v9, v4 dst_sel:DWORD dst_unused:UNUSED_PAD src0_sel:WORD_1
	v_cvt_f32_f16_e32 v8, v4
	v_cvt_f32_f16_sdwa v13, v5 dst_sel:DWORD dst_unused:UNUSED_PAD src0_sel:WORD_1
	v_cvt_f32_f16_e32 v12, v5
	v_pk_add_f32 v[6:7], v[20:21], 1.0 op_sel_hi:[1,0]
	v_pk_add_f32 v[4:5], v[8:9], 1.0 op_sel_hi:[1,0]
	;;#ASMSTART
	v_pk_mul_f32 v[16:17], v[16:17], v[6:7]
	;;#ASMEND
	;;#ASMSTART
	v_pk_mul_f32 v[14:15], v[14:15], v[4:5]
	;;#ASMEND
	v_pk_add_f32 v[4:5], v[12:13], 1.0 op_sel_hi:[1,0]
	;;#ASMSTART
	v_pk_mul_f32 v[12:13], v[2:3], v[4:5]
	;;#ASMEND
.LBB537_9:
	s_or_b64 exec, exec, s[8:9]
	s_load_dword s7, s[4:5], 0x80
	s_mov_b64 s[8:9], -1
	s_and_b64 vcc, exec, s[14:15]
	s_cbranch_vccnz .LBB537_13
; %bb.10:
	s_andn2_b64 vcc, exec, s[8:9]
	s_cbranch_vccz .LBB537_16
.LBB537_11:
	s_cmp_lt_i32 s20, 1
	s_cbranch_scc0 .LBB537_25
.LBB537_12:
	s_endpgm
.LBB537_13:
	s_and_saveexec_b64 s[14:15], s[2:3]
	s_cbranch_execz .LBB537_15
; %bb.14:
	s_waitcnt lgkmcnt(0)
	s_mul_hi_i32 s9, s7, s6
	s_mul_i32 s8, s7, s6
	s_waitcnt vmcnt(0)
	v_cvt_f16_f32_e32 v2, v10
	v_cvt_f16_f32_e32 v3, v16
	;; [unrolled: 1-line block ×8, first 2 shown]
	s_lshl_b64 s[8:9], s[8:9], 1
	s_add_u32 s8, s28, s8
	s_addc_u32 s9, s29, s9
	s_and_b32 s9, s9, 0xffff
	s_mov_b32 s11, 0x20000
	v_pack_b32_f16 v5, v5, v6
	v_pack_b32_f16 v4, v4, v7
	;; [unrolled: 1-line block ×4, first 2 shown]
	v_lshlrev_b32_e32 v6, 4, v0
	buffer_store_dwordx4 v[2:5], v6, s[8:11], 0 offen
	;;#ASMSTART
	s_nop 0
	;;#ASMEND
.LBB537_15:
	s_or_b64 exec, exec, s[14:15]
	s_cbranch_execnz .LBB537_11
.LBB537_16:
	s_load_dwordx4 s[24:27], s[4:5], 0x70
	s_waitcnt vmcnt(0)
	v_mov_b32_e32 v2, 0
	s_and_saveexec_b64 s[14:15], s[2:3]
	s_cbranch_execz .LBB537_18
; %bb.17:
	s_load_dwordx2 s[8:9], s[4:5], 0x10
	s_waitcnt lgkmcnt(0)
	s_mul_hi_i32 s35, s27, s6
	s_mul_i32 s34, s27, s6
	v_cvt_f16_f32_e32 v2, v10
	v_cvt_f16_f32_e32 v3, v16
	;; [unrolled: 1-line block ×8, first 2 shown]
	s_lshl_b64 s[34:35], s[34:35], 1
	s_add_u32 s8, s8, s34
	s_addc_u32 s9, s9, s35
	s_mov_b32 s11, 0x20000
	s_and_b32 s9, s9, 0xffff
	v_pack_b32_f16 v5, v5, v6
	v_pack_b32_f16 v4, v4, v7
	;; [unrolled: 1-line block ×4, first 2 shown]
	v_lshlrev_b32_e32 v6, 4, v0
	buffer_store_dwordx4 v[2:5], v6, s[8:11], 0 offen
	;;#ASMSTART
	s_nop 0
	;;#ASMEND
	s_nop 0
	v_mov_b32_e32 v2, 0x2edbe6ff
.LBB537_18:
	s_or_b64 exec, exec, s[14:15]
	s_and_saveexec_b64 s[8:9], s[2:3]
	s_cbranch_execz .LBB537_20
; %bb.19:
	v_and_b32_e32 v3, 0x7fffffff, v10
	v_and_b32_e32 v4, 0x7fffffff, v11
	;;#ASMSTART
	v_max3_f32 v2, v2, v3, v4

	;;#ASMEND
	v_and_b32_e32 v3, 0x7fffffff, v16
	v_and_b32_e32 v4, 0x7fffffff, v17
	;;#ASMSTART
	v_max3_f32 v2, v2, v3, v4

	;;#ASMEND
	;; [unrolled: 6-line block ×4, first 2 shown]
.LBB537_20:
	s_or_b64 exec, exec, s[8:9]
	;;#ASMSTART
	v_max_f32 v3, v2, v2 quad_perm:[1,0,3,2] row_mask:0xf bank_mask:0xf bound_ctrl:1
	;;#ASMEND
	;;#ASMSTART
	v_max_f32 v2, v3, v3 quad_perm:[2,3,0,1] row_mask:0xf bank_mask:0xf bound_ctrl:1
	;;#ASMEND
	;;#ASMSTART
	v_max_f32 v3, v2, v2 row_half_mirror row_mask:0xf bank_mask:0xf bound_ctrl:1
	;;#ASMEND
	v_mul_f32_e32 v2, 0x3b124925, v3
	v_and_b32_e32 v3, 7, v0
	v_cmp_eq_u32_e32 vcc, 0, v3
	v_cmp_gt_i32_e64 s[8:9], s19, v1
	s_and_b64 s[10:11], vcc, s[8:9]
	s_and_saveexec_b64 s[8:9], s[10:11]
	s_cbranch_execz .LBB537_22
; %bb.21:
	s_load_dwordx2 s[10:11], s[4:5], 0x8
	s_waitcnt lgkmcnt(0)
	s_mul_hi_i32 s15, s25, s6
	s_mul_i32 s14, s25, s6
	v_lshrrev_b32_e32 v3, 3, v0
	s_lshl_b64 s[14:15], s[14:15], 2
	v_mad_i64_i32 v[4:5], s[26:27], s26, v3, 0
	s_add_u32 s10, s10, s14
	s_addc_u32 s11, s11, s15
	v_lshlrev_b64 v[4:5], 2, v[4:5]
	v_mov_b32_e32 v3, s11
	v_add_co_u32_e32 v4, vcc, s10, v4
	v_addc_co_u32_e32 v5, vcc, v3, v5, vcc
	global_store_dword v[4:5], v2, off
.LBB537_22:
	s_or_b64 exec, exec, s[8:9]
	;;#ASMSTART
	v_rcp_f32 v2, v2
	;;#ASMEND
	s_and_saveexec_b64 s[14:15], s[2:3]
	s_cbranch_execz .LBB537_24
; %bb.23:
	s_load_dwordx2 s[2:3], s[4:5], 0x0
	s_waitcnt lgkmcnt(0)
	s_mul_i32 s8, s24, s6
	s_mul_hi_i32 s9, s24, s6
	v_mov_b32_e32 v3, v2
	;;#ASMSTART
	v_pk_mul_f32 v[4:5], v[10:11], v[2:3]
	;;#ASMEND
	s_add_u32 s8, s2, s8
	s_addc_u32 s2, s3, s9
	s_add_i32 s3, s19, 3
	s_ashr_i32 s9, s3, 31
	v_mov_b32_e32 v8, 0xc3e00000
	v_mov_b32_e32 v9, 0x43e00000
	;;#ASMSTART
	v_med3_f32 v4, v4, v8, v9
v_med3_f32 v5, v5, v8, v9
v_cvt_pk_fp8_f32 v6, v4, v5
	;;#ASMEND
	s_lshr_b32 s9, s9, 30
	;;#ASMSTART
	v_pk_mul_f32 v[4:5], v[16:17], v[2:3]
	;;#ASMEND
	s_add_i32 s3, s3, s9
	s_and_b32 s9, s2, 0xffff
	;;#ASMSTART
	v_med3_f32 v4, v4, v8, v9
v_med3_f32 v5, v5, v8, v9
v_cvt_pk_fp8_f32 v7, v4, v5
	;;#ASMEND
	s_mov_b32 s2, 0x5040100
	v_perm_b32 v5, v7, v6, s2
	s_movk_i32 s2, 0xff
	v_and_b32_e32 v4, 0xffffff00, v7
	v_and_b32_sdwa v6, v5, s2 dst_sel:DWORD dst_unused:UNUSED_PAD src0_sel:WORD_1 src1_sel:DWORD
	s_mov_b32 s16, 0xffff
	v_or_b32_sdwa v4, v6, v4 dst_sel:WORD_1 dst_unused:UNUSED_PAD src0_sel:DWORD src1_sel:DWORD
	v_and_or_b32 v4, v5, s16, v4
	;;#ASMSTART
	v_pk_mul_f32 v[6:7], v[14:15], v[2:3]
	;;#ASMEND
	v_mov_b32_e32 v5, v7
	;;#ASMSTART
	v_med3_f32 v6, v6, v8, v9
v_med3_f32 v5, v5, v8, v9
v_cvt_pk_fp8_f32 v7, v6, v5
	;;#ASMEND
	;;#ASMSTART
	v_pk_mul_f32 v[2:3], v[12:13], v[2:3]
	;;#ASMEND
	;;#ASMSTART
	v_med3_f32 v2, v2, v8, v9
v_med3_f32 v3, v3, v8, v9
v_cvt_pk_fp8_f32 v5, v2, v3
	;;#ASMEND
	v_lshlrev_b32_e32 v2, 16, v5
	s_and_b32 s10, s3, -4
	s_mov_b32 s11, 0x20000
	v_and_or_b32 v5, v7, s16, v2
	buffer_store_dwordx2 v[4:5], v1, s[8:11], 0 offen
	;;#ASMSTART
	s_nop 0
	;;#ASMEND
.LBB537_24:
	s_or_b64 exec, exec, s[14:15]
	s_cmp_lt_i32 s20, 1
	s_cbranch_scc1 .LBB537_12
.LBB537_25:
	s_load_dword s2, s[4:5], 0x94
	s_waitcnt lgkmcnt(0)
	s_cmp_lg_u32 s2, 1
	s_cbranch_scc1 .LBB537_12
; %bb.26:
	s_lshl_b32 s2, s20, 1
	s_add_i32 s2, s2, 2
	v_cmp_gt_u32_e32 vcc, s20, v1
	s_and_b32 s14, s2, -4
	v_mov_b32_e32 v10, 0
	v_lshlrev_b32_e32 v1, 4, v0
	v_mov_b32_e32 v6, 0
	v_mov_b32_e32 v7, 0
	;; [unrolled: 1-line block ×4, first 2 shown]
	s_waitcnt vmcnt(0)
	v_mov_b32_e32 v2, 0
	v_mov_b32_e32 v3, 0
	;; [unrolled: 1-line block ×4, first 2 shown]
	s_barrier
	s_and_saveexec_b64 s[2:3], vcc
	s_cbranch_execz .LBB537_28
; %bb.27:
	s_mul_hi_i32 s5, s22, s6
	s_mul_i32 s4, s22, s6
	s_and_b32 s13, s13, 0xffff
	s_lshl_b64 s[4:5], s[4:5], 1
	s_add_u32 s8, s30, s4
	s_mov_b32 s15, 0x20000
	s_addc_u32 s4, s31, s5
	s_and_b32 s9, s4, 0xffff
	s_mov_b32 s10, s14
	s_mov_b32 s11, s15
	buffer_load_dwordx4 v[6:9], v1, s[8:11], 0 offen glc slc
	buffer_load_dwordx4 v[2:5], v1, s[12:15], 0 offen
.LBB537_28:
	s_or_b64 exec, exec, s[2:3]
	v_mov_b32_e32 v11, 0
	v_mov_b32_e32 v16, 0
	;; [unrolled: 1-line block ×7, first 2 shown]
	s_and_saveexec_b64 s[2:3], vcc
	s_cbranch_execz .LBB537_30
; %bb.29:
	s_waitcnt vmcnt(1)
	v_cvt_f32_f16_sdwa v11, v6 dst_sel:DWORD dst_unused:UNUSED_PAD src0_sel:WORD_1
	v_cvt_f32_f16_e32 v10, v6
	v_cvt_f32_f16_sdwa v17, v7 dst_sel:DWORD dst_unused:UNUSED_PAD src0_sel:WORD_1
	v_cvt_f32_f16_e32 v16, v7
	;; [unrolled: 2-line block ×4, first 2 shown]
.LBB537_30:
	s_or_b64 exec, exec, s[2:3]
	s_waitcnt vmcnt(1)
	v_mul_f32_e32 v6, v11, v11
	v_fmac_f32_e32 v6, v10, v10
	v_fmac_f32_e32 v6, v16, v16
	;; [unrolled: 1-line block ×7, first 2 shown]
	s_nop 1
	v_mov_b32_dpp v7, v6 quad_perm:[1,0,3,2] row_mask:0xf bank_mask:0xf
	v_add_f32_e32 v6, v6, v7
	s_nop 1
	v_mov_b32_dpp v7, v6 quad_perm:[2,3,0,1] row_mask:0xf bank_mask:0xf
	v_add_f32_e32 v6, v6, v7
	s_nop 1
	v_mov_b32_dpp v7, v6 row_half_mirror row_mask:0xf bank_mask:0xf
	v_add_f32_e32 v6, v6, v7
	s_nop 1
	v_mov_b32_dpp v7, v6 row_mirror row_mask:0xf bank_mask:0xf
	v_add_f32_e32 v6, v6, v7
	s_nop 1
	v_mov_b32_dpp v7, v6 row_bcast:15 row_mask:0xf bank_mask:0xf
	v_add_f32_e32 v6, v6, v7
	s_nop 1
	v_mov_b32_dpp v7, v6 row_bcast:31 row_mask:0xf bank_mask:0xf
	s_and_saveexec_b64 s[2:3], s[0:1]
	s_cbranch_execz .LBB537_32
; %bb.31:
	v_lshrrev_b32_e32 v0, 4, v0
	v_add_f32_e32 v6, v6, v7
	v_and_b32_e32 v0, 60, v0
	ds_write_b32 v0, v6
.LBB537_32:
	s_or_b64 exec, exec, s[2:3]
	s_waitcnt lgkmcnt(0)
	s_barrier
	ds_read_b32 v0, v18
	s_waitcnt lgkmcnt(0)
	s_nop 0
	v_mov_b32_dpp v6, v0 quad_perm:[1,0,3,2] row_mask:0xf bank_mask:0xf
	v_add_f32_e32 v0, v0, v6
	s_nop 1
	v_mov_b32_dpp v6, v0 quad_perm:[2,3,0,1] row_mask:0xf bank_mask:0xf
	s_and_saveexec_b64 s[0:1], vcc
	s_cbranch_execz .LBB537_12
; %bb.33:
	v_cvt_f32_u32_e32 v7, s20
	v_add_f32_e32 v0, v0, v6
	s_mov_b32 s15, 0x20000
	v_div_scale_f32 v6, s[0:1], v7, v7, v0
	v_rcp_f32_e32 v8, v6
	v_div_scale_f32 v9, vcc, v0, v7, v0
	s_mov_b32 s0, 0x800000
	v_fma_f32 v18, -v6, v8, 1.0
	v_fmac_f32_e32 v8, v18, v8
	v_mul_f32_e32 v18, v9, v8
	v_fma_f32 v19, -v6, v18, v9
	v_fmac_f32_e32 v18, v19, v8
	v_fma_f32 v6, -v6, v18, v9
	v_div_fmas_f32 v6, v6, v8, v18
	v_div_fixup_f32 v0, v6, v7, v0
	v_add_f32_e32 v0, s17, v0
	v_mul_f32_e32 v6, 0x4b800000, v0
	v_cmp_gt_f32_e32 vcc, s0, v0
	v_cndmask_b32_e32 v0, v0, v6, vcc
	v_rsq_f32_e32 v0, v0
	s_waitcnt vmcnt(0)
	v_cvt_f32_f16_sdwa v19, v3 dst_sel:DWORD dst_unused:UNUSED_PAD src0_sel:WORD_1
	v_cvt_f32_f16_e32 v18, v3
	s_mul_hi_i32 s1, s7, s6
	v_mul_f32_e32 v6, 0x45800000, v0
	v_cndmask_b32_e32 v6, v0, v6, vcc
	v_mov_b32_e32 v7, v6
	;;#ASMSTART
	v_pk_mul_f32 v[8:9], v[10:11], v[6:7]
	;;#ASMEND
	;;#ASMSTART
	v_pk_mul_f32 v[10:11], v[16:17], v[6:7]
	;;#ASMEND
	v_cvt_f32_f16_sdwa v17, v2 dst_sel:DWORD dst_unused:UNUSED_PAD src0_sel:WORD_1
	v_cvt_f32_f16_e32 v16, v2
	;;#ASMSTART
	v_pk_mul_f32 v[14:15], v[14:15], v[6:7]
	;;#ASMEND
	;;#ASMSTART
	v_pk_mul_f32 v[2:3], v[12:13], v[6:7]
	;;#ASMEND
	v_cvt_f32_f16_sdwa v13, v4 dst_sel:DWORD dst_unused:UNUSED_PAD src0_sel:WORD_1
	v_cvt_f32_f16_e32 v12, v4
	v_pk_add_f32 v[6:7], v[16:17], 1.0 op_sel_hi:[1,0]
	v_cvt_f32_f16_sdwa v17, v5 dst_sel:DWORD dst_unused:UNUSED_PAD src0_sel:WORD_1
	v_cvt_f32_f16_e32 v16, v5
	;;#ASMSTART
	v_pk_mul_f32 v[6:7], v[8:9], v[6:7]
	;;#ASMEND
	v_pk_add_f32 v[8:9], v[18:19], 1.0 op_sel_hi:[1,0]
	;;#ASMSTART
	v_pk_mul_f32 v[4:5], v[10:11], v[8:9]
	;;#ASMEND
	v_pk_add_f32 v[8:9], v[12:13], 1.0 op_sel_hi:[1,0]
	;;#ASMSTART
	v_pk_mul_f32 v[8:9], v[14:15], v[8:9]
	;;#ASMEND
	v_pk_add_f32 v[10:11], v[16:17], 1.0 op_sel_hi:[1,0]
	;;#ASMSTART
	v_pk_mul_f32 v[2:3], v[2:3], v[10:11]
	;;#ASMEND
	s_mul_i32 s0, s7, s6
	v_cvt_f16_f32_e32 v0, v6
	v_cvt_f16_f32_e32 v6, v7
	;; [unrolled: 1-line block ×8, first 2 shown]
	s_lshl_b64 s[0:1], s[0:1], 1
	s_add_u32 s12, s28, s0
	s_addc_u32 s0, s29, s1
	s_and_b32 s13, s0, 0xffff
	v_pack_b32_f16 v2, v0, v6
	v_pack_b32_f16 v3, v4, v5
	;; [unrolled: 1-line block ×4, first 2 shown]
	buffer_store_dwordx4 v[2:5], v1, s[12:15], 0 offen
	;;#ASMSTART
	s_nop 0
	;;#ASMEND
	s_endpgm
	.section	.rodata,"a",@progbits
	.p2align	6, 0x0
	.amdhsa_kernel _ZN5aiter35fused_qk_rmsnorm_group_quant_kernelIDF16_DB8_Li256ELi8ELi8ELb0ELb1ELb1ELb0ELb0ELb0EEEvPT0_PvPT_S6_S6_PKS5_S8_S8_S8_S8_ffiiiiiiiiiiiii
		.amdhsa_group_segment_fixed_size 32
		.amdhsa_private_segment_fixed_size 0
		.amdhsa_kernarg_size 400
		.amdhsa_user_sgpr_count 6
		.amdhsa_user_sgpr_private_segment_buffer 1
		.amdhsa_user_sgpr_dispatch_ptr 0
		.amdhsa_user_sgpr_queue_ptr 0
		.amdhsa_user_sgpr_kernarg_segment_ptr 1
		.amdhsa_user_sgpr_dispatch_id 0
		.amdhsa_user_sgpr_flat_scratch_init 0
		.amdhsa_user_sgpr_kernarg_preload_length 0
		.amdhsa_user_sgpr_kernarg_preload_offset 0
		.amdhsa_user_sgpr_private_segment_size 0
		.amdhsa_uses_dynamic_stack 0
		.amdhsa_system_sgpr_private_segment_wavefront_offset 0
		.amdhsa_system_sgpr_workgroup_id_x 1
		.amdhsa_system_sgpr_workgroup_id_y 1
		.amdhsa_system_sgpr_workgroup_id_z 0
		.amdhsa_system_sgpr_workgroup_info 0
		.amdhsa_system_vgpr_workitem_id 0
		.amdhsa_next_free_vgpr 23
		.amdhsa_next_free_sgpr 36
		.amdhsa_accum_offset 24
		.amdhsa_reserve_vcc 1
		.amdhsa_reserve_flat_scratch 0
		.amdhsa_float_round_mode_32 0
		.amdhsa_float_round_mode_16_64 0
		.amdhsa_float_denorm_mode_32 3
		.amdhsa_float_denorm_mode_16_64 3
		.amdhsa_dx10_clamp 1
		.amdhsa_ieee_mode 1
		.amdhsa_fp16_overflow 0
		.amdhsa_tg_split 0
		.amdhsa_exception_fp_ieee_invalid_op 0
		.amdhsa_exception_fp_denorm_src 0
		.amdhsa_exception_fp_ieee_div_zero 0
		.amdhsa_exception_fp_ieee_overflow 0
		.amdhsa_exception_fp_ieee_underflow 0
		.amdhsa_exception_fp_ieee_inexact 0
		.amdhsa_exception_int_div_zero 0
	.end_amdhsa_kernel
	.section	.text._ZN5aiter35fused_qk_rmsnorm_group_quant_kernelIDF16_DB8_Li256ELi8ELi8ELb0ELb1ELb1ELb0ELb0ELb0EEEvPT0_PvPT_S6_S6_PKS5_S8_S8_S8_S8_ffiiiiiiiiiiiii,"axG",@progbits,_ZN5aiter35fused_qk_rmsnorm_group_quant_kernelIDF16_DB8_Li256ELi8ELi8ELb0ELb1ELb1ELb0ELb0ELb0EEEvPT0_PvPT_S6_S6_PKS5_S8_S8_S8_S8_ffiiiiiiiiiiiii,comdat
.Lfunc_end537:
	.size	_ZN5aiter35fused_qk_rmsnorm_group_quant_kernelIDF16_DB8_Li256ELi8ELi8ELb0ELb1ELb1ELb0ELb0ELb0EEEvPT0_PvPT_S6_S6_PKS5_S8_S8_S8_S8_ffiiiiiiiiiiiii, .Lfunc_end537-_ZN5aiter35fused_qk_rmsnorm_group_quant_kernelIDF16_DB8_Li256ELi8ELi8ELb0ELb1ELb1ELb0ELb0ELb0EEEvPT0_PvPT_S6_S6_PKS5_S8_S8_S8_S8_ffiiiiiiiiiiiii
                                        ; -- End function
	.section	.AMDGPU.csdata,"",@progbits
; Kernel info:
; codeLenInByte = 2692
; NumSgprs: 40
; NumVgprs: 23
; NumAgprs: 0
; TotalNumVgprs: 23
; ScratchSize: 0
; MemoryBound: 0
; FloatMode: 240
; IeeeMode: 1
; LDSByteSize: 32 bytes/workgroup (compile time only)
; SGPRBlocks: 4
; VGPRBlocks: 2
; NumSGPRsForWavesPerEU: 40
; NumVGPRsForWavesPerEU: 23
; AccumOffset: 24
; Occupancy: 8
; WaveLimiterHint : 0
; COMPUTE_PGM_RSRC2:SCRATCH_EN: 0
; COMPUTE_PGM_RSRC2:USER_SGPR: 6
; COMPUTE_PGM_RSRC2:TRAP_HANDLER: 0
; COMPUTE_PGM_RSRC2:TGID_X_EN: 1
; COMPUTE_PGM_RSRC2:TGID_Y_EN: 1
; COMPUTE_PGM_RSRC2:TGID_Z_EN: 0
; COMPUTE_PGM_RSRC2:TIDIG_COMP_CNT: 0
; COMPUTE_PGM_RSRC3_GFX90A:ACCUM_OFFSET: 5
; COMPUTE_PGM_RSRC3_GFX90A:TG_SPLIT: 0
	.section	.text._ZN5aiter35fused_qk_rmsnorm_group_quant_kernelItDB8_Li256ELi8ELi8ELb0ELb1ELb1ELb0ELb0ELb0EEEvPT0_PvPT_S6_S6_PKS5_S8_S8_S8_S8_ffiiiiiiiiiiiii,"axG",@progbits,_ZN5aiter35fused_qk_rmsnorm_group_quant_kernelItDB8_Li256ELi8ELi8ELb0ELb1ELb1ELb0ELb0ELb0EEEvPT0_PvPT_S6_S6_PKS5_S8_S8_S8_S8_ffiiiiiiiiiiiii,comdat
	.protected	_ZN5aiter35fused_qk_rmsnorm_group_quant_kernelItDB8_Li256ELi8ELi8ELb0ELb1ELb1ELb0ELb0ELb0EEEvPT0_PvPT_S6_S6_PKS5_S8_S8_S8_S8_ffiiiiiiiiiiiii ; -- Begin function _ZN5aiter35fused_qk_rmsnorm_group_quant_kernelItDB8_Li256ELi8ELi8ELb0ELb1ELb1ELb0ELb0ELb0EEEvPT0_PvPT_S6_S6_PKS5_S8_S8_S8_S8_ffiiiiiiiiiiiii
	.globl	_ZN5aiter35fused_qk_rmsnorm_group_quant_kernelItDB8_Li256ELi8ELi8ELb0ELb1ELb1ELb0ELb0ELb0EEEvPT0_PvPT_S6_S6_PKS5_S8_S8_S8_S8_ffiiiiiiiiiiiii
	.p2align	8
	.type	_ZN5aiter35fused_qk_rmsnorm_group_quant_kernelItDB8_Li256ELi8ELi8ELb0ELb1ELb1ELb0ELb0ELb0EEEvPT0_PvPT_S6_S6_PKS5_S8_S8_S8_S8_ffiiiiiiiiiiiii,@function
_ZN5aiter35fused_qk_rmsnorm_group_quant_kernelItDB8_Li256ELi8ELi8ELb0ELb1ELb1ELb0ELb0ELb0EEEvPT0_PvPT_S6_S6_PKS5_S8_S8_S8_S8_ffiiiiiiiiiiiii: ; @_ZN5aiter35fused_qk_rmsnorm_group_quant_kernelItDB8_Li256ELi8ELi8ELb0ELb1ELb1ELb0ELb0ELb0EEEvPT0_PvPT_S6_S6_PKS5_S8_S8_S8_S8_ffiiiiiiiiiiiii
; %bb.0:
	s_load_dwordx4 s[16:19], s[4:5], 0x50
	s_waitcnt lgkmcnt(0)
	s_cmp_ge_i32 s6, s18
	s_cbranch_scc1 .LBB538_10
; %bb.1:
	s_load_dwordx2 s[12:13], s[4:5], 0x48
	s_load_dwordx2 s[30:31], s[4:5], 0x30
	s_load_dwordx4 s[20:23], s[4:5], 0x60
	s_cmp_lg_u32 s7, 0
	s_cselect_b64 s[14:15], -1, 0
	s_cmp_eq_u32 s7, 0
	s_cselect_b64 vcc, -1, 0
	s_and_b64 s[0:1], vcc, exec
	s_waitcnt lgkmcnt(0)
	s_cselect_b32 s7, s19, s20
	s_add_i32 s0, s7, 1
	s_lshr_b32 s1, s0, 31
	s_add_i32 s0, s0, s1
	s_lshl_b32 s0, s0, 1
	v_lshlrev_b32_e32 v1, 3, v0
	s_and_b32 s10, s0, -4
	v_cmp_gt_i32_e64 s[2:3], s7, v1
	v_mov_b32_e32 v2, 0
	v_mov_b32_e32 v3, 0
	;; [unrolled: 1-line block ×8, first 2 shown]
	s_and_saveexec_b64 s[0:1], s[2:3]
	s_cbranch_execz .LBB538_3
; %bb.2:
	s_load_dwordx2 s[8:9], s[4:5], 0x28
	s_load_dwordx2 s[26:27], s[4:5], 0x40
	s_and_b64 s[24:25], vcc, exec
	s_cselect_b32 s11, s21, s22
	v_lshlrev_b32_e32 v10, 4, v0
	s_waitcnt lgkmcnt(0)
	s_cselect_b32 s18, s9, s31
	s_cselect_b32 s21, s8, s30
	s_mul_hi_i32 s9, s11, s6
	s_mul_i32 s8, s11, s6
	s_lshl_b64 s[8:9], s[8:9], 1
	s_add_u32 s24, s21, s8
	s_addc_u32 s18, s18, s9
	s_and_b64 s[8:9], vcc, exec
	s_mov_b32 s11, 0x20000
	s_cselect_b32 s8, s26, s12
	s_cselect_b32 s9, s27, s13
	s_and_b32 s25, s18, 0xffff
	s_mov_b32 s26, s10
	s_mov_b32 s27, s11
	s_and_b32 s9, s9, 0xffff
	buffer_load_dwordx4 v[6:9], v10, s[24:27], 0 offen glc slc
	buffer_load_dwordx4 v[2:5], v10, s[8:11], 0 offen
.LBB538_3:
	s_or_b64 exec, exec, s[0:1]
	s_waitcnt vmcnt(1)
	v_cvt_f32_u32_sdwa v13, v6 dst_sel:DWORD dst_unused:UNUSED_PAD src0_sel:WORD_1
	v_cvt_f32_u32_sdwa v12, v6 dst_sel:DWORD dst_unused:UNUSED_PAD src0_sel:WORD_0
	v_cvt_f32_u32_sdwa v6, v9 dst_sel:DWORD dst_unused:UNUSED_PAD src0_sel:WORD_1
	v_cvt_f32_u32_sdwa v9, v9 dst_sel:DWORD dst_unused:UNUSED_PAD src0_sel:WORD_0
	;; [unrolled: 2-line block ×4, first 2 shown]
	v_cndmask_b32_e64 v13, 0, v13, s[2:3]
	v_cndmask_b32_e64 v7, 0, v6, s[2:3]
	;; [unrolled: 1-line block ×5, first 2 shown]
	v_mul_f32_e32 v14, v13, v13
	v_cndmask_b32_e64 v10, 0, v10, s[2:3]
	v_fmac_f32_e32 v14, v12, v12
	v_cndmask_b32_e64 v11, 0, v11, s[2:3]
	v_fmac_f32_e32 v14, v10, v10
	;; [unrolled: 2-line block ×3, first 2 shown]
	v_fmac_f32_e32 v14, v8, v8
	v_fmac_f32_e32 v14, v9, v9
	;; [unrolled: 1-line block ×4, first 2 shown]
	v_and_b32_e32 v16, 63, v0
	v_cmp_eq_u32_e64 s[0:1], 63, v16
	v_mov_b32_dpp v15, v14 quad_perm:[1,0,3,2] row_mask:0xf bank_mask:0xf
	v_add_f32_e32 v14, v14, v15
	s_nop 1
	v_mov_b32_dpp v15, v14 quad_perm:[2,3,0,1] row_mask:0xf bank_mask:0xf
	v_add_f32_e32 v14, v14, v15
	s_nop 1
	v_mov_b32_dpp v15, v14 row_half_mirror row_mask:0xf bank_mask:0xf
	v_add_f32_e32 v14, v14, v15
	s_nop 1
	v_mov_b32_dpp v15, v14 row_mirror row_mask:0xf bank_mask:0xf
	v_add_f32_e32 v14, v14, v15
	s_nop 1
	v_mov_b32_dpp v15, v14 row_bcast:15 row_mask:0xf bank_mask:0xf
	v_add_f32_e32 v14, v14, v15
	s_nop 1
	v_mov_b32_dpp v15, v14 row_bcast:31 row_mask:0xf bank_mask:0xf
	s_and_saveexec_b64 s[8:9], s[0:1]
	s_cbranch_execz .LBB538_5
; %bb.4:
	v_add_f32_e32 v14, v14, v15
	v_lshrrev_b32_e32 v15, 4, v0
	v_and_b32_e32 v15, 60, v15
	ds_write_b32 v15, v14 offset:16
.LBB538_5:
	s_or_b64 exec, exec, s[8:9]
	v_and_b32_e32 v14, 3, v0
	v_lshlrev_b32_e32 v14, 2, v14
	s_waitcnt lgkmcnt(0)
	s_barrier
	ds_read_b32 v15, v14 offset:16
	s_load_dwordx2 s[28:29], s[4:5], 0x18
	s_waitcnt lgkmcnt(0)
	v_mov_b32_dpp v16, v15 quad_perm:[1,0,3,2] row_mask:0xf bank_mask:0xf
	v_add_f32_e32 v15, v15, v16
	s_nop 1
	v_mov_b32_dpp v16, v15 quad_perm:[2,3,0,1] row_mask:0xf bank_mask:0xf
	s_and_saveexec_b64 s[8:9], s[2:3]
	s_cbranch_execz .LBB538_7
; %bb.6:
	v_cvt_f32_u32_e32 v17, s7
	v_add_f32_e32 v15, v15, v16
	v_mov_b32_e32 v19, s17
	v_mov_b32_e32 v20, s16
	v_div_scale_f32 v16, s[24:25], v17, v17, v15
	v_rcp_f32_e32 v18, v16
	v_cndmask_b32_e32 v19, v19, v20, vcc
	s_mov_b32 s7, 0x800000
	v_fma_f32 v20, -v16, v18, 1.0
	v_fmac_f32_e32 v18, v20, v18
	v_div_scale_f32 v20, vcc, v15, v17, v15
	v_mul_f32_e32 v21, v20, v18
	v_fma_f32 v22, -v16, v21, v20
	v_fmac_f32_e32 v21, v22, v18
	v_fma_f32 v16, -v16, v21, v20
	v_div_fmas_f32 v16, v16, v18, v21
	v_div_fixup_f32 v15, v16, v17, v15
	v_add_f32_e32 v15, v19, v15
	v_mul_f32_e32 v16, 0x4b800000, v15
	v_cmp_gt_f32_e32 vcc, s7, v15
	v_cndmask_b32_e32 v15, v15, v16, vcc
	v_rsq_f32_e32 v15, v15
	s_waitcnt vmcnt(0)
	v_cvt_f32_u32_sdwa v19, v2 dst_sel:DWORD dst_unused:UNUSED_PAD src0_sel:WORD_1
	v_cvt_f32_u32_sdwa v18, v2 dst_sel:DWORD dst_unused:UNUSED_PAD src0_sel:WORD_0
	v_cvt_f32_u32_sdwa v21, v3 dst_sel:DWORD dst_unused:UNUSED_PAD src0_sel:WORD_1
	v_mul_f32_e32 v16, 0x45800000, v15
	v_cndmask_b32_e32 v16, v15, v16, vcc
	v_mov_b32_e32 v17, v16
	;;#ASMSTART
	v_pk_mul_f32 v[12:13], v[12:13], v[16:17]
	;;#ASMEND
	;;#ASMSTART
	v_pk_mul_f32 v[10:11], v[10:11], v[16:17]
	;;#ASMEND
	;; [unrolled: 3-line block ×3, first 2 shown]
	v_cvt_f32_u32_sdwa v20, v3 dst_sel:DWORD dst_unused:UNUSED_PAD src0_sel:WORD_0
	;;#ASMSTART
	v_pk_mul_f32 v[2:3], v[6:7], v[16:17]
	;;#ASMEND
	v_cvt_f32_u32_sdwa v17, v4 dst_sel:DWORD dst_unused:UNUSED_PAD src0_sel:WORD_1
	v_cvt_f32_u32_sdwa v16, v4 dst_sel:DWORD dst_unused:UNUSED_PAD src0_sel:WORD_0
	v_pk_add_f32 v[6:7], v[18:19], 1.0 op_sel_hi:[1,0]
	v_cvt_f32_u32_sdwa v19, v5 dst_sel:DWORD dst_unused:UNUSED_PAD src0_sel:WORD_1
	v_cvt_f32_u32_sdwa v18, v5 dst_sel:DWORD dst_unused:UNUSED_PAD src0_sel:WORD_0
	;;#ASMSTART
	v_pk_mul_f32 v[12:13], v[12:13], v[6:7]
	;;#ASMEND
	v_pk_add_f32 v[6:7], v[20:21], 1.0 op_sel_hi:[1,0]
	v_pk_add_f32 v[4:5], v[16:17], 1.0 op_sel_hi:[1,0]
	;;#ASMSTART
	v_pk_mul_f32 v[10:11], v[10:11], v[6:7]
	;;#ASMEND
	;;#ASMSTART
	v_pk_mul_f32 v[8:9], v[8:9], v[4:5]
	;;#ASMEND
	v_pk_add_f32 v[4:5], v[18:19], 1.0 op_sel_hi:[1,0]
	;;#ASMSTART
	v_pk_mul_f32 v[6:7], v[2:3], v[4:5]
	;;#ASMEND
.LBB538_7:
	s_or_b64 exec, exec, s[8:9]
	s_load_dword s7, s[4:5], 0x80
	s_mov_b64 s[8:9], -1
	s_and_b64 vcc, exec, s[14:15]
	s_cbranch_vccnz .LBB538_11
; %bb.8:
	s_andn2_b64 vcc, exec, s[8:9]
	s_cbranch_vccz .LBB538_14
.LBB538_9:
	s_cmp_lt_i32 s20, 1
	s_cbranch_scc0 .LBB538_23
.LBB538_10:
	s_endpgm
.LBB538_11:
	s_and_saveexec_b64 s[14:15], s[2:3]
	s_cbranch_execz .LBB538_13
; %bb.12:
	s_waitcnt lgkmcnt(0)
	s_mul_hi_i32 s9, s7, s6
	s_mul_i32 s8, s7, s6
	s_lshl_b64 s[8:9], s[8:9], 1
	s_add_u32 s8, s28, s8
	s_addc_u32 s9, s29, s9
	s_mov_b32 s16, 0x7060302
	s_and_b32 s9, s9, 0xffff
	s_mov_b32 s11, 0x20000
	s_waitcnt vmcnt(0)
	v_perm_b32 v2, v13, v12, s16
	v_perm_b32 v3, v11, v10, s16
	;; [unrolled: 1-line block ×4, first 2 shown]
	v_lshlrev_b32_e32 v15, 4, v0
	buffer_store_dwordx4 v[2:5], v15, s[8:11], 0 offen
	;;#ASMSTART
	s_nop 0
	;;#ASMEND
.LBB538_13:
	s_or_b64 exec, exec, s[14:15]
	s_cbranch_execnz .LBB538_9
.LBB538_14:
	s_load_dwordx4 s[24:27], s[4:5], 0x70
	s_waitcnt vmcnt(0)
	v_mov_b32_e32 v2, 0
	s_and_saveexec_b64 s[14:15], s[2:3]
	s_cbranch_execz .LBB538_16
; %bb.15:
	s_load_dwordx2 s[8:9], s[4:5], 0x10
	s_waitcnt lgkmcnt(0)
	s_mul_hi_i32 s35, s27, s6
	s_mul_i32 s34, s27, s6
	s_lshl_b64 s[34:35], s[34:35], 1
	s_mov_b32 s16, 0x7060302
	s_add_u32 s8, s8, s34
	s_addc_u32 s9, s9, s35
	s_mov_b32 s11, 0x20000
	s_and_b32 s9, s9, 0xffff
	v_perm_b32 v2, v13, v12, s16
	v_perm_b32 v3, v11, v10, s16
	;; [unrolled: 1-line block ×4, first 2 shown]
	v_lshlrev_b32_e32 v15, 4, v0
	buffer_store_dwordx4 v[2:5], v15, s[8:11], 0 offen
	;;#ASMSTART
	s_nop 0
	;;#ASMEND
	s_nop 0
	v_mov_b32_e32 v2, 0x2edbe6ff
.LBB538_16:
	s_or_b64 exec, exec, s[14:15]
	s_and_saveexec_b64 s[8:9], s[2:3]
	s_cbranch_execz .LBB538_18
; %bb.17:
	v_and_b32_e32 v3, 0x7fffffff, v12
	v_and_b32_e32 v4, 0x7fffffff, v13
	;;#ASMSTART
	v_max3_f32 v2, v2, v3, v4

	;;#ASMEND
	v_and_b32_e32 v3, 0x7fffffff, v10
	v_and_b32_e32 v4, 0x7fffffff, v11
	;;#ASMSTART
	v_max3_f32 v2, v2, v3, v4

	;;#ASMEND
	;; [unrolled: 6-line block ×4, first 2 shown]
.LBB538_18:
	s_or_b64 exec, exec, s[8:9]
	;;#ASMSTART
	v_max_f32 v3, v2, v2 quad_perm:[1,0,3,2] row_mask:0xf bank_mask:0xf bound_ctrl:1
	;;#ASMEND
	;;#ASMSTART
	v_max_f32 v2, v3, v3 quad_perm:[2,3,0,1] row_mask:0xf bank_mask:0xf bound_ctrl:1
	;;#ASMEND
	;;#ASMSTART
	v_max_f32 v3, v2, v2 row_half_mirror row_mask:0xf bank_mask:0xf bound_ctrl:1
	;;#ASMEND
	v_mul_f32_e32 v2, 0x3b124925, v3
	v_and_b32_e32 v3, 7, v0
	v_cmp_eq_u32_e32 vcc, 0, v3
	v_cmp_gt_i32_e64 s[8:9], s19, v1
	s_and_b64 s[10:11], vcc, s[8:9]
	s_and_saveexec_b64 s[8:9], s[10:11]
	s_cbranch_execz .LBB538_20
; %bb.19:
	s_load_dwordx2 s[10:11], s[4:5], 0x8
	s_waitcnt lgkmcnt(0)
	s_mul_hi_i32 s15, s25, s6
	s_mul_i32 s14, s25, s6
	v_lshrrev_b32_e32 v3, 3, v0
	s_lshl_b64 s[14:15], s[14:15], 2
	v_mad_i64_i32 v[4:5], s[26:27], s26, v3, 0
	s_add_u32 s10, s10, s14
	s_addc_u32 s11, s11, s15
	v_lshlrev_b64 v[4:5], 2, v[4:5]
	v_mov_b32_e32 v3, s11
	v_add_co_u32_e32 v4, vcc, s10, v4
	v_addc_co_u32_e32 v5, vcc, v3, v5, vcc
	global_store_dword v[4:5], v2, off
.LBB538_20:
	s_or_b64 exec, exec, s[8:9]
	;;#ASMSTART
	v_rcp_f32 v2, v2
	;;#ASMEND
	s_and_saveexec_b64 s[14:15], s[2:3]
	s_cbranch_execz .LBB538_22
; %bb.21:
	s_load_dwordx2 s[2:3], s[4:5], 0x0
	s_waitcnt lgkmcnt(0)
	s_mul_i32 s8, s24, s6
	s_mul_hi_i32 s9, s24, s6
	v_mov_b32_e32 v3, v2
	;;#ASMSTART
	v_pk_mul_f32 v[4:5], v[12:13], v[2:3]
	;;#ASMEND
	s_add_u32 s8, s2, s8
	s_addc_u32 s2, s3, s9
	s_add_i32 s3, s19, 3
	s_ashr_i32 s9, s3, 31
	v_mov_b32_e32 v12, 0xc3e00000
	v_mov_b32_e32 v13, 0x43e00000
	;;#ASMSTART
	v_med3_f32 v4, v4, v12, v13
v_med3_f32 v5, v5, v12, v13
v_cvt_pk_fp8_f32 v15, v4, v5
	;;#ASMEND
	s_lshr_b32 s9, s9, 30
	;;#ASMSTART
	v_pk_mul_f32 v[4:5], v[10:11], v[2:3]
	;;#ASMEND
	s_add_i32 s3, s3, s9
	s_and_b32 s9, s2, 0xffff
	;;#ASMSTART
	v_med3_f32 v4, v4, v12, v13
v_med3_f32 v5, v5, v12, v13
v_cvt_pk_fp8_f32 v10, v4, v5
	;;#ASMEND
	s_mov_b32 s2, 0x5040100
	v_perm_b32 v5, v10, v15, s2
	s_movk_i32 s2, 0xff
	v_and_b32_e32 v4, 0xffffff00, v10
	v_and_b32_sdwa v10, v5, s2 dst_sel:DWORD dst_unused:UNUSED_PAD src0_sel:WORD_1 src1_sel:DWORD
	s_mov_b32 s16, 0xffff
	v_or_b32_sdwa v4, v10, v4 dst_sel:WORD_1 dst_unused:UNUSED_PAD src0_sel:DWORD src1_sel:DWORD
	v_and_or_b32 v4, v5, s16, v4
	;;#ASMSTART
	v_pk_mul_f32 v[8:9], v[8:9], v[2:3]
	;;#ASMEND
	v_mov_b32_e32 v5, v8
	;;#ASMSTART
	v_med3_f32 v5, v5, v12, v13
v_med3_f32 v9, v9, v12, v13
v_cvt_pk_fp8_f32 v8, v5, v9
	;;#ASMEND
	;;#ASMSTART
	v_pk_mul_f32 v[2:3], v[6:7], v[2:3]
	;;#ASMEND
	;;#ASMSTART
	v_med3_f32 v2, v2, v12, v13
v_med3_f32 v3, v3, v12, v13
v_cvt_pk_fp8_f32 v5, v2, v3
	;;#ASMEND
	v_lshlrev_b32_e32 v2, 16, v5
	s_and_b32 s10, s3, -4
	s_mov_b32 s11, 0x20000
	v_and_or_b32 v5, v8, s16, v2
	buffer_store_dwordx2 v[4:5], v1, s[8:11], 0 offen
	;;#ASMSTART
	s_nop 0
	;;#ASMEND
.LBB538_22:
	s_or_b64 exec, exec, s[14:15]
	s_cmp_lt_i32 s20, 1
	s_cbranch_scc1 .LBB538_10
.LBB538_23:
	s_load_dword s2, s[4:5], 0x94
	s_waitcnt lgkmcnt(0)
	s_cmp_lg_u32 s2, 1
	s_cbranch_scc1 .LBB538_10
; %bb.24:
	s_lshl_b32 s2, s20, 1
	s_add_i32 s2, s2, 2
	v_cmp_gt_u32_e32 vcc, s20, v1
	s_and_b32 s14, s2, -4
	v_mov_b32_e32 v6, 0
	v_lshlrev_b32_e32 v1, 4, v0
	v_mov_b32_e32 v7, 0
	v_mov_b32_e32 v8, 0
	;; [unrolled: 1-line block ×3, first 2 shown]
	s_waitcnt vmcnt(0)
	v_mov_b32_e32 v2, 0
	v_mov_b32_e32 v3, 0
	;; [unrolled: 1-line block ×4, first 2 shown]
	s_barrier
	s_and_saveexec_b64 s[2:3], vcc
	s_cbranch_execz .LBB538_26
; %bb.25:
	s_mul_hi_i32 s5, s22, s6
	s_mul_i32 s4, s22, s6
	s_and_b32 s13, s13, 0xffff
	s_lshl_b64 s[4:5], s[4:5], 1
	s_add_u32 s8, s30, s4
	s_mov_b32 s15, 0x20000
	s_addc_u32 s4, s31, s5
	s_and_b32 s9, s4, 0xffff
	s_mov_b32 s10, s14
	s_mov_b32 s11, s15
	buffer_load_dwordx4 v[6:9], v1, s[8:11], 0 offen glc slc
	buffer_load_dwordx4 v[2:5], v1, s[12:15], 0 offen
.LBB538_26:
	s_or_b64 exec, exec, s[2:3]
	s_waitcnt vmcnt(1)
	v_cvt_f32_u32_sdwa v13, v6 dst_sel:DWORD dst_unused:UNUSED_PAD src0_sel:WORD_1
	v_cvt_f32_u32_sdwa v12, v6 dst_sel:DWORD dst_unused:UNUSED_PAD src0_sel:WORD_0
	v_cvt_f32_u32_sdwa v6, v9 dst_sel:DWORD dst_unused:UNUSED_PAD src0_sel:WORD_1
	v_cvt_f32_u32_sdwa v9, v9 dst_sel:DWORD dst_unused:UNUSED_PAD src0_sel:WORD_0
	;; [unrolled: 2-line block ×4, first 2 shown]
	v_cndmask_b32_e32 v13, 0, v13, vcc
	v_cndmask_b32_e32 v7, 0, v6, vcc
	;; [unrolled: 1-line block ×5, first 2 shown]
	v_mul_f32_e32 v15, v13, v13
	v_cndmask_b32_e32 v10, 0, v10, vcc
	v_fmac_f32_e32 v15, v12, v12
	v_cndmask_b32_e32 v11, 0, v11, vcc
	v_fmac_f32_e32 v15, v10, v10
	;; [unrolled: 2-line block ×3, first 2 shown]
	v_fmac_f32_e32 v15, v8, v8
	v_fmac_f32_e32 v15, v9, v9
	;; [unrolled: 1-line block ×4, first 2 shown]
	s_nop 1
	v_mov_b32_dpp v16, v15 quad_perm:[1,0,3,2] row_mask:0xf bank_mask:0xf
	v_add_f32_e32 v15, v15, v16
	s_nop 1
	v_mov_b32_dpp v16, v15 quad_perm:[2,3,0,1] row_mask:0xf bank_mask:0xf
	v_add_f32_e32 v15, v15, v16
	s_nop 1
	v_mov_b32_dpp v16, v15 row_half_mirror row_mask:0xf bank_mask:0xf
	v_add_f32_e32 v15, v15, v16
	s_nop 1
	v_mov_b32_dpp v16, v15 row_mirror row_mask:0xf bank_mask:0xf
	v_add_f32_e32 v15, v15, v16
	s_nop 1
	v_mov_b32_dpp v16, v15 row_bcast:15 row_mask:0xf bank_mask:0xf
	v_add_f32_e32 v15, v15, v16
	s_nop 1
	v_mov_b32_dpp v16, v15 row_bcast:31 row_mask:0xf bank_mask:0xf
	s_and_saveexec_b64 s[2:3], s[0:1]
	s_cbranch_execz .LBB538_28
; %bb.27:
	v_lshrrev_b32_e32 v0, 4, v0
	v_add_f32_e32 v15, v15, v16
	v_and_b32_e32 v0, 60, v0
	ds_write_b32 v0, v15
.LBB538_28:
	s_or_b64 exec, exec, s[2:3]
	s_waitcnt lgkmcnt(0)
	s_barrier
	ds_read_b32 v0, v14
	s_waitcnt lgkmcnt(0)
	s_nop 0
	v_mov_b32_dpp v14, v0 quad_perm:[1,0,3,2] row_mask:0xf bank_mask:0xf
	v_add_f32_e32 v0, v0, v14
	s_nop 1
	v_mov_b32_dpp v14, v0 quad_perm:[2,3,0,1] row_mask:0xf bank_mask:0xf
	s_and_saveexec_b64 s[0:1], vcc
	s_cbranch_execz .LBB538_10
; %bb.29:
	v_cvt_f32_u32_e32 v15, s20
	v_add_f32_e32 v0, v0, v14
	s_mov_b32 s15, 0x20000
	v_div_scale_f32 v14, s[0:1], v15, v15, v0
	v_rcp_f32_e32 v16, v14
	v_div_scale_f32 v17, vcc, v0, v15, v0
	s_mov_b32 s0, 0x800000
	v_fma_f32 v18, -v14, v16, 1.0
	v_fmac_f32_e32 v16, v18, v16
	v_mul_f32_e32 v18, v17, v16
	v_fma_f32 v19, -v14, v18, v17
	v_fmac_f32_e32 v18, v19, v16
	v_fma_f32 v14, -v14, v18, v17
	v_div_fmas_f32 v14, v14, v16, v18
	v_div_fixup_f32 v0, v14, v15, v0
	v_add_f32_e32 v0, s17, v0
	v_mul_f32_e32 v14, 0x4b800000, v0
	v_cmp_gt_f32_e32 vcc, s0, v0
	v_cndmask_b32_e32 v0, v0, v14, vcc
	v_rsq_f32_e32 v0, v0
	s_waitcnt vmcnt(0)
	v_cvt_f32_u32_sdwa v17, v2 dst_sel:DWORD dst_unused:UNUSED_PAD src0_sel:WORD_1
	v_cvt_f32_u32_sdwa v16, v2 dst_sel:DWORD dst_unused:UNUSED_PAD src0_sel:WORD_0
	v_cvt_f32_u32_sdwa v19, v3 dst_sel:DWORD dst_unused:UNUSED_PAD src0_sel:WORD_1
	v_mul_f32_e32 v14, 0x45800000, v0
	v_cndmask_b32_e32 v14, v0, v14, vcc
	v_mov_b32_e32 v15, v14
	;;#ASMSTART
	v_pk_mul_f32 v[12:13], v[12:13], v[14:15]
	;;#ASMEND
	;;#ASMSTART
	v_pk_mul_f32 v[10:11], v[10:11], v[14:15]
	;;#ASMEND
	;; [unrolled: 3-line block ×3, first 2 shown]
	v_cvt_f32_u32_sdwa v18, v3 dst_sel:DWORD dst_unused:UNUSED_PAD src0_sel:WORD_0
	;;#ASMSTART
	v_pk_mul_f32 v[2:3], v[6:7], v[14:15]
	;;#ASMEND
	v_cvt_f32_u32_sdwa v15, v4 dst_sel:DWORD dst_unused:UNUSED_PAD src0_sel:WORD_1
	v_cvt_f32_u32_sdwa v14, v4 dst_sel:DWORD dst_unused:UNUSED_PAD src0_sel:WORD_0
	v_pk_add_f32 v[6:7], v[16:17], 1.0 op_sel_hi:[1,0]
	v_cvt_f32_u32_sdwa v17, v5 dst_sel:DWORD dst_unused:UNUSED_PAD src0_sel:WORD_1
	v_cvt_f32_u32_sdwa v16, v5 dst_sel:DWORD dst_unused:UNUSED_PAD src0_sel:WORD_0
	s_mul_hi_i32 s1, s7, s6
	s_mul_i32 s0, s7, s6
	s_lshl_b64 s[0:1], s[0:1], 1
	s_add_u32 s12, s28, s0
	;;#ASMSTART
	v_pk_mul_f32 v[6:7], v[12:13], v[6:7]
	;;#ASMEND
	v_pk_add_f32 v[12:13], v[18:19], 1.0 op_sel_hi:[1,0]
	;;#ASMSTART
	v_pk_mul_f32 v[4:5], v[10:11], v[12:13]
	;;#ASMEND
	v_pk_add_f32 v[10:11], v[14:15], 1.0 op_sel_hi:[1,0]
	s_addc_u32 s0, s29, s1
	;;#ASMSTART
	v_pk_mul_f32 v[8:9], v[8:9], v[10:11]
	;;#ASMEND
	v_pk_add_f32 v[10:11], v[16:17], 1.0 op_sel_hi:[1,0]
	s_and_b32 s13, s0, 0xffff
	s_mov_b32 s0, 0x7060302
	;;#ASMSTART
	v_pk_mul_f32 v[10:11], v[2:3], v[10:11]
	;;#ASMEND
	v_perm_b32 v2, v7, v6, s0
	v_perm_b32 v3, v5, v4, s0
	;; [unrolled: 1-line block ×4, first 2 shown]
	buffer_store_dwordx4 v[2:5], v1, s[12:15], 0 offen
	;;#ASMSTART
	s_nop 0
	;;#ASMEND
	s_endpgm
	.section	.rodata,"a",@progbits
	.p2align	6, 0x0
	.amdhsa_kernel _ZN5aiter35fused_qk_rmsnorm_group_quant_kernelItDB8_Li256ELi8ELi8ELb0ELb1ELb1ELb0ELb0ELb0EEEvPT0_PvPT_S6_S6_PKS5_S8_S8_S8_S8_ffiiiiiiiiiiiii
		.amdhsa_group_segment_fixed_size 32
		.amdhsa_private_segment_fixed_size 0
		.amdhsa_kernarg_size 400
		.amdhsa_user_sgpr_count 6
		.amdhsa_user_sgpr_private_segment_buffer 1
		.amdhsa_user_sgpr_dispatch_ptr 0
		.amdhsa_user_sgpr_queue_ptr 0
		.amdhsa_user_sgpr_kernarg_segment_ptr 1
		.amdhsa_user_sgpr_dispatch_id 0
		.amdhsa_user_sgpr_flat_scratch_init 0
		.amdhsa_user_sgpr_kernarg_preload_length 0
		.amdhsa_user_sgpr_kernarg_preload_offset 0
		.amdhsa_user_sgpr_private_segment_size 0
		.amdhsa_uses_dynamic_stack 0
		.amdhsa_system_sgpr_private_segment_wavefront_offset 0
		.amdhsa_system_sgpr_workgroup_id_x 1
		.amdhsa_system_sgpr_workgroup_id_y 1
		.amdhsa_system_sgpr_workgroup_id_z 0
		.amdhsa_system_sgpr_workgroup_info 0
		.amdhsa_system_vgpr_workitem_id 0
		.amdhsa_next_free_vgpr 23
		.amdhsa_next_free_sgpr 36
		.amdhsa_accum_offset 24
		.amdhsa_reserve_vcc 1
		.amdhsa_reserve_flat_scratch 0
		.amdhsa_float_round_mode_32 0
		.amdhsa_float_round_mode_16_64 0
		.amdhsa_float_denorm_mode_32 3
		.amdhsa_float_denorm_mode_16_64 3
		.amdhsa_dx10_clamp 1
		.amdhsa_ieee_mode 1
		.amdhsa_fp16_overflow 0
		.amdhsa_tg_split 0
		.amdhsa_exception_fp_ieee_invalid_op 0
		.amdhsa_exception_fp_denorm_src 0
		.amdhsa_exception_fp_ieee_div_zero 0
		.amdhsa_exception_fp_ieee_overflow 0
		.amdhsa_exception_fp_ieee_underflow 0
		.amdhsa_exception_fp_ieee_inexact 0
		.amdhsa_exception_int_div_zero 0
	.end_amdhsa_kernel
	.section	.text._ZN5aiter35fused_qk_rmsnorm_group_quant_kernelItDB8_Li256ELi8ELi8ELb0ELb1ELb1ELb0ELb0ELb0EEEvPT0_PvPT_S6_S6_PKS5_S8_S8_S8_S8_ffiiiiiiiiiiiii,"axG",@progbits,_ZN5aiter35fused_qk_rmsnorm_group_quant_kernelItDB8_Li256ELi8ELi8ELb0ELb1ELb1ELb0ELb0ELb0EEEvPT0_PvPT_S6_S6_PKS5_S8_S8_S8_S8_ffiiiiiiiiiiiii,comdat
.Lfunc_end538:
	.size	_ZN5aiter35fused_qk_rmsnorm_group_quant_kernelItDB8_Li256ELi8ELi8ELb0ELb1ELb1ELb0ELb0ELb0EEEvPT0_PvPT_S6_S6_PKS5_S8_S8_S8_S8_ffiiiiiiiiiiiii, .Lfunc_end538-_ZN5aiter35fused_qk_rmsnorm_group_quant_kernelItDB8_Li256ELi8ELi8ELb0ELb1ELb1ELb0ELb0ELb0EEEvPT0_PvPT_S6_S6_PKS5_S8_S8_S8_S8_ffiiiiiiiiiiiii
                                        ; -- End function
	.section	.AMDGPU.csdata,"",@progbits
; Kernel info:
; codeLenInByte = 2684
; NumSgprs: 40
; NumVgprs: 23
; NumAgprs: 0
; TotalNumVgprs: 23
; ScratchSize: 0
; MemoryBound: 0
; FloatMode: 240
; IeeeMode: 1
; LDSByteSize: 32 bytes/workgroup (compile time only)
; SGPRBlocks: 4
; VGPRBlocks: 2
; NumSGPRsForWavesPerEU: 40
; NumVGPRsForWavesPerEU: 23
; AccumOffset: 24
; Occupancy: 8
; WaveLimiterHint : 0
; COMPUTE_PGM_RSRC2:SCRATCH_EN: 0
; COMPUTE_PGM_RSRC2:USER_SGPR: 6
; COMPUTE_PGM_RSRC2:TRAP_HANDLER: 0
; COMPUTE_PGM_RSRC2:TGID_X_EN: 1
; COMPUTE_PGM_RSRC2:TGID_Y_EN: 1
; COMPUTE_PGM_RSRC2:TGID_Z_EN: 0
; COMPUTE_PGM_RSRC2:TIDIG_COMP_CNT: 0
; COMPUTE_PGM_RSRC3_GFX90A:ACCUM_OFFSET: 5
; COMPUTE_PGM_RSRC3_GFX90A:TG_SPLIT: 0
	.section	.text._ZN5aiter35fused_qk_rmsnorm_group_quant_kernelIDF16_N4opus5fp4_tELi256ELi8ELi8ELb0ELb1ELb1ELb0ELb0ELb0EEEvPT0_PvPT_S7_S7_PKS6_S9_S9_S9_S9_ffiiiiiiiiiiiii,"axG",@progbits,_ZN5aiter35fused_qk_rmsnorm_group_quant_kernelIDF16_N4opus5fp4_tELi256ELi8ELi8ELb0ELb1ELb1ELb0ELb0ELb0EEEvPT0_PvPT_S7_S7_PKS6_S9_S9_S9_S9_ffiiiiiiiiiiiii,comdat
	.protected	_ZN5aiter35fused_qk_rmsnorm_group_quant_kernelIDF16_N4opus5fp4_tELi256ELi8ELi8ELb0ELb1ELb1ELb0ELb0ELb0EEEvPT0_PvPT_S7_S7_PKS6_S9_S9_S9_S9_ffiiiiiiiiiiiii ; -- Begin function _ZN5aiter35fused_qk_rmsnorm_group_quant_kernelIDF16_N4opus5fp4_tELi256ELi8ELi8ELb0ELb1ELb1ELb0ELb0ELb0EEEvPT0_PvPT_S7_S7_PKS6_S9_S9_S9_S9_ffiiiiiiiiiiiii
	.globl	_ZN5aiter35fused_qk_rmsnorm_group_quant_kernelIDF16_N4opus5fp4_tELi256ELi8ELi8ELb0ELb1ELb1ELb0ELb0ELb0EEEvPT0_PvPT_S7_S7_PKS6_S9_S9_S9_S9_ffiiiiiiiiiiiii
	.p2align	8
	.type	_ZN5aiter35fused_qk_rmsnorm_group_quant_kernelIDF16_N4opus5fp4_tELi256ELi8ELi8ELb0ELb1ELb1ELb0ELb0ELb0EEEvPT0_PvPT_S7_S7_PKS6_S9_S9_S9_S9_ffiiiiiiiiiiiii,@function
_ZN5aiter35fused_qk_rmsnorm_group_quant_kernelIDF16_N4opus5fp4_tELi256ELi8ELi8ELb0ELb1ELb1ELb0ELb0ELb0EEEvPT0_PvPT_S7_S7_PKS6_S9_S9_S9_S9_ffiiiiiiiiiiiii: ; @_ZN5aiter35fused_qk_rmsnorm_group_quant_kernelIDF16_N4opus5fp4_tELi256ELi8ELi8ELb0ELb1ELb1ELb0ELb0ELb0EEEvPT0_PvPT_S7_S7_PKS6_S9_S9_S9_S9_ffiiiiiiiiiiiii
; %bb.0:
	s_load_dwordx4 s[16:19], s[4:5], 0x50
	s_waitcnt lgkmcnt(0)
	s_cmp_ge_i32 s6, s18
	s_cbranch_scc1 .LBB539_12
; %bb.1:
	s_load_dwordx2 s[12:13], s[4:5], 0x48
	s_load_dwordx2 s[30:31], s[4:5], 0x30
	s_load_dwordx4 s[20:23], s[4:5], 0x60
	s_cmp_lg_u32 s7, 0
	s_cselect_b64 s[14:15], -1, 0
	s_cmp_eq_u32 s7, 0
	s_cselect_b64 vcc, -1, 0
	s_and_b64 s[0:1], vcc, exec
	s_waitcnt lgkmcnt(0)
	s_cselect_b32 s7, s19, s20
	s_add_i32 s0, s7, 1
	s_lshr_b32 s1, s0, 31
	s_add_i32 s0, s0, s1
	s_lshl_b32 s0, s0, 1
	v_lshlrev_b32_e32 v1, 3, v0
	s_and_b32 s10, s0, -4
	v_cmp_gt_i32_e64 s[2:3], s7, v1
	v_mov_b32_e32 v10, 0
	v_mov_b32_e32 v2, 0
	v_mov_b32_e32 v3, 0
	v_mov_b32_e32 v4, 0
	v_mov_b32_e32 v5, 0
	v_mov_b32_e32 v6, 0
	v_mov_b32_e32 v7, 0
	v_mov_b32_e32 v8, 0
	v_mov_b32_e32 v9, 0
	s_and_saveexec_b64 s[0:1], s[2:3]
	s_cbranch_execz .LBB539_3
; %bb.2:
	s_load_dwordx2 s[8:9], s[4:5], 0x28
	s_load_dwordx2 s[26:27], s[4:5], 0x40
	s_and_b64 s[24:25], vcc, exec
	s_cselect_b32 s11, s21, s22
	v_lshlrev_b32_e32 v11, 4, v0
	s_waitcnt lgkmcnt(0)
	s_cselect_b32 s18, s9, s31
	s_cselect_b32 s21, s8, s30
	s_mul_hi_i32 s9, s11, s6
	s_mul_i32 s8, s11, s6
	s_lshl_b64 s[8:9], s[8:9], 1
	s_add_u32 s24, s21, s8
	s_addc_u32 s18, s18, s9
	s_and_b64 s[8:9], vcc, exec
	s_mov_b32 s11, 0x20000
	s_cselect_b32 s8, s26, s12
	s_cselect_b32 s9, s27, s13
	s_and_b32 s25, s18, 0xffff
	s_mov_b32 s26, s10
	s_mov_b32 s27, s11
	s_and_b32 s9, s9, 0xffff
	buffer_load_dwordx4 v[6:9], v11, s[24:27], 0 offen glc slc
	buffer_load_dwordx4 v[2:5], v11, s[8:11], 0 offen
.LBB539_3:
	s_or_b64 exec, exec, s[0:1]
	v_mov_b32_e32 v11, 0
	v_mov_b32_e32 v16, 0
	;; [unrolled: 1-line block ×7, first 2 shown]
	s_and_saveexec_b64 s[0:1], s[2:3]
	s_cbranch_execz .LBB539_5
; %bb.4:
	s_waitcnt vmcnt(1)
	v_cvt_f32_f16_sdwa v11, v6 dst_sel:DWORD dst_unused:UNUSED_PAD src0_sel:WORD_1
	v_cvt_f32_f16_e32 v10, v6
	v_cvt_f32_f16_sdwa v17, v7 dst_sel:DWORD dst_unused:UNUSED_PAD src0_sel:WORD_1
	v_cvt_f32_f16_e32 v16, v7
	;; [unrolled: 2-line block ×4, first 2 shown]
.LBB539_5:
	s_or_b64 exec, exec, s[0:1]
	s_waitcnt vmcnt(1)
	v_mul_f32_e32 v6, v11, v11
	v_fmac_f32_e32 v6, v10, v10
	v_fmac_f32_e32 v6, v16, v16
	;; [unrolled: 1-line block ×7, first 2 shown]
	v_and_b32_e32 v8, 63, v0
	v_cmp_eq_u32_e64 s[0:1], 63, v8
	v_mov_b32_dpp v7, v6 quad_perm:[1,0,3,2] row_mask:0xf bank_mask:0xf
	v_add_f32_e32 v6, v6, v7
	s_nop 1
	v_mov_b32_dpp v7, v6 quad_perm:[2,3,0,1] row_mask:0xf bank_mask:0xf
	v_add_f32_e32 v6, v6, v7
	s_nop 1
	v_mov_b32_dpp v7, v6 row_half_mirror row_mask:0xf bank_mask:0xf
	v_add_f32_e32 v6, v6, v7
	s_nop 1
	v_mov_b32_dpp v7, v6 row_mirror row_mask:0xf bank_mask:0xf
	v_add_f32_e32 v6, v6, v7
	s_nop 1
	v_mov_b32_dpp v7, v6 row_bcast:15 row_mask:0xf bank_mask:0xf
	v_add_f32_e32 v6, v6, v7
	s_nop 1
	v_mov_b32_dpp v7, v6 row_bcast:31 row_mask:0xf bank_mask:0xf
	s_and_saveexec_b64 s[8:9], s[0:1]
	s_cbranch_execz .LBB539_7
; %bb.6:
	v_add_f32_e32 v6, v6, v7
	v_lshrrev_b32_e32 v7, 4, v0
	v_and_b32_e32 v7, 60, v7
	ds_write_b32 v7, v6 offset:16
.LBB539_7:
	s_or_b64 exec, exec, s[8:9]
	v_and_b32_e32 v6, 3, v0
	v_lshlrev_b32_e32 v18, 2, v6
	s_waitcnt lgkmcnt(0)
	s_barrier
	ds_read_b32 v6, v18 offset:16
	s_load_dwordx2 s[28:29], s[4:5], 0x18
	s_waitcnt lgkmcnt(0)
	v_mov_b32_dpp v7, v6 quad_perm:[1,0,3,2] row_mask:0xf bank_mask:0xf
	v_add_f32_e32 v6, v6, v7
	s_nop 1
	v_mov_b32_dpp v7, v6 quad_perm:[2,3,0,1] row_mask:0xf bank_mask:0xf
	s_and_saveexec_b64 s[8:9], s[2:3]
	s_cbranch_execz .LBB539_9
; %bb.8:
	v_cvt_f32_u32_e32 v8, s7
	v_add_f32_e32 v6, v6, v7
	v_mov_b32_e32 v19, s17
	v_mov_b32_e32 v20, s16
	v_div_scale_f32 v7, s[24:25], v8, v8, v6
	v_rcp_f32_e32 v9, v7
	v_cndmask_b32_e32 v19, v19, v20, vcc
	s_mov_b32 s7, 0x800000
	v_fma_f32 v20, -v7, v9, 1.0
	v_fmac_f32_e32 v9, v20, v9
	v_div_scale_f32 v20, vcc, v6, v8, v6
	v_mul_f32_e32 v21, v20, v9
	v_fma_f32 v22, -v7, v21, v20
	v_fmac_f32_e32 v21, v22, v9
	v_fma_f32 v7, -v7, v21, v20
	v_div_fmas_f32 v7, v7, v9, v21
	v_div_fixup_f32 v6, v7, v8, v6
	v_add_f32_e32 v6, v19, v6
	v_mul_f32_e32 v7, 0x4b800000, v6
	v_cmp_gt_f32_e32 vcc, s7, v6
	v_cndmask_b32_e32 v6, v6, v7, vcc
	v_rsq_f32_e32 v6, v6
	s_waitcnt vmcnt(0)
	v_cvt_f32_f16_sdwa v21, v3 dst_sel:DWORD dst_unused:UNUSED_PAD src0_sel:WORD_1
	v_cvt_f32_f16_e32 v20, v3
	v_mul_f32_e32 v7, 0x45800000, v6
	v_cndmask_b32_e32 v6, v6, v7, vcc
	v_mov_b32_e32 v7, v6
	;;#ASMSTART
	v_pk_mul_f32 v[8:9], v[10:11], v[6:7]
	;;#ASMEND
	v_cvt_f32_f16_sdwa v11, v2 dst_sel:DWORD dst_unused:UNUSED_PAD src0_sel:WORD_1
	v_cvt_f32_f16_e32 v10, v2
	;;#ASMSTART
	v_pk_mul_f32 v[16:17], v[16:17], v[6:7]
	;;#ASMEND
	;;#ASMSTART
	v_pk_mul_f32 v[14:15], v[14:15], v[6:7]
	;;#ASMEND
	;; [unrolled: 3-line block ×3, first 2 shown]
	v_pk_add_f32 v[6:7], v[10:11], 1.0 op_sel_hi:[1,0]
	;;#ASMSTART
	v_pk_mul_f32 v[10:11], v[8:9], v[6:7]
	;;#ASMEND
	v_cvt_f32_f16_sdwa v9, v4 dst_sel:DWORD dst_unused:UNUSED_PAD src0_sel:WORD_1
	v_cvt_f32_f16_e32 v8, v4
	v_cvt_f32_f16_sdwa v13, v5 dst_sel:DWORD dst_unused:UNUSED_PAD src0_sel:WORD_1
	v_cvt_f32_f16_e32 v12, v5
	v_pk_add_f32 v[6:7], v[20:21], 1.0 op_sel_hi:[1,0]
	v_pk_add_f32 v[4:5], v[8:9], 1.0 op_sel_hi:[1,0]
	;;#ASMSTART
	v_pk_mul_f32 v[16:17], v[16:17], v[6:7]
	;;#ASMEND
	;;#ASMSTART
	v_pk_mul_f32 v[14:15], v[14:15], v[4:5]
	;;#ASMEND
	v_pk_add_f32 v[4:5], v[12:13], 1.0 op_sel_hi:[1,0]
	;;#ASMSTART
	v_pk_mul_f32 v[12:13], v[2:3], v[4:5]
	;;#ASMEND
.LBB539_9:
	s_or_b64 exec, exec, s[8:9]
	s_load_dword s7, s[4:5], 0x80
	s_mov_b64 s[8:9], -1
	s_and_b64 vcc, exec, s[14:15]
	s_cbranch_vccnz .LBB539_13
; %bb.10:
	s_andn2_b64 vcc, exec, s[8:9]
	s_cbranch_vccz .LBB539_16
.LBB539_11:
	s_cmp_lt_i32 s20, 1
	s_cbranch_scc0 .LBB539_25
.LBB539_12:
	s_endpgm
.LBB539_13:
	s_and_saveexec_b64 s[14:15], s[2:3]
	s_cbranch_execz .LBB539_15
; %bb.14:
	s_waitcnt lgkmcnt(0)
	s_mul_hi_i32 s9, s7, s6
	s_mul_i32 s8, s7, s6
	s_waitcnt vmcnt(0)
	v_cvt_f16_f32_e32 v2, v10
	v_cvt_f16_f32_e32 v3, v16
	;; [unrolled: 1-line block ×8, first 2 shown]
	s_lshl_b64 s[8:9], s[8:9], 1
	s_add_u32 s8, s28, s8
	s_addc_u32 s9, s29, s9
	s_and_b32 s9, s9, 0xffff
	s_mov_b32 s11, 0x20000
	v_pack_b32_f16 v5, v5, v6
	v_pack_b32_f16 v4, v4, v7
	;; [unrolled: 1-line block ×4, first 2 shown]
	v_lshlrev_b32_e32 v6, 4, v0
	buffer_store_dwordx4 v[2:5], v6, s[8:11], 0 offen
	;;#ASMSTART
	s_nop 0
	;;#ASMEND
.LBB539_15:
	s_or_b64 exec, exec, s[14:15]
	s_cbranch_execnz .LBB539_11
.LBB539_16:
	s_load_dwordx4 s[24:27], s[4:5], 0x70
	s_waitcnt vmcnt(0)
	v_mov_b32_e32 v2, 0
	s_and_saveexec_b64 s[14:15], s[2:3]
	s_cbranch_execz .LBB539_18
; %bb.17:
	s_load_dwordx2 s[8:9], s[4:5], 0x10
	s_waitcnt lgkmcnt(0)
	s_mul_hi_i32 s35, s27, s6
	s_mul_i32 s34, s27, s6
	v_cvt_f16_f32_e32 v2, v10
	v_cvt_f16_f32_e32 v3, v16
	;; [unrolled: 1-line block ×8, first 2 shown]
	s_lshl_b64 s[34:35], s[34:35], 1
	s_add_u32 s8, s8, s34
	s_addc_u32 s9, s9, s35
	s_mov_b32 s11, 0x20000
	s_and_b32 s9, s9, 0xffff
	v_pack_b32_f16 v5, v5, v6
	v_pack_b32_f16 v4, v4, v7
	;; [unrolled: 1-line block ×4, first 2 shown]
	v_lshlrev_b32_e32 v6, 4, v0
	buffer_store_dwordx4 v[2:5], v6, s[8:11], 0 offen
	;;#ASMSTART
	s_nop 0
	;;#ASMEND
	s_nop 0
	v_mov_b32_e32 v2, 0x2edbe6ff
.LBB539_18:
	s_or_b64 exec, exec, s[14:15]
	s_and_saveexec_b64 s[8:9], s[2:3]
	s_cbranch_execz .LBB539_20
; %bb.19:
	v_and_b32_e32 v3, 0x7fffffff, v10
	v_and_b32_e32 v4, 0x7fffffff, v11
	;;#ASMSTART
	v_max3_f32 v2, v2, v3, v4

	;;#ASMEND
	v_and_b32_e32 v3, 0x7fffffff, v16
	v_and_b32_e32 v4, 0x7fffffff, v17
	;;#ASMSTART
	v_max3_f32 v2, v2, v3, v4

	;;#ASMEND
	;; [unrolled: 6-line block ×4, first 2 shown]
.LBB539_20:
	s_or_b64 exec, exec, s[8:9]
	;;#ASMSTART
	v_max_f32 v3, v2, v2 quad_perm:[1,0,3,2] row_mask:0xf bank_mask:0xf bound_ctrl:1
	;;#ASMEND
	;;#ASMSTART
	v_max_f32 v4, v3, v3 quad_perm:[2,3,0,1] row_mask:0xf bank_mask:0xf bound_ctrl:1
	;;#ASMEND
	v_and_b32_e32 v3, 7, v0
	v_cmp_eq_u32_e32 vcc, 0, v3
	v_cmp_gt_i32_e64 s[8:9], s19, v1
	s_and_b64 s[10:11], vcc, s[8:9]
	;;#ASMSTART
	v_max_f32 v2, v4, v4 row_half_mirror row_mask:0xf bank_mask:0xf bound_ctrl:1
	;;#ASMEND
	s_and_saveexec_b64 s[8:9], s[10:11]
	s_cbranch_execz .LBB539_22
; %bb.21:
	s_load_dwordx2 s[10:11], s[4:5], 0x8
	v_mul_f32_e32 v2, 0x3e2aaaab, v2
	v_lshrrev_b32_e32 v3, 23, v2
	v_and_b32_e32 v4, 0x7f800000, v2
	v_and_b32_e32 v2, 0x7fffff, v2
	v_cmp_ne_u32_e32 vcc, 0, v2
	s_waitcnt lgkmcnt(0)
	s_mul_i32 s16, s25, s6
	s_mov_b32 s14, 0x7f800000
	v_addc_co_u32_e32 v2, vcc, 0, v3, vcc
	s_mul_hi_i32 s15, s25, s6
	s_add_u32 s10, s10, s16
	v_cmp_ne_u32_e32 vcc, s14, v4
	s_addc_u32 s11, s11, s15
	v_lshrrev_b32_e32 v5, 3, v0
	v_cndmask_b32_e32 v4, -1, v2, vcc
	v_pk_mov_b32 v[2:3], s[10:11], s[10:11] op_sel:[0,1]
	v_mad_i64_i32 v[2:3], s[10:11], s26, v5, v[2:3]
	global_store_byte v[2:3], v4, off
.LBB539_22:
	s_or_b64 exec, exec, s[8:9]
	s_and_saveexec_b64 s[8:9], s[2:3]
	s_cbranch_execz .LBB539_24
; %bb.23:
	s_load_dwordx2 s[2:3], s[4:5], 0x0
	s_waitcnt lgkmcnt(0)
	s_mul_i32 s11, s24, s6
	s_mul_hi_i32 s10, s24, s6
	v_lshlrev_b32_e32 v2, 2, v0
	s_mov_b32 s27, 0x20000
	s_add_u32 s24, s2, s11
	s_addc_u32 s2, s3, s10
	s_lshr_b32 s3, s19, 31
	s_add_i32 s3, s19, s3
	s_ashr_i32 s3, s3, 1
	s_add_i32 s3, s3, 3
	s_ashr_i32 s10, s3, 31
	s_lshr_b32 s10, s10, 30
	s_add_i32 s3, s3, s10
	s_and_b32 s26, s3, -4
	s_and_b32 s25, s2, 0xffff
	v_mov_b32_e32 v3, 0
	buffer_store_dword v3, v2, s[24:27], 0 offen
	;;#ASMSTART
	s_nop 0
	;;#ASMEND
.LBB539_24:
	s_or_b64 exec, exec, s[8:9]
	s_cmp_lt_i32 s20, 1
	s_cbranch_scc1 .LBB539_12
.LBB539_25:
	s_load_dword s2, s[4:5], 0x94
	s_waitcnt lgkmcnt(0)
	s_cmp_lg_u32 s2, 1
	s_cbranch_scc1 .LBB539_12
; %bb.26:
	s_lshl_b32 s2, s20, 1
	s_add_i32 s2, s2, 2
	v_cmp_gt_u32_e32 vcc, s20, v1
	s_and_b32 s14, s2, -4
	v_mov_b32_e32 v10, 0
	v_lshlrev_b32_e32 v1, 4, v0
	v_mov_b32_e32 v6, 0
	v_mov_b32_e32 v7, 0
	;; [unrolled: 1-line block ×4, first 2 shown]
	s_waitcnt vmcnt(0)
	v_mov_b32_e32 v2, 0
	v_mov_b32_e32 v3, 0
	;; [unrolled: 1-line block ×4, first 2 shown]
	s_barrier
	s_and_saveexec_b64 s[2:3], vcc
	s_cbranch_execz .LBB539_28
; %bb.27:
	s_mul_hi_i32 s5, s22, s6
	s_mul_i32 s4, s22, s6
	s_and_b32 s13, s13, 0xffff
	s_lshl_b64 s[4:5], s[4:5], 1
	s_add_u32 s8, s30, s4
	s_mov_b32 s15, 0x20000
	s_addc_u32 s4, s31, s5
	s_and_b32 s9, s4, 0xffff
	s_mov_b32 s10, s14
	s_mov_b32 s11, s15
	buffer_load_dwordx4 v[6:9], v1, s[8:11], 0 offen glc slc
	buffer_load_dwordx4 v[2:5], v1, s[12:15], 0 offen
.LBB539_28:
	s_or_b64 exec, exec, s[2:3]
	v_mov_b32_e32 v11, 0
	v_mov_b32_e32 v16, 0
	;; [unrolled: 1-line block ×7, first 2 shown]
	s_and_saveexec_b64 s[2:3], vcc
	s_cbranch_execz .LBB539_30
; %bb.29:
	s_waitcnt vmcnt(1)
	v_cvt_f32_f16_sdwa v11, v6 dst_sel:DWORD dst_unused:UNUSED_PAD src0_sel:WORD_1
	v_cvt_f32_f16_e32 v10, v6
	v_cvt_f32_f16_sdwa v17, v7 dst_sel:DWORD dst_unused:UNUSED_PAD src0_sel:WORD_1
	v_cvt_f32_f16_e32 v16, v7
	v_cvt_f32_f16_sdwa v15, v8 dst_sel:DWORD dst_unused:UNUSED_PAD src0_sel:WORD_1
	v_cvt_f32_f16_e32 v14, v8
	v_cvt_f32_f16_sdwa v13, v9 dst_sel:DWORD dst_unused:UNUSED_PAD src0_sel:WORD_1
	v_cvt_f32_f16_e32 v12, v9
.LBB539_30:
	s_or_b64 exec, exec, s[2:3]
	s_waitcnt vmcnt(1)
	v_mul_f32_e32 v6, v11, v11
	v_fmac_f32_e32 v6, v10, v10
	v_fmac_f32_e32 v6, v16, v16
	;; [unrolled: 1-line block ×7, first 2 shown]
	s_nop 1
	v_mov_b32_dpp v7, v6 quad_perm:[1,0,3,2] row_mask:0xf bank_mask:0xf
	v_add_f32_e32 v6, v6, v7
	s_nop 1
	v_mov_b32_dpp v7, v6 quad_perm:[2,3,0,1] row_mask:0xf bank_mask:0xf
	v_add_f32_e32 v6, v6, v7
	s_nop 1
	v_mov_b32_dpp v7, v6 row_half_mirror row_mask:0xf bank_mask:0xf
	v_add_f32_e32 v6, v6, v7
	s_nop 1
	v_mov_b32_dpp v7, v6 row_mirror row_mask:0xf bank_mask:0xf
	v_add_f32_e32 v6, v6, v7
	s_nop 1
	v_mov_b32_dpp v7, v6 row_bcast:15 row_mask:0xf bank_mask:0xf
	v_add_f32_e32 v6, v6, v7
	s_nop 1
	v_mov_b32_dpp v7, v6 row_bcast:31 row_mask:0xf bank_mask:0xf
	s_and_saveexec_b64 s[2:3], s[0:1]
	s_cbranch_execz .LBB539_32
; %bb.31:
	v_lshrrev_b32_e32 v0, 4, v0
	v_add_f32_e32 v6, v6, v7
	v_and_b32_e32 v0, 60, v0
	ds_write_b32 v0, v6
.LBB539_32:
	s_or_b64 exec, exec, s[2:3]
	s_waitcnt lgkmcnt(0)
	s_barrier
	ds_read_b32 v0, v18
	s_waitcnt lgkmcnt(0)
	s_nop 0
	v_mov_b32_dpp v6, v0 quad_perm:[1,0,3,2] row_mask:0xf bank_mask:0xf
	v_add_f32_e32 v0, v0, v6
	s_nop 1
	v_mov_b32_dpp v6, v0 quad_perm:[2,3,0,1] row_mask:0xf bank_mask:0xf
	s_and_saveexec_b64 s[0:1], vcc
	s_cbranch_execz .LBB539_12
; %bb.33:
	v_cvt_f32_u32_e32 v7, s20
	v_add_f32_e32 v0, v0, v6
	s_mov_b32 s15, 0x20000
	v_div_scale_f32 v6, s[0:1], v7, v7, v0
	v_rcp_f32_e32 v8, v6
	v_div_scale_f32 v9, vcc, v0, v7, v0
	s_mov_b32 s0, 0x800000
	v_fma_f32 v18, -v6, v8, 1.0
	v_fmac_f32_e32 v8, v18, v8
	v_mul_f32_e32 v18, v9, v8
	v_fma_f32 v19, -v6, v18, v9
	v_fmac_f32_e32 v18, v19, v8
	v_fma_f32 v6, -v6, v18, v9
	v_div_fmas_f32 v6, v6, v8, v18
	v_div_fixup_f32 v0, v6, v7, v0
	v_add_f32_e32 v0, s17, v0
	v_mul_f32_e32 v6, 0x4b800000, v0
	v_cmp_gt_f32_e32 vcc, s0, v0
	v_cndmask_b32_e32 v0, v0, v6, vcc
	v_rsq_f32_e32 v0, v0
	s_waitcnt vmcnt(0)
	v_cvt_f32_f16_sdwa v19, v3 dst_sel:DWORD dst_unused:UNUSED_PAD src0_sel:WORD_1
	v_cvt_f32_f16_e32 v18, v3
	s_mul_hi_i32 s1, s7, s6
	v_mul_f32_e32 v6, 0x45800000, v0
	v_cndmask_b32_e32 v6, v0, v6, vcc
	v_mov_b32_e32 v7, v6
	;;#ASMSTART
	v_pk_mul_f32 v[8:9], v[10:11], v[6:7]
	;;#ASMEND
	;;#ASMSTART
	v_pk_mul_f32 v[10:11], v[16:17], v[6:7]
	;;#ASMEND
	v_cvt_f32_f16_sdwa v17, v2 dst_sel:DWORD dst_unused:UNUSED_PAD src0_sel:WORD_1
	v_cvt_f32_f16_e32 v16, v2
	;;#ASMSTART
	v_pk_mul_f32 v[14:15], v[14:15], v[6:7]
	;;#ASMEND
	;;#ASMSTART
	v_pk_mul_f32 v[2:3], v[12:13], v[6:7]
	;;#ASMEND
	v_cvt_f32_f16_sdwa v13, v4 dst_sel:DWORD dst_unused:UNUSED_PAD src0_sel:WORD_1
	v_cvt_f32_f16_e32 v12, v4
	v_pk_add_f32 v[6:7], v[16:17], 1.0 op_sel_hi:[1,0]
	v_cvt_f32_f16_sdwa v17, v5 dst_sel:DWORD dst_unused:UNUSED_PAD src0_sel:WORD_1
	v_cvt_f32_f16_e32 v16, v5
	;;#ASMSTART
	v_pk_mul_f32 v[6:7], v[8:9], v[6:7]
	;;#ASMEND
	v_pk_add_f32 v[8:9], v[18:19], 1.0 op_sel_hi:[1,0]
	;;#ASMSTART
	v_pk_mul_f32 v[4:5], v[10:11], v[8:9]
	;;#ASMEND
	v_pk_add_f32 v[8:9], v[12:13], 1.0 op_sel_hi:[1,0]
	;; [unrolled: 4-line block ×3, first 2 shown]
	;;#ASMSTART
	v_pk_mul_f32 v[2:3], v[2:3], v[10:11]
	;;#ASMEND
	s_mul_i32 s0, s7, s6
	v_cvt_f16_f32_e32 v0, v6
	v_cvt_f16_f32_e32 v6, v7
	;; [unrolled: 1-line block ×8, first 2 shown]
	s_lshl_b64 s[0:1], s[0:1], 1
	s_add_u32 s12, s28, s0
	s_addc_u32 s0, s29, s1
	s_and_b32 s13, s0, 0xffff
	v_pack_b32_f16 v2, v0, v6
	v_pack_b32_f16 v3, v4, v5
	v_pack_b32_f16 v4, v7, v8
	v_pack_b32_f16 v5, v9, v10
	buffer_store_dwordx4 v[2:5], v1, s[12:15], 0 offen
	;;#ASMSTART
	s_nop 0
	;;#ASMEND
	s_endpgm
	.section	.rodata,"a",@progbits
	.p2align	6, 0x0
	.amdhsa_kernel _ZN5aiter35fused_qk_rmsnorm_group_quant_kernelIDF16_N4opus5fp4_tELi256ELi8ELi8ELb0ELb1ELb1ELb0ELb0ELb0EEEvPT0_PvPT_S7_S7_PKS6_S9_S9_S9_S9_ffiiiiiiiiiiiii
		.amdhsa_group_segment_fixed_size 32
		.amdhsa_private_segment_fixed_size 0
		.amdhsa_kernarg_size 400
		.amdhsa_user_sgpr_count 6
		.amdhsa_user_sgpr_private_segment_buffer 1
		.amdhsa_user_sgpr_dispatch_ptr 0
		.amdhsa_user_sgpr_queue_ptr 0
		.amdhsa_user_sgpr_kernarg_segment_ptr 1
		.amdhsa_user_sgpr_dispatch_id 0
		.amdhsa_user_sgpr_flat_scratch_init 0
		.amdhsa_user_sgpr_kernarg_preload_length 0
		.amdhsa_user_sgpr_kernarg_preload_offset 0
		.amdhsa_user_sgpr_private_segment_size 0
		.amdhsa_uses_dynamic_stack 0
		.amdhsa_system_sgpr_private_segment_wavefront_offset 0
		.amdhsa_system_sgpr_workgroup_id_x 1
		.amdhsa_system_sgpr_workgroup_id_y 1
		.amdhsa_system_sgpr_workgroup_id_z 0
		.amdhsa_system_sgpr_workgroup_info 0
		.amdhsa_system_vgpr_workitem_id 0
		.amdhsa_next_free_vgpr 23
		.amdhsa_next_free_sgpr 36
		.amdhsa_accum_offset 24
		.amdhsa_reserve_vcc 1
		.amdhsa_reserve_flat_scratch 0
		.amdhsa_float_round_mode_32 0
		.amdhsa_float_round_mode_16_64 0
		.amdhsa_float_denorm_mode_32 3
		.amdhsa_float_denorm_mode_16_64 3
		.amdhsa_dx10_clamp 1
		.amdhsa_ieee_mode 1
		.amdhsa_fp16_overflow 0
		.amdhsa_tg_split 0
		.amdhsa_exception_fp_ieee_invalid_op 0
		.amdhsa_exception_fp_denorm_src 0
		.amdhsa_exception_fp_ieee_div_zero 0
		.amdhsa_exception_fp_ieee_overflow 0
		.amdhsa_exception_fp_ieee_underflow 0
		.amdhsa_exception_fp_ieee_inexact 0
		.amdhsa_exception_int_div_zero 0
	.end_amdhsa_kernel
	.section	.text._ZN5aiter35fused_qk_rmsnorm_group_quant_kernelIDF16_N4opus5fp4_tELi256ELi8ELi8ELb0ELb1ELb1ELb0ELb0ELb0EEEvPT0_PvPT_S7_S7_PKS6_S9_S9_S9_S9_ffiiiiiiiiiiiii,"axG",@progbits,_ZN5aiter35fused_qk_rmsnorm_group_quant_kernelIDF16_N4opus5fp4_tELi256ELi8ELi8ELb0ELb1ELb1ELb0ELb0ELb0EEEvPT0_PvPT_S7_S7_PKS6_S9_S9_S9_S9_ffiiiiiiiiiiiii,comdat
.Lfunc_end539:
	.size	_ZN5aiter35fused_qk_rmsnorm_group_quant_kernelIDF16_N4opus5fp4_tELi256ELi8ELi8ELb0ELb1ELb1ELb0ELb0ELb0EEEvPT0_PvPT_S7_S7_PKS6_S9_S9_S9_S9_ffiiiiiiiiiiiii, .Lfunc_end539-_ZN5aiter35fused_qk_rmsnorm_group_quant_kernelIDF16_N4opus5fp4_tELi256ELi8ELi8ELb0ELb1ELb1ELb0ELb0ELb0EEEvPT0_PvPT_S7_S7_PKS6_S9_S9_S9_S9_ffiiiiiiiiiiiii
                                        ; -- End function
	.section	.AMDGPU.csdata,"",@progbits
; Kernel info:
; codeLenInByte = 2508
; NumSgprs: 40
; NumVgprs: 23
; NumAgprs: 0
; TotalNumVgprs: 23
; ScratchSize: 0
; MemoryBound: 0
; FloatMode: 240
; IeeeMode: 1
; LDSByteSize: 32 bytes/workgroup (compile time only)
; SGPRBlocks: 4
; VGPRBlocks: 2
; NumSGPRsForWavesPerEU: 40
; NumVGPRsForWavesPerEU: 23
; AccumOffset: 24
; Occupancy: 8
; WaveLimiterHint : 0
; COMPUTE_PGM_RSRC2:SCRATCH_EN: 0
; COMPUTE_PGM_RSRC2:USER_SGPR: 6
; COMPUTE_PGM_RSRC2:TRAP_HANDLER: 0
; COMPUTE_PGM_RSRC2:TGID_X_EN: 1
; COMPUTE_PGM_RSRC2:TGID_Y_EN: 1
; COMPUTE_PGM_RSRC2:TGID_Z_EN: 0
; COMPUTE_PGM_RSRC2:TIDIG_COMP_CNT: 0
; COMPUTE_PGM_RSRC3_GFX90A:ACCUM_OFFSET: 5
; COMPUTE_PGM_RSRC3_GFX90A:TG_SPLIT: 0
	.section	.text._ZN5aiter35fused_qk_rmsnorm_group_quant_kernelItN4opus5fp4_tELi256ELi8ELi8ELb0ELb1ELb1ELb0ELb0ELb0EEEvPT0_PvPT_S7_S7_PKS6_S9_S9_S9_S9_ffiiiiiiiiiiiii,"axG",@progbits,_ZN5aiter35fused_qk_rmsnorm_group_quant_kernelItN4opus5fp4_tELi256ELi8ELi8ELb0ELb1ELb1ELb0ELb0ELb0EEEvPT0_PvPT_S7_S7_PKS6_S9_S9_S9_S9_ffiiiiiiiiiiiii,comdat
	.protected	_ZN5aiter35fused_qk_rmsnorm_group_quant_kernelItN4opus5fp4_tELi256ELi8ELi8ELb0ELb1ELb1ELb0ELb0ELb0EEEvPT0_PvPT_S7_S7_PKS6_S9_S9_S9_S9_ffiiiiiiiiiiiii ; -- Begin function _ZN5aiter35fused_qk_rmsnorm_group_quant_kernelItN4opus5fp4_tELi256ELi8ELi8ELb0ELb1ELb1ELb0ELb0ELb0EEEvPT0_PvPT_S7_S7_PKS6_S9_S9_S9_S9_ffiiiiiiiiiiiii
	.globl	_ZN5aiter35fused_qk_rmsnorm_group_quant_kernelItN4opus5fp4_tELi256ELi8ELi8ELb0ELb1ELb1ELb0ELb0ELb0EEEvPT0_PvPT_S7_S7_PKS6_S9_S9_S9_S9_ffiiiiiiiiiiiii
	.p2align	8
	.type	_ZN5aiter35fused_qk_rmsnorm_group_quant_kernelItN4opus5fp4_tELi256ELi8ELi8ELb0ELb1ELb1ELb0ELb0ELb0EEEvPT0_PvPT_S7_S7_PKS6_S9_S9_S9_S9_ffiiiiiiiiiiiii,@function
_ZN5aiter35fused_qk_rmsnorm_group_quant_kernelItN4opus5fp4_tELi256ELi8ELi8ELb0ELb1ELb1ELb0ELb0ELb0EEEvPT0_PvPT_S7_S7_PKS6_S9_S9_S9_S9_ffiiiiiiiiiiiii: ; @_ZN5aiter35fused_qk_rmsnorm_group_quant_kernelItN4opus5fp4_tELi256ELi8ELi8ELb0ELb1ELb1ELb0ELb0ELb0EEEvPT0_PvPT_S7_S7_PKS6_S9_S9_S9_S9_ffiiiiiiiiiiiii
; %bb.0:
	s_load_dwordx4 s[16:19], s[4:5], 0x50
	s_waitcnt lgkmcnt(0)
	s_cmp_ge_i32 s6, s18
	s_cbranch_scc1 .LBB540_10
; %bb.1:
	s_load_dwordx2 s[12:13], s[4:5], 0x48
	s_load_dwordx2 s[30:31], s[4:5], 0x30
	s_load_dwordx4 s[20:23], s[4:5], 0x60
	s_cmp_lg_u32 s7, 0
	s_cselect_b64 s[14:15], -1, 0
	s_cmp_eq_u32 s7, 0
	s_cselect_b64 vcc, -1, 0
	s_and_b64 s[0:1], vcc, exec
	s_waitcnt lgkmcnt(0)
	s_cselect_b32 s7, s19, s20
	s_add_i32 s0, s7, 1
	s_lshr_b32 s1, s0, 31
	s_add_i32 s0, s0, s1
	s_lshl_b32 s0, s0, 1
	v_lshlrev_b32_e32 v1, 3, v0
	s_and_b32 s10, s0, -4
	v_cmp_gt_i32_e64 s[2:3], s7, v1
	v_mov_b32_e32 v2, 0
	v_mov_b32_e32 v3, 0
	;; [unrolled: 1-line block ×8, first 2 shown]
	s_and_saveexec_b64 s[0:1], s[2:3]
	s_cbranch_execz .LBB540_3
; %bb.2:
	s_load_dwordx2 s[8:9], s[4:5], 0x28
	s_load_dwordx2 s[26:27], s[4:5], 0x40
	s_and_b64 s[24:25], vcc, exec
	s_cselect_b32 s11, s21, s22
	v_lshlrev_b32_e32 v10, 4, v0
	s_waitcnt lgkmcnt(0)
	s_cselect_b32 s18, s9, s31
	s_cselect_b32 s21, s8, s30
	s_mul_hi_i32 s9, s11, s6
	s_mul_i32 s8, s11, s6
	s_lshl_b64 s[8:9], s[8:9], 1
	s_add_u32 s24, s21, s8
	s_addc_u32 s18, s18, s9
	s_and_b64 s[8:9], vcc, exec
	s_mov_b32 s11, 0x20000
	s_cselect_b32 s8, s26, s12
	s_cselect_b32 s9, s27, s13
	s_and_b32 s25, s18, 0xffff
	s_mov_b32 s26, s10
	s_mov_b32 s27, s11
	s_and_b32 s9, s9, 0xffff
	buffer_load_dwordx4 v[6:9], v10, s[24:27], 0 offen glc slc
	buffer_load_dwordx4 v[2:5], v10, s[8:11], 0 offen
.LBB540_3:
	s_or_b64 exec, exec, s[0:1]
	s_waitcnt vmcnt(1)
	v_cvt_f32_u32_sdwa v11, v6 dst_sel:DWORD dst_unused:UNUSED_PAD src0_sel:WORD_1
	v_cvt_f32_u32_sdwa v10, v6 dst_sel:DWORD dst_unused:UNUSED_PAD src0_sel:WORD_0
	v_cvt_f32_u32_sdwa v6, v9 dst_sel:DWORD dst_unused:UNUSED_PAD src0_sel:WORD_1
	v_cvt_f32_u32_sdwa v9, v9 dst_sel:DWORD dst_unused:UNUSED_PAD src0_sel:WORD_0
	;; [unrolled: 2-line block ×4, first 2 shown]
	v_cndmask_b32_e64 v11, 0, v11, s[2:3]
	v_cndmask_b32_e64 v7, 0, v6, s[2:3]
	;; [unrolled: 1-line block ×5, first 2 shown]
	v_mul_f32_e32 v14, v11, v11
	v_cndmask_b32_e64 v12, 0, v12, s[2:3]
	v_fmac_f32_e32 v14, v10, v10
	v_cndmask_b32_e64 v13, 0, v13, s[2:3]
	v_fmac_f32_e32 v14, v12, v12
	;; [unrolled: 2-line block ×3, first 2 shown]
	v_fmac_f32_e32 v14, v8, v8
	v_fmac_f32_e32 v14, v9, v9
	;; [unrolled: 1-line block ×4, first 2 shown]
	v_and_b32_e32 v16, 63, v0
	v_cmp_eq_u32_e64 s[0:1], 63, v16
	v_mov_b32_dpp v15, v14 quad_perm:[1,0,3,2] row_mask:0xf bank_mask:0xf
	v_add_f32_e32 v14, v14, v15
	s_nop 1
	v_mov_b32_dpp v15, v14 quad_perm:[2,3,0,1] row_mask:0xf bank_mask:0xf
	v_add_f32_e32 v14, v14, v15
	s_nop 1
	v_mov_b32_dpp v15, v14 row_half_mirror row_mask:0xf bank_mask:0xf
	v_add_f32_e32 v14, v14, v15
	s_nop 1
	v_mov_b32_dpp v15, v14 row_mirror row_mask:0xf bank_mask:0xf
	v_add_f32_e32 v14, v14, v15
	s_nop 1
	v_mov_b32_dpp v15, v14 row_bcast:15 row_mask:0xf bank_mask:0xf
	v_add_f32_e32 v14, v14, v15
	s_nop 1
	v_mov_b32_dpp v15, v14 row_bcast:31 row_mask:0xf bank_mask:0xf
	s_and_saveexec_b64 s[8:9], s[0:1]
	s_cbranch_execz .LBB540_5
; %bb.4:
	v_add_f32_e32 v14, v14, v15
	v_lshrrev_b32_e32 v15, 4, v0
	v_and_b32_e32 v15, 60, v15
	ds_write_b32 v15, v14 offset:16
.LBB540_5:
	s_or_b64 exec, exec, s[8:9]
	v_and_b32_e32 v14, 3, v0
	v_lshlrev_b32_e32 v14, 2, v14
	s_waitcnt lgkmcnt(0)
	s_barrier
	ds_read_b32 v15, v14 offset:16
	s_load_dwordx2 s[28:29], s[4:5], 0x18
	s_waitcnt lgkmcnt(0)
	v_mov_b32_dpp v16, v15 quad_perm:[1,0,3,2] row_mask:0xf bank_mask:0xf
	v_add_f32_e32 v15, v15, v16
	s_nop 1
	v_mov_b32_dpp v16, v15 quad_perm:[2,3,0,1] row_mask:0xf bank_mask:0xf
	s_and_saveexec_b64 s[8:9], s[2:3]
	s_cbranch_execz .LBB540_7
; %bb.6:
	v_cvt_f32_u32_e32 v17, s7
	v_add_f32_e32 v15, v15, v16
	v_mov_b32_e32 v19, s17
	v_mov_b32_e32 v20, s16
	v_div_scale_f32 v16, s[24:25], v17, v17, v15
	v_rcp_f32_e32 v18, v16
	v_cndmask_b32_e32 v19, v19, v20, vcc
	s_mov_b32 s7, 0x800000
	v_fma_f32 v20, -v16, v18, 1.0
	v_fmac_f32_e32 v18, v20, v18
	v_div_scale_f32 v20, vcc, v15, v17, v15
	v_mul_f32_e32 v21, v20, v18
	v_fma_f32 v22, -v16, v21, v20
	v_fmac_f32_e32 v21, v22, v18
	v_fma_f32 v16, -v16, v21, v20
	v_div_fmas_f32 v16, v16, v18, v21
	v_div_fixup_f32 v15, v16, v17, v15
	v_add_f32_e32 v15, v19, v15
	v_mul_f32_e32 v16, 0x4b800000, v15
	v_cmp_gt_f32_e32 vcc, s7, v15
	v_cndmask_b32_e32 v15, v15, v16, vcc
	v_rsq_f32_e32 v15, v15
	s_waitcnt vmcnt(0)
	v_cvt_f32_u32_sdwa v19, v2 dst_sel:DWORD dst_unused:UNUSED_PAD src0_sel:WORD_1
	v_cvt_f32_u32_sdwa v18, v2 dst_sel:DWORD dst_unused:UNUSED_PAD src0_sel:WORD_0
	v_cvt_f32_u32_sdwa v21, v3 dst_sel:DWORD dst_unused:UNUSED_PAD src0_sel:WORD_1
	v_mul_f32_e32 v16, 0x45800000, v15
	v_cndmask_b32_e32 v16, v15, v16, vcc
	v_mov_b32_e32 v17, v16
	;;#ASMSTART
	v_pk_mul_f32 v[10:11], v[10:11], v[16:17]
	;;#ASMEND
	;;#ASMSTART
	v_pk_mul_f32 v[12:13], v[12:13], v[16:17]
	;;#ASMEND
	;; [unrolled: 3-line block ×3, first 2 shown]
	v_cvt_f32_u32_sdwa v20, v3 dst_sel:DWORD dst_unused:UNUSED_PAD src0_sel:WORD_0
	;;#ASMSTART
	v_pk_mul_f32 v[2:3], v[6:7], v[16:17]
	;;#ASMEND
	v_cvt_f32_u32_sdwa v17, v4 dst_sel:DWORD dst_unused:UNUSED_PAD src0_sel:WORD_1
	v_cvt_f32_u32_sdwa v16, v4 dst_sel:DWORD dst_unused:UNUSED_PAD src0_sel:WORD_0
	v_pk_add_f32 v[6:7], v[18:19], 1.0 op_sel_hi:[1,0]
	v_cvt_f32_u32_sdwa v19, v5 dst_sel:DWORD dst_unused:UNUSED_PAD src0_sel:WORD_1
	v_cvt_f32_u32_sdwa v18, v5 dst_sel:DWORD dst_unused:UNUSED_PAD src0_sel:WORD_0
	;;#ASMSTART
	v_pk_mul_f32 v[10:11], v[10:11], v[6:7]
	;;#ASMEND
	v_pk_add_f32 v[6:7], v[20:21], 1.0 op_sel_hi:[1,0]
	v_pk_add_f32 v[4:5], v[16:17], 1.0 op_sel_hi:[1,0]
	;;#ASMSTART
	v_pk_mul_f32 v[12:13], v[12:13], v[6:7]
	;;#ASMEND
	;;#ASMSTART
	v_pk_mul_f32 v[8:9], v[8:9], v[4:5]
	;;#ASMEND
	v_pk_add_f32 v[4:5], v[18:19], 1.0 op_sel_hi:[1,0]
	;;#ASMSTART
	v_pk_mul_f32 v[6:7], v[2:3], v[4:5]
	;;#ASMEND
.LBB540_7:
	s_or_b64 exec, exec, s[8:9]
	s_load_dword s7, s[4:5], 0x80
	s_mov_b64 s[8:9], -1
	s_and_b64 vcc, exec, s[14:15]
	s_cbranch_vccnz .LBB540_11
; %bb.8:
	s_andn2_b64 vcc, exec, s[8:9]
	s_cbranch_vccz .LBB540_14
.LBB540_9:
	s_cmp_lt_i32 s20, 1
	s_cbranch_scc0 .LBB540_23
.LBB540_10:
	s_endpgm
.LBB540_11:
	s_and_saveexec_b64 s[14:15], s[2:3]
	s_cbranch_execz .LBB540_13
; %bb.12:
	s_waitcnt lgkmcnt(0)
	s_mul_hi_i32 s9, s7, s6
	s_mul_i32 s8, s7, s6
	s_lshl_b64 s[8:9], s[8:9], 1
	s_add_u32 s8, s28, s8
	s_addc_u32 s9, s29, s9
	s_mov_b32 s16, 0x7060302
	s_and_b32 s9, s9, 0xffff
	s_mov_b32 s11, 0x20000
	s_waitcnt vmcnt(0)
	v_perm_b32 v2, v11, v10, s16
	v_perm_b32 v3, v13, v12, s16
	;; [unrolled: 1-line block ×4, first 2 shown]
	v_lshlrev_b32_e32 v15, 4, v0
	buffer_store_dwordx4 v[2:5], v15, s[8:11], 0 offen
	;;#ASMSTART
	s_nop 0
	;;#ASMEND
.LBB540_13:
	s_or_b64 exec, exec, s[14:15]
	s_cbranch_execnz .LBB540_9
.LBB540_14:
	s_load_dwordx4 s[24:27], s[4:5], 0x70
	s_waitcnt vmcnt(0)
	v_mov_b32_e32 v2, 0
	s_and_saveexec_b64 s[14:15], s[2:3]
	s_cbranch_execz .LBB540_16
; %bb.15:
	s_load_dwordx2 s[8:9], s[4:5], 0x10
	s_waitcnt lgkmcnt(0)
	s_mul_hi_i32 s35, s27, s6
	s_mul_i32 s34, s27, s6
	s_lshl_b64 s[34:35], s[34:35], 1
	s_mov_b32 s16, 0x7060302
	s_add_u32 s8, s8, s34
	s_addc_u32 s9, s9, s35
	s_mov_b32 s11, 0x20000
	s_and_b32 s9, s9, 0xffff
	v_perm_b32 v2, v11, v10, s16
	v_perm_b32 v3, v13, v12, s16
	;; [unrolled: 1-line block ×4, first 2 shown]
	v_lshlrev_b32_e32 v15, 4, v0
	buffer_store_dwordx4 v[2:5], v15, s[8:11], 0 offen
	;;#ASMSTART
	s_nop 0
	;;#ASMEND
	s_nop 0
	v_mov_b32_e32 v2, 0x2edbe6ff
.LBB540_16:
	s_or_b64 exec, exec, s[14:15]
	s_and_saveexec_b64 s[8:9], s[2:3]
	s_cbranch_execz .LBB540_18
; %bb.17:
	v_and_b32_e32 v3, 0x7fffffff, v10
	v_and_b32_e32 v4, 0x7fffffff, v11
	;;#ASMSTART
	v_max3_f32 v2, v2, v3, v4

	;;#ASMEND
	v_and_b32_e32 v3, 0x7fffffff, v12
	v_and_b32_e32 v4, 0x7fffffff, v13
	;;#ASMSTART
	v_max3_f32 v2, v2, v3, v4

	;;#ASMEND
	;; [unrolled: 6-line block ×4, first 2 shown]
.LBB540_18:
	s_or_b64 exec, exec, s[8:9]
	;;#ASMSTART
	v_max_f32 v3, v2, v2 quad_perm:[1,0,3,2] row_mask:0xf bank_mask:0xf bound_ctrl:1
	;;#ASMEND
	;;#ASMSTART
	v_max_f32 v4, v3, v3 quad_perm:[2,3,0,1] row_mask:0xf bank_mask:0xf bound_ctrl:1
	;;#ASMEND
	v_and_b32_e32 v3, 7, v0
	v_cmp_eq_u32_e32 vcc, 0, v3
	v_cmp_gt_i32_e64 s[8:9], s19, v1
	s_and_b64 s[10:11], vcc, s[8:9]
	;;#ASMSTART
	v_max_f32 v2, v4, v4 row_half_mirror row_mask:0xf bank_mask:0xf bound_ctrl:1
	;;#ASMEND
	s_and_saveexec_b64 s[8:9], s[10:11]
	s_cbranch_execz .LBB540_20
; %bb.19:
	s_load_dwordx2 s[10:11], s[4:5], 0x8
	v_mul_f32_e32 v2, 0x3e2aaaab, v2
	v_lshrrev_b32_e32 v3, 23, v2
	v_and_b32_e32 v4, 0x7f800000, v2
	v_and_b32_e32 v2, 0x7fffff, v2
	v_cmp_ne_u32_e32 vcc, 0, v2
	s_waitcnt lgkmcnt(0)
	s_mul_i32 s16, s25, s6
	s_mov_b32 s14, 0x7f800000
	v_addc_co_u32_e32 v2, vcc, 0, v3, vcc
	s_mul_hi_i32 s15, s25, s6
	s_add_u32 s10, s10, s16
	v_cmp_ne_u32_e32 vcc, s14, v4
	s_addc_u32 s11, s11, s15
	v_lshrrev_b32_e32 v5, 3, v0
	v_cndmask_b32_e32 v4, -1, v2, vcc
	v_pk_mov_b32 v[2:3], s[10:11], s[10:11] op_sel:[0,1]
	v_mad_i64_i32 v[2:3], s[10:11], s26, v5, v[2:3]
	global_store_byte v[2:3], v4, off
.LBB540_20:
	s_or_b64 exec, exec, s[8:9]
	s_and_saveexec_b64 s[8:9], s[2:3]
	s_cbranch_execz .LBB540_22
; %bb.21:
	s_load_dwordx2 s[2:3], s[4:5], 0x0
	s_waitcnt lgkmcnt(0)
	s_mul_i32 s11, s24, s6
	s_mul_hi_i32 s10, s24, s6
	v_lshlrev_b32_e32 v2, 2, v0
	s_mov_b32 s27, 0x20000
	s_add_u32 s24, s2, s11
	s_addc_u32 s2, s3, s10
	s_lshr_b32 s3, s19, 31
	s_add_i32 s3, s19, s3
	s_ashr_i32 s3, s3, 1
	s_add_i32 s3, s3, 3
	s_ashr_i32 s10, s3, 31
	s_lshr_b32 s10, s10, 30
	s_add_i32 s3, s3, s10
	s_and_b32 s26, s3, -4
	s_and_b32 s25, s2, 0xffff
	v_mov_b32_e32 v3, 0
	buffer_store_dword v3, v2, s[24:27], 0 offen
	;;#ASMSTART
	s_nop 0
	;;#ASMEND
.LBB540_22:
	s_or_b64 exec, exec, s[8:9]
	s_cmp_lt_i32 s20, 1
	s_cbranch_scc1 .LBB540_10
.LBB540_23:
	s_load_dword s2, s[4:5], 0x94
	s_waitcnt lgkmcnt(0)
	s_cmp_lg_u32 s2, 1
	s_cbranch_scc1 .LBB540_10
; %bb.24:
	s_lshl_b32 s2, s20, 1
	s_add_i32 s2, s2, 2
	v_cmp_gt_u32_e32 vcc, s20, v1
	s_and_b32 s14, s2, -4
	v_mov_b32_e32 v6, 0
	v_lshlrev_b32_e32 v1, 4, v0
	v_mov_b32_e32 v7, 0
	v_mov_b32_e32 v8, 0
	;; [unrolled: 1-line block ×3, first 2 shown]
	s_waitcnt vmcnt(0)
	v_mov_b32_e32 v2, 0
	v_mov_b32_e32 v3, 0
	;; [unrolled: 1-line block ×4, first 2 shown]
	s_barrier
	s_and_saveexec_b64 s[2:3], vcc
	s_cbranch_execz .LBB540_26
; %bb.25:
	s_mul_hi_i32 s5, s22, s6
	s_mul_i32 s4, s22, s6
	s_and_b32 s13, s13, 0xffff
	s_lshl_b64 s[4:5], s[4:5], 1
	s_add_u32 s8, s30, s4
	s_mov_b32 s15, 0x20000
	s_addc_u32 s4, s31, s5
	s_and_b32 s9, s4, 0xffff
	s_mov_b32 s10, s14
	s_mov_b32 s11, s15
	buffer_load_dwordx4 v[6:9], v1, s[8:11], 0 offen glc slc
	buffer_load_dwordx4 v[2:5], v1, s[12:15], 0 offen
.LBB540_26:
	s_or_b64 exec, exec, s[2:3]
	s_waitcnt vmcnt(1)
	v_cvt_f32_u32_sdwa v13, v6 dst_sel:DWORD dst_unused:UNUSED_PAD src0_sel:WORD_1
	v_cvt_f32_u32_sdwa v12, v6 dst_sel:DWORD dst_unused:UNUSED_PAD src0_sel:WORD_0
	v_cvt_f32_u32_sdwa v6, v9 dst_sel:DWORD dst_unused:UNUSED_PAD src0_sel:WORD_1
	v_cvt_f32_u32_sdwa v9, v9 dst_sel:DWORD dst_unused:UNUSED_PAD src0_sel:WORD_0
	;; [unrolled: 2-line block ×4, first 2 shown]
	v_cndmask_b32_e32 v13, 0, v13, vcc
	v_cndmask_b32_e32 v7, 0, v6, vcc
	;; [unrolled: 1-line block ×5, first 2 shown]
	v_mul_f32_e32 v15, v13, v13
	v_cndmask_b32_e32 v10, 0, v10, vcc
	v_fmac_f32_e32 v15, v12, v12
	v_cndmask_b32_e32 v11, 0, v11, vcc
	v_fmac_f32_e32 v15, v10, v10
	;; [unrolled: 2-line block ×3, first 2 shown]
	v_fmac_f32_e32 v15, v8, v8
	v_fmac_f32_e32 v15, v9, v9
	;; [unrolled: 1-line block ×4, first 2 shown]
	s_nop 1
	v_mov_b32_dpp v16, v15 quad_perm:[1,0,3,2] row_mask:0xf bank_mask:0xf
	v_add_f32_e32 v15, v15, v16
	s_nop 1
	v_mov_b32_dpp v16, v15 quad_perm:[2,3,0,1] row_mask:0xf bank_mask:0xf
	v_add_f32_e32 v15, v15, v16
	s_nop 1
	v_mov_b32_dpp v16, v15 row_half_mirror row_mask:0xf bank_mask:0xf
	v_add_f32_e32 v15, v15, v16
	s_nop 1
	v_mov_b32_dpp v16, v15 row_mirror row_mask:0xf bank_mask:0xf
	v_add_f32_e32 v15, v15, v16
	s_nop 1
	v_mov_b32_dpp v16, v15 row_bcast:15 row_mask:0xf bank_mask:0xf
	v_add_f32_e32 v15, v15, v16
	s_nop 1
	v_mov_b32_dpp v16, v15 row_bcast:31 row_mask:0xf bank_mask:0xf
	s_and_saveexec_b64 s[2:3], s[0:1]
	s_cbranch_execz .LBB540_28
; %bb.27:
	v_lshrrev_b32_e32 v0, 4, v0
	v_add_f32_e32 v15, v15, v16
	v_and_b32_e32 v0, 60, v0
	ds_write_b32 v0, v15
.LBB540_28:
	s_or_b64 exec, exec, s[2:3]
	s_waitcnt lgkmcnt(0)
	s_barrier
	ds_read_b32 v0, v14
	s_waitcnt lgkmcnt(0)
	s_nop 0
	v_mov_b32_dpp v14, v0 quad_perm:[1,0,3,2] row_mask:0xf bank_mask:0xf
	v_add_f32_e32 v0, v0, v14
	s_nop 1
	v_mov_b32_dpp v14, v0 quad_perm:[2,3,0,1] row_mask:0xf bank_mask:0xf
	s_and_saveexec_b64 s[0:1], vcc
	s_cbranch_execz .LBB540_10
; %bb.29:
	v_cvt_f32_u32_e32 v15, s20
	v_add_f32_e32 v0, v0, v14
	s_mov_b32 s15, 0x20000
	v_div_scale_f32 v14, s[0:1], v15, v15, v0
	v_rcp_f32_e32 v16, v14
	v_div_scale_f32 v17, vcc, v0, v15, v0
	s_mov_b32 s0, 0x800000
	v_fma_f32 v18, -v14, v16, 1.0
	v_fmac_f32_e32 v16, v18, v16
	v_mul_f32_e32 v18, v17, v16
	v_fma_f32 v19, -v14, v18, v17
	v_fmac_f32_e32 v18, v19, v16
	v_fma_f32 v14, -v14, v18, v17
	v_div_fmas_f32 v14, v14, v16, v18
	v_div_fixup_f32 v0, v14, v15, v0
	v_add_f32_e32 v0, s17, v0
	v_mul_f32_e32 v14, 0x4b800000, v0
	v_cmp_gt_f32_e32 vcc, s0, v0
	v_cndmask_b32_e32 v0, v0, v14, vcc
	v_rsq_f32_e32 v0, v0
	s_waitcnt vmcnt(0)
	v_cvt_f32_u32_sdwa v17, v2 dst_sel:DWORD dst_unused:UNUSED_PAD src0_sel:WORD_1
	v_cvt_f32_u32_sdwa v16, v2 dst_sel:DWORD dst_unused:UNUSED_PAD src0_sel:WORD_0
	v_cvt_f32_u32_sdwa v19, v3 dst_sel:DWORD dst_unused:UNUSED_PAD src0_sel:WORD_1
	v_mul_f32_e32 v14, 0x45800000, v0
	v_cndmask_b32_e32 v14, v0, v14, vcc
	v_mov_b32_e32 v15, v14
	;;#ASMSTART
	v_pk_mul_f32 v[12:13], v[12:13], v[14:15]
	;;#ASMEND
	;;#ASMSTART
	v_pk_mul_f32 v[10:11], v[10:11], v[14:15]
	;;#ASMEND
	;; [unrolled: 3-line block ×3, first 2 shown]
	v_cvt_f32_u32_sdwa v18, v3 dst_sel:DWORD dst_unused:UNUSED_PAD src0_sel:WORD_0
	;;#ASMSTART
	v_pk_mul_f32 v[2:3], v[6:7], v[14:15]
	;;#ASMEND
	v_cvt_f32_u32_sdwa v15, v4 dst_sel:DWORD dst_unused:UNUSED_PAD src0_sel:WORD_1
	v_cvt_f32_u32_sdwa v14, v4 dst_sel:DWORD dst_unused:UNUSED_PAD src0_sel:WORD_0
	v_pk_add_f32 v[6:7], v[16:17], 1.0 op_sel_hi:[1,0]
	v_cvt_f32_u32_sdwa v17, v5 dst_sel:DWORD dst_unused:UNUSED_PAD src0_sel:WORD_1
	v_cvt_f32_u32_sdwa v16, v5 dst_sel:DWORD dst_unused:UNUSED_PAD src0_sel:WORD_0
	s_mul_hi_i32 s1, s7, s6
	s_mul_i32 s0, s7, s6
	s_lshl_b64 s[0:1], s[0:1], 1
	s_add_u32 s12, s28, s0
	;;#ASMSTART
	v_pk_mul_f32 v[6:7], v[12:13], v[6:7]
	;;#ASMEND
	v_pk_add_f32 v[12:13], v[18:19], 1.0 op_sel_hi:[1,0]
	;;#ASMSTART
	v_pk_mul_f32 v[4:5], v[10:11], v[12:13]
	;;#ASMEND
	v_pk_add_f32 v[10:11], v[14:15], 1.0 op_sel_hi:[1,0]
	s_addc_u32 s0, s29, s1
	;;#ASMSTART
	v_pk_mul_f32 v[8:9], v[8:9], v[10:11]
	;;#ASMEND
	v_pk_add_f32 v[10:11], v[16:17], 1.0 op_sel_hi:[1,0]
	s_and_b32 s13, s0, 0xffff
	s_mov_b32 s0, 0x7060302
	;;#ASMSTART
	v_pk_mul_f32 v[10:11], v[2:3], v[10:11]
	;;#ASMEND
	v_perm_b32 v2, v7, v6, s0
	v_perm_b32 v3, v5, v4, s0
	v_perm_b32 v4, v9, v8, s0
	v_perm_b32 v5, v11, v10, s0
	buffer_store_dwordx4 v[2:5], v1, s[12:15], 0 offen
	;;#ASMSTART
	s_nop 0
	;;#ASMEND
	s_endpgm
	.section	.rodata,"a",@progbits
	.p2align	6, 0x0
	.amdhsa_kernel _ZN5aiter35fused_qk_rmsnorm_group_quant_kernelItN4opus5fp4_tELi256ELi8ELi8ELb0ELb1ELb1ELb0ELb0ELb0EEEvPT0_PvPT_S7_S7_PKS6_S9_S9_S9_S9_ffiiiiiiiiiiiii
		.amdhsa_group_segment_fixed_size 32
		.amdhsa_private_segment_fixed_size 0
		.amdhsa_kernarg_size 400
		.amdhsa_user_sgpr_count 6
		.amdhsa_user_sgpr_private_segment_buffer 1
		.amdhsa_user_sgpr_dispatch_ptr 0
		.amdhsa_user_sgpr_queue_ptr 0
		.amdhsa_user_sgpr_kernarg_segment_ptr 1
		.amdhsa_user_sgpr_dispatch_id 0
		.amdhsa_user_sgpr_flat_scratch_init 0
		.amdhsa_user_sgpr_kernarg_preload_length 0
		.amdhsa_user_sgpr_kernarg_preload_offset 0
		.amdhsa_user_sgpr_private_segment_size 0
		.amdhsa_uses_dynamic_stack 0
		.amdhsa_system_sgpr_private_segment_wavefront_offset 0
		.amdhsa_system_sgpr_workgroup_id_x 1
		.amdhsa_system_sgpr_workgroup_id_y 1
		.amdhsa_system_sgpr_workgroup_id_z 0
		.amdhsa_system_sgpr_workgroup_info 0
		.amdhsa_system_vgpr_workitem_id 0
		.amdhsa_next_free_vgpr 23
		.amdhsa_next_free_sgpr 36
		.amdhsa_accum_offset 24
		.amdhsa_reserve_vcc 1
		.amdhsa_reserve_flat_scratch 0
		.amdhsa_float_round_mode_32 0
		.amdhsa_float_round_mode_16_64 0
		.amdhsa_float_denorm_mode_32 3
		.amdhsa_float_denorm_mode_16_64 3
		.amdhsa_dx10_clamp 1
		.amdhsa_ieee_mode 1
		.amdhsa_fp16_overflow 0
		.amdhsa_tg_split 0
		.amdhsa_exception_fp_ieee_invalid_op 0
		.amdhsa_exception_fp_denorm_src 0
		.amdhsa_exception_fp_ieee_div_zero 0
		.amdhsa_exception_fp_ieee_overflow 0
		.amdhsa_exception_fp_ieee_underflow 0
		.amdhsa_exception_fp_ieee_inexact 0
		.amdhsa_exception_int_div_zero 0
	.end_amdhsa_kernel
	.section	.text._ZN5aiter35fused_qk_rmsnorm_group_quant_kernelItN4opus5fp4_tELi256ELi8ELi8ELb0ELb1ELb1ELb0ELb0ELb0EEEvPT0_PvPT_S7_S7_PKS6_S9_S9_S9_S9_ffiiiiiiiiiiiii,"axG",@progbits,_ZN5aiter35fused_qk_rmsnorm_group_quant_kernelItN4opus5fp4_tELi256ELi8ELi8ELb0ELb1ELb1ELb0ELb0ELb0EEEvPT0_PvPT_S7_S7_PKS6_S9_S9_S9_S9_ffiiiiiiiiiiiii,comdat
.Lfunc_end540:
	.size	_ZN5aiter35fused_qk_rmsnorm_group_quant_kernelItN4opus5fp4_tELi256ELi8ELi8ELb0ELb1ELb1ELb0ELb0ELb0EEEvPT0_PvPT_S7_S7_PKS6_S9_S9_S9_S9_ffiiiiiiiiiiiii, .Lfunc_end540-_ZN5aiter35fused_qk_rmsnorm_group_quant_kernelItN4opus5fp4_tELi256ELi8ELi8ELb0ELb1ELb1ELb0ELb0ELb0EEEvPT0_PvPT_S7_S7_PKS6_S9_S9_S9_S9_ffiiiiiiiiiiiii
                                        ; -- End function
	.section	.AMDGPU.csdata,"",@progbits
; Kernel info:
; codeLenInByte = 2500
; NumSgprs: 40
; NumVgprs: 23
; NumAgprs: 0
; TotalNumVgprs: 23
; ScratchSize: 0
; MemoryBound: 0
; FloatMode: 240
; IeeeMode: 1
; LDSByteSize: 32 bytes/workgroup (compile time only)
; SGPRBlocks: 4
; VGPRBlocks: 2
; NumSGPRsForWavesPerEU: 40
; NumVGPRsForWavesPerEU: 23
; AccumOffset: 24
; Occupancy: 8
; WaveLimiterHint : 0
; COMPUTE_PGM_RSRC2:SCRATCH_EN: 0
; COMPUTE_PGM_RSRC2:USER_SGPR: 6
; COMPUTE_PGM_RSRC2:TRAP_HANDLER: 0
; COMPUTE_PGM_RSRC2:TGID_X_EN: 1
; COMPUTE_PGM_RSRC2:TGID_Y_EN: 1
; COMPUTE_PGM_RSRC2:TGID_Z_EN: 0
; COMPUTE_PGM_RSRC2:TIDIG_COMP_CNT: 0
; COMPUTE_PGM_RSRC3_GFX90A:ACCUM_OFFSET: 5
; COMPUTE_PGM_RSRC3_GFX90A:TG_SPLIT: 0
	.section	.text._ZN5aiter35fused_qk_rmsnorm_group_quant_kernelIDF16_DB8_Li256ELi8ELi8ELb0ELb1ELb0ELb0ELb0ELb0EEEvPT0_PvPT_S6_S6_PKS5_S8_S8_S8_S8_ffiiiiiiiiiiiii,"axG",@progbits,_ZN5aiter35fused_qk_rmsnorm_group_quant_kernelIDF16_DB8_Li256ELi8ELi8ELb0ELb1ELb0ELb0ELb0ELb0EEEvPT0_PvPT_S6_S6_PKS5_S8_S8_S8_S8_ffiiiiiiiiiiiii,comdat
	.protected	_ZN5aiter35fused_qk_rmsnorm_group_quant_kernelIDF16_DB8_Li256ELi8ELi8ELb0ELb1ELb0ELb0ELb0ELb0EEEvPT0_PvPT_S6_S6_PKS5_S8_S8_S8_S8_ffiiiiiiiiiiiii ; -- Begin function _ZN5aiter35fused_qk_rmsnorm_group_quant_kernelIDF16_DB8_Li256ELi8ELi8ELb0ELb1ELb0ELb0ELb0ELb0EEEvPT0_PvPT_S6_S6_PKS5_S8_S8_S8_S8_ffiiiiiiiiiiiii
	.globl	_ZN5aiter35fused_qk_rmsnorm_group_quant_kernelIDF16_DB8_Li256ELi8ELi8ELb0ELb1ELb0ELb0ELb0ELb0EEEvPT0_PvPT_S6_S6_PKS5_S8_S8_S8_S8_ffiiiiiiiiiiiii
	.p2align	8
	.type	_ZN5aiter35fused_qk_rmsnorm_group_quant_kernelIDF16_DB8_Li256ELi8ELi8ELb0ELb1ELb0ELb0ELb0ELb0EEEvPT0_PvPT_S6_S6_PKS5_S8_S8_S8_S8_ffiiiiiiiiiiiii,@function
_ZN5aiter35fused_qk_rmsnorm_group_quant_kernelIDF16_DB8_Li256ELi8ELi8ELb0ELb1ELb0ELb0ELb0ELb0EEEvPT0_PvPT_S6_S6_PKS5_S8_S8_S8_S8_ffiiiiiiiiiiiii: ; @_ZN5aiter35fused_qk_rmsnorm_group_quant_kernelIDF16_DB8_Li256ELi8ELi8ELb0ELb1ELb0ELb0ELb0ELb0EEEvPT0_PvPT_S6_S6_PKS5_S8_S8_S8_S8_ffiiiiiiiiiiiii
; %bb.0:
	s_load_dwordx4 s[16:19], s[4:5], 0x50
	s_waitcnt lgkmcnt(0)
	s_cmp_ge_i32 s6, s18
	s_cbranch_scc1 .LBB541_12
; %bb.1:
	s_load_dwordx2 s[12:13], s[4:5], 0x48
	s_load_dwordx2 s[30:31], s[4:5], 0x30
	s_load_dwordx4 s[20:23], s[4:5], 0x60
	s_cmp_lg_u32 s7, 0
	s_cselect_b64 s[14:15], -1, 0
	s_cmp_eq_u32 s7, 0
	s_cselect_b64 vcc, -1, 0
	s_and_b64 s[0:1], vcc, exec
	s_waitcnt lgkmcnt(0)
	s_cselect_b32 s7, s19, s20
	s_add_i32 s0, s7, 1
	s_lshr_b32 s1, s0, 31
	s_add_i32 s0, s0, s1
	s_lshl_b32 s0, s0, 1
	v_lshlrev_b32_e32 v1, 3, v0
	s_and_b32 s10, s0, -4
	v_cmp_gt_i32_e64 s[2:3], s7, v1
	v_mov_b32_e32 v10, 0
	v_mov_b32_e32 v2, 0
	;; [unrolled: 1-line block ×9, first 2 shown]
	s_and_saveexec_b64 s[0:1], s[2:3]
	s_cbranch_execz .LBB541_3
; %bb.2:
	s_load_dwordx2 s[8:9], s[4:5], 0x28
	s_load_dwordx2 s[26:27], s[4:5], 0x40
	s_and_b64 s[24:25], vcc, exec
	s_cselect_b32 s11, s21, s22
	v_lshlrev_b32_e32 v11, 4, v0
	s_waitcnt lgkmcnt(0)
	s_cselect_b32 s18, s9, s31
	s_cselect_b32 s21, s8, s30
	s_mul_hi_i32 s9, s11, s6
	s_mul_i32 s8, s11, s6
	s_lshl_b64 s[8:9], s[8:9], 1
	s_add_u32 s24, s21, s8
	s_addc_u32 s18, s18, s9
	s_and_b64 s[8:9], vcc, exec
	s_mov_b32 s11, 0x20000
	s_cselect_b32 s8, s26, s12
	s_cselect_b32 s9, s27, s13
	s_and_b32 s25, s18, 0xffff
	s_mov_b32 s26, s10
	s_mov_b32 s27, s11
	s_and_b32 s9, s9, 0xffff
	buffer_load_dwordx4 v[6:9], v11, s[24:27], 0 offen glc slc
	buffer_load_dwordx4 v[2:5], v11, s[8:11], 0 offen
.LBB541_3:
	s_or_b64 exec, exec, s[0:1]
	v_mov_b32_e32 v11, 0
	v_mov_b32_e32 v16, 0
	;; [unrolled: 1-line block ×7, first 2 shown]
	s_and_saveexec_b64 s[0:1], s[2:3]
	s_cbranch_execz .LBB541_5
; %bb.4:
	s_waitcnt vmcnt(1)
	v_cvt_f32_f16_sdwa v11, v6 dst_sel:DWORD dst_unused:UNUSED_PAD src0_sel:WORD_1
	v_cvt_f32_f16_e32 v10, v6
	v_cvt_f32_f16_sdwa v17, v7 dst_sel:DWORD dst_unused:UNUSED_PAD src0_sel:WORD_1
	v_cvt_f32_f16_e32 v16, v7
	;; [unrolled: 2-line block ×4, first 2 shown]
.LBB541_5:
	s_or_b64 exec, exec, s[0:1]
	s_waitcnt vmcnt(1)
	v_mul_f32_e32 v6, v11, v11
	v_fmac_f32_e32 v6, v10, v10
	v_fmac_f32_e32 v6, v16, v16
	;; [unrolled: 1-line block ×7, first 2 shown]
	v_and_b32_e32 v8, 63, v0
	v_cmp_eq_u32_e64 s[0:1], 63, v8
	v_mov_b32_dpp v7, v6 quad_perm:[1,0,3,2] row_mask:0xf bank_mask:0xf
	v_add_f32_e32 v6, v6, v7
	s_nop 1
	v_mov_b32_dpp v7, v6 quad_perm:[2,3,0,1] row_mask:0xf bank_mask:0xf
	v_add_f32_e32 v6, v6, v7
	s_nop 1
	v_mov_b32_dpp v7, v6 row_half_mirror row_mask:0xf bank_mask:0xf
	v_add_f32_e32 v6, v6, v7
	s_nop 1
	v_mov_b32_dpp v7, v6 row_mirror row_mask:0xf bank_mask:0xf
	v_add_f32_e32 v6, v6, v7
	s_nop 1
	v_mov_b32_dpp v7, v6 row_bcast:15 row_mask:0xf bank_mask:0xf
	v_add_f32_e32 v6, v6, v7
	s_nop 1
	v_mov_b32_dpp v7, v6 row_bcast:31 row_mask:0xf bank_mask:0xf
	s_and_saveexec_b64 s[8:9], s[0:1]
	s_cbranch_execz .LBB541_7
; %bb.6:
	v_add_f32_e32 v6, v6, v7
	v_lshrrev_b32_e32 v7, 4, v0
	v_and_b32_e32 v7, 60, v7
	ds_write_b32 v7, v6 offset:16
.LBB541_7:
	s_or_b64 exec, exec, s[8:9]
	v_and_b32_e32 v6, 3, v0
	v_lshlrev_b32_e32 v18, 2, v6
	s_waitcnt lgkmcnt(0)
	s_barrier
	ds_read_b32 v6, v18 offset:16
	s_load_dwordx2 s[28:29], s[4:5], 0x18
	s_waitcnt lgkmcnt(0)
	v_mov_b32_dpp v7, v6 quad_perm:[1,0,3,2] row_mask:0xf bank_mask:0xf
	v_add_f32_e32 v6, v6, v7
	s_nop 1
	v_mov_b32_dpp v7, v6 quad_perm:[2,3,0,1] row_mask:0xf bank_mask:0xf
	s_and_saveexec_b64 s[8:9], s[2:3]
	s_cbranch_execz .LBB541_9
; %bb.8:
	v_cvt_f32_u32_e32 v8, s7
	v_add_f32_e32 v6, v6, v7
	v_mov_b32_e32 v19, s17
	v_mov_b32_e32 v20, s16
	v_div_scale_f32 v7, s[24:25], v8, v8, v6
	v_rcp_f32_e32 v9, v7
	v_cndmask_b32_e32 v19, v19, v20, vcc
	s_mov_b32 s7, 0x800000
	v_fma_f32 v20, -v7, v9, 1.0
	v_fmac_f32_e32 v9, v20, v9
	v_div_scale_f32 v20, vcc, v6, v8, v6
	v_mul_f32_e32 v21, v20, v9
	v_fma_f32 v22, -v7, v21, v20
	v_fmac_f32_e32 v21, v22, v9
	v_fma_f32 v7, -v7, v21, v20
	v_div_fmas_f32 v7, v7, v9, v21
	v_div_fixup_f32 v6, v7, v8, v6
	v_add_f32_e32 v6, v19, v6
	v_mul_f32_e32 v7, 0x4b800000, v6
	v_cmp_gt_f32_e32 vcc, s7, v6
	v_cndmask_b32_e32 v6, v6, v7, vcc
	v_rsq_f32_e32 v6, v6
	s_waitcnt vmcnt(0)
	v_cvt_f32_f16_sdwa v21, v5 dst_sel:DWORD dst_unused:UNUSED_PAD src0_sel:WORD_1
	v_cvt_f32_f16_e32 v20, v5
	v_mul_f32_e32 v7, 0x45800000, v6
	v_cndmask_b32_e32 v6, v6, v7, vcc
	v_mov_b32_e32 v7, v6
	;;#ASMSTART
	v_pk_mul_f32 v[8:9], v[10:11], v[6:7]
	;;#ASMEND
	;;#ASMSTART
	v_pk_mul_f32 v[16:17], v[16:17], v[6:7]
	;;#ASMEND
	;; [unrolled: 3-line block ×4, first 2 shown]
	v_cvt_f32_f16_sdwa v11, v2 dst_sel:DWORD dst_unused:UNUSED_PAD src0_sel:WORD_1
	v_cvt_f32_f16_e32 v10, v2
	v_cvt_f32_f16_sdwa v13, v3 dst_sel:DWORD dst_unused:UNUSED_PAD src0_sel:WORD_1
	v_cvt_f32_f16_e32 v12, v3
	;; [unrolled: 2-line block ×3, first 2 shown]
	;;#ASMSTART
	v_pk_mul_f32 v[10:11], v[8:9], v[10:11]
	;;#ASMEND
	;;#ASMSTART
	v_pk_mul_f32 v[16:17], v[16:17], v[12:13]
	;;#ASMEND
	;; [unrolled: 3-line block ×4, first 2 shown]
.LBB541_9:
	s_or_b64 exec, exec, s[8:9]
	s_load_dword s7, s[4:5], 0x80
	s_mov_b64 s[8:9], -1
	s_and_b64 vcc, exec, s[14:15]
	s_cbranch_vccnz .LBB541_13
; %bb.10:
	s_andn2_b64 vcc, exec, s[8:9]
	s_cbranch_vccz .LBB541_16
.LBB541_11:
	s_cmp_lt_i32 s20, 1
	s_cbranch_scc0 .LBB541_25
.LBB541_12:
	s_endpgm
.LBB541_13:
	s_and_saveexec_b64 s[14:15], s[2:3]
	s_cbranch_execz .LBB541_15
; %bb.14:
	s_waitcnt lgkmcnt(0)
	s_mul_hi_i32 s9, s7, s6
	s_mul_i32 s8, s7, s6
	s_waitcnt vmcnt(0)
	v_cvt_f16_f32_e32 v2, v10
	v_cvt_f16_f32_e32 v3, v16
	;; [unrolled: 1-line block ×8, first 2 shown]
	s_lshl_b64 s[8:9], s[8:9], 1
	s_add_u32 s8, s28, s8
	s_addc_u32 s9, s29, s9
	s_and_b32 s9, s9, 0xffff
	s_mov_b32 s11, 0x20000
	v_pack_b32_f16 v5, v5, v6
	v_pack_b32_f16 v4, v4, v7
	;; [unrolled: 1-line block ×4, first 2 shown]
	v_lshlrev_b32_e32 v6, 4, v0
	buffer_store_dwordx4 v[2:5], v6, s[8:11], 0 offen
	;;#ASMSTART
	s_nop 0
	;;#ASMEND
.LBB541_15:
	s_or_b64 exec, exec, s[14:15]
	s_cbranch_execnz .LBB541_11
.LBB541_16:
	s_load_dwordx4 s[24:27], s[4:5], 0x70
	s_waitcnt vmcnt(0)
	v_mov_b32_e32 v2, 0
	s_and_saveexec_b64 s[14:15], s[2:3]
	s_cbranch_execz .LBB541_18
; %bb.17:
	s_load_dwordx2 s[8:9], s[4:5], 0x10
	s_waitcnt lgkmcnt(0)
	s_mul_hi_i32 s35, s27, s6
	s_mul_i32 s34, s27, s6
	v_cvt_f16_f32_e32 v2, v10
	v_cvt_f16_f32_e32 v3, v16
	v_cvt_f16_f32_e32 v4, v14
	v_cvt_f16_f32_e32 v5, v12
	v_cvt_f16_f32_e32 v6, v13
	v_cvt_f16_f32_e32 v7, v15
	v_cvt_f16_f32_e32 v8, v17
	v_cvt_f16_f32_e32 v9, v11
	s_lshl_b64 s[34:35], s[34:35], 1
	s_add_u32 s8, s8, s34
	s_addc_u32 s9, s9, s35
	s_mov_b32 s11, 0x20000
	s_and_b32 s9, s9, 0xffff
	v_pack_b32_f16 v5, v5, v6
	v_pack_b32_f16 v4, v4, v7
	;; [unrolled: 1-line block ×4, first 2 shown]
	v_lshlrev_b32_e32 v6, 4, v0
	buffer_store_dwordx4 v[2:5], v6, s[8:11], 0 offen
	;;#ASMSTART
	s_nop 0
	;;#ASMEND
	s_nop 0
	v_mov_b32_e32 v2, 0x2edbe6ff
.LBB541_18:
	s_or_b64 exec, exec, s[14:15]
	s_and_saveexec_b64 s[8:9], s[2:3]
	s_cbranch_execz .LBB541_20
; %bb.19:
	v_and_b32_e32 v3, 0x7fffffff, v10
	v_and_b32_e32 v4, 0x7fffffff, v11
	;;#ASMSTART
	v_max3_f32 v2, v2, v3, v4

	;;#ASMEND
	v_and_b32_e32 v3, 0x7fffffff, v16
	v_and_b32_e32 v4, 0x7fffffff, v17
	;;#ASMSTART
	v_max3_f32 v2, v2, v3, v4

	;;#ASMEND
	;; [unrolled: 6-line block ×4, first 2 shown]
.LBB541_20:
	s_or_b64 exec, exec, s[8:9]
	;;#ASMSTART
	v_max_f32 v3, v2, v2 quad_perm:[1,0,3,2] row_mask:0xf bank_mask:0xf bound_ctrl:1
	;;#ASMEND
	;;#ASMSTART
	v_max_f32 v2, v3, v3 quad_perm:[2,3,0,1] row_mask:0xf bank_mask:0xf bound_ctrl:1
	;;#ASMEND
	;;#ASMSTART
	v_max_f32 v3, v2, v2 row_half_mirror row_mask:0xf bank_mask:0xf bound_ctrl:1
	;;#ASMEND
	v_mul_f32_e32 v2, 0x3b124925, v3
	v_and_b32_e32 v3, 7, v0
	v_cmp_eq_u32_e32 vcc, 0, v3
	v_cmp_gt_i32_e64 s[8:9], s19, v1
	s_and_b64 s[10:11], vcc, s[8:9]
	s_and_saveexec_b64 s[8:9], s[10:11]
	s_cbranch_execz .LBB541_22
; %bb.21:
	s_load_dwordx2 s[10:11], s[4:5], 0x8
	s_waitcnt lgkmcnt(0)
	s_mul_hi_i32 s15, s25, s6
	s_mul_i32 s14, s25, s6
	v_lshrrev_b32_e32 v3, 3, v0
	s_lshl_b64 s[14:15], s[14:15], 2
	v_mad_i64_i32 v[4:5], s[26:27], s26, v3, 0
	s_add_u32 s10, s10, s14
	s_addc_u32 s11, s11, s15
	v_lshlrev_b64 v[4:5], 2, v[4:5]
	v_mov_b32_e32 v3, s11
	v_add_co_u32_e32 v4, vcc, s10, v4
	v_addc_co_u32_e32 v5, vcc, v3, v5, vcc
	global_store_dword v[4:5], v2, off
.LBB541_22:
	s_or_b64 exec, exec, s[8:9]
	;;#ASMSTART
	v_rcp_f32 v2, v2
	;;#ASMEND
	s_and_saveexec_b64 s[14:15], s[2:3]
	s_cbranch_execz .LBB541_24
; %bb.23:
	s_load_dwordx2 s[2:3], s[4:5], 0x0
	s_waitcnt lgkmcnt(0)
	s_mul_i32 s8, s24, s6
	s_mul_hi_i32 s9, s24, s6
	v_mov_b32_e32 v3, v2
	;;#ASMSTART
	v_pk_mul_f32 v[4:5], v[10:11], v[2:3]
	;;#ASMEND
	s_add_u32 s8, s2, s8
	s_addc_u32 s2, s3, s9
	s_add_i32 s3, s19, 3
	s_ashr_i32 s9, s3, 31
	v_mov_b32_e32 v8, 0xc3e00000
	v_mov_b32_e32 v9, 0x43e00000
	;;#ASMSTART
	v_med3_f32 v4, v4, v8, v9
v_med3_f32 v5, v5, v8, v9
v_cvt_pk_fp8_f32 v6, v4, v5
	;;#ASMEND
	s_lshr_b32 s9, s9, 30
	;;#ASMSTART
	v_pk_mul_f32 v[4:5], v[16:17], v[2:3]
	;;#ASMEND
	s_add_i32 s3, s3, s9
	s_and_b32 s9, s2, 0xffff
	;;#ASMSTART
	v_med3_f32 v4, v4, v8, v9
v_med3_f32 v5, v5, v8, v9
v_cvt_pk_fp8_f32 v7, v4, v5
	;;#ASMEND
	s_mov_b32 s2, 0x5040100
	v_perm_b32 v5, v7, v6, s2
	s_movk_i32 s2, 0xff
	v_and_b32_e32 v4, 0xffffff00, v7
	v_and_b32_sdwa v6, v5, s2 dst_sel:DWORD dst_unused:UNUSED_PAD src0_sel:WORD_1 src1_sel:DWORD
	s_mov_b32 s16, 0xffff
	v_or_b32_sdwa v4, v6, v4 dst_sel:WORD_1 dst_unused:UNUSED_PAD src0_sel:DWORD src1_sel:DWORD
	v_and_or_b32 v4, v5, s16, v4
	;;#ASMSTART
	v_pk_mul_f32 v[6:7], v[14:15], v[2:3]
	;;#ASMEND
	v_mov_b32_e32 v5, v7
	;;#ASMSTART
	v_med3_f32 v6, v6, v8, v9
v_med3_f32 v5, v5, v8, v9
v_cvt_pk_fp8_f32 v7, v6, v5
	;;#ASMEND
	;;#ASMSTART
	v_pk_mul_f32 v[2:3], v[12:13], v[2:3]
	;;#ASMEND
	;;#ASMSTART
	v_med3_f32 v2, v2, v8, v9
v_med3_f32 v3, v3, v8, v9
v_cvt_pk_fp8_f32 v5, v2, v3
	;;#ASMEND
	v_lshlrev_b32_e32 v2, 16, v5
	s_and_b32 s10, s3, -4
	s_mov_b32 s11, 0x20000
	v_and_or_b32 v5, v7, s16, v2
	buffer_store_dwordx2 v[4:5], v1, s[8:11], 0 offen
	;;#ASMSTART
	s_nop 0
	;;#ASMEND
.LBB541_24:
	s_or_b64 exec, exec, s[14:15]
	s_cmp_lt_i32 s20, 1
	s_cbranch_scc1 .LBB541_12
.LBB541_25:
	s_load_dword s2, s[4:5], 0x94
	s_waitcnt lgkmcnt(0)
	s_cmp_lg_u32 s2, 1
	s_cbranch_scc1 .LBB541_12
; %bb.26:
	s_lshl_b32 s2, s20, 1
	s_add_i32 s2, s2, 2
	v_cmp_gt_u32_e32 vcc, s20, v1
	s_and_b32 s14, s2, -4
	v_mov_b32_e32 v10, 0
	v_lshlrev_b32_e32 v1, 4, v0
	v_mov_b32_e32 v6, 0
	v_mov_b32_e32 v7, 0
	;; [unrolled: 1-line block ×4, first 2 shown]
	s_waitcnt vmcnt(0)
	v_mov_b32_e32 v2, 0
	v_mov_b32_e32 v3, 0
	;; [unrolled: 1-line block ×4, first 2 shown]
	s_barrier
	s_and_saveexec_b64 s[2:3], vcc
	s_cbranch_execz .LBB541_28
; %bb.27:
	s_mul_hi_i32 s5, s22, s6
	s_mul_i32 s4, s22, s6
	s_and_b32 s13, s13, 0xffff
	s_lshl_b64 s[4:5], s[4:5], 1
	s_add_u32 s8, s30, s4
	s_mov_b32 s15, 0x20000
	s_addc_u32 s4, s31, s5
	s_and_b32 s9, s4, 0xffff
	s_mov_b32 s10, s14
	s_mov_b32 s11, s15
	buffer_load_dwordx4 v[6:9], v1, s[8:11], 0 offen glc slc
	buffer_load_dwordx4 v[2:5], v1, s[12:15], 0 offen
.LBB541_28:
	s_or_b64 exec, exec, s[2:3]
	v_mov_b32_e32 v11, 0
	v_mov_b32_e32 v16, 0
	;; [unrolled: 1-line block ×7, first 2 shown]
	s_and_saveexec_b64 s[2:3], vcc
	s_cbranch_execz .LBB541_30
; %bb.29:
	s_waitcnt vmcnt(1)
	v_cvt_f32_f16_sdwa v11, v6 dst_sel:DWORD dst_unused:UNUSED_PAD src0_sel:WORD_1
	v_cvt_f32_f16_e32 v10, v6
	v_cvt_f32_f16_sdwa v17, v7 dst_sel:DWORD dst_unused:UNUSED_PAD src0_sel:WORD_1
	v_cvt_f32_f16_e32 v16, v7
	;; [unrolled: 2-line block ×4, first 2 shown]
.LBB541_30:
	s_or_b64 exec, exec, s[2:3]
	s_waitcnt vmcnt(1)
	v_mul_f32_e32 v6, v11, v11
	v_fmac_f32_e32 v6, v10, v10
	v_fmac_f32_e32 v6, v16, v16
	;; [unrolled: 1-line block ×7, first 2 shown]
	s_nop 1
	v_mov_b32_dpp v7, v6 quad_perm:[1,0,3,2] row_mask:0xf bank_mask:0xf
	v_add_f32_e32 v6, v6, v7
	s_nop 1
	v_mov_b32_dpp v7, v6 quad_perm:[2,3,0,1] row_mask:0xf bank_mask:0xf
	v_add_f32_e32 v6, v6, v7
	s_nop 1
	v_mov_b32_dpp v7, v6 row_half_mirror row_mask:0xf bank_mask:0xf
	v_add_f32_e32 v6, v6, v7
	s_nop 1
	v_mov_b32_dpp v7, v6 row_mirror row_mask:0xf bank_mask:0xf
	v_add_f32_e32 v6, v6, v7
	s_nop 1
	v_mov_b32_dpp v7, v6 row_bcast:15 row_mask:0xf bank_mask:0xf
	v_add_f32_e32 v6, v6, v7
	s_nop 1
	v_mov_b32_dpp v7, v6 row_bcast:31 row_mask:0xf bank_mask:0xf
	s_and_saveexec_b64 s[2:3], s[0:1]
	s_cbranch_execz .LBB541_32
; %bb.31:
	v_lshrrev_b32_e32 v0, 4, v0
	v_add_f32_e32 v6, v6, v7
	v_and_b32_e32 v0, 60, v0
	ds_write_b32 v0, v6
.LBB541_32:
	s_or_b64 exec, exec, s[2:3]
	s_waitcnt lgkmcnt(0)
	s_barrier
	ds_read_b32 v0, v18
	s_waitcnt lgkmcnt(0)
	s_nop 0
	v_mov_b32_dpp v6, v0 quad_perm:[1,0,3,2] row_mask:0xf bank_mask:0xf
	v_add_f32_e32 v0, v0, v6
	s_nop 1
	v_mov_b32_dpp v6, v0 quad_perm:[2,3,0,1] row_mask:0xf bank_mask:0xf
	s_and_saveexec_b64 s[0:1], vcc
	s_cbranch_execz .LBB541_12
; %bb.33:
	v_cvt_f32_u32_e32 v7, s20
	v_add_f32_e32 v0, v0, v6
	s_mov_b32 s15, 0x20000
	v_div_scale_f32 v6, s[0:1], v7, v7, v0
	v_rcp_f32_e32 v8, v6
	v_div_scale_f32 v9, vcc, v0, v7, v0
	s_mov_b32 s0, 0x800000
	v_fma_f32 v18, -v6, v8, 1.0
	v_fmac_f32_e32 v8, v18, v8
	v_mul_f32_e32 v18, v9, v8
	v_fma_f32 v19, -v6, v18, v9
	v_fmac_f32_e32 v18, v19, v8
	v_fma_f32 v6, -v6, v18, v9
	v_div_fmas_f32 v6, v6, v8, v18
	v_div_fixup_f32 v0, v6, v7, v0
	v_add_f32_e32 v0, s17, v0
	v_mul_f32_e32 v6, 0x4b800000, v0
	v_cmp_gt_f32_e32 vcc, s0, v0
	v_cndmask_b32_e32 v0, v0, v6, vcc
	v_rsq_f32_e32 v0, v0
	s_waitcnt vmcnt(0)
	v_cvt_f32_f16_sdwa v19, v5 dst_sel:DWORD dst_unused:UNUSED_PAD src0_sel:WORD_1
	v_cvt_f32_f16_e32 v18, v5
	s_mul_hi_i32 s1, s7, s6
	v_mul_f32_e32 v6, 0x45800000, v0
	v_cndmask_b32_e32 v6, v0, v6, vcc
	v_mov_b32_e32 v7, v6
	;;#ASMSTART
	v_pk_mul_f32 v[8:9], v[10:11], v[6:7]
	;;#ASMEND
	;;#ASMSTART
	v_pk_mul_f32 v[10:11], v[16:17], v[6:7]
	;;#ASMEND
	;; [unrolled: 3-line block ×4, first 2 shown]
	v_cvt_f32_f16_sdwa v13, v2 dst_sel:DWORD dst_unused:UNUSED_PAD src0_sel:WORD_1
	v_cvt_f32_f16_e32 v12, v2
	v_cvt_f32_f16_sdwa v17, v3 dst_sel:DWORD dst_unused:UNUSED_PAD src0_sel:WORD_1
	v_cvt_f32_f16_e32 v16, v3
	;; [unrolled: 2-line block ×3, first 2 shown]
	;;#ASMSTART
	v_pk_mul_f32 v[4:5], v[8:9], v[12:13]
	;;#ASMEND
	;;#ASMSTART
	v_pk_mul_f32 v[8:9], v[10:11], v[16:17]
	;;#ASMEND
	;; [unrolled: 3-line block ×4, first 2 shown]
	s_mul_i32 s0, s7, s6
	v_cvt_f16_f32_e32 v0, v4
	v_cvt_f16_f32_e32 v4, v5
	;; [unrolled: 1-line block ×8, first 2 shown]
	s_lshl_b64 s[0:1], s[0:1], 1
	s_add_u32 s12, s28, s0
	s_addc_u32 s0, s29, s1
	s_and_b32 s13, s0, 0xffff
	v_pack_b32_f16 v2, v0, v4
	v_pack_b32_f16 v3, v5, v8
	;; [unrolled: 1-line block ×4, first 2 shown]
	buffer_store_dwordx4 v[2:5], v1, s[12:15], 0 offen
	;;#ASMSTART
	s_nop 0
	;;#ASMEND
	s_endpgm
	.section	.rodata,"a",@progbits
	.p2align	6, 0x0
	.amdhsa_kernel _ZN5aiter35fused_qk_rmsnorm_group_quant_kernelIDF16_DB8_Li256ELi8ELi8ELb0ELb1ELb0ELb0ELb0ELb0EEEvPT0_PvPT_S6_S6_PKS5_S8_S8_S8_S8_ffiiiiiiiiiiiii
		.amdhsa_group_segment_fixed_size 32
		.amdhsa_private_segment_fixed_size 0
		.amdhsa_kernarg_size 400
		.amdhsa_user_sgpr_count 6
		.amdhsa_user_sgpr_private_segment_buffer 1
		.amdhsa_user_sgpr_dispatch_ptr 0
		.amdhsa_user_sgpr_queue_ptr 0
		.amdhsa_user_sgpr_kernarg_segment_ptr 1
		.amdhsa_user_sgpr_dispatch_id 0
		.amdhsa_user_sgpr_flat_scratch_init 0
		.amdhsa_user_sgpr_kernarg_preload_length 0
		.amdhsa_user_sgpr_kernarg_preload_offset 0
		.amdhsa_user_sgpr_private_segment_size 0
		.amdhsa_uses_dynamic_stack 0
		.amdhsa_system_sgpr_private_segment_wavefront_offset 0
		.amdhsa_system_sgpr_workgroup_id_x 1
		.amdhsa_system_sgpr_workgroup_id_y 1
		.amdhsa_system_sgpr_workgroup_id_z 0
		.amdhsa_system_sgpr_workgroup_info 0
		.amdhsa_system_vgpr_workitem_id 0
		.amdhsa_next_free_vgpr 23
		.amdhsa_next_free_sgpr 36
		.amdhsa_accum_offset 24
		.amdhsa_reserve_vcc 1
		.amdhsa_reserve_flat_scratch 0
		.amdhsa_float_round_mode_32 0
		.amdhsa_float_round_mode_16_64 0
		.amdhsa_float_denorm_mode_32 3
		.amdhsa_float_denorm_mode_16_64 3
		.amdhsa_dx10_clamp 1
		.amdhsa_ieee_mode 1
		.amdhsa_fp16_overflow 0
		.amdhsa_tg_split 0
		.amdhsa_exception_fp_ieee_invalid_op 0
		.amdhsa_exception_fp_denorm_src 0
		.amdhsa_exception_fp_ieee_div_zero 0
		.amdhsa_exception_fp_ieee_overflow 0
		.amdhsa_exception_fp_ieee_underflow 0
		.amdhsa_exception_fp_ieee_inexact 0
		.amdhsa_exception_int_div_zero 0
	.end_amdhsa_kernel
	.section	.text._ZN5aiter35fused_qk_rmsnorm_group_quant_kernelIDF16_DB8_Li256ELi8ELi8ELb0ELb1ELb0ELb0ELb0ELb0EEEvPT0_PvPT_S6_S6_PKS5_S8_S8_S8_S8_ffiiiiiiiiiiiii,"axG",@progbits,_ZN5aiter35fused_qk_rmsnorm_group_quant_kernelIDF16_DB8_Li256ELi8ELi8ELb0ELb1ELb0ELb0ELb0ELb0EEEvPT0_PvPT_S6_S6_PKS5_S8_S8_S8_S8_ffiiiiiiiiiiiii,comdat
.Lfunc_end541:
	.size	_ZN5aiter35fused_qk_rmsnorm_group_quant_kernelIDF16_DB8_Li256ELi8ELi8ELb0ELb1ELb0ELb0ELb0ELb0EEEvPT0_PvPT_S6_S6_PKS5_S8_S8_S8_S8_ffiiiiiiiiiiiii, .Lfunc_end541-_ZN5aiter35fused_qk_rmsnorm_group_quant_kernelIDF16_DB8_Li256ELi8ELi8ELb0ELb1ELb0ELb0ELb0ELb0EEEvPT0_PvPT_S6_S6_PKS5_S8_S8_S8_S8_ffiiiiiiiiiiiii
                                        ; -- End function
	.section	.AMDGPU.csdata,"",@progbits
; Kernel info:
; codeLenInByte = 2628
; NumSgprs: 40
; NumVgprs: 23
; NumAgprs: 0
; TotalNumVgprs: 23
; ScratchSize: 0
; MemoryBound: 0
; FloatMode: 240
; IeeeMode: 1
; LDSByteSize: 32 bytes/workgroup (compile time only)
; SGPRBlocks: 4
; VGPRBlocks: 2
; NumSGPRsForWavesPerEU: 40
; NumVGPRsForWavesPerEU: 23
; AccumOffset: 24
; Occupancy: 8
; WaveLimiterHint : 0
; COMPUTE_PGM_RSRC2:SCRATCH_EN: 0
; COMPUTE_PGM_RSRC2:USER_SGPR: 6
; COMPUTE_PGM_RSRC2:TRAP_HANDLER: 0
; COMPUTE_PGM_RSRC2:TGID_X_EN: 1
; COMPUTE_PGM_RSRC2:TGID_Y_EN: 1
; COMPUTE_PGM_RSRC2:TGID_Z_EN: 0
; COMPUTE_PGM_RSRC2:TIDIG_COMP_CNT: 0
; COMPUTE_PGM_RSRC3_GFX90A:ACCUM_OFFSET: 5
; COMPUTE_PGM_RSRC3_GFX90A:TG_SPLIT: 0
	.section	.text._ZN5aiter35fused_qk_rmsnorm_group_quant_kernelItDB8_Li256ELi8ELi8ELb0ELb1ELb0ELb0ELb0ELb0EEEvPT0_PvPT_S6_S6_PKS5_S8_S8_S8_S8_ffiiiiiiiiiiiii,"axG",@progbits,_ZN5aiter35fused_qk_rmsnorm_group_quant_kernelItDB8_Li256ELi8ELi8ELb0ELb1ELb0ELb0ELb0ELb0EEEvPT0_PvPT_S6_S6_PKS5_S8_S8_S8_S8_ffiiiiiiiiiiiii,comdat
	.protected	_ZN5aiter35fused_qk_rmsnorm_group_quant_kernelItDB8_Li256ELi8ELi8ELb0ELb1ELb0ELb0ELb0ELb0EEEvPT0_PvPT_S6_S6_PKS5_S8_S8_S8_S8_ffiiiiiiiiiiiii ; -- Begin function _ZN5aiter35fused_qk_rmsnorm_group_quant_kernelItDB8_Li256ELi8ELi8ELb0ELb1ELb0ELb0ELb0ELb0EEEvPT0_PvPT_S6_S6_PKS5_S8_S8_S8_S8_ffiiiiiiiiiiiii
	.globl	_ZN5aiter35fused_qk_rmsnorm_group_quant_kernelItDB8_Li256ELi8ELi8ELb0ELb1ELb0ELb0ELb0ELb0EEEvPT0_PvPT_S6_S6_PKS5_S8_S8_S8_S8_ffiiiiiiiiiiiii
	.p2align	8
	.type	_ZN5aiter35fused_qk_rmsnorm_group_quant_kernelItDB8_Li256ELi8ELi8ELb0ELb1ELb0ELb0ELb0ELb0EEEvPT0_PvPT_S6_S6_PKS5_S8_S8_S8_S8_ffiiiiiiiiiiiii,@function
_ZN5aiter35fused_qk_rmsnorm_group_quant_kernelItDB8_Li256ELi8ELi8ELb0ELb1ELb0ELb0ELb0ELb0EEEvPT0_PvPT_S6_S6_PKS5_S8_S8_S8_S8_ffiiiiiiiiiiiii: ; @_ZN5aiter35fused_qk_rmsnorm_group_quant_kernelItDB8_Li256ELi8ELi8ELb0ELb1ELb0ELb0ELb0ELb0EEEvPT0_PvPT_S6_S6_PKS5_S8_S8_S8_S8_ffiiiiiiiiiiiii
; %bb.0:
	s_load_dwordx4 s[16:19], s[4:5], 0x50
	s_waitcnt lgkmcnt(0)
	s_cmp_ge_i32 s6, s18
	s_cbranch_scc1 .LBB542_10
; %bb.1:
	s_load_dwordx2 s[12:13], s[4:5], 0x48
	s_load_dwordx2 s[30:31], s[4:5], 0x30
	s_load_dwordx4 s[20:23], s[4:5], 0x60
	s_cmp_lg_u32 s7, 0
	s_cselect_b64 s[14:15], -1, 0
	s_cmp_eq_u32 s7, 0
	s_cselect_b64 vcc, -1, 0
	s_and_b64 s[0:1], vcc, exec
	s_waitcnt lgkmcnt(0)
	s_cselect_b32 s7, s19, s20
	s_add_i32 s0, s7, 1
	s_lshr_b32 s1, s0, 31
	s_add_i32 s0, s0, s1
	s_lshl_b32 s0, s0, 1
	v_lshlrev_b32_e32 v1, 3, v0
	s_and_b32 s10, s0, -4
	v_cmp_gt_i32_e64 s[2:3], s7, v1
	v_mov_b32_e32 v2, 0
	v_mov_b32_e32 v3, 0
	;; [unrolled: 1-line block ×8, first 2 shown]
	s_and_saveexec_b64 s[0:1], s[2:3]
	s_cbranch_execz .LBB542_3
; %bb.2:
	s_load_dwordx2 s[8:9], s[4:5], 0x28
	s_load_dwordx2 s[26:27], s[4:5], 0x40
	s_and_b64 s[24:25], vcc, exec
	s_cselect_b32 s11, s21, s22
	v_lshlrev_b32_e32 v10, 4, v0
	s_waitcnt lgkmcnt(0)
	s_cselect_b32 s18, s9, s31
	s_cselect_b32 s21, s8, s30
	s_mul_hi_i32 s9, s11, s6
	s_mul_i32 s8, s11, s6
	s_lshl_b64 s[8:9], s[8:9], 1
	s_add_u32 s24, s21, s8
	s_addc_u32 s18, s18, s9
	s_and_b64 s[8:9], vcc, exec
	s_mov_b32 s11, 0x20000
	s_cselect_b32 s8, s26, s12
	s_cselect_b32 s9, s27, s13
	s_and_b32 s25, s18, 0xffff
	s_mov_b32 s26, s10
	s_mov_b32 s27, s11
	s_and_b32 s9, s9, 0xffff
	buffer_load_dwordx4 v[6:9], v10, s[24:27], 0 offen glc slc
	buffer_load_dwordx4 v[2:5], v10, s[8:11], 0 offen
.LBB542_3:
	s_or_b64 exec, exec, s[0:1]
	s_waitcnt vmcnt(1)
	v_cvt_f32_u32_sdwa v13, v6 dst_sel:DWORD dst_unused:UNUSED_PAD src0_sel:WORD_1
	v_cvt_f32_u32_sdwa v12, v6 dst_sel:DWORD dst_unused:UNUSED_PAD src0_sel:WORD_0
	v_cvt_f32_u32_sdwa v6, v9 dst_sel:DWORD dst_unused:UNUSED_PAD src0_sel:WORD_1
	v_cvt_f32_u32_sdwa v9, v9 dst_sel:DWORD dst_unused:UNUSED_PAD src0_sel:WORD_0
	;; [unrolled: 2-line block ×4, first 2 shown]
	v_cndmask_b32_e64 v13, 0, v13, s[2:3]
	v_cndmask_b32_e64 v7, 0, v6, s[2:3]
	;; [unrolled: 1-line block ×5, first 2 shown]
	v_mul_f32_e32 v14, v13, v13
	v_cndmask_b32_e64 v10, 0, v10, s[2:3]
	v_fmac_f32_e32 v14, v12, v12
	v_cndmask_b32_e64 v11, 0, v11, s[2:3]
	v_fmac_f32_e32 v14, v10, v10
	;; [unrolled: 2-line block ×3, first 2 shown]
	v_fmac_f32_e32 v14, v8, v8
	v_fmac_f32_e32 v14, v9, v9
	;; [unrolled: 1-line block ×4, first 2 shown]
	v_and_b32_e32 v16, 63, v0
	v_cmp_eq_u32_e64 s[0:1], 63, v16
	v_mov_b32_dpp v15, v14 quad_perm:[1,0,3,2] row_mask:0xf bank_mask:0xf
	v_add_f32_e32 v14, v14, v15
	s_nop 1
	v_mov_b32_dpp v15, v14 quad_perm:[2,3,0,1] row_mask:0xf bank_mask:0xf
	v_add_f32_e32 v14, v14, v15
	s_nop 1
	v_mov_b32_dpp v15, v14 row_half_mirror row_mask:0xf bank_mask:0xf
	v_add_f32_e32 v14, v14, v15
	s_nop 1
	v_mov_b32_dpp v15, v14 row_mirror row_mask:0xf bank_mask:0xf
	v_add_f32_e32 v14, v14, v15
	s_nop 1
	v_mov_b32_dpp v15, v14 row_bcast:15 row_mask:0xf bank_mask:0xf
	v_add_f32_e32 v14, v14, v15
	s_nop 1
	v_mov_b32_dpp v15, v14 row_bcast:31 row_mask:0xf bank_mask:0xf
	s_and_saveexec_b64 s[8:9], s[0:1]
	s_cbranch_execz .LBB542_5
; %bb.4:
	v_add_f32_e32 v14, v14, v15
	v_lshrrev_b32_e32 v15, 4, v0
	v_and_b32_e32 v15, 60, v15
	ds_write_b32 v15, v14 offset:16
.LBB542_5:
	s_or_b64 exec, exec, s[8:9]
	v_and_b32_e32 v14, 3, v0
	v_lshlrev_b32_e32 v14, 2, v14
	s_waitcnt lgkmcnt(0)
	s_barrier
	ds_read_b32 v15, v14 offset:16
	s_load_dwordx2 s[28:29], s[4:5], 0x18
	s_waitcnt lgkmcnt(0)
	v_mov_b32_dpp v16, v15 quad_perm:[1,0,3,2] row_mask:0xf bank_mask:0xf
	v_add_f32_e32 v15, v15, v16
	s_nop 1
	v_mov_b32_dpp v16, v15 quad_perm:[2,3,0,1] row_mask:0xf bank_mask:0xf
	s_and_saveexec_b64 s[8:9], s[2:3]
	s_cbranch_execz .LBB542_7
; %bb.6:
	v_cvt_f32_u32_e32 v17, s7
	v_add_f32_e32 v15, v15, v16
	v_mov_b32_e32 v19, s17
	v_mov_b32_e32 v20, s16
	v_div_scale_f32 v16, s[24:25], v17, v17, v15
	v_rcp_f32_e32 v18, v16
	v_cndmask_b32_e32 v19, v19, v20, vcc
	s_mov_b32 s7, 0x800000
	v_fma_f32 v20, -v16, v18, 1.0
	v_fmac_f32_e32 v18, v20, v18
	v_div_scale_f32 v20, vcc, v15, v17, v15
	v_mul_f32_e32 v21, v20, v18
	v_fma_f32 v22, -v16, v21, v20
	v_fmac_f32_e32 v21, v22, v18
	v_fma_f32 v16, -v16, v21, v20
	v_div_fmas_f32 v16, v16, v18, v21
	v_div_fixup_f32 v15, v16, v17, v15
	v_add_f32_e32 v15, v19, v15
	v_mul_f32_e32 v16, 0x4b800000, v15
	v_cmp_gt_f32_e32 vcc, s7, v15
	v_cndmask_b32_e32 v15, v15, v16, vcc
	v_rsq_f32_e32 v15, v15
	s_waitcnt vmcnt(0)
	v_cvt_f32_u32_sdwa v19, v3 dst_sel:DWORD dst_unused:UNUSED_PAD src0_sel:WORD_1
	v_cvt_f32_u32_sdwa v18, v3 dst_sel:DWORD dst_unused:UNUSED_PAD src0_sel:WORD_0
	v_cvt_f32_u32_sdwa v3, v4 dst_sel:DWORD dst_unused:UNUSED_PAD src0_sel:WORD_1
	v_mul_f32_e32 v16, 0x45800000, v15
	v_cndmask_b32_e32 v16, v15, v16, vcc
	v_mov_b32_e32 v17, v16
	;;#ASMSTART
	v_pk_mul_f32 v[12:13], v[12:13], v[16:17]
	;;#ASMEND
	;;#ASMSTART
	v_pk_mul_f32 v[10:11], v[10:11], v[16:17]
	;;#ASMEND
	;;#ASMSTART
	v_pk_mul_f32 v[8:9], v[8:9], v[16:17]
	;;#ASMEND
	;;#ASMSTART
	v_pk_mul_f32 v[6:7], v[6:7], v[16:17]
	;;#ASMEND
	v_cvt_f32_u32_sdwa v17, v2 dst_sel:DWORD dst_unused:UNUSED_PAD src0_sel:WORD_1
	v_cvt_f32_u32_sdwa v16, v2 dst_sel:DWORD dst_unused:UNUSED_PAD src0_sel:WORD_0
	v_cvt_f32_u32_sdwa v2, v4 dst_sel:DWORD dst_unused:UNUSED_PAD src0_sel:WORD_0
	v_cvt_f32_u32_sdwa v21, v5 dst_sel:DWORD dst_unused:UNUSED_PAD src0_sel:WORD_1
	v_cvt_f32_u32_sdwa v20, v5 dst_sel:DWORD dst_unused:UNUSED_PAD src0_sel:WORD_0
	;;#ASMSTART
	v_pk_mul_f32 v[12:13], v[12:13], v[16:17]
	;;#ASMEND
	;;#ASMSTART
	v_pk_mul_f32 v[10:11], v[10:11], v[18:19]
	;;#ASMEND
	;;#ASMSTART
	v_pk_mul_f32 v[8:9], v[8:9], v[2:3]
	;;#ASMEND
	;;#ASMSTART
	v_pk_mul_f32 v[6:7], v[6:7], v[20:21]
	;;#ASMEND
.LBB542_7:
	s_or_b64 exec, exec, s[8:9]
	s_load_dword s7, s[4:5], 0x80
	s_mov_b64 s[8:9], -1
	s_and_b64 vcc, exec, s[14:15]
	s_cbranch_vccnz .LBB542_11
; %bb.8:
	s_andn2_b64 vcc, exec, s[8:9]
	s_cbranch_vccz .LBB542_14
.LBB542_9:
	s_cmp_lt_i32 s20, 1
	s_cbranch_scc0 .LBB542_23
.LBB542_10:
	s_endpgm
.LBB542_11:
	s_and_saveexec_b64 s[14:15], s[2:3]
	s_cbranch_execz .LBB542_13
; %bb.12:
	s_waitcnt lgkmcnt(0)
	s_mul_hi_i32 s9, s7, s6
	s_mul_i32 s8, s7, s6
	s_lshl_b64 s[8:9], s[8:9], 1
	s_add_u32 s8, s28, s8
	s_addc_u32 s9, s29, s9
	s_mov_b32 s16, 0x7060302
	s_and_b32 s9, s9, 0xffff
	s_mov_b32 s11, 0x20000
	s_waitcnt vmcnt(0)
	v_perm_b32 v2, v13, v12, s16
	v_perm_b32 v3, v11, v10, s16
	;; [unrolled: 1-line block ×4, first 2 shown]
	v_lshlrev_b32_e32 v15, 4, v0
	buffer_store_dwordx4 v[2:5], v15, s[8:11], 0 offen
	;;#ASMSTART
	s_nop 0
	;;#ASMEND
.LBB542_13:
	s_or_b64 exec, exec, s[14:15]
	s_cbranch_execnz .LBB542_9
.LBB542_14:
	s_load_dwordx4 s[24:27], s[4:5], 0x70
	s_waitcnt vmcnt(0)
	v_mov_b32_e32 v2, 0
	s_and_saveexec_b64 s[14:15], s[2:3]
	s_cbranch_execz .LBB542_16
; %bb.15:
	s_load_dwordx2 s[8:9], s[4:5], 0x10
	s_waitcnt lgkmcnt(0)
	s_mul_hi_i32 s35, s27, s6
	s_mul_i32 s34, s27, s6
	s_lshl_b64 s[34:35], s[34:35], 1
	s_mov_b32 s16, 0x7060302
	s_add_u32 s8, s8, s34
	s_addc_u32 s9, s9, s35
	s_mov_b32 s11, 0x20000
	s_and_b32 s9, s9, 0xffff
	v_perm_b32 v2, v13, v12, s16
	v_perm_b32 v3, v11, v10, s16
	v_perm_b32 v4, v9, v8, s16
	v_perm_b32 v5, v7, v6, s16
	v_lshlrev_b32_e32 v15, 4, v0
	buffer_store_dwordx4 v[2:5], v15, s[8:11], 0 offen
	;;#ASMSTART
	s_nop 0
	;;#ASMEND
	s_nop 0
	v_mov_b32_e32 v2, 0x2edbe6ff
.LBB542_16:
	s_or_b64 exec, exec, s[14:15]
	s_and_saveexec_b64 s[8:9], s[2:3]
	s_cbranch_execz .LBB542_18
; %bb.17:
	v_and_b32_e32 v3, 0x7fffffff, v12
	v_and_b32_e32 v4, 0x7fffffff, v13
	;;#ASMSTART
	v_max3_f32 v2, v2, v3, v4

	;;#ASMEND
	v_and_b32_e32 v3, 0x7fffffff, v10
	v_and_b32_e32 v4, 0x7fffffff, v11
	;;#ASMSTART
	v_max3_f32 v2, v2, v3, v4

	;;#ASMEND
	;; [unrolled: 6-line block ×4, first 2 shown]
.LBB542_18:
	s_or_b64 exec, exec, s[8:9]
	;;#ASMSTART
	v_max_f32 v3, v2, v2 quad_perm:[1,0,3,2] row_mask:0xf bank_mask:0xf bound_ctrl:1
	;;#ASMEND
	;;#ASMSTART
	v_max_f32 v2, v3, v3 quad_perm:[2,3,0,1] row_mask:0xf bank_mask:0xf bound_ctrl:1
	;;#ASMEND
	;;#ASMSTART
	v_max_f32 v3, v2, v2 row_half_mirror row_mask:0xf bank_mask:0xf bound_ctrl:1
	;;#ASMEND
	v_mul_f32_e32 v2, 0x3b124925, v3
	v_and_b32_e32 v3, 7, v0
	v_cmp_eq_u32_e32 vcc, 0, v3
	v_cmp_gt_i32_e64 s[8:9], s19, v1
	s_and_b64 s[10:11], vcc, s[8:9]
	s_and_saveexec_b64 s[8:9], s[10:11]
	s_cbranch_execz .LBB542_20
; %bb.19:
	s_load_dwordx2 s[10:11], s[4:5], 0x8
	s_waitcnt lgkmcnt(0)
	s_mul_hi_i32 s15, s25, s6
	s_mul_i32 s14, s25, s6
	v_lshrrev_b32_e32 v3, 3, v0
	s_lshl_b64 s[14:15], s[14:15], 2
	v_mad_i64_i32 v[4:5], s[26:27], s26, v3, 0
	s_add_u32 s10, s10, s14
	s_addc_u32 s11, s11, s15
	v_lshlrev_b64 v[4:5], 2, v[4:5]
	v_mov_b32_e32 v3, s11
	v_add_co_u32_e32 v4, vcc, s10, v4
	v_addc_co_u32_e32 v5, vcc, v3, v5, vcc
	global_store_dword v[4:5], v2, off
.LBB542_20:
	s_or_b64 exec, exec, s[8:9]
	;;#ASMSTART
	v_rcp_f32 v2, v2
	;;#ASMEND
	s_and_saveexec_b64 s[14:15], s[2:3]
	s_cbranch_execz .LBB542_22
; %bb.21:
	s_load_dwordx2 s[2:3], s[4:5], 0x0
	s_waitcnt lgkmcnt(0)
	s_mul_i32 s8, s24, s6
	s_mul_hi_i32 s9, s24, s6
	v_mov_b32_e32 v3, v2
	;;#ASMSTART
	v_pk_mul_f32 v[4:5], v[12:13], v[2:3]
	;;#ASMEND
	s_add_u32 s8, s2, s8
	s_addc_u32 s2, s3, s9
	s_add_i32 s3, s19, 3
	s_ashr_i32 s9, s3, 31
	v_mov_b32_e32 v12, 0xc3e00000
	v_mov_b32_e32 v13, 0x43e00000
	;;#ASMSTART
	v_med3_f32 v4, v4, v12, v13
v_med3_f32 v5, v5, v12, v13
v_cvt_pk_fp8_f32 v15, v4, v5
	;;#ASMEND
	s_lshr_b32 s9, s9, 30
	;;#ASMSTART
	v_pk_mul_f32 v[4:5], v[10:11], v[2:3]
	;;#ASMEND
	s_add_i32 s3, s3, s9
	s_and_b32 s9, s2, 0xffff
	;;#ASMSTART
	v_med3_f32 v4, v4, v12, v13
v_med3_f32 v5, v5, v12, v13
v_cvt_pk_fp8_f32 v10, v4, v5
	;;#ASMEND
	s_mov_b32 s2, 0x5040100
	v_perm_b32 v5, v10, v15, s2
	s_movk_i32 s2, 0xff
	v_and_b32_e32 v4, 0xffffff00, v10
	v_and_b32_sdwa v10, v5, s2 dst_sel:DWORD dst_unused:UNUSED_PAD src0_sel:WORD_1 src1_sel:DWORD
	s_mov_b32 s16, 0xffff
	v_or_b32_sdwa v4, v10, v4 dst_sel:WORD_1 dst_unused:UNUSED_PAD src0_sel:DWORD src1_sel:DWORD
	v_and_or_b32 v4, v5, s16, v4
	;;#ASMSTART
	v_pk_mul_f32 v[8:9], v[8:9], v[2:3]
	;;#ASMEND
	v_mov_b32_e32 v5, v8
	;;#ASMSTART
	v_med3_f32 v5, v5, v12, v13
v_med3_f32 v9, v9, v12, v13
v_cvt_pk_fp8_f32 v8, v5, v9
	;;#ASMEND
	;;#ASMSTART
	v_pk_mul_f32 v[2:3], v[6:7], v[2:3]
	;;#ASMEND
	;;#ASMSTART
	v_med3_f32 v2, v2, v12, v13
v_med3_f32 v3, v3, v12, v13
v_cvt_pk_fp8_f32 v5, v2, v3
	;;#ASMEND
	v_lshlrev_b32_e32 v2, 16, v5
	s_and_b32 s10, s3, -4
	s_mov_b32 s11, 0x20000
	v_and_or_b32 v5, v8, s16, v2
	buffer_store_dwordx2 v[4:5], v1, s[8:11], 0 offen
	;;#ASMSTART
	s_nop 0
	;;#ASMEND
.LBB542_22:
	s_or_b64 exec, exec, s[14:15]
	s_cmp_lt_i32 s20, 1
	s_cbranch_scc1 .LBB542_10
.LBB542_23:
	s_load_dword s2, s[4:5], 0x94
	s_waitcnt lgkmcnt(0)
	s_cmp_lg_u32 s2, 1
	s_cbranch_scc1 .LBB542_10
; %bb.24:
	s_lshl_b32 s2, s20, 1
	s_add_i32 s2, s2, 2
	v_cmp_gt_u32_e32 vcc, s20, v1
	s_and_b32 s14, s2, -4
	v_mov_b32_e32 v6, 0
	v_lshlrev_b32_e32 v1, 4, v0
	v_mov_b32_e32 v7, 0
	v_mov_b32_e32 v8, 0
	;; [unrolled: 1-line block ×3, first 2 shown]
	s_waitcnt vmcnt(0)
	v_mov_b32_e32 v2, 0
	v_mov_b32_e32 v3, 0
	;; [unrolled: 1-line block ×4, first 2 shown]
	s_barrier
	s_and_saveexec_b64 s[2:3], vcc
	s_cbranch_execz .LBB542_26
; %bb.25:
	s_mul_hi_i32 s5, s22, s6
	s_mul_i32 s4, s22, s6
	s_and_b32 s13, s13, 0xffff
	s_lshl_b64 s[4:5], s[4:5], 1
	s_add_u32 s8, s30, s4
	s_mov_b32 s15, 0x20000
	s_addc_u32 s4, s31, s5
	s_and_b32 s9, s4, 0xffff
	s_mov_b32 s10, s14
	s_mov_b32 s11, s15
	buffer_load_dwordx4 v[6:9], v1, s[8:11], 0 offen glc slc
	buffer_load_dwordx4 v[2:5], v1, s[12:15], 0 offen
.LBB542_26:
	s_or_b64 exec, exec, s[2:3]
	s_waitcnt vmcnt(1)
	v_cvt_f32_u32_sdwa v13, v6 dst_sel:DWORD dst_unused:UNUSED_PAD src0_sel:WORD_1
	v_cvt_f32_u32_sdwa v12, v6 dst_sel:DWORD dst_unused:UNUSED_PAD src0_sel:WORD_0
	v_cvt_f32_u32_sdwa v6, v9 dst_sel:DWORD dst_unused:UNUSED_PAD src0_sel:WORD_1
	v_cvt_f32_u32_sdwa v9, v9 dst_sel:DWORD dst_unused:UNUSED_PAD src0_sel:WORD_0
	;; [unrolled: 2-line block ×4, first 2 shown]
	v_cndmask_b32_e32 v13, 0, v13, vcc
	v_cndmask_b32_e32 v7, 0, v6, vcc
	;; [unrolled: 1-line block ×5, first 2 shown]
	v_mul_f32_e32 v15, v13, v13
	v_cndmask_b32_e32 v10, 0, v10, vcc
	v_fmac_f32_e32 v15, v12, v12
	v_cndmask_b32_e32 v11, 0, v11, vcc
	v_fmac_f32_e32 v15, v10, v10
	;; [unrolled: 2-line block ×3, first 2 shown]
	v_fmac_f32_e32 v15, v8, v8
	v_fmac_f32_e32 v15, v9, v9
	;; [unrolled: 1-line block ×4, first 2 shown]
	s_nop 1
	v_mov_b32_dpp v16, v15 quad_perm:[1,0,3,2] row_mask:0xf bank_mask:0xf
	v_add_f32_e32 v15, v15, v16
	s_nop 1
	v_mov_b32_dpp v16, v15 quad_perm:[2,3,0,1] row_mask:0xf bank_mask:0xf
	v_add_f32_e32 v15, v15, v16
	s_nop 1
	v_mov_b32_dpp v16, v15 row_half_mirror row_mask:0xf bank_mask:0xf
	v_add_f32_e32 v15, v15, v16
	s_nop 1
	v_mov_b32_dpp v16, v15 row_mirror row_mask:0xf bank_mask:0xf
	v_add_f32_e32 v15, v15, v16
	s_nop 1
	v_mov_b32_dpp v16, v15 row_bcast:15 row_mask:0xf bank_mask:0xf
	v_add_f32_e32 v15, v15, v16
	s_nop 1
	v_mov_b32_dpp v16, v15 row_bcast:31 row_mask:0xf bank_mask:0xf
	s_and_saveexec_b64 s[2:3], s[0:1]
	s_cbranch_execz .LBB542_28
; %bb.27:
	v_lshrrev_b32_e32 v0, 4, v0
	v_add_f32_e32 v15, v15, v16
	v_and_b32_e32 v0, 60, v0
	ds_write_b32 v0, v15
.LBB542_28:
	s_or_b64 exec, exec, s[2:3]
	s_waitcnt lgkmcnt(0)
	s_barrier
	ds_read_b32 v0, v14
	s_waitcnt lgkmcnt(0)
	s_nop 0
	v_mov_b32_dpp v14, v0 quad_perm:[1,0,3,2] row_mask:0xf bank_mask:0xf
	v_add_f32_e32 v0, v0, v14
	s_nop 1
	v_mov_b32_dpp v14, v0 quad_perm:[2,3,0,1] row_mask:0xf bank_mask:0xf
	s_and_saveexec_b64 s[0:1], vcc
	s_cbranch_execz .LBB542_10
; %bb.29:
	v_cvt_f32_u32_e32 v15, s20
	v_add_f32_e32 v0, v0, v14
	s_mov_b32 s15, 0x20000
	v_div_scale_f32 v14, s[0:1], v15, v15, v0
	v_rcp_f32_e32 v16, v14
	v_div_scale_f32 v17, vcc, v0, v15, v0
	s_mov_b32 s0, 0x800000
	v_fma_f32 v18, -v14, v16, 1.0
	v_fmac_f32_e32 v16, v18, v16
	v_mul_f32_e32 v18, v17, v16
	v_fma_f32 v19, -v14, v18, v17
	v_fmac_f32_e32 v18, v19, v16
	v_fma_f32 v14, -v14, v18, v17
	v_div_fmas_f32 v14, v14, v16, v18
	v_div_fixup_f32 v0, v14, v15, v0
	v_add_f32_e32 v0, s17, v0
	v_mul_f32_e32 v14, 0x4b800000, v0
	v_cmp_gt_f32_e32 vcc, s0, v0
	v_cndmask_b32_e32 v0, v0, v14, vcc
	v_rsq_f32_e32 v0, v0
	s_mul_hi_i32 s1, s7, s6
	s_mul_i32 s0, s7, s6
	s_lshl_b64 s[0:1], s[0:1], 1
	v_mul_f32_e32 v14, 0x45800000, v0
	v_cndmask_b32_e32 v14, v0, v14, vcc
	s_add_u32 s12, s28, s0
	v_mov_b32_e32 v15, v14
	s_addc_u32 s0, s29, s1
	;;#ASMSTART
	v_pk_mul_f32 v[12:13], v[12:13], v[14:15]
	;;#ASMEND
	;;#ASMSTART
	v_pk_mul_f32 v[10:11], v[10:11], v[14:15]
	;;#ASMEND
	;; [unrolled: 3-line block ×4, first 2 shown]
	s_waitcnt vmcnt(0)
	v_cvt_f32_u32_sdwa v15, v2 dst_sel:DWORD dst_unused:UNUSED_PAD src0_sel:WORD_1
	v_cvt_f32_u32_sdwa v14, v2 dst_sel:DWORD dst_unused:UNUSED_PAD src0_sel:WORD_0
	v_cvt_f32_u32_sdwa v17, v3 dst_sel:DWORD dst_unused:UNUSED_PAD src0_sel:WORD_1
	v_cvt_f32_u32_sdwa v16, v3 dst_sel:DWORD dst_unused:UNUSED_PAD src0_sel:WORD_0
	;; [unrolled: 2-line block ×4, first 2 shown]
	;;#ASMSTART
	v_pk_mul_f32 v[4:5], v[12:13], v[14:15]
	;;#ASMEND
	s_and_b32 s13, s0, 0xffff
	s_mov_b32 s0, 0x7060302
	;;#ASMSTART
	v_pk_mul_f32 v[10:11], v[10:11], v[16:17]
	;;#ASMEND
	;;#ASMSTART
	v_pk_mul_f32 v[8:9], v[8:9], v[2:3]
	;;#ASMEND
	;; [unrolled: 3-line block ×3, first 2 shown]
	v_perm_b32 v2, v5, v4, s0
	v_perm_b32 v3, v11, v10, s0
	v_perm_b32 v4, v9, v8, s0
	v_perm_b32 v5, v7, v6, s0
	buffer_store_dwordx4 v[2:5], v1, s[12:15], 0 offen
	;;#ASMSTART
	s_nop 0
	;;#ASMEND
	s_endpgm
	.section	.rodata,"a",@progbits
	.p2align	6, 0x0
	.amdhsa_kernel _ZN5aiter35fused_qk_rmsnorm_group_quant_kernelItDB8_Li256ELi8ELi8ELb0ELb1ELb0ELb0ELb0ELb0EEEvPT0_PvPT_S6_S6_PKS5_S8_S8_S8_S8_ffiiiiiiiiiiiii
		.amdhsa_group_segment_fixed_size 32
		.amdhsa_private_segment_fixed_size 0
		.amdhsa_kernarg_size 400
		.amdhsa_user_sgpr_count 6
		.amdhsa_user_sgpr_private_segment_buffer 1
		.amdhsa_user_sgpr_dispatch_ptr 0
		.amdhsa_user_sgpr_queue_ptr 0
		.amdhsa_user_sgpr_kernarg_segment_ptr 1
		.amdhsa_user_sgpr_dispatch_id 0
		.amdhsa_user_sgpr_flat_scratch_init 0
		.amdhsa_user_sgpr_kernarg_preload_length 0
		.amdhsa_user_sgpr_kernarg_preload_offset 0
		.amdhsa_user_sgpr_private_segment_size 0
		.amdhsa_uses_dynamic_stack 0
		.amdhsa_system_sgpr_private_segment_wavefront_offset 0
		.amdhsa_system_sgpr_workgroup_id_x 1
		.amdhsa_system_sgpr_workgroup_id_y 1
		.amdhsa_system_sgpr_workgroup_id_z 0
		.amdhsa_system_sgpr_workgroup_info 0
		.amdhsa_system_vgpr_workitem_id 0
		.amdhsa_next_free_vgpr 23
		.amdhsa_next_free_sgpr 36
		.amdhsa_accum_offset 24
		.amdhsa_reserve_vcc 1
		.amdhsa_reserve_flat_scratch 0
		.amdhsa_float_round_mode_32 0
		.amdhsa_float_round_mode_16_64 0
		.amdhsa_float_denorm_mode_32 3
		.amdhsa_float_denorm_mode_16_64 3
		.amdhsa_dx10_clamp 1
		.amdhsa_ieee_mode 1
		.amdhsa_fp16_overflow 0
		.amdhsa_tg_split 0
		.amdhsa_exception_fp_ieee_invalid_op 0
		.amdhsa_exception_fp_denorm_src 0
		.amdhsa_exception_fp_ieee_div_zero 0
		.amdhsa_exception_fp_ieee_overflow 0
		.amdhsa_exception_fp_ieee_underflow 0
		.amdhsa_exception_fp_ieee_inexact 0
		.amdhsa_exception_int_div_zero 0
	.end_amdhsa_kernel
	.section	.text._ZN5aiter35fused_qk_rmsnorm_group_quant_kernelItDB8_Li256ELi8ELi8ELb0ELb1ELb0ELb0ELb0ELb0EEEvPT0_PvPT_S6_S6_PKS5_S8_S8_S8_S8_ffiiiiiiiiiiiii,"axG",@progbits,_ZN5aiter35fused_qk_rmsnorm_group_quant_kernelItDB8_Li256ELi8ELi8ELb0ELb1ELb0ELb0ELb0ELb0EEEvPT0_PvPT_S6_S6_PKS5_S8_S8_S8_S8_ffiiiiiiiiiiiii,comdat
.Lfunc_end542:
	.size	_ZN5aiter35fused_qk_rmsnorm_group_quant_kernelItDB8_Li256ELi8ELi8ELb0ELb1ELb0ELb0ELb0ELb0EEEvPT0_PvPT_S6_S6_PKS5_S8_S8_S8_S8_ffiiiiiiiiiiiii, .Lfunc_end542-_ZN5aiter35fused_qk_rmsnorm_group_quant_kernelItDB8_Li256ELi8ELi8ELb0ELb1ELb0ELb0ELb0ELb0EEEvPT0_PvPT_S6_S6_PKS5_S8_S8_S8_S8_ffiiiiiiiiiiiii
                                        ; -- End function
	.section	.AMDGPU.csdata,"",@progbits
; Kernel info:
; codeLenInByte = 2620
; NumSgprs: 40
; NumVgprs: 23
; NumAgprs: 0
; TotalNumVgprs: 23
; ScratchSize: 0
; MemoryBound: 0
; FloatMode: 240
; IeeeMode: 1
; LDSByteSize: 32 bytes/workgroup (compile time only)
; SGPRBlocks: 4
; VGPRBlocks: 2
; NumSGPRsForWavesPerEU: 40
; NumVGPRsForWavesPerEU: 23
; AccumOffset: 24
; Occupancy: 8
; WaveLimiterHint : 0
; COMPUTE_PGM_RSRC2:SCRATCH_EN: 0
; COMPUTE_PGM_RSRC2:USER_SGPR: 6
; COMPUTE_PGM_RSRC2:TRAP_HANDLER: 0
; COMPUTE_PGM_RSRC2:TGID_X_EN: 1
; COMPUTE_PGM_RSRC2:TGID_Y_EN: 1
; COMPUTE_PGM_RSRC2:TGID_Z_EN: 0
; COMPUTE_PGM_RSRC2:TIDIG_COMP_CNT: 0
; COMPUTE_PGM_RSRC3_GFX90A:ACCUM_OFFSET: 5
; COMPUTE_PGM_RSRC3_GFX90A:TG_SPLIT: 0
	.section	.text._ZN5aiter35fused_qk_rmsnorm_group_quant_kernelIDF16_N4opus5fp4_tELi256ELi8ELi8ELb0ELb1ELb0ELb0ELb0ELb0EEEvPT0_PvPT_S7_S7_PKS6_S9_S9_S9_S9_ffiiiiiiiiiiiii,"axG",@progbits,_ZN5aiter35fused_qk_rmsnorm_group_quant_kernelIDF16_N4opus5fp4_tELi256ELi8ELi8ELb0ELb1ELb0ELb0ELb0ELb0EEEvPT0_PvPT_S7_S7_PKS6_S9_S9_S9_S9_ffiiiiiiiiiiiii,comdat
	.protected	_ZN5aiter35fused_qk_rmsnorm_group_quant_kernelIDF16_N4opus5fp4_tELi256ELi8ELi8ELb0ELb1ELb0ELb0ELb0ELb0EEEvPT0_PvPT_S7_S7_PKS6_S9_S9_S9_S9_ffiiiiiiiiiiiii ; -- Begin function _ZN5aiter35fused_qk_rmsnorm_group_quant_kernelIDF16_N4opus5fp4_tELi256ELi8ELi8ELb0ELb1ELb0ELb0ELb0ELb0EEEvPT0_PvPT_S7_S7_PKS6_S9_S9_S9_S9_ffiiiiiiiiiiiii
	.globl	_ZN5aiter35fused_qk_rmsnorm_group_quant_kernelIDF16_N4opus5fp4_tELi256ELi8ELi8ELb0ELb1ELb0ELb0ELb0ELb0EEEvPT0_PvPT_S7_S7_PKS6_S9_S9_S9_S9_ffiiiiiiiiiiiii
	.p2align	8
	.type	_ZN5aiter35fused_qk_rmsnorm_group_quant_kernelIDF16_N4opus5fp4_tELi256ELi8ELi8ELb0ELb1ELb0ELb0ELb0ELb0EEEvPT0_PvPT_S7_S7_PKS6_S9_S9_S9_S9_ffiiiiiiiiiiiii,@function
_ZN5aiter35fused_qk_rmsnorm_group_quant_kernelIDF16_N4opus5fp4_tELi256ELi8ELi8ELb0ELb1ELb0ELb0ELb0ELb0EEEvPT0_PvPT_S7_S7_PKS6_S9_S9_S9_S9_ffiiiiiiiiiiiii: ; @_ZN5aiter35fused_qk_rmsnorm_group_quant_kernelIDF16_N4opus5fp4_tELi256ELi8ELi8ELb0ELb1ELb0ELb0ELb0ELb0EEEvPT0_PvPT_S7_S7_PKS6_S9_S9_S9_S9_ffiiiiiiiiiiiii
; %bb.0:
	s_load_dwordx4 s[16:19], s[4:5], 0x50
	s_waitcnt lgkmcnt(0)
	s_cmp_ge_i32 s6, s18
	s_cbranch_scc1 .LBB543_12
; %bb.1:
	s_load_dwordx2 s[12:13], s[4:5], 0x48
	s_load_dwordx2 s[30:31], s[4:5], 0x30
	s_load_dwordx4 s[20:23], s[4:5], 0x60
	s_cmp_lg_u32 s7, 0
	s_cselect_b64 s[14:15], -1, 0
	s_cmp_eq_u32 s7, 0
	s_cselect_b64 vcc, -1, 0
	s_and_b64 s[0:1], vcc, exec
	s_waitcnt lgkmcnt(0)
	s_cselect_b32 s7, s19, s20
	s_add_i32 s0, s7, 1
	s_lshr_b32 s1, s0, 31
	s_add_i32 s0, s0, s1
	s_lshl_b32 s0, s0, 1
	v_lshlrev_b32_e32 v1, 3, v0
	s_and_b32 s10, s0, -4
	v_cmp_gt_i32_e64 s[2:3], s7, v1
	v_mov_b32_e32 v10, 0
	v_mov_b32_e32 v2, 0
	;; [unrolled: 1-line block ×9, first 2 shown]
	s_and_saveexec_b64 s[0:1], s[2:3]
	s_cbranch_execz .LBB543_3
; %bb.2:
	s_load_dwordx2 s[8:9], s[4:5], 0x28
	s_load_dwordx2 s[26:27], s[4:5], 0x40
	s_and_b64 s[24:25], vcc, exec
	s_cselect_b32 s11, s21, s22
	v_lshlrev_b32_e32 v11, 4, v0
	s_waitcnt lgkmcnt(0)
	s_cselect_b32 s18, s9, s31
	s_cselect_b32 s21, s8, s30
	s_mul_hi_i32 s9, s11, s6
	s_mul_i32 s8, s11, s6
	s_lshl_b64 s[8:9], s[8:9], 1
	s_add_u32 s24, s21, s8
	s_addc_u32 s18, s18, s9
	s_and_b64 s[8:9], vcc, exec
	s_mov_b32 s11, 0x20000
	s_cselect_b32 s8, s26, s12
	s_cselect_b32 s9, s27, s13
	s_and_b32 s25, s18, 0xffff
	s_mov_b32 s26, s10
	s_mov_b32 s27, s11
	s_and_b32 s9, s9, 0xffff
	buffer_load_dwordx4 v[6:9], v11, s[24:27], 0 offen glc slc
	buffer_load_dwordx4 v[2:5], v11, s[8:11], 0 offen
.LBB543_3:
	s_or_b64 exec, exec, s[0:1]
	v_mov_b32_e32 v11, 0
	v_mov_b32_e32 v16, 0
	;; [unrolled: 1-line block ×7, first 2 shown]
	s_and_saveexec_b64 s[0:1], s[2:3]
	s_cbranch_execz .LBB543_5
; %bb.4:
	s_waitcnt vmcnt(1)
	v_cvt_f32_f16_sdwa v11, v6 dst_sel:DWORD dst_unused:UNUSED_PAD src0_sel:WORD_1
	v_cvt_f32_f16_e32 v10, v6
	v_cvt_f32_f16_sdwa v17, v7 dst_sel:DWORD dst_unused:UNUSED_PAD src0_sel:WORD_1
	v_cvt_f32_f16_e32 v16, v7
	;; [unrolled: 2-line block ×4, first 2 shown]
.LBB543_5:
	s_or_b64 exec, exec, s[0:1]
	s_waitcnt vmcnt(1)
	v_mul_f32_e32 v6, v11, v11
	v_fmac_f32_e32 v6, v10, v10
	v_fmac_f32_e32 v6, v16, v16
	;; [unrolled: 1-line block ×7, first 2 shown]
	v_and_b32_e32 v8, 63, v0
	v_cmp_eq_u32_e64 s[0:1], 63, v8
	v_mov_b32_dpp v7, v6 quad_perm:[1,0,3,2] row_mask:0xf bank_mask:0xf
	v_add_f32_e32 v6, v6, v7
	s_nop 1
	v_mov_b32_dpp v7, v6 quad_perm:[2,3,0,1] row_mask:0xf bank_mask:0xf
	v_add_f32_e32 v6, v6, v7
	s_nop 1
	v_mov_b32_dpp v7, v6 row_half_mirror row_mask:0xf bank_mask:0xf
	v_add_f32_e32 v6, v6, v7
	s_nop 1
	v_mov_b32_dpp v7, v6 row_mirror row_mask:0xf bank_mask:0xf
	v_add_f32_e32 v6, v6, v7
	s_nop 1
	v_mov_b32_dpp v7, v6 row_bcast:15 row_mask:0xf bank_mask:0xf
	v_add_f32_e32 v6, v6, v7
	s_nop 1
	v_mov_b32_dpp v7, v6 row_bcast:31 row_mask:0xf bank_mask:0xf
	s_and_saveexec_b64 s[8:9], s[0:1]
	s_cbranch_execz .LBB543_7
; %bb.6:
	v_add_f32_e32 v6, v6, v7
	v_lshrrev_b32_e32 v7, 4, v0
	v_and_b32_e32 v7, 60, v7
	ds_write_b32 v7, v6 offset:16
.LBB543_7:
	s_or_b64 exec, exec, s[8:9]
	v_and_b32_e32 v6, 3, v0
	v_lshlrev_b32_e32 v18, 2, v6
	s_waitcnt lgkmcnt(0)
	s_barrier
	ds_read_b32 v6, v18 offset:16
	s_load_dwordx2 s[28:29], s[4:5], 0x18
	s_waitcnt lgkmcnt(0)
	v_mov_b32_dpp v7, v6 quad_perm:[1,0,3,2] row_mask:0xf bank_mask:0xf
	v_add_f32_e32 v6, v6, v7
	s_nop 1
	v_mov_b32_dpp v7, v6 quad_perm:[2,3,0,1] row_mask:0xf bank_mask:0xf
	s_and_saveexec_b64 s[8:9], s[2:3]
	s_cbranch_execz .LBB543_9
; %bb.8:
	v_cvt_f32_u32_e32 v8, s7
	v_add_f32_e32 v6, v6, v7
	v_mov_b32_e32 v19, s17
	v_mov_b32_e32 v20, s16
	v_div_scale_f32 v7, s[24:25], v8, v8, v6
	v_rcp_f32_e32 v9, v7
	v_cndmask_b32_e32 v19, v19, v20, vcc
	s_mov_b32 s7, 0x800000
	v_fma_f32 v20, -v7, v9, 1.0
	v_fmac_f32_e32 v9, v20, v9
	v_div_scale_f32 v20, vcc, v6, v8, v6
	v_mul_f32_e32 v21, v20, v9
	v_fma_f32 v22, -v7, v21, v20
	v_fmac_f32_e32 v21, v22, v9
	v_fma_f32 v7, -v7, v21, v20
	v_div_fmas_f32 v7, v7, v9, v21
	v_div_fixup_f32 v6, v7, v8, v6
	v_add_f32_e32 v6, v19, v6
	v_mul_f32_e32 v7, 0x4b800000, v6
	v_cmp_gt_f32_e32 vcc, s7, v6
	v_cndmask_b32_e32 v6, v6, v7, vcc
	v_rsq_f32_e32 v6, v6
	s_waitcnt vmcnt(0)
	v_cvt_f32_f16_sdwa v21, v5 dst_sel:DWORD dst_unused:UNUSED_PAD src0_sel:WORD_1
	v_cvt_f32_f16_e32 v20, v5
	v_mul_f32_e32 v7, 0x45800000, v6
	v_cndmask_b32_e32 v6, v6, v7, vcc
	v_mov_b32_e32 v7, v6
	;;#ASMSTART
	v_pk_mul_f32 v[8:9], v[10:11], v[6:7]
	;;#ASMEND
	;;#ASMSTART
	v_pk_mul_f32 v[16:17], v[16:17], v[6:7]
	;;#ASMEND
	;; [unrolled: 3-line block ×4, first 2 shown]
	v_cvt_f32_f16_sdwa v11, v2 dst_sel:DWORD dst_unused:UNUSED_PAD src0_sel:WORD_1
	v_cvt_f32_f16_e32 v10, v2
	v_cvt_f32_f16_sdwa v15, v3 dst_sel:DWORD dst_unused:UNUSED_PAD src0_sel:WORD_1
	v_cvt_f32_f16_e32 v14, v3
	v_cvt_f32_f16_sdwa v3, v4 dst_sel:DWORD dst_unused:UNUSED_PAD src0_sel:WORD_1
	v_cvt_f32_f16_e32 v2, v4
	;;#ASMSTART
	v_pk_mul_f32 v[10:11], v[8:9], v[10:11]
	;;#ASMEND
	;;#ASMSTART
	v_pk_mul_f32 v[16:17], v[16:17], v[14:15]
	;;#ASMEND
	;; [unrolled: 3-line block ×4, first 2 shown]
.LBB543_9:
	s_or_b64 exec, exec, s[8:9]
	s_load_dword s7, s[4:5], 0x80
	s_mov_b64 s[8:9], -1
	s_and_b64 vcc, exec, s[14:15]
	s_cbranch_vccnz .LBB543_13
; %bb.10:
	s_andn2_b64 vcc, exec, s[8:9]
	s_cbranch_vccz .LBB543_16
.LBB543_11:
	s_cmp_lt_i32 s20, 1
	s_cbranch_scc0 .LBB543_25
.LBB543_12:
	s_endpgm
.LBB543_13:
	s_and_saveexec_b64 s[14:15], s[2:3]
	s_cbranch_execz .LBB543_15
; %bb.14:
	s_waitcnt lgkmcnt(0)
	s_mul_hi_i32 s9, s7, s6
	s_mul_i32 s8, s7, s6
	s_waitcnt vmcnt(0)
	v_cvt_f16_f32_e32 v2, v10
	v_cvt_f16_f32_e32 v3, v16
	;; [unrolled: 1-line block ×8, first 2 shown]
	s_lshl_b64 s[8:9], s[8:9], 1
	s_add_u32 s8, s28, s8
	s_addc_u32 s9, s29, s9
	s_and_b32 s9, s9, 0xffff
	s_mov_b32 s11, 0x20000
	v_pack_b32_f16 v5, v5, v6
	v_pack_b32_f16 v4, v4, v7
	;; [unrolled: 1-line block ×4, first 2 shown]
	v_lshlrev_b32_e32 v6, 4, v0
	buffer_store_dwordx4 v[2:5], v6, s[8:11], 0 offen
	;;#ASMSTART
	s_nop 0
	;;#ASMEND
.LBB543_15:
	s_or_b64 exec, exec, s[14:15]
	s_cbranch_execnz .LBB543_11
.LBB543_16:
	s_load_dwordx4 s[24:27], s[4:5], 0x70
	s_waitcnt vmcnt(0)
	v_mov_b32_e32 v2, 0
	s_and_saveexec_b64 s[14:15], s[2:3]
	s_cbranch_execz .LBB543_18
; %bb.17:
	s_load_dwordx2 s[8:9], s[4:5], 0x10
	s_waitcnt lgkmcnt(0)
	s_mul_hi_i32 s35, s27, s6
	s_mul_i32 s34, s27, s6
	v_cvt_f16_f32_e32 v2, v10
	v_cvt_f16_f32_e32 v3, v16
	;; [unrolled: 1-line block ×8, first 2 shown]
	s_lshl_b64 s[34:35], s[34:35], 1
	s_add_u32 s8, s8, s34
	s_addc_u32 s9, s9, s35
	s_mov_b32 s11, 0x20000
	s_and_b32 s9, s9, 0xffff
	v_pack_b32_f16 v5, v5, v6
	v_pack_b32_f16 v4, v4, v7
	;; [unrolled: 1-line block ×4, first 2 shown]
	v_lshlrev_b32_e32 v6, 4, v0
	buffer_store_dwordx4 v[2:5], v6, s[8:11], 0 offen
	;;#ASMSTART
	s_nop 0
	;;#ASMEND
	s_nop 0
	v_mov_b32_e32 v2, 0x2edbe6ff
.LBB543_18:
	s_or_b64 exec, exec, s[14:15]
	s_and_saveexec_b64 s[8:9], s[2:3]
	s_cbranch_execz .LBB543_20
; %bb.19:
	v_and_b32_e32 v3, 0x7fffffff, v10
	v_and_b32_e32 v4, 0x7fffffff, v11
	;;#ASMSTART
	v_max3_f32 v2, v2, v3, v4

	;;#ASMEND
	v_and_b32_e32 v3, 0x7fffffff, v16
	v_and_b32_e32 v4, 0x7fffffff, v17
	;;#ASMSTART
	v_max3_f32 v2, v2, v3, v4

	;;#ASMEND
	;; [unrolled: 6-line block ×4, first 2 shown]
.LBB543_20:
	s_or_b64 exec, exec, s[8:9]
	;;#ASMSTART
	v_max_f32 v3, v2, v2 quad_perm:[1,0,3,2] row_mask:0xf bank_mask:0xf bound_ctrl:1
	;;#ASMEND
	;;#ASMSTART
	v_max_f32 v4, v3, v3 quad_perm:[2,3,0,1] row_mask:0xf bank_mask:0xf bound_ctrl:1
	;;#ASMEND
	v_and_b32_e32 v3, 7, v0
	v_cmp_eq_u32_e32 vcc, 0, v3
	v_cmp_gt_i32_e64 s[8:9], s19, v1
	s_and_b64 s[10:11], vcc, s[8:9]
	;;#ASMSTART
	v_max_f32 v2, v4, v4 row_half_mirror row_mask:0xf bank_mask:0xf bound_ctrl:1
	;;#ASMEND
	s_and_saveexec_b64 s[8:9], s[10:11]
	s_cbranch_execz .LBB543_22
; %bb.21:
	s_load_dwordx2 s[10:11], s[4:5], 0x8
	v_mul_f32_e32 v2, 0x3e2aaaab, v2
	v_lshrrev_b32_e32 v3, 23, v2
	v_and_b32_e32 v4, 0x7f800000, v2
	v_and_b32_e32 v2, 0x7fffff, v2
	v_cmp_ne_u32_e32 vcc, 0, v2
	s_waitcnt lgkmcnt(0)
	s_mul_i32 s16, s25, s6
	s_mov_b32 s14, 0x7f800000
	v_addc_co_u32_e32 v2, vcc, 0, v3, vcc
	s_mul_hi_i32 s15, s25, s6
	s_add_u32 s10, s10, s16
	v_cmp_ne_u32_e32 vcc, s14, v4
	s_addc_u32 s11, s11, s15
	v_lshrrev_b32_e32 v5, 3, v0
	v_cndmask_b32_e32 v4, -1, v2, vcc
	v_pk_mov_b32 v[2:3], s[10:11], s[10:11] op_sel:[0,1]
	v_mad_i64_i32 v[2:3], s[10:11], s26, v5, v[2:3]
	global_store_byte v[2:3], v4, off
.LBB543_22:
	s_or_b64 exec, exec, s[8:9]
	s_and_saveexec_b64 s[8:9], s[2:3]
	s_cbranch_execz .LBB543_24
; %bb.23:
	s_load_dwordx2 s[2:3], s[4:5], 0x0
	s_waitcnt lgkmcnt(0)
	s_mul_i32 s11, s24, s6
	s_mul_hi_i32 s10, s24, s6
	v_lshlrev_b32_e32 v2, 2, v0
	s_mov_b32 s27, 0x20000
	s_add_u32 s24, s2, s11
	s_addc_u32 s2, s3, s10
	s_lshr_b32 s3, s19, 31
	s_add_i32 s3, s19, s3
	s_ashr_i32 s3, s3, 1
	s_add_i32 s3, s3, 3
	s_ashr_i32 s10, s3, 31
	s_lshr_b32 s10, s10, 30
	s_add_i32 s3, s3, s10
	s_and_b32 s26, s3, -4
	s_and_b32 s25, s2, 0xffff
	v_mov_b32_e32 v3, 0
	buffer_store_dword v3, v2, s[24:27], 0 offen
	;;#ASMSTART
	s_nop 0
	;;#ASMEND
.LBB543_24:
	s_or_b64 exec, exec, s[8:9]
	s_cmp_lt_i32 s20, 1
	s_cbranch_scc1 .LBB543_12
.LBB543_25:
	s_load_dword s2, s[4:5], 0x94
	s_waitcnt lgkmcnt(0)
	s_cmp_lg_u32 s2, 1
	s_cbranch_scc1 .LBB543_12
; %bb.26:
	s_lshl_b32 s2, s20, 1
	s_add_i32 s2, s2, 2
	v_cmp_gt_u32_e32 vcc, s20, v1
	s_and_b32 s14, s2, -4
	v_mov_b32_e32 v10, 0
	v_lshlrev_b32_e32 v1, 4, v0
	v_mov_b32_e32 v6, 0
	v_mov_b32_e32 v7, 0
	;; [unrolled: 1-line block ×4, first 2 shown]
	s_waitcnt vmcnt(0)
	v_mov_b32_e32 v2, 0
	v_mov_b32_e32 v3, 0
	;; [unrolled: 1-line block ×4, first 2 shown]
	s_barrier
	s_and_saveexec_b64 s[2:3], vcc
	s_cbranch_execz .LBB543_28
; %bb.27:
	s_mul_hi_i32 s5, s22, s6
	s_mul_i32 s4, s22, s6
	s_and_b32 s13, s13, 0xffff
	s_lshl_b64 s[4:5], s[4:5], 1
	s_add_u32 s8, s30, s4
	s_mov_b32 s15, 0x20000
	s_addc_u32 s4, s31, s5
	s_and_b32 s9, s4, 0xffff
	s_mov_b32 s10, s14
	s_mov_b32 s11, s15
	buffer_load_dwordx4 v[6:9], v1, s[8:11], 0 offen glc slc
	buffer_load_dwordx4 v[2:5], v1, s[12:15], 0 offen
.LBB543_28:
	s_or_b64 exec, exec, s[2:3]
	v_mov_b32_e32 v11, 0
	v_mov_b32_e32 v16, 0
	;; [unrolled: 1-line block ×7, first 2 shown]
	s_and_saveexec_b64 s[2:3], vcc
	s_cbranch_execz .LBB543_30
; %bb.29:
	s_waitcnt vmcnt(1)
	v_cvt_f32_f16_sdwa v11, v6 dst_sel:DWORD dst_unused:UNUSED_PAD src0_sel:WORD_1
	v_cvt_f32_f16_e32 v10, v6
	v_cvt_f32_f16_sdwa v17, v7 dst_sel:DWORD dst_unused:UNUSED_PAD src0_sel:WORD_1
	v_cvt_f32_f16_e32 v16, v7
	;; [unrolled: 2-line block ×4, first 2 shown]
.LBB543_30:
	s_or_b64 exec, exec, s[2:3]
	s_waitcnt vmcnt(1)
	v_mul_f32_e32 v6, v11, v11
	v_fmac_f32_e32 v6, v10, v10
	v_fmac_f32_e32 v6, v16, v16
	;; [unrolled: 1-line block ×7, first 2 shown]
	s_nop 1
	v_mov_b32_dpp v7, v6 quad_perm:[1,0,3,2] row_mask:0xf bank_mask:0xf
	v_add_f32_e32 v6, v6, v7
	s_nop 1
	v_mov_b32_dpp v7, v6 quad_perm:[2,3,0,1] row_mask:0xf bank_mask:0xf
	v_add_f32_e32 v6, v6, v7
	s_nop 1
	v_mov_b32_dpp v7, v6 row_half_mirror row_mask:0xf bank_mask:0xf
	v_add_f32_e32 v6, v6, v7
	s_nop 1
	v_mov_b32_dpp v7, v6 row_mirror row_mask:0xf bank_mask:0xf
	v_add_f32_e32 v6, v6, v7
	s_nop 1
	v_mov_b32_dpp v7, v6 row_bcast:15 row_mask:0xf bank_mask:0xf
	v_add_f32_e32 v6, v6, v7
	s_nop 1
	v_mov_b32_dpp v7, v6 row_bcast:31 row_mask:0xf bank_mask:0xf
	s_and_saveexec_b64 s[2:3], s[0:1]
	s_cbranch_execz .LBB543_32
; %bb.31:
	v_lshrrev_b32_e32 v0, 4, v0
	v_add_f32_e32 v6, v6, v7
	v_and_b32_e32 v0, 60, v0
	ds_write_b32 v0, v6
.LBB543_32:
	s_or_b64 exec, exec, s[2:3]
	s_waitcnt lgkmcnt(0)
	s_barrier
	ds_read_b32 v0, v18
	s_waitcnt lgkmcnt(0)
	s_nop 0
	v_mov_b32_dpp v6, v0 quad_perm:[1,0,3,2] row_mask:0xf bank_mask:0xf
	v_add_f32_e32 v0, v0, v6
	s_nop 1
	v_mov_b32_dpp v6, v0 quad_perm:[2,3,0,1] row_mask:0xf bank_mask:0xf
	s_and_saveexec_b64 s[0:1], vcc
	s_cbranch_execz .LBB543_12
; %bb.33:
	v_cvt_f32_u32_e32 v7, s20
	v_add_f32_e32 v0, v0, v6
	s_mov_b32 s15, 0x20000
	v_div_scale_f32 v6, s[0:1], v7, v7, v0
	v_rcp_f32_e32 v8, v6
	v_div_scale_f32 v9, vcc, v0, v7, v0
	s_mov_b32 s0, 0x800000
	v_fma_f32 v18, -v6, v8, 1.0
	v_fmac_f32_e32 v8, v18, v8
	v_mul_f32_e32 v18, v9, v8
	v_fma_f32 v19, -v6, v18, v9
	v_fmac_f32_e32 v18, v19, v8
	v_fma_f32 v6, -v6, v18, v9
	v_div_fmas_f32 v6, v6, v8, v18
	v_div_fixup_f32 v0, v6, v7, v0
	v_add_f32_e32 v0, s17, v0
	v_mul_f32_e32 v6, 0x4b800000, v0
	v_cmp_gt_f32_e32 vcc, s0, v0
	v_cndmask_b32_e32 v0, v0, v6, vcc
	v_rsq_f32_e32 v0, v0
	s_waitcnt vmcnt(0)
	v_cvt_f32_f16_sdwa v19, v5 dst_sel:DWORD dst_unused:UNUSED_PAD src0_sel:WORD_1
	v_cvt_f32_f16_e32 v18, v5
	s_mul_hi_i32 s1, s7, s6
	v_mul_f32_e32 v6, 0x45800000, v0
	v_cndmask_b32_e32 v6, v0, v6, vcc
	v_mov_b32_e32 v7, v6
	;;#ASMSTART
	v_pk_mul_f32 v[8:9], v[10:11], v[6:7]
	;;#ASMEND
	;;#ASMSTART
	v_pk_mul_f32 v[10:11], v[16:17], v[6:7]
	;;#ASMEND
	;; [unrolled: 3-line block ×4, first 2 shown]
	v_cvt_f32_f16_sdwa v13, v2 dst_sel:DWORD dst_unused:UNUSED_PAD src0_sel:WORD_1
	v_cvt_f32_f16_e32 v12, v2
	v_cvt_f32_f16_sdwa v17, v3 dst_sel:DWORD dst_unused:UNUSED_PAD src0_sel:WORD_1
	v_cvt_f32_f16_e32 v16, v3
	;; [unrolled: 2-line block ×3, first 2 shown]
	;;#ASMSTART
	v_pk_mul_f32 v[4:5], v[8:9], v[12:13]
	;;#ASMEND
	;;#ASMSTART
	v_pk_mul_f32 v[8:9], v[10:11], v[16:17]
	;;#ASMEND
	;; [unrolled: 3-line block ×4, first 2 shown]
	s_mul_i32 s0, s7, s6
	v_cvt_f16_f32_e32 v0, v4
	v_cvt_f16_f32_e32 v4, v5
	;; [unrolled: 1-line block ×8, first 2 shown]
	s_lshl_b64 s[0:1], s[0:1], 1
	s_add_u32 s12, s28, s0
	s_addc_u32 s0, s29, s1
	s_and_b32 s13, s0, 0xffff
	v_pack_b32_f16 v2, v0, v4
	v_pack_b32_f16 v3, v5, v8
	;; [unrolled: 1-line block ×4, first 2 shown]
	buffer_store_dwordx4 v[2:5], v1, s[12:15], 0 offen
	;;#ASMSTART
	s_nop 0
	;;#ASMEND
	s_endpgm
	.section	.rodata,"a",@progbits
	.p2align	6, 0x0
	.amdhsa_kernel _ZN5aiter35fused_qk_rmsnorm_group_quant_kernelIDF16_N4opus5fp4_tELi256ELi8ELi8ELb0ELb1ELb0ELb0ELb0ELb0EEEvPT0_PvPT_S7_S7_PKS6_S9_S9_S9_S9_ffiiiiiiiiiiiii
		.amdhsa_group_segment_fixed_size 32
		.amdhsa_private_segment_fixed_size 0
		.amdhsa_kernarg_size 400
		.amdhsa_user_sgpr_count 6
		.amdhsa_user_sgpr_private_segment_buffer 1
		.amdhsa_user_sgpr_dispatch_ptr 0
		.amdhsa_user_sgpr_queue_ptr 0
		.amdhsa_user_sgpr_kernarg_segment_ptr 1
		.amdhsa_user_sgpr_dispatch_id 0
		.amdhsa_user_sgpr_flat_scratch_init 0
		.amdhsa_user_sgpr_kernarg_preload_length 0
		.amdhsa_user_sgpr_kernarg_preload_offset 0
		.amdhsa_user_sgpr_private_segment_size 0
		.amdhsa_uses_dynamic_stack 0
		.amdhsa_system_sgpr_private_segment_wavefront_offset 0
		.amdhsa_system_sgpr_workgroup_id_x 1
		.amdhsa_system_sgpr_workgroup_id_y 1
		.amdhsa_system_sgpr_workgroup_id_z 0
		.amdhsa_system_sgpr_workgroup_info 0
		.amdhsa_system_vgpr_workitem_id 0
		.amdhsa_next_free_vgpr 23
		.amdhsa_next_free_sgpr 36
		.amdhsa_accum_offset 24
		.amdhsa_reserve_vcc 1
		.amdhsa_reserve_flat_scratch 0
		.amdhsa_float_round_mode_32 0
		.amdhsa_float_round_mode_16_64 0
		.amdhsa_float_denorm_mode_32 3
		.amdhsa_float_denorm_mode_16_64 3
		.amdhsa_dx10_clamp 1
		.amdhsa_ieee_mode 1
		.amdhsa_fp16_overflow 0
		.amdhsa_tg_split 0
		.amdhsa_exception_fp_ieee_invalid_op 0
		.amdhsa_exception_fp_denorm_src 0
		.amdhsa_exception_fp_ieee_div_zero 0
		.amdhsa_exception_fp_ieee_overflow 0
		.amdhsa_exception_fp_ieee_underflow 0
		.amdhsa_exception_fp_ieee_inexact 0
		.amdhsa_exception_int_div_zero 0
	.end_amdhsa_kernel
	.section	.text._ZN5aiter35fused_qk_rmsnorm_group_quant_kernelIDF16_N4opus5fp4_tELi256ELi8ELi8ELb0ELb1ELb0ELb0ELb0ELb0EEEvPT0_PvPT_S7_S7_PKS6_S9_S9_S9_S9_ffiiiiiiiiiiiii,"axG",@progbits,_ZN5aiter35fused_qk_rmsnorm_group_quant_kernelIDF16_N4opus5fp4_tELi256ELi8ELi8ELb0ELb1ELb0ELb0ELb0ELb0EEEvPT0_PvPT_S7_S7_PKS6_S9_S9_S9_S9_ffiiiiiiiiiiiii,comdat
.Lfunc_end543:
	.size	_ZN5aiter35fused_qk_rmsnorm_group_quant_kernelIDF16_N4opus5fp4_tELi256ELi8ELi8ELb0ELb1ELb0ELb0ELb0ELb0EEEvPT0_PvPT_S7_S7_PKS6_S9_S9_S9_S9_ffiiiiiiiiiiiii, .Lfunc_end543-_ZN5aiter35fused_qk_rmsnorm_group_quant_kernelIDF16_N4opus5fp4_tELi256ELi8ELi8ELb0ELb1ELb0ELb0ELb0ELb0EEEvPT0_PvPT_S7_S7_PKS6_S9_S9_S9_S9_ffiiiiiiiiiiiii
                                        ; -- End function
	.section	.AMDGPU.csdata,"",@progbits
; Kernel info:
; codeLenInByte = 2444
; NumSgprs: 40
; NumVgprs: 23
; NumAgprs: 0
; TotalNumVgprs: 23
; ScratchSize: 0
; MemoryBound: 0
; FloatMode: 240
; IeeeMode: 1
; LDSByteSize: 32 bytes/workgroup (compile time only)
; SGPRBlocks: 4
; VGPRBlocks: 2
; NumSGPRsForWavesPerEU: 40
; NumVGPRsForWavesPerEU: 23
; AccumOffset: 24
; Occupancy: 8
; WaveLimiterHint : 0
; COMPUTE_PGM_RSRC2:SCRATCH_EN: 0
; COMPUTE_PGM_RSRC2:USER_SGPR: 6
; COMPUTE_PGM_RSRC2:TRAP_HANDLER: 0
; COMPUTE_PGM_RSRC2:TGID_X_EN: 1
; COMPUTE_PGM_RSRC2:TGID_Y_EN: 1
; COMPUTE_PGM_RSRC2:TGID_Z_EN: 0
; COMPUTE_PGM_RSRC2:TIDIG_COMP_CNT: 0
; COMPUTE_PGM_RSRC3_GFX90A:ACCUM_OFFSET: 5
; COMPUTE_PGM_RSRC3_GFX90A:TG_SPLIT: 0
	.section	.text._ZN5aiter35fused_qk_rmsnorm_group_quant_kernelItN4opus5fp4_tELi256ELi8ELi8ELb0ELb1ELb0ELb0ELb0ELb0EEEvPT0_PvPT_S7_S7_PKS6_S9_S9_S9_S9_ffiiiiiiiiiiiii,"axG",@progbits,_ZN5aiter35fused_qk_rmsnorm_group_quant_kernelItN4opus5fp4_tELi256ELi8ELi8ELb0ELb1ELb0ELb0ELb0ELb0EEEvPT0_PvPT_S7_S7_PKS6_S9_S9_S9_S9_ffiiiiiiiiiiiii,comdat
	.protected	_ZN5aiter35fused_qk_rmsnorm_group_quant_kernelItN4opus5fp4_tELi256ELi8ELi8ELb0ELb1ELb0ELb0ELb0ELb0EEEvPT0_PvPT_S7_S7_PKS6_S9_S9_S9_S9_ffiiiiiiiiiiiii ; -- Begin function _ZN5aiter35fused_qk_rmsnorm_group_quant_kernelItN4opus5fp4_tELi256ELi8ELi8ELb0ELb1ELb0ELb0ELb0ELb0EEEvPT0_PvPT_S7_S7_PKS6_S9_S9_S9_S9_ffiiiiiiiiiiiii
	.globl	_ZN5aiter35fused_qk_rmsnorm_group_quant_kernelItN4opus5fp4_tELi256ELi8ELi8ELb0ELb1ELb0ELb0ELb0ELb0EEEvPT0_PvPT_S7_S7_PKS6_S9_S9_S9_S9_ffiiiiiiiiiiiii
	.p2align	8
	.type	_ZN5aiter35fused_qk_rmsnorm_group_quant_kernelItN4opus5fp4_tELi256ELi8ELi8ELb0ELb1ELb0ELb0ELb0ELb0EEEvPT0_PvPT_S7_S7_PKS6_S9_S9_S9_S9_ffiiiiiiiiiiiii,@function
_ZN5aiter35fused_qk_rmsnorm_group_quant_kernelItN4opus5fp4_tELi256ELi8ELi8ELb0ELb1ELb0ELb0ELb0ELb0EEEvPT0_PvPT_S7_S7_PKS6_S9_S9_S9_S9_ffiiiiiiiiiiiii: ; @_ZN5aiter35fused_qk_rmsnorm_group_quant_kernelItN4opus5fp4_tELi256ELi8ELi8ELb0ELb1ELb0ELb0ELb0ELb0EEEvPT0_PvPT_S7_S7_PKS6_S9_S9_S9_S9_ffiiiiiiiiiiiii
; %bb.0:
	s_load_dwordx4 s[16:19], s[4:5], 0x50
	s_waitcnt lgkmcnt(0)
	s_cmp_ge_i32 s6, s18
	s_cbranch_scc1 .LBB544_10
; %bb.1:
	s_load_dwordx2 s[12:13], s[4:5], 0x48
	s_load_dwordx2 s[30:31], s[4:5], 0x30
	s_load_dwordx4 s[20:23], s[4:5], 0x60
	s_cmp_lg_u32 s7, 0
	s_cselect_b64 s[14:15], -1, 0
	s_cmp_eq_u32 s7, 0
	s_cselect_b64 vcc, -1, 0
	s_and_b64 s[0:1], vcc, exec
	s_waitcnt lgkmcnt(0)
	s_cselect_b32 s7, s19, s20
	s_add_i32 s0, s7, 1
	s_lshr_b32 s1, s0, 31
	s_add_i32 s0, s0, s1
	s_lshl_b32 s0, s0, 1
	v_lshlrev_b32_e32 v1, 3, v0
	s_and_b32 s10, s0, -4
	v_cmp_gt_i32_e64 s[2:3], s7, v1
	v_mov_b32_e32 v2, 0
	v_mov_b32_e32 v3, 0
	;; [unrolled: 1-line block ×8, first 2 shown]
	s_and_saveexec_b64 s[0:1], s[2:3]
	s_cbranch_execz .LBB544_3
; %bb.2:
	s_load_dwordx2 s[8:9], s[4:5], 0x28
	s_load_dwordx2 s[26:27], s[4:5], 0x40
	s_and_b64 s[24:25], vcc, exec
	s_cselect_b32 s11, s21, s22
	v_lshlrev_b32_e32 v10, 4, v0
	s_waitcnt lgkmcnt(0)
	s_cselect_b32 s18, s9, s31
	s_cselect_b32 s21, s8, s30
	s_mul_hi_i32 s9, s11, s6
	s_mul_i32 s8, s11, s6
	s_lshl_b64 s[8:9], s[8:9], 1
	s_add_u32 s24, s21, s8
	s_addc_u32 s18, s18, s9
	s_and_b64 s[8:9], vcc, exec
	s_mov_b32 s11, 0x20000
	s_cselect_b32 s8, s26, s12
	s_cselect_b32 s9, s27, s13
	s_and_b32 s25, s18, 0xffff
	s_mov_b32 s26, s10
	s_mov_b32 s27, s11
	s_and_b32 s9, s9, 0xffff
	buffer_load_dwordx4 v[6:9], v10, s[24:27], 0 offen glc slc
	buffer_load_dwordx4 v[2:5], v10, s[8:11], 0 offen
.LBB544_3:
	s_or_b64 exec, exec, s[0:1]
	s_waitcnt vmcnt(1)
	v_cvt_f32_u32_sdwa v13, v6 dst_sel:DWORD dst_unused:UNUSED_PAD src0_sel:WORD_1
	v_cvt_f32_u32_sdwa v12, v6 dst_sel:DWORD dst_unused:UNUSED_PAD src0_sel:WORD_0
	v_cvt_f32_u32_sdwa v6, v9 dst_sel:DWORD dst_unused:UNUSED_PAD src0_sel:WORD_1
	v_cvt_f32_u32_sdwa v9, v9 dst_sel:DWORD dst_unused:UNUSED_PAD src0_sel:WORD_0
	;; [unrolled: 2-line block ×4, first 2 shown]
	v_cndmask_b32_e64 v13, 0, v13, s[2:3]
	v_cndmask_b32_e64 v7, 0, v6, s[2:3]
	v_cndmask_b32_e64 v6, 0, v9, s[2:3]
	v_cndmask_b32_e64 v9, 0, v14, s[2:3]
	v_cndmask_b32_e64 v12, 0, v12, s[2:3]
	v_mul_f32_e32 v14, v13, v13
	v_cndmask_b32_e64 v10, 0, v10, s[2:3]
	v_fmac_f32_e32 v14, v12, v12
	v_cndmask_b32_e64 v11, 0, v11, s[2:3]
	v_fmac_f32_e32 v14, v10, v10
	;; [unrolled: 2-line block ×3, first 2 shown]
	v_fmac_f32_e32 v14, v8, v8
	v_fmac_f32_e32 v14, v9, v9
	;; [unrolled: 1-line block ×4, first 2 shown]
	v_and_b32_e32 v16, 63, v0
	v_cmp_eq_u32_e64 s[0:1], 63, v16
	v_mov_b32_dpp v15, v14 quad_perm:[1,0,3,2] row_mask:0xf bank_mask:0xf
	v_add_f32_e32 v14, v14, v15
	s_nop 1
	v_mov_b32_dpp v15, v14 quad_perm:[2,3,0,1] row_mask:0xf bank_mask:0xf
	v_add_f32_e32 v14, v14, v15
	s_nop 1
	v_mov_b32_dpp v15, v14 row_half_mirror row_mask:0xf bank_mask:0xf
	v_add_f32_e32 v14, v14, v15
	s_nop 1
	v_mov_b32_dpp v15, v14 row_mirror row_mask:0xf bank_mask:0xf
	v_add_f32_e32 v14, v14, v15
	s_nop 1
	v_mov_b32_dpp v15, v14 row_bcast:15 row_mask:0xf bank_mask:0xf
	v_add_f32_e32 v14, v14, v15
	s_nop 1
	v_mov_b32_dpp v15, v14 row_bcast:31 row_mask:0xf bank_mask:0xf
	s_and_saveexec_b64 s[8:9], s[0:1]
	s_cbranch_execz .LBB544_5
; %bb.4:
	v_add_f32_e32 v14, v14, v15
	v_lshrrev_b32_e32 v15, 4, v0
	v_and_b32_e32 v15, 60, v15
	ds_write_b32 v15, v14 offset:16
.LBB544_5:
	s_or_b64 exec, exec, s[8:9]
	v_and_b32_e32 v14, 3, v0
	v_lshlrev_b32_e32 v14, 2, v14
	s_waitcnt lgkmcnt(0)
	s_barrier
	ds_read_b32 v15, v14 offset:16
	s_load_dwordx2 s[28:29], s[4:5], 0x18
	s_waitcnt lgkmcnt(0)
	v_mov_b32_dpp v16, v15 quad_perm:[1,0,3,2] row_mask:0xf bank_mask:0xf
	v_add_f32_e32 v15, v15, v16
	s_nop 1
	v_mov_b32_dpp v16, v15 quad_perm:[2,3,0,1] row_mask:0xf bank_mask:0xf
	s_and_saveexec_b64 s[8:9], s[2:3]
	s_cbranch_execz .LBB544_7
; %bb.6:
	v_cvt_f32_u32_e32 v17, s7
	v_add_f32_e32 v15, v15, v16
	v_mov_b32_e32 v19, s17
	v_mov_b32_e32 v20, s16
	v_div_scale_f32 v16, s[24:25], v17, v17, v15
	v_rcp_f32_e32 v18, v16
	v_cndmask_b32_e32 v19, v19, v20, vcc
	s_mov_b32 s7, 0x800000
	v_fma_f32 v20, -v16, v18, 1.0
	v_fmac_f32_e32 v18, v20, v18
	v_div_scale_f32 v20, vcc, v15, v17, v15
	v_mul_f32_e32 v21, v20, v18
	v_fma_f32 v22, -v16, v21, v20
	v_fmac_f32_e32 v21, v22, v18
	v_fma_f32 v16, -v16, v21, v20
	v_div_fmas_f32 v16, v16, v18, v21
	v_div_fixup_f32 v15, v16, v17, v15
	v_add_f32_e32 v15, v19, v15
	v_mul_f32_e32 v16, 0x4b800000, v15
	v_cmp_gt_f32_e32 vcc, s7, v15
	v_cndmask_b32_e32 v15, v15, v16, vcc
	v_rsq_f32_e32 v15, v15
	s_waitcnt vmcnt(0)
	v_cvt_f32_u32_sdwa v19, v3 dst_sel:DWORD dst_unused:UNUSED_PAD src0_sel:WORD_1
	v_cvt_f32_u32_sdwa v18, v3 dst_sel:DWORD dst_unused:UNUSED_PAD src0_sel:WORD_0
	v_cvt_f32_u32_sdwa v3, v4 dst_sel:DWORD dst_unused:UNUSED_PAD src0_sel:WORD_1
	v_mul_f32_e32 v16, 0x45800000, v15
	v_cndmask_b32_e32 v16, v15, v16, vcc
	v_mov_b32_e32 v17, v16
	;;#ASMSTART
	v_pk_mul_f32 v[12:13], v[12:13], v[16:17]
	;;#ASMEND
	;;#ASMSTART
	v_pk_mul_f32 v[10:11], v[10:11], v[16:17]
	;;#ASMEND
	;; [unrolled: 3-line block ×4, first 2 shown]
	v_cvt_f32_u32_sdwa v17, v2 dst_sel:DWORD dst_unused:UNUSED_PAD src0_sel:WORD_1
	v_cvt_f32_u32_sdwa v16, v2 dst_sel:DWORD dst_unused:UNUSED_PAD src0_sel:WORD_0
	v_cvt_f32_u32_sdwa v2, v4 dst_sel:DWORD dst_unused:UNUSED_PAD src0_sel:WORD_0
	v_cvt_f32_u32_sdwa v21, v5 dst_sel:DWORD dst_unused:UNUSED_PAD src0_sel:WORD_1
	v_cvt_f32_u32_sdwa v20, v5 dst_sel:DWORD dst_unused:UNUSED_PAD src0_sel:WORD_0
	;;#ASMSTART
	v_pk_mul_f32 v[12:13], v[12:13], v[16:17]
	;;#ASMEND
	;;#ASMSTART
	v_pk_mul_f32 v[10:11], v[10:11], v[18:19]
	;;#ASMEND
	;; [unrolled: 3-line block ×4, first 2 shown]
.LBB544_7:
	s_or_b64 exec, exec, s[8:9]
	s_load_dword s7, s[4:5], 0x80
	s_mov_b64 s[8:9], -1
	s_and_b64 vcc, exec, s[14:15]
	s_cbranch_vccnz .LBB544_11
; %bb.8:
	s_andn2_b64 vcc, exec, s[8:9]
	s_cbranch_vccz .LBB544_14
.LBB544_9:
	s_cmp_lt_i32 s20, 1
	s_cbranch_scc0 .LBB544_23
.LBB544_10:
	s_endpgm
.LBB544_11:
	s_and_saveexec_b64 s[14:15], s[2:3]
	s_cbranch_execz .LBB544_13
; %bb.12:
	s_waitcnt lgkmcnt(0)
	s_mul_hi_i32 s9, s7, s6
	s_mul_i32 s8, s7, s6
	s_lshl_b64 s[8:9], s[8:9], 1
	s_add_u32 s8, s28, s8
	s_addc_u32 s9, s29, s9
	s_mov_b32 s16, 0x7060302
	s_and_b32 s9, s9, 0xffff
	s_mov_b32 s11, 0x20000
	s_waitcnt vmcnt(0)
	v_perm_b32 v2, v13, v12, s16
	v_perm_b32 v3, v11, v10, s16
	;; [unrolled: 1-line block ×4, first 2 shown]
	v_lshlrev_b32_e32 v15, 4, v0
	buffer_store_dwordx4 v[2:5], v15, s[8:11], 0 offen
	;;#ASMSTART
	s_nop 0
	;;#ASMEND
.LBB544_13:
	s_or_b64 exec, exec, s[14:15]
	s_cbranch_execnz .LBB544_9
.LBB544_14:
	s_load_dwordx4 s[24:27], s[4:5], 0x70
	s_waitcnt vmcnt(0)
	v_mov_b32_e32 v2, 0
	s_and_saveexec_b64 s[14:15], s[2:3]
	s_cbranch_execz .LBB544_16
; %bb.15:
	s_load_dwordx2 s[8:9], s[4:5], 0x10
	s_waitcnt lgkmcnt(0)
	s_mul_hi_i32 s35, s27, s6
	s_mul_i32 s34, s27, s6
	s_lshl_b64 s[34:35], s[34:35], 1
	s_mov_b32 s16, 0x7060302
	s_add_u32 s8, s8, s34
	s_addc_u32 s9, s9, s35
	s_mov_b32 s11, 0x20000
	s_and_b32 s9, s9, 0xffff
	v_perm_b32 v2, v13, v12, s16
	v_perm_b32 v3, v11, v10, s16
	;; [unrolled: 1-line block ×4, first 2 shown]
	v_lshlrev_b32_e32 v15, 4, v0
	buffer_store_dwordx4 v[2:5], v15, s[8:11], 0 offen
	;;#ASMSTART
	s_nop 0
	;;#ASMEND
	s_nop 0
	v_mov_b32_e32 v2, 0x2edbe6ff
.LBB544_16:
	s_or_b64 exec, exec, s[14:15]
	s_and_saveexec_b64 s[8:9], s[2:3]
	s_cbranch_execz .LBB544_18
; %bb.17:
	v_and_b32_e32 v3, 0x7fffffff, v12
	v_and_b32_e32 v4, 0x7fffffff, v13
	;;#ASMSTART
	v_max3_f32 v2, v2, v3, v4

	;;#ASMEND
	v_and_b32_e32 v3, 0x7fffffff, v10
	v_and_b32_e32 v4, 0x7fffffff, v11
	;;#ASMSTART
	v_max3_f32 v2, v2, v3, v4

	;;#ASMEND
	;; [unrolled: 6-line block ×4, first 2 shown]
.LBB544_18:
	s_or_b64 exec, exec, s[8:9]
	;;#ASMSTART
	v_max_f32 v3, v2, v2 quad_perm:[1,0,3,2] row_mask:0xf bank_mask:0xf bound_ctrl:1
	;;#ASMEND
	;;#ASMSTART
	v_max_f32 v4, v3, v3 quad_perm:[2,3,0,1] row_mask:0xf bank_mask:0xf bound_ctrl:1
	;;#ASMEND
	v_and_b32_e32 v3, 7, v0
	v_cmp_eq_u32_e32 vcc, 0, v3
	v_cmp_gt_i32_e64 s[8:9], s19, v1
	s_and_b64 s[10:11], vcc, s[8:9]
	;;#ASMSTART
	v_max_f32 v2, v4, v4 row_half_mirror row_mask:0xf bank_mask:0xf bound_ctrl:1
	;;#ASMEND
	s_and_saveexec_b64 s[8:9], s[10:11]
	s_cbranch_execz .LBB544_20
; %bb.19:
	s_load_dwordx2 s[10:11], s[4:5], 0x8
	v_mul_f32_e32 v2, 0x3e2aaaab, v2
	v_lshrrev_b32_e32 v3, 23, v2
	v_and_b32_e32 v4, 0x7f800000, v2
	v_and_b32_e32 v2, 0x7fffff, v2
	v_cmp_ne_u32_e32 vcc, 0, v2
	s_waitcnt lgkmcnt(0)
	s_mul_i32 s16, s25, s6
	s_mov_b32 s14, 0x7f800000
	v_addc_co_u32_e32 v2, vcc, 0, v3, vcc
	s_mul_hi_i32 s15, s25, s6
	s_add_u32 s10, s10, s16
	v_cmp_ne_u32_e32 vcc, s14, v4
	s_addc_u32 s11, s11, s15
	v_lshrrev_b32_e32 v5, 3, v0
	v_cndmask_b32_e32 v4, -1, v2, vcc
	v_pk_mov_b32 v[2:3], s[10:11], s[10:11] op_sel:[0,1]
	v_mad_i64_i32 v[2:3], s[10:11], s26, v5, v[2:3]
	global_store_byte v[2:3], v4, off
.LBB544_20:
	s_or_b64 exec, exec, s[8:9]
	s_and_saveexec_b64 s[8:9], s[2:3]
	s_cbranch_execz .LBB544_22
; %bb.21:
	s_load_dwordx2 s[2:3], s[4:5], 0x0
	s_waitcnt lgkmcnt(0)
	s_mul_i32 s11, s24, s6
	s_mul_hi_i32 s10, s24, s6
	v_lshlrev_b32_e32 v2, 2, v0
	s_mov_b32 s27, 0x20000
	s_add_u32 s24, s2, s11
	s_addc_u32 s2, s3, s10
	s_lshr_b32 s3, s19, 31
	s_add_i32 s3, s19, s3
	s_ashr_i32 s3, s3, 1
	s_add_i32 s3, s3, 3
	s_ashr_i32 s10, s3, 31
	s_lshr_b32 s10, s10, 30
	s_add_i32 s3, s3, s10
	s_and_b32 s26, s3, -4
	s_and_b32 s25, s2, 0xffff
	v_mov_b32_e32 v3, 0
	buffer_store_dword v3, v2, s[24:27], 0 offen
	;;#ASMSTART
	s_nop 0
	;;#ASMEND
.LBB544_22:
	s_or_b64 exec, exec, s[8:9]
	s_cmp_lt_i32 s20, 1
	s_cbranch_scc1 .LBB544_10
.LBB544_23:
	s_load_dword s2, s[4:5], 0x94
	s_waitcnt lgkmcnt(0)
	s_cmp_lg_u32 s2, 1
	s_cbranch_scc1 .LBB544_10
; %bb.24:
	s_lshl_b32 s2, s20, 1
	s_add_i32 s2, s2, 2
	v_cmp_gt_u32_e32 vcc, s20, v1
	s_and_b32 s14, s2, -4
	v_mov_b32_e32 v6, 0
	v_lshlrev_b32_e32 v1, 4, v0
	v_mov_b32_e32 v7, 0
	v_mov_b32_e32 v8, 0
	;; [unrolled: 1-line block ×3, first 2 shown]
	s_waitcnt vmcnt(0)
	v_mov_b32_e32 v2, 0
	v_mov_b32_e32 v3, 0
	;; [unrolled: 1-line block ×4, first 2 shown]
	s_barrier
	s_and_saveexec_b64 s[2:3], vcc
	s_cbranch_execz .LBB544_26
; %bb.25:
	s_mul_hi_i32 s5, s22, s6
	s_mul_i32 s4, s22, s6
	s_and_b32 s13, s13, 0xffff
	s_lshl_b64 s[4:5], s[4:5], 1
	s_add_u32 s8, s30, s4
	s_mov_b32 s15, 0x20000
	s_addc_u32 s4, s31, s5
	s_and_b32 s9, s4, 0xffff
	s_mov_b32 s10, s14
	s_mov_b32 s11, s15
	buffer_load_dwordx4 v[6:9], v1, s[8:11], 0 offen glc slc
	buffer_load_dwordx4 v[2:5], v1, s[12:15], 0 offen
.LBB544_26:
	s_or_b64 exec, exec, s[2:3]
	s_waitcnt vmcnt(1)
	v_cvt_f32_u32_sdwa v13, v6 dst_sel:DWORD dst_unused:UNUSED_PAD src0_sel:WORD_1
	v_cvt_f32_u32_sdwa v12, v6 dst_sel:DWORD dst_unused:UNUSED_PAD src0_sel:WORD_0
	v_cvt_f32_u32_sdwa v6, v9 dst_sel:DWORD dst_unused:UNUSED_PAD src0_sel:WORD_1
	v_cvt_f32_u32_sdwa v9, v9 dst_sel:DWORD dst_unused:UNUSED_PAD src0_sel:WORD_0
	;; [unrolled: 2-line block ×4, first 2 shown]
	v_cndmask_b32_e32 v13, 0, v13, vcc
	v_cndmask_b32_e32 v7, 0, v6, vcc
	;; [unrolled: 1-line block ×5, first 2 shown]
	v_mul_f32_e32 v15, v13, v13
	v_cndmask_b32_e32 v10, 0, v10, vcc
	v_fmac_f32_e32 v15, v12, v12
	v_cndmask_b32_e32 v11, 0, v11, vcc
	v_fmac_f32_e32 v15, v10, v10
	;; [unrolled: 2-line block ×3, first 2 shown]
	v_fmac_f32_e32 v15, v8, v8
	v_fmac_f32_e32 v15, v9, v9
	;; [unrolled: 1-line block ×4, first 2 shown]
	s_nop 1
	v_mov_b32_dpp v16, v15 quad_perm:[1,0,3,2] row_mask:0xf bank_mask:0xf
	v_add_f32_e32 v15, v15, v16
	s_nop 1
	v_mov_b32_dpp v16, v15 quad_perm:[2,3,0,1] row_mask:0xf bank_mask:0xf
	v_add_f32_e32 v15, v15, v16
	s_nop 1
	v_mov_b32_dpp v16, v15 row_half_mirror row_mask:0xf bank_mask:0xf
	v_add_f32_e32 v15, v15, v16
	s_nop 1
	v_mov_b32_dpp v16, v15 row_mirror row_mask:0xf bank_mask:0xf
	v_add_f32_e32 v15, v15, v16
	s_nop 1
	v_mov_b32_dpp v16, v15 row_bcast:15 row_mask:0xf bank_mask:0xf
	v_add_f32_e32 v15, v15, v16
	s_nop 1
	v_mov_b32_dpp v16, v15 row_bcast:31 row_mask:0xf bank_mask:0xf
	s_and_saveexec_b64 s[2:3], s[0:1]
	s_cbranch_execz .LBB544_28
; %bb.27:
	v_lshrrev_b32_e32 v0, 4, v0
	v_add_f32_e32 v15, v15, v16
	v_and_b32_e32 v0, 60, v0
	ds_write_b32 v0, v15
.LBB544_28:
	s_or_b64 exec, exec, s[2:3]
	s_waitcnt lgkmcnt(0)
	s_barrier
	ds_read_b32 v0, v14
	s_waitcnt lgkmcnt(0)
	s_nop 0
	v_mov_b32_dpp v14, v0 quad_perm:[1,0,3,2] row_mask:0xf bank_mask:0xf
	v_add_f32_e32 v0, v0, v14
	s_nop 1
	v_mov_b32_dpp v14, v0 quad_perm:[2,3,0,1] row_mask:0xf bank_mask:0xf
	s_and_saveexec_b64 s[0:1], vcc
	s_cbranch_execz .LBB544_10
; %bb.29:
	v_cvt_f32_u32_e32 v15, s20
	v_add_f32_e32 v0, v0, v14
	s_mov_b32 s15, 0x20000
	v_div_scale_f32 v14, s[0:1], v15, v15, v0
	v_rcp_f32_e32 v16, v14
	v_div_scale_f32 v17, vcc, v0, v15, v0
	s_mov_b32 s0, 0x800000
	v_fma_f32 v18, -v14, v16, 1.0
	v_fmac_f32_e32 v16, v18, v16
	v_mul_f32_e32 v18, v17, v16
	v_fma_f32 v19, -v14, v18, v17
	v_fmac_f32_e32 v18, v19, v16
	v_fma_f32 v14, -v14, v18, v17
	v_div_fmas_f32 v14, v14, v16, v18
	v_div_fixup_f32 v0, v14, v15, v0
	v_add_f32_e32 v0, s17, v0
	v_mul_f32_e32 v14, 0x4b800000, v0
	v_cmp_gt_f32_e32 vcc, s0, v0
	v_cndmask_b32_e32 v0, v0, v14, vcc
	v_rsq_f32_e32 v0, v0
	s_mul_hi_i32 s1, s7, s6
	s_mul_i32 s0, s7, s6
	s_lshl_b64 s[0:1], s[0:1], 1
	v_mul_f32_e32 v14, 0x45800000, v0
	v_cndmask_b32_e32 v14, v0, v14, vcc
	s_add_u32 s12, s28, s0
	v_mov_b32_e32 v15, v14
	s_addc_u32 s0, s29, s1
	;;#ASMSTART
	v_pk_mul_f32 v[12:13], v[12:13], v[14:15]
	;;#ASMEND
	;;#ASMSTART
	v_pk_mul_f32 v[10:11], v[10:11], v[14:15]
	;;#ASMEND
	;; [unrolled: 3-line block ×4, first 2 shown]
	s_waitcnt vmcnt(0)
	v_cvt_f32_u32_sdwa v15, v2 dst_sel:DWORD dst_unused:UNUSED_PAD src0_sel:WORD_1
	v_cvt_f32_u32_sdwa v14, v2 dst_sel:DWORD dst_unused:UNUSED_PAD src0_sel:WORD_0
	v_cvt_f32_u32_sdwa v17, v3 dst_sel:DWORD dst_unused:UNUSED_PAD src0_sel:WORD_1
	v_cvt_f32_u32_sdwa v16, v3 dst_sel:DWORD dst_unused:UNUSED_PAD src0_sel:WORD_0
	;; [unrolled: 2-line block ×4, first 2 shown]
	;;#ASMSTART
	v_pk_mul_f32 v[4:5], v[12:13], v[14:15]
	;;#ASMEND
	s_and_b32 s13, s0, 0xffff
	s_mov_b32 s0, 0x7060302
	;;#ASMSTART
	v_pk_mul_f32 v[10:11], v[10:11], v[16:17]
	;;#ASMEND
	;;#ASMSTART
	v_pk_mul_f32 v[8:9], v[8:9], v[2:3]
	;;#ASMEND
	;; [unrolled: 3-line block ×3, first 2 shown]
	v_perm_b32 v2, v5, v4, s0
	v_perm_b32 v3, v11, v10, s0
	;; [unrolled: 1-line block ×4, first 2 shown]
	buffer_store_dwordx4 v[2:5], v1, s[12:15], 0 offen
	;;#ASMSTART
	s_nop 0
	;;#ASMEND
	s_endpgm
	.section	.rodata,"a",@progbits
	.p2align	6, 0x0
	.amdhsa_kernel _ZN5aiter35fused_qk_rmsnorm_group_quant_kernelItN4opus5fp4_tELi256ELi8ELi8ELb0ELb1ELb0ELb0ELb0ELb0EEEvPT0_PvPT_S7_S7_PKS6_S9_S9_S9_S9_ffiiiiiiiiiiiii
		.amdhsa_group_segment_fixed_size 32
		.amdhsa_private_segment_fixed_size 0
		.amdhsa_kernarg_size 400
		.amdhsa_user_sgpr_count 6
		.amdhsa_user_sgpr_private_segment_buffer 1
		.amdhsa_user_sgpr_dispatch_ptr 0
		.amdhsa_user_sgpr_queue_ptr 0
		.amdhsa_user_sgpr_kernarg_segment_ptr 1
		.amdhsa_user_sgpr_dispatch_id 0
		.amdhsa_user_sgpr_flat_scratch_init 0
		.amdhsa_user_sgpr_kernarg_preload_length 0
		.amdhsa_user_sgpr_kernarg_preload_offset 0
		.amdhsa_user_sgpr_private_segment_size 0
		.amdhsa_uses_dynamic_stack 0
		.amdhsa_system_sgpr_private_segment_wavefront_offset 0
		.amdhsa_system_sgpr_workgroup_id_x 1
		.amdhsa_system_sgpr_workgroup_id_y 1
		.amdhsa_system_sgpr_workgroup_id_z 0
		.amdhsa_system_sgpr_workgroup_info 0
		.amdhsa_system_vgpr_workitem_id 0
		.amdhsa_next_free_vgpr 23
		.amdhsa_next_free_sgpr 36
		.amdhsa_accum_offset 24
		.amdhsa_reserve_vcc 1
		.amdhsa_reserve_flat_scratch 0
		.amdhsa_float_round_mode_32 0
		.amdhsa_float_round_mode_16_64 0
		.amdhsa_float_denorm_mode_32 3
		.amdhsa_float_denorm_mode_16_64 3
		.amdhsa_dx10_clamp 1
		.amdhsa_ieee_mode 1
		.amdhsa_fp16_overflow 0
		.amdhsa_tg_split 0
		.amdhsa_exception_fp_ieee_invalid_op 0
		.amdhsa_exception_fp_denorm_src 0
		.amdhsa_exception_fp_ieee_div_zero 0
		.amdhsa_exception_fp_ieee_overflow 0
		.amdhsa_exception_fp_ieee_underflow 0
		.amdhsa_exception_fp_ieee_inexact 0
		.amdhsa_exception_int_div_zero 0
	.end_amdhsa_kernel
	.section	.text._ZN5aiter35fused_qk_rmsnorm_group_quant_kernelItN4opus5fp4_tELi256ELi8ELi8ELb0ELb1ELb0ELb0ELb0ELb0EEEvPT0_PvPT_S7_S7_PKS6_S9_S9_S9_S9_ffiiiiiiiiiiiii,"axG",@progbits,_ZN5aiter35fused_qk_rmsnorm_group_quant_kernelItN4opus5fp4_tELi256ELi8ELi8ELb0ELb1ELb0ELb0ELb0ELb0EEEvPT0_PvPT_S7_S7_PKS6_S9_S9_S9_S9_ffiiiiiiiiiiiii,comdat
.Lfunc_end544:
	.size	_ZN5aiter35fused_qk_rmsnorm_group_quant_kernelItN4opus5fp4_tELi256ELi8ELi8ELb0ELb1ELb0ELb0ELb0ELb0EEEvPT0_PvPT_S7_S7_PKS6_S9_S9_S9_S9_ffiiiiiiiiiiiii, .Lfunc_end544-_ZN5aiter35fused_qk_rmsnorm_group_quant_kernelItN4opus5fp4_tELi256ELi8ELi8ELb0ELb1ELb0ELb0ELb0ELb0EEEvPT0_PvPT_S7_S7_PKS6_S9_S9_S9_S9_ffiiiiiiiiiiiii
                                        ; -- End function
	.section	.AMDGPU.csdata,"",@progbits
; Kernel info:
; codeLenInByte = 2436
; NumSgprs: 40
; NumVgprs: 23
; NumAgprs: 0
; TotalNumVgprs: 23
; ScratchSize: 0
; MemoryBound: 0
; FloatMode: 240
; IeeeMode: 1
; LDSByteSize: 32 bytes/workgroup (compile time only)
; SGPRBlocks: 4
; VGPRBlocks: 2
; NumSGPRsForWavesPerEU: 40
; NumVGPRsForWavesPerEU: 23
; AccumOffset: 24
; Occupancy: 8
; WaveLimiterHint : 0
; COMPUTE_PGM_RSRC2:SCRATCH_EN: 0
; COMPUTE_PGM_RSRC2:USER_SGPR: 6
; COMPUTE_PGM_RSRC2:TRAP_HANDLER: 0
; COMPUTE_PGM_RSRC2:TGID_X_EN: 1
; COMPUTE_PGM_RSRC2:TGID_Y_EN: 1
; COMPUTE_PGM_RSRC2:TGID_Z_EN: 0
; COMPUTE_PGM_RSRC2:TIDIG_COMP_CNT: 0
; COMPUTE_PGM_RSRC3_GFX90A:ACCUM_OFFSET: 5
; COMPUTE_PGM_RSRC3_GFX90A:TG_SPLIT: 0
	.section	.text._ZN5aiter35fused_qk_rmsnorm_group_quant_kernelIDF16_DB8_Li256ELi8ELi8ELb0ELb0ELb1ELb0ELb0ELb0EEEvPT0_PvPT_S6_S6_PKS5_S8_S8_S8_S8_ffiiiiiiiiiiiii,"axG",@progbits,_ZN5aiter35fused_qk_rmsnorm_group_quant_kernelIDF16_DB8_Li256ELi8ELi8ELb0ELb0ELb1ELb0ELb0ELb0EEEvPT0_PvPT_S6_S6_PKS5_S8_S8_S8_S8_ffiiiiiiiiiiiii,comdat
	.protected	_ZN5aiter35fused_qk_rmsnorm_group_quant_kernelIDF16_DB8_Li256ELi8ELi8ELb0ELb0ELb1ELb0ELb0ELb0EEEvPT0_PvPT_S6_S6_PKS5_S8_S8_S8_S8_ffiiiiiiiiiiiii ; -- Begin function _ZN5aiter35fused_qk_rmsnorm_group_quant_kernelIDF16_DB8_Li256ELi8ELi8ELb0ELb0ELb1ELb0ELb0ELb0EEEvPT0_PvPT_S6_S6_PKS5_S8_S8_S8_S8_ffiiiiiiiiiiiii
	.globl	_ZN5aiter35fused_qk_rmsnorm_group_quant_kernelIDF16_DB8_Li256ELi8ELi8ELb0ELb0ELb1ELb0ELb0ELb0EEEvPT0_PvPT_S6_S6_PKS5_S8_S8_S8_S8_ffiiiiiiiiiiiii
	.p2align	8
	.type	_ZN5aiter35fused_qk_rmsnorm_group_quant_kernelIDF16_DB8_Li256ELi8ELi8ELb0ELb0ELb1ELb0ELb0ELb0EEEvPT0_PvPT_S6_S6_PKS5_S8_S8_S8_S8_ffiiiiiiiiiiiii,@function
_ZN5aiter35fused_qk_rmsnorm_group_quant_kernelIDF16_DB8_Li256ELi8ELi8ELb0ELb0ELb1ELb0ELb0ELb0EEEvPT0_PvPT_S6_S6_PKS5_S8_S8_S8_S8_ffiiiiiiiiiiiii: ; @_ZN5aiter35fused_qk_rmsnorm_group_quant_kernelIDF16_DB8_Li256ELi8ELi8ELb0ELb0ELb1ELb0ELb0ELb0EEEvPT0_PvPT_S6_S6_PKS5_S8_S8_S8_S8_ffiiiiiiiiiiiii
; %bb.0:
	s_load_dwordx4 s[16:19], s[4:5], 0x50
	s_waitcnt lgkmcnt(0)
	s_cmp_ge_i32 s6, s18
	s_cbranch_scc1 .LBB545_12
; %bb.1:
	s_load_dwordx2 s[12:13], s[4:5], 0x48
	s_load_dwordx2 s[30:31], s[4:5], 0x30
	s_load_dwordx4 s[20:23], s[4:5], 0x60
	s_cmp_lg_u32 s7, 0
	s_cselect_b64 s[14:15], -1, 0
	s_cmp_eq_u32 s7, 0
	s_cselect_b64 vcc, -1, 0
	s_and_b64 s[0:1], vcc, exec
	s_waitcnt lgkmcnt(0)
	s_cselect_b32 s7, s19, s20
	s_add_i32 s0, s7, 1
	s_lshr_b32 s1, s0, 31
	s_add_i32 s0, s0, s1
	s_lshl_b32 s0, s0, 1
	v_lshlrev_b32_e32 v1, 3, v0
	s_and_b32 s10, s0, -4
	v_cmp_gt_i32_e64 s[2:3], s7, v1
	v_mov_b32_e32 v10, 0
	v_mov_b32_e32 v2, 0
	;; [unrolled: 1-line block ×9, first 2 shown]
	s_and_saveexec_b64 s[0:1], s[2:3]
	s_cbranch_execz .LBB545_3
; %bb.2:
	s_load_dwordx2 s[8:9], s[4:5], 0x28
	s_load_dwordx2 s[26:27], s[4:5], 0x40
	s_and_b64 s[24:25], vcc, exec
	s_cselect_b32 s11, s21, s22
	v_lshlrev_b32_e32 v11, 4, v0
	s_waitcnt lgkmcnt(0)
	s_cselect_b32 s18, s9, s31
	s_cselect_b32 s21, s8, s30
	s_mul_hi_i32 s9, s11, s6
	s_mul_i32 s8, s11, s6
	s_lshl_b64 s[8:9], s[8:9], 1
	s_add_u32 s24, s21, s8
	s_addc_u32 s18, s18, s9
	s_and_b64 s[8:9], vcc, exec
	s_mov_b32 s11, 0x20000
	s_cselect_b32 s8, s26, s12
	s_cselect_b32 s9, s27, s13
	s_and_b32 s25, s18, 0xffff
	s_mov_b32 s26, s10
	s_mov_b32 s27, s11
	s_and_b32 s9, s9, 0xffff
	buffer_load_dwordx4 v[6:9], v11, s[24:27], 0 offen glc slc
	buffer_load_dwordx4 v[2:5], v11, s[8:11], 0 offen
.LBB545_3:
	s_or_b64 exec, exec, s[0:1]
	v_mov_b32_e32 v11, 0
	v_mov_b32_e32 v16, 0
	v_mov_b32_e32 v17, 0
	v_mov_b32_e32 v14, 0
	v_mov_b32_e32 v15, 0
	v_mov_b32_e32 v12, 0
	v_mov_b32_e32 v13, 0
	s_and_saveexec_b64 s[0:1], s[2:3]
	s_cbranch_execz .LBB545_5
; %bb.4:
	s_waitcnt vmcnt(1)
	v_cvt_f32_f16_sdwa v11, v6 dst_sel:DWORD dst_unused:UNUSED_PAD src0_sel:WORD_1
	v_cvt_f32_f16_e32 v10, v6
	v_cvt_f32_f16_sdwa v17, v7 dst_sel:DWORD dst_unused:UNUSED_PAD src0_sel:WORD_1
	v_cvt_f32_f16_e32 v16, v7
	;; [unrolled: 2-line block ×4, first 2 shown]
.LBB545_5:
	s_or_b64 exec, exec, s[0:1]
	s_waitcnt vmcnt(1)
	v_mul_f32_e32 v6, v11, v11
	v_fmac_f32_e32 v6, v10, v10
	v_fmac_f32_e32 v6, v16, v16
	;; [unrolled: 1-line block ×7, first 2 shown]
	v_and_b32_e32 v8, 63, v0
	v_cmp_eq_u32_e64 s[0:1], 63, v8
	v_mov_b32_dpp v7, v6 quad_perm:[1,0,3,2] row_mask:0xf bank_mask:0xf
	v_add_f32_e32 v6, v6, v7
	s_nop 1
	v_mov_b32_dpp v7, v6 quad_perm:[2,3,0,1] row_mask:0xf bank_mask:0xf
	v_add_f32_e32 v6, v6, v7
	s_nop 1
	v_mov_b32_dpp v7, v6 row_half_mirror row_mask:0xf bank_mask:0xf
	v_add_f32_e32 v6, v6, v7
	s_nop 1
	v_mov_b32_dpp v7, v6 row_mirror row_mask:0xf bank_mask:0xf
	v_add_f32_e32 v6, v6, v7
	s_nop 1
	v_mov_b32_dpp v7, v6 row_bcast:15 row_mask:0xf bank_mask:0xf
	v_add_f32_e32 v6, v6, v7
	s_nop 1
	v_mov_b32_dpp v7, v6 row_bcast:31 row_mask:0xf bank_mask:0xf
	s_and_saveexec_b64 s[8:9], s[0:1]
	s_cbranch_execz .LBB545_7
; %bb.6:
	v_add_f32_e32 v6, v6, v7
	v_lshrrev_b32_e32 v7, 4, v0
	v_and_b32_e32 v7, 60, v7
	ds_write_b32 v7, v6 offset:16
.LBB545_7:
	s_or_b64 exec, exec, s[8:9]
	v_and_b32_e32 v6, 3, v0
	v_lshlrev_b32_e32 v18, 2, v6
	s_waitcnt lgkmcnt(0)
	s_barrier
	ds_read_b32 v6, v18 offset:16
	s_load_dwordx2 s[28:29], s[4:5], 0x18
	s_waitcnt lgkmcnt(0)
	v_mov_b32_dpp v7, v6 quad_perm:[1,0,3,2] row_mask:0xf bank_mask:0xf
	v_add_f32_e32 v6, v6, v7
	s_nop 1
	v_mov_b32_dpp v7, v6 quad_perm:[2,3,0,1] row_mask:0xf bank_mask:0xf
	s_and_saveexec_b64 s[8:9], s[2:3]
	s_cbranch_execz .LBB545_9
; %bb.8:
	v_cvt_f32_u32_e32 v8, s7
	v_add_f32_e32 v6, v6, v7
	v_mov_b32_e32 v19, s17
	v_mov_b32_e32 v20, s16
	v_div_scale_f32 v7, s[24:25], v8, v8, v6
	v_rcp_f32_e32 v9, v7
	v_cndmask_b32_e32 v19, v19, v20, vcc
	s_mov_b32 s7, 0x800000
	v_fma_f32 v20, -v7, v9, 1.0
	v_fmac_f32_e32 v9, v20, v9
	v_div_scale_f32 v20, vcc, v6, v8, v6
	v_mul_f32_e32 v21, v20, v9
	v_fma_f32 v22, -v7, v21, v20
	v_fmac_f32_e32 v21, v22, v9
	v_fma_f32 v7, -v7, v21, v20
	v_div_fmas_f32 v7, v7, v9, v21
	v_div_fixup_f32 v6, v7, v8, v6
	v_add_f32_e32 v6, v19, v6
	v_mul_f32_e32 v7, 0x4b800000, v6
	v_cmp_gt_f32_e32 vcc, s7, v6
	v_cndmask_b32_e32 v6, v6, v7, vcc
	v_rsq_f32_e32 v6, v6
	s_waitcnt vmcnt(0)
	v_cvt_f32_f16_sdwa v21, v3 dst_sel:DWORD dst_unused:UNUSED_PAD src0_sel:WORD_1
	v_cvt_f32_f16_e32 v20, v3
	v_mul_f32_e32 v7, 0x45800000, v6
	v_cndmask_b32_e32 v6, v6, v7, vcc
	v_mov_b32_e32 v7, v6
	;;#ASMSTART
	v_pk_mul_f32 v[8:9], v[10:11], v[6:7]
	;;#ASMEND
	v_cvt_f32_f16_sdwa v11, v2 dst_sel:DWORD dst_unused:UNUSED_PAD src0_sel:WORD_1
	v_cvt_f32_f16_e32 v10, v2
	;;#ASMSTART
	v_pk_mul_f32 v[16:17], v[16:17], v[6:7]
	;;#ASMEND
	;;#ASMSTART
	v_pk_mul_f32 v[14:15], v[14:15], v[6:7]
	;;#ASMEND
	;; [unrolled: 3-line block ×3, first 2 shown]
	v_pk_add_f32 v[6:7], v[10:11], 1.0 op_sel_hi:[1,0]
	;;#ASMSTART
	v_pk_mul_f32 v[10:11], v[8:9], v[6:7]
	;;#ASMEND
	v_cvt_f32_f16_sdwa v9, v4 dst_sel:DWORD dst_unused:UNUSED_PAD src0_sel:WORD_1
	v_cvt_f32_f16_e32 v8, v4
	v_cvt_f32_f16_sdwa v13, v5 dst_sel:DWORD dst_unused:UNUSED_PAD src0_sel:WORD_1
	v_cvt_f32_f16_e32 v12, v5
	v_pk_add_f32 v[6:7], v[20:21], 1.0 op_sel_hi:[1,0]
	v_pk_add_f32 v[4:5], v[8:9], 1.0 op_sel_hi:[1,0]
	;;#ASMSTART
	v_pk_mul_f32 v[16:17], v[16:17], v[6:7]
	;;#ASMEND
	;;#ASMSTART
	v_pk_mul_f32 v[14:15], v[14:15], v[4:5]
	;;#ASMEND
	v_pk_add_f32 v[4:5], v[12:13], 1.0 op_sel_hi:[1,0]
	;;#ASMSTART
	v_pk_mul_f32 v[12:13], v[2:3], v[4:5]
	;;#ASMEND
.LBB545_9:
	s_or_b64 exec, exec, s[8:9]
	s_load_dword s7, s[4:5], 0x80
	s_mov_b64 s[8:9], -1
	s_and_b64 vcc, exec, s[14:15]
	s_cbranch_vccnz .LBB545_13
; %bb.10:
	s_andn2_b64 vcc, exec, s[8:9]
	s_cbranch_vccz .LBB545_16
.LBB545_11:
	s_cmp_lt_i32 s20, 1
	s_cbranch_scc0 .LBB545_23
.LBB545_12:
	s_endpgm
.LBB545_13:
	s_and_saveexec_b64 s[14:15], s[2:3]
	s_cbranch_execz .LBB545_15
; %bb.14:
	s_waitcnt lgkmcnt(0)
	s_mul_hi_i32 s9, s7, s6
	s_mul_i32 s8, s7, s6
	s_waitcnt vmcnt(0)
	v_cvt_f16_f32_e32 v2, v10
	v_cvt_f16_f32_e32 v3, v16
	;; [unrolled: 1-line block ×8, first 2 shown]
	s_lshl_b64 s[8:9], s[8:9], 1
	s_add_u32 s8, s28, s8
	s_addc_u32 s9, s29, s9
	s_and_b32 s9, s9, 0xffff
	s_mov_b32 s11, 0x20000
	v_pack_b32_f16 v5, v5, v6
	v_pack_b32_f16 v4, v4, v7
	;; [unrolled: 1-line block ×4, first 2 shown]
	v_lshlrev_b32_e32 v6, 4, v0
	buffer_store_dwordx4 v[2:5], v6, s[8:11], 0 offen
	;;#ASMSTART
	s_nop 0
	;;#ASMEND
.LBB545_15:
	s_or_b64 exec, exec, s[14:15]
	s_cbranch_execnz .LBB545_11
.LBB545_16:
	s_waitcnt vmcnt(0)
	v_mov_b32_e32 v2, 0
	s_and_saveexec_b64 s[8:9], s[2:3]
	s_cbranch_execz .LBB545_18
; %bb.17:
	v_and_b32_e32 v2, 0x7fffffff, v10
	v_and_b32_e32 v3, 0x7fffffff, v11
	v_mov_b32_e32 v4, 0x2edbe6ff
	;;#ASMSTART
	v_max3_f32 v2, v4, v2, v3

	;;#ASMEND
	v_and_b32_e32 v3, 0x7fffffff, v16
	v_and_b32_e32 v4, 0x7fffffff, v17
	;;#ASMSTART
	v_max3_f32 v2, v2, v3, v4

	;;#ASMEND
	v_and_b32_e32 v3, 0x7fffffff, v14
	v_and_b32_e32 v4, 0x7fffffff, v15
	;; [unrolled: 6-line block ×3, first 2 shown]
	;;#ASMSTART
	v_max3_f32 v2, v2, v3, v4

	;;#ASMEND
.LBB545_18:
	s_or_b64 exec, exec, s[8:9]
	s_load_dwordx4 s[24:27], s[4:5], 0x70
	;;#ASMSTART
	v_max_f32 v3, v2, v2 quad_perm:[1,0,3,2] row_mask:0xf bank_mask:0xf bound_ctrl:1
	;;#ASMEND
	;;#ASMSTART
	v_max_f32 v2, v3, v3 quad_perm:[2,3,0,1] row_mask:0xf bank_mask:0xf bound_ctrl:1
	;;#ASMEND
	;;#ASMSTART
	v_max_f32 v3, v2, v2 row_half_mirror row_mask:0xf bank_mask:0xf bound_ctrl:1
	;;#ASMEND
	v_mul_f32_e32 v2, 0x3b124925, v3
	v_and_b32_e32 v3, 7, v0
	v_cmp_eq_u32_e32 vcc, 0, v3
	v_cmp_gt_i32_e64 s[8:9], s19, v1
	s_and_b64 s[10:11], vcc, s[8:9]
	s_and_saveexec_b64 s[8:9], s[10:11]
	s_cbranch_execz .LBB545_20
; %bb.19:
	s_load_dwordx2 s[10:11], s[4:5], 0x8
	s_waitcnt lgkmcnt(0)
	s_mul_hi_i32 s15, s25, s6
	s_mul_i32 s14, s25, s6
	v_lshrrev_b32_e32 v3, 3, v0
	s_lshl_b64 s[14:15], s[14:15], 2
	v_mad_i64_i32 v[4:5], s[26:27], s26, v3, 0
	s_add_u32 s10, s10, s14
	s_addc_u32 s11, s11, s15
	v_lshlrev_b64 v[4:5], 2, v[4:5]
	v_mov_b32_e32 v3, s11
	v_add_co_u32_e32 v4, vcc, s10, v4
	v_addc_co_u32_e32 v5, vcc, v3, v5, vcc
	global_store_dword v[4:5], v2, off
.LBB545_20:
	s_or_b64 exec, exec, s[8:9]
	;;#ASMSTART
	v_rcp_f32 v2, v2
	;;#ASMEND
	s_and_saveexec_b64 s[14:15], s[2:3]
	s_cbranch_execz .LBB545_22
; %bb.21:
	s_load_dwordx2 s[2:3], s[4:5], 0x0
	s_waitcnt lgkmcnt(0)
	s_mul_i32 s8, s24, s6
	s_mul_hi_i32 s9, s24, s6
	v_mov_b32_e32 v3, v2
	;;#ASMSTART
	v_pk_mul_f32 v[4:5], v[10:11], v[2:3]
	;;#ASMEND
	s_add_u32 s8, s2, s8
	s_addc_u32 s2, s3, s9
	s_add_i32 s3, s19, 3
	s_ashr_i32 s9, s3, 31
	v_mov_b32_e32 v8, 0xc3e00000
	v_mov_b32_e32 v9, 0x43e00000
	;;#ASMSTART
	v_med3_f32 v4, v4, v8, v9
v_med3_f32 v5, v5, v8, v9
v_cvt_pk_fp8_f32 v6, v4, v5
	;;#ASMEND
	s_lshr_b32 s9, s9, 30
	;;#ASMSTART
	v_pk_mul_f32 v[4:5], v[16:17], v[2:3]
	;;#ASMEND
	s_add_i32 s3, s3, s9
	s_and_b32 s9, s2, 0xffff
	;;#ASMSTART
	v_med3_f32 v4, v4, v8, v9
v_med3_f32 v5, v5, v8, v9
v_cvt_pk_fp8_f32 v7, v4, v5
	;;#ASMEND
	s_mov_b32 s2, 0x5040100
	v_perm_b32 v5, v7, v6, s2
	s_movk_i32 s2, 0xff
	v_and_b32_e32 v4, 0xffffff00, v7
	v_and_b32_sdwa v6, v5, s2 dst_sel:DWORD dst_unused:UNUSED_PAD src0_sel:WORD_1 src1_sel:DWORD
	s_mov_b32 s16, 0xffff
	v_or_b32_sdwa v4, v6, v4 dst_sel:WORD_1 dst_unused:UNUSED_PAD src0_sel:DWORD src1_sel:DWORD
	v_and_or_b32 v4, v5, s16, v4
	;;#ASMSTART
	v_pk_mul_f32 v[6:7], v[14:15], v[2:3]
	;;#ASMEND
	v_mov_b32_e32 v5, v7
	;;#ASMSTART
	v_med3_f32 v6, v6, v8, v9
v_med3_f32 v5, v5, v8, v9
v_cvt_pk_fp8_f32 v7, v6, v5
	;;#ASMEND
	;;#ASMSTART
	v_pk_mul_f32 v[2:3], v[12:13], v[2:3]
	;;#ASMEND
	;;#ASMSTART
	v_med3_f32 v2, v2, v8, v9
v_med3_f32 v3, v3, v8, v9
v_cvt_pk_fp8_f32 v5, v2, v3
	;;#ASMEND
	v_lshlrev_b32_e32 v2, 16, v5
	s_and_b32 s10, s3, -4
	s_mov_b32 s11, 0x20000
	v_and_or_b32 v5, v7, s16, v2
	buffer_store_dwordx2 v[4:5], v1, s[8:11], 0 offen
	;;#ASMSTART
	s_nop 0
	;;#ASMEND
.LBB545_22:
	s_or_b64 exec, exec, s[14:15]
	s_cmp_lt_i32 s20, 1
	s_cbranch_scc1 .LBB545_12
.LBB545_23:
	s_load_dword s2, s[4:5], 0x94
	s_waitcnt lgkmcnt(0)
	s_cmp_lg_u32 s2, 1
	s_cbranch_scc1 .LBB545_12
; %bb.24:
	s_lshl_b32 s2, s20, 1
	s_add_i32 s2, s2, 2
	v_cmp_gt_u32_e32 vcc, s20, v1
	s_and_b32 s14, s2, -4
	v_mov_b32_e32 v10, 0
	v_lshlrev_b32_e32 v1, 4, v0
	v_mov_b32_e32 v6, 0
	v_mov_b32_e32 v7, 0
	;; [unrolled: 1-line block ×4, first 2 shown]
	s_waitcnt vmcnt(0)
	v_mov_b32_e32 v2, 0
	v_mov_b32_e32 v3, 0
	;; [unrolled: 1-line block ×4, first 2 shown]
	s_barrier
	s_and_saveexec_b64 s[2:3], vcc
	s_cbranch_execz .LBB545_26
; %bb.25:
	s_mul_hi_i32 s5, s22, s6
	s_mul_i32 s4, s22, s6
	s_and_b32 s13, s13, 0xffff
	s_lshl_b64 s[4:5], s[4:5], 1
	s_add_u32 s8, s30, s4
	s_mov_b32 s15, 0x20000
	s_addc_u32 s4, s31, s5
	s_and_b32 s9, s4, 0xffff
	s_mov_b32 s10, s14
	s_mov_b32 s11, s15
	buffer_load_dwordx4 v[6:9], v1, s[8:11], 0 offen glc slc
	buffer_load_dwordx4 v[2:5], v1, s[12:15], 0 offen
.LBB545_26:
	s_or_b64 exec, exec, s[2:3]
	v_mov_b32_e32 v11, 0
	v_mov_b32_e32 v16, 0
	v_mov_b32_e32 v17, 0
	v_mov_b32_e32 v14, 0
	v_mov_b32_e32 v15, 0
	v_mov_b32_e32 v12, 0
	v_mov_b32_e32 v13, 0
	s_and_saveexec_b64 s[2:3], vcc
	s_cbranch_execz .LBB545_28
; %bb.27:
	s_waitcnt vmcnt(1)
	v_cvt_f32_f16_sdwa v11, v6 dst_sel:DWORD dst_unused:UNUSED_PAD src0_sel:WORD_1
	v_cvt_f32_f16_e32 v10, v6
	v_cvt_f32_f16_sdwa v17, v7 dst_sel:DWORD dst_unused:UNUSED_PAD src0_sel:WORD_1
	v_cvt_f32_f16_e32 v16, v7
	;; [unrolled: 2-line block ×4, first 2 shown]
.LBB545_28:
	s_or_b64 exec, exec, s[2:3]
	s_waitcnt vmcnt(1)
	v_mul_f32_e32 v6, v11, v11
	v_fmac_f32_e32 v6, v10, v10
	v_fmac_f32_e32 v6, v16, v16
	;; [unrolled: 1-line block ×7, first 2 shown]
	s_nop 1
	v_mov_b32_dpp v7, v6 quad_perm:[1,0,3,2] row_mask:0xf bank_mask:0xf
	v_add_f32_e32 v6, v6, v7
	s_nop 1
	v_mov_b32_dpp v7, v6 quad_perm:[2,3,0,1] row_mask:0xf bank_mask:0xf
	v_add_f32_e32 v6, v6, v7
	s_nop 1
	v_mov_b32_dpp v7, v6 row_half_mirror row_mask:0xf bank_mask:0xf
	v_add_f32_e32 v6, v6, v7
	s_nop 1
	v_mov_b32_dpp v7, v6 row_mirror row_mask:0xf bank_mask:0xf
	v_add_f32_e32 v6, v6, v7
	s_nop 1
	v_mov_b32_dpp v7, v6 row_bcast:15 row_mask:0xf bank_mask:0xf
	v_add_f32_e32 v6, v6, v7
	s_nop 1
	v_mov_b32_dpp v7, v6 row_bcast:31 row_mask:0xf bank_mask:0xf
	s_and_saveexec_b64 s[2:3], s[0:1]
	s_cbranch_execz .LBB545_30
; %bb.29:
	v_lshrrev_b32_e32 v0, 4, v0
	v_add_f32_e32 v6, v6, v7
	v_and_b32_e32 v0, 60, v0
	ds_write_b32 v0, v6
.LBB545_30:
	s_or_b64 exec, exec, s[2:3]
	s_waitcnt lgkmcnt(0)
	s_barrier
	ds_read_b32 v0, v18
	s_waitcnt lgkmcnt(0)
	s_nop 0
	v_mov_b32_dpp v6, v0 quad_perm:[1,0,3,2] row_mask:0xf bank_mask:0xf
	v_add_f32_e32 v0, v0, v6
	s_nop 1
	v_mov_b32_dpp v6, v0 quad_perm:[2,3,0,1] row_mask:0xf bank_mask:0xf
	s_and_saveexec_b64 s[0:1], vcc
	s_cbranch_execz .LBB545_12
; %bb.31:
	v_cvt_f32_u32_e32 v7, s20
	v_add_f32_e32 v0, v0, v6
	s_mov_b32 s15, 0x20000
	v_div_scale_f32 v6, s[0:1], v7, v7, v0
	v_rcp_f32_e32 v8, v6
	v_div_scale_f32 v9, vcc, v0, v7, v0
	s_mov_b32 s0, 0x800000
	v_fma_f32 v18, -v6, v8, 1.0
	v_fmac_f32_e32 v8, v18, v8
	v_mul_f32_e32 v18, v9, v8
	v_fma_f32 v19, -v6, v18, v9
	v_fmac_f32_e32 v18, v19, v8
	v_fma_f32 v6, -v6, v18, v9
	v_div_fmas_f32 v6, v6, v8, v18
	v_div_fixup_f32 v0, v6, v7, v0
	v_add_f32_e32 v0, s17, v0
	v_mul_f32_e32 v6, 0x4b800000, v0
	v_cmp_gt_f32_e32 vcc, s0, v0
	v_cndmask_b32_e32 v0, v0, v6, vcc
	v_rsq_f32_e32 v0, v0
	s_waitcnt vmcnt(0)
	v_cvt_f32_f16_sdwa v19, v3 dst_sel:DWORD dst_unused:UNUSED_PAD src0_sel:WORD_1
	v_cvt_f32_f16_e32 v18, v3
	s_mul_hi_i32 s1, s7, s6
	v_mul_f32_e32 v6, 0x45800000, v0
	v_cndmask_b32_e32 v6, v0, v6, vcc
	v_mov_b32_e32 v7, v6
	;;#ASMSTART
	v_pk_mul_f32 v[8:9], v[10:11], v[6:7]
	;;#ASMEND
	;;#ASMSTART
	v_pk_mul_f32 v[10:11], v[16:17], v[6:7]
	;;#ASMEND
	v_cvt_f32_f16_sdwa v17, v2 dst_sel:DWORD dst_unused:UNUSED_PAD src0_sel:WORD_1
	v_cvt_f32_f16_e32 v16, v2
	;;#ASMSTART
	v_pk_mul_f32 v[14:15], v[14:15], v[6:7]
	;;#ASMEND
	;;#ASMSTART
	v_pk_mul_f32 v[2:3], v[12:13], v[6:7]
	;;#ASMEND
	v_cvt_f32_f16_sdwa v13, v4 dst_sel:DWORD dst_unused:UNUSED_PAD src0_sel:WORD_1
	v_cvt_f32_f16_e32 v12, v4
	v_pk_add_f32 v[6:7], v[16:17], 1.0 op_sel_hi:[1,0]
	v_cvt_f32_f16_sdwa v17, v5 dst_sel:DWORD dst_unused:UNUSED_PAD src0_sel:WORD_1
	v_cvt_f32_f16_e32 v16, v5
	;;#ASMSTART
	v_pk_mul_f32 v[6:7], v[8:9], v[6:7]
	;;#ASMEND
	v_pk_add_f32 v[8:9], v[18:19], 1.0 op_sel_hi:[1,0]
	;;#ASMSTART
	v_pk_mul_f32 v[4:5], v[10:11], v[8:9]
	;;#ASMEND
	v_pk_add_f32 v[8:9], v[12:13], 1.0 op_sel_hi:[1,0]
	;; [unrolled: 4-line block ×3, first 2 shown]
	;;#ASMSTART
	v_pk_mul_f32 v[2:3], v[2:3], v[10:11]
	;;#ASMEND
	s_mul_i32 s0, s7, s6
	v_cvt_f16_f32_e32 v0, v6
	v_cvt_f16_f32_e32 v6, v7
	v_cvt_f16_f32_e32 v4, v4
	v_cvt_f16_f32_e32 v5, v5
	v_cvt_f16_f32_e32 v7, v8
	v_cvt_f16_f32_e32 v8, v9
	v_cvt_f16_f32_e32 v9, v2
	v_cvt_f16_f32_e32 v10, v3
	s_lshl_b64 s[0:1], s[0:1], 1
	s_add_u32 s12, s28, s0
	s_addc_u32 s0, s29, s1
	s_and_b32 s13, s0, 0xffff
	v_pack_b32_f16 v2, v0, v6
	v_pack_b32_f16 v3, v4, v5
	;; [unrolled: 1-line block ×4, first 2 shown]
	buffer_store_dwordx4 v[2:5], v1, s[12:15], 0 offen
	;;#ASMSTART
	s_nop 0
	;;#ASMEND
	s_endpgm
	.section	.rodata,"a",@progbits
	.p2align	6, 0x0
	.amdhsa_kernel _ZN5aiter35fused_qk_rmsnorm_group_quant_kernelIDF16_DB8_Li256ELi8ELi8ELb0ELb0ELb1ELb0ELb0ELb0EEEvPT0_PvPT_S6_S6_PKS5_S8_S8_S8_S8_ffiiiiiiiiiiiii
		.amdhsa_group_segment_fixed_size 32
		.amdhsa_private_segment_fixed_size 0
		.amdhsa_kernarg_size 400
		.amdhsa_user_sgpr_count 6
		.amdhsa_user_sgpr_private_segment_buffer 1
		.amdhsa_user_sgpr_dispatch_ptr 0
		.amdhsa_user_sgpr_queue_ptr 0
		.amdhsa_user_sgpr_kernarg_segment_ptr 1
		.amdhsa_user_sgpr_dispatch_id 0
		.amdhsa_user_sgpr_flat_scratch_init 0
		.amdhsa_user_sgpr_kernarg_preload_length 0
		.amdhsa_user_sgpr_kernarg_preload_offset 0
		.amdhsa_user_sgpr_private_segment_size 0
		.amdhsa_uses_dynamic_stack 0
		.amdhsa_system_sgpr_private_segment_wavefront_offset 0
		.amdhsa_system_sgpr_workgroup_id_x 1
		.amdhsa_system_sgpr_workgroup_id_y 1
		.amdhsa_system_sgpr_workgroup_id_z 0
		.amdhsa_system_sgpr_workgroup_info 0
		.amdhsa_system_vgpr_workitem_id 0
		.amdhsa_next_free_vgpr 23
		.amdhsa_next_free_sgpr 32
		.amdhsa_accum_offset 24
		.amdhsa_reserve_vcc 1
		.amdhsa_reserve_flat_scratch 0
		.amdhsa_float_round_mode_32 0
		.amdhsa_float_round_mode_16_64 0
		.amdhsa_float_denorm_mode_32 3
		.amdhsa_float_denorm_mode_16_64 3
		.amdhsa_dx10_clamp 1
		.amdhsa_ieee_mode 1
		.amdhsa_fp16_overflow 0
		.amdhsa_tg_split 0
		.amdhsa_exception_fp_ieee_invalid_op 0
		.amdhsa_exception_fp_denorm_src 0
		.amdhsa_exception_fp_ieee_div_zero 0
		.amdhsa_exception_fp_ieee_overflow 0
		.amdhsa_exception_fp_ieee_underflow 0
		.amdhsa_exception_fp_ieee_inexact 0
		.amdhsa_exception_int_div_zero 0
	.end_amdhsa_kernel
	.section	.text._ZN5aiter35fused_qk_rmsnorm_group_quant_kernelIDF16_DB8_Li256ELi8ELi8ELb0ELb0ELb1ELb0ELb0ELb0EEEvPT0_PvPT_S6_S6_PKS5_S8_S8_S8_S8_ffiiiiiiiiiiiii,"axG",@progbits,_ZN5aiter35fused_qk_rmsnorm_group_quant_kernelIDF16_DB8_Li256ELi8ELi8ELb0ELb0ELb1ELb0ELb0ELb0EEEvPT0_PvPT_S6_S6_PKS5_S8_S8_S8_S8_ffiiiiiiiiiiiii,comdat
.Lfunc_end545:
	.size	_ZN5aiter35fused_qk_rmsnorm_group_quant_kernelIDF16_DB8_Li256ELi8ELi8ELb0ELb0ELb1ELb0ELb0ELb0EEEvPT0_PvPT_S6_S6_PKS5_S8_S8_S8_S8_ffiiiiiiiiiiiii, .Lfunc_end545-_ZN5aiter35fused_qk_rmsnorm_group_quant_kernelIDF16_DB8_Li256ELi8ELi8ELb0ELb0ELb1ELb0ELb0ELb0EEEvPT0_PvPT_S6_S6_PKS5_S8_S8_S8_S8_ffiiiiiiiiiiiii
                                        ; -- End function
	.section	.AMDGPU.csdata,"",@progbits
; Kernel info:
; codeLenInByte = 2544
; NumSgprs: 36
; NumVgprs: 23
; NumAgprs: 0
; TotalNumVgprs: 23
; ScratchSize: 0
; MemoryBound: 0
; FloatMode: 240
; IeeeMode: 1
; LDSByteSize: 32 bytes/workgroup (compile time only)
; SGPRBlocks: 4
; VGPRBlocks: 2
; NumSGPRsForWavesPerEU: 36
; NumVGPRsForWavesPerEU: 23
; AccumOffset: 24
; Occupancy: 8
; WaveLimiterHint : 0
; COMPUTE_PGM_RSRC2:SCRATCH_EN: 0
; COMPUTE_PGM_RSRC2:USER_SGPR: 6
; COMPUTE_PGM_RSRC2:TRAP_HANDLER: 0
; COMPUTE_PGM_RSRC2:TGID_X_EN: 1
; COMPUTE_PGM_RSRC2:TGID_Y_EN: 1
; COMPUTE_PGM_RSRC2:TGID_Z_EN: 0
; COMPUTE_PGM_RSRC2:TIDIG_COMP_CNT: 0
; COMPUTE_PGM_RSRC3_GFX90A:ACCUM_OFFSET: 5
; COMPUTE_PGM_RSRC3_GFX90A:TG_SPLIT: 0
	.section	.text._ZN5aiter35fused_qk_rmsnorm_group_quant_kernelItDB8_Li256ELi8ELi8ELb0ELb0ELb1ELb0ELb0ELb0EEEvPT0_PvPT_S6_S6_PKS5_S8_S8_S8_S8_ffiiiiiiiiiiiii,"axG",@progbits,_ZN5aiter35fused_qk_rmsnorm_group_quant_kernelItDB8_Li256ELi8ELi8ELb0ELb0ELb1ELb0ELb0ELb0EEEvPT0_PvPT_S6_S6_PKS5_S8_S8_S8_S8_ffiiiiiiiiiiiii,comdat
	.protected	_ZN5aiter35fused_qk_rmsnorm_group_quant_kernelItDB8_Li256ELi8ELi8ELb0ELb0ELb1ELb0ELb0ELb0EEEvPT0_PvPT_S6_S6_PKS5_S8_S8_S8_S8_ffiiiiiiiiiiiii ; -- Begin function _ZN5aiter35fused_qk_rmsnorm_group_quant_kernelItDB8_Li256ELi8ELi8ELb0ELb0ELb1ELb0ELb0ELb0EEEvPT0_PvPT_S6_S6_PKS5_S8_S8_S8_S8_ffiiiiiiiiiiiii
	.globl	_ZN5aiter35fused_qk_rmsnorm_group_quant_kernelItDB8_Li256ELi8ELi8ELb0ELb0ELb1ELb0ELb0ELb0EEEvPT0_PvPT_S6_S6_PKS5_S8_S8_S8_S8_ffiiiiiiiiiiiii
	.p2align	8
	.type	_ZN5aiter35fused_qk_rmsnorm_group_quant_kernelItDB8_Li256ELi8ELi8ELb0ELb0ELb1ELb0ELb0ELb0EEEvPT0_PvPT_S6_S6_PKS5_S8_S8_S8_S8_ffiiiiiiiiiiiii,@function
_ZN5aiter35fused_qk_rmsnorm_group_quant_kernelItDB8_Li256ELi8ELi8ELb0ELb0ELb1ELb0ELb0ELb0EEEvPT0_PvPT_S6_S6_PKS5_S8_S8_S8_S8_ffiiiiiiiiiiiii: ; @_ZN5aiter35fused_qk_rmsnorm_group_quant_kernelItDB8_Li256ELi8ELi8ELb0ELb0ELb1ELb0ELb0ELb0EEEvPT0_PvPT_S6_S6_PKS5_S8_S8_S8_S8_ffiiiiiiiiiiiii
; %bb.0:
	s_load_dwordx4 s[16:19], s[4:5], 0x50
	s_waitcnt lgkmcnt(0)
	s_cmp_ge_i32 s6, s18
	s_cbranch_scc1 .LBB546_10
; %bb.1:
	s_load_dwordx2 s[12:13], s[4:5], 0x48
	s_load_dwordx2 s[30:31], s[4:5], 0x30
	s_load_dwordx4 s[20:23], s[4:5], 0x60
	s_cmp_lg_u32 s7, 0
	s_cselect_b64 s[14:15], -1, 0
	s_cmp_eq_u32 s7, 0
	s_cselect_b64 vcc, -1, 0
	s_and_b64 s[0:1], vcc, exec
	s_waitcnt lgkmcnt(0)
	s_cselect_b32 s7, s19, s20
	s_add_i32 s0, s7, 1
	s_lshr_b32 s1, s0, 31
	s_add_i32 s0, s0, s1
	s_lshl_b32 s0, s0, 1
	v_lshlrev_b32_e32 v1, 3, v0
	s_and_b32 s10, s0, -4
	v_cmp_gt_i32_e64 s[2:3], s7, v1
	v_mov_b32_e32 v2, 0
	v_mov_b32_e32 v3, 0
	;; [unrolled: 1-line block ×8, first 2 shown]
	s_and_saveexec_b64 s[0:1], s[2:3]
	s_cbranch_execz .LBB546_3
; %bb.2:
	s_load_dwordx2 s[8:9], s[4:5], 0x28
	s_load_dwordx2 s[26:27], s[4:5], 0x40
	s_and_b64 s[24:25], vcc, exec
	s_cselect_b32 s11, s21, s22
	v_lshlrev_b32_e32 v10, 4, v0
	s_waitcnt lgkmcnt(0)
	s_cselect_b32 s18, s9, s31
	s_cselect_b32 s21, s8, s30
	s_mul_hi_i32 s9, s11, s6
	s_mul_i32 s8, s11, s6
	s_lshl_b64 s[8:9], s[8:9], 1
	s_add_u32 s24, s21, s8
	s_addc_u32 s18, s18, s9
	s_and_b64 s[8:9], vcc, exec
	s_mov_b32 s11, 0x20000
	s_cselect_b32 s8, s26, s12
	s_cselect_b32 s9, s27, s13
	s_and_b32 s25, s18, 0xffff
	s_mov_b32 s26, s10
	s_mov_b32 s27, s11
	s_and_b32 s9, s9, 0xffff
	buffer_load_dwordx4 v[6:9], v10, s[24:27], 0 offen glc slc
	buffer_load_dwordx4 v[2:5], v10, s[8:11], 0 offen
.LBB546_3:
	s_or_b64 exec, exec, s[0:1]
	s_waitcnt vmcnt(1)
	v_cvt_f32_u32_sdwa v13, v6 dst_sel:DWORD dst_unused:UNUSED_PAD src0_sel:WORD_1
	v_cvt_f32_u32_sdwa v12, v6 dst_sel:DWORD dst_unused:UNUSED_PAD src0_sel:WORD_0
	v_cvt_f32_u32_sdwa v6, v9 dst_sel:DWORD dst_unused:UNUSED_PAD src0_sel:WORD_1
	v_cvt_f32_u32_sdwa v9, v9 dst_sel:DWORD dst_unused:UNUSED_PAD src0_sel:WORD_0
	;; [unrolled: 2-line block ×4, first 2 shown]
	v_cndmask_b32_e64 v13, 0, v13, s[2:3]
	v_cndmask_b32_e64 v7, 0, v6, s[2:3]
	;; [unrolled: 1-line block ×5, first 2 shown]
	v_mul_f32_e32 v14, v13, v13
	v_cndmask_b32_e64 v10, 0, v10, s[2:3]
	v_fmac_f32_e32 v14, v12, v12
	v_cndmask_b32_e64 v11, 0, v11, s[2:3]
	v_fmac_f32_e32 v14, v10, v10
	;; [unrolled: 2-line block ×3, first 2 shown]
	v_fmac_f32_e32 v14, v8, v8
	v_fmac_f32_e32 v14, v9, v9
	;; [unrolled: 1-line block ×4, first 2 shown]
	v_and_b32_e32 v16, 63, v0
	v_cmp_eq_u32_e64 s[0:1], 63, v16
	v_mov_b32_dpp v15, v14 quad_perm:[1,0,3,2] row_mask:0xf bank_mask:0xf
	v_add_f32_e32 v14, v14, v15
	s_nop 1
	v_mov_b32_dpp v15, v14 quad_perm:[2,3,0,1] row_mask:0xf bank_mask:0xf
	v_add_f32_e32 v14, v14, v15
	s_nop 1
	v_mov_b32_dpp v15, v14 row_half_mirror row_mask:0xf bank_mask:0xf
	v_add_f32_e32 v14, v14, v15
	s_nop 1
	v_mov_b32_dpp v15, v14 row_mirror row_mask:0xf bank_mask:0xf
	v_add_f32_e32 v14, v14, v15
	s_nop 1
	v_mov_b32_dpp v15, v14 row_bcast:15 row_mask:0xf bank_mask:0xf
	v_add_f32_e32 v14, v14, v15
	s_nop 1
	v_mov_b32_dpp v15, v14 row_bcast:31 row_mask:0xf bank_mask:0xf
	s_and_saveexec_b64 s[8:9], s[0:1]
	s_cbranch_execz .LBB546_5
; %bb.4:
	v_add_f32_e32 v14, v14, v15
	v_lshrrev_b32_e32 v15, 4, v0
	v_and_b32_e32 v15, 60, v15
	ds_write_b32 v15, v14 offset:16
.LBB546_5:
	s_or_b64 exec, exec, s[8:9]
	v_and_b32_e32 v14, 3, v0
	v_lshlrev_b32_e32 v14, 2, v14
	s_waitcnt lgkmcnt(0)
	s_barrier
	ds_read_b32 v15, v14 offset:16
	s_load_dwordx2 s[28:29], s[4:5], 0x18
	s_waitcnt lgkmcnt(0)
	v_mov_b32_dpp v16, v15 quad_perm:[1,0,3,2] row_mask:0xf bank_mask:0xf
	v_add_f32_e32 v15, v15, v16
	s_nop 1
	v_mov_b32_dpp v16, v15 quad_perm:[2,3,0,1] row_mask:0xf bank_mask:0xf
	s_and_saveexec_b64 s[8:9], s[2:3]
	s_cbranch_execz .LBB546_7
; %bb.6:
	v_cvt_f32_u32_e32 v17, s7
	v_add_f32_e32 v15, v15, v16
	v_mov_b32_e32 v19, s17
	v_mov_b32_e32 v20, s16
	v_div_scale_f32 v16, s[24:25], v17, v17, v15
	v_rcp_f32_e32 v18, v16
	v_cndmask_b32_e32 v19, v19, v20, vcc
	s_mov_b32 s7, 0x800000
	v_fma_f32 v20, -v16, v18, 1.0
	v_fmac_f32_e32 v18, v20, v18
	v_div_scale_f32 v20, vcc, v15, v17, v15
	v_mul_f32_e32 v21, v20, v18
	v_fma_f32 v22, -v16, v21, v20
	v_fmac_f32_e32 v21, v22, v18
	v_fma_f32 v16, -v16, v21, v20
	v_div_fmas_f32 v16, v16, v18, v21
	v_div_fixup_f32 v15, v16, v17, v15
	v_add_f32_e32 v15, v19, v15
	v_mul_f32_e32 v16, 0x4b800000, v15
	v_cmp_gt_f32_e32 vcc, s7, v15
	v_cndmask_b32_e32 v15, v15, v16, vcc
	v_rsq_f32_e32 v15, v15
	s_waitcnt vmcnt(0)
	v_cvt_f32_u32_sdwa v19, v2 dst_sel:DWORD dst_unused:UNUSED_PAD src0_sel:WORD_1
	v_cvt_f32_u32_sdwa v18, v2 dst_sel:DWORD dst_unused:UNUSED_PAD src0_sel:WORD_0
	v_cvt_f32_u32_sdwa v21, v3 dst_sel:DWORD dst_unused:UNUSED_PAD src0_sel:WORD_1
	v_mul_f32_e32 v16, 0x45800000, v15
	v_cndmask_b32_e32 v16, v15, v16, vcc
	v_mov_b32_e32 v17, v16
	;;#ASMSTART
	v_pk_mul_f32 v[12:13], v[12:13], v[16:17]
	;;#ASMEND
	;;#ASMSTART
	v_pk_mul_f32 v[10:11], v[10:11], v[16:17]
	;;#ASMEND
	;; [unrolled: 3-line block ×3, first 2 shown]
	v_cvt_f32_u32_sdwa v20, v3 dst_sel:DWORD dst_unused:UNUSED_PAD src0_sel:WORD_0
	;;#ASMSTART
	v_pk_mul_f32 v[2:3], v[6:7], v[16:17]
	;;#ASMEND
	v_cvt_f32_u32_sdwa v17, v4 dst_sel:DWORD dst_unused:UNUSED_PAD src0_sel:WORD_1
	v_cvt_f32_u32_sdwa v16, v4 dst_sel:DWORD dst_unused:UNUSED_PAD src0_sel:WORD_0
	v_pk_add_f32 v[6:7], v[18:19], 1.0 op_sel_hi:[1,0]
	v_cvt_f32_u32_sdwa v19, v5 dst_sel:DWORD dst_unused:UNUSED_PAD src0_sel:WORD_1
	v_cvt_f32_u32_sdwa v18, v5 dst_sel:DWORD dst_unused:UNUSED_PAD src0_sel:WORD_0
	;;#ASMSTART
	v_pk_mul_f32 v[12:13], v[12:13], v[6:7]
	;;#ASMEND
	v_pk_add_f32 v[6:7], v[20:21], 1.0 op_sel_hi:[1,0]
	v_pk_add_f32 v[4:5], v[16:17], 1.0 op_sel_hi:[1,0]
	;;#ASMSTART
	v_pk_mul_f32 v[10:11], v[10:11], v[6:7]
	;;#ASMEND
	;;#ASMSTART
	v_pk_mul_f32 v[8:9], v[8:9], v[4:5]
	;;#ASMEND
	v_pk_add_f32 v[4:5], v[18:19], 1.0 op_sel_hi:[1,0]
	;;#ASMSTART
	v_pk_mul_f32 v[6:7], v[2:3], v[4:5]
	;;#ASMEND
.LBB546_7:
	s_or_b64 exec, exec, s[8:9]
	s_load_dword s7, s[4:5], 0x80
	s_mov_b64 s[8:9], -1
	s_and_b64 vcc, exec, s[14:15]
	s_cbranch_vccnz .LBB546_11
; %bb.8:
	s_andn2_b64 vcc, exec, s[8:9]
	s_cbranch_vccz .LBB546_14
.LBB546_9:
	s_cmp_lt_i32 s20, 1
	s_cbranch_scc0 .LBB546_21
.LBB546_10:
	s_endpgm
.LBB546_11:
	s_and_saveexec_b64 s[14:15], s[2:3]
	s_cbranch_execz .LBB546_13
; %bb.12:
	s_waitcnt lgkmcnt(0)
	s_mul_hi_i32 s9, s7, s6
	s_mul_i32 s8, s7, s6
	s_lshl_b64 s[8:9], s[8:9], 1
	s_add_u32 s8, s28, s8
	s_addc_u32 s9, s29, s9
	s_mov_b32 s16, 0x7060302
	s_and_b32 s9, s9, 0xffff
	s_mov_b32 s11, 0x20000
	s_waitcnt vmcnt(0)
	v_perm_b32 v2, v13, v12, s16
	v_perm_b32 v3, v11, v10, s16
	;; [unrolled: 1-line block ×4, first 2 shown]
	v_lshlrev_b32_e32 v15, 4, v0
	buffer_store_dwordx4 v[2:5], v15, s[8:11], 0 offen
	;;#ASMSTART
	s_nop 0
	;;#ASMEND
.LBB546_13:
	s_or_b64 exec, exec, s[14:15]
	s_cbranch_execnz .LBB546_9
.LBB546_14:
	s_waitcnt vmcnt(0)
	v_mov_b32_e32 v2, 0
	s_and_saveexec_b64 s[8:9], s[2:3]
	s_cbranch_execz .LBB546_16
; %bb.15:
	v_and_b32_e32 v2, 0x7fffffff, v12
	v_and_b32_e32 v3, 0x7fffffff, v13
	v_mov_b32_e32 v4, 0x2edbe6ff
	;;#ASMSTART
	v_max3_f32 v2, v4, v2, v3

	;;#ASMEND
	v_and_b32_e32 v3, 0x7fffffff, v10
	v_and_b32_e32 v4, 0x7fffffff, v11
	;;#ASMSTART
	v_max3_f32 v2, v2, v3, v4

	;;#ASMEND
	v_and_b32_e32 v3, 0x7fffffff, v8
	v_and_b32_e32 v4, 0x7fffffff, v9
	;; [unrolled: 6-line block ×3, first 2 shown]
	;;#ASMSTART
	v_max3_f32 v2, v2, v3, v4

	;;#ASMEND
.LBB546_16:
	s_or_b64 exec, exec, s[8:9]
	s_load_dwordx4 s[24:27], s[4:5], 0x70
	;;#ASMSTART
	v_max_f32 v3, v2, v2 quad_perm:[1,0,3,2] row_mask:0xf bank_mask:0xf bound_ctrl:1
	;;#ASMEND
	;;#ASMSTART
	v_max_f32 v2, v3, v3 quad_perm:[2,3,0,1] row_mask:0xf bank_mask:0xf bound_ctrl:1
	;;#ASMEND
	;;#ASMSTART
	v_max_f32 v3, v2, v2 row_half_mirror row_mask:0xf bank_mask:0xf bound_ctrl:1
	;;#ASMEND
	v_mul_f32_e32 v2, 0x3b124925, v3
	v_and_b32_e32 v3, 7, v0
	v_cmp_eq_u32_e32 vcc, 0, v3
	v_cmp_gt_i32_e64 s[8:9], s19, v1
	s_and_b64 s[10:11], vcc, s[8:9]
	s_and_saveexec_b64 s[8:9], s[10:11]
	s_cbranch_execz .LBB546_18
; %bb.17:
	s_load_dwordx2 s[10:11], s[4:5], 0x8
	s_waitcnt lgkmcnt(0)
	s_mul_hi_i32 s15, s25, s6
	s_mul_i32 s14, s25, s6
	v_lshrrev_b32_e32 v3, 3, v0
	s_lshl_b64 s[14:15], s[14:15], 2
	v_mad_i64_i32 v[4:5], s[26:27], s26, v3, 0
	s_add_u32 s10, s10, s14
	s_addc_u32 s11, s11, s15
	v_lshlrev_b64 v[4:5], 2, v[4:5]
	v_mov_b32_e32 v3, s11
	v_add_co_u32_e32 v4, vcc, s10, v4
	v_addc_co_u32_e32 v5, vcc, v3, v5, vcc
	global_store_dword v[4:5], v2, off
.LBB546_18:
	s_or_b64 exec, exec, s[8:9]
	;;#ASMSTART
	v_rcp_f32 v2, v2
	;;#ASMEND
	s_and_saveexec_b64 s[14:15], s[2:3]
	s_cbranch_execz .LBB546_20
; %bb.19:
	s_load_dwordx2 s[2:3], s[4:5], 0x0
	s_waitcnt lgkmcnt(0)
	s_mul_i32 s8, s24, s6
	s_mul_hi_i32 s9, s24, s6
	v_mov_b32_e32 v3, v2
	;;#ASMSTART
	v_pk_mul_f32 v[4:5], v[12:13], v[2:3]
	;;#ASMEND
	s_add_u32 s8, s2, s8
	s_addc_u32 s2, s3, s9
	s_add_i32 s3, s19, 3
	s_ashr_i32 s9, s3, 31
	v_mov_b32_e32 v12, 0xc3e00000
	v_mov_b32_e32 v13, 0x43e00000
	;;#ASMSTART
	v_med3_f32 v4, v4, v12, v13
v_med3_f32 v5, v5, v12, v13
v_cvt_pk_fp8_f32 v15, v4, v5
	;;#ASMEND
	s_lshr_b32 s9, s9, 30
	;;#ASMSTART
	v_pk_mul_f32 v[4:5], v[10:11], v[2:3]
	;;#ASMEND
	s_add_i32 s3, s3, s9
	s_and_b32 s9, s2, 0xffff
	;;#ASMSTART
	v_med3_f32 v4, v4, v12, v13
v_med3_f32 v5, v5, v12, v13
v_cvt_pk_fp8_f32 v10, v4, v5
	;;#ASMEND
	s_mov_b32 s2, 0x5040100
	v_perm_b32 v5, v10, v15, s2
	s_movk_i32 s2, 0xff
	v_and_b32_e32 v4, 0xffffff00, v10
	v_and_b32_sdwa v10, v5, s2 dst_sel:DWORD dst_unused:UNUSED_PAD src0_sel:WORD_1 src1_sel:DWORD
	s_mov_b32 s16, 0xffff
	v_or_b32_sdwa v4, v10, v4 dst_sel:WORD_1 dst_unused:UNUSED_PAD src0_sel:DWORD src1_sel:DWORD
	v_and_or_b32 v4, v5, s16, v4
	;;#ASMSTART
	v_pk_mul_f32 v[8:9], v[8:9], v[2:3]
	;;#ASMEND
	v_mov_b32_e32 v5, v9
	;;#ASMSTART
	v_med3_f32 v8, v8, v12, v13
v_med3_f32 v5, v5, v12, v13
v_cvt_pk_fp8_f32 v9, v8, v5
	;;#ASMEND
	;;#ASMSTART
	v_pk_mul_f32 v[2:3], v[6:7], v[2:3]
	;;#ASMEND
	;;#ASMSTART
	v_med3_f32 v2, v2, v12, v13
v_med3_f32 v3, v3, v12, v13
v_cvt_pk_fp8_f32 v5, v2, v3
	;;#ASMEND
	v_lshlrev_b32_e32 v2, 16, v5
	s_and_b32 s10, s3, -4
	s_mov_b32 s11, 0x20000
	v_and_or_b32 v5, v9, s16, v2
	buffer_store_dwordx2 v[4:5], v1, s[8:11], 0 offen
	;;#ASMSTART
	s_nop 0
	;;#ASMEND
.LBB546_20:
	s_or_b64 exec, exec, s[14:15]
	s_cmp_lt_i32 s20, 1
	s_cbranch_scc1 .LBB546_10
.LBB546_21:
	s_load_dword s2, s[4:5], 0x94
	s_waitcnt lgkmcnt(0)
	s_cmp_lg_u32 s2, 1
	s_cbranch_scc1 .LBB546_10
; %bb.22:
	s_lshl_b32 s2, s20, 1
	s_add_i32 s2, s2, 2
	v_cmp_gt_u32_e32 vcc, s20, v1
	s_and_b32 s14, s2, -4
	v_mov_b32_e32 v6, 0
	v_lshlrev_b32_e32 v1, 4, v0
	v_mov_b32_e32 v7, 0
	v_mov_b32_e32 v8, 0
	;; [unrolled: 1-line block ×3, first 2 shown]
	s_waitcnt vmcnt(0)
	v_mov_b32_e32 v2, 0
	v_mov_b32_e32 v3, 0
	;; [unrolled: 1-line block ×4, first 2 shown]
	s_barrier
	s_and_saveexec_b64 s[2:3], vcc
	s_cbranch_execz .LBB546_24
; %bb.23:
	s_mul_hi_i32 s5, s22, s6
	s_mul_i32 s4, s22, s6
	s_and_b32 s13, s13, 0xffff
	s_lshl_b64 s[4:5], s[4:5], 1
	s_add_u32 s8, s30, s4
	s_mov_b32 s15, 0x20000
	s_addc_u32 s4, s31, s5
	s_and_b32 s9, s4, 0xffff
	s_mov_b32 s10, s14
	s_mov_b32 s11, s15
	buffer_load_dwordx4 v[6:9], v1, s[8:11], 0 offen glc slc
	buffer_load_dwordx4 v[2:5], v1, s[12:15], 0 offen
.LBB546_24:
	s_or_b64 exec, exec, s[2:3]
	s_waitcnt vmcnt(1)
	v_cvt_f32_u32_sdwa v13, v6 dst_sel:DWORD dst_unused:UNUSED_PAD src0_sel:WORD_1
	v_cvt_f32_u32_sdwa v12, v6 dst_sel:DWORD dst_unused:UNUSED_PAD src0_sel:WORD_0
	v_cvt_f32_u32_sdwa v6, v9 dst_sel:DWORD dst_unused:UNUSED_PAD src0_sel:WORD_1
	v_cvt_f32_u32_sdwa v9, v9 dst_sel:DWORD dst_unused:UNUSED_PAD src0_sel:WORD_0
	;; [unrolled: 2-line block ×4, first 2 shown]
	v_cndmask_b32_e32 v13, 0, v13, vcc
	v_cndmask_b32_e32 v7, 0, v6, vcc
	;; [unrolled: 1-line block ×5, first 2 shown]
	v_mul_f32_e32 v15, v13, v13
	v_cndmask_b32_e32 v10, 0, v10, vcc
	v_fmac_f32_e32 v15, v12, v12
	v_cndmask_b32_e32 v11, 0, v11, vcc
	v_fmac_f32_e32 v15, v10, v10
	;; [unrolled: 2-line block ×3, first 2 shown]
	v_fmac_f32_e32 v15, v8, v8
	v_fmac_f32_e32 v15, v9, v9
	;; [unrolled: 1-line block ×4, first 2 shown]
	s_nop 1
	v_mov_b32_dpp v16, v15 quad_perm:[1,0,3,2] row_mask:0xf bank_mask:0xf
	v_add_f32_e32 v15, v15, v16
	s_nop 1
	v_mov_b32_dpp v16, v15 quad_perm:[2,3,0,1] row_mask:0xf bank_mask:0xf
	v_add_f32_e32 v15, v15, v16
	s_nop 1
	v_mov_b32_dpp v16, v15 row_half_mirror row_mask:0xf bank_mask:0xf
	v_add_f32_e32 v15, v15, v16
	s_nop 1
	v_mov_b32_dpp v16, v15 row_mirror row_mask:0xf bank_mask:0xf
	v_add_f32_e32 v15, v15, v16
	s_nop 1
	v_mov_b32_dpp v16, v15 row_bcast:15 row_mask:0xf bank_mask:0xf
	v_add_f32_e32 v15, v15, v16
	s_nop 1
	v_mov_b32_dpp v16, v15 row_bcast:31 row_mask:0xf bank_mask:0xf
	s_and_saveexec_b64 s[2:3], s[0:1]
	s_cbranch_execz .LBB546_26
; %bb.25:
	v_lshrrev_b32_e32 v0, 4, v0
	v_add_f32_e32 v15, v15, v16
	v_and_b32_e32 v0, 60, v0
	ds_write_b32 v0, v15
.LBB546_26:
	s_or_b64 exec, exec, s[2:3]
	s_waitcnt lgkmcnt(0)
	s_barrier
	ds_read_b32 v0, v14
	s_waitcnt lgkmcnt(0)
	s_nop 0
	v_mov_b32_dpp v14, v0 quad_perm:[1,0,3,2] row_mask:0xf bank_mask:0xf
	v_add_f32_e32 v0, v0, v14
	s_nop 1
	v_mov_b32_dpp v14, v0 quad_perm:[2,3,0,1] row_mask:0xf bank_mask:0xf
	s_and_saveexec_b64 s[0:1], vcc
	s_cbranch_execz .LBB546_10
; %bb.27:
	v_cvt_f32_u32_e32 v15, s20
	v_add_f32_e32 v0, v0, v14
	s_mov_b32 s15, 0x20000
	v_div_scale_f32 v14, s[0:1], v15, v15, v0
	v_rcp_f32_e32 v16, v14
	v_div_scale_f32 v17, vcc, v0, v15, v0
	s_mov_b32 s0, 0x800000
	v_fma_f32 v18, -v14, v16, 1.0
	v_fmac_f32_e32 v16, v18, v16
	v_mul_f32_e32 v18, v17, v16
	v_fma_f32 v19, -v14, v18, v17
	v_fmac_f32_e32 v18, v19, v16
	v_fma_f32 v14, -v14, v18, v17
	v_div_fmas_f32 v14, v14, v16, v18
	v_div_fixup_f32 v0, v14, v15, v0
	v_add_f32_e32 v0, s17, v0
	v_mul_f32_e32 v14, 0x4b800000, v0
	v_cmp_gt_f32_e32 vcc, s0, v0
	v_cndmask_b32_e32 v0, v0, v14, vcc
	v_rsq_f32_e32 v0, v0
	s_waitcnt vmcnt(0)
	v_cvt_f32_u32_sdwa v17, v2 dst_sel:DWORD dst_unused:UNUSED_PAD src0_sel:WORD_1
	v_cvt_f32_u32_sdwa v16, v2 dst_sel:DWORD dst_unused:UNUSED_PAD src0_sel:WORD_0
	v_cvt_f32_u32_sdwa v19, v3 dst_sel:DWORD dst_unused:UNUSED_PAD src0_sel:WORD_1
	v_mul_f32_e32 v14, 0x45800000, v0
	v_cndmask_b32_e32 v14, v0, v14, vcc
	v_mov_b32_e32 v15, v14
	;;#ASMSTART
	v_pk_mul_f32 v[12:13], v[12:13], v[14:15]
	;;#ASMEND
	;;#ASMSTART
	v_pk_mul_f32 v[10:11], v[10:11], v[14:15]
	;;#ASMEND
	;; [unrolled: 3-line block ×3, first 2 shown]
	v_cvt_f32_u32_sdwa v18, v3 dst_sel:DWORD dst_unused:UNUSED_PAD src0_sel:WORD_0
	;;#ASMSTART
	v_pk_mul_f32 v[2:3], v[6:7], v[14:15]
	;;#ASMEND
	v_cvt_f32_u32_sdwa v15, v4 dst_sel:DWORD dst_unused:UNUSED_PAD src0_sel:WORD_1
	v_cvt_f32_u32_sdwa v14, v4 dst_sel:DWORD dst_unused:UNUSED_PAD src0_sel:WORD_0
	v_pk_add_f32 v[6:7], v[16:17], 1.0 op_sel_hi:[1,0]
	v_cvt_f32_u32_sdwa v17, v5 dst_sel:DWORD dst_unused:UNUSED_PAD src0_sel:WORD_1
	v_cvt_f32_u32_sdwa v16, v5 dst_sel:DWORD dst_unused:UNUSED_PAD src0_sel:WORD_0
	s_mul_hi_i32 s1, s7, s6
	s_mul_i32 s0, s7, s6
	s_lshl_b64 s[0:1], s[0:1], 1
	s_add_u32 s12, s28, s0
	;;#ASMSTART
	v_pk_mul_f32 v[6:7], v[12:13], v[6:7]
	;;#ASMEND
	v_pk_add_f32 v[12:13], v[18:19], 1.0 op_sel_hi:[1,0]
	;;#ASMSTART
	v_pk_mul_f32 v[4:5], v[10:11], v[12:13]
	;;#ASMEND
	v_pk_add_f32 v[10:11], v[14:15], 1.0 op_sel_hi:[1,0]
	s_addc_u32 s0, s29, s1
	;;#ASMSTART
	v_pk_mul_f32 v[8:9], v[8:9], v[10:11]
	;;#ASMEND
	v_pk_add_f32 v[10:11], v[16:17], 1.0 op_sel_hi:[1,0]
	s_and_b32 s13, s0, 0xffff
	s_mov_b32 s0, 0x7060302
	;;#ASMSTART
	v_pk_mul_f32 v[10:11], v[2:3], v[10:11]
	;;#ASMEND
	v_perm_b32 v2, v7, v6, s0
	v_perm_b32 v3, v5, v4, s0
	;; [unrolled: 1-line block ×4, first 2 shown]
	buffer_store_dwordx4 v[2:5], v1, s[12:15], 0 offen
	;;#ASMSTART
	s_nop 0
	;;#ASMEND
	s_endpgm
	.section	.rodata,"a",@progbits
	.p2align	6, 0x0
	.amdhsa_kernel _ZN5aiter35fused_qk_rmsnorm_group_quant_kernelItDB8_Li256ELi8ELi8ELb0ELb0ELb1ELb0ELb0ELb0EEEvPT0_PvPT_S6_S6_PKS5_S8_S8_S8_S8_ffiiiiiiiiiiiii
		.amdhsa_group_segment_fixed_size 32
		.amdhsa_private_segment_fixed_size 0
		.amdhsa_kernarg_size 400
		.amdhsa_user_sgpr_count 6
		.amdhsa_user_sgpr_private_segment_buffer 1
		.amdhsa_user_sgpr_dispatch_ptr 0
		.amdhsa_user_sgpr_queue_ptr 0
		.amdhsa_user_sgpr_kernarg_segment_ptr 1
		.amdhsa_user_sgpr_dispatch_id 0
		.amdhsa_user_sgpr_flat_scratch_init 0
		.amdhsa_user_sgpr_kernarg_preload_length 0
		.amdhsa_user_sgpr_kernarg_preload_offset 0
		.amdhsa_user_sgpr_private_segment_size 0
		.amdhsa_uses_dynamic_stack 0
		.amdhsa_system_sgpr_private_segment_wavefront_offset 0
		.amdhsa_system_sgpr_workgroup_id_x 1
		.amdhsa_system_sgpr_workgroup_id_y 1
		.amdhsa_system_sgpr_workgroup_id_z 0
		.amdhsa_system_sgpr_workgroup_info 0
		.amdhsa_system_vgpr_workitem_id 0
		.amdhsa_next_free_vgpr 23
		.amdhsa_next_free_sgpr 32
		.amdhsa_accum_offset 24
		.amdhsa_reserve_vcc 1
		.amdhsa_reserve_flat_scratch 0
		.amdhsa_float_round_mode_32 0
		.amdhsa_float_round_mode_16_64 0
		.amdhsa_float_denorm_mode_32 3
		.amdhsa_float_denorm_mode_16_64 3
		.amdhsa_dx10_clamp 1
		.amdhsa_ieee_mode 1
		.amdhsa_fp16_overflow 0
		.amdhsa_tg_split 0
		.amdhsa_exception_fp_ieee_invalid_op 0
		.amdhsa_exception_fp_denorm_src 0
		.amdhsa_exception_fp_ieee_div_zero 0
		.amdhsa_exception_fp_ieee_overflow 0
		.amdhsa_exception_fp_ieee_underflow 0
		.amdhsa_exception_fp_ieee_inexact 0
		.amdhsa_exception_int_div_zero 0
	.end_amdhsa_kernel
	.section	.text._ZN5aiter35fused_qk_rmsnorm_group_quant_kernelItDB8_Li256ELi8ELi8ELb0ELb0ELb1ELb0ELb0ELb0EEEvPT0_PvPT_S6_S6_PKS5_S8_S8_S8_S8_ffiiiiiiiiiiiii,"axG",@progbits,_ZN5aiter35fused_qk_rmsnorm_group_quant_kernelItDB8_Li256ELi8ELi8ELb0ELb0ELb1ELb0ELb0ELb0EEEvPT0_PvPT_S6_S6_PKS5_S8_S8_S8_S8_ffiiiiiiiiiiiii,comdat
.Lfunc_end546:
	.size	_ZN5aiter35fused_qk_rmsnorm_group_quant_kernelItDB8_Li256ELi8ELi8ELb0ELb0ELb1ELb0ELb0ELb0EEEvPT0_PvPT_S6_S6_PKS5_S8_S8_S8_S8_ffiiiiiiiiiiiii, .Lfunc_end546-_ZN5aiter35fused_qk_rmsnorm_group_quant_kernelItDB8_Li256ELi8ELi8ELb0ELb0ELb1ELb0ELb0ELb0EEEvPT0_PvPT_S6_S6_PKS5_S8_S8_S8_S8_ffiiiiiiiiiiiii
                                        ; -- End function
	.section	.AMDGPU.csdata,"",@progbits
; Kernel info:
; codeLenInByte = 2560
; NumSgprs: 36
; NumVgprs: 23
; NumAgprs: 0
; TotalNumVgprs: 23
; ScratchSize: 0
; MemoryBound: 0
; FloatMode: 240
; IeeeMode: 1
; LDSByteSize: 32 bytes/workgroup (compile time only)
; SGPRBlocks: 4
; VGPRBlocks: 2
; NumSGPRsForWavesPerEU: 36
; NumVGPRsForWavesPerEU: 23
; AccumOffset: 24
; Occupancy: 8
; WaveLimiterHint : 0
; COMPUTE_PGM_RSRC2:SCRATCH_EN: 0
; COMPUTE_PGM_RSRC2:USER_SGPR: 6
; COMPUTE_PGM_RSRC2:TRAP_HANDLER: 0
; COMPUTE_PGM_RSRC2:TGID_X_EN: 1
; COMPUTE_PGM_RSRC2:TGID_Y_EN: 1
; COMPUTE_PGM_RSRC2:TGID_Z_EN: 0
; COMPUTE_PGM_RSRC2:TIDIG_COMP_CNT: 0
; COMPUTE_PGM_RSRC3_GFX90A:ACCUM_OFFSET: 5
; COMPUTE_PGM_RSRC3_GFX90A:TG_SPLIT: 0
	.section	.text._ZN5aiter35fused_qk_rmsnorm_group_quant_kernelIDF16_N4opus5fp4_tELi256ELi8ELi8ELb0ELb0ELb1ELb0ELb0ELb0EEEvPT0_PvPT_S7_S7_PKS6_S9_S9_S9_S9_ffiiiiiiiiiiiii,"axG",@progbits,_ZN5aiter35fused_qk_rmsnorm_group_quant_kernelIDF16_N4opus5fp4_tELi256ELi8ELi8ELb0ELb0ELb1ELb0ELb0ELb0EEEvPT0_PvPT_S7_S7_PKS6_S9_S9_S9_S9_ffiiiiiiiiiiiii,comdat
	.protected	_ZN5aiter35fused_qk_rmsnorm_group_quant_kernelIDF16_N4opus5fp4_tELi256ELi8ELi8ELb0ELb0ELb1ELb0ELb0ELb0EEEvPT0_PvPT_S7_S7_PKS6_S9_S9_S9_S9_ffiiiiiiiiiiiii ; -- Begin function _ZN5aiter35fused_qk_rmsnorm_group_quant_kernelIDF16_N4opus5fp4_tELi256ELi8ELi8ELb0ELb0ELb1ELb0ELb0ELb0EEEvPT0_PvPT_S7_S7_PKS6_S9_S9_S9_S9_ffiiiiiiiiiiiii
	.globl	_ZN5aiter35fused_qk_rmsnorm_group_quant_kernelIDF16_N4opus5fp4_tELi256ELi8ELi8ELb0ELb0ELb1ELb0ELb0ELb0EEEvPT0_PvPT_S7_S7_PKS6_S9_S9_S9_S9_ffiiiiiiiiiiiii
	.p2align	8
	.type	_ZN5aiter35fused_qk_rmsnorm_group_quant_kernelIDF16_N4opus5fp4_tELi256ELi8ELi8ELb0ELb0ELb1ELb0ELb0ELb0EEEvPT0_PvPT_S7_S7_PKS6_S9_S9_S9_S9_ffiiiiiiiiiiiii,@function
_ZN5aiter35fused_qk_rmsnorm_group_quant_kernelIDF16_N4opus5fp4_tELi256ELi8ELi8ELb0ELb0ELb1ELb0ELb0ELb0EEEvPT0_PvPT_S7_S7_PKS6_S9_S9_S9_S9_ffiiiiiiiiiiiii: ; @_ZN5aiter35fused_qk_rmsnorm_group_quant_kernelIDF16_N4opus5fp4_tELi256ELi8ELi8ELb0ELb0ELb1ELb0ELb0ELb0EEEvPT0_PvPT_S7_S7_PKS6_S9_S9_S9_S9_ffiiiiiiiiiiiii
; %bb.0:
	s_load_dwordx4 s[16:19], s[4:5], 0x50
	s_waitcnt lgkmcnt(0)
	s_cmp_ge_i32 s6, s18
	s_cbranch_scc1 .LBB547_12
; %bb.1:
	s_load_dwordx2 s[12:13], s[4:5], 0x48
	s_load_dwordx2 s[30:31], s[4:5], 0x30
	s_load_dwordx4 s[20:23], s[4:5], 0x60
	s_cmp_lg_u32 s7, 0
	s_cselect_b64 s[14:15], -1, 0
	s_cmp_eq_u32 s7, 0
	s_cselect_b64 vcc, -1, 0
	s_and_b64 s[0:1], vcc, exec
	s_waitcnt lgkmcnt(0)
	s_cselect_b32 s7, s19, s20
	s_add_i32 s0, s7, 1
	s_lshr_b32 s1, s0, 31
	s_add_i32 s0, s0, s1
	s_lshl_b32 s0, s0, 1
	v_lshlrev_b32_e32 v1, 3, v0
	s_and_b32 s10, s0, -4
	v_cmp_gt_i32_e64 s[2:3], s7, v1
	v_mov_b32_e32 v10, 0
	v_mov_b32_e32 v2, 0
	;; [unrolled: 1-line block ×9, first 2 shown]
	s_and_saveexec_b64 s[0:1], s[2:3]
	s_cbranch_execz .LBB547_3
; %bb.2:
	s_load_dwordx2 s[8:9], s[4:5], 0x28
	s_load_dwordx2 s[26:27], s[4:5], 0x40
	s_and_b64 s[24:25], vcc, exec
	s_cselect_b32 s11, s21, s22
	v_lshlrev_b32_e32 v11, 4, v0
	s_waitcnt lgkmcnt(0)
	s_cselect_b32 s18, s9, s31
	s_cselect_b32 s21, s8, s30
	s_mul_hi_i32 s9, s11, s6
	s_mul_i32 s8, s11, s6
	s_lshl_b64 s[8:9], s[8:9], 1
	s_add_u32 s24, s21, s8
	s_addc_u32 s18, s18, s9
	s_and_b64 s[8:9], vcc, exec
	s_mov_b32 s11, 0x20000
	s_cselect_b32 s8, s26, s12
	s_cselect_b32 s9, s27, s13
	s_and_b32 s25, s18, 0xffff
	s_mov_b32 s26, s10
	s_mov_b32 s27, s11
	s_and_b32 s9, s9, 0xffff
	buffer_load_dwordx4 v[6:9], v11, s[24:27], 0 offen glc slc
	buffer_load_dwordx4 v[2:5], v11, s[8:11], 0 offen
.LBB547_3:
	s_or_b64 exec, exec, s[0:1]
	v_mov_b32_e32 v11, 0
	v_mov_b32_e32 v16, 0
	;; [unrolled: 1-line block ×7, first 2 shown]
	s_and_saveexec_b64 s[0:1], s[2:3]
	s_cbranch_execz .LBB547_5
; %bb.4:
	s_waitcnt vmcnt(1)
	v_cvt_f32_f16_sdwa v11, v6 dst_sel:DWORD dst_unused:UNUSED_PAD src0_sel:WORD_1
	v_cvt_f32_f16_e32 v10, v6
	v_cvt_f32_f16_sdwa v17, v7 dst_sel:DWORD dst_unused:UNUSED_PAD src0_sel:WORD_1
	v_cvt_f32_f16_e32 v16, v7
	;; [unrolled: 2-line block ×4, first 2 shown]
.LBB547_5:
	s_or_b64 exec, exec, s[0:1]
	s_waitcnt vmcnt(1)
	v_mul_f32_e32 v6, v11, v11
	v_fmac_f32_e32 v6, v10, v10
	v_fmac_f32_e32 v6, v16, v16
	;; [unrolled: 1-line block ×7, first 2 shown]
	v_and_b32_e32 v8, 63, v0
	v_cmp_eq_u32_e64 s[0:1], 63, v8
	v_mov_b32_dpp v7, v6 quad_perm:[1,0,3,2] row_mask:0xf bank_mask:0xf
	v_add_f32_e32 v6, v6, v7
	s_nop 1
	v_mov_b32_dpp v7, v6 quad_perm:[2,3,0,1] row_mask:0xf bank_mask:0xf
	v_add_f32_e32 v6, v6, v7
	s_nop 1
	v_mov_b32_dpp v7, v6 row_half_mirror row_mask:0xf bank_mask:0xf
	v_add_f32_e32 v6, v6, v7
	s_nop 1
	v_mov_b32_dpp v7, v6 row_mirror row_mask:0xf bank_mask:0xf
	v_add_f32_e32 v6, v6, v7
	s_nop 1
	v_mov_b32_dpp v7, v6 row_bcast:15 row_mask:0xf bank_mask:0xf
	v_add_f32_e32 v6, v6, v7
	s_nop 1
	v_mov_b32_dpp v7, v6 row_bcast:31 row_mask:0xf bank_mask:0xf
	s_and_saveexec_b64 s[8:9], s[0:1]
	s_cbranch_execz .LBB547_7
; %bb.6:
	v_add_f32_e32 v6, v6, v7
	v_lshrrev_b32_e32 v7, 4, v0
	v_and_b32_e32 v7, 60, v7
	ds_write_b32 v7, v6 offset:16
.LBB547_7:
	s_or_b64 exec, exec, s[8:9]
	v_and_b32_e32 v6, 3, v0
	v_lshlrev_b32_e32 v18, 2, v6
	s_waitcnt lgkmcnt(0)
	s_barrier
	ds_read_b32 v6, v18 offset:16
	s_load_dwordx2 s[28:29], s[4:5], 0x18
	s_waitcnt lgkmcnt(0)
	v_mov_b32_dpp v7, v6 quad_perm:[1,0,3,2] row_mask:0xf bank_mask:0xf
	v_add_f32_e32 v6, v6, v7
	s_nop 1
	v_mov_b32_dpp v7, v6 quad_perm:[2,3,0,1] row_mask:0xf bank_mask:0xf
	s_and_saveexec_b64 s[8:9], s[2:3]
	s_cbranch_execz .LBB547_9
; %bb.8:
	v_cvt_f32_u32_e32 v8, s7
	v_add_f32_e32 v6, v6, v7
	v_mov_b32_e32 v19, s17
	v_mov_b32_e32 v20, s16
	v_div_scale_f32 v7, s[24:25], v8, v8, v6
	v_rcp_f32_e32 v9, v7
	v_cndmask_b32_e32 v19, v19, v20, vcc
	s_mov_b32 s7, 0x800000
	v_fma_f32 v20, -v7, v9, 1.0
	v_fmac_f32_e32 v9, v20, v9
	v_div_scale_f32 v20, vcc, v6, v8, v6
	v_mul_f32_e32 v21, v20, v9
	v_fma_f32 v22, -v7, v21, v20
	v_fmac_f32_e32 v21, v22, v9
	v_fma_f32 v7, -v7, v21, v20
	v_div_fmas_f32 v7, v7, v9, v21
	v_div_fixup_f32 v6, v7, v8, v6
	v_add_f32_e32 v6, v19, v6
	v_mul_f32_e32 v7, 0x4b800000, v6
	v_cmp_gt_f32_e32 vcc, s7, v6
	v_cndmask_b32_e32 v6, v6, v7, vcc
	v_rsq_f32_e32 v6, v6
	s_waitcnt vmcnt(0)
	v_cvt_f32_f16_sdwa v21, v3 dst_sel:DWORD dst_unused:UNUSED_PAD src0_sel:WORD_1
	v_cvt_f32_f16_e32 v20, v3
	v_mul_f32_e32 v7, 0x45800000, v6
	v_cndmask_b32_e32 v6, v6, v7, vcc
	v_mov_b32_e32 v7, v6
	;;#ASMSTART
	v_pk_mul_f32 v[8:9], v[10:11], v[6:7]
	;;#ASMEND
	v_cvt_f32_f16_sdwa v11, v2 dst_sel:DWORD dst_unused:UNUSED_PAD src0_sel:WORD_1
	v_cvt_f32_f16_e32 v10, v2
	;;#ASMSTART
	v_pk_mul_f32 v[16:17], v[16:17], v[6:7]
	;;#ASMEND
	;;#ASMSTART
	v_pk_mul_f32 v[14:15], v[14:15], v[6:7]
	;;#ASMEND
	;; [unrolled: 3-line block ×3, first 2 shown]
	v_pk_add_f32 v[6:7], v[10:11], 1.0 op_sel_hi:[1,0]
	;;#ASMSTART
	v_pk_mul_f32 v[10:11], v[8:9], v[6:7]
	;;#ASMEND
	v_cvt_f32_f16_sdwa v9, v4 dst_sel:DWORD dst_unused:UNUSED_PAD src0_sel:WORD_1
	v_cvt_f32_f16_e32 v8, v4
	v_cvt_f32_f16_sdwa v13, v5 dst_sel:DWORD dst_unused:UNUSED_PAD src0_sel:WORD_1
	v_cvt_f32_f16_e32 v12, v5
	v_pk_add_f32 v[6:7], v[20:21], 1.0 op_sel_hi:[1,0]
	v_pk_add_f32 v[4:5], v[8:9], 1.0 op_sel_hi:[1,0]
	;;#ASMSTART
	v_pk_mul_f32 v[16:17], v[16:17], v[6:7]
	;;#ASMEND
	;;#ASMSTART
	v_pk_mul_f32 v[14:15], v[14:15], v[4:5]
	;;#ASMEND
	v_pk_add_f32 v[4:5], v[12:13], 1.0 op_sel_hi:[1,0]
	;;#ASMSTART
	v_pk_mul_f32 v[12:13], v[2:3], v[4:5]
	;;#ASMEND
.LBB547_9:
	s_or_b64 exec, exec, s[8:9]
	s_load_dword s7, s[4:5], 0x80
	s_mov_b64 s[8:9], -1
	s_and_b64 vcc, exec, s[14:15]
	s_cbranch_vccnz .LBB547_13
; %bb.10:
	s_andn2_b64 vcc, exec, s[8:9]
	s_cbranch_vccz .LBB547_16
.LBB547_11:
	s_cmp_lt_i32 s20, 1
	s_cbranch_scc0 .LBB547_23
.LBB547_12:
	s_endpgm
.LBB547_13:
	s_and_saveexec_b64 s[14:15], s[2:3]
	s_cbranch_execz .LBB547_15
; %bb.14:
	s_waitcnt lgkmcnt(0)
	s_mul_hi_i32 s9, s7, s6
	s_mul_i32 s8, s7, s6
	s_waitcnt vmcnt(0)
	v_cvt_f16_f32_e32 v2, v10
	v_cvt_f16_f32_e32 v3, v16
	;; [unrolled: 1-line block ×8, first 2 shown]
	s_lshl_b64 s[8:9], s[8:9], 1
	s_add_u32 s8, s28, s8
	s_addc_u32 s9, s29, s9
	s_and_b32 s9, s9, 0xffff
	s_mov_b32 s11, 0x20000
	v_pack_b32_f16 v5, v5, v6
	v_pack_b32_f16 v4, v4, v7
	;; [unrolled: 1-line block ×4, first 2 shown]
	v_lshlrev_b32_e32 v6, 4, v0
	buffer_store_dwordx4 v[2:5], v6, s[8:11], 0 offen
	;;#ASMSTART
	s_nop 0
	;;#ASMEND
.LBB547_15:
	s_or_b64 exec, exec, s[14:15]
	s_cbranch_execnz .LBB547_11
.LBB547_16:
	s_waitcnt vmcnt(0)
	v_mov_b32_e32 v2, 0
	s_and_saveexec_b64 s[8:9], s[2:3]
	s_cbranch_execz .LBB547_18
; %bb.17:
	v_and_b32_e32 v2, 0x7fffffff, v10
	v_and_b32_e32 v3, 0x7fffffff, v11
	v_mov_b32_e32 v4, 0x2edbe6ff
	;;#ASMSTART
	v_max3_f32 v2, v4, v2, v3

	;;#ASMEND
	v_and_b32_e32 v3, 0x7fffffff, v16
	v_and_b32_e32 v4, 0x7fffffff, v17
	;;#ASMSTART
	v_max3_f32 v2, v2, v3, v4

	;;#ASMEND
	v_and_b32_e32 v3, 0x7fffffff, v14
	v_and_b32_e32 v4, 0x7fffffff, v15
	;; [unrolled: 6-line block ×3, first 2 shown]
	;;#ASMSTART
	v_max3_f32 v2, v2, v3, v4

	;;#ASMEND
.LBB547_18:
	s_or_b64 exec, exec, s[8:9]
	s_load_dwordx4 s[24:27], s[4:5], 0x70
	;;#ASMSTART
	v_max_f32 v3, v2, v2 quad_perm:[1,0,3,2] row_mask:0xf bank_mask:0xf bound_ctrl:1
	;;#ASMEND
	;;#ASMSTART
	v_max_f32 v4, v3, v3 quad_perm:[2,3,0,1] row_mask:0xf bank_mask:0xf bound_ctrl:1
	;;#ASMEND
	v_and_b32_e32 v3, 7, v0
	v_cmp_eq_u32_e32 vcc, 0, v3
	v_cmp_gt_i32_e64 s[8:9], s19, v1
	s_and_b64 s[10:11], vcc, s[8:9]
	;;#ASMSTART
	v_max_f32 v2, v4, v4 row_half_mirror row_mask:0xf bank_mask:0xf bound_ctrl:1
	;;#ASMEND
	s_and_saveexec_b64 s[8:9], s[10:11]
	s_cbranch_execz .LBB547_20
; %bb.19:
	s_load_dwordx2 s[10:11], s[4:5], 0x8
	v_mul_f32_e32 v2, 0x3e2aaaab, v2
	v_lshrrev_b32_e32 v3, 23, v2
	v_and_b32_e32 v4, 0x7f800000, v2
	v_and_b32_e32 v2, 0x7fffff, v2
	v_cmp_ne_u32_e32 vcc, 0, v2
	s_waitcnt lgkmcnt(0)
	s_mul_i32 s16, s25, s6
	s_mov_b32 s14, 0x7f800000
	v_addc_co_u32_e32 v2, vcc, 0, v3, vcc
	s_mul_hi_i32 s15, s25, s6
	s_add_u32 s10, s10, s16
	v_cmp_ne_u32_e32 vcc, s14, v4
	s_addc_u32 s11, s11, s15
	v_lshrrev_b32_e32 v5, 3, v0
	v_cndmask_b32_e32 v4, -1, v2, vcc
	v_pk_mov_b32 v[2:3], s[10:11], s[10:11] op_sel:[0,1]
	v_mad_i64_i32 v[2:3], s[10:11], s26, v5, v[2:3]
	global_store_byte v[2:3], v4, off
.LBB547_20:
	s_or_b64 exec, exec, s[8:9]
	s_and_saveexec_b64 s[8:9], s[2:3]
	s_cbranch_execz .LBB547_22
; %bb.21:
	s_load_dwordx2 s[2:3], s[4:5], 0x0
	s_waitcnt lgkmcnt(0)
	s_mul_i32 s11, s24, s6
	s_mul_hi_i32 s10, s24, s6
	v_lshlrev_b32_e32 v2, 2, v0
	s_mov_b32 s27, 0x20000
	s_add_u32 s24, s2, s11
	s_addc_u32 s2, s3, s10
	s_lshr_b32 s3, s19, 31
	s_add_i32 s3, s19, s3
	s_ashr_i32 s3, s3, 1
	s_add_i32 s3, s3, 3
	s_ashr_i32 s10, s3, 31
	s_lshr_b32 s10, s10, 30
	s_add_i32 s3, s3, s10
	s_and_b32 s26, s3, -4
	s_and_b32 s25, s2, 0xffff
	v_mov_b32_e32 v3, 0
	buffer_store_dword v3, v2, s[24:27], 0 offen
	;;#ASMSTART
	s_nop 0
	;;#ASMEND
.LBB547_22:
	s_or_b64 exec, exec, s[8:9]
	s_cmp_lt_i32 s20, 1
	s_cbranch_scc1 .LBB547_12
.LBB547_23:
	s_load_dword s2, s[4:5], 0x94
	s_waitcnt lgkmcnt(0)
	s_cmp_lg_u32 s2, 1
	s_cbranch_scc1 .LBB547_12
; %bb.24:
	s_lshl_b32 s2, s20, 1
	s_add_i32 s2, s2, 2
	v_cmp_gt_u32_e32 vcc, s20, v1
	s_and_b32 s14, s2, -4
	v_mov_b32_e32 v10, 0
	v_lshlrev_b32_e32 v1, 4, v0
	v_mov_b32_e32 v6, 0
	v_mov_b32_e32 v7, 0
	;; [unrolled: 1-line block ×4, first 2 shown]
	s_waitcnt vmcnt(0)
	v_mov_b32_e32 v2, 0
	v_mov_b32_e32 v3, 0
	;; [unrolled: 1-line block ×4, first 2 shown]
	s_barrier
	s_and_saveexec_b64 s[2:3], vcc
	s_cbranch_execz .LBB547_26
; %bb.25:
	s_mul_hi_i32 s5, s22, s6
	s_mul_i32 s4, s22, s6
	s_and_b32 s13, s13, 0xffff
	s_lshl_b64 s[4:5], s[4:5], 1
	s_add_u32 s8, s30, s4
	s_mov_b32 s15, 0x20000
	s_addc_u32 s4, s31, s5
	s_and_b32 s9, s4, 0xffff
	s_mov_b32 s10, s14
	s_mov_b32 s11, s15
	buffer_load_dwordx4 v[6:9], v1, s[8:11], 0 offen glc slc
	buffer_load_dwordx4 v[2:5], v1, s[12:15], 0 offen
.LBB547_26:
	s_or_b64 exec, exec, s[2:3]
	v_mov_b32_e32 v11, 0
	v_mov_b32_e32 v16, 0
	;; [unrolled: 1-line block ×7, first 2 shown]
	s_and_saveexec_b64 s[2:3], vcc
	s_cbranch_execz .LBB547_28
; %bb.27:
	s_waitcnt vmcnt(1)
	v_cvt_f32_f16_sdwa v11, v6 dst_sel:DWORD dst_unused:UNUSED_PAD src0_sel:WORD_1
	v_cvt_f32_f16_e32 v10, v6
	v_cvt_f32_f16_sdwa v17, v7 dst_sel:DWORD dst_unused:UNUSED_PAD src0_sel:WORD_1
	v_cvt_f32_f16_e32 v16, v7
	;; [unrolled: 2-line block ×4, first 2 shown]
.LBB547_28:
	s_or_b64 exec, exec, s[2:3]
	s_waitcnt vmcnt(1)
	v_mul_f32_e32 v6, v11, v11
	v_fmac_f32_e32 v6, v10, v10
	v_fmac_f32_e32 v6, v16, v16
	;; [unrolled: 1-line block ×7, first 2 shown]
	s_nop 1
	v_mov_b32_dpp v7, v6 quad_perm:[1,0,3,2] row_mask:0xf bank_mask:0xf
	v_add_f32_e32 v6, v6, v7
	s_nop 1
	v_mov_b32_dpp v7, v6 quad_perm:[2,3,0,1] row_mask:0xf bank_mask:0xf
	v_add_f32_e32 v6, v6, v7
	s_nop 1
	v_mov_b32_dpp v7, v6 row_half_mirror row_mask:0xf bank_mask:0xf
	v_add_f32_e32 v6, v6, v7
	s_nop 1
	v_mov_b32_dpp v7, v6 row_mirror row_mask:0xf bank_mask:0xf
	v_add_f32_e32 v6, v6, v7
	s_nop 1
	v_mov_b32_dpp v7, v6 row_bcast:15 row_mask:0xf bank_mask:0xf
	v_add_f32_e32 v6, v6, v7
	s_nop 1
	v_mov_b32_dpp v7, v6 row_bcast:31 row_mask:0xf bank_mask:0xf
	s_and_saveexec_b64 s[2:3], s[0:1]
	s_cbranch_execz .LBB547_30
; %bb.29:
	v_lshrrev_b32_e32 v0, 4, v0
	v_add_f32_e32 v6, v6, v7
	v_and_b32_e32 v0, 60, v0
	ds_write_b32 v0, v6
.LBB547_30:
	s_or_b64 exec, exec, s[2:3]
	s_waitcnt lgkmcnt(0)
	s_barrier
	ds_read_b32 v0, v18
	s_waitcnt lgkmcnt(0)
	s_nop 0
	v_mov_b32_dpp v6, v0 quad_perm:[1,0,3,2] row_mask:0xf bank_mask:0xf
	v_add_f32_e32 v0, v0, v6
	s_nop 1
	v_mov_b32_dpp v6, v0 quad_perm:[2,3,0,1] row_mask:0xf bank_mask:0xf
	s_and_saveexec_b64 s[0:1], vcc
	s_cbranch_execz .LBB547_12
; %bb.31:
	v_cvt_f32_u32_e32 v7, s20
	v_add_f32_e32 v0, v0, v6
	s_mov_b32 s15, 0x20000
	v_div_scale_f32 v6, s[0:1], v7, v7, v0
	v_rcp_f32_e32 v8, v6
	v_div_scale_f32 v9, vcc, v0, v7, v0
	s_mov_b32 s0, 0x800000
	v_fma_f32 v18, -v6, v8, 1.0
	v_fmac_f32_e32 v8, v18, v8
	v_mul_f32_e32 v18, v9, v8
	v_fma_f32 v19, -v6, v18, v9
	v_fmac_f32_e32 v18, v19, v8
	v_fma_f32 v6, -v6, v18, v9
	v_div_fmas_f32 v6, v6, v8, v18
	v_div_fixup_f32 v0, v6, v7, v0
	v_add_f32_e32 v0, s17, v0
	v_mul_f32_e32 v6, 0x4b800000, v0
	v_cmp_gt_f32_e32 vcc, s0, v0
	v_cndmask_b32_e32 v0, v0, v6, vcc
	v_rsq_f32_e32 v0, v0
	s_waitcnt vmcnt(0)
	v_cvt_f32_f16_sdwa v19, v3 dst_sel:DWORD dst_unused:UNUSED_PAD src0_sel:WORD_1
	v_cvt_f32_f16_e32 v18, v3
	s_mul_hi_i32 s1, s7, s6
	v_mul_f32_e32 v6, 0x45800000, v0
	v_cndmask_b32_e32 v6, v0, v6, vcc
	v_mov_b32_e32 v7, v6
	;;#ASMSTART
	v_pk_mul_f32 v[8:9], v[10:11], v[6:7]
	;;#ASMEND
	;;#ASMSTART
	v_pk_mul_f32 v[10:11], v[16:17], v[6:7]
	;;#ASMEND
	v_cvt_f32_f16_sdwa v17, v2 dst_sel:DWORD dst_unused:UNUSED_PAD src0_sel:WORD_1
	v_cvt_f32_f16_e32 v16, v2
	;;#ASMSTART
	v_pk_mul_f32 v[14:15], v[14:15], v[6:7]
	;;#ASMEND
	;;#ASMSTART
	v_pk_mul_f32 v[2:3], v[12:13], v[6:7]
	;;#ASMEND
	v_cvt_f32_f16_sdwa v13, v4 dst_sel:DWORD dst_unused:UNUSED_PAD src0_sel:WORD_1
	v_cvt_f32_f16_e32 v12, v4
	v_pk_add_f32 v[6:7], v[16:17], 1.0 op_sel_hi:[1,0]
	v_cvt_f32_f16_sdwa v17, v5 dst_sel:DWORD dst_unused:UNUSED_PAD src0_sel:WORD_1
	v_cvt_f32_f16_e32 v16, v5
	;;#ASMSTART
	v_pk_mul_f32 v[6:7], v[8:9], v[6:7]
	;;#ASMEND
	v_pk_add_f32 v[8:9], v[18:19], 1.0 op_sel_hi:[1,0]
	;;#ASMSTART
	v_pk_mul_f32 v[4:5], v[10:11], v[8:9]
	;;#ASMEND
	v_pk_add_f32 v[8:9], v[12:13], 1.0 op_sel_hi:[1,0]
	;; [unrolled: 4-line block ×3, first 2 shown]
	;;#ASMSTART
	v_pk_mul_f32 v[2:3], v[2:3], v[10:11]
	;;#ASMEND
	s_mul_i32 s0, s7, s6
	v_cvt_f16_f32_e32 v0, v6
	v_cvt_f16_f32_e32 v6, v7
	;; [unrolled: 1-line block ×8, first 2 shown]
	s_lshl_b64 s[0:1], s[0:1], 1
	s_add_u32 s12, s28, s0
	s_addc_u32 s0, s29, s1
	s_and_b32 s13, s0, 0xffff
	v_pack_b32_f16 v2, v0, v6
	v_pack_b32_f16 v3, v4, v5
	;; [unrolled: 1-line block ×4, first 2 shown]
	buffer_store_dwordx4 v[2:5], v1, s[12:15], 0 offen
	;;#ASMSTART
	s_nop 0
	;;#ASMEND
	s_endpgm
	.section	.rodata,"a",@progbits
	.p2align	6, 0x0
	.amdhsa_kernel _ZN5aiter35fused_qk_rmsnorm_group_quant_kernelIDF16_N4opus5fp4_tELi256ELi8ELi8ELb0ELb0ELb1ELb0ELb0ELb0EEEvPT0_PvPT_S7_S7_PKS6_S9_S9_S9_S9_ffiiiiiiiiiiiii
		.amdhsa_group_segment_fixed_size 32
		.amdhsa_private_segment_fixed_size 0
		.amdhsa_kernarg_size 400
		.amdhsa_user_sgpr_count 6
		.amdhsa_user_sgpr_private_segment_buffer 1
		.amdhsa_user_sgpr_dispatch_ptr 0
		.amdhsa_user_sgpr_queue_ptr 0
		.amdhsa_user_sgpr_kernarg_segment_ptr 1
		.amdhsa_user_sgpr_dispatch_id 0
		.amdhsa_user_sgpr_flat_scratch_init 0
		.amdhsa_user_sgpr_kernarg_preload_length 0
		.amdhsa_user_sgpr_kernarg_preload_offset 0
		.amdhsa_user_sgpr_private_segment_size 0
		.amdhsa_uses_dynamic_stack 0
		.amdhsa_system_sgpr_private_segment_wavefront_offset 0
		.amdhsa_system_sgpr_workgroup_id_x 1
		.amdhsa_system_sgpr_workgroup_id_y 1
		.amdhsa_system_sgpr_workgroup_id_z 0
		.amdhsa_system_sgpr_workgroup_info 0
		.amdhsa_system_vgpr_workitem_id 0
		.amdhsa_next_free_vgpr 23
		.amdhsa_next_free_sgpr 32
		.amdhsa_accum_offset 24
		.amdhsa_reserve_vcc 1
		.amdhsa_reserve_flat_scratch 0
		.amdhsa_float_round_mode_32 0
		.amdhsa_float_round_mode_16_64 0
		.amdhsa_float_denorm_mode_32 3
		.amdhsa_float_denorm_mode_16_64 3
		.amdhsa_dx10_clamp 1
		.amdhsa_ieee_mode 1
		.amdhsa_fp16_overflow 0
		.amdhsa_tg_split 0
		.amdhsa_exception_fp_ieee_invalid_op 0
		.amdhsa_exception_fp_denorm_src 0
		.amdhsa_exception_fp_ieee_div_zero 0
		.amdhsa_exception_fp_ieee_overflow 0
		.amdhsa_exception_fp_ieee_underflow 0
		.amdhsa_exception_fp_ieee_inexact 0
		.amdhsa_exception_int_div_zero 0
	.end_amdhsa_kernel
	.section	.text._ZN5aiter35fused_qk_rmsnorm_group_quant_kernelIDF16_N4opus5fp4_tELi256ELi8ELi8ELb0ELb0ELb1ELb0ELb0ELb0EEEvPT0_PvPT_S7_S7_PKS6_S9_S9_S9_S9_ffiiiiiiiiiiiii,"axG",@progbits,_ZN5aiter35fused_qk_rmsnorm_group_quant_kernelIDF16_N4opus5fp4_tELi256ELi8ELi8ELb0ELb0ELb1ELb0ELb0ELb0EEEvPT0_PvPT_S7_S7_PKS6_S9_S9_S9_S9_ffiiiiiiiiiiiii,comdat
.Lfunc_end547:
	.size	_ZN5aiter35fused_qk_rmsnorm_group_quant_kernelIDF16_N4opus5fp4_tELi256ELi8ELi8ELb0ELb0ELb1ELb0ELb0ELb0EEEvPT0_PvPT_S7_S7_PKS6_S9_S9_S9_S9_ffiiiiiiiiiiiii, .Lfunc_end547-_ZN5aiter35fused_qk_rmsnorm_group_quant_kernelIDF16_N4opus5fp4_tELi256ELi8ELi8ELb0ELb0ELb1ELb0ELb0ELb0EEEvPT0_PvPT_S7_S7_PKS6_S9_S9_S9_S9_ffiiiiiiiiiiiii
                                        ; -- End function
	.section	.AMDGPU.csdata,"",@progbits
; Kernel info:
; codeLenInByte = 2360
; NumSgprs: 36
; NumVgprs: 23
; NumAgprs: 0
; TotalNumVgprs: 23
; ScratchSize: 0
; MemoryBound: 0
; FloatMode: 240
; IeeeMode: 1
; LDSByteSize: 32 bytes/workgroup (compile time only)
; SGPRBlocks: 4
; VGPRBlocks: 2
; NumSGPRsForWavesPerEU: 36
; NumVGPRsForWavesPerEU: 23
; AccumOffset: 24
; Occupancy: 8
; WaveLimiterHint : 0
; COMPUTE_PGM_RSRC2:SCRATCH_EN: 0
; COMPUTE_PGM_RSRC2:USER_SGPR: 6
; COMPUTE_PGM_RSRC2:TRAP_HANDLER: 0
; COMPUTE_PGM_RSRC2:TGID_X_EN: 1
; COMPUTE_PGM_RSRC2:TGID_Y_EN: 1
; COMPUTE_PGM_RSRC2:TGID_Z_EN: 0
; COMPUTE_PGM_RSRC2:TIDIG_COMP_CNT: 0
; COMPUTE_PGM_RSRC3_GFX90A:ACCUM_OFFSET: 5
; COMPUTE_PGM_RSRC3_GFX90A:TG_SPLIT: 0
	.section	.text._ZN5aiter35fused_qk_rmsnorm_group_quant_kernelItN4opus5fp4_tELi256ELi8ELi8ELb0ELb0ELb1ELb0ELb0ELb0EEEvPT0_PvPT_S7_S7_PKS6_S9_S9_S9_S9_ffiiiiiiiiiiiii,"axG",@progbits,_ZN5aiter35fused_qk_rmsnorm_group_quant_kernelItN4opus5fp4_tELi256ELi8ELi8ELb0ELb0ELb1ELb0ELb0ELb0EEEvPT0_PvPT_S7_S7_PKS6_S9_S9_S9_S9_ffiiiiiiiiiiiii,comdat
	.protected	_ZN5aiter35fused_qk_rmsnorm_group_quant_kernelItN4opus5fp4_tELi256ELi8ELi8ELb0ELb0ELb1ELb0ELb0ELb0EEEvPT0_PvPT_S7_S7_PKS6_S9_S9_S9_S9_ffiiiiiiiiiiiii ; -- Begin function _ZN5aiter35fused_qk_rmsnorm_group_quant_kernelItN4opus5fp4_tELi256ELi8ELi8ELb0ELb0ELb1ELb0ELb0ELb0EEEvPT0_PvPT_S7_S7_PKS6_S9_S9_S9_S9_ffiiiiiiiiiiiii
	.globl	_ZN5aiter35fused_qk_rmsnorm_group_quant_kernelItN4opus5fp4_tELi256ELi8ELi8ELb0ELb0ELb1ELb0ELb0ELb0EEEvPT0_PvPT_S7_S7_PKS6_S9_S9_S9_S9_ffiiiiiiiiiiiii
	.p2align	8
	.type	_ZN5aiter35fused_qk_rmsnorm_group_quant_kernelItN4opus5fp4_tELi256ELi8ELi8ELb0ELb0ELb1ELb0ELb0ELb0EEEvPT0_PvPT_S7_S7_PKS6_S9_S9_S9_S9_ffiiiiiiiiiiiii,@function
_ZN5aiter35fused_qk_rmsnorm_group_quant_kernelItN4opus5fp4_tELi256ELi8ELi8ELb0ELb0ELb1ELb0ELb0ELb0EEEvPT0_PvPT_S7_S7_PKS6_S9_S9_S9_S9_ffiiiiiiiiiiiii: ; @_ZN5aiter35fused_qk_rmsnorm_group_quant_kernelItN4opus5fp4_tELi256ELi8ELi8ELb0ELb0ELb1ELb0ELb0ELb0EEEvPT0_PvPT_S7_S7_PKS6_S9_S9_S9_S9_ffiiiiiiiiiiiii
; %bb.0:
	s_load_dwordx4 s[16:19], s[4:5], 0x50
	s_waitcnt lgkmcnt(0)
	s_cmp_ge_i32 s6, s18
	s_cbranch_scc1 .LBB548_10
; %bb.1:
	s_load_dwordx2 s[12:13], s[4:5], 0x48
	s_load_dwordx2 s[30:31], s[4:5], 0x30
	s_load_dwordx4 s[20:23], s[4:5], 0x60
	s_cmp_lg_u32 s7, 0
	s_cselect_b64 s[14:15], -1, 0
	s_cmp_eq_u32 s7, 0
	s_cselect_b64 vcc, -1, 0
	s_and_b64 s[0:1], vcc, exec
	s_waitcnt lgkmcnt(0)
	s_cselect_b32 s7, s19, s20
	s_add_i32 s0, s7, 1
	s_lshr_b32 s1, s0, 31
	s_add_i32 s0, s0, s1
	s_lshl_b32 s0, s0, 1
	v_lshlrev_b32_e32 v1, 3, v0
	s_and_b32 s10, s0, -4
	v_cmp_gt_i32_e64 s[2:3], s7, v1
	v_mov_b32_e32 v2, 0
	v_mov_b32_e32 v3, 0
	v_mov_b32_e32 v4, 0
	v_mov_b32_e32 v5, 0
	v_mov_b32_e32 v6, 0
	v_mov_b32_e32 v7, 0
	v_mov_b32_e32 v8, 0
	v_mov_b32_e32 v9, 0
	s_and_saveexec_b64 s[0:1], s[2:3]
	s_cbranch_execz .LBB548_3
; %bb.2:
	s_load_dwordx2 s[8:9], s[4:5], 0x28
	s_load_dwordx2 s[26:27], s[4:5], 0x40
	s_and_b64 s[24:25], vcc, exec
	s_cselect_b32 s11, s21, s22
	v_lshlrev_b32_e32 v10, 4, v0
	s_waitcnt lgkmcnt(0)
	s_cselect_b32 s18, s9, s31
	s_cselect_b32 s21, s8, s30
	s_mul_hi_i32 s9, s11, s6
	s_mul_i32 s8, s11, s6
	s_lshl_b64 s[8:9], s[8:9], 1
	s_add_u32 s24, s21, s8
	s_addc_u32 s18, s18, s9
	s_and_b64 s[8:9], vcc, exec
	s_mov_b32 s11, 0x20000
	s_cselect_b32 s8, s26, s12
	s_cselect_b32 s9, s27, s13
	s_and_b32 s25, s18, 0xffff
	s_mov_b32 s26, s10
	s_mov_b32 s27, s11
	s_and_b32 s9, s9, 0xffff
	buffer_load_dwordx4 v[6:9], v10, s[24:27], 0 offen glc slc
	buffer_load_dwordx4 v[2:5], v10, s[8:11], 0 offen
.LBB548_3:
	s_or_b64 exec, exec, s[0:1]
	s_waitcnt vmcnt(1)
	v_cvt_f32_u32_sdwa v11, v6 dst_sel:DWORD dst_unused:UNUSED_PAD src0_sel:WORD_1
	v_cvt_f32_u32_sdwa v10, v6 dst_sel:DWORD dst_unused:UNUSED_PAD src0_sel:WORD_0
	v_cvt_f32_u32_sdwa v6, v9 dst_sel:DWORD dst_unused:UNUSED_PAD src0_sel:WORD_1
	v_cvt_f32_u32_sdwa v9, v9 dst_sel:DWORD dst_unused:UNUSED_PAD src0_sel:WORD_0
	;; [unrolled: 2-line block ×4, first 2 shown]
	v_cndmask_b32_e64 v11, 0, v11, s[2:3]
	v_cndmask_b32_e64 v7, 0, v6, s[2:3]
	;; [unrolled: 1-line block ×5, first 2 shown]
	v_mul_f32_e32 v14, v11, v11
	v_cndmask_b32_e64 v12, 0, v12, s[2:3]
	v_fmac_f32_e32 v14, v10, v10
	v_cndmask_b32_e64 v13, 0, v13, s[2:3]
	v_fmac_f32_e32 v14, v12, v12
	v_cndmask_b32_e64 v8, 0, v8, s[2:3]
	v_fmac_f32_e32 v14, v13, v13
	v_fmac_f32_e32 v14, v8, v8
	v_fmac_f32_e32 v14, v9, v9
	v_fmac_f32_e32 v14, v6, v6
	v_fmac_f32_e32 v14, v7, v7
	v_and_b32_e32 v16, 63, v0
	v_cmp_eq_u32_e64 s[0:1], 63, v16
	v_mov_b32_dpp v15, v14 quad_perm:[1,0,3,2] row_mask:0xf bank_mask:0xf
	v_add_f32_e32 v14, v14, v15
	s_nop 1
	v_mov_b32_dpp v15, v14 quad_perm:[2,3,0,1] row_mask:0xf bank_mask:0xf
	v_add_f32_e32 v14, v14, v15
	s_nop 1
	v_mov_b32_dpp v15, v14 row_half_mirror row_mask:0xf bank_mask:0xf
	v_add_f32_e32 v14, v14, v15
	s_nop 1
	v_mov_b32_dpp v15, v14 row_mirror row_mask:0xf bank_mask:0xf
	v_add_f32_e32 v14, v14, v15
	s_nop 1
	v_mov_b32_dpp v15, v14 row_bcast:15 row_mask:0xf bank_mask:0xf
	v_add_f32_e32 v14, v14, v15
	s_nop 1
	v_mov_b32_dpp v15, v14 row_bcast:31 row_mask:0xf bank_mask:0xf
	s_and_saveexec_b64 s[8:9], s[0:1]
	s_cbranch_execz .LBB548_5
; %bb.4:
	v_add_f32_e32 v14, v14, v15
	v_lshrrev_b32_e32 v15, 4, v0
	v_and_b32_e32 v15, 60, v15
	ds_write_b32 v15, v14 offset:16
.LBB548_5:
	s_or_b64 exec, exec, s[8:9]
	v_and_b32_e32 v14, 3, v0
	v_lshlrev_b32_e32 v14, 2, v14
	s_waitcnt lgkmcnt(0)
	s_barrier
	ds_read_b32 v15, v14 offset:16
	s_load_dwordx2 s[28:29], s[4:5], 0x18
	s_waitcnt lgkmcnt(0)
	v_mov_b32_dpp v16, v15 quad_perm:[1,0,3,2] row_mask:0xf bank_mask:0xf
	v_add_f32_e32 v15, v15, v16
	s_nop 1
	v_mov_b32_dpp v16, v15 quad_perm:[2,3,0,1] row_mask:0xf bank_mask:0xf
	s_and_saveexec_b64 s[8:9], s[2:3]
	s_cbranch_execz .LBB548_7
; %bb.6:
	v_cvt_f32_u32_e32 v17, s7
	v_add_f32_e32 v15, v15, v16
	v_mov_b32_e32 v19, s17
	v_mov_b32_e32 v20, s16
	v_div_scale_f32 v16, s[24:25], v17, v17, v15
	v_rcp_f32_e32 v18, v16
	v_cndmask_b32_e32 v19, v19, v20, vcc
	s_mov_b32 s7, 0x800000
	v_fma_f32 v20, -v16, v18, 1.0
	v_fmac_f32_e32 v18, v20, v18
	v_div_scale_f32 v20, vcc, v15, v17, v15
	v_mul_f32_e32 v21, v20, v18
	v_fma_f32 v22, -v16, v21, v20
	v_fmac_f32_e32 v21, v22, v18
	v_fma_f32 v16, -v16, v21, v20
	v_div_fmas_f32 v16, v16, v18, v21
	v_div_fixup_f32 v15, v16, v17, v15
	v_add_f32_e32 v15, v19, v15
	v_mul_f32_e32 v16, 0x4b800000, v15
	v_cmp_gt_f32_e32 vcc, s7, v15
	v_cndmask_b32_e32 v15, v15, v16, vcc
	v_rsq_f32_e32 v15, v15
	s_waitcnt vmcnt(0)
	v_cvt_f32_u32_sdwa v19, v2 dst_sel:DWORD dst_unused:UNUSED_PAD src0_sel:WORD_1
	v_cvt_f32_u32_sdwa v18, v2 dst_sel:DWORD dst_unused:UNUSED_PAD src0_sel:WORD_0
	v_cvt_f32_u32_sdwa v21, v3 dst_sel:DWORD dst_unused:UNUSED_PAD src0_sel:WORD_1
	v_mul_f32_e32 v16, 0x45800000, v15
	v_cndmask_b32_e32 v16, v15, v16, vcc
	v_mov_b32_e32 v17, v16
	;;#ASMSTART
	v_pk_mul_f32 v[10:11], v[10:11], v[16:17]
	;;#ASMEND
	;;#ASMSTART
	v_pk_mul_f32 v[12:13], v[12:13], v[16:17]
	;;#ASMEND
	;; [unrolled: 3-line block ×3, first 2 shown]
	v_cvt_f32_u32_sdwa v20, v3 dst_sel:DWORD dst_unused:UNUSED_PAD src0_sel:WORD_0
	;;#ASMSTART
	v_pk_mul_f32 v[2:3], v[6:7], v[16:17]
	;;#ASMEND
	v_cvt_f32_u32_sdwa v17, v4 dst_sel:DWORD dst_unused:UNUSED_PAD src0_sel:WORD_1
	v_cvt_f32_u32_sdwa v16, v4 dst_sel:DWORD dst_unused:UNUSED_PAD src0_sel:WORD_0
	v_pk_add_f32 v[6:7], v[18:19], 1.0 op_sel_hi:[1,0]
	v_cvt_f32_u32_sdwa v19, v5 dst_sel:DWORD dst_unused:UNUSED_PAD src0_sel:WORD_1
	v_cvt_f32_u32_sdwa v18, v5 dst_sel:DWORD dst_unused:UNUSED_PAD src0_sel:WORD_0
	;;#ASMSTART
	v_pk_mul_f32 v[10:11], v[10:11], v[6:7]
	;;#ASMEND
	v_pk_add_f32 v[6:7], v[20:21], 1.0 op_sel_hi:[1,0]
	v_pk_add_f32 v[4:5], v[16:17], 1.0 op_sel_hi:[1,0]
	;;#ASMSTART
	v_pk_mul_f32 v[12:13], v[12:13], v[6:7]
	;;#ASMEND
	;;#ASMSTART
	v_pk_mul_f32 v[8:9], v[8:9], v[4:5]
	;;#ASMEND
	v_pk_add_f32 v[4:5], v[18:19], 1.0 op_sel_hi:[1,0]
	;;#ASMSTART
	v_pk_mul_f32 v[6:7], v[2:3], v[4:5]
	;;#ASMEND
.LBB548_7:
	s_or_b64 exec, exec, s[8:9]
	s_load_dword s7, s[4:5], 0x80
	s_mov_b64 s[8:9], -1
	s_and_b64 vcc, exec, s[14:15]
	s_cbranch_vccnz .LBB548_11
; %bb.8:
	s_andn2_b64 vcc, exec, s[8:9]
	s_cbranch_vccz .LBB548_14
.LBB548_9:
	s_cmp_lt_i32 s20, 1
	s_cbranch_scc0 .LBB548_21
.LBB548_10:
	s_endpgm
.LBB548_11:
	s_and_saveexec_b64 s[14:15], s[2:3]
	s_cbranch_execz .LBB548_13
; %bb.12:
	s_waitcnt lgkmcnt(0)
	s_mul_hi_i32 s9, s7, s6
	s_mul_i32 s8, s7, s6
	s_lshl_b64 s[8:9], s[8:9], 1
	s_add_u32 s8, s28, s8
	s_addc_u32 s9, s29, s9
	s_mov_b32 s16, 0x7060302
	s_and_b32 s9, s9, 0xffff
	s_mov_b32 s11, 0x20000
	s_waitcnt vmcnt(0)
	v_perm_b32 v2, v11, v10, s16
	v_perm_b32 v3, v13, v12, s16
	;; [unrolled: 1-line block ×4, first 2 shown]
	v_lshlrev_b32_e32 v15, 4, v0
	buffer_store_dwordx4 v[2:5], v15, s[8:11], 0 offen
	;;#ASMSTART
	s_nop 0
	;;#ASMEND
.LBB548_13:
	s_or_b64 exec, exec, s[14:15]
	s_cbranch_execnz .LBB548_9
.LBB548_14:
	s_waitcnt vmcnt(0)
	v_mov_b32_e32 v2, 0
	s_and_saveexec_b64 s[8:9], s[2:3]
	s_cbranch_execz .LBB548_16
; %bb.15:
	v_and_b32_e32 v2, 0x7fffffff, v10
	v_and_b32_e32 v3, 0x7fffffff, v11
	v_mov_b32_e32 v4, 0x2edbe6ff
	;;#ASMSTART
	v_max3_f32 v2, v4, v2, v3

	;;#ASMEND
	v_and_b32_e32 v3, 0x7fffffff, v12
	v_and_b32_e32 v4, 0x7fffffff, v13
	;;#ASMSTART
	v_max3_f32 v2, v2, v3, v4

	;;#ASMEND
	v_and_b32_e32 v3, 0x7fffffff, v8
	v_and_b32_e32 v4, 0x7fffffff, v9
	;; [unrolled: 6-line block ×3, first 2 shown]
	;;#ASMSTART
	v_max3_f32 v2, v2, v3, v4

	;;#ASMEND
.LBB548_16:
	s_or_b64 exec, exec, s[8:9]
	s_load_dwordx4 s[24:27], s[4:5], 0x70
	;;#ASMSTART
	v_max_f32 v3, v2, v2 quad_perm:[1,0,3,2] row_mask:0xf bank_mask:0xf bound_ctrl:1
	;;#ASMEND
	;;#ASMSTART
	v_max_f32 v4, v3, v3 quad_perm:[2,3,0,1] row_mask:0xf bank_mask:0xf bound_ctrl:1
	;;#ASMEND
	v_and_b32_e32 v3, 7, v0
	v_cmp_eq_u32_e32 vcc, 0, v3
	v_cmp_gt_i32_e64 s[8:9], s19, v1
	s_and_b64 s[10:11], vcc, s[8:9]
	;;#ASMSTART
	v_max_f32 v2, v4, v4 row_half_mirror row_mask:0xf bank_mask:0xf bound_ctrl:1
	;;#ASMEND
	s_and_saveexec_b64 s[8:9], s[10:11]
	s_cbranch_execz .LBB548_18
; %bb.17:
	s_load_dwordx2 s[10:11], s[4:5], 0x8
	v_mul_f32_e32 v2, 0x3e2aaaab, v2
	v_lshrrev_b32_e32 v3, 23, v2
	v_and_b32_e32 v4, 0x7f800000, v2
	v_and_b32_e32 v2, 0x7fffff, v2
	v_cmp_ne_u32_e32 vcc, 0, v2
	s_waitcnt lgkmcnt(0)
	s_mul_i32 s16, s25, s6
	s_mov_b32 s14, 0x7f800000
	v_addc_co_u32_e32 v2, vcc, 0, v3, vcc
	s_mul_hi_i32 s15, s25, s6
	s_add_u32 s10, s10, s16
	v_cmp_ne_u32_e32 vcc, s14, v4
	s_addc_u32 s11, s11, s15
	v_lshrrev_b32_e32 v5, 3, v0
	v_cndmask_b32_e32 v4, -1, v2, vcc
	v_pk_mov_b32 v[2:3], s[10:11], s[10:11] op_sel:[0,1]
	v_mad_i64_i32 v[2:3], s[10:11], s26, v5, v[2:3]
	global_store_byte v[2:3], v4, off
.LBB548_18:
	s_or_b64 exec, exec, s[8:9]
	s_and_saveexec_b64 s[8:9], s[2:3]
	s_cbranch_execz .LBB548_20
; %bb.19:
	s_load_dwordx2 s[2:3], s[4:5], 0x0
	s_waitcnt lgkmcnt(0)
	s_mul_i32 s11, s24, s6
	s_mul_hi_i32 s10, s24, s6
	v_lshlrev_b32_e32 v2, 2, v0
	s_mov_b32 s27, 0x20000
	s_add_u32 s24, s2, s11
	s_addc_u32 s2, s3, s10
	s_lshr_b32 s3, s19, 31
	s_add_i32 s3, s19, s3
	s_ashr_i32 s3, s3, 1
	s_add_i32 s3, s3, 3
	s_ashr_i32 s10, s3, 31
	s_lshr_b32 s10, s10, 30
	s_add_i32 s3, s3, s10
	s_and_b32 s26, s3, -4
	s_and_b32 s25, s2, 0xffff
	v_mov_b32_e32 v3, 0
	buffer_store_dword v3, v2, s[24:27], 0 offen
	;;#ASMSTART
	s_nop 0
	;;#ASMEND
.LBB548_20:
	s_or_b64 exec, exec, s[8:9]
	s_cmp_lt_i32 s20, 1
	s_cbranch_scc1 .LBB548_10
.LBB548_21:
	s_load_dword s2, s[4:5], 0x94
	s_waitcnt lgkmcnt(0)
	s_cmp_lg_u32 s2, 1
	s_cbranch_scc1 .LBB548_10
; %bb.22:
	s_lshl_b32 s2, s20, 1
	s_add_i32 s2, s2, 2
	v_cmp_gt_u32_e32 vcc, s20, v1
	s_and_b32 s14, s2, -4
	v_mov_b32_e32 v6, 0
	v_lshlrev_b32_e32 v1, 4, v0
	v_mov_b32_e32 v7, 0
	v_mov_b32_e32 v8, 0
	v_mov_b32_e32 v9, 0
	s_waitcnt vmcnt(0)
	v_mov_b32_e32 v2, 0
	v_mov_b32_e32 v3, 0
	;; [unrolled: 1-line block ×4, first 2 shown]
	s_barrier
	s_and_saveexec_b64 s[2:3], vcc
	s_cbranch_execz .LBB548_24
; %bb.23:
	s_mul_hi_i32 s5, s22, s6
	s_mul_i32 s4, s22, s6
	s_and_b32 s13, s13, 0xffff
	s_lshl_b64 s[4:5], s[4:5], 1
	s_add_u32 s8, s30, s4
	s_mov_b32 s15, 0x20000
	s_addc_u32 s4, s31, s5
	s_and_b32 s9, s4, 0xffff
	s_mov_b32 s10, s14
	s_mov_b32 s11, s15
	buffer_load_dwordx4 v[6:9], v1, s[8:11], 0 offen glc slc
	buffer_load_dwordx4 v[2:5], v1, s[12:15], 0 offen
.LBB548_24:
	s_or_b64 exec, exec, s[2:3]
	s_waitcnt vmcnt(1)
	v_cvt_f32_u32_sdwa v13, v6 dst_sel:DWORD dst_unused:UNUSED_PAD src0_sel:WORD_1
	v_cvt_f32_u32_sdwa v12, v6 dst_sel:DWORD dst_unused:UNUSED_PAD src0_sel:WORD_0
	v_cvt_f32_u32_sdwa v6, v9 dst_sel:DWORD dst_unused:UNUSED_PAD src0_sel:WORD_1
	v_cvt_f32_u32_sdwa v9, v9 dst_sel:DWORD dst_unused:UNUSED_PAD src0_sel:WORD_0
	;; [unrolled: 2-line block ×4, first 2 shown]
	v_cndmask_b32_e32 v13, 0, v13, vcc
	v_cndmask_b32_e32 v7, 0, v6, vcc
	;; [unrolled: 1-line block ×5, first 2 shown]
	v_mul_f32_e32 v15, v13, v13
	v_cndmask_b32_e32 v10, 0, v10, vcc
	v_fmac_f32_e32 v15, v12, v12
	v_cndmask_b32_e32 v11, 0, v11, vcc
	v_fmac_f32_e32 v15, v10, v10
	;; [unrolled: 2-line block ×3, first 2 shown]
	v_fmac_f32_e32 v15, v8, v8
	v_fmac_f32_e32 v15, v9, v9
	;; [unrolled: 1-line block ×4, first 2 shown]
	s_nop 1
	v_mov_b32_dpp v16, v15 quad_perm:[1,0,3,2] row_mask:0xf bank_mask:0xf
	v_add_f32_e32 v15, v15, v16
	s_nop 1
	v_mov_b32_dpp v16, v15 quad_perm:[2,3,0,1] row_mask:0xf bank_mask:0xf
	v_add_f32_e32 v15, v15, v16
	s_nop 1
	v_mov_b32_dpp v16, v15 row_half_mirror row_mask:0xf bank_mask:0xf
	v_add_f32_e32 v15, v15, v16
	s_nop 1
	v_mov_b32_dpp v16, v15 row_mirror row_mask:0xf bank_mask:0xf
	v_add_f32_e32 v15, v15, v16
	s_nop 1
	v_mov_b32_dpp v16, v15 row_bcast:15 row_mask:0xf bank_mask:0xf
	v_add_f32_e32 v15, v15, v16
	s_nop 1
	v_mov_b32_dpp v16, v15 row_bcast:31 row_mask:0xf bank_mask:0xf
	s_and_saveexec_b64 s[2:3], s[0:1]
	s_cbranch_execz .LBB548_26
; %bb.25:
	v_lshrrev_b32_e32 v0, 4, v0
	v_add_f32_e32 v15, v15, v16
	v_and_b32_e32 v0, 60, v0
	ds_write_b32 v0, v15
.LBB548_26:
	s_or_b64 exec, exec, s[2:3]
	s_waitcnt lgkmcnt(0)
	s_barrier
	ds_read_b32 v0, v14
	s_waitcnt lgkmcnt(0)
	s_nop 0
	v_mov_b32_dpp v14, v0 quad_perm:[1,0,3,2] row_mask:0xf bank_mask:0xf
	v_add_f32_e32 v0, v0, v14
	s_nop 1
	v_mov_b32_dpp v14, v0 quad_perm:[2,3,0,1] row_mask:0xf bank_mask:0xf
	s_and_saveexec_b64 s[0:1], vcc
	s_cbranch_execz .LBB548_10
; %bb.27:
	v_cvt_f32_u32_e32 v15, s20
	v_add_f32_e32 v0, v0, v14
	s_mov_b32 s15, 0x20000
	v_div_scale_f32 v14, s[0:1], v15, v15, v0
	v_rcp_f32_e32 v16, v14
	v_div_scale_f32 v17, vcc, v0, v15, v0
	s_mov_b32 s0, 0x800000
	v_fma_f32 v18, -v14, v16, 1.0
	v_fmac_f32_e32 v16, v18, v16
	v_mul_f32_e32 v18, v17, v16
	v_fma_f32 v19, -v14, v18, v17
	v_fmac_f32_e32 v18, v19, v16
	v_fma_f32 v14, -v14, v18, v17
	v_div_fmas_f32 v14, v14, v16, v18
	v_div_fixup_f32 v0, v14, v15, v0
	v_add_f32_e32 v0, s17, v0
	v_mul_f32_e32 v14, 0x4b800000, v0
	v_cmp_gt_f32_e32 vcc, s0, v0
	v_cndmask_b32_e32 v0, v0, v14, vcc
	v_rsq_f32_e32 v0, v0
	s_waitcnt vmcnt(0)
	v_cvt_f32_u32_sdwa v17, v2 dst_sel:DWORD dst_unused:UNUSED_PAD src0_sel:WORD_1
	v_cvt_f32_u32_sdwa v16, v2 dst_sel:DWORD dst_unused:UNUSED_PAD src0_sel:WORD_0
	v_cvt_f32_u32_sdwa v19, v3 dst_sel:DWORD dst_unused:UNUSED_PAD src0_sel:WORD_1
	v_mul_f32_e32 v14, 0x45800000, v0
	v_cndmask_b32_e32 v14, v0, v14, vcc
	v_mov_b32_e32 v15, v14
	;;#ASMSTART
	v_pk_mul_f32 v[12:13], v[12:13], v[14:15]
	;;#ASMEND
	;;#ASMSTART
	v_pk_mul_f32 v[10:11], v[10:11], v[14:15]
	;;#ASMEND
	;; [unrolled: 3-line block ×3, first 2 shown]
	v_cvt_f32_u32_sdwa v18, v3 dst_sel:DWORD dst_unused:UNUSED_PAD src0_sel:WORD_0
	;;#ASMSTART
	v_pk_mul_f32 v[2:3], v[6:7], v[14:15]
	;;#ASMEND
	v_cvt_f32_u32_sdwa v15, v4 dst_sel:DWORD dst_unused:UNUSED_PAD src0_sel:WORD_1
	v_cvt_f32_u32_sdwa v14, v4 dst_sel:DWORD dst_unused:UNUSED_PAD src0_sel:WORD_0
	v_pk_add_f32 v[6:7], v[16:17], 1.0 op_sel_hi:[1,0]
	v_cvt_f32_u32_sdwa v17, v5 dst_sel:DWORD dst_unused:UNUSED_PAD src0_sel:WORD_1
	v_cvt_f32_u32_sdwa v16, v5 dst_sel:DWORD dst_unused:UNUSED_PAD src0_sel:WORD_0
	s_mul_hi_i32 s1, s7, s6
	s_mul_i32 s0, s7, s6
	s_lshl_b64 s[0:1], s[0:1], 1
	s_add_u32 s12, s28, s0
	;;#ASMSTART
	v_pk_mul_f32 v[6:7], v[12:13], v[6:7]
	;;#ASMEND
	v_pk_add_f32 v[12:13], v[18:19], 1.0 op_sel_hi:[1,0]
	;;#ASMSTART
	v_pk_mul_f32 v[4:5], v[10:11], v[12:13]
	;;#ASMEND
	v_pk_add_f32 v[10:11], v[14:15], 1.0 op_sel_hi:[1,0]
	s_addc_u32 s0, s29, s1
	;;#ASMSTART
	v_pk_mul_f32 v[8:9], v[8:9], v[10:11]
	;;#ASMEND
	v_pk_add_f32 v[10:11], v[16:17], 1.0 op_sel_hi:[1,0]
	s_and_b32 s13, s0, 0xffff
	s_mov_b32 s0, 0x7060302
	;;#ASMSTART
	v_pk_mul_f32 v[10:11], v[2:3], v[10:11]
	;;#ASMEND
	v_perm_b32 v2, v7, v6, s0
	v_perm_b32 v3, v5, v4, s0
	;; [unrolled: 1-line block ×4, first 2 shown]
	buffer_store_dwordx4 v[2:5], v1, s[12:15], 0 offen
	;;#ASMSTART
	s_nop 0
	;;#ASMEND
	s_endpgm
	.section	.rodata,"a",@progbits
	.p2align	6, 0x0
	.amdhsa_kernel _ZN5aiter35fused_qk_rmsnorm_group_quant_kernelItN4opus5fp4_tELi256ELi8ELi8ELb0ELb0ELb1ELb0ELb0ELb0EEEvPT0_PvPT_S7_S7_PKS6_S9_S9_S9_S9_ffiiiiiiiiiiiii
		.amdhsa_group_segment_fixed_size 32
		.amdhsa_private_segment_fixed_size 0
		.amdhsa_kernarg_size 400
		.amdhsa_user_sgpr_count 6
		.amdhsa_user_sgpr_private_segment_buffer 1
		.amdhsa_user_sgpr_dispatch_ptr 0
		.amdhsa_user_sgpr_queue_ptr 0
		.amdhsa_user_sgpr_kernarg_segment_ptr 1
		.amdhsa_user_sgpr_dispatch_id 0
		.amdhsa_user_sgpr_flat_scratch_init 0
		.amdhsa_user_sgpr_kernarg_preload_length 0
		.amdhsa_user_sgpr_kernarg_preload_offset 0
		.amdhsa_user_sgpr_private_segment_size 0
		.amdhsa_uses_dynamic_stack 0
		.amdhsa_system_sgpr_private_segment_wavefront_offset 0
		.amdhsa_system_sgpr_workgroup_id_x 1
		.amdhsa_system_sgpr_workgroup_id_y 1
		.amdhsa_system_sgpr_workgroup_id_z 0
		.amdhsa_system_sgpr_workgroup_info 0
		.amdhsa_system_vgpr_workitem_id 0
		.amdhsa_next_free_vgpr 23
		.amdhsa_next_free_sgpr 32
		.amdhsa_accum_offset 24
		.amdhsa_reserve_vcc 1
		.amdhsa_reserve_flat_scratch 0
		.amdhsa_float_round_mode_32 0
		.amdhsa_float_round_mode_16_64 0
		.amdhsa_float_denorm_mode_32 3
		.amdhsa_float_denorm_mode_16_64 3
		.amdhsa_dx10_clamp 1
		.amdhsa_ieee_mode 1
		.amdhsa_fp16_overflow 0
		.amdhsa_tg_split 0
		.amdhsa_exception_fp_ieee_invalid_op 0
		.amdhsa_exception_fp_denorm_src 0
		.amdhsa_exception_fp_ieee_div_zero 0
		.amdhsa_exception_fp_ieee_overflow 0
		.amdhsa_exception_fp_ieee_underflow 0
		.amdhsa_exception_fp_ieee_inexact 0
		.amdhsa_exception_int_div_zero 0
	.end_amdhsa_kernel
	.section	.text._ZN5aiter35fused_qk_rmsnorm_group_quant_kernelItN4opus5fp4_tELi256ELi8ELi8ELb0ELb0ELb1ELb0ELb0ELb0EEEvPT0_PvPT_S7_S7_PKS6_S9_S9_S9_S9_ffiiiiiiiiiiiii,"axG",@progbits,_ZN5aiter35fused_qk_rmsnorm_group_quant_kernelItN4opus5fp4_tELi256ELi8ELi8ELb0ELb0ELb1ELb0ELb0ELb0EEEvPT0_PvPT_S7_S7_PKS6_S9_S9_S9_S9_ffiiiiiiiiiiiii,comdat
.Lfunc_end548:
	.size	_ZN5aiter35fused_qk_rmsnorm_group_quant_kernelItN4opus5fp4_tELi256ELi8ELi8ELb0ELb0ELb1ELb0ELb0ELb0EEEvPT0_PvPT_S7_S7_PKS6_S9_S9_S9_S9_ffiiiiiiiiiiiii, .Lfunc_end548-_ZN5aiter35fused_qk_rmsnorm_group_quant_kernelItN4opus5fp4_tELi256ELi8ELi8ELb0ELb0ELb1ELb0ELb0ELb0EEEvPT0_PvPT_S7_S7_PKS6_S9_S9_S9_S9_ffiiiiiiiiiiiii
                                        ; -- End function
	.section	.AMDGPU.csdata,"",@progbits
; Kernel info:
; codeLenInByte = 2376
; NumSgprs: 36
; NumVgprs: 23
; NumAgprs: 0
; TotalNumVgprs: 23
; ScratchSize: 0
; MemoryBound: 0
; FloatMode: 240
; IeeeMode: 1
; LDSByteSize: 32 bytes/workgroup (compile time only)
; SGPRBlocks: 4
; VGPRBlocks: 2
; NumSGPRsForWavesPerEU: 36
; NumVGPRsForWavesPerEU: 23
; AccumOffset: 24
; Occupancy: 8
; WaveLimiterHint : 0
; COMPUTE_PGM_RSRC2:SCRATCH_EN: 0
; COMPUTE_PGM_RSRC2:USER_SGPR: 6
; COMPUTE_PGM_RSRC2:TRAP_HANDLER: 0
; COMPUTE_PGM_RSRC2:TGID_X_EN: 1
; COMPUTE_PGM_RSRC2:TGID_Y_EN: 1
; COMPUTE_PGM_RSRC2:TGID_Z_EN: 0
; COMPUTE_PGM_RSRC2:TIDIG_COMP_CNT: 0
; COMPUTE_PGM_RSRC3_GFX90A:ACCUM_OFFSET: 5
; COMPUTE_PGM_RSRC3_GFX90A:TG_SPLIT: 0
	.section	.text._ZN5aiter35fused_qk_rmsnorm_group_quant_kernelIDF16_DB8_Li256ELi8ELi8ELb0ELb0ELb0ELb0ELb0ELb0EEEvPT0_PvPT_S6_S6_PKS5_S8_S8_S8_S8_ffiiiiiiiiiiiii,"axG",@progbits,_ZN5aiter35fused_qk_rmsnorm_group_quant_kernelIDF16_DB8_Li256ELi8ELi8ELb0ELb0ELb0ELb0ELb0ELb0EEEvPT0_PvPT_S6_S6_PKS5_S8_S8_S8_S8_ffiiiiiiiiiiiii,comdat
	.protected	_ZN5aiter35fused_qk_rmsnorm_group_quant_kernelIDF16_DB8_Li256ELi8ELi8ELb0ELb0ELb0ELb0ELb0ELb0EEEvPT0_PvPT_S6_S6_PKS5_S8_S8_S8_S8_ffiiiiiiiiiiiii ; -- Begin function _ZN5aiter35fused_qk_rmsnorm_group_quant_kernelIDF16_DB8_Li256ELi8ELi8ELb0ELb0ELb0ELb0ELb0ELb0EEEvPT0_PvPT_S6_S6_PKS5_S8_S8_S8_S8_ffiiiiiiiiiiiii
	.globl	_ZN5aiter35fused_qk_rmsnorm_group_quant_kernelIDF16_DB8_Li256ELi8ELi8ELb0ELb0ELb0ELb0ELb0ELb0EEEvPT0_PvPT_S6_S6_PKS5_S8_S8_S8_S8_ffiiiiiiiiiiiii
	.p2align	8
	.type	_ZN5aiter35fused_qk_rmsnorm_group_quant_kernelIDF16_DB8_Li256ELi8ELi8ELb0ELb0ELb0ELb0ELb0ELb0EEEvPT0_PvPT_S6_S6_PKS5_S8_S8_S8_S8_ffiiiiiiiiiiiii,@function
_ZN5aiter35fused_qk_rmsnorm_group_quant_kernelIDF16_DB8_Li256ELi8ELi8ELb0ELb0ELb0ELb0ELb0ELb0EEEvPT0_PvPT_S6_S6_PKS5_S8_S8_S8_S8_ffiiiiiiiiiiiii: ; @_ZN5aiter35fused_qk_rmsnorm_group_quant_kernelIDF16_DB8_Li256ELi8ELi8ELb0ELb0ELb0ELb0ELb0ELb0EEEvPT0_PvPT_S6_S6_PKS5_S8_S8_S8_S8_ffiiiiiiiiiiiii
; %bb.0:
	s_load_dwordx4 s[16:19], s[4:5], 0x50
	s_waitcnt lgkmcnt(0)
	s_cmp_ge_i32 s6, s18
	s_cbranch_scc1 .LBB549_12
; %bb.1:
	s_load_dwordx2 s[12:13], s[4:5], 0x48
	s_load_dwordx2 s[30:31], s[4:5], 0x30
	s_load_dwordx4 s[20:23], s[4:5], 0x60
	s_cmp_lg_u32 s7, 0
	s_cselect_b64 s[14:15], -1, 0
	s_cmp_eq_u32 s7, 0
	s_cselect_b64 vcc, -1, 0
	s_and_b64 s[0:1], vcc, exec
	s_waitcnt lgkmcnt(0)
	s_cselect_b32 s7, s19, s20
	s_add_i32 s0, s7, 1
	s_lshr_b32 s1, s0, 31
	s_add_i32 s0, s0, s1
	s_lshl_b32 s0, s0, 1
	v_lshlrev_b32_e32 v1, 3, v0
	s_and_b32 s10, s0, -4
	v_cmp_gt_i32_e64 s[2:3], s7, v1
	v_mov_b32_e32 v10, 0
	v_mov_b32_e32 v2, 0
	;; [unrolled: 1-line block ×9, first 2 shown]
	s_and_saveexec_b64 s[0:1], s[2:3]
	s_cbranch_execz .LBB549_3
; %bb.2:
	s_load_dwordx2 s[8:9], s[4:5], 0x28
	s_load_dwordx2 s[26:27], s[4:5], 0x40
	s_and_b64 s[24:25], vcc, exec
	s_cselect_b32 s11, s21, s22
	v_lshlrev_b32_e32 v11, 4, v0
	s_waitcnt lgkmcnt(0)
	s_cselect_b32 s18, s9, s31
	s_cselect_b32 s21, s8, s30
	s_mul_hi_i32 s9, s11, s6
	s_mul_i32 s8, s11, s6
	s_lshl_b64 s[8:9], s[8:9], 1
	s_add_u32 s24, s21, s8
	s_addc_u32 s18, s18, s9
	s_and_b64 s[8:9], vcc, exec
	s_mov_b32 s11, 0x20000
	s_cselect_b32 s8, s26, s12
	s_cselect_b32 s9, s27, s13
	s_and_b32 s25, s18, 0xffff
	s_mov_b32 s26, s10
	s_mov_b32 s27, s11
	s_and_b32 s9, s9, 0xffff
	buffer_load_dwordx4 v[6:9], v11, s[24:27], 0 offen glc slc
	buffer_load_dwordx4 v[2:5], v11, s[8:11], 0 offen
.LBB549_3:
	s_or_b64 exec, exec, s[0:1]
	v_mov_b32_e32 v11, 0
	v_mov_b32_e32 v16, 0
	v_mov_b32_e32 v17, 0
	v_mov_b32_e32 v14, 0
	v_mov_b32_e32 v15, 0
	v_mov_b32_e32 v12, 0
	v_mov_b32_e32 v13, 0
	s_and_saveexec_b64 s[0:1], s[2:3]
	s_cbranch_execz .LBB549_5
; %bb.4:
	s_waitcnt vmcnt(1)
	v_cvt_f32_f16_sdwa v11, v6 dst_sel:DWORD dst_unused:UNUSED_PAD src0_sel:WORD_1
	v_cvt_f32_f16_e32 v10, v6
	v_cvt_f32_f16_sdwa v17, v7 dst_sel:DWORD dst_unused:UNUSED_PAD src0_sel:WORD_1
	v_cvt_f32_f16_e32 v16, v7
	;; [unrolled: 2-line block ×4, first 2 shown]
.LBB549_5:
	s_or_b64 exec, exec, s[0:1]
	s_waitcnt vmcnt(1)
	v_mul_f32_e32 v6, v11, v11
	v_fmac_f32_e32 v6, v10, v10
	v_fmac_f32_e32 v6, v16, v16
	;; [unrolled: 1-line block ×7, first 2 shown]
	v_and_b32_e32 v8, 63, v0
	v_cmp_eq_u32_e64 s[0:1], 63, v8
	v_mov_b32_dpp v7, v6 quad_perm:[1,0,3,2] row_mask:0xf bank_mask:0xf
	v_add_f32_e32 v6, v6, v7
	s_nop 1
	v_mov_b32_dpp v7, v6 quad_perm:[2,3,0,1] row_mask:0xf bank_mask:0xf
	v_add_f32_e32 v6, v6, v7
	s_nop 1
	v_mov_b32_dpp v7, v6 row_half_mirror row_mask:0xf bank_mask:0xf
	v_add_f32_e32 v6, v6, v7
	s_nop 1
	v_mov_b32_dpp v7, v6 row_mirror row_mask:0xf bank_mask:0xf
	v_add_f32_e32 v6, v6, v7
	s_nop 1
	v_mov_b32_dpp v7, v6 row_bcast:15 row_mask:0xf bank_mask:0xf
	v_add_f32_e32 v6, v6, v7
	s_nop 1
	v_mov_b32_dpp v7, v6 row_bcast:31 row_mask:0xf bank_mask:0xf
	s_and_saveexec_b64 s[8:9], s[0:1]
	s_cbranch_execz .LBB549_7
; %bb.6:
	v_add_f32_e32 v6, v6, v7
	v_lshrrev_b32_e32 v7, 4, v0
	v_and_b32_e32 v7, 60, v7
	ds_write_b32 v7, v6 offset:16
.LBB549_7:
	s_or_b64 exec, exec, s[8:9]
	v_and_b32_e32 v6, 3, v0
	v_lshlrev_b32_e32 v18, 2, v6
	s_waitcnt lgkmcnt(0)
	s_barrier
	ds_read_b32 v6, v18 offset:16
	s_load_dwordx2 s[28:29], s[4:5], 0x18
	s_waitcnt lgkmcnt(0)
	v_mov_b32_dpp v7, v6 quad_perm:[1,0,3,2] row_mask:0xf bank_mask:0xf
	v_add_f32_e32 v6, v6, v7
	s_nop 1
	v_mov_b32_dpp v7, v6 quad_perm:[2,3,0,1] row_mask:0xf bank_mask:0xf
	s_and_saveexec_b64 s[8:9], s[2:3]
	s_cbranch_execz .LBB549_9
; %bb.8:
	v_cvt_f32_u32_e32 v8, s7
	v_add_f32_e32 v6, v6, v7
	v_mov_b32_e32 v19, s17
	v_mov_b32_e32 v20, s16
	v_div_scale_f32 v7, s[24:25], v8, v8, v6
	v_rcp_f32_e32 v9, v7
	v_cndmask_b32_e32 v19, v19, v20, vcc
	s_mov_b32 s7, 0x800000
	v_fma_f32 v20, -v7, v9, 1.0
	v_fmac_f32_e32 v9, v20, v9
	v_div_scale_f32 v20, vcc, v6, v8, v6
	v_mul_f32_e32 v21, v20, v9
	v_fma_f32 v22, -v7, v21, v20
	v_fmac_f32_e32 v21, v22, v9
	v_fma_f32 v7, -v7, v21, v20
	v_div_fmas_f32 v7, v7, v9, v21
	v_div_fixup_f32 v6, v7, v8, v6
	v_add_f32_e32 v6, v19, v6
	v_mul_f32_e32 v7, 0x4b800000, v6
	v_cmp_gt_f32_e32 vcc, s7, v6
	v_cndmask_b32_e32 v6, v6, v7, vcc
	v_rsq_f32_e32 v6, v6
	s_waitcnt vmcnt(0)
	v_cvt_f32_f16_sdwa v21, v5 dst_sel:DWORD dst_unused:UNUSED_PAD src0_sel:WORD_1
	v_cvt_f32_f16_e32 v20, v5
	v_mul_f32_e32 v7, 0x45800000, v6
	v_cndmask_b32_e32 v6, v6, v7, vcc
	v_mov_b32_e32 v7, v6
	;;#ASMSTART
	v_pk_mul_f32 v[8:9], v[10:11], v[6:7]
	;;#ASMEND
	;;#ASMSTART
	v_pk_mul_f32 v[16:17], v[16:17], v[6:7]
	;;#ASMEND
	;; [unrolled: 3-line block ×4, first 2 shown]
	v_cvt_f32_f16_sdwa v11, v2 dst_sel:DWORD dst_unused:UNUSED_PAD src0_sel:WORD_1
	v_cvt_f32_f16_e32 v10, v2
	v_cvt_f32_f16_sdwa v13, v3 dst_sel:DWORD dst_unused:UNUSED_PAD src0_sel:WORD_1
	v_cvt_f32_f16_e32 v12, v3
	;; [unrolled: 2-line block ×3, first 2 shown]
	;;#ASMSTART
	v_pk_mul_f32 v[10:11], v[8:9], v[10:11]
	;;#ASMEND
	;;#ASMSTART
	v_pk_mul_f32 v[16:17], v[16:17], v[12:13]
	;;#ASMEND
	;; [unrolled: 3-line block ×4, first 2 shown]
.LBB549_9:
	s_or_b64 exec, exec, s[8:9]
	s_load_dword s7, s[4:5], 0x80
	s_mov_b64 s[8:9], -1
	s_and_b64 vcc, exec, s[14:15]
	s_cbranch_vccnz .LBB549_13
; %bb.10:
	s_andn2_b64 vcc, exec, s[8:9]
	s_cbranch_vccz .LBB549_16
.LBB549_11:
	s_cmp_lt_i32 s20, 1
	s_cbranch_scc0 .LBB549_23
.LBB549_12:
	s_endpgm
.LBB549_13:
	s_and_saveexec_b64 s[14:15], s[2:3]
	s_cbranch_execz .LBB549_15
; %bb.14:
	s_waitcnt lgkmcnt(0)
	s_mul_hi_i32 s9, s7, s6
	s_mul_i32 s8, s7, s6
	s_waitcnt vmcnt(0)
	v_cvt_f16_f32_e32 v2, v10
	v_cvt_f16_f32_e32 v3, v16
	;; [unrolled: 1-line block ×8, first 2 shown]
	s_lshl_b64 s[8:9], s[8:9], 1
	s_add_u32 s8, s28, s8
	s_addc_u32 s9, s29, s9
	s_and_b32 s9, s9, 0xffff
	s_mov_b32 s11, 0x20000
	v_pack_b32_f16 v5, v5, v6
	v_pack_b32_f16 v4, v4, v7
	;; [unrolled: 1-line block ×4, first 2 shown]
	v_lshlrev_b32_e32 v6, 4, v0
	buffer_store_dwordx4 v[2:5], v6, s[8:11], 0 offen
	;;#ASMSTART
	s_nop 0
	;;#ASMEND
.LBB549_15:
	s_or_b64 exec, exec, s[14:15]
	s_cbranch_execnz .LBB549_11
.LBB549_16:
	s_waitcnt vmcnt(0)
	v_mov_b32_e32 v2, 0
	s_and_saveexec_b64 s[8:9], s[2:3]
	s_cbranch_execz .LBB549_18
; %bb.17:
	v_and_b32_e32 v2, 0x7fffffff, v10
	v_and_b32_e32 v3, 0x7fffffff, v11
	v_mov_b32_e32 v4, 0x2edbe6ff
	;;#ASMSTART
	v_max3_f32 v2, v4, v2, v3

	;;#ASMEND
	v_and_b32_e32 v3, 0x7fffffff, v16
	v_and_b32_e32 v4, 0x7fffffff, v17
	;;#ASMSTART
	v_max3_f32 v2, v2, v3, v4

	;;#ASMEND
	v_and_b32_e32 v3, 0x7fffffff, v14
	v_and_b32_e32 v4, 0x7fffffff, v15
	;; [unrolled: 6-line block ×3, first 2 shown]
	;;#ASMSTART
	v_max3_f32 v2, v2, v3, v4

	;;#ASMEND
.LBB549_18:
	s_or_b64 exec, exec, s[8:9]
	s_load_dwordx4 s[24:27], s[4:5], 0x70
	;;#ASMSTART
	v_max_f32 v3, v2, v2 quad_perm:[1,0,3,2] row_mask:0xf bank_mask:0xf bound_ctrl:1
	;;#ASMEND
	;;#ASMSTART
	v_max_f32 v2, v3, v3 quad_perm:[2,3,0,1] row_mask:0xf bank_mask:0xf bound_ctrl:1
	;;#ASMEND
	;;#ASMSTART
	v_max_f32 v3, v2, v2 row_half_mirror row_mask:0xf bank_mask:0xf bound_ctrl:1
	;;#ASMEND
	v_mul_f32_e32 v2, 0x3b124925, v3
	v_and_b32_e32 v3, 7, v0
	v_cmp_eq_u32_e32 vcc, 0, v3
	v_cmp_gt_i32_e64 s[8:9], s19, v1
	s_and_b64 s[10:11], vcc, s[8:9]
	s_and_saveexec_b64 s[8:9], s[10:11]
	s_cbranch_execz .LBB549_20
; %bb.19:
	s_load_dwordx2 s[10:11], s[4:5], 0x8
	s_waitcnt lgkmcnt(0)
	s_mul_hi_i32 s15, s25, s6
	s_mul_i32 s14, s25, s6
	v_lshrrev_b32_e32 v3, 3, v0
	s_lshl_b64 s[14:15], s[14:15], 2
	v_mad_i64_i32 v[4:5], s[26:27], s26, v3, 0
	s_add_u32 s10, s10, s14
	s_addc_u32 s11, s11, s15
	v_lshlrev_b64 v[4:5], 2, v[4:5]
	v_mov_b32_e32 v3, s11
	v_add_co_u32_e32 v4, vcc, s10, v4
	v_addc_co_u32_e32 v5, vcc, v3, v5, vcc
	global_store_dword v[4:5], v2, off
.LBB549_20:
	s_or_b64 exec, exec, s[8:9]
	;;#ASMSTART
	v_rcp_f32 v2, v2
	;;#ASMEND
	s_and_saveexec_b64 s[14:15], s[2:3]
	s_cbranch_execz .LBB549_22
; %bb.21:
	s_load_dwordx2 s[2:3], s[4:5], 0x0
	s_waitcnt lgkmcnt(0)
	s_mul_i32 s8, s24, s6
	s_mul_hi_i32 s9, s24, s6
	v_mov_b32_e32 v3, v2
	;;#ASMSTART
	v_pk_mul_f32 v[4:5], v[10:11], v[2:3]
	;;#ASMEND
	s_add_u32 s8, s2, s8
	s_addc_u32 s2, s3, s9
	s_add_i32 s3, s19, 3
	s_ashr_i32 s9, s3, 31
	v_mov_b32_e32 v8, 0xc3e00000
	v_mov_b32_e32 v9, 0x43e00000
	;;#ASMSTART
	v_med3_f32 v4, v4, v8, v9
v_med3_f32 v5, v5, v8, v9
v_cvt_pk_fp8_f32 v6, v4, v5
	;;#ASMEND
	s_lshr_b32 s9, s9, 30
	;;#ASMSTART
	v_pk_mul_f32 v[4:5], v[16:17], v[2:3]
	;;#ASMEND
	s_add_i32 s3, s3, s9
	s_and_b32 s9, s2, 0xffff
	;;#ASMSTART
	v_med3_f32 v4, v4, v8, v9
v_med3_f32 v5, v5, v8, v9
v_cvt_pk_fp8_f32 v7, v4, v5
	;;#ASMEND
	s_mov_b32 s2, 0x5040100
	v_perm_b32 v5, v7, v6, s2
	s_movk_i32 s2, 0xff
	v_and_b32_e32 v4, 0xffffff00, v7
	v_and_b32_sdwa v6, v5, s2 dst_sel:DWORD dst_unused:UNUSED_PAD src0_sel:WORD_1 src1_sel:DWORD
	s_mov_b32 s16, 0xffff
	v_or_b32_sdwa v4, v6, v4 dst_sel:WORD_1 dst_unused:UNUSED_PAD src0_sel:DWORD src1_sel:DWORD
	v_and_or_b32 v4, v5, s16, v4
	;;#ASMSTART
	v_pk_mul_f32 v[6:7], v[14:15], v[2:3]
	;;#ASMEND
	v_mov_b32_e32 v5, v7
	;;#ASMSTART
	v_med3_f32 v6, v6, v8, v9
v_med3_f32 v5, v5, v8, v9
v_cvt_pk_fp8_f32 v7, v6, v5
	;;#ASMEND
	;;#ASMSTART
	v_pk_mul_f32 v[2:3], v[12:13], v[2:3]
	;;#ASMEND
	;;#ASMSTART
	v_med3_f32 v2, v2, v8, v9
v_med3_f32 v3, v3, v8, v9
v_cvt_pk_fp8_f32 v5, v2, v3
	;;#ASMEND
	v_lshlrev_b32_e32 v2, 16, v5
	s_and_b32 s10, s3, -4
	s_mov_b32 s11, 0x20000
	v_and_or_b32 v5, v7, s16, v2
	buffer_store_dwordx2 v[4:5], v1, s[8:11], 0 offen
	;;#ASMSTART
	s_nop 0
	;;#ASMEND
.LBB549_22:
	s_or_b64 exec, exec, s[14:15]
	s_cmp_lt_i32 s20, 1
	s_cbranch_scc1 .LBB549_12
.LBB549_23:
	s_load_dword s2, s[4:5], 0x94
	s_waitcnt lgkmcnt(0)
	s_cmp_lg_u32 s2, 1
	s_cbranch_scc1 .LBB549_12
; %bb.24:
	s_lshl_b32 s2, s20, 1
	s_add_i32 s2, s2, 2
	v_cmp_gt_u32_e32 vcc, s20, v1
	s_and_b32 s14, s2, -4
	v_mov_b32_e32 v10, 0
	v_lshlrev_b32_e32 v1, 4, v0
	v_mov_b32_e32 v6, 0
	v_mov_b32_e32 v7, 0
	v_mov_b32_e32 v8, 0
	v_mov_b32_e32 v9, 0
	s_waitcnt vmcnt(0)
	v_mov_b32_e32 v2, 0
	v_mov_b32_e32 v3, 0
	;; [unrolled: 1-line block ×4, first 2 shown]
	s_barrier
	s_and_saveexec_b64 s[2:3], vcc
	s_cbranch_execz .LBB549_26
; %bb.25:
	s_mul_hi_i32 s5, s22, s6
	s_mul_i32 s4, s22, s6
	s_and_b32 s13, s13, 0xffff
	s_lshl_b64 s[4:5], s[4:5], 1
	s_add_u32 s8, s30, s4
	s_mov_b32 s15, 0x20000
	s_addc_u32 s4, s31, s5
	s_and_b32 s9, s4, 0xffff
	s_mov_b32 s10, s14
	s_mov_b32 s11, s15
	buffer_load_dwordx4 v[6:9], v1, s[8:11], 0 offen glc slc
	buffer_load_dwordx4 v[2:5], v1, s[12:15], 0 offen
.LBB549_26:
	s_or_b64 exec, exec, s[2:3]
	v_mov_b32_e32 v11, 0
	v_mov_b32_e32 v16, 0
	;; [unrolled: 1-line block ×7, first 2 shown]
	s_and_saveexec_b64 s[2:3], vcc
	s_cbranch_execz .LBB549_28
; %bb.27:
	s_waitcnt vmcnt(1)
	v_cvt_f32_f16_sdwa v11, v6 dst_sel:DWORD dst_unused:UNUSED_PAD src0_sel:WORD_1
	v_cvt_f32_f16_e32 v10, v6
	v_cvt_f32_f16_sdwa v17, v7 dst_sel:DWORD dst_unused:UNUSED_PAD src0_sel:WORD_1
	v_cvt_f32_f16_e32 v16, v7
	;; [unrolled: 2-line block ×4, first 2 shown]
.LBB549_28:
	s_or_b64 exec, exec, s[2:3]
	s_waitcnt vmcnt(1)
	v_mul_f32_e32 v6, v11, v11
	v_fmac_f32_e32 v6, v10, v10
	v_fmac_f32_e32 v6, v16, v16
	;; [unrolled: 1-line block ×7, first 2 shown]
	s_nop 1
	v_mov_b32_dpp v7, v6 quad_perm:[1,0,3,2] row_mask:0xf bank_mask:0xf
	v_add_f32_e32 v6, v6, v7
	s_nop 1
	v_mov_b32_dpp v7, v6 quad_perm:[2,3,0,1] row_mask:0xf bank_mask:0xf
	v_add_f32_e32 v6, v6, v7
	s_nop 1
	v_mov_b32_dpp v7, v6 row_half_mirror row_mask:0xf bank_mask:0xf
	v_add_f32_e32 v6, v6, v7
	s_nop 1
	v_mov_b32_dpp v7, v6 row_mirror row_mask:0xf bank_mask:0xf
	v_add_f32_e32 v6, v6, v7
	s_nop 1
	v_mov_b32_dpp v7, v6 row_bcast:15 row_mask:0xf bank_mask:0xf
	v_add_f32_e32 v6, v6, v7
	s_nop 1
	v_mov_b32_dpp v7, v6 row_bcast:31 row_mask:0xf bank_mask:0xf
	s_and_saveexec_b64 s[2:3], s[0:1]
	s_cbranch_execz .LBB549_30
; %bb.29:
	v_lshrrev_b32_e32 v0, 4, v0
	v_add_f32_e32 v6, v6, v7
	v_and_b32_e32 v0, 60, v0
	ds_write_b32 v0, v6
.LBB549_30:
	s_or_b64 exec, exec, s[2:3]
	s_waitcnt lgkmcnt(0)
	s_barrier
	ds_read_b32 v0, v18
	s_waitcnt lgkmcnt(0)
	s_nop 0
	v_mov_b32_dpp v6, v0 quad_perm:[1,0,3,2] row_mask:0xf bank_mask:0xf
	v_add_f32_e32 v0, v0, v6
	s_nop 1
	v_mov_b32_dpp v6, v0 quad_perm:[2,3,0,1] row_mask:0xf bank_mask:0xf
	s_and_saveexec_b64 s[0:1], vcc
	s_cbranch_execz .LBB549_12
; %bb.31:
	v_cvt_f32_u32_e32 v7, s20
	v_add_f32_e32 v0, v0, v6
	s_mov_b32 s15, 0x20000
	v_div_scale_f32 v6, s[0:1], v7, v7, v0
	v_rcp_f32_e32 v8, v6
	v_div_scale_f32 v9, vcc, v0, v7, v0
	s_mov_b32 s0, 0x800000
	v_fma_f32 v18, -v6, v8, 1.0
	v_fmac_f32_e32 v8, v18, v8
	v_mul_f32_e32 v18, v9, v8
	v_fma_f32 v19, -v6, v18, v9
	v_fmac_f32_e32 v18, v19, v8
	v_fma_f32 v6, -v6, v18, v9
	v_div_fmas_f32 v6, v6, v8, v18
	v_div_fixup_f32 v0, v6, v7, v0
	v_add_f32_e32 v0, s17, v0
	v_mul_f32_e32 v6, 0x4b800000, v0
	v_cmp_gt_f32_e32 vcc, s0, v0
	v_cndmask_b32_e32 v0, v0, v6, vcc
	v_rsq_f32_e32 v0, v0
	s_waitcnt vmcnt(0)
	v_cvt_f32_f16_sdwa v19, v5 dst_sel:DWORD dst_unused:UNUSED_PAD src0_sel:WORD_1
	v_cvt_f32_f16_e32 v18, v5
	s_mul_hi_i32 s1, s7, s6
	v_mul_f32_e32 v6, 0x45800000, v0
	v_cndmask_b32_e32 v6, v0, v6, vcc
	v_mov_b32_e32 v7, v6
	;;#ASMSTART
	v_pk_mul_f32 v[8:9], v[10:11], v[6:7]
	;;#ASMEND
	;;#ASMSTART
	v_pk_mul_f32 v[10:11], v[16:17], v[6:7]
	;;#ASMEND
	;; [unrolled: 3-line block ×4, first 2 shown]
	v_cvt_f32_f16_sdwa v13, v2 dst_sel:DWORD dst_unused:UNUSED_PAD src0_sel:WORD_1
	v_cvt_f32_f16_e32 v12, v2
	v_cvt_f32_f16_sdwa v17, v3 dst_sel:DWORD dst_unused:UNUSED_PAD src0_sel:WORD_1
	v_cvt_f32_f16_e32 v16, v3
	;; [unrolled: 2-line block ×3, first 2 shown]
	;;#ASMSTART
	v_pk_mul_f32 v[4:5], v[8:9], v[12:13]
	;;#ASMEND
	;;#ASMSTART
	v_pk_mul_f32 v[8:9], v[10:11], v[16:17]
	;;#ASMEND
	;; [unrolled: 3-line block ×4, first 2 shown]
	s_mul_i32 s0, s7, s6
	v_cvt_f16_f32_e32 v0, v4
	v_cvt_f16_f32_e32 v4, v5
	;; [unrolled: 1-line block ×8, first 2 shown]
	s_lshl_b64 s[0:1], s[0:1], 1
	s_add_u32 s12, s28, s0
	s_addc_u32 s0, s29, s1
	s_and_b32 s13, s0, 0xffff
	v_pack_b32_f16 v2, v0, v4
	v_pack_b32_f16 v3, v5, v8
	;; [unrolled: 1-line block ×4, first 2 shown]
	buffer_store_dwordx4 v[2:5], v1, s[12:15], 0 offen
	;;#ASMSTART
	s_nop 0
	;;#ASMEND
	s_endpgm
	.section	.rodata,"a",@progbits
	.p2align	6, 0x0
	.amdhsa_kernel _ZN5aiter35fused_qk_rmsnorm_group_quant_kernelIDF16_DB8_Li256ELi8ELi8ELb0ELb0ELb0ELb0ELb0ELb0EEEvPT0_PvPT_S6_S6_PKS5_S8_S8_S8_S8_ffiiiiiiiiiiiii
		.amdhsa_group_segment_fixed_size 32
		.amdhsa_private_segment_fixed_size 0
		.amdhsa_kernarg_size 400
		.amdhsa_user_sgpr_count 6
		.amdhsa_user_sgpr_private_segment_buffer 1
		.amdhsa_user_sgpr_dispatch_ptr 0
		.amdhsa_user_sgpr_queue_ptr 0
		.amdhsa_user_sgpr_kernarg_segment_ptr 1
		.amdhsa_user_sgpr_dispatch_id 0
		.amdhsa_user_sgpr_flat_scratch_init 0
		.amdhsa_user_sgpr_kernarg_preload_length 0
		.amdhsa_user_sgpr_kernarg_preload_offset 0
		.amdhsa_user_sgpr_private_segment_size 0
		.amdhsa_uses_dynamic_stack 0
		.amdhsa_system_sgpr_private_segment_wavefront_offset 0
		.amdhsa_system_sgpr_workgroup_id_x 1
		.amdhsa_system_sgpr_workgroup_id_y 1
		.amdhsa_system_sgpr_workgroup_id_z 0
		.amdhsa_system_sgpr_workgroup_info 0
		.amdhsa_system_vgpr_workitem_id 0
		.amdhsa_next_free_vgpr 23
		.amdhsa_next_free_sgpr 32
		.amdhsa_accum_offset 24
		.amdhsa_reserve_vcc 1
		.amdhsa_reserve_flat_scratch 0
		.amdhsa_float_round_mode_32 0
		.amdhsa_float_round_mode_16_64 0
		.amdhsa_float_denorm_mode_32 3
		.amdhsa_float_denorm_mode_16_64 3
		.amdhsa_dx10_clamp 1
		.amdhsa_ieee_mode 1
		.amdhsa_fp16_overflow 0
		.amdhsa_tg_split 0
		.amdhsa_exception_fp_ieee_invalid_op 0
		.amdhsa_exception_fp_denorm_src 0
		.amdhsa_exception_fp_ieee_div_zero 0
		.amdhsa_exception_fp_ieee_overflow 0
		.amdhsa_exception_fp_ieee_underflow 0
		.amdhsa_exception_fp_ieee_inexact 0
		.amdhsa_exception_int_div_zero 0
	.end_amdhsa_kernel
	.section	.text._ZN5aiter35fused_qk_rmsnorm_group_quant_kernelIDF16_DB8_Li256ELi8ELi8ELb0ELb0ELb0ELb0ELb0ELb0EEEvPT0_PvPT_S6_S6_PKS5_S8_S8_S8_S8_ffiiiiiiiiiiiii,"axG",@progbits,_ZN5aiter35fused_qk_rmsnorm_group_quant_kernelIDF16_DB8_Li256ELi8ELi8ELb0ELb0ELb0ELb0ELb0ELb0EEEvPT0_PvPT_S6_S6_PKS5_S8_S8_S8_S8_ffiiiiiiiiiiiii,comdat
.Lfunc_end549:
	.size	_ZN5aiter35fused_qk_rmsnorm_group_quant_kernelIDF16_DB8_Li256ELi8ELi8ELb0ELb0ELb0ELb0ELb0ELb0EEEvPT0_PvPT_S6_S6_PKS5_S8_S8_S8_S8_ffiiiiiiiiiiiii, .Lfunc_end549-_ZN5aiter35fused_qk_rmsnorm_group_quant_kernelIDF16_DB8_Li256ELi8ELi8ELb0ELb0ELb0ELb0ELb0ELb0EEEvPT0_PvPT_S6_S6_PKS5_S8_S8_S8_S8_ffiiiiiiiiiiiii
                                        ; -- End function
	.section	.AMDGPU.csdata,"",@progbits
; Kernel info:
; codeLenInByte = 2480
; NumSgprs: 36
; NumVgprs: 23
; NumAgprs: 0
; TotalNumVgprs: 23
; ScratchSize: 0
; MemoryBound: 0
; FloatMode: 240
; IeeeMode: 1
; LDSByteSize: 32 bytes/workgroup (compile time only)
; SGPRBlocks: 4
; VGPRBlocks: 2
; NumSGPRsForWavesPerEU: 36
; NumVGPRsForWavesPerEU: 23
; AccumOffset: 24
; Occupancy: 8
; WaveLimiterHint : 0
; COMPUTE_PGM_RSRC2:SCRATCH_EN: 0
; COMPUTE_PGM_RSRC2:USER_SGPR: 6
; COMPUTE_PGM_RSRC2:TRAP_HANDLER: 0
; COMPUTE_PGM_RSRC2:TGID_X_EN: 1
; COMPUTE_PGM_RSRC2:TGID_Y_EN: 1
; COMPUTE_PGM_RSRC2:TGID_Z_EN: 0
; COMPUTE_PGM_RSRC2:TIDIG_COMP_CNT: 0
; COMPUTE_PGM_RSRC3_GFX90A:ACCUM_OFFSET: 5
; COMPUTE_PGM_RSRC3_GFX90A:TG_SPLIT: 0
	.section	.text._ZN5aiter35fused_qk_rmsnorm_group_quant_kernelItDB8_Li256ELi8ELi8ELb0ELb0ELb0ELb0ELb0ELb0EEEvPT0_PvPT_S6_S6_PKS5_S8_S8_S8_S8_ffiiiiiiiiiiiii,"axG",@progbits,_ZN5aiter35fused_qk_rmsnorm_group_quant_kernelItDB8_Li256ELi8ELi8ELb0ELb0ELb0ELb0ELb0ELb0EEEvPT0_PvPT_S6_S6_PKS5_S8_S8_S8_S8_ffiiiiiiiiiiiii,comdat
	.protected	_ZN5aiter35fused_qk_rmsnorm_group_quant_kernelItDB8_Li256ELi8ELi8ELb0ELb0ELb0ELb0ELb0ELb0EEEvPT0_PvPT_S6_S6_PKS5_S8_S8_S8_S8_ffiiiiiiiiiiiii ; -- Begin function _ZN5aiter35fused_qk_rmsnorm_group_quant_kernelItDB8_Li256ELi8ELi8ELb0ELb0ELb0ELb0ELb0ELb0EEEvPT0_PvPT_S6_S6_PKS5_S8_S8_S8_S8_ffiiiiiiiiiiiii
	.globl	_ZN5aiter35fused_qk_rmsnorm_group_quant_kernelItDB8_Li256ELi8ELi8ELb0ELb0ELb0ELb0ELb0ELb0EEEvPT0_PvPT_S6_S6_PKS5_S8_S8_S8_S8_ffiiiiiiiiiiiii
	.p2align	8
	.type	_ZN5aiter35fused_qk_rmsnorm_group_quant_kernelItDB8_Li256ELi8ELi8ELb0ELb0ELb0ELb0ELb0ELb0EEEvPT0_PvPT_S6_S6_PKS5_S8_S8_S8_S8_ffiiiiiiiiiiiii,@function
_ZN5aiter35fused_qk_rmsnorm_group_quant_kernelItDB8_Li256ELi8ELi8ELb0ELb0ELb0ELb0ELb0ELb0EEEvPT0_PvPT_S6_S6_PKS5_S8_S8_S8_S8_ffiiiiiiiiiiiii: ; @_ZN5aiter35fused_qk_rmsnorm_group_quant_kernelItDB8_Li256ELi8ELi8ELb0ELb0ELb0ELb0ELb0ELb0EEEvPT0_PvPT_S6_S6_PKS5_S8_S8_S8_S8_ffiiiiiiiiiiiii
; %bb.0:
	s_load_dwordx4 s[16:19], s[4:5], 0x50
	s_waitcnt lgkmcnt(0)
	s_cmp_ge_i32 s6, s18
	s_cbranch_scc1 .LBB550_10
; %bb.1:
	s_load_dwordx2 s[12:13], s[4:5], 0x48
	s_load_dwordx2 s[30:31], s[4:5], 0x30
	s_load_dwordx4 s[20:23], s[4:5], 0x60
	s_cmp_lg_u32 s7, 0
	s_cselect_b64 s[14:15], -1, 0
	s_cmp_eq_u32 s7, 0
	s_cselect_b64 vcc, -1, 0
	s_and_b64 s[0:1], vcc, exec
	s_waitcnt lgkmcnt(0)
	s_cselect_b32 s7, s19, s20
	s_add_i32 s0, s7, 1
	s_lshr_b32 s1, s0, 31
	s_add_i32 s0, s0, s1
	s_lshl_b32 s0, s0, 1
	v_lshlrev_b32_e32 v1, 3, v0
	s_and_b32 s10, s0, -4
	v_cmp_gt_i32_e64 s[2:3], s7, v1
	v_mov_b32_e32 v2, 0
	v_mov_b32_e32 v3, 0
	;; [unrolled: 1-line block ×8, first 2 shown]
	s_and_saveexec_b64 s[0:1], s[2:3]
	s_cbranch_execz .LBB550_3
; %bb.2:
	s_load_dwordx2 s[8:9], s[4:5], 0x28
	s_load_dwordx2 s[26:27], s[4:5], 0x40
	s_and_b64 s[24:25], vcc, exec
	s_cselect_b32 s11, s21, s22
	v_lshlrev_b32_e32 v10, 4, v0
	s_waitcnt lgkmcnt(0)
	s_cselect_b32 s18, s9, s31
	s_cselect_b32 s21, s8, s30
	s_mul_hi_i32 s9, s11, s6
	s_mul_i32 s8, s11, s6
	s_lshl_b64 s[8:9], s[8:9], 1
	s_add_u32 s24, s21, s8
	s_addc_u32 s18, s18, s9
	s_and_b64 s[8:9], vcc, exec
	s_mov_b32 s11, 0x20000
	s_cselect_b32 s8, s26, s12
	s_cselect_b32 s9, s27, s13
	s_and_b32 s25, s18, 0xffff
	s_mov_b32 s26, s10
	s_mov_b32 s27, s11
	s_and_b32 s9, s9, 0xffff
	buffer_load_dwordx4 v[6:9], v10, s[24:27], 0 offen glc slc
	buffer_load_dwordx4 v[2:5], v10, s[8:11], 0 offen
.LBB550_3:
	s_or_b64 exec, exec, s[0:1]
	s_waitcnt vmcnt(1)
	v_cvt_f32_u32_sdwa v13, v6 dst_sel:DWORD dst_unused:UNUSED_PAD src0_sel:WORD_1
	v_cvt_f32_u32_sdwa v12, v6 dst_sel:DWORD dst_unused:UNUSED_PAD src0_sel:WORD_0
	v_cvt_f32_u32_sdwa v6, v9 dst_sel:DWORD dst_unused:UNUSED_PAD src0_sel:WORD_1
	v_cvt_f32_u32_sdwa v9, v9 dst_sel:DWORD dst_unused:UNUSED_PAD src0_sel:WORD_0
	;; [unrolled: 2-line block ×4, first 2 shown]
	v_cndmask_b32_e64 v13, 0, v13, s[2:3]
	v_cndmask_b32_e64 v7, 0, v6, s[2:3]
	;; [unrolled: 1-line block ×5, first 2 shown]
	v_mul_f32_e32 v14, v13, v13
	v_cndmask_b32_e64 v10, 0, v10, s[2:3]
	v_fmac_f32_e32 v14, v12, v12
	v_cndmask_b32_e64 v11, 0, v11, s[2:3]
	v_fmac_f32_e32 v14, v10, v10
	;; [unrolled: 2-line block ×3, first 2 shown]
	v_fmac_f32_e32 v14, v8, v8
	v_fmac_f32_e32 v14, v9, v9
	;; [unrolled: 1-line block ×4, first 2 shown]
	v_and_b32_e32 v16, 63, v0
	v_cmp_eq_u32_e64 s[0:1], 63, v16
	v_mov_b32_dpp v15, v14 quad_perm:[1,0,3,2] row_mask:0xf bank_mask:0xf
	v_add_f32_e32 v14, v14, v15
	s_nop 1
	v_mov_b32_dpp v15, v14 quad_perm:[2,3,0,1] row_mask:0xf bank_mask:0xf
	v_add_f32_e32 v14, v14, v15
	s_nop 1
	v_mov_b32_dpp v15, v14 row_half_mirror row_mask:0xf bank_mask:0xf
	v_add_f32_e32 v14, v14, v15
	s_nop 1
	v_mov_b32_dpp v15, v14 row_mirror row_mask:0xf bank_mask:0xf
	v_add_f32_e32 v14, v14, v15
	s_nop 1
	v_mov_b32_dpp v15, v14 row_bcast:15 row_mask:0xf bank_mask:0xf
	v_add_f32_e32 v14, v14, v15
	s_nop 1
	v_mov_b32_dpp v15, v14 row_bcast:31 row_mask:0xf bank_mask:0xf
	s_and_saveexec_b64 s[8:9], s[0:1]
	s_cbranch_execz .LBB550_5
; %bb.4:
	v_add_f32_e32 v14, v14, v15
	v_lshrrev_b32_e32 v15, 4, v0
	v_and_b32_e32 v15, 60, v15
	ds_write_b32 v15, v14 offset:16
.LBB550_5:
	s_or_b64 exec, exec, s[8:9]
	v_and_b32_e32 v14, 3, v0
	v_lshlrev_b32_e32 v14, 2, v14
	s_waitcnt lgkmcnt(0)
	s_barrier
	ds_read_b32 v15, v14 offset:16
	s_load_dwordx2 s[28:29], s[4:5], 0x18
	s_waitcnt lgkmcnt(0)
	v_mov_b32_dpp v16, v15 quad_perm:[1,0,3,2] row_mask:0xf bank_mask:0xf
	v_add_f32_e32 v15, v15, v16
	s_nop 1
	v_mov_b32_dpp v16, v15 quad_perm:[2,3,0,1] row_mask:0xf bank_mask:0xf
	s_and_saveexec_b64 s[8:9], s[2:3]
	s_cbranch_execz .LBB550_7
; %bb.6:
	v_cvt_f32_u32_e32 v17, s7
	v_add_f32_e32 v15, v15, v16
	v_mov_b32_e32 v19, s17
	v_mov_b32_e32 v20, s16
	v_div_scale_f32 v16, s[24:25], v17, v17, v15
	v_rcp_f32_e32 v18, v16
	v_cndmask_b32_e32 v19, v19, v20, vcc
	s_mov_b32 s7, 0x800000
	v_fma_f32 v20, -v16, v18, 1.0
	v_fmac_f32_e32 v18, v20, v18
	v_div_scale_f32 v20, vcc, v15, v17, v15
	v_mul_f32_e32 v21, v20, v18
	v_fma_f32 v22, -v16, v21, v20
	v_fmac_f32_e32 v21, v22, v18
	v_fma_f32 v16, -v16, v21, v20
	v_div_fmas_f32 v16, v16, v18, v21
	v_div_fixup_f32 v15, v16, v17, v15
	v_add_f32_e32 v15, v19, v15
	v_mul_f32_e32 v16, 0x4b800000, v15
	v_cmp_gt_f32_e32 vcc, s7, v15
	v_cndmask_b32_e32 v15, v15, v16, vcc
	v_rsq_f32_e32 v15, v15
	s_waitcnt vmcnt(0)
	v_cvt_f32_u32_sdwa v19, v3 dst_sel:DWORD dst_unused:UNUSED_PAD src0_sel:WORD_1
	v_cvt_f32_u32_sdwa v18, v3 dst_sel:DWORD dst_unused:UNUSED_PAD src0_sel:WORD_0
	v_cvt_f32_u32_sdwa v3, v4 dst_sel:DWORD dst_unused:UNUSED_PAD src0_sel:WORD_1
	v_mul_f32_e32 v16, 0x45800000, v15
	v_cndmask_b32_e32 v16, v15, v16, vcc
	v_mov_b32_e32 v17, v16
	;;#ASMSTART
	v_pk_mul_f32 v[12:13], v[12:13], v[16:17]
	;;#ASMEND
	;;#ASMSTART
	v_pk_mul_f32 v[10:11], v[10:11], v[16:17]
	;;#ASMEND
	;; [unrolled: 3-line block ×4, first 2 shown]
	v_cvt_f32_u32_sdwa v17, v2 dst_sel:DWORD dst_unused:UNUSED_PAD src0_sel:WORD_1
	v_cvt_f32_u32_sdwa v16, v2 dst_sel:DWORD dst_unused:UNUSED_PAD src0_sel:WORD_0
	v_cvt_f32_u32_sdwa v2, v4 dst_sel:DWORD dst_unused:UNUSED_PAD src0_sel:WORD_0
	v_cvt_f32_u32_sdwa v21, v5 dst_sel:DWORD dst_unused:UNUSED_PAD src0_sel:WORD_1
	v_cvt_f32_u32_sdwa v20, v5 dst_sel:DWORD dst_unused:UNUSED_PAD src0_sel:WORD_0
	;;#ASMSTART
	v_pk_mul_f32 v[12:13], v[12:13], v[16:17]
	;;#ASMEND
	;;#ASMSTART
	v_pk_mul_f32 v[10:11], v[10:11], v[18:19]
	;;#ASMEND
	;; [unrolled: 3-line block ×4, first 2 shown]
.LBB550_7:
	s_or_b64 exec, exec, s[8:9]
	s_load_dword s7, s[4:5], 0x80
	s_mov_b64 s[8:9], -1
	s_and_b64 vcc, exec, s[14:15]
	s_cbranch_vccnz .LBB550_11
; %bb.8:
	s_andn2_b64 vcc, exec, s[8:9]
	s_cbranch_vccz .LBB550_14
.LBB550_9:
	s_cmp_lt_i32 s20, 1
	s_cbranch_scc0 .LBB550_21
.LBB550_10:
	s_endpgm
.LBB550_11:
	s_and_saveexec_b64 s[14:15], s[2:3]
	s_cbranch_execz .LBB550_13
; %bb.12:
	s_waitcnt lgkmcnt(0)
	s_mul_hi_i32 s9, s7, s6
	s_mul_i32 s8, s7, s6
	s_lshl_b64 s[8:9], s[8:9], 1
	s_add_u32 s8, s28, s8
	s_addc_u32 s9, s29, s9
	s_mov_b32 s16, 0x7060302
	s_and_b32 s9, s9, 0xffff
	s_mov_b32 s11, 0x20000
	s_waitcnt vmcnt(0)
	v_perm_b32 v2, v13, v12, s16
	v_perm_b32 v3, v11, v10, s16
	;; [unrolled: 1-line block ×4, first 2 shown]
	v_lshlrev_b32_e32 v15, 4, v0
	buffer_store_dwordx4 v[2:5], v15, s[8:11], 0 offen
	;;#ASMSTART
	s_nop 0
	;;#ASMEND
.LBB550_13:
	s_or_b64 exec, exec, s[14:15]
	s_cbranch_execnz .LBB550_9
.LBB550_14:
	s_waitcnt vmcnt(0)
	v_mov_b32_e32 v2, 0
	s_and_saveexec_b64 s[8:9], s[2:3]
	s_cbranch_execz .LBB550_16
; %bb.15:
	v_and_b32_e32 v2, 0x7fffffff, v12
	v_and_b32_e32 v3, 0x7fffffff, v13
	v_mov_b32_e32 v4, 0x2edbe6ff
	;;#ASMSTART
	v_max3_f32 v2, v4, v2, v3

	;;#ASMEND
	v_and_b32_e32 v3, 0x7fffffff, v10
	v_and_b32_e32 v4, 0x7fffffff, v11
	;;#ASMSTART
	v_max3_f32 v2, v2, v3, v4

	;;#ASMEND
	v_and_b32_e32 v3, 0x7fffffff, v8
	v_and_b32_e32 v4, 0x7fffffff, v9
	;; [unrolled: 6-line block ×3, first 2 shown]
	;;#ASMSTART
	v_max3_f32 v2, v2, v3, v4

	;;#ASMEND
.LBB550_16:
	s_or_b64 exec, exec, s[8:9]
	s_load_dwordx4 s[24:27], s[4:5], 0x70
	;;#ASMSTART
	v_max_f32 v3, v2, v2 quad_perm:[1,0,3,2] row_mask:0xf bank_mask:0xf bound_ctrl:1
	;;#ASMEND
	;;#ASMSTART
	v_max_f32 v2, v3, v3 quad_perm:[2,3,0,1] row_mask:0xf bank_mask:0xf bound_ctrl:1
	;;#ASMEND
	;;#ASMSTART
	v_max_f32 v3, v2, v2 row_half_mirror row_mask:0xf bank_mask:0xf bound_ctrl:1
	;;#ASMEND
	v_mul_f32_e32 v2, 0x3b124925, v3
	v_and_b32_e32 v3, 7, v0
	v_cmp_eq_u32_e32 vcc, 0, v3
	v_cmp_gt_i32_e64 s[8:9], s19, v1
	s_and_b64 s[10:11], vcc, s[8:9]
	s_and_saveexec_b64 s[8:9], s[10:11]
	s_cbranch_execz .LBB550_18
; %bb.17:
	s_load_dwordx2 s[10:11], s[4:5], 0x8
	s_waitcnt lgkmcnt(0)
	s_mul_hi_i32 s15, s25, s6
	s_mul_i32 s14, s25, s6
	v_lshrrev_b32_e32 v3, 3, v0
	s_lshl_b64 s[14:15], s[14:15], 2
	v_mad_i64_i32 v[4:5], s[26:27], s26, v3, 0
	s_add_u32 s10, s10, s14
	s_addc_u32 s11, s11, s15
	v_lshlrev_b64 v[4:5], 2, v[4:5]
	v_mov_b32_e32 v3, s11
	v_add_co_u32_e32 v4, vcc, s10, v4
	v_addc_co_u32_e32 v5, vcc, v3, v5, vcc
	global_store_dword v[4:5], v2, off
.LBB550_18:
	s_or_b64 exec, exec, s[8:9]
	;;#ASMSTART
	v_rcp_f32 v2, v2
	;;#ASMEND
	s_and_saveexec_b64 s[14:15], s[2:3]
	s_cbranch_execz .LBB550_20
; %bb.19:
	s_load_dwordx2 s[2:3], s[4:5], 0x0
	s_waitcnt lgkmcnt(0)
	s_mul_i32 s8, s24, s6
	s_mul_hi_i32 s9, s24, s6
	v_mov_b32_e32 v3, v2
	;;#ASMSTART
	v_pk_mul_f32 v[4:5], v[12:13], v[2:3]
	;;#ASMEND
	s_add_u32 s8, s2, s8
	s_addc_u32 s2, s3, s9
	s_add_i32 s3, s19, 3
	s_ashr_i32 s9, s3, 31
	v_mov_b32_e32 v12, 0xc3e00000
	v_mov_b32_e32 v13, 0x43e00000
	;;#ASMSTART
	v_med3_f32 v4, v4, v12, v13
v_med3_f32 v5, v5, v12, v13
v_cvt_pk_fp8_f32 v15, v4, v5
	;;#ASMEND
	s_lshr_b32 s9, s9, 30
	;;#ASMSTART
	v_pk_mul_f32 v[4:5], v[10:11], v[2:3]
	;;#ASMEND
	s_add_i32 s3, s3, s9
	s_and_b32 s9, s2, 0xffff
	;;#ASMSTART
	v_med3_f32 v4, v4, v12, v13
v_med3_f32 v5, v5, v12, v13
v_cvt_pk_fp8_f32 v10, v4, v5
	;;#ASMEND
	s_mov_b32 s2, 0x5040100
	v_perm_b32 v5, v10, v15, s2
	s_movk_i32 s2, 0xff
	v_and_b32_e32 v4, 0xffffff00, v10
	v_and_b32_sdwa v10, v5, s2 dst_sel:DWORD dst_unused:UNUSED_PAD src0_sel:WORD_1 src1_sel:DWORD
	s_mov_b32 s16, 0xffff
	v_or_b32_sdwa v4, v10, v4 dst_sel:WORD_1 dst_unused:UNUSED_PAD src0_sel:DWORD src1_sel:DWORD
	v_and_or_b32 v4, v5, s16, v4
	;;#ASMSTART
	v_pk_mul_f32 v[8:9], v[8:9], v[2:3]
	;;#ASMEND
	v_mov_b32_e32 v5, v9
	;;#ASMSTART
	v_med3_f32 v8, v8, v12, v13
v_med3_f32 v5, v5, v12, v13
v_cvt_pk_fp8_f32 v9, v8, v5
	;;#ASMEND
	;;#ASMSTART
	v_pk_mul_f32 v[2:3], v[6:7], v[2:3]
	;;#ASMEND
	;;#ASMSTART
	v_med3_f32 v2, v2, v12, v13
v_med3_f32 v3, v3, v12, v13
v_cvt_pk_fp8_f32 v5, v2, v3
	;;#ASMEND
	v_lshlrev_b32_e32 v2, 16, v5
	s_and_b32 s10, s3, -4
	s_mov_b32 s11, 0x20000
	v_and_or_b32 v5, v9, s16, v2
	buffer_store_dwordx2 v[4:5], v1, s[8:11], 0 offen
	;;#ASMSTART
	s_nop 0
	;;#ASMEND
.LBB550_20:
	s_or_b64 exec, exec, s[14:15]
	s_cmp_lt_i32 s20, 1
	s_cbranch_scc1 .LBB550_10
.LBB550_21:
	s_load_dword s2, s[4:5], 0x94
	s_waitcnt lgkmcnt(0)
	s_cmp_lg_u32 s2, 1
	s_cbranch_scc1 .LBB550_10
; %bb.22:
	s_lshl_b32 s2, s20, 1
	s_add_i32 s2, s2, 2
	v_cmp_gt_u32_e32 vcc, s20, v1
	s_and_b32 s14, s2, -4
	v_mov_b32_e32 v6, 0
	v_lshlrev_b32_e32 v1, 4, v0
	v_mov_b32_e32 v7, 0
	v_mov_b32_e32 v8, 0
	;; [unrolled: 1-line block ×3, first 2 shown]
	s_waitcnt vmcnt(0)
	v_mov_b32_e32 v2, 0
	v_mov_b32_e32 v3, 0
	;; [unrolled: 1-line block ×4, first 2 shown]
	s_barrier
	s_and_saveexec_b64 s[2:3], vcc
	s_cbranch_execz .LBB550_24
; %bb.23:
	s_mul_hi_i32 s5, s22, s6
	s_mul_i32 s4, s22, s6
	s_and_b32 s13, s13, 0xffff
	s_lshl_b64 s[4:5], s[4:5], 1
	s_add_u32 s8, s30, s4
	s_mov_b32 s15, 0x20000
	s_addc_u32 s4, s31, s5
	s_and_b32 s9, s4, 0xffff
	s_mov_b32 s10, s14
	s_mov_b32 s11, s15
	buffer_load_dwordx4 v[6:9], v1, s[8:11], 0 offen glc slc
	buffer_load_dwordx4 v[2:5], v1, s[12:15], 0 offen
.LBB550_24:
	s_or_b64 exec, exec, s[2:3]
	s_waitcnt vmcnt(1)
	v_cvt_f32_u32_sdwa v13, v6 dst_sel:DWORD dst_unused:UNUSED_PAD src0_sel:WORD_1
	v_cvt_f32_u32_sdwa v12, v6 dst_sel:DWORD dst_unused:UNUSED_PAD src0_sel:WORD_0
	v_cvt_f32_u32_sdwa v6, v9 dst_sel:DWORD dst_unused:UNUSED_PAD src0_sel:WORD_1
	v_cvt_f32_u32_sdwa v9, v9 dst_sel:DWORD dst_unused:UNUSED_PAD src0_sel:WORD_0
	;; [unrolled: 2-line block ×4, first 2 shown]
	v_cndmask_b32_e32 v13, 0, v13, vcc
	v_cndmask_b32_e32 v7, 0, v6, vcc
	;; [unrolled: 1-line block ×5, first 2 shown]
	v_mul_f32_e32 v15, v13, v13
	v_cndmask_b32_e32 v10, 0, v10, vcc
	v_fmac_f32_e32 v15, v12, v12
	v_cndmask_b32_e32 v11, 0, v11, vcc
	v_fmac_f32_e32 v15, v10, v10
	;; [unrolled: 2-line block ×3, first 2 shown]
	v_fmac_f32_e32 v15, v8, v8
	v_fmac_f32_e32 v15, v9, v9
	v_fmac_f32_e32 v15, v6, v6
	v_fmac_f32_e32 v15, v7, v7
	s_nop 1
	v_mov_b32_dpp v16, v15 quad_perm:[1,0,3,2] row_mask:0xf bank_mask:0xf
	v_add_f32_e32 v15, v15, v16
	s_nop 1
	v_mov_b32_dpp v16, v15 quad_perm:[2,3,0,1] row_mask:0xf bank_mask:0xf
	v_add_f32_e32 v15, v15, v16
	s_nop 1
	v_mov_b32_dpp v16, v15 row_half_mirror row_mask:0xf bank_mask:0xf
	v_add_f32_e32 v15, v15, v16
	s_nop 1
	v_mov_b32_dpp v16, v15 row_mirror row_mask:0xf bank_mask:0xf
	v_add_f32_e32 v15, v15, v16
	s_nop 1
	v_mov_b32_dpp v16, v15 row_bcast:15 row_mask:0xf bank_mask:0xf
	v_add_f32_e32 v15, v15, v16
	s_nop 1
	v_mov_b32_dpp v16, v15 row_bcast:31 row_mask:0xf bank_mask:0xf
	s_and_saveexec_b64 s[2:3], s[0:1]
	s_cbranch_execz .LBB550_26
; %bb.25:
	v_lshrrev_b32_e32 v0, 4, v0
	v_add_f32_e32 v15, v15, v16
	v_and_b32_e32 v0, 60, v0
	ds_write_b32 v0, v15
.LBB550_26:
	s_or_b64 exec, exec, s[2:3]
	s_waitcnt lgkmcnt(0)
	s_barrier
	ds_read_b32 v0, v14
	s_waitcnt lgkmcnt(0)
	s_nop 0
	v_mov_b32_dpp v14, v0 quad_perm:[1,0,3,2] row_mask:0xf bank_mask:0xf
	v_add_f32_e32 v0, v0, v14
	s_nop 1
	v_mov_b32_dpp v14, v0 quad_perm:[2,3,0,1] row_mask:0xf bank_mask:0xf
	s_and_saveexec_b64 s[0:1], vcc
	s_cbranch_execz .LBB550_10
; %bb.27:
	v_cvt_f32_u32_e32 v15, s20
	v_add_f32_e32 v0, v0, v14
	s_mov_b32 s15, 0x20000
	v_div_scale_f32 v14, s[0:1], v15, v15, v0
	v_rcp_f32_e32 v16, v14
	v_div_scale_f32 v17, vcc, v0, v15, v0
	s_mov_b32 s0, 0x800000
	v_fma_f32 v18, -v14, v16, 1.0
	v_fmac_f32_e32 v16, v18, v16
	v_mul_f32_e32 v18, v17, v16
	v_fma_f32 v19, -v14, v18, v17
	v_fmac_f32_e32 v18, v19, v16
	v_fma_f32 v14, -v14, v18, v17
	v_div_fmas_f32 v14, v14, v16, v18
	v_div_fixup_f32 v0, v14, v15, v0
	v_add_f32_e32 v0, s17, v0
	v_mul_f32_e32 v14, 0x4b800000, v0
	v_cmp_gt_f32_e32 vcc, s0, v0
	v_cndmask_b32_e32 v0, v0, v14, vcc
	v_rsq_f32_e32 v0, v0
	s_mul_hi_i32 s1, s7, s6
	s_mul_i32 s0, s7, s6
	s_lshl_b64 s[0:1], s[0:1], 1
	v_mul_f32_e32 v14, 0x45800000, v0
	v_cndmask_b32_e32 v14, v0, v14, vcc
	s_add_u32 s12, s28, s0
	v_mov_b32_e32 v15, v14
	s_addc_u32 s0, s29, s1
	;;#ASMSTART
	v_pk_mul_f32 v[12:13], v[12:13], v[14:15]
	;;#ASMEND
	;;#ASMSTART
	v_pk_mul_f32 v[10:11], v[10:11], v[14:15]
	;;#ASMEND
	;; [unrolled: 3-line block ×4, first 2 shown]
	s_waitcnt vmcnt(0)
	v_cvt_f32_u32_sdwa v15, v2 dst_sel:DWORD dst_unused:UNUSED_PAD src0_sel:WORD_1
	v_cvt_f32_u32_sdwa v14, v2 dst_sel:DWORD dst_unused:UNUSED_PAD src0_sel:WORD_0
	v_cvt_f32_u32_sdwa v17, v3 dst_sel:DWORD dst_unused:UNUSED_PAD src0_sel:WORD_1
	v_cvt_f32_u32_sdwa v16, v3 dst_sel:DWORD dst_unused:UNUSED_PAD src0_sel:WORD_0
	;; [unrolled: 2-line block ×4, first 2 shown]
	;;#ASMSTART
	v_pk_mul_f32 v[4:5], v[12:13], v[14:15]
	;;#ASMEND
	s_and_b32 s13, s0, 0xffff
	s_mov_b32 s0, 0x7060302
	;;#ASMSTART
	v_pk_mul_f32 v[10:11], v[10:11], v[16:17]
	;;#ASMEND
	;;#ASMSTART
	v_pk_mul_f32 v[8:9], v[8:9], v[2:3]
	;;#ASMEND
	;;#ASMSTART
	v_pk_mul_f32 v[6:7], v[6:7], v[18:19]
	;;#ASMEND
	v_perm_b32 v2, v5, v4, s0
	v_perm_b32 v3, v11, v10, s0
	;; [unrolled: 1-line block ×4, first 2 shown]
	buffer_store_dwordx4 v[2:5], v1, s[12:15], 0 offen
	;;#ASMSTART
	s_nop 0
	;;#ASMEND
	s_endpgm
	.section	.rodata,"a",@progbits
	.p2align	6, 0x0
	.amdhsa_kernel _ZN5aiter35fused_qk_rmsnorm_group_quant_kernelItDB8_Li256ELi8ELi8ELb0ELb0ELb0ELb0ELb0ELb0EEEvPT0_PvPT_S6_S6_PKS5_S8_S8_S8_S8_ffiiiiiiiiiiiii
		.amdhsa_group_segment_fixed_size 32
		.amdhsa_private_segment_fixed_size 0
		.amdhsa_kernarg_size 400
		.amdhsa_user_sgpr_count 6
		.amdhsa_user_sgpr_private_segment_buffer 1
		.amdhsa_user_sgpr_dispatch_ptr 0
		.amdhsa_user_sgpr_queue_ptr 0
		.amdhsa_user_sgpr_kernarg_segment_ptr 1
		.amdhsa_user_sgpr_dispatch_id 0
		.amdhsa_user_sgpr_flat_scratch_init 0
		.amdhsa_user_sgpr_kernarg_preload_length 0
		.amdhsa_user_sgpr_kernarg_preload_offset 0
		.amdhsa_user_sgpr_private_segment_size 0
		.amdhsa_uses_dynamic_stack 0
		.amdhsa_system_sgpr_private_segment_wavefront_offset 0
		.amdhsa_system_sgpr_workgroup_id_x 1
		.amdhsa_system_sgpr_workgroup_id_y 1
		.amdhsa_system_sgpr_workgroup_id_z 0
		.amdhsa_system_sgpr_workgroup_info 0
		.amdhsa_system_vgpr_workitem_id 0
		.amdhsa_next_free_vgpr 23
		.amdhsa_next_free_sgpr 32
		.amdhsa_accum_offset 24
		.amdhsa_reserve_vcc 1
		.amdhsa_reserve_flat_scratch 0
		.amdhsa_float_round_mode_32 0
		.amdhsa_float_round_mode_16_64 0
		.amdhsa_float_denorm_mode_32 3
		.amdhsa_float_denorm_mode_16_64 3
		.amdhsa_dx10_clamp 1
		.amdhsa_ieee_mode 1
		.amdhsa_fp16_overflow 0
		.amdhsa_tg_split 0
		.amdhsa_exception_fp_ieee_invalid_op 0
		.amdhsa_exception_fp_denorm_src 0
		.amdhsa_exception_fp_ieee_div_zero 0
		.amdhsa_exception_fp_ieee_overflow 0
		.amdhsa_exception_fp_ieee_underflow 0
		.amdhsa_exception_fp_ieee_inexact 0
		.amdhsa_exception_int_div_zero 0
	.end_amdhsa_kernel
	.section	.text._ZN5aiter35fused_qk_rmsnorm_group_quant_kernelItDB8_Li256ELi8ELi8ELb0ELb0ELb0ELb0ELb0ELb0EEEvPT0_PvPT_S6_S6_PKS5_S8_S8_S8_S8_ffiiiiiiiiiiiii,"axG",@progbits,_ZN5aiter35fused_qk_rmsnorm_group_quant_kernelItDB8_Li256ELi8ELi8ELb0ELb0ELb0ELb0ELb0ELb0EEEvPT0_PvPT_S6_S6_PKS5_S8_S8_S8_S8_ffiiiiiiiiiiiii,comdat
.Lfunc_end550:
	.size	_ZN5aiter35fused_qk_rmsnorm_group_quant_kernelItDB8_Li256ELi8ELi8ELb0ELb0ELb0ELb0ELb0ELb0EEEvPT0_PvPT_S6_S6_PKS5_S8_S8_S8_S8_ffiiiiiiiiiiiii, .Lfunc_end550-_ZN5aiter35fused_qk_rmsnorm_group_quant_kernelItDB8_Li256ELi8ELi8ELb0ELb0ELb0ELb0ELb0ELb0EEEvPT0_PvPT_S6_S6_PKS5_S8_S8_S8_S8_ffiiiiiiiiiiiii
                                        ; -- End function
	.section	.AMDGPU.csdata,"",@progbits
; Kernel info:
; codeLenInByte = 2496
; NumSgprs: 36
; NumVgprs: 23
; NumAgprs: 0
; TotalNumVgprs: 23
; ScratchSize: 0
; MemoryBound: 0
; FloatMode: 240
; IeeeMode: 1
; LDSByteSize: 32 bytes/workgroup (compile time only)
; SGPRBlocks: 4
; VGPRBlocks: 2
; NumSGPRsForWavesPerEU: 36
; NumVGPRsForWavesPerEU: 23
; AccumOffset: 24
; Occupancy: 8
; WaveLimiterHint : 0
; COMPUTE_PGM_RSRC2:SCRATCH_EN: 0
; COMPUTE_PGM_RSRC2:USER_SGPR: 6
; COMPUTE_PGM_RSRC2:TRAP_HANDLER: 0
; COMPUTE_PGM_RSRC2:TGID_X_EN: 1
; COMPUTE_PGM_RSRC2:TGID_Y_EN: 1
; COMPUTE_PGM_RSRC2:TGID_Z_EN: 0
; COMPUTE_PGM_RSRC2:TIDIG_COMP_CNT: 0
; COMPUTE_PGM_RSRC3_GFX90A:ACCUM_OFFSET: 5
; COMPUTE_PGM_RSRC3_GFX90A:TG_SPLIT: 0
	.section	.text._ZN5aiter35fused_qk_rmsnorm_group_quant_kernelIDF16_N4opus5fp4_tELi256ELi8ELi8ELb0ELb0ELb0ELb0ELb0ELb0EEEvPT0_PvPT_S7_S7_PKS6_S9_S9_S9_S9_ffiiiiiiiiiiiii,"axG",@progbits,_ZN5aiter35fused_qk_rmsnorm_group_quant_kernelIDF16_N4opus5fp4_tELi256ELi8ELi8ELb0ELb0ELb0ELb0ELb0ELb0EEEvPT0_PvPT_S7_S7_PKS6_S9_S9_S9_S9_ffiiiiiiiiiiiii,comdat
	.protected	_ZN5aiter35fused_qk_rmsnorm_group_quant_kernelIDF16_N4opus5fp4_tELi256ELi8ELi8ELb0ELb0ELb0ELb0ELb0ELb0EEEvPT0_PvPT_S7_S7_PKS6_S9_S9_S9_S9_ffiiiiiiiiiiiii ; -- Begin function _ZN5aiter35fused_qk_rmsnorm_group_quant_kernelIDF16_N4opus5fp4_tELi256ELi8ELi8ELb0ELb0ELb0ELb0ELb0ELb0EEEvPT0_PvPT_S7_S7_PKS6_S9_S9_S9_S9_ffiiiiiiiiiiiii
	.globl	_ZN5aiter35fused_qk_rmsnorm_group_quant_kernelIDF16_N4opus5fp4_tELi256ELi8ELi8ELb0ELb0ELb0ELb0ELb0ELb0EEEvPT0_PvPT_S7_S7_PKS6_S9_S9_S9_S9_ffiiiiiiiiiiiii
	.p2align	8
	.type	_ZN5aiter35fused_qk_rmsnorm_group_quant_kernelIDF16_N4opus5fp4_tELi256ELi8ELi8ELb0ELb0ELb0ELb0ELb0ELb0EEEvPT0_PvPT_S7_S7_PKS6_S9_S9_S9_S9_ffiiiiiiiiiiiii,@function
_ZN5aiter35fused_qk_rmsnorm_group_quant_kernelIDF16_N4opus5fp4_tELi256ELi8ELi8ELb0ELb0ELb0ELb0ELb0ELb0EEEvPT0_PvPT_S7_S7_PKS6_S9_S9_S9_S9_ffiiiiiiiiiiiii: ; @_ZN5aiter35fused_qk_rmsnorm_group_quant_kernelIDF16_N4opus5fp4_tELi256ELi8ELi8ELb0ELb0ELb0ELb0ELb0ELb0EEEvPT0_PvPT_S7_S7_PKS6_S9_S9_S9_S9_ffiiiiiiiiiiiii
; %bb.0:
	s_load_dwordx4 s[16:19], s[4:5], 0x50
	s_waitcnt lgkmcnt(0)
	s_cmp_ge_i32 s6, s18
	s_cbranch_scc1 .LBB551_12
; %bb.1:
	s_load_dwordx2 s[12:13], s[4:5], 0x48
	s_load_dwordx2 s[30:31], s[4:5], 0x30
	s_load_dwordx4 s[20:23], s[4:5], 0x60
	s_cmp_lg_u32 s7, 0
	s_cselect_b64 s[14:15], -1, 0
	s_cmp_eq_u32 s7, 0
	s_cselect_b64 vcc, -1, 0
	s_and_b64 s[0:1], vcc, exec
	s_waitcnt lgkmcnt(0)
	s_cselect_b32 s7, s19, s20
	s_add_i32 s0, s7, 1
	s_lshr_b32 s1, s0, 31
	s_add_i32 s0, s0, s1
	s_lshl_b32 s0, s0, 1
	v_lshlrev_b32_e32 v1, 3, v0
	s_and_b32 s10, s0, -4
	v_cmp_gt_i32_e64 s[2:3], s7, v1
	v_mov_b32_e32 v10, 0
	v_mov_b32_e32 v2, 0
	;; [unrolled: 1-line block ×9, first 2 shown]
	s_and_saveexec_b64 s[0:1], s[2:3]
	s_cbranch_execz .LBB551_3
; %bb.2:
	s_load_dwordx2 s[8:9], s[4:5], 0x28
	s_load_dwordx2 s[26:27], s[4:5], 0x40
	s_and_b64 s[24:25], vcc, exec
	s_cselect_b32 s11, s21, s22
	v_lshlrev_b32_e32 v11, 4, v0
	s_waitcnt lgkmcnt(0)
	s_cselect_b32 s18, s9, s31
	s_cselect_b32 s21, s8, s30
	s_mul_hi_i32 s9, s11, s6
	s_mul_i32 s8, s11, s6
	s_lshl_b64 s[8:9], s[8:9], 1
	s_add_u32 s24, s21, s8
	s_addc_u32 s18, s18, s9
	s_and_b64 s[8:9], vcc, exec
	s_mov_b32 s11, 0x20000
	s_cselect_b32 s8, s26, s12
	s_cselect_b32 s9, s27, s13
	s_and_b32 s25, s18, 0xffff
	s_mov_b32 s26, s10
	s_mov_b32 s27, s11
	s_and_b32 s9, s9, 0xffff
	buffer_load_dwordx4 v[6:9], v11, s[24:27], 0 offen glc slc
	buffer_load_dwordx4 v[2:5], v11, s[8:11], 0 offen
.LBB551_3:
	s_or_b64 exec, exec, s[0:1]
	v_mov_b32_e32 v11, 0
	v_mov_b32_e32 v16, 0
	;; [unrolled: 1-line block ×7, first 2 shown]
	s_and_saveexec_b64 s[0:1], s[2:3]
	s_cbranch_execz .LBB551_5
; %bb.4:
	s_waitcnt vmcnt(1)
	v_cvt_f32_f16_sdwa v11, v6 dst_sel:DWORD dst_unused:UNUSED_PAD src0_sel:WORD_1
	v_cvt_f32_f16_e32 v10, v6
	v_cvt_f32_f16_sdwa v17, v7 dst_sel:DWORD dst_unused:UNUSED_PAD src0_sel:WORD_1
	v_cvt_f32_f16_e32 v16, v7
	;; [unrolled: 2-line block ×4, first 2 shown]
.LBB551_5:
	s_or_b64 exec, exec, s[0:1]
	s_waitcnt vmcnt(1)
	v_mul_f32_e32 v6, v11, v11
	v_fmac_f32_e32 v6, v10, v10
	v_fmac_f32_e32 v6, v16, v16
	;; [unrolled: 1-line block ×7, first 2 shown]
	v_and_b32_e32 v8, 63, v0
	v_cmp_eq_u32_e64 s[0:1], 63, v8
	v_mov_b32_dpp v7, v6 quad_perm:[1,0,3,2] row_mask:0xf bank_mask:0xf
	v_add_f32_e32 v6, v6, v7
	s_nop 1
	v_mov_b32_dpp v7, v6 quad_perm:[2,3,0,1] row_mask:0xf bank_mask:0xf
	v_add_f32_e32 v6, v6, v7
	s_nop 1
	v_mov_b32_dpp v7, v6 row_half_mirror row_mask:0xf bank_mask:0xf
	v_add_f32_e32 v6, v6, v7
	s_nop 1
	v_mov_b32_dpp v7, v6 row_mirror row_mask:0xf bank_mask:0xf
	v_add_f32_e32 v6, v6, v7
	s_nop 1
	v_mov_b32_dpp v7, v6 row_bcast:15 row_mask:0xf bank_mask:0xf
	v_add_f32_e32 v6, v6, v7
	s_nop 1
	v_mov_b32_dpp v7, v6 row_bcast:31 row_mask:0xf bank_mask:0xf
	s_and_saveexec_b64 s[8:9], s[0:1]
	s_cbranch_execz .LBB551_7
; %bb.6:
	v_add_f32_e32 v6, v6, v7
	v_lshrrev_b32_e32 v7, 4, v0
	v_and_b32_e32 v7, 60, v7
	ds_write_b32 v7, v6 offset:16
.LBB551_7:
	s_or_b64 exec, exec, s[8:9]
	v_and_b32_e32 v6, 3, v0
	v_lshlrev_b32_e32 v18, 2, v6
	s_waitcnt lgkmcnt(0)
	s_barrier
	ds_read_b32 v6, v18 offset:16
	s_load_dwordx2 s[28:29], s[4:5], 0x18
	s_waitcnt lgkmcnt(0)
	v_mov_b32_dpp v7, v6 quad_perm:[1,0,3,2] row_mask:0xf bank_mask:0xf
	v_add_f32_e32 v6, v6, v7
	s_nop 1
	v_mov_b32_dpp v7, v6 quad_perm:[2,3,0,1] row_mask:0xf bank_mask:0xf
	s_and_saveexec_b64 s[8:9], s[2:3]
	s_cbranch_execz .LBB551_9
; %bb.8:
	v_cvt_f32_u32_e32 v8, s7
	v_add_f32_e32 v6, v6, v7
	v_mov_b32_e32 v19, s17
	v_mov_b32_e32 v20, s16
	v_div_scale_f32 v7, s[24:25], v8, v8, v6
	v_rcp_f32_e32 v9, v7
	v_cndmask_b32_e32 v19, v19, v20, vcc
	s_mov_b32 s7, 0x800000
	v_fma_f32 v20, -v7, v9, 1.0
	v_fmac_f32_e32 v9, v20, v9
	v_div_scale_f32 v20, vcc, v6, v8, v6
	v_mul_f32_e32 v21, v20, v9
	v_fma_f32 v22, -v7, v21, v20
	v_fmac_f32_e32 v21, v22, v9
	v_fma_f32 v7, -v7, v21, v20
	v_div_fmas_f32 v7, v7, v9, v21
	v_div_fixup_f32 v6, v7, v8, v6
	v_add_f32_e32 v6, v19, v6
	v_mul_f32_e32 v7, 0x4b800000, v6
	v_cmp_gt_f32_e32 vcc, s7, v6
	v_cndmask_b32_e32 v6, v6, v7, vcc
	v_rsq_f32_e32 v6, v6
	s_waitcnt vmcnt(0)
	v_cvt_f32_f16_sdwa v21, v5 dst_sel:DWORD dst_unused:UNUSED_PAD src0_sel:WORD_1
	v_cvt_f32_f16_e32 v20, v5
	v_mul_f32_e32 v7, 0x45800000, v6
	v_cndmask_b32_e32 v6, v6, v7, vcc
	v_mov_b32_e32 v7, v6
	;;#ASMSTART
	v_pk_mul_f32 v[8:9], v[10:11], v[6:7]
	;;#ASMEND
	;;#ASMSTART
	v_pk_mul_f32 v[16:17], v[16:17], v[6:7]
	;;#ASMEND
	;; [unrolled: 3-line block ×4, first 2 shown]
	v_cvt_f32_f16_sdwa v11, v2 dst_sel:DWORD dst_unused:UNUSED_PAD src0_sel:WORD_1
	v_cvt_f32_f16_e32 v10, v2
	v_cvt_f32_f16_sdwa v15, v3 dst_sel:DWORD dst_unused:UNUSED_PAD src0_sel:WORD_1
	v_cvt_f32_f16_e32 v14, v3
	;; [unrolled: 2-line block ×3, first 2 shown]
	;;#ASMSTART
	v_pk_mul_f32 v[10:11], v[8:9], v[10:11]
	;;#ASMEND
	;;#ASMSTART
	v_pk_mul_f32 v[16:17], v[16:17], v[14:15]
	;;#ASMEND
	;; [unrolled: 3-line block ×4, first 2 shown]
.LBB551_9:
	s_or_b64 exec, exec, s[8:9]
	s_load_dword s7, s[4:5], 0x80
	s_mov_b64 s[8:9], -1
	s_and_b64 vcc, exec, s[14:15]
	s_cbranch_vccnz .LBB551_13
; %bb.10:
	s_andn2_b64 vcc, exec, s[8:9]
	s_cbranch_vccz .LBB551_16
.LBB551_11:
	s_cmp_lt_i32 s20, 1
	s_cbranch_scc0 .LBB551_23
.LBB551_12:
	s_endpgm
.LBB551_13:
	s_and_saveexec_b64 s[14:15], s[2:3]
	s_cbranch_execz .LBB551_15
; %bb.14:
	s_waitcnt lgkmcnt(0)
	s_mul_hi_i32 s9, s7, s6
	s_mul_i32 s8, s7, s6
	s_waitcnt vmcnt(0)
	v_cvt_f16_f32_e32 v2, v10
	v_cvt_f16_f32_e32 v3, v16
	;; [unrolled: 1-line block ×8, first 2 shown]
	s_lshl_b64 s[8:9], s[8:9], 1
	s_add_u32 s8, s28, s8
	s_addc_u32 s9, s29, s9
	s_and_b32 s9, s9, 0xffff
	s_mov_b32 s11, 0x20000
	v_pack_b32_f16 v5, v5, v6
	v_pack_b32_f16 v4, v4, v7
	;; [unrolled: 1-line block ×4, first 2 shown]
	v_lshlrev_b32_e32 v6, 4, v0
	buffer_store_dwordx4 v[2:5], v6, s[8:11], 0 offen
	;;#ASMSTART
	s_nop 0
	;;#ASMEND
.LBB551_15:
	s_or_b64 exec, exec, s[14:15]
	s_cbranch_execnz .LBB551_11
.LBB551_16:
	s_waitcnt vmcnt(0)
	v_mov_b32_e32 v2, 0
	s_and_saveexec_b64 s[8:9], s[2:3]
	s_cbranch_execz .LBB551_18
; %bb.17:
	v_and_b32_e32 v2, 0x7fffffff, v10
	v_and_b32_e32 v3, 0x7fffffff, v11
	v_mov_b32_e32 v4, 0x2edbe6ff
	;;#ASMSTART
	v_max3_f32 v2, v4, v2, v3

	;;#ASMEND
	v_and_b32_e32 v3, 0x7fffffff, v16
	v_and_b32_e32 v4, 0x7fffffff, v17
	;;#ASMSTART
	v_max3_f32 v2, v2, v3, v4

	;;#ASMEND
	v_and_b32_e32 v3, 0x7fffffff, v12
	v_and_b32_e32 v4, 0x7fffffff, v13
	;; [unrolled: 6-line block ×3, first 2 shown]
	;;#ASMSTART
	v_max3_f32 v2, v2, v3, v4

	;;#ASMEND
.LBB551_18:
	s_or_b64 exec, exec, s[8:9]
	s_load_dwordx4 s[24:27], s[4:5], 0x70
	;;#ASMSTART
	v_max_f32 v3, v2, v2 quad_perm:[1,0,3,2] row_mask:0xf bank_mask:0xf bound_ctrl:1
	;;#ASMEND
	;;#ASMSTART
	v_max_f32 v4, v3, v3 quad_perm:[2,3,0,1] row_mask:0xf bank_mask:0xf bound_ctrl:1
	;;#ASMEND
	v_and_b32_e32 v3, 7, v0
	v_cmp_eq_u32_e32 vcc, 0, v3
	v_cmp_gt_i32_e64 s[8:9], s19, v1
	s_and_b64 s[10:11], vcc, s[8:9]
	;;#ASMSTART
	v_max_f32 v2, v4, v4 row_half_mirror row_mask:0xf bank_mask:0xf bound_ctrl:1
	;;#ASMEND
	s_and_saveexec_b64 s[8:9], s[10:11]
	s_cbranch_execz .LBB551_20
; %bb.19:
	s_load_dwordx2 s[10:11], s[4:5], 0x8
	v_mul_f32_e32 v2, 0x3e2aaaab, v2
	v_lshrrev_b32_e32 v3, 23, v2
	v_and_b32_e32 v4, 0x7f800000, v2
	v_and_b32_e32 v2, 0x7fffff, v2
	v_cmp_ne_u32_e32 vcc, 0, v2
	s_waitcnt lgkmcnt(0)
	s_mul_i32 s16, s25, s6
	s_mov_b32 s14, 0x7f800000
	v_addc_co_u32_e32 v2, vcc, 0, v3, vcc
	s_mul_hi_i32 s15, s25, s6
	s_add_u32 s10, s10, s16
	v_cmp_ne_u32_e32 vcc, s14, v4
	s_addc_u32 s11, s11, s15
	v_lshrrev_b32_e32 v5, 3, v0
	v_cndmask_b32_e32 v4, -1, v2, vcc
	v_pk_mov_b32 v[2:3], s[10:11], s[10:11] op_sel:[0,1]
	v_mad_i64_i32 v[2:3], s[10:11], s26, v5, v[2:3]
	global_store_byte v[2:3], v4, off
.LBB551_20:
	s_or_b64 exec, exec, s[8:9]
	s_and_saveexec_b64 s[8:9], s[2:3]
	s_cbranch_execz .LBB551_22
; %bb.21:
	s_load_dwordx2 s[2:3], s[4:5], 0x0
	s_waitcnt lgkmcnt(0)
	s_mul_i32 s11, s24, s6
	s_mul_hi_i32 s10, s24, s6
	v_lshlrev_b32_e32 v2, 2, v0
	s_mov_b32 s27, 0x20000
	s_add_u32 s24, s2, s11
	s_addc_u32 s2, s3, s10
	s_lshr_b32 s3, s19, 31
	s_add_i32 s3, s19, s3
	s_ashr_i32 s3, s3, 1
	s_add_i32 s3, s3, 3
	s_ashr_i32 s10, s3, 31
	s_lshr_b32 s10, s10, 30
	s_add_i32 s3, s3, s10
	s_and_b32 s26, s3, -4
	s_and_b32 s25, s2, 0xffff
	v_mov_b32_e32 v3, 0
	buffer_store_dword v3, v2, s[24:27], 0 offen
	;;#ASMSTART
	s_nop 0
	;;#ASMEND
.LBB551_22:
	s_or_b64 exec, exec, s[8:9]
	s_cmp_lt_i32 s20, 1
	s_cbranch_scc1 .LBB551_12
.LBB551_23:
	s_load_dword s2, s[4:5], 0x94
	s_waitcnt lgkmcnt(0)
	s_cmp_lg_u32 s2, 1
	s_cbranch_scc1 .LBB551_12
; %bb.24:
	s_lshl_b32 s2, s20, 1
	s_add_i32 s2, s2, 2
	v_cmp_gt_u32_e32 vcc, s20, v1
	s_and_b32 s14, s2, -4
	v_mov_b32_e32 v10, 0
	v_lshlrev_b32_e32 v1, 4, v0
	v_mov_b32_e32 v6, 0
	v_mov_b32_e32 v7, 0
	;; [unrolled: 1-line block ×4, first 2 shown]
	s_waitcnt vmcnt(0)
	v_mov_b32_e32 v2, 0
	v_mov_b32_e32 v3, 0
	;; [unrolled: 1-line block ×4, first 2 shown]
	s_barrier
	s_and_saveexec_b64 s[2:3], vcc
	s_cbranch_execz .LBB551_26
; %bb.25:
	s_mul_hi_i32 s5, s22, s6
	s_mul_i32 s4, s22, s6
	s_and_b32 s13, s13, 0xffff
	s_lshl_b64 s[4:5], s[4:5], 1
	s_add_u32 s8, s30, s4
	s_mov_b32 s15, 0x20000
	s_addc_u32 s4, s31, s5
	s_and_b32 s9, s4, 0xffff
	s_mov_b32 s10, s14
	s_mov_b32 s11, s15
	buffer_load_dwordx4 v[6:9], v1, s[8:11], 0 offen glc slc
	buffer_load_dwordx4 v[2:5], v1, s[12:15], 0 offen
.LBB551_26:
	s_or_b64 exec, exec, s[2:3]
	v_mov_b32_e32 v11, 0
	v_mov_b32_e32 v16, 0
	;; [unrolled: 1-line block ×7, first 2 shown]
	s_and_saveexec_b64 s[2:3], vcc
	s_cbranch_execz .LBB551_28
; %bb.27:
	s_waitcnt vmcnt(1)
	v_cvt_f32_f16_sdwa v11, v6 dst_sel:DWORD dst_unused:UNUSED_PAD src0_sel:WORD_1
	v_cvt_f32_f16_e32 v10, v6
	v_cvt_f32_f16_sdwa v17, v7 dst_sel:DWORD dst_unused:UNUSED_PAD src0_sel:WORD_1
	v_cvt_f32_f16_e32 v16, v7
	;; [unrolled: 2-line block ×4, first 2 shown]
.LBB551_28:
	s_or_b64 exec, exec, s[2:3]
	s_waitcnt vmcnt(1)
	v_mul_f32_e32 v6, v11, v11
	v_fmac_f32_e32 v6, v10, v10
	v_fmac_f32_e32 v6, v16, v16
	;; [unrolled: 1-line block ×7, first 2 shown]
	s_nop 1
	v_mov_b32_dpp v7, v6 quad_perm:[1,0,3,2] row_mask:0xf bank_mask:0xf
	v_add_f32_e32 v6, v6, v7
	s_nop 1
	v_mov_b32_dpp v7, v6 quad_perm:[2,3,0,1] row_mask:0xf bank_mask:0xf
	v_add_f32_e32 v6, v6, v7
	s_nop 1
	v_mov_b32_dpp v7, v6 row_half_mirror row_mask:0xf bank_mask:0xf
	v_add_f32_e32 v6, v6, v7
	s_nop 1
	v_mov_b32_dpp v7, v6 row_mirror row_mask:0xf bank_mask:0xf
	v_add_f32_e32 v6, v6, v7
	s_nop 1
	v_mov_b32_dpp v7, v6 row_bcast:15 row_mask:0xf bank_mask:0xf
	v_add_f32_e32 v6, v6, v7
	s_nop 1
	v_mov_b32_dpp v7, v6 row_bcast:31 row_mask:0xf bank_mask:0xf
	s_and_saveexec_b64 s[2:3], s[0:1]
	s_cbranch_execz .LBB551_30
; %bb.29:
	v_lshrrev_b32_e32 v0, 4, v0
	v_add_f32_e32 v6, v6, v7
	v_and_b32_e32 v0, 60, v0
	ds_write_b32 v0, v6
.LBB551_30:
	s_or_b64 exec, exec, s[2:3]
	s_waitcnt lgkmcnt(0)
	s_barrier
	ds_read_b32 v0, v18
	s_waitcnt lgkmcnt(0)
	s_nop 0
	v_mov_b32_dpp v6, v0 quad_perm:[1,0,3,2] row_mask:0xf bank_mask:0xf
	v_add_f32_e32 v0, v0, v6
	s_nop 1
	v_mov_b32_dpp v6, v0 quad_perm:[2,3,0,1] row_mask:0xf bank_mask:0xf
	s_and_saveexec_b64 s[0:1], vcc
	s_cbranch_execz .LBB551_12
; %bb.31:
	v_cvt_f32_u32_e32 v7, s20
	v_add_f32_e32 v0, v0, v6
	s_mov_b32 s15, 0x20000
	v_div_scale_f32 v6, s[0:1], v7, v7, v0
	v_rcp_f32_e32 v8, v6
	v_div_scale_f32 v9, vcc, v0, v7, v0
	s_mov_b32 s0, 0x800000
	v_fma_f32 v18, -v6, v8, 1.0
	v_fmac_f32_e32 v8, v18, v8
	v_mul_f32_e32 v18, v9, v8
	v_fma_f32 v19, -v6, v18, v9
	v_fmac_f32_e32 v18, v19, v8
	v_fma_f32 v6, -v6, v18, v9
	v_div_fmas_f32 v6, v6, v8, v18
	v_div_fixup_f32 v0, v6, v7, v0
	v_add_f32_e32 v0, s17, v0
	v_mul_f32_e32 v6, 0x4b800000, v0
	v_cmp_gt_f32_e32 vcc, s0, v0
	v_cndmask_b32_e32 v0, v0, v6, vcc
	v_rsq_f32_e32 v0, v0
	s_waitcnt vmcnt(0)
	v_cvt_f32_f16_sdwa v19, v5 dst_sel:DWORD dst_unused:UNUSED_PAD src0_sel:WORD_1
	v_cvt_f32_f16_e32 v18, v5
	s_mul_hi_i32 s1, s7, s6
	v_mul_f32_e32 v6, 0x45800000, v0
	v_cndmask_b32_e32 v6, v0, v6, vcc
	v_mov_b32_e32 v7, v6
	;;#ASMSTART
	v_pk_mul_f32 v[8:9], v[10:11], v[6:7]
	;;#ASMEND
	;;#ASMSTART
	v_pk_mul_f32 v[10:11], v[16:17], v[6:7]
	;;#ASMEND
	;; [unrolled: 3-line block ×4, first 2 shown]
	v_cvt_f32_f16_sdwa v13, v2 dst_sel:DWORD dst_unused:UNUSED_PAD src0_sel:WORD_1
	v_cvt_f32_f16_e32 v12, v2
	v_cvt_f32_f16_sdwa v17, v3 dst_sel:DWORD dst_unused:UNUSED_PAD src0_sel:WORD_1
	v_cvt_f32_f16_e32 v16, v3
	;; [unrolled: 2-line block ×3, first 2 shown]
	;;#ASMSTART
	v_pk_mul_f32 v[4:5], v[8:9], v[12:13]
	;;#ASMEND
	;;#ASMSTART
	v_pk_mul_f32 v[8:9], v[10:11], v[16:17]
	;;#ASMEND
	;;#ASMSTART
	v_pk_mul_f32 v[2:3], v[14:15], v[2:3]
	;;#ASMEND
	;;#ASMSTART
	v_pk_mul_f32 v[6:7], v[6:7], v[18:19]
	;;#ASMEND
	s_mul_i32 s0, s7, s6
	v_cvt_f16_f32_e32 v0, v4
	v_cvt_f16_f32_e32 v4, v5
	;; [unrolled: 1-line block ×8, first 2 shown]
	s_lshl_b64 s[0:1], s[0:1], 1
	s_add_u32 s12, s28, s0
	s_addc_u32 s0, s29, s1
	s_and_b32 s13, s0, 0xffff
	v_pack_b32_f16 v2, v0, v4
	v_pack_b32_f16 v3, v5, v8
	;; [unrolled: 1-line block ×4, first 2 shown]
	buffer_store_dwordx4 v[2:5], v1, s[12:15], 0 offen
	;;#ASMSTART
	s_nop 0
	;;#ASMEND
	s_endpgm
	.section	.rodata,"a",@progbits
	.p2align	6, 0x0
	.amdhsa_kernel _ZN5aiter35fused_qk_rmsnorm_group_quant_kernelIDF16_N4opus5fp4_tELi256ELi8ELi8ELb0ELb0ELb0ELb0ELb0ELb0EEEvPT0_PvPT_S7_S7_PKS6_S9_S9_S9_S9_ffiiiiiiiiiiiii
		.amdhsa_group_segment_fixed_size 32
		.amdhsa_private_segment_fixed_size 0
		.amdhsa_kernarg_size 400
		.amdhsa_user_sgpr_count 6
		.amdhsa_user_sgpr_private_segment_buffer 1
		.amdhsa_user_sgpr_dispatch_ptr 0
		.amdhsa_user_sgpr_queue_ptr 0
		.amdhsa_user_sgpr_kernarg_segment_ptr 1
		.amdhsa_user_sgpr_dispatch_id 0
		.amdhsa_user_sgpr_flat_scratch_init 0
		.amdhsa_user_sgpr_kernarg_preload_length 0
		.amdhsa_user_sgpr_kernarg_preload_offset 0
		.amdhsa_user_sgpr_private_segment_size 0
		.amdhsa_uses_dynamic_stack 0
		.amdhsa_system_sgpr_private_segment_wavefront_offset 0
		.amdhsa_system_sgpr_workgroup_id_x 1
		.amdhsa_system_sgpr_workgroup_id_y 1
		.amdhsa_system_sgpr_workgroup_id_z 0
		.amdhsa_system_sgpr_workgroup_info 0
		.amdhsa_system_vgpr_workitem_id 0
		.amdhsa_next_free_vgpr 23
		.amdhsa_next_free_sgpr 32
		.amdhsa_accum_offset 24
		.amdhsa_reserve_vcc 1
		.amdhsa_reserve_flat_scratch 0
		.amdhsa_float_round_mode_32 0
		.amdhsa_float_round_mode_16_64 0
		.amdhsa_float_denorm_mode_32 3
		.amdhsa_float_denorm_mode_16_64 3
		.amdhsa_dx10_clamp 1
		.amdhsa_ieee_mode 1
		.amdhsa_fp16_overflow 0
		.amdhsa_tg_split 0
		.amdhsa_exception_fp_ieee_invalid_op 0
		.amdhsa_exception_fp_denorm_src 0
		.amdhsa_exception_fp_ieee_div_zero 0
		.amdhsa_exception_fp_ieee_overflow 0
		.amdhsa_exception_fp_ieee_underflow 0
		.amdhsa_exception_fp_ieee_inexact 0
		.amdhsa_exception_int_div_zero 0
	.end_amdhsa_kernel
	.section	.text._ZN5aiter35fused_qk_rmsnorm_group_quant_kernelIDF16_N4opus5fp4_tELi256ELi8ELi8ELb0ELb0ELb0ELb0ELb0ELb0EEEvPT0_PvPT_S7_S7_PKS6_S9_S9_S9_S9_ffiiiiiiiiiiiii,"axG",@progbits,_ZN5aiter35fused_qk_rmsnorm_group_quant_kernelIDF16_N4opus5fp4_tELi256ELi8ELi8ELb0ELb0ELb0ELb0ELb0ELb0EEEvPT0_PvPT_S7_S7_PKS6_S9_S9_S9_S9_ffiiiiiiiiiiiii,comdat
.Lfunc_end551:
	.size	_ZN5aiter35fused_qk_rmsnorm_group_quant_kernelIDF16_N4opus5fp4_tELi256ELi8ELi8ELb0ELb0ELb0ELb0ELb0ELb0EEEvPT0_PvPT_S7_S7_PKS6_S9_S9_S9_S9_ffiiiiiiiiiiiii, .Lfunc_end551-_ZN5aiter35fused_qk_rmsnorm_group_quant_kernelIDF16_N4opus5fp4_tELi256ELi8ELi8ELb0ELb0ELb0ELb0ELb0ELb0EEEvPT0_PvPT_S7_S7_PKS6_S9_S9_S9_S9_ffiiiiiiiiiiiii
                                        ; -- End function
	.section	.AMDGPU.csdata,"",@progbits
; Kernel info:
; codeLenInByte = 2296
; NumSgprs: 36
; NumVgprs: 23
; NumAgprs: 0
; TotalNumVgprs: 23
; ScratchSize: 0
; MemoryBound: 0
; FloatMode: 240
; IeeeMode: 1
; LDSByteSize: 32 bytes/workgroup (compile time only)
; SGPRBlocks: 4
; VGPRBlocks: 2
; NumSGPRsForWavesPerEU: 36
; NumVGPRsForWavesPerEU: 23
; AccumOffset: 24
; Occupancy: 8
; WaveLimiterHint : 0
; COMPUTE_PGM_RSRC2:SCRATCH_EN: 0
; COMPUTE_PGM_RSRC2:USER_SGPR: 6
; COMPUTE_PGM_RSRC2:TRAP_HANDLER: 0
; COMPUTE_PGM_RSRC2:TGID_X_EN: 1
; COMPUTE_PGM_RSRC2:TGID_Y_EN: 1
; COMPUTE_PGM_RSRC2:TGID_Z_EN: 0
; COMPUTE_PGM_RSRC2:TIDIG_COMP_CNT: 0
; COMPUTE_PGM_RSRC3_GFX90A:ACCUM_OFFSET: 5
; COMPUTE_PGM_RSRC3_GFX90A:TG_SPLIT: 0
	.section	.text._ZN5aiter35fused_qk_rmsnorm_group_quant_kernelItN4opus5fp4_tELi256ELi8ELi8ELb0ELb0ELb0ELb0ELb0ELb0EEEvPT0_PvPT_S7_S7_PKS6_S9_S9_S9_S9_ffiiiiiiiiiiiii,"axG",@progbits,_ZN5aiter35fused_qk_rmsnorm_group_quant_kernelItN4opus5fp4_tELi256ELi8ELi8ELb0ELb0ELb0ELb0ELb0ELb0EEEvPT0_PvPT_S7_S7_PKS6_S9_S9_S9_S9_ffiiiiiiiiiiiii,comdat
	.protected	_ZN5aiter35fused_qk_rmsnorm_group_quant_kernelItN4opus5fp4_tELi256ELi8ELi8ELb0ELb0ELb0ELb0ELb0ELb0EEEvPT0_PvPT_S7_S7_PKS6_S9_S9_S9_S9_ffiiiiiiiiiiiii ; -- Begin function _ZN5aiter35fused_qk_rmsnorm_group_quant_kernelItN4opus5fp4_tELi256ELi8ELi8ELb0ELb0ELb0ELb0ELb0ELb0EEEvPT0_PvPT_S7_S7_PKS6_S9_S9_S9_S9_ffiiiiiiiiiiiii
	.globl	_ZN5aiter35fused_qk_rmsnorm_group_quant_kernelItN4opus5fp4_tELi256ELi8ELi8ELb0ELb0ELb0ELb0ELb0ELb0EEEvPT0_PvPT_S7_S7_PKS6_S9_S9_S9_S9_ffiiiiiiiiiiiii
	.p2align	8
	.type	_ZN5aiter35fused_qk_rmsnorm_group_quant_kernelItN4opus5fp4_tELi256ELi8ELi8ELb0ELb0ELb0ELb0ELb0ELb0EEEvPT0_PvPT_S7_S7_PKS6_S9_S9_S9_S9_ffiiiiiiiiiiiii,@function
_ZN5aiter35fused_qk_rmsnorm_group_quant_kernelItN4opus5fp4_tELi256ELi8ELi8ELb0ELb0ELb0ELb0ELb0ELb0EEEvPT0_PvPT_S7_S7_PKS6_S9_S9_S9_S9_ffiiiiiiiiiiiii: ; @_ZN5aiter35fused_qk_rmsnorm_group_quant_kernelItN4opus5fp4_tELi256ELi8ELi8ELb0ELb0ELb0ELb0ELb0ELb0EEEvPT0_PvPT_S7_S7_PKS6_S9_S9_S9_S9_ffiiiiiiiiiiiii
; %bb.0:
	s_load_dwordx4 s[16:19], s[4:5], 0x50
	s_waitcnt lgkmcnt(0)
	s_cmp_ge_i32 s6, s18
	s_cbranch_scc1 .LBB552_10
; %bb.1:
	s_load_dwordx2 s[12:13], s[4:5], 0x48
	s_load_dwordx2 s[30:31], s[4:5], 0x30
	s_load_dwordx4 s[20:23], s[4:5], 0x60
	s_cmp_lg_u32 s7, 0
	s_cselect_b64 s[14:15], -1, 0
	s_cmp_eq_u32 s7, 0
	s_cselect_b64 vcc, -1, 0
	s_and_b64 s[0:1], vcc, exec
	s_waitcnt lgkmcnt(0)
	s_cselect_b32 s7, s19, s20
	s_add_i32 s0, s7, 1
	s_lshr_b32 s1, s0, 31
	s_add_i32 s0, s0, s1
	s_lshl_b32 s0, s0, 1
	v_lshlrev_b32_e32 v1, 3, v0
	s_and_b32 s10, s0, -4
	v_cmp_gt_i32_e64 s[2:3], s7, v1
	v_mov_b32_e32 v2, 0
	v_mov_b32_e32 v3, 0
	;; [unrolled: 1-line block ×8, first 2 shown]
	s_and_saveexec_b64 s[0:1], s[2:3]
	s_cbranch_execz .LBB552_3
; %bb.2:
	s_load_dwordx2 s[8:9], s[4:5], 0x28
	s_load_dwordx2 s[26:27], s[4:5], 0x40
	s_and_b64 s[24:25], vcc, exec
	s_cselect_b32 s11, s21, s22
	v_lshlrev_b32_e32 v10, 4, v0
	s_waitcnt lgkmcnt(0)
	s_cselect_b32 s18, s9, s31
	s_cselect_b32 s21, s8, s30
	s_mul_hi_i32 s9, s11, s6
	s_mul_i32 s8, s11, s6
	s_lshl_b64 s[8:9], s[8:9], 1
	s_add_u32 s24, s21, s8
	s_addc_u32 s18, s18, s9
	s_and_b64 s[8:9], vcc, exec
	s_mov_b32 s11, 0x20000
	s_cselect_b32 s8, s26, s12
	s_cselect_b32 s9, s27, s13
	s_and_b32 s25, s18, 0xffff
	s_mov_b32 s26, s10
	s_mov_b32 s27, s11
	s_and_b32 s9, s9, 0xffff
	buffer_load_dwordx4 v[6:9], v10, s[24:27], 0 offen glc slc
	buffer_load_dwordx4 v[2:5], v10, s[8:11], 0 offen
.LBB552_3:
	s_or_b64 exec, exec, s[0:1]
	s_waitcnt vmcnt(1)
	v_cvt_f32_u32_sdwa v13, v6 dst_sel:DWORD dst_unused:UNUSED_PAD src0_sel:WORD_1
	v_cvt_f32_u32_sdwa v12, v6 dst_sel:DWORD dst_unused:UNUSED_PAD src0_sel:WORD_0
	v_cvt_f32_u32_sdwa v6, v9 dst_sel:DWORD dst_unused:UNUSED_PAD src0_sel:WORD_1
	v_cvt_f32_u32_sdwa v9, v9 dst_sel:DWORD dst_unused:UNUSED_PAD src0_sel:WORD_0
	v_cvt_f32_u32_sdwa v14, v8 dst_sel:DWORD dst_unused:UNUSED_PAD src0_sel:WORD_1
	v_cvt_f32_u32_sdwa v10, v7 dst_sel:DWORD dst_unused:UNUSED_PAD src0_sel:WORD_0
	v_cvt_f32_u32_sdwa v11, v7 dst_sel:DWORD dst_unused:UNUSED_PAD src0_sel:WORD_1
	v_cvt_f32_u32_sdwa v8, v8 dst_sel:DWORD dst_unused:UNUSED_PAD src0_sel:WORD_0
	v_cndmask_b32_e64 v13, 0, v13, s[2:3]
	v_cndmask_b32_e64 v7, 0, v6, s[2:3]
	;; [unrolled: 1-line block ×5, first 2 shown]
	v_mul_f32_e32 v14, v13, v13
	v_cndmask_b32_e64 v10, 0, v10, s[2:3]
	v_fmac_f32_e32 v14, v12, v12
	v_cndmask_b32_e64 v11, 0, v11, s[2:3]
	v_fmac_f32_e32 v14, v10, v10
	;; [unrolled: 2-line block ×3, first 2 shown]
	v_fmac_f32_e32 v14, v8, v8
	v_fmac_f32_e32 v14, v9, v9
	;; [unrolled: 1-line block ×4, first 2 shown]
	v_and_b32_e32 v16, 63, v0
	v_cmp_eq_u32_e64 s[0:1], 63, v16
	v_mov_b32_dpp v15, v14 quad_perm:[1,0,3,2] row_mask:0xf bank_mask:0xf
	v_add_f32_e32 v14, v14, v15
	s_nop 1
	v_mov_b32_dpp v15, v14 quad_perm:[2,3,0,1] row_mask:0xf bank_mask:0xf
	v_add_f32_e32 v14, v14, v15
	s_nop 1
	v_mov_b32_dpp v15, v14 row_half_mirror row_mask:0xf bank_mask:0xf
	v_add_f32_e32 v14, v14, v15
	s_nop 1
	v_mov_b32_dpp v15, v14 row_mirror row_mask:0xf bank_mask:0xf
	v_add_f32_e32 v14, v14, v15
	s_nop 1
	v_mov_b32_dpp v15, v14 row_bcast:15 row_mask:0xf bank_mask:0xf
	v_add_f32_e32 v14, v14, v15
	s_nop 1
	v_mov_b32_dpp v15, v14 row_bcast:31 row_mask:0xf bank_mask:0xf
	s_and_saveexec_b64 s[8:9], s[0:1]
	s_cbranch_execz .LBB552_5
; %bb.4:
	v_add_f32_e32 v14, v14, v15
	v_lshrrev_b32_e32 v15, 4, v0
	v_and_b32_e32 v15, 60, v15
	ds_write_b32 v15, v14 offset:16
.LBB552_5:
	s_or_b64 exec, exec, s[8:9]
	v_and_b32_e32 v14, 3, v0
	v_lshlrev_b32_e32 v14, 2, v14
	s_waitcnt lgkmcnt(0)
	s_barrier
	ds_read_b32 v15, v14 offset:16
	s_load_dwordx2 s[28:29], s[4:5], 0x18
	s_waitcnt lgkmcnt(0)
	v_mov_b32_dpp v16, v15 quad_perm:[1,0,3,2] row_mask:0xf bank_mask:0xf
	v_add_f32_e32 v15, v15, v16
	s_nop 1
	v_mov_b32_dpp v16, v15 quad_perm:[2,3,0,1] row_mask:0xf bank_mask:0xf
	s_and_saveexec_b64 s[8:9], s[2:3]
	s_cbranch_execz .LBB552_7
; %bb.6:
	v_cvt_f32_u32_e32 v17, s7
	v_add_f32_e32 v15, v15, v16
	v_mov_b32_e32 v19, s17
	v_mov_b32_e32 v20, s16
	v_div_scale_f32 v16, s[24:25], v17, v17, v15
	v_rcp_f32_e32 v18, v16
	v_cndmask_b32_e32 v19, v19, v20, vcc
	s_mov_b32 s7, 0x800000
	v_fma_f32 v20, -v16, v18, 1.0
	v_fmac_f32_e32 v18, v20, v18
	v_div_scale_f32 v20, vcc, v15, v17, v15
	v_mul_f32_e32 v21, v20, v18
	v_fma_f32 v22, -v16, v21, v20
	v_fmac_f32_e32 v21, v22, v18
	v_fma_f32 v16, -v16, v21, v20
	v_div_fmas_f32 v16, v16, v18, v21
	v_div_fixup_f32 v15, v16, v17, v15
	v_add_f32_e32 v15, v19, v15
	v_mul_f32_e32 v16, 0x4b800000, v15
	v_cmp_gt_f32_e32 vcc, s7, v15
	v_cndmask_b32_e32 v15, v15, v16, vcc
	v_rsq_f32_e32 v15, v15
	s_waitcnt vmcnt(0)
	v_cvt_f32_u32_sdwa v19, v3 dst_sel:DWORD dst_unused:UNUSED_PAD src0_sel:WORD_1
	v_cvt_f32_u32_sdwa v18, v3 dst_sel:DWORD dst_unused:UNUSED_PAD src0_sel:WORD_0
	v_cvt_f32_u32_sdwa v3, v4 dst_sel:DWORD dst_unused:UNUSED_PAD src0_sel:WORD_1
	v_mul_f32_e32 v16, 0x45800000, v15
	v_cndmask_b32_e32 v16, v15, v16, vcc
	v_mov_b32_e32 v17, v16
	;;#ASMSTART
	v_pk_mul_f32 v[12:13], v[12:13], v[16:17]
	;;#ASMEND
	;;#ASMSTART
	v_pk_mul_f32 v[10:11], v[10:11], v[16:17]
	;;#ASMEND
	;;#ASMSTART
	v_pk_mul_f32 v[8:9], v[8:9], v[16:17]
	;;#ASMEND
	;;#ASMSTART
	v_pk_mul_f32 v[6:7], v[6:7], v[16:17]
	;;#ASMEND
	v_cvt_f32_u32_sdwa v17, v2 dst_sel:DWORD dst_unused:UNUSED_PAD src0_sel:WORD_1
	v_cvt_f32_u32_sdwa v16, v2 dst_sel:DWORD dst_unused:UNUSED_PAD src0_sel:WORD_0
	v_cvt_f32_u32_sdwa v2, v4 dst_sel:DWORD dst_unused:UNUSED_PAD src0_sel:WORD_0
	v_cvt_f32_u32_sdwa v21, v5 dst_sel:DWORD dst_unused:UNUSED_PAD src0_sel:WORD_1
	v_cvt_f32_u32_sdwa v20, v5 dst_sel:DWORD dst_unused:UNUSED_PAD src0_sel:WORD_0
	;;#ASMSTART
	v_pk_mul_f32 v[12:13], v[12:13], v[16:17]
	;;#ASMEND
	;;#ASMSTART
	v_pk_mul_f32 v[10:11], v[10:11], v[18:19]
	;;#ASMEND
	;; [unrolled: 3-line block ×4, first 2 shown]
.LBB552_7:
	s_or_b64 exec, exec, s[8:9]
	s_load_dword s7, s[4:5], 0x80
	s_mov_b64 s[8:9], -1
	s_and_b64 vcc, exec, s[14:15]
	s_cbranch_vccnz .LBB552_11
; %bb.8:
	s_andn2_b64 vcc, exec, s[8:9]
	s_cbranch_vccz .LBB552_14
.LBB552_9:
	s_cmp_lt_i32 s20, 1
	s_cbranch_scc0 .LBB552_21
.LBB552_10:
	s_endpgm
.LBB552_11:
	s_and_saveexec_b64 s[14:15], s[2:3]
	s_cbranch_execz .LBB552_13
; %bb.12:
	s_waitcnt lgkmcnt(0)
	s_mul_hi_i32 s9, s7, s6
	s_mul_i32 s8, s7, s6
	s_lshl_b64 s[8:9], s[8:9], 1
	s_add_u32 s8, s28, s8
	s_addc_u32 s9, s29, s9
	s_mov_b32 s16, 0x7060302
	s_and_b32 s9, s9, 0xffff
	s_mov_b32 s11, 0x20000
	s_waitcnt vmcnt(0)
	v_perm_b32 v2, v13, v12, s16
	v_perm_b32 v3, v11, v10, s16
	;; [unrolled: 1-line block ×4, first 2 shown]
	v_lshlrev_b32_e32 v15, 4, v0
	buffer_store_dwordx4 v[2:5], v15, s[8:11], 0 offen
	;;#ASMSTART
	s_nop 0
	;;#ASMEND
.LBB552_13:
	s_or_b64 exec, exec, s[14:15]
	s_cbranch_execnz .LBB552_9
.LBB552_14:
	s_waitcnt vmcnt(0)
	v_mov_b32_e32 v2, 0
	s_and_saveexec_b64 s[8:9], s[2:3]
	s_cbranch_execz .LBB552_16
; %bb.15:
	v_and_b32_e32 v2, 0x7fffffff, v12
	v_and_b32_e32 v3, 0x7fffffff, v13
	v_mov_b32_e32 v4, 0x2edbe6ff
	;;#ASMSTART
	v_max3_f32 v2, v4, v2, v3

	;;#ASMEND
	v_and_b32_e32 v3, 0x7fffffff, v10
	v_and_b32_e32 v4, 0x7fffffff, v11
	;;#ASMSTART
	v_max3_f32 v2, v2, v3, v4

	;;#ASMEND
	v_and_b32_e32 v3, 0x7fffffff, v8
	v_and_b32_e32 v4, 0x7fffffff, v9
	;; [unrolled: 6-line block ×3, first 2 shown]
	;;#ASMSTART
	v_max3_f32 v2, v2, v3, v4

	;;#ASMEND
.LBB552_16:
	s_or_b64 exec, exec, s[8:9]
	s_load_dwordx4 s[24:27], s[4:5], 0x70
	;;#ASMSTART
	v_max_f32 v3, v2, v2 quad_perm:[1,0,3,2] row_mask:0xf bank_mask:0xf bound_ctrl:1
	;;#ASMEND
	;;#ASMSTART
	v_max_f32 v4, v3, v3 quad_perm:[2,3,0,1] row_mask:0xf bank_mask:0xf bound_ctrl:1
	;;#ASMEND
	v_and_b32_e32 v3, 7, v0
	v_cmp_eq_u32_e32 vcc, 0, v3
	v_cmp_gt_i32_e64 s[8:9], s19, v1
	s_and_b64 s[10:11], vcc, s[8:9]
	;;#ASMSTART
	v_max_f32 v2, v4, v4 row_half_mirror row_mask:0xf bank_mask:0xf bound_ctrl:1
	;;#ASMEND
	s_and_saveexec_b64 s[8:9], s[10:11]
	s_cbranch_execz .LBB552_18
; %bb.17:
	s_load_dwordx2 s[10:11], s[4:5], 0x8
	v_mul_f32_e32 v2, 0x3e2aaaab, v2
	v_lshrrev_b32_e32 v3, 23, v2
	v_and_b32_e32 v4, 0x7f800000, v2
	v_and_b32_e32 v2, 0x7fffff, v2
	v_cmp_ne_u32_e32 vcc, 0, v2
	s_waitcnt lgkmcnt(0)
	s_mul_i32 s16, s25, s6
	s_mov_b32 s14, 0x7f800000
	v_addc_co_u32_e32 v2, vcc, 0, v3, vcc
	s_mul_hi_i32 s15, s25, s6
	s_add_u32 s10, s10, s16
	v_cmp_ne_u32_e32 vcc, s14, v4
	s_addc_u32 s11, s11, s15
	v_lshrrev_b32_e32 v5, 3, v0
	v_cndmask_b32_e32 v4, -1, v2, vcc
	v_pk_mov_b32 v[2:3], s[10:11], s[10:11] op_sel:[0,1]
	v_mad_i64_i32 v[2:3], s[10:11], s26, v5, v[2:3]
	global_store_byte v[2:3], v4, off
.LBB552_18:
	s_or_b64 exec, exec, s[8:9]
	s_and_saveexec_b64 s[8:9], s[2:3]
	s_cbranch_execz .LBB552_20
; %bb.19:
	s_load_dwordx2 s[2:3], s[4:5], 0x0
	s_waitcnt lgkmcnt(0)
	s_mul_i32 s11, s24, s6
	s_mul_hi_i32 s10, s24, s6
	v_lshlrev_b32_e32 v2, 2, v0
	s_mov_b32 s27, 0x20000
	s_add_u32 s24, s2, s11
	s_addc_u32 s2, s3, s10
	s_lshr_b32 s3, s19, 31
	s_add_i32 s3, s19, s3
	s_ashr_i32 s3, s3, 1
	s_add_i32 s3, s3, 3
	s_ashr_i32 s10, s3, 31
	s_lshr_b32 s10, s10, 30
	s_add_i32 s3, s3, s10
	s_and_b32 s26, s3, -4
	s_and_b32 s25, s2, 0xffff
	v_mov_b32_e32 v3, 0
	buffer_store_dword v3, v2, s[24:27], 0 offen
	;;#ASMSTART
	s_nop 0
	;;#ASMEND
.LBB552_20:
	s_or_b64 exec, exec, s[8:9]
	s_cmp_lt_i32 s20, 1
	s_cbranch_scc1 .LBB552_10
.LBB552_21:
	s_load_dword s2, s[4:5], 0x94
	s_waitcnt lgkmcnt(0)
	s_cmp_lg_u32 s2, 1
	s_cbranch_scc1 .LBB552_10
; %bb.22:
	s_lshl_b32 s2, s20, 1
	s_add_i32 s2, s2, 2
	v_cmp_gt_u32_e32 vcc, s20, v1
	s_and_b32 s14, s2, -4
	v_mov_b32_e32 v6, 0
	v_lshlrev_b32_e32 v1, 4, v0
	v_mov_b32_e32 v7, 0
	v_mov_b32_e32 v8, 0
	;; [unrolled: 1-line block ×3, first 2 shown]
	s_waitcnt vmcnt(0)
	v_mov_b32_e32 v2, 0
	v_mov_b32_e32 v3, 0
	;; [unrolled: 1-line block ×4, first 2 shown]
	s_barrier
	s_and_saveexec_b64 s[2:3], vcc
	s_cbranch_execz .LBB552_24
; %bb.23:
	s_mul_hi_i32 s5, s22, s6
	s_mul_i32 s4, s22, s6
	s_and_b32 s13, s13, 0xffff
	s_lshl_b64 s[4:5], s[4:5], 1
	s_add_u32 s8, s30, s4
	s_mov_b32 s15, 0x20000
	s_addc_u32 s4, s31, s5
	s_and_b32 s9, s4, 0xffff
	s_mov_b32 s10, s14
	s_mov_b32 s11, s15
	buffer_load_dwordx4 v[6:9], v1, s[8:11], 0 offen glc slc
	buffer_load_dwordx4 v[2:5], v1, s[12:15], 0 offen
.LBB552_24:
	s_or_b64 exec, exec, s[2:3]
	s_waitcnt vmcnt(1)
	v_cvt_f32_u32_sdwa v13, v6 dst_sel:DWORD dst_unused:UNUSED_PAD src0_sel:WORD_1
	v_cvt_f32_u32_sdwa v12, v6 dst_sel:DWORD dst_unused:UNUSED_PAD src0_sel:WORD_0
	v_cvt_f32_u32_sdwa v6, v9 dst_sel:DWORD dst_unused:UNUSED_PAD src0_sel:WORD_1
	v_cvt_f32_u32_sdwa v9, v9 dst_sel:DWORD dst_unused:UNUSED_PAD src0_sel:WORD_0
	;; [unrolled: 2-line block ×4, first 2 shown]
	v_cndmask_b32_e32 v13, 0, v13, vcc
	v_cndmask_b32_e32 v7, 0, v6, vcc
	;; [unrolled: 1-line block ×5, first 2 shown]
	v_mul_f32_e32 v15, v13, v13
	v_cndmask_b32_e32 v10, 0, v10, vcc
	v_fmac_f32_e32 v15, v12, v12
	v_cndmask_b32_e32 v11, 0, v11, vcc
	v_fmac_f32_e32 v15, v10, v10
	;; [unrolled: 2-line block ×3, first 2 shown]
	v_fmac_f32_e32 v15, v8, v8
	v_fmac_f32_e32 v15, v9, v9
	;; [unrolled: 1-line block ×4, first 2 shown]
	s_nop 1
	v_mov_b32_dpp v16, v15 quad_perm:[1,0,3,2] row_mask:0xf bank_mask:0xf
	v_add_f32_e32 v15, v15, v16
	s_nop 1
	v_mov_b32_dpp v16, v15 quad_perm:[2,3,0,1] row_mask:0xf bank_mask:0xf
	v_add_f32_e32 v15, v15, v16
	s_nop 1
	v_mov_b32_dpp v16, v15 row_half_mirror row_mask:0xf bank_mask:0xf
	v_add_f32_e32 v15, v15, v16
	s_nop 1
	v_mov_b32_dpp v16, v15 row_mirror row_mask:0xf bank_mask:0xf
	v_add_f32_e32 v15, v15, v16
	s_nop 1
	v_mov_b32_dpp v16, v15 row_bcast:15 row_mask:0xf bank_mask:0xf
	v_add_f32_e32 v15, v15, v16
	s_nop 1
	v_mov_b32_dpp v16, v15 row_bcast:31 row_mask:0xf bank_mask:0xf
	s_and_saveexec_b64 s[2:3], s[0:1]
	s_cbranch_execz .LBB552_26
; %bb.25:
	v_lshrrev_b32_e32 v0, 4, v0
	v_add_f32_e32 v15, v15, v16
	v_and_b32_e32 v0, 60, v0
	ds_write_b32 v0, v15
.LBB552_26:
	s_or_b64 exec, exec, s[2:3]
	s_waitcnt lgkmcnt(0)
	s_barrier
	ds_read_b32 v0, v14
	s_waitcnt lgkmcnt(0)
	s_nop 0
	v_mov_b32_dpp v14, v0 quad_perm:[1,0,3,2] row_mask:0xf bank_mask:0xf
	v_add_f32_e32 v0, v0, v14
	s_nop 1
	v_mov_b32_dpp v14, v0 quad_perm:[2,3,0,1] row_mask:0xf bank_mask:0xf
	s_and_saveexec_b64 s[0:1], vcc
	s_cbranch_execz .LBB552_10
; %bb.27:
	v_cvt_f32_u32_e32 v15, s20
	v_add_f32_e32 v0, v0, v14
	s_mov_b32 s15, 0x20000
	v_div_scale_f32 v14, s[0:1], v15, v15, v0
	v_rcp_f32_e32 v16, v14
	v_div_scale_f32 v17, vcc, v0, v15, v0
	s_mov_b32 s0, 0x800000
	v_fma_f32 v18, -v14, v16, 1.0
	v_fmac_f32_e32 v16, v18, v16
	v_mul_f32_e32 v18, v17, v16
	v_fma_f32 v19, -v14, v18, v17
	v_fmac_f32_e32 v18, v19, v16
	v_fma_f32 v14, -v14, v18, v17
	v_div_fmas_f32 v14, v14, v16, v18
	v_div_fixup_f32 v0, v14, v15, v0
	v_add_f32_e32 v0, s17, v0
	v_mul_f32_e32 v14, 0x4b800000, v0
	v_cmp_gt_f32_e32 vcc, s0, v0
	v_cndmask_b32_e32 v0, v0, v14, vcc
	v_rsq_f32_e32 v0, v0
	s_mul_hi_i32 s1, s7, s6
	s_mul_i32 s0, s7, s6
	s_lshl_b64 s[0:1], s[0:1], 1
	v_mul_f32_e32 v14, 0x45800000, v0
	v_cndmask_b32_e32 v14, v0, v14, vcc
	s_add_u32 s12, s28, s0
	v_mov_b32_e32 v15, v14
	s_addc_u32 s0, s29, s1
	;;#ASMSTART
	v_pk_mul_f32 v[12:13], v[12:13], v[14:15]
	;;#ASMEND
	;;#ASMSTART
	v_pk_mul_f32 v[10:11], v[10:11], v[14:15]
	;;#ASMEND
	;; [unrolled: 3-line block ×4, first 2 shown]
	s_waitcnt vmcnt(0)
	v_cvt_f32_u32_sdwa v15, v2 dst_sel:DWORD dst_unused:UNUSED_PAD src0_sel:WORD_1
	v_cvt_f32_u32_sdwa v14, v2 dst_sel:DWORD dst_unused:UNUSED_PAD src0_sel:WORD_0
	v_cvt_f32_u32_sdwa v17, v3 dst_sel:DWORD dst_unused:UNUSED_PAD src0_sel:WORD_1
	v_cvt_f32_u32_sdwa v16, v3 dst_sel:DWORD dst_unused:UNUSED_PAD src0_sel:WORD_0
	v_cvt_f32_u32_sdwa v3, v4 dst_sel:DWORD dst_unused:UNUSED_PAD src0_sel:WORD_1
	v_cvt_f32_u32_sdwa v2, v4 dst_sel:DWORD dst_unused:UNUSED_PAD src0_sel:WORD_0
	v_cvt_f32_u32_sdwa v19, v5 dst_sel:DWORD dst_unused:UNUSED_PAD src0_sel:WORD_1
	v_cvt_f32_u32_sdwa v18, v5 dst_sel:DWORD dst_unused:UNUSED_PAD src0_sel:WORD_0
	;;#ASMSTART
	v_pk_mul_f32 v[4:5], v[12:13], v[14:15]
	;;#ASMEND
	s_and_b32 s13, s0, 0xffff
	s_mov_b32 s0, 0x7060302
	;;#ASMSTART
	v_pk_mul_f32 v[10:11], v[10:11], v[16:17]
	;;#ASMEND
	;;#ASMSTART
	v_pk_mul_f32 v[8:9], v[8:9], v[2:3]
	;;#ASMEND
	;; [unrolled: 3-line block ×3, first 2 shown]
	v_perm_b32 v2, v5, v4, s0
	v_perm_b32 v3, v11, v10, s0
	;; [unrolled: 1-line block ×4, first 2 shown]
	buffer_store_dwordx4 v[2:5], v1, s[12:15], 0 offen
	;;#ASMSTART
	s_nop 0
	;;#ASMEND
	s_endpgm
	.section	.rodata,"a",@progbits
	.p2align	6, 0x0
	.amdhsa_kernel _ZN5aiter35fused_qk_rmsnorm_group_quant_kernelItN4opus5fp4_tELi256ELi8ELi8ELb0ELb0ELb0ELb0ELb0ELb0EEEvPT0_PvPT_S7_S7_PKS6_S9_S9_S9_S9_ffiiiiiiiiiiiii
		.amdhsa_group_segment_fixed_size 32
		.amdhsa_private_segment_fixed_size 0
		.amdhsa_kernarg_size 400
		.amdhsa_user_sgpr_count 6
		.amdhsa_user_sgpr_private_segment_buffer 1
		.amdhsa_user_sgpr_dispatch_ptr 0
		.amdhsa_user_sgpr_queue_ptr 0
		.amdhsa_user_sgpr_kernarg_segment_ptr 1
		.amdhsa_user_sgpr_dispatch_id 0
		.amdhsa_user_sgpr_flat_scratch_init 0
		.amdhsa_user_sgpr_kernarg_preload_length 0
		.amdhsa_user_sgpr_kernarg_preload_offset 0
		.amdhsa_user_sgpr_private_segment_size 0
		.amdhsa_uses_dynamic_stack 0
		.amdhsa_system_sgpr_private_segment_wavefront_offset 0
		.amdhsa_system_sgpr_workgroup_id_x 1
		.amdhsa_system_sgpr_workgroup_id_y 1
		.amdhsa_system_sgpr_workgroup_id_z 0
		.amdhsa_system_sgpr_workgroup_info 0
		.amdhsa_system_vgpr_workitem_id 0
		.amdhsa_next_free_vgpr 23
		.amdhsa_next_free_sgpr 32
		.amdhsa_accum_offset 24
		.amdhsa_reserve_vcc 1
		.amdhsa_reserve_flat_scratch 0
		.amdhsa_float_round_mode_32 0
		.amdhsa_float_round_mode_16_64 0
		.amdhsa_float_denorm_mode_32 3
		.amdhsa_float_denorm_mode_16_64 3
		.amdhsa_dx10_clamp 1
		.amdhsa_ieee_mode 1
		.amdhsa_fp16_overflow 0
		.amdhsa_tg_split 0
		.amdhsa_exception_fp_ieee_invalid_op 0
		.amdhsa_exception_fp_denorm_src 0
		.amdhsa_exception_fp_ieee_div_zero 0
		.amdhsa_exception_fp_ieee_overflow 0
		.amdhsa_exception_fp_ieee_underflow 0
		.amdhsa_exception_fp_ieee_inexact 0
		.amdhsa_exception_int_div_zero 0
	.end_amdhsa_kernel
	.section	.text._ZN5aiter35fused_qk_rmsnorm_group_quant_kernelItN4opus5fp4_tELi256ELi8ELi8ELb0ELb0ELb0ELb0ELb0ELb0EEEvPT0_PvPT_S7_S7_PKS6_S9_S9_S9_S9_ffiiiiiiiiiiiii,"axG",@progbits,_ZN5aiter35fused_qk_rmsnorm_group_quant_kernelItN4opus5fp4_tELi256ELi8ELi8ELb0ELb0ELb0ELb0ELb0ELb0EEEvPT0_PvPT_S7_S7_PKS6_S9_S9_S9_S9_ffiiiiiiiiiiiii,comdat
.Lfunc_end552:
	.size	_ZN5aiter35fused_qk_rmsnorm_group_quant_kernelItN4opus5fp4_tELi256ELi8ELi8ELb0ELb0ELb0ELb0ELb0ELb0EEEvPT0_PvPT_S7_S7_PKS6_S9_S9_S9_S9_ffiiiiiiiiiiiii, .Lfunc_end552-_ZN5aiter35fused_qk_rmsnorm_group_quant_kernelItN4opus5fp4_tELi256ELi8ELi8ELb0ELb0ELb0ELb0ELb0ELb0EEEvPT0_PvPT_S7_S7_PKS6_S9_S9_S9_S9_ffiiiiiiiiiiiii
                                        ; -- End function
	.section	.AMDGPU.csdata,"",@progbits
; Kernel info:
; codeLenInByte = 2312
; NumSgprs: 36
; NumVgprs: 23
; NumAgprs: 0
; TotalNumVgprs: 23
; ScratchSize: 0
; MemoryBound: 0
; FloatMode: 240
; IeeeMode: 1
; LDSByteSize: 32 bytes/workgroup (compile time only)
; SGPRBlocks: 4
; VGPRBlocks: 2
; NumSGPRsForWavesPerEU: 36
; NumVGPRsForWavesPerEU: 23
; AccumOffset: 24
; Occupancy: 8
; WaveLimiterHint : 0
; COMPUTE_PGM_RSRC2:SCRATCH_EN: 0
; COMPUTE_PGM_RSRC2:USER_SGPR: 6
; COMPUTE_PGM_RSRC2:TRAP_HANDLER: 0
; COMPUTE_PGM_RSRC2:TGID_X_EN: 1
; COMPUTE_PGM_RSRC2:TGID_Y_EN: 1
; COMPUTE_PGM_RSRC2:TGID_Z_EN: 0
; COMPUTE_PGM_RSRC2:TIDIG_COMP_CNT: 0
; COMPUTE_PGM_RSRC3_GFX90A:ACCUM_OFFSET: 5
; COMPUTE_PGM_RSRC3_GFX90A:TG_SPLIT: 0
	.section	.text._ZN5aiter35fused_qk_rmsnorm_group_quant_kernelIDF16_DB8_Li256ELi8ELi4ELb1ELb1ELb1ELb1ELb0ELb0EEEvPT0_PvPT_S6_S6_PKS5_S8_S8_S8_S8_ffiiiiiiiiiiiii,"axG",@progbits,_ZN5aiter35fused_qk_rmsnorm_group_quant_kernelIDF16_DB8_Li256ELi8ELi4ELb1ELb1ELb1ELb1ELb0ELb0EEEvPT0_PvPT_S6_S6_PKS5_S8_S8_S8_S8_ffiiiiiiiiiiiii,comdat
	.protected	_ZN5aiter35fused_qk_rmsnorm_group_quant_kernelIDF16_DB8_Li256ELi8ELi4ELb1ELb1ELb1ELb1ELb0ELb0EEEvPT0_PvPT_S6_S6_PKS5_S8_S8_S8_S8_ffiiiiiiiiiiiii ; -- Begin function _ZN5aiter35fused_qk_rmsnorm_group_quant_kernelIDF16_DB8_Li256ELi8ELi4ELb1ELb1ELb1ELb1ELb0ELb0EEEvPT0_PvPT_S6_S6_PKS5_S8_S8_S8_S8_ffiiiiiiiiiiiii
	.globl	_ZN5aiter35fused_qk_rmsnorm_group_quant_kernelIDF16_DB8_Li256ELi8ELi4ELb1ELb1ELb1ELb1ELb0ELb0EEEvPT0_PvPT_S6_S6_PKS5_S8_S8_S8_S8_ffiiiiiiiiiiiii
	.p2align	8
	.type	_ZN5aiter35fused_qk_rmsnorm_group_quant_kernelIDF16_DB8_Li256ELi8ELi4ELb1ELb1ELb1ELb1ELb0ELb0EEEvPT0_PvPT_S6_S6_PKS5_S8_S8_S8_S8_ffiiiiiiiiiiiii,@function
_ZN5aiter35fused_qk_rmsnorm_group_quant_kernelIDF16_DB8_Li256ELi8ELi4ELb1ELb1ELb1ELb1ELb0ELb0EEEvPT0_PvPT_S6_S6_PKS5_S8_S8_S8_S8_ffiiiiiiiiiiiii: ; @_ZN5aiter35fused_qk_rmsnorm_group_quant_kernelIDF16_DB8_Li256ELi8ELi4ELb1ELb1ELb1ELb1ELb0ELb0EEEvPT0_PvPT_S6_S6_PKS5_S8_S8_S8_S8_ffiiiiiiiiiiiii
; %bb.0:
	s_load_dwordx8 s[12:19], s[4:5], 0x50
	s_waitcnt lgkmcnt(0)
	s_cmp_ge_i32 s6, s14
	s_cbranch_scc1 .LBB553_17
; %bb.1:
	s_cmp_lg_u32 s7, 0
	s_cselect_b64 s[22:23], -1, 0
	s_cmp_eq_u32 s7, 0
	s_cselect_b64 s[2:3], -1, 0
	s_and_b64 s[0:1], s[2:3], exec
	s_cselect_b32 s7, s15, s16
	s_load_dwordx2 s[10:11], s[4:5], 0x30
	s_load_dwordx2 s[20:21], s[4:5], 0x48
	s_add_i32 s0, s7, 1
	s_lshr_b32 s1, s0, 31
	s_add_i32 s0, s0, s1
	s_lshl_b32 s0, s0, 1
	v_lshlrev_b32_e32 v1, 3, v0
	s_and_b32 s30, s0, -4
	v_cmp_gt_i32_e64 s[0:1], s7, v1
	v_mov_b32_e32 v2, 0
	v_mov_b32_e32 v3, 0
	;; [unrolled: 1-line block ×8, first 2 shown]
	s_and_saveexec_b64 s[8:9], s[0:1]
	s_cbranch_execz .LBB553_3
; %bb.2:
	s_load_dwordx2 s[14:15], s[4:5], 0x28
	s_load_dwordx2 s[26:27], s[4:5], 0x40
	s_and_b64 s[24:25], s[2:3], exec
	s_cselect_b32 s17, s17, s18
	s_mov_b32 s31, 0x20000
	s_waitcnt lgkmcnt(0)
	s_cselect_b32 s25, s15, s11
	s_cselect_b32 s24, s14, s10
	s_mul_hi_i32 s15, s17, s6
	s_mul_i32 s14, s17, s6
	s_lshl_b64 s[14:15], s[14:15], 1
	s_add_u32 s24, s24, s14
	s_addc_u32 s17, s25, s15
	s_and_b64 s[14:15], s[2:3], exec
	s_cselect_b32 s28, s26, s20
	s_cselect_b32 s14, s27, s21
	v_lshlrev_b32_e32 v10, 4, v0
	s_and_b32 s25, s17, 0xffff
	s_mov_b32 s26, s30
	s_mov_b32 s27, s31
	s_and_b32 s29, s14, 0xffff
	buffer_load_dwordx4 v[6:9], v10, s[24:27], 0 offen glc slc
	buffer_load_dwordx4 v[2:5], v10, s[28:31], 0 offen
.LBB553_3:
	s_or_b64 exec, exec, s[8:9]
	s_load_dwordx4 s[24:27], s[4:5], 0x7c
	s_and_b64 vcc, exec, s[22:23]
	s_cbranch_vccz .LBB553_7
; %bb.4:
	v_mov_b32_e32 v11, 0
	v_mov_b32_e32 v10, 0
	;; [unrolled: 1-line block ×8, first 2 shown]
	s_and_saveexec_b64 s[8:9], s[0:1]
	s_cbranch_execz .LBB553_6
; %bb.5:
	s_waitcnt vmcnt(1)
	v_cvt_f32_f16_sdwa v13, v6 dst_sel:DWORD dst_unused:UNUSED_PAD src0_sel:WORD_1
	v_cvt_f32_f16_e32 v12, v6
	v_cvt_f32_f16_sdwa v17, v7 dst_sel:DWORD dst_unused:UNUSED_PAD src0_sel:WORD_1
	v_cvt_f32_f16_e32 v16, v7
	;; [unrolled: 2-line block ×4, first 2 shown]
.LBB553_6:
	s_or_b64 exec, exec, s[8:9]
	s_cbranch_execz .LBB553_8
	s_branch .LBB553_11
.LBB553_7:
                                        ; implicit-def: $vgpr11
                                        ; implicit-def: $vgpr15
                                        ; implicit-def: $vgpr17
                                        ; implicit-def: $vgpr13
.LBB553_8:
	v_mov_b32_e32 v11, 0
	v_mov_b32_e32 v10, 0
	;; [unrolled: 1-line block ×8, first 2 shown]
	s_and_saveexec_b64 s[8:9], s[0:1]
	s_cbranch_execz .LBB553_10
; %bb.9:
	s_load_dwordx2 s[14:15], s[4:5], 0x38
	s_mul_hi_i32 s29, s19, s6
	s_mul_i32 s28, s19, s6
	s_lshl_b64 s[28:29], s[28:29], 1
	s_mov_b32 s31, 0x20000
	s_waitcnt lgkmcnt(0)
	s_add_u32 s28, s14, s28
	s_addc_u32 s14, s15, s29
	s_and_b32 s29, s14, 0xffff
	v_lshlrev_b32_e32 v24, 4, v0
	buffer_load_dwordx4 v[10:13], v24, s[28:31], 0 offen glc slc
	s_waitcnt vmcnt(2)
	v_cvt_f32_f16_sdwa v15, v6 dst_sel:DWORD dst_unused:UNUSED_PAD src0_sel:WORD_1
	v_cvt_f32_f16_e32 v14, v6
	v_cvt_f32_f16_sdwa v17, v7 dst_sel:DWORD dst_unused:UNUSED_PAD src0_sel:WORD_1
	v_cvt_f32_f16_e32 v16, v7
	;; [unrolled: 2-line block ×4, first 2 shown]
	s_load_dwordx2 s[14:15], s[4:5], 0x20
	s_mul_hi_i32 s27, s26, s6
	s_mul_i32 s26, s26, s6
	s_lshl_b64 s[26:27], s[26:27], 1
	s_waitcnt lgkmcnt(0)
	s_add_u32 s28, s14, s26
	s_addc_u32 s14, s15, s27
	s_and_b32 s29, s14, 0xffff
	s_waitcnt vmcnt(0)
	v_cvt_f32_f16_e32 v8, v10
	v_cvt_f32_f16_sdwa v9, v10 dst_sel:DWORD dst_unused:UNUSED_PAD src0_sel:WORD_1
	v_cvt_f32_f16_e32 v10, v11
	v_cvt_f32_f16_sdwa v11, v11 dst_sel:DWORD dst_unused:UNUSED_PAD src0_sel:WORD_1
	;; [unrolled: 2-line block ×4, first 2 shown]
	v_pk_add_f32 v[12:13], v[14:15], v[8:9]
	v_pk_add_f32 v[16:17], v[16:17], v[10:11]
	;; [unrolled: 1-line block ×4, first 2 shown]
	v_cvt_f16_f32_e32 v6, v13
	v_cvt_f16_f32_e32 v7, v17
	v_cvt_f16_f32_e32 v8, v15
	v_cvt_f16_f32_e32 v9, v11
	v_cvt_f16_f32_e32 v18, v10
	v_cvt_f16_f32_e32 v19, v14
	v_cvt_f16_f32_e32 v20, v16
	v_cvt_f16_f32_e32 v21, v12
	v_pack_b32_f16 v9, v18, v9
	v_pack_b32_f16 v8, v19, v8
	v_pack_b32_f16 v7, v20, v7
	v_pack_b32_f16 v6, v21, v6
	buffer_store_dwordx4 v[6:9], v24, s[28:31], 0 offen glc slc
	;;#ASMSTART
	s_nop 0
	;;#ASMEND
.LBB553_10:
	s_or_b64 exec, exec, s[8:9]
.LBB553_11:
	s_waitcnt vmcnt(1)
	v_mul_f32_e32 v6, v13, v13
	v_fmac_f32_e32 v6, v12, v12
	v_fmac_f32_e32 v6, v16, v16
	;; [unrolled: 1-line block ×7, first 2 shown]
	v_and_b32_e32 v8, 63, v0
	v_cmp_eq_u32_e64 s[8:9], 63, v8
	v_mov_b32_dpp v7, v6 quad_perm:[1,0,3,2] row_mask:0xf bank_mask:0xf
	v_add_f32_e32 v6, v6, v7
	s_nop 1
	v_mov_b32_dpp v7, v6 quad_perm:[2,3,0,1] row_mask:0xf bank_mask:0xf
	v_add_f32_e32 v6, v6, v7
	s_nop 1
	v_mov_b32_dpp v7, v6 row_half_mirror row_mask:0xf bank_mask:0xf
	v_add_f32_e32 v6, v6, v7
	s_nop 1
	v_mov_b32_dpp v7, v6 row_mirror row_mask:0xf bank_mask:0xf
	v_add_f32_e32 v6, v6, v7
	s_nop 1
	v_mov_b32_dpp v7, v6 row_bcast:15 row_mask:0xf bank_mask:0xf
	v_add_f32_e32 v6, v6, v7
	s_nop 1
	v_mov_b32_dpp v7, v6 row_bcast:31 row_mask:0xf bank_mask:0xf
	s_and_saveexec_b64 s[14:15], s[8:9]
	s_cbranch_execz .LBB553_13
; %bb.12:
	v_add_f32_e32 v6, v6, v7
	v_lshrrev_b32_e32 v7, 4, v0
	v_and_b32_e32 v7, 60, v7
	ds_write_b32 v7, v6 offset:16
.LBB553_13:
	s_or_b64 exec, exec, s[14:15]
	v_and_b32_e32 v6, 3, v0
	v_lshlrev_b32_e32 v18, 2, v6
	s_waitcnt lgkmcnt(0)
	s_barrier
	ds_read_b32 v6, v18 offset:16
	s_load_dwordx2 s[14:15], s[4:5], 0x18
	s_waitcnt lgkmcnt(0)
	v_mov_b32_dpp v7, v6 quad_perm:[1,0,3,2] row_mask:0xf bank_mask:0xf
	v_add_f32_e32 v6, v6, v7
	s_nop 1
	v_mov_b32_dpp v7, v6 quad_perm:[2,3,0,1] row_mask:0xf bank_mask:0xf
	s_and_saveexec_b64 s[26:27], s[0:1]
	s_cbranch_execnz .LBB553_18
; %bb.14:
	s_or_b64 exec, exec, s[26:27]
	s_mov_b64 s[2:3], -1
	s_and_b64 vcc, exec, s[22:23]
	s_cbranch_vccnz .LBB553_19
.LBB553_15:
	s_andn2_b64 vcc, exec, s[2:3]
	s_cbranch_vccz .LBB553_22
.LBB553_16:
	s_cmp_lt_i32 s16, 1
	s_cbranch_scc0 .LBB553_25
.LBB553_17:
	s_endpgm
.LBB553_18:
	v_cvt_f32_u32_e32 v8, s7
	v_add_f32_e32 v6, v6, v7
	v_mov_b32_e32 v19, s13
	v_mov_b32_e32 v20, s12
	v_div_scale_f32 v7, s[28:29], v8, v8, v6
	v_rcp_f32_e32 v9, v7
	v_cndmask_b32_e64 v19, v19, v20, s[2:3]
	s_mov_b32 s2, 0x800000
	v_fma_f32 v20, -v7, v9, 1.0
	v_fmac_f32_e32 v9, v20, v9
	v_div_scale_f32 v20, vcc, v6, v8, v6
	v_mul_f32_e32 v21, v20, v9
	v_fma_f32 v22, -v7, v21, v20
	v_fmac_f32_e32 v21, v22, v9
	v_fma_f32 v7, -v7, v21, v20
	v_div_fmas_f32 v7, v7, v9, v21
	v_div_fixup_f32 v6, v7, v8, v6
	v_add_f32_e32 v6, v19, v6
	v_mul_f32_e32 v7, 0x4b800000, v6
	v_cmp_gt_f32_e32 vcc, s2, v6
	v_cndmask_b32_e32 v6, v6, v7, vcc
	v_rsq_f32_e32 v6, v6
	s_waitcnt vmcnt(0)
	v_cvt_f32_f16_sdwa v21, v3 dst_sel:DWORD dst_unused:UNUSED_PAD src0_sel:WORD_1
	v_cvt_f32_f16_e32 v20, v3
	v_mul_f32_e32 v7, 0x45800000, v6
	v_cndmask_b32_e32 v6, v6, v7, vcc
	v_mov_b32_e32 v7, v6
	;;#ASMSTART
	v_pk_mul_f32 v[8:9], v[12:13], v[6:7]
	;;#ASMEND
	v_cvt_f32_f16_sdwa v13, v2 dst_sel:DWORD dst_unused:UNUSED_PAD src0_sel:WORD_1
	v_cvt_f32_f16_e32 v12, v2
	;;#ASMSTART
	v_pk_mul_f32 v[16:17], v[16:17], v[6:7]
	;;#ASMEND
	;;#ASMSTART
	v_pk_mul_f32 v[14:15], v[14:15], v[6:7]
	;;#ASMEND
	;; [unrolled: 3-line block ×3, first 2 shown]
	v_pk_add_f32 v[6:7], v[12:13], 1.0 op_sel_hi:[1,0]
	;;#ASMSTART
	v_pk_mul_f32 v[12:13], v[8:9], v[6:7]
	;;#ASMEND
	v_cvt_f32_f16_sdwa v9, v4 dst_sel:DWORD dst_unused:UNUSED_PAD src0_sel:WORD_1
	v_cvt_f32_f16_e32 v8, v4
	v_cvt_f32_f16_sdwa v11, v5 dst_sel:DWORD dst_unused:UNUSED_PAD src0_sel:WORD_1
	v_cvt_f32_f16_e32 v10, v5
	v_pk_add_f32 v[6:7], v[20:21], 1.0 op_sel_hi:[1,0]
	v_pk_add_f32 v[4:5], v[8:9], 1.0 op_sel_hi:[1,0]
	;;#ASMSTART
	v_pk_mul_f32 v[16:17], v[16:17], v[6:7]
	;;#ASMEND
	;;#ASMSTART
	v_pk_mul_f32 v[14:15], v[14:15], v[4:5]
	;;#ASMEND
	v_pk_add_f32 v[4:5], v[10:11], 1.0 op_sel_hi:[1,0]
	;;#ASMSTART
	v_pk_mul_f32 v[10:11], v[2:3], v[4:5]
	;;#ASMEND
	s_or_b64 exec, exec, s[26:27]
	s_mov_b64 s[2:3], -1
	s_and_b64 vcc, exec, s[22:23]
	s_cbranch_vccz .LBB553_15
.LBB553_19:
	s_and_saveexec_b64 s[2:3], s[0:1]
	s_cbranch_execz .LBB553_21
; %bb.20:
	s_mul_hi_i32 s23, s25, s6
	s_mul_i32 s22, s25, s6
	s_waitcnt vmcnt(0)
	v_cvt_f16_f32_e32 v2, v12
	v_cvt_f16_f32_e32 v3, v16
	;; [unrolled: 1-line block ×8, first 2 shown]
	s_lshl_b64 s[22:23], s[22:23], 1
	s_add_u32 s28, s14, s22
	s_addc_u32 s7, s15, s23
	s_and_b32 s29, s7, 0xffff
	s_mov_b32 s31, 0x20000
	v_pack_b32_f16 v5, v5, v6
	v_pack_b32_f16 v4, v4, v7
	;; [unrolled: 1-line block ×4, first 2 shown]
	v_lshlrev_b32_e32 v6, 4, v0
	buffer_store_dwordx4 v[2:5], v6, s[28:31], 0 offen
	;;#ASMSTART
	s_nop 0
	;;#ASMEND
.LBB553_21:
	s_or_b64 exec, exec, s[2:3]
	s_cbranch_execnz .LBB553_16
.LBB553_22:
	s_and_saveexec_b64 s[2:3], s[0:1]
	s_cbranch_execz .LBB553_24
; %bb.23:
	s_load_dwordx2 s[0:1], s[4:5], 0x10
	s_mul_hi_i32 s23, s24, s6
	s_mul_i32 s22, s24, s6
	s_waitcnt vmcnt(0)
	v_cvt_f16_f32_e32 v2, v12
	v_cvt_f16_f32_e32 v3, v16
	;; [unrolled: 1-line block ×8, first 2 shown]
	s_lshl_b64 s[22:23], s[22:23], 1
	s_waitcnt lgkmcnt(0)
	s_add_u32 s28, s0, s22
	s_addc_u32 s0, s1, s23
	s_mov_b32 s31, 0x20000
	s_and_b32 s29, s0, 0xffff
	v_pack_b32_f16 v5, v5, v6
	v_pack_b32_f16 v4, v4, v7
	;; [unrolled: 1-line block ×4, first 2 shown]
	v_lshlrev_b32_e32 v6, 4, v0
	buffer_store_dwordx4 v[2:5], v6, s[28:31], 0 offen
	;;#ASMSTART
	s_nop 0
	;;#ASMEND
.LBB553_24:
	s_or_b64 exec, exec, s[2:3]
	s_cmp_lt_i32 s16, 1
	s_cbranch_scc1 .LBB553_17
.LBB553_25:
	s_load_dword s0, s[4:5], 0x94
	s_waitcnt lgkmcnt(0)
	s_cmp_lg_u32 s0, 1
	s_cbranch_scc1 .LBB553_17
; %bb.26:
	s_lshl_b32 s0, s16, 1
	s_add_i32 s0, s0, 2
	v_cmp_gt_u32_e32 vcc, s16, v1
	s_and_b32 s22, s0, -4
	v_mov_b32_e32 v10, 0
	v_lshlrev_b32_e32 v1, 4, v0
	v_mov_b32_e32 v6, 0
	v_mov_b32_e32 v7, 0
	;; [unrolled: 1-line block ×4, first 2 shown]
	s_waitcnt vmcnt(0)
	v_mov_b32_e32 v2, 0
	v_mov_b32_e32 v3, 0
	;; [unrolled: 1-line block ×4, first 2 shown]
	s_barrier
	s_and_saveexec_b64 s[0:1], vcc
	s_cbranch_execz .LBB553_28
; %bb.27:
	s_mul_hi_i32 s3, s18, s6
	s_mul_i32 s2, s18, s6
	s_and_b32 s21, s21, 0xffff
	s_lshl_b64 s[2:3], s[2:3], 1
	s_add_u32 s28, s10, s2
	s_mov_b32 s23, 0x20000
	s_addc_u32 s2, s11, s3
	s_and_b32 s29, s2, 0xffff
	s_mov_b32 s30, s22
	s_mov_b32 s31, s23
	buffer_load_dwordx4 v[6:9], v1, s[28:31], 0 offen glc slc
	buffer_load_dwordx4 v[2:5], v1, s[20:23], 0 offen
.LBB553_28:
	s_or_b64 exec, exec, s[0:1]
	v_mov_b32_e32 v11, 0
	v_mov_b32_e32 v16, 0
	;; [unrolled: 1-line block ×7, first 2 shown]
	s_and_saveexec_b64 s[0:1], vcc
	s_cbranch_execz .LBB553_30
; %bb.29:
	s_waitcnt vmcnt(1)
	v_cvt_f32_f16_sdwa v11, v6 dst_sel:DWORD dst_unused:UNUSED_PAD src0_sel:WORD_1
	v_cvt_f32_f16_e32 v10, v6
	v_cvt_f32_f16_sdwa v17, v7 dst_sel:DWORD dst_unused:UNUSED_PAD src0_sel:WORD_1
	v_cvt_f32_f16_e32 v16, v7
	;; [unrolled: 2-line block ×4, first 2 shown]
.LBB553_30:
	s_or_b64 exec, exec, s[0:1]
	s_waitcnt vmcnt(1)
	v_mul_f32_e32 v6, v11, v11
	v_fmac_f32_e32 v6, v10, v10
	v_fmac_f32_e32 v6, v16, v16
	;; [unrolled: 1-line block ×7, first 2 shown]
	s_nop 1
	v_mov_b32_dpp v7, v6 quad_perm:[1,0,3,2] row_mask:0xf bank_mask:0xf
	v_add_f32_e32 v6, v6, v7
	s_nop 1
	v_mov_b32_dpp v7, v6 quad_perm:[2,3,0,1] row_mask:0xf bank_mask:0xf
	v_add_f32_e32 v6, v6, v7
	s_nop 1
	v_mov_b32_dpp v7, v6 row_half_mirror row_mask:0xf bank_mask:0xf
	v_add_f32_e32 v6, v6, v7
	s_nop 1
	v_mov_b32_dpp v7, v6 row_mirror row_mask:0xf bank_mask:0xf
	v_add_f32_e32 v6, v6, v7
	s_nop 1
	v_mov_b32_dpp v7, v6 row_bcast:15 row_mask:0xf bank_mask:0xf
	v_add_f32_e32 v6, v6, v7
	s_nop 1
	v_mov_b32_dpp v7, v6 row_bcast:31 row_mask:0xf bank_mask:0xf
	s_and_saveexec_b64 s[0:1], s[8:9]
	s_cbranch_execz .LBB553_32
; %bb.31:
	v_lshrrev_b32_e32 v0, 4, v0
	v_add_f32_e32 v6, v6, v7
	v_and_b32_e32 v0, 60, v0
	ds_write_b32 v0, v6
.LBB553_32:
	s_or_b64 exec, exec, s[0:1]
	s_waitcnt lgkmcnt(0)
	s_barrier
	ds_read_b32 v0, v18
	s_waitcnt lgkmcnt(0)
	s_nop 0
	v_mov_b32_dpp v6, v0 quad_perm:[1,0,3,2] row_mask:0xf bank_mask:0xf
	v_add_f32_e32 v0, v0, v6
	s_nop 1
	v_mov_b32_dpp v6, v0 quad_perm:[2,3,0,1] row_mask:0xf bank_mask:0xf
	s_and_saveexec_b64 s[0:1], vcc
	s_cbranch_execz .LBB553_17
; %bb.33:
	v_cvt_f32_u32_e32 v7, s16
	v_add_f32_e32 v0, v0, v6
	s_mov_b32 s23, 0x20000
	v_div_scale_f32 v6, s[0:1], v7, v7, v0
	v_rcp_f32_e32 v8, v6
	v_div_scale_f32 v9, vcc, v0, v7, v0
	s_mov_b32 s0, 0x800000
	v_fma_f32 v18, -v6, v8, 1.0
	v_fmac_f32_e32 v8, v18, v8
	v_mul_f32_e32 v18, v9, v8
	v_fma_f32 v19, -v6, v18, v9
	v_fmac_f32_e32 v18, v19, v8
	v_fma_f32 v6, -v6, v18, v9
	v_div_fmas_f32 v6, v6, v8, v18
	v_div_fixup_f32 v0, v6, v7, v0
	v_add_f32_e32 v0, s13, v0
	v_mul_f32_e32 v6, 0x4b800000, v0
	v_cmp_gt_f32_e32 vcc, s0, v0
	v_cndmask_b32_e32 v0, v0, v6, vcc
	v_rsq_f32_e32 v0, v0
	s_waitcnt vmcnt(0)
	v_cvt_f32_f16_sdwa v19, v3 dst_sel:DWORD dst_unused:UNUSED_PAD src0_sel:WORD_1
	v_cvt_f32_f16_e32 v18, v3
	s_mul_hi_i32 s1, s25, s6
	v_mul_f32_e32 v6, 0x45800000, v0
	v_cndmask_b32_e32 v6, v0, v6, vcc
	v_mov_b32_e32 v7, v6
	;;#ASMSTART
	v_pk_mul_f32 v[8:9], v[10:11], v[6:7]
	;;#ASMEND
	;;#ASMSTART
	v_pk_mul_f32 v[10:11], v[16:17], v[6:7]
	;;#ASMEND
	v_cvt_f32_f16_sdwa v17, v2 dst_sel:DWORD dst_unused:UNUSED_PAD src0_sel:WORD_1
	v_cvt_f32_f16_e32 v16, v2
	;;#ASMSTART
	v_pk_mul_f32 v[14:15], v[14:15], v[6:7]
	;;#ASMEND
	;;#ASMSTART
	v_pk_mul_f32 v[2:3], v[12:13], v[6:7]
	;;#ASMEND
	v_cvt_f32_f16_sdwa v13, v4 dst_sel:DWORD dst_unused:UNUSED_PAD src0_sel:WORD_1
	v_cvt_f32_f16_e32 v12, v4
	v_pk_add_f32 v[6:7], v[16:17], 1.0 op_sel_hi:[1,0]
	v_cvt_f32_f16_sdwa v17, v5 dst_sel:DWORD dst_unused:UNUSED_PAD src0_sel:WORD_1
	v_cvt_f32_f16_e32 v16, v5
	;;#ASMSTART
	v_pk_mul_f32 v[6:7], v[8:9], v[6:7]
	;;#ASMEND
	v_pk_add_f32 v[8:9], v[18:19], 1.0 op_sel_hi:[1,0]
	;;#ASMSTART
	v_pk_mul_f32 v[4:5], v[10:11], v[8:9]
	;;#ASMEND
	v_pk_add_f32 v[8:9], v[12:13], 1.0 op_sel_hi:[1,0]
	;; [unrolled: 4-line block ×3, first 2 shown]
	;;#ASMSTART
	v_pk_mul_f32 v[2:3], v[2:3], v[10:11]
	;;#ASMEND
	s_mul_i32 s0, s25, s6
	v_cvt_f16_f32_e32 v0, v6
	v_cvt_f16_f32_e32 v6, v7
	;; [unrolled: 1-line block ×8, first 2 shown]
	s_lshl_b64 s[0:1], s[0:1], 1
	s_add_u32 s20, s14, s0
	s_addc_u32 s0, s15, s1
	s_and_b32 s21, s0, 0xffff
	v_pack_b32_f16 v2, v0, v6
	v_pack_b32_f16 v3, v4, v5
	v_pack_b32_f16 v4, v7, v8
	v_pack_b32_f16 v5, v9, v10
	buffer_store_dwordx4 v[2:5], v1, s[20:23], 0 offen
	;;#ASMSTART
	s_nop 0
	;;#ASMEND
	s_endpgm
	.section	.rodata,"a",@progbits
	.p2align	6, 0x0
	.amdhsa_kernel _ZN5aiter35fused_qk_rmsnorm_group_quant_kernelIDF16_DB8_Li256ELi8ELi4ELb1ELb1ELb1ELb1ELb0ELb0EEEvPT0_PvPT_S6_S6_PKS5_S8_S8_S8_S8_ffiiiiiiiiiiiii
		.amdhsa_group_segment_fixed_size 32
		.amdhsa_private_segment_fixed_size 0
		.amdhsa_kernarg_size 400
		.amdhsa_user_sgpr_count 6
		.amdhsa_user_sgpr_private_segment_buffer 1
		.amdhsa_user_sgpr_dispatch_ptr 0
		.amdhsa_user_sgpr_queue_ptr 0
		.amdhsa_user_sgpr_kernarg_segment_ptr 1
		.amdhsa_user_sgpr_dispatch_id 0
		.amdhsa_user_sgpr_flat_scratch_init 0
		.amdhsa_user_sgpr_kernarg_preload_length 0
		.amdhsa_user_sgpr_kernarg_preload_offset 0
		.amdhsa_user_sgpr_private_segment_size 0
		.amdhsa_uses_dynamic_stack 0
		.amdhsa_system_sgpr_private_segment_wavefront_offset 0
		.amdhsa_system_sgpr_workgroup_id_x 1
		.amdhsa_system_sgpr_workgroup_id_y 1
		.amdhsa_system_sgpr_workgroup_id_z 0
		.amdhsa_system_sgpr_workgroup_info 0
		.amdhsa_system_vgpr_workitem_id 0
		.amdhsa_next_free_vgpr 25
		.amdhsa_next_free_sgpr 32
		.amdhsa_accum_offset 28
		.amdhsa_reserve_vcc 1
		.amdhsa_reserve_flat_scratch 0
		.amdhsa_float_round_mode_32 0
		.amdhsa_float_round_mode_16_64 0
		.amdhsa_float_denorm_mode_32 3
		.amdhsa_float_denorm_mode_16_64 3
		.amdhsa_dx10_clamp 1
		.amdhsa_ieee_mode 1
		.amdhsa_fp16_overflow 0
		.amdhsa_tg_split 0
		.amdhsa_exception_fp_ieee_invalid_op 0
		.amdhsa_exception_fp_denorm_src 0
		.amdhsa_exception_fp_ieee_div_zero 0
		.amdhsa_exception_fp_ieee_overflow 0
		.amdhsa_exception_fp_ieee_underflow 0
		.amdhsa_exception_fp_ieee_inexact 0
		.amdhsa_exception_int_div_zero 0
	.end_amdhsa_kernel
	.section	.text._ZN5aiter35fused_qk_rmsnorm_group_quant_kernelIDF16_DB8_Li256ELi8ELi4ELb1ELb1ELb1ELb1ELb0ELb0EEEvPT0_PvPT_S6_S6_PKS5_S8_S8_S8_S8_ffiiiiiiiiiiiii,"axG",@progbits,_ZN5aiter35fused_qk_rmsnorm_group_quant_kernelIDF16_DB8_Li256ELi8ELi4ELb1ELb1ELb1ELb1ELb0ELb0EEEvPT0_PvPT_S6_S6_PKS5_S8_S8_S8_S8_ffiiiiiiiiiiiii,comdat
.Lfunc_end553:
	.size	_ZN5aiter35fused_qk_rmsnorm_group_quant_kernelIDF16_DB8_Li256ELi8ELi4ELb1ELb1ELb1ELb1ELb0ELb0EEEvPT0_PvPT_S6_S6_PKS5_S8_S8_S8_S8_ffiiiiiiiiiiiii, .Lfunc_end553-_ZN5aiter35fused_qk_rmsnorm_group_quant_kernelIDF16_DB8_Li256ELi8ELi4ELb1ELb1ELb1ELb1ELb0ELb0EEEvPT0_PvPT_S6_S6_PKS5_S8_S8_S8_S8_ffiiiiiiiiiiiii
                                        ; -- End function
	.section	.AMDGPU.csdata,"",@progbits
; Kernel info:
; codeLenInByte = 2480
; NumSgprs: 36
; NumVgprs: 25
; NumAgprs: 0
; TotalNumVgprs: 25
; ScratchSize: 0
; MemoryBound: 0
; FloatMode: 240
; IeeeMode: 1
; LDSByteSize: 32 bytes/workgroup (compile time only)
; SGPRBlocks: 4
; VGPRBlocks: 3
; NumSGPRsForWavesPerEU: 36
; NumVGPRsForWavesPerEU: 25
; AccumOffset: 28
; Occupancy: 8
; WaveLimiterHint : 0
; COMPUTE_PGM_RSRC2:SCRATCH_EN: 0
; COMPUTE_PGM_RSRC2:USER_SGPR: 6
; COMPUTE_PGM_RSRC2:TRAP_HANDLER: 0
; COMPUTE_PGM_RSRC2:TGID_X_EN: 1
; COMPUTE_PGM_RSRC2:TGID_Y_EN: 1
; COMPUTE_PGM_RSRC2:TGID_Z_EN: 0
; COMPUTE_PGM_RSRC2:TIDIG_COMP_CNT: 0
; COMPUTE_PGM_RSRC3_GFX90A:ACCUM_OFFSET: 6
; COMPUTE_PGM_RSRC3_GFX90A:TG_SPLIT: 0
	.section	.text._ZN5aiter35fused_qk_rmsnorm_group_quant_kernelItDB8_Li256ELi8ELi4ELb1ELb1ELb1ELb1ELb0ELb0EEEvPT0_PvPT_S6_S6_PKS5_S8_S8_S8_S8_ffiiiiiiiiiiiii,"axG",@progbits,_ZN5aiter35fused_qk_rmsnorm_group_quant_kernelItDB8_Li256ELi8ELi4ELb1ELb1ELb1ELb1ELb0ELb0EEEvPT0_PvPT_S6_S6_PKS5_S8_S8_S8_S8_ffiiiiiiiiiiiii,comdat
	.protected	_ZN5aiter35fused_qk_rmsnorm_group_quant_kernelItDB8_Li256ELi8ELi4ELb1ELb1ELb1ELb1ELb0ELb0EEEvPT0_PvPT_S6_S6_PKS5_S8_S8_S8_S8_ffiiiiiiiiiiiii ; -- Begin function _ZN5aiter35fused_qk_rmsnorm_group_quant_kernelItDB8_Li256ELi8ELi4ELb1ELb1ELb1ELb1ELb0ELb0EEEvPT0_PvPT_S6_S6_PKS5_S8_S8_S8_S8_ffiiiiiiiiiiiii
	.globl	_ZN5aiter35fused_qk_rmsnorm_group_quant_kernelItDB8_Li256ELi8ELi4ELb1ELb1ELb1ELb1ELb0ELb0EEEvPT0_PvPT_S6_S6_PKS5_S8_S8_S8_S8_ffiiiiiiiiiiiii
	.p2align	8
	.type	_ZN5aiter35fused_qk_rmsnorm_group_quant_kernelItDB8_Li256ELi8ELi4ELb1ELb1ELb1ELb1ELb0ELb0EEEvPT0_PvPT_S6_S6_PKS5_S8_S8_S8_S8_ffiiiiiiiiiiiii,@function
_ZN5aiter35fused_qk_rmsnorm_group_quant_kernelItDB8_Li256ELi8ELi4ELb1ELb1ELb1ELb1ELb0ELb0EEEvPT0_PvPT_S6_S6_PKS5_S8_S8_S8_S8_ffiiiiiiiiiiiii: ; @_ZN5aiter35fused_qk_rmsnorm_group_quant_kernelItDB8_Li256ELi8ELi4ELb1ELb1ELb1ELb1ELb0ELb0EEEvPT0_PvPT_S6_S6_PKS5_S8_S8_S8_S8_ffiiiiiiiiiiiii
; %bb.0:
	s_load_dwordx8 s[12:19], s[4:5], 0x50
	s_waitcnt lgkmcnt(0)
	s_cmp_ge_i32 s6, s14
	s_cbranch_scc1 .LBB554_17
; %bb.1:
	s_cmp_lg_u32 s7, 0
	s_cselect_b64 s[22:23], -1, 0
	s_cmp_eq_u32 s7, 0
	s_cselect_b64 s[8:9], -1, 0
	s_and_b64 s[0:1], s[8:9], exec
	s_cselect_b32 s7, s15, s16
	s_load_dwordx2 s[10:11], s[4:5], 0x30
	s_load_dwordx2 s[20:21], s[4:5], 0x48
	s_add_i32 s0, s7, 1
	s_lshr_b32 s1, s0, 31
	s_add_i32 s0, s0, s1
	s_lshl_b32 s0, s0, 1
	v_lshlrev_b32_e32 v1, 3, v0
	s_and_b32 s30, s0, -4
	v_cmp_gt_i32_e64 s[0:1], s7, v1
	v_mov_b32_e32 v10, 0
	v_mov_b32_e32 v11, 0
	;; [unrolled: 1-line block ×8, first 2 shown]
	s_and_saveexec_b64 s[2:3], s[0:1]
	s_cbranch_execz .LBB554_3
; %bb.2:
	s_load_dwordx2 s[14:15], s[4:5], 0x28
	s_load_dwordx2 s[26:27], s[4:5], 0x40
	s_and_b64 s[24:25], s[8:9], exec
	s_cselect_b32 s17, s17, s18
	s_mov_b32 s31, 0x20000
	s_waitcnt lgkmcnt(0)
	s_cselect_b32 s25, s15, s11
	s_cselect_b32 s24, s14, s10
	s_mul_hi_i32 s15, s17, s6
	s_mul_i32 s14, s17, s6
	s_lshl_b64 s[14:15], s[14:15], 1
	s_add_u32 s24, s24, s14
	s_addc_u32 s17, s25, s15
	s_and_b64 s[14:15], s[8:9], exec
	s_cselect_b32 s28, s26, s20
	s_cselect_b32 s14, s27, s21
	v_lshlrev_b32_e32 v2, 4, v0
	s_and_b32 s25, s17, 0xffff
	s_mov_b32 s26, s30
	s_mov_b32 s27, s31
	s_and_b32 s29, s14, 0xffff
	buffer_load_dwordx4 v[14:17], v2, s[24:27], 0 offen glc slc
	buffer_load_dwordx4 v[10:13], v2, s[28:31], 0 offen
.LBB554_3:
	s_or_b64 exec, exec, s[2:3]
	s_load_dwordx4 s[24:27], s[4:5], 0x7c
	s_and_b64 vcc, exec, s[22:23]
	s_cbranch_vccz .LBB554_7
; %bb.4:
	s_mov_b32 s36, 0
	s_mov_b32 s37, s36
	;; [unrolled: 1-line block ×8, first 2 shown]
	v_pk_mov_b32 v[2:3], s[36:37], s[36:37] op_sel:[0,1]
	v_pk_mov_b32 v[4:5], s[38:39], s[38:39] op_sel:[0,1]
	;; [unrolled: 1-line block ×4, first 2 shown]
	s_and_saveexec_b64 s[2:3], s[0:1]
	s_cbranch_execz .LBB554_6
; %bb.5:
	s_waitcnt vmcnt(1)
	v_cvt_f32_u32_sdwa v3, v14 dst_sel:DWORD dst_unused:UNUSED_PAD src0_sel:WORD_1
	v_cvt_f32_u32_sdwa v2, v14 dst_sel:DWORD dst_unused:UNUSED_PAD src0_sel:WORD_0
	v_cvt_f32_u32_sdwa v5, v15 dst_sel:DWORD dst_unused:UNUSED_PAD src0_sel:WORD_1
	v_cvt_f32_u32_sdwa v4, v15 dst_sel:DWORD dst_unused:UNUSED_PAD src0_sel:WORD_0
	;; [unrolled: 2-line block ×4, first 2 shown]
.LBB554_6:
	s_or_b64 exec, exec, s[2:3]
	s_cbranch_execz .LBB554_8
	s_branch .LBB554_11
.LBB554_7:
                                        ; implicit-def: $vgpr2_vgpr3_vgpr4_vgpr5_vgpr6_vgpr7_vgpr8_vgpr9
.LBB554_8:
	s_mov_b32 s36, 0
	s_mov_b32 s37, s36
	;; [unrolled: 1-line block ×8, first 2 shown]
	v_pk_mov_b32 v[2:3], s[36:37], s[36:37] op_sel:[0,1]
	v_pk_mov_b32 v[4:5], s[38:39], s[38:39] op_sel:[0,1]
	;; [unrolled: 1-line block ×4, first 2 shown]
	s_and_saveexec_b64 s[2:3], s[0:1]
	s_cbranch_execz .LBB554_10
; %bb.9:
	s_load_dwordx2 s[14:15], s[4:5], 0x38
	s_mul_hi_i32 s29, s19, s6
	s_mul_i32 s28, s19, s6
	s_lshl_b64 s[28:29], s[28:29], 1
	s_mov_b32 s31, 0x20000
	s_waitcnt lgkmcnt(0)
	s_add_u32 s28, s14, s28
	s_addc_u32 s14, s15, s29
	s_and_b32 s29, s14, 0xffff
	v_lshlrev_b32_e32 v26, 4, v0
	buffer_load_dwordx4 v[2:5], v26, s[28:31], 0 offen glc slc
	s_load_dwordx2 s[14:15], s[4:5], 0x20
	s_waitcnt vmcnt(2)
	v_cvt_f32_u32_sdwa v7, v14 dst_sel:DWORD dst_unused:UNUSED_PAD src0_sel:WORD_1
	v_cvt_f32_u32_sdwa v6, v14 dst_sel:DWORD dst_unused:UNUSED_PAD src0_sel:WORD_0
	v_cvt_f32_u32_sdwa v9, v15 dst_sel:DWORD dst_unused:UNUSED_PAD src0_sel:WORD_1
	v_cvt_f32_u32_sdwa v8, v15 dst_sel:DWORD dst_unused:UNUSED_PAD src0_sel:WORD_0
	;; [unrolled: 2-line block ×4, first 2 shown]
	s_mul_hi_i32 s27, s26, s6
	s_mul_i32 s26, s26, s6
	s_lshl_b64 s[26:27], s[26:27], 1
	s_waitcnt lgkmcnt(0)
	s_add_u32 s28, s14, s26
	s_mov_b32 s17, 0x7060302
	s_addc_u32 s14, s15, s27
	s_and_b32 s29, s14, 0xffff
	s_waitcnt vmcnt(0)
	v_cvt_f32_u32_sdwa v17, v2 dst_sel:DWORD dst_unused:UNUSED_PAD src0_sel:WORD_1
	v_cvt_f32_u32_sdwa v16, v2 dst_sel:DWORD dst_unused:UNUSED_PAD src0_sel:WORD_0
	v_cvt_f32_u32_sdwa v21, v3 dst_sel:DWORD dst_unused:UNUSED_PAD src0_sel:WORD_1
	v_cvt_f32_u32_sdwa v20, v3 dst_sel:DWORD dst_unused:UNUSED_PAD src0_sel:WORD_0
	;; [unrolled: 2-line block ×4, first 2 shown]
	v_pk_add_f32 v[2:3], v[6:7], v[16:17]
	v_pk_add_f32 v[4:5], v[8:9], v[20:21]
	;; [unrolled: 1-line block ×4, first 2 shown]
	v_perm_b32 v17, v9, v8, s17
	v_perm_b32 v16, v7, v6, s17
	;; [unrolled: 1-line block ×4, first 2 shown]
	buffer_store_dwordx4 v[14:17], v26, s[28:31], 0 offen glc slc
	;;#ASMSTART
	s_nop 0
	;;#ASMEND
.LBB554_10:
	s_or_b64 exec, exec, s[2:3]
.LBB554_11:
	s_waitcnt vmcnt(1)
	v_mul_f32_e32 v14, v3, v3
	v_fmac_f32_e32 v14, v2, v2
	v_fmac_f32_e32 v14, v4, v4
	;; [unrolled: 1-line block ×7, first 2 shown]
	v_and_b32_e32 v16, 63, v0
	v_cmp_eq_u32_e64 s[2:3], 63, v16
	v_mov_b32_dpp v15, v14 quad_perm:[1,0,3,2] row_mask:0xf bank_mask:0xf
	v_add_f32_e32 v14, v14, v15
	s_nop 1
	v_mov_b32_dpp v15, v14 quad_perm:[2,3,0,1] row_mask:0xf bank_mask:0xf
	v_add_f32_e32 v14, v14, v15
	s_nop 1
	v_mov_b32_dpp v15, v14 row_half_mirror row_mask:0xf bank_mask:0xf
	v_add_f32_e32 v14, v14, v15
	s_nop 1
	v_mov_b32_dpp v15, v14 row_mirror row_mask:0xf bank_mask:0xf
	v_add_f32_e32 v14, v14, v15
	s_nop 1
	v_mov_b32_dpp v15, v14 row_bcast:15 row_mask:0xf bank_mask:0xf
	v_add_f32_e32 v14, v14, v15
	s_nop 1
	v_mov_b32_dpp v15, v14 row_bcast:31 row_mask:0xf bank_mask:0xf
	s_and_saveexec_b64 s[14:15], s[2:3]
	s_cbranch_execz .LBB554_13
; %bb.12:
	v_add_f32_e32 v14, v14, v15
	v_lshrrev_b32_e32 v15, 4, v0
	v_and_b32_e32 v15, 60, v15
	ds_write_b32 v15, v14 offset:16
.LBB554_13:
	s_or_b64 exec, exec, s[14:15]
	v_and_b32_e32 v14, 3, v0
	v_lshlrev_b32_e32 v14, 2, v14
	s_waitcnt lgkmcnt(0)
	s_barrier
	ds_read_b32 v15, v14 offset:16
	s_load_dwordx2 s[14:15], s[4:5], 0x18
	s_waitcnt lgkmcnt(0)
	v_mov_b32_dpp v16, v15 quad_perm:[1,0,3,2] row_mask:0xf bank_mask:0xf
	v_add_f32_e32 v15, v15, v16
	s_nop 1
	v_mov_b32_dpp v16, v15 quad_perm:[2,3,0,1] row_mask:0xf bank_mask:0xf
	s_and_saveexec_b64 s[26:27], s[0:1]
	s_cbranch_execnz .LBB554_18
; %bb.14:
	s_or_b64 exec, exec, s[26:27]
	s_mov_b64 s[8:9], -1
	s_and_b64 vcc, exec, s[22:23]
	s_cbranch_vccnz .LBB554_19
.LBB554_15:
	s_andn2_b64 vcc, exec, s[8:9]
	s_cbranch_vccz .LBB554_22
.LBB554_16:
	s_cmp_lt_i32 s16, 1
	s_cbranch_scc0 .LBB554_25
.LBB554_17:
	s_endpgm
.LBB554_18:
	v_cvt_f32_u32_e32 v17, s7
	v_add_f32_e32 v15, v15, v16
	v_mov_b32_e32 v19, s13
	v_mov_b32_e32 v20, s12
	v_div_scale_f32 v16, s[28:29], v17, v17, v15
	v_rcp_f32_e32 v18, v16
	v_cndmask_b32_e64 v19, v19, v20, s[8:9]
	s_mov_b32 s7, 0x800000
	v_fma_f32 v20, -v16, v18, 1.0
	v_fmac_f32_e32 v18, v20, v18
	v_div_scale_f32 v20, vcc, v15, v17, v15
	v_mul_f32_e32 v21, v20, v18
	v_fma_f32 v22, -v16, v21, v20
	v_fmac_f32_e32 v21, v22, v18
	v_fma_f32 v16, -v16, v21, v20
	v_div_fmas_f32 v16, v16, v18, v21
	v_div_fixup_f32 v15, v16, v17, v15
	v_add_f32_e32 v15, v19, v15
	v_mul_f32_e32 v16, 0x4b800000, v15
	v_cmp_gt_f32_e32 vcc, s7, v15
	v_cndmask_b32_e32 v15, v15, v16, vcc
	v_rsq_f32_e32 v15, v15
	s_waitcnt vmcnt(0)
	v_cvt_f32_u32_sdwa v19, v10 dst_sel:DWORD dst_unused:UNUSED_PAD src0_sel:WORD_1
	v_cvt_f32_u32_sdwa v18, v10 dst_sel:DWORD dst_unused:UNUSED_PAD src0_sel:WORD_0
	v_cvt_f32_u32_sdwa v21, v11 dst_sel:DWORD dst_unused:UNUSED_PAD src0_sel:WORD_1
	v_mul_f32_e32 v16, 0x45800000, v15
	v_cndmask_b32_e32 v16, v15, v16, vcc
	v_mov_b32_e32 v17, v16
	v_cvt_f32_u32_sdwa v20, v11 dst_sel:DWORD dst_unused:UNUSED_PAD src0_sel:WORD_0
	;;#ASMSTART
	v_pk_mul_f32 v[2:3], v[2:3], v[16:17]
	;;#ASMEND
	;;#ASMSTART
	v_pk_mul_f32 v[4:5], v[4:5], v[16:17]
	;;#ASMEND
	;; [unrolled: 3-line block ×4, first 2 shown]
	v_cvt_f32_u32_sdwa v17, v12 dst_sel:DWORD dst_unused:UNUSED_PAD src0_sel:WORD_1
	v_cvt_f32_u32_sdwa v16, v12 dst_sel:DWORD dst_unused:UNUSED_PAD src0_sel:WORD_0
	v_pk_add_f32 v[10:11], v[18:19], 1.0 op_sel_hi:[1,0]
	v_cvt_f32_u32_sdwa v19, v13 dst_sel:DWORD dst_unused:UNUSED_PAD src0_sel:WORD_1
	v_cvt_f32_u32_sdwa v18, v13 dst_sel:DWORD dst_unused:UNUSED_PAD src0_sel:WORD_0
	;;#ASMSTART
	v_pk_mul_f32 v[2:3], v[2:3], v[10:11]
	;;#ASMEND
	v_pk_add_f32 v[10:11], v[20:21], 1.0 op_sel_hi:[1,0]
	;;#ASMSTART
	v_pk_mul_f32 v[4:5], v[4:5], v[10:11]
	;;#ASMEND
	v_pk_add_f32 v[10:11], v[16:17], 1.0 op_sel_hi:[1,0]
	;; [unrolled: 4-line block ×3, first 2 shown]
	;;#ASMSTART
	v_pk_mul_f32 v[8:9], v[8:9], v[10:11]
	;;#ASMEND
	s_or_b64 exec, exec, s[26:27]
	s_mov_b64 s[8:9], -1
	s_and_b64 vcc, exec, s[22:23]
	s_cbranch_vccz .LBB554_15
.LBB554_19:
	s_and_saveexec_b64 s[8:9], s[0:1]
	s_cbranch_execz .LBB554_21
; %bb.20:
	s_mul_hi_i32 s23, s25, s6
	s_mul_i32 s22, s25, s6
	s_lshl_b64 s[22:23], s[22:23], 1
	s_add_u32 s28, s14, s22
	s_addc_u32 s7, s15, s23
	s_and_b32 s29, s7, 0xffff
	s_mov_b32 s7, 0x7060302
	s_mov_b32 s31, 0x20000
	s_waitcnt vmcnt(0)
	v_perm_b32 v10, v3, v2, s7
	v_perm_b32 v11, v5, v4, s7
	;; [unrolled: 1-line block ×4, first 2 shown]
	v_lshlrev_b32_e32 v15, 4, v0
	buffer_store_dwordx4 v[10:13], v15, s[28:31], 0 offen
	;;#ASMSTART
	s_nop 0
	;;#ASMEND
.LBB554_21:
	s_or_b64 exec, exec, s[8:9]
	s_cbranch_execnz .LBB554_16
.LBB554_22:
	s_and_saveexec_b64 s[8:9], s[0:1]
	s_cbranch_execz .LBB554_24
; %bb.23:
	s_load_dwordx2 s[0:1], s[4:5], 0x10
	s_mul_hi_i32 s23, s24, s6
	s_mul_i32 s22, s24, s6
	s_lshl_b64 s[22:23], s[22:23], 1
	s_mov_b32 s31, 0x20000
	s_waitcnt lgkmcnt(0)
	s_add_u32 s28, s0, s22
	s_addc_u32 s0, s1, s23
	s_and_b32 s29, s0, 0xffff
	s_mov_b32 s0, 0x7060302
	v_perm_b32 v2, v3, v2, s0
	v_perm_b32 v3, v5, v4, s0
	;; [unrolled: 1-line block ×4, first 2 shown]
	v_lshlrev_b32_e32 v6, 4, v0
	buffer_store_dwordx4 v[2:5], v6, s[28:31], 0 offen
	;;#ASMSTART
	s_nop 0
	;;#ASMEND
.LBB554_24:
	s_or_b64 exec, exec, s[8:9]
	s_cmp_lt_i32 s16, 1
	s_cbranch_scc1 .LBB554_17
.LBB554_25:
	s_load_dword s0, s[4:5], 0x94
	s_waitcnt lgkmcnt(0)
	s_cmp_lg_u32 s0, 1
	s_cbranch_scc1 .LBB554_17
; %bb.26:
	s_lshl_b32 s0, s16, 1
	s_add_i32 s0, s0, 2
	v_cmp_gt_u32_e32 vcc, s16, v1
	s_and_b32 s22, s0, -4
	v_mov_b32_e32 v6, 0
	v_lshlrev_b32_e32 v1, 4, v0
	v_mov_b32_e32 v7, 0
	v_mov_b32_e32 v8, 0
	;; [unrolled: 1-line block ×7, first 2 shown]
	s_barrier
	s_and_saveexec_b64 s[0:1], vcc
	s_cbranch_execz .LBB554_28
; %bb.27:
	s_mul_hi_i32 s5, s18, s6
	s_mul_i32 s4, s18, s6
	s_and_b32 s21, s21, 0xffff
	s_lshl_b64 s[4:5], s[4:5], 1
	s_add_u32 s8, s10, s4
	s_mov_b32 s23, 0x20000
	s_addc_u32 s4, s11, s5
	s_and_b32 s9, s4, 0xffff
	s_mov_b32 s10, s22
	s_mov_b32 s11, s23
	buffer_load_dwordx4 v[6:9], v1, s[8:11], 0 offen glc slc
	buffer_load_dwordx4 v[2:5], v1, s[20:23], 0 offen
.LBB554_28:
	s_or_b64 exec, exec, s[0:1]
	s_waitcnt vmcnt(0)
	v_cvt_f32_u32_sdwa v13, v6 dst_sel:DWORD dst_unused:UNUSED_PAD src0_sel:WORD_1
	v_cvt_f32_u32_sdwa v12, v6 dst_sel:DWORD dst_unused:UNUSED_PAD src0_sel:WORD_0
	v_cvt_f32_u32_sdwa v6, v9 dst_sel:DWORD dst_unused:UNUSED_PAD src0_sel:WORD_1
	v_cvt_f32_u32_sdwa v9, v9 dst_sel:DWORD dst_unused:UNUSED_PAD src0_sel:WORD_0
	;; [unrolled: 2-line block ×4, first 2 shown]
	v_cndmask_b32_e32 v13, 0, v13, vcc
	v_cndmask_b32_e32 v7, 0, v6, vcc
	;; [unrolled: 1-line block ×5, first 2 shown]
	v_mul_f32_e32 v15, v13, v13
	v_cndmask_b32_e32 v10, 0, v10, vcc
	v_fmac_f32_e32 v15, v12, v12
	v_cndmask_b32_e32 v11, 0, v11, vcc
	v_fmac_f32_e32 v15, v10, v10
	;; [unrolled: 2-line block ×3, first 2 shown]
	v_fmac_f32_e32 v15, v8, v8
	v_fmac_f32_e32 v15, v9, v9
	;; [unrolled: 1-line block ×4, first 2 shown]
	s_nop 1
	v_mov_b32_dpp v16, v15 quad_perm:[1,0,3,2] row_mask:0xf bank_mask:0xf
	v_add_f32_e32 v15, v15, v16
	s_nop 1
	v_mov_b32_dpp v16, v15 quad_perm:[2,3,0,1] row_mask:0xf bank_mask:0xf
	v_add_f32_e32 v15, v15, v16
	s_nop 1
	v_mov_b32_dpp v16, v15 row_half_mirror row_mask:0xf bank_mask:0xf
	v_add_f32_e32 v15, v15, v16
	s_nop 1
	v_mov_b32_dpp v16, v15 row_mirror row_mask:0xf bank_mask:0xf
	v_add_f32_e32 v15, v15, v16
	s_nop 1
	v_mov_b32_dpp v16, v15 row_bcast:15 row_mask:0xf bank_mask:0xf
	v_add_f32_e32 v15, v15, v16
	s_nop 1
	v_mov_b32_dpp v16, v15 row_bcast:31 row_mask:0xf bank_mask:0xf
	s_and_saveexec_b64 s[0:1], s[2:3]
	s_cbranch_execz .LBB554_30
; %bb.29:
	v_lshrrev_b32_e32 v0, 4, v0
	v_add_f32_e32 v15, v15, v16
	v_and_b32_e32 v0, 60, v0
	ds_write_b32 v0, v15
.LBB554_30:
	s_or_b64 exec, exec, s[0:1]
	s_waitcnt lgkmcnt(0)
	s_barrier
	ds_read_b32 v0, v14
	s_waitcnt lgkmcnt(0)
	s_nop 0
	v_mov_b32_dpp v14, v0 quad_perm:[1,0,3,2] row_mask:0xf bank_mask:0xf
	v_add_f32_e32 v0, v0, v14
	s_nop 1
	v_mov_b32_dpp v14, v0 quad_perm:[2,3,0,1] row_mask:0xf bank_mask:0xf
	s_and_saveexec_b64 s[0:1], vcc
	s_cbranch_execz .LBB554_17
; %bb.31:
	v_cvt_f32_u32_e32 v15, s16
	v_add_f32_e32 v0, v0, v14
	s_mov_b32 s23, 0x20000
	v_div_scale_f32 v14, s[0:1], v15, v15, v0
	v_rcp_f32_e32 v16, v14
	v_div_scale_f32 v17, vcc, v0, v15, v0
	s_mov_b32 s0, 0x800000
	v_fma_f32 v18, -v14, v16, 1.0
	v_fmac_f32_e32 v16, v18, v16
	v_mul_f32_e32 v18, v17, v16
	v_fma_f32 v19, -v14, v18, v17
	v_fmac_f32_e32 v18, v19, v16
	v_fma_f32 v14, -v14, v18, v17
	v_div_fmas_f32 v14, v14, v16, v18
	v_div_fixup_f32 v0, v14, v15, v0
	v_add_f32_e32 v0, s13, v0
	v_mul_f32_e32 v14, 0x4b800000, v0
	v_cmp_gt_f32_e32 vcc, s0, v0
	v_cndmask_b32_e32 v0, v0, v14, vcc
	v_rsq_f32_e32 v0, v0
	v_cvt_f32_u32_sdwa v17, v2 dst_sel:DWORD dst_unused:UNUSED_PAD src0_sel:WORD_1
	v_cvt_f32_u32_sdwa v16, v2 dst_sel:DWORD dst_unused:UNUSED_PAD src0_sel:WORD_0
	v_cvt_f32_u32_sdwa v19, v3 dst_sel:DWORD dst_unused:UNUSED_PAD src0_sel:WORD_1
	v_mul_f32_e32 v14, 0x45800000, v0
	v_cndmask_b32_e32 v14, v0, v14, vcc
	v_mov_b32_e32 v15, v14
	;;#ASMSTART
	v_pk_mul_f32 v[12:13], v[12:13], v[14:15]
	;;#ASMEND
	;;#ASMSTART
	v_pk_mul_f32 v[10:11], v[10:11], v[14:15]
	;;#ASMEND
	;; [unrolled: 3-line block ×3, first 2 shown]
	v_cvt_f32_u32_sdwa v18, v3 dst_sel:DWORD dst_unused:UNUSED_PAD src0_sel:WORD_0
	;;#ASMSTART
	v_pk_mul_f32 v[2:3], v[6:7], v[14:15]
	;;#ASMEND
	v_cvt_f32_u32_sdwa v15, v4 dst_sel:DWORD dst_unused:UNUSED_PAD src0_sel:WORD_1
	v_cvt_f32_u32_sdwa v14, v4 dst_sel:DWORD dst_unused:UNUSED_PAD src0_sel:WORD_0
	v_pk_add_f32 v[6:7], v[16:17], 1.0 op_sel_hi:[1,0]
	v_cvt_f32_u32_sdwa v17, v5 dst_sel:DWORD dst_unused:UNUSED_PAD src0_sel:WORD_1
	v_cvt_f32_u32_sdwa v16, v5 dst_sel:DWORD dst_unused:UNUSED_PAD src0_sel:WORD_0
	s_mul_hi_i32 s1, s25, s6
	s_mul_i32 s0, s25, s6
	s_lshl_b64 s[0:1], s[0:1], 1
	s_add_u32 s20, s14, s0
	;;#ASMSTART
	v_pk_mul_f32 v[6:7], v[12:13], v[6:7]
	;;#ASMEND
	v_pk_add_f32 v[12:13], v[18:19], 1.0 op_sel_hi:[1,0]
	;;#ASMSTART
	v_pk_mul_f32 v[4:5], v[10:11], v[12:13]
	;;#ASMEND
	v_pk_add_f32 v[10:11], v[14:15], 1.0 op_sel_hi:[1,0]
	s_addc_u32 s0, s15, s1
	;;#ASMSTART
	v_pk_mul_f32 v[8:9], v[8:9], v[10:11]
	;;#ASMEND
	v_pk_add_f32 v[10:11], v[16:17], 1.0 op_sel_hi:[1,0]
	s_and_b32 s21, s0, 0xffff
	s_mov_b32 s0, 0x7060302
	;;#ASMSTART
	v_pk_mul_f32 v[10:11], v[2:3], v[10:11]
	;;#ASMEND
	v_perm_b32 v2, v7, v6, s0
	v_perm_b32 v3, v5, v4, s0
	;; [unrolled: 1-line block ×4, first 2 shown]
	buffer_store_dwordx4 v[2:5], v1, s[20:23], 0 offen
	;;#ASMSTART
	s_nop 0
	;;#ASMEND
	s_endpgm
	.section	.rodata,"a",@progbits
	.p2align	6, 0x0
	.amdhsa_kernel _ZN5aiter35fused_qk_rmsnorm_group_quant_kernelItDB8_Li256ELi8ELi4ELb1ELb1ELb1ELb1ELb0ELb0EEEvPT0_PvPT_S6_S6_PKS5_S8_S8_S8_S8_ffiiiiiiiiiiiii
		.amdhsa_group_segment_fixed_size 32
		.amdhsa_private_segment_fixed_size 0
		.amdhsa_kernarg_size 400
		.amdhsa_user_sgpr_count 6
		.amdhsa_user_sgpr_private_segment_buffer 1
		.amdhsa_user_sgpr_dispatch_ptr 0
		.amdhsa_user_sgpr_queue_ptr 0
		.amdhsa_user_sgpr_kernarg_segment_ptr 1
		.amdhsa_user_sgpr_dispatch_id 0
		.amdhsa_user_sgpr_flat_scratch_init 0
		.amdhsa_user_sgpr_kernarg_preload_length 0
		.amdhsa_user_sgpr_kernarg_preload_offset 0
		.amdhsa_user_sgpr_private_segment_size 0
		.amdhsa_uses_dynamic_stack 0
		.amdhsa_system_sgpr_private_segment_wavefront_offset 0
		.amdhsa_system_sgpr_workgroup_id_x 1
		.amdhsa_system_sgpr_workgroup_id_y 1
		.amdhsa_system_sgpr_workgroup_id_z 0
		.amdhsa_system_sgpr_workgroup_info 0
		.amdhsa_system_vgpr_workitem_id 0
		.amdhsa_next_free_vgpr 27
		.amdhsa_next_free_sgpr 44
		.amdhsa_accum_offset 28
		.amdhsa_reserve_vcc 1
		.amdhsa_reserve_flat_scratch 0
		.amdhsa_float_round_mode_32 0
		.amdhsa_float_round_mode_16_64 0
		.amdhsa_float_denorm_mode_32 3
		.amdhsa_float_denorm_mode_16_64 3
		.amdhsa_dx10_clamp 1
		.amdhsa_ieee_mode 1
		.amdhsa_fp16_overflow 0
		.amdhsa_tg_split 0
		.amdhsa_exception_fp_ieee_invalid_op 0
		.amdhsa_exception_fp_denorm_src 0
		.amdhsa_exception_fp_ieee_div_zero 0
		.amdhsa_exception_fp_ieee_overflow 0
		.amdhsa_exception_fp_ieee_underflow 0
		.amdhsa_exception_fp_ieee_inexact 0
		.amdhsa_exception_int_div_zero 0
	.end_amdhsa_kernel
	.section	.text._ZN5aiter35fused_qk_rmsnorm_group_quant_kernelItDB8_Li256ELi8ELi4ELb1ELb1ELb1ELb1ELb0ELb0EEEvPT0_PvPT_S6_S6_PKS5_S8_S8_S8_S8_ffiiiiiiiiiiiii,"axG",@progbits,_ZN5aiter35fused_qk_rmsnorm_group_quant_kernelItDB8_Li256ELi8ELi4ELb1ELb1ELb1ELb1ELb0ELb0EEEvPT0_PvPT_S6_S6_PKS5_S8_S8_S8_S8_ffiiiiiiiiiiiii,comdat
.Lfunc_end554:
	.size	_ZN5aiter35fused_qk_rmsnorm_group_quant_kernelItDB8_Li256ELi8ELi4ELb1ELb1ELb1ELb1ELb0ELb0EEEvPT0_PvPT_S6_S6_PKS5_S8_S8_S8_S8_ffiiiiiiiiiiiii, .Lfunc_end554-_ZN5aiter35fused_qk_rmsnorm_group_quant_kernelItDB8_Li256ELi8ELi4ELb1ELb1ELb1ELb1ELb0ELb0EEEvPT0_PvPT_S6_S6_PKS5_S8_S8_S8_S8_ffiiiiiiiiiiiii
                                        ; -- End function
	.section	.AMDGPU.csdata,"",@progbits
; Kernel info:
; codeLenInByte = 2516
; NumSgprs: 48
; NumVgprs: 27
; NumAgprs: 0
; TotalNumVgprs: 27
; ScratchSize: 0
; MemoryBound: 0
; FloatMode: 240
; IeeeMode: 1
; LDSByteSize: 32 bytes/workgroup (compile time only)
; SGPRBlocks: 5
; VGPRBlocks: 3
; NumSGPRsForWavesPerEU: 48
; NumVGPRsForWavesPerEU: 27
; AccumOffset: 28
; Occupancy: 8
; WaveLimiterHint : 0
; COMPUTE_PGM_RSRC2:SCRATCH_EN: 0
; COMPUTE_PGM_RSRC2:USER_SGPR: 6
; COMPUTE_PGM_RSRC2:TRAP_HANDLER: 0
; COMPUTE_PGM_RSRC2:TGID_X_EN: 1
; COMPUTE_PGM_RSRC2:TGID_Y_EN: 1
; COMPUTE_PGM_RSRC2:TGID_Z_EN: 0
; COMPUTE_PGM_RSRC2:TIDIG_COMP_CNT: 0
; COMPUTE_PGM_RSRC3_GFX90A:ACCUM_OFFSET: 6
; COMPUTE_PGM_RSRC3_GFX90A:TG_SPLIT: 0
	.section	.text._ZN5aiter35fused_qk_rmsnorm_group_quant_kernelIDF16_N4opus5fp4_tELi256ELi8ELi4ELb1ELb1ELb1ELb1ELb0ELb0EEEvPT0_PvPT_S7_S7_PKS6_S9_S9_S9_S9_ffiiiiiiiiiiiii,"axG",@progbits,_ZN5aiter35fused_qk_rmsnorm_group_quant_kernelIDF16_N4opus5fp4_tELi256ELi8ELi4ELb1ELb1ELb1ELb1ELb0ELb0EEEvPT0_PvPT_S7_S7_PKS6_S9_S9_S9_S9_ffiiiiiiiiiiiii,comdat
	.protected	_ZN5aiter35fused_qk_rmsnorm_group_quant_kernelIDF16_N4opus5fp4_tELi256ELi8ELi4ELb1ELb1ELb1ELb1ELb0ELb0EEEvPT0_PvPT_S7_S7_PKS6_S9_S9_S9_S9_ffiiiiiiiiiiiii ; -- Begin function _ZN5aiter35fused_qk_rmsnorm_group_quant_kernelIDF16_N4opus5fp4_tELi256ELi8ELi4ELb1ELb1ELb1ELb1ELb0ELb0EEEvPT0_PvPT_S7_S7_PKS6_S9_S9_S9_S9_ffiiiiiiiiiiiii
	.globl	_ZN5aiter35fused_qk_rmsnorm_group_quant_kernelIDF16_N4opus5fp4_tELi256ELi8ELi4ELb1ELb1ELb1ELb1ELb0ELb0EEEvPT0_PvPT_S7_S7_PKS6_S9_S9_S9_S9_ffiiiiiiiiiiiii
	.p2align	8
	.type	_ZN5aiter35fused_qk_rmsnorm_group_quant_kernelIDF16_N4opus5fp4_tELi256ELi8ELi4ELb1ELb1ELb1ELb1ELb0ELb0EEEvPT0_PvPT_S7_S7_PKS6_S9_S9_S9_S9_ffiiiiiiiiiiiii,@function
_ZN5aiter35fused_qk_rmsnorm_group_quant_kernelIDF16_N4opus5fp4_tELi256ELi8ELi4ELb1ELb1ELb1ELb1ELb0ELb0EEEvPT0_PvPT_S7_S7_PKS6_S9_S9_S9_S9_ffiiiiiiiiiiiii: ; @_ZN5aiter35fused_qk_rmsnorm_group_quant_kernelIDF16_N4opus5fp4_tELi256ELi8ELi4ELb1ELb1ELb1ELb1ELb0ELb0EEEvPT0_PvPT_S7_S7_PKS6_S9_S9_S9_S9_ffiiiiiiiiiiiii
; %bb.0:
	s_load_dwordx8 s[12:19], s[4:5], 0x50
	s_waitcnt lgkmcnt(0)
	s_cmp_ge_i32 s6, s14
	s_cbranch_scc1 .LBB555_17
; %bb.1:
	s_cmp_lg_u32 s7, 0
	s_cselect_b64 s[22:23], -1, 0
	s_cmp_eq_u32 s7, 0
	s_cselect_b64 s[2:3], -1, 0
	s_and_b64 s[0:1], s[2:3], exec
	s_cselect_b32 s7, s15, s16
	s_load_dwordx2 s[10:11], s[4:5], 0x30
	s_load_dwordx2 s[20:21], s[4:5], 0x48
	s_add_i32 s0, s7, 1
	s_lshr_b32 s1, s0, 31
	s_add_i32 s0, s0, s1
	s_lshl_b32 s0, s0, 1
	v_lshlrev_b32_e32 v1, 3, v0
	s_and_b32 s30, s0, -4
	v_cmp_gt_i32_e64 s[0:1], s7, v1
	v_mov_b32_e32 v2, 0
	v_mov_b32_e32 v3, 0
	;; [unrolled: 1-line block ×8, first 2 shown]
	s_and_saveexec_b64 s[8:9], s[0:1]
	s_cbranch_execz .LBB555_3
; %bb.2:
	s_load_dwordx2 s[14:15], s[4:5], 0x28
	s_load_dwordx2 s[26:27], s[4:5], 0x40
	s_and_b64 s[24:25], s[2:3], exec
	s_cselect_b32 s17, s17, s18
	s_mov_b32 s31, 0x20000
	s_waitcnt lgkmcnt(0)
	s_cselect_b32 s25, s15, s11
	s_cselect_b32 s24, s14, s10
	s_mul_hi_i32 s15, s17, s6
	s_mul_i32 s14, s17, s6
	s_lshl_b64 s[14:15], s[14:15], 1
	s_add_u32 s24, s24, s14
	s_addc_u32 s17, s25, s15
	s_and_b64 s[14:15], s[2:3], exec
	s_cselect_b32 s28, s26, s20
	s_cselect_b32 s14, s27, s21
	v_lshlrev_b32_e32 v10, 4, v0
	s_and_b32 s25, s17, 0xffff
	s_mov_b32 s26, s30
	s_mov_b32 s27, s31
	s_and_b32 s29, s14, 0xffff
	buffer_load_dwordx4 v[6:9], v10, s[24:27], 0 offen glc slc
	buffer_load_dwordx4 v[2:5], v10, s[28:31], 0 offen
.LBB555_3:
	s_or_b64 exec, exec, s[8:9]
	s_load_dwordx4 s[24:27], s[4:5], 0x7c
	s_and_b64 vcc, exec, s[22:23]
	s_cbranch_vccz .LBB555_7
; %bb.4:
	v_mov_b32_e32 v11, 0
	v_mov_b32_e32 v10, 0
	v_mov_b32_e32 v15, 0
	v_mov_b32_e32 v14, 0
	v_mov_b32_e32 v17, 0
	v_mov_b32_e32 v16, 0
	v_mov_b32_e32 v13, 0
	v_mov_b32_e32 v12, 0
	s_and_saveexec_b64 s[8:9], s[0:1]
	s_cbranch_execz .LBB555_6
; %bb.5:
	s_waitcnt vmcnt(1)
	v_cvt_f32_f16_sdwa v13, v6 dst_sel:DWORD dst_unused:UNUSED_PAD src0_sel:WORD_1
	v_cvt_f32_f16_e32 v12, v6
	v_cvt_f32_f16_sdwa v17, v7 dst_sel:DWORD dst_unused:UNUSED_PAD src0_sel:WORD_1
	v_cvt_f32_f16_e32 v16, v7
	;; [unrolled: 2-line block ×4, first 2 shown]
.LBB555_6:
	s_or_b64 exec, exec, s[8:9]
	s_cbranch_execz .LBB555_8
	s_branch .LBB555_11
.LBB555_7:
                                        ; implicit-def: $vgpr11
                                        ; implicit-def: $vgpr15
                                        ; implicit-def: $vgpr17
                                        ; implicit-def: $vgpr13
.LBB555_8:
	v_mov_b32_e32 v11, 0
	v_mov_b32_e32 v10, 0
	;; [unrolled: 1-line block ×8, first 2 shown]
	s_and_saveexec_b64 s[8:9], s[0:1]
	s_cbranch_execz .LBB555_10
; %bb.9:
	s_load_dwordx2 s[14:15], s[4:5], 0x38
	s_mul_hi_i32 s29, s19, s6
	s_mul_i32 s28, s19, s6
	s_lshl_b64 s[28:29], s[28:29], 1
	s_mov_b32 s31, 0x20000
	s_waitcnt lgkmcnt(0)
	s_add_u32 s28, s14, s28
	s_addc_u32 s14, s15, s29
	s_and_b32 s29, s14, 0xffff
	v_lshlrev_b32_e32 v24, 4, v0
	buffer_load_dwordx4 v[10:13], v24, s[28:31], 0 offen glc slc
	s_waitcnt vmcnt(2)
	v_cvt_f32_f16_sdwa v15, v6 dst_sel:DWORD dst_unused:UNUSED_PAD src0_sel:WORD_1
	v_cvt_f32_f16_e32 v14, v6
	v_cvt_f32_f16_sdwa v17, v7 dst_sel:DWORD dst_unused:UNUSED_PAD src0_sel:WORD_1
	v_cvt_f32_f16_e32 v16, v7
	;; [unrolled: 2-line block ×4, first 2 shown]
	s_load_dwordx2 s[14:15], s[4:5], 0x20
	s_mul_hi_i32 s27, s26, s6
	s_mul_i32 s26, s26, s6
	s_lshl_b64 s[26:27], s[26:27], 1
	s_waitcnt lgkmcnt(0)
	s_add_u32 s28, s14, s26
	s_addc_u32 s14, s15, s27
	s_and_b32 s29, s14, 0xffff
	s_waitcnt vmcnt(0)
	v_cvt_f32_f16_e32 v8, v10
	v_cvt_f32_f16_sdwa v9, v10 dst_sel:DWORD dst_unused:UNUSED_PAD src0_sel:WORD_1
	v_cvt_f32_f16_e32 v10, v11
	v_cvt_f32_f16_sdwa v11, v11 dst_sel:DWORD dst_unused:UNUSED_PAD src0_sel:WORD_1
	;; [unrolled: 2-line block ×4, first 2 shown]
	v_pk_add_f32 v[12:13], v[14:15], v[8:9]
	v_pk_add_f32 v[16:17], v[16:17], v[10:11]
	v_pk_add_f32 v[14:15], v[6:7], v[20:21]
	v_pk_add_f32 v[10:11], v[18:19], v[22:23]
	v_cvt_f16_f32_e32 v6, v13
	v_cvt_f16_f32_e32 v7, v17
	;; [unrolled: 1-line block ×8, first 2 shown]
	v_pack_b32_f16 v9, v18, v9
	v_pack_b32_f16 v8, v19, v8
	;; [unrolled: 1-line block ×4, first 2 shown]
	buffer_store_dwordx4 v[6:9], v24, s[28:31], 0 offen glc slc
	;;#ASMSTART
	s_nop 0
	;;#ASMEND
.LBB555_10:
	s_or_b64 exec, exec, s[8:9]
.LBB555_11:
	s_waitcnt vmcnt(1)
	v_mul_f32_e32 v6, v13, v13
	v_fmac_f32_e32 v6, v12, v12
	v_fmac_f32_e32 v6, v16, v16
	;; [unrolled: 1-line block ×7, first 2 shown]
	v_and_b32_e32 v8, 63, v0
	v_cmp_eq_u32_e64 s[8:9], 63, v8
	v_mov_b32_dpp v7, v6 quad_perm:[1,0,3,2] row_mask:0xf bank_mask:0xf
	v_add_f32_e32 v6, v6, v7
	s_nop 1
	v_mov_b32_dpp v7, v6 quad_perm:[2,3,0,1] row_mask:0xf bank_mask:0xf
	v_add_f32_e32 v6, v6, v7
	s_nop 1
	v_mov_b32_dpp v7, v6 row_half_mirror row_mask:0xf bank_mask:0xf
	v_add_f32_e32 v6, v6, v7
	s_nop 1
	v_mov_b32_dpp v7, v6 row_mirror row_mask:0xf bank_mask:0xf
	v_add_f32_e32 v6, v6, v7
	s_nop 1
	v_mov_b32_dpp v7, v6 row_bcast:15 row_mask:0xf bank_mask:0xf
	v_add_f32_e32 v6, v6, v7
	s_nop 1
	v_mov_b32_dpp v7, v6 row_bcast:31 row_mask:0xf bank_mask:0xf
	s_and_saveexec_b64 s[14:15], s[8:9]
	s_cbranch_execz .LBB555_13
; %bb.12:
	v_add_f32_e32 v6, v6, v7
	v_lshrrev_b32_e32 v7, 4, v0
	v_and_b32_e32 v7, 60, v7
	ds_write_b32 v7, v6 offset:16
.LBB555_13:
	s_or_b64 exec, exec, s[14:15]
	v_and_b32_e32 v6, 3, v0
	v_lshlrev_b32_e32 v18, 2, v6
	s_waitcnt lgkmcnt(0)
	s_barrier
	ds_read_b32 v6, v18 offset:16
	s_load_dwordx2 s[14:15], s[4:5], 0x18
	s_waitcnt lgkmcnt(0)
	v_mov_b32_dpp v7, v6 quad_perm:[1,0,3,2] row_mask:0xf bank_mask:0xf
	v_add_f32_e32 v6, v6, v7
	s_nop 1
	v_mov_b32_dpp v7, v6 quad_perm:[2,3,0,1] row_mask:0xf bank_mask:0xf
	s_and_saveexec_b64 s[26:27], s[0:1]
	s_cbranch_execnz .LBB555_18
; %bb.14:
	s_or_b64 exec, exec, s[26:27]
	s_mov_b64 s[2:3], -1
	s_and_b64 vcc, exec, s[22:23]
	s_cbranch_vccnz .LBB555_19
.LBB555_15:
	s_andn2_b64 vcc, exec, s[2:3]
	s_cbranch_vccz .LBB555_22
.LBB555_16:
	s_cmp_lt_i32 s16, 1
	s_cbranch_scc0 .LBB555_25
.LBB555_17:
	s_endpgm
.LBB555_18:
	v_cvt_f32_u32_e32 v8, s7
	v_add_f32_e32 v6, v6, v7
	v_mov_b32_e32 v19, s13
	v_mov_b32_e32 v20, s12
	v_div_scale_f32 v7, s[28:29], v8, v8, v6
	v_rcp_f32_e32 v9, v7
	v_cndmask_b32_e64 v19, v19, v20, s[2:3]
	s_mov_b32 s2, 0x800000
	v_fma_f32 v20, -v7, v9, 1.0
	v_fmac_f32_e32 v9, v20, v9
	v_div_scale_f32 v20, vcc, v6, v8, v6
	v_mul_f32_e32 v21, v20, v9
	v_fma_f32 v22, -v7, v21, v20
	v_fmac_f32_e32 v21, v22, v9
	v_fma_f32 v7, -v7, v21, v20
	v_div_fmas_f32 v7, v7, v9, v21
	v_div_fixup_f32 v6, v7, v8, v6
	v_add_f32_e32 v6, v19, v6
	v_mul_f32_e32 v7, 0x4b800000, v6
	v_cmp_gt_f32_e32 vcc, s2, v6
	v_cndmask_b32_e32 v6, v6, v7, vcc
	v_rsq_f32_e32 v6, v6
	s_waitcnt vmcnt(0)
	v_cvt_f32_f16_sdwa v21, v3 dst_sel:DWORD dst_unused:UNUSED_PAD src0_sel:WORD_1
	v_cvt_f32_f16_e32 v20, v3
	v_mul_f32_e32 v7, 0x45800000, v6
	v_cndmask_b32_e32 v6, v6, v7, vcc
	v_mov_b32_e32 v7, v6
	;;#ASMSTART
	v_pk_mul_f32 v[8:9], v[12:13], v[6:7]
	;;#ASMEND
	v_cvt_f32_f16_sdwa v13, v2 dst_sel:DWORD dst_unused:UNUSED_PAD src0_sel:WORD_1
	v_cvt_f32_f16_e32 v12, v2
	;;#ASMSTART
	v_pk_mul_f32 v[16:17], v[16:17], v[6:7]
	;;#ASMEND
	;;#ASMSTART
	v_pk_mul_f32 v[14:15], v[14:15], v[6:7]
	;;#ASMEND
	;; [unrolled: 3-line block ×3, first 2 shown]
	v_pk_add_f32 v[6:7], v[12:13], 1.0 op_sel_hi:[1,0]
	;;#ASMSTART
	v_pk_mul_f32 v[12:13], v[8:9], v[6:7]
	;;#ASMEND
	v_cvt_f32_f16_sdwa v9, v4 dst_sel:DWORD dst_unused:UNUSED_PAD src0_sel:WORD_1
	v_cvt_f32_f16_e32 v8, v4
	v_cvt_f32_f16_sdwa v11, v5 dst_sel:DWORD dst_unused:UNUSED_PAD src0_sel:WORD_1
	v_cvt_f32_f16_e32 v10, v5
	v_pk_add_f32 v[6:7], v[20:21], 1.0 op_sel_hi:[1,0]
	v_pk_add_f32 v[4:5], v[8:9], 1.0 op_sel_hi:[1,0]
	;;#ASMSTART
	v_pk_mul_f32 v[16:17], v[16:17], v[6:7]
	;;#ASMEND
	;;#ASMSTART
	v_pk_mul_f32 v[14:15], v[14:15], v[4:5]
	;;#ASMEND
	v_pk_add_f32 v[4:5], v[10:11], 1.0 op_sel_hi:[1,0]
	;;#ASMSTART
	v_pk_mul_f32 v[10:11], v[2:3], v[4:5]
	;;#ASMEND
	s_or_b64 exec, exec, s[26:27]
	s_mov_b64 s[2:3], -1
	s_and_b64 vcc, exec, s[22:23]
	s_cbranch_vccz .LBB555_15
.LBB555_19:
	s_and_saveexec_b64 s[2:3], s[0:1]
	s_cbranch_execz .LBB555_21
; %bb.20:
	s_mul_hi_i32 s23, s25, s6
	s_mul_i32 s22, s25, s6
	s_waitcnt vmcnt(0)
	v_cvt_f16_f32_e32 v2, v12
	v_cvt_f16_f32_e32 v3, v16
	;; [unrolled: 1-line block ×8, first 2 shown]
	s_lshl_b64 s[22:23], s[22:23], 1
	s_add_u32 s28, s14, s22
	s_addc_u32 s7, s15, s23
	s_and_b32 s29, s7, 0xffff
	s_mov_b32 s31, 0x20000
	v_pack_b32_f16 v5, v5, v6
	v_pack_b32_f16 v4, v4, v7
	;; [unrolled: 1-line block ×4, first 2 shown]
	v_lshlrev_b32_e32 v6, 4, v0
	buffer_store_dwordx4 v[2:5], v6, s[28:31], 0 offen
	;;#ASMSTART
	s_nop 0
	;;#ASMEND
.LBB555_21:
	s_or_b64 exec, exec, s[2:3]
	s_cbranch_execnz .LBB555_16
.LBB555_22:
	s_and_saveexec_b64 s[2:3], s[0:1]
	s_cbranch_execz .LBB555_24
; %bb.23:
	s_load_dwordx2 s[0:1], s[4:5], 0x10
	s_mul_hi_i32 s23, s24, s6
	s_mul_i32 s22, s24, s6
	s_waitcnt vmcnt(0)
	v_cvt_f16_f32_e32 v2, v12
	v_cvt_f16_f32_e32 v3, v16
	;; [unrolled: 1-line block ×8, first 2 shown]
	s_lshl_b64 s[22:23], s[22:23], 1
	s_waitcnt lgkmcnt(0)
	s_add_u32 s28, s0, s22
	s_addc_u32 s0, s1, s23
	s_mov_b32 s31, 0x20000
	s_and_b32 s29, s0, 0xffff
	v_pack_b32_f16 v5, v5, v6
	v_pack_b32_f16 v4, v4, v7
	;; [unrolled: 1-line block ×4, first 2 shown]
	v_lshlrev_b32_e32 v6, 4, v0
	buffer_store_dwordx4 v[2:5], v6, s[28:31], 0 offen
	;;#ASMSTART
	s_nop 0
	;;#ASMEND
.LBB555_24:
	s_or_b64 exec, exec, s[2:3]
	s_cmp_lt_i32 s16, 1
	s_cbranch_scc1 .LBB555_17
.LBB555_25:
	s_load_dword s0, s[4:5], 0x94
	s_waitcnt lgkmcnt(0)
	s_cmp_lg_u32 s0, 1
	s_cbranch_scc1 .LBB555_17
; %bb.26:
	s_lshl_b32 s0, s16, 1
	s_add_i32 s0, s0, 2
	v_cmp_gt_u32_e32 vcc, s16, v1
	s_and_b32 s22, s0, -4
	v_mov_b32_e32 v10, 0
	v_lshlrev_b32_e32 v1, 4, v0
	v_mov_b32_e32 v6, 0
	v_mov_b32_e32 v7, 0
	;; [unrolled: 1-line block ×4, first 2 shown]
	s_waitcnt vmcnt(0)
	v_mov_b32_e32 v2, 0
	v_mov_b32_e32 v3, 0
	;; [unrolled: 1-line block ×4, first 2 shown]
	s_barrier
	s_and_saveexec_b64 s[0:1], vcc
	s_cbranch_execz .LBB555_28
; %bb.27:
	s_mul_hi_i32 s3, s18, s6
	s_mul_i32 s2, s18, s6
	s_and_b32 s21, s21, 0xffff
	s_lshl_b64 s[2:3], s[2:3], 1
	s_add_u32 s28, s10, s2
	s_mov_b32 s23, 0x20000
	s_addc_u32 s2, s11, s3
	s_and_b32 s29, s2, 0xffff
	s_mov_b32 s30, s22
	s_mov_b32 s31, s23
	buffer_load_dwordx4 v[6:9], v1, s[28:31], 0 offen glc slc
	buffer_load_dwordx4 v[2:5], v1, s[20:23], 0 offen
.LBB555_28:
	s_or_b64 exec, exec, s[0:1]
	v_mov_b32_e32 v11, 0
	v_mov_b32_e32 v16, 0
	;; [unrolled: 1-line block ×7, first 2 shown]
	s_and_saveexec_b64 s[0:1], vcc
	s_cbranch_execz .LBB555_30
; %bb.29:
	s_waitcnt vmcnt(1)
	v_cvt_f32_f16_sdwa v11, v6 dst_sel:DWORD dst_unused:UNUSED_PAD src0_sel:WORD_1
	v_cvt_f32_f16_e32 v10, v6
	v_cvt_f32_f16_sdwa v17, v7 dst_sel:DWORD dst_unused:UNUSED_PAD src0_sel:WORD_1
	v_cvt_f32_f16_e32 v16, v7
	;; [unrolled: 2-line block ×4, first 2 shown]
.LBB555_30:
	s_or_b64 exec, exec, s[0:1]
	s_waitcnt vmcnt(1)
	v_mul_f32_e32 v6, v11, v11
	v_fmac_f32_e32 v6, v10, v10
	v_fmac_f32_e32 v6, v16, v16
	;; [unrolled: 1-line block ×7, first 2 shown]
	s_nop 1
	v_mov_b32_dpp v7, v6 quad_perm:[1,0,3,2] row_mask:0xf bank_mask:0xf
	v_add_f32_e32 v6, v6, v7
	s_nop 1
	v_mov_b32_dpp v7, v6 quad_perm:[2,3,0,1] row_mask:0xf bank_mask:0xf
	v_add_f32_e32 v6, v6, v7
	s_nop 1
	v_mov_b32_dpp v7, v6 row_half_mirror row_mask:0xf bank_mask:0xf
	v_add_f32_e32 v6, v6, v7
	s_nop 1
	v_mov_b32_dpp v7, v6 row_mirror row_mask:0xf bank_mask:0xf
	v_add_f32_e32 v6, v6, v7
	s_nop 1
	v_mov_b32_dpp v7, v6 row_bcast:15 row_mask:0xf bank_mask:0xf
	v_add_f32_e32 v6, v6, v7
	s_nop 1
	v_mov_b32_dpp v7, v6 row_bcast:31 row_mask:0xf bank_mask:0xf
	s_and_saveexec_b64 s[0:1], s[8:9]
	s_cbranch_execz .LBB555_32
; %bb.31:
	v_lshrrev_b32_e32 v0, 4, v0
	v_add_f32_e32 v6, v6, v7
	v_and_b32_e32 v0, 60, v0
	ds_write_b32 v0, v6
.LBB555_32:
	s_or_b64 exec, exec, s[0:1]
	s_waitcnt lgkmcnt(0)
	s_barrier
	ds_read_b32 v0, v18
	s_waitcnt lgkmcnt(0)
	s_nop 0
	v_mov_b32_dpp v6, v0 quad_perm:[1,0,3,2] row_mask:0xf bank_mask:0xf
	v_add_f32_e32 v0, v0, v6
	s_nop 1
	v_mov_b32_dpp v6, v0 quad_perm:[2,3,0,1] row_mask:0xf bank_mask:0xf
	s_and_saveexec_b64 s[0:1], vcc
	s_cbranch_execz .LBB555_17
; %bb.33:
	v_cvt_f32_u32_e32 v7, s16
	v_add_f32_e32 v0, v0, v6
	s_mov_b32 s23, 0x20000
	v_div_scale_f32 v6, s[0:1], v7, v7, v0
	v_rcp_f32_e32 v8, v6
	v_div_scale_f32 v9, vcc, v0, v7, v0
	s_mov_b32 s0, 0x800000
	v_fma_f32 v18, -v6, v8, 1.0
	v_fmac_f32_e32 v8, v18, v8
	v_mul_f32_e32 v18, v9, v8
	v_fma_f32 v19, -v6, v18, v9
	v_fmac_f32_e32 v18, v19, v8
	v_fma_f32 v6, -v6, v18, v9
	v_div_fmas_f32 v6, v6, v8, v18
	v_div_fixup_f32 v0, v6, v7, v0
	v_add_f32_e32 v0, s13, v0
	v_mul_f32_e32 v6, 0x4b800000, v0
	v_cmp_gt_f32_e32 vcc, s0, v0
	v_cndmask_b32_e32 v0, v0, v6, vcc
	v_rsq_f32_e32 v0, v0
	s_waitcnt vmcnt(0)
	v_cvt_f32_f16_sdwa v19, v3 dst_sel:DWORD dst_unused:UNUSED_PAD src0_sel:WORD_1
	v_cvt_f32_f16_e32 v18, v3
	s_mul_hi_i32 s1, s25, s6
	v_mul_f32_e32 v6, 0x45800000, v0
	v_cndmask_b32_e32 v6, v0, v6, vcc
	v_mov_b32_e32 v7, v6
	;;#ASMSTART
	v_pk_mul_f32 v[8:9], v[10:11], v[6:7]
	;;#ASMEND
	;;#ASMSTART
	v_pk_mul_f32 v[10:11], v[16:17], v[6:7]
	;;#ASMEND
	v_cvt_f32_f16_sdwa v17, v2 dst_sel:DWORD dst_unused:UNUSED_PAD src0_sel:WORD_1
	v_cvt_f32_f16_e32 v16, v2
	;;#ASMSTART
	v_pk_mul_f32 v[14:15], v[14:15], v[6:7]
	;;#ASMEND
	;;#ASMSTART
	v_pk_mul_f32 v[2:3], v[12:13], v[6:7]
	;;#ASMEND
	v_cvt_f32_f16_sdwa v13, v4 dst_sel:DWORD dst_unused:UNUSED_PAD src0_sel:WORD_1
	v_cvt_f32_f16_e32 v12, v4
	v_pk_add_f32 v[6:7], v[16:17], 1.0 op_sel_hi:[1,0]
	v_cvt_f32_f16_sdwa v17, v5 dst_sel:DWORD dst_unused:UNUSED_PAD src0_sel:WORD_1
	v_cvt_f32_f16_e32 v16, v5
	;;#ASMSTART
	v_pk_mul_f32 v[6:7], v[8:9], v[6:7]
	;;#ASMEND
	v_pk_add_f32 v[8:9], v[18:19], 1.0 op_sel_hi:[1,0]
	;;#ASMSTART
	v_pk_mul_f32 v[4:5], v[10:11], v[8:9]
	;;#ASMEND
	v_pk_add_f32 v[8:9], v[12:13], 1.0 op_sel_hi:[1,0]
	;;#ASMSTART
	v_pk_mul_f32 v[8:9], v[14:15], v[8:9]
	;;#ASMEND
	v_pk_add_f32 v[10:11], v[16:17], 1.0 op_sel_hi:[1,0]
	;;#ASMSTART
	v_pk_mul_f32 v[2:3], v[2:3], v[10:11]
	;;#ASMEND
	s_mul_i32 s0, s25, s6
	v_cvt_f16_f32_e32 v0, v6
	v_cvt_f16_f32_e32 v6, v7
	;; [unrolled: 1-line block ×8, first 2 shown]
	s_lshl_b64 s[0:1], s[0:1], 1
	s_add_u32 s20, s14, s0
	s_addc_u32 s0, s15, s1
	s_and_b32 s21, s0, 0xffff
	v_pack_b32_f16 v2, v0, v6
	v_pack_b32_f16 v3, v4, v5
	;; [unrolled: 1-line block ×4, first 2 shown]
	buffer_store_dwordx4 v[2:5], v1, s[20:23], 0 offen
	;;#ASMSTART
	s_nop 0
	;;#ASMEND
	s_endpgm
	.section	.rodata,"a",@progbits
	.p2align	6, 0x0
	.amdhsa_kernel _ZN5aiter35fused_qk_rmsnorm_group_quant_kernelIDF16_N4opus5fp4_tELi256ELi8ELi4ELb1ELb1ELb1ELb1ELb0ELb0EEEvPT0_PvPT_S7_S7_PKS6_S9_S9_S9_S9_ffiiiiiiiiiiiii
		.amdhsa_group_segment_fixed_size 32
		.amdhsa_private_segment_fixed_size 0
		.amdhsa_kernarg_size 400
		.amdhsa_user_sgpr_count 6
		.amdhsa_user_sgpr_private_segment_buffer 1
		.amdhsa_user_sgpr_dispatch_ptr 0
		.amdhsa_user_sgpr_queue_ptr 0
		.amdhsa_user_sgpr_kernarg_segment_ptr 1
		.amdhsa_user_sgpr_dispatch_id 0
		.amdhsa_user_sgpr_flat_scratch_init 0
		.amdhsa_user_sgpr_kernarg_preload_length 0
		.amdhsa_user_sgpr_kernarg_preload_offset 0
		.amdhsa_user_sgpr_private_segment_size 0
		.amdhsa_uses_dynamic_stack 0
		.amdhsa_system_sgpr_private_segment_wavefront_offset 0
		.amdhsa_system_sgpr_workgroup_id_x 1
		.amdhsa_system_sgpr_workgroup_id_y 1
		.amdhsa_system_sgpr_workgroup_id_z 0
		.amdhsa_system_sgpr_workgroup_info 0
		.amdhsa_system_vgpr_workitem_id 0
		.amdhsa_next_free_vgpr 25
		.amdhsa_next_free_sgpr 32
		.amdhsa_accum_offset 28
		.amdhsa_reserve_vcc 1
		.amdhsa_reserve_flat_scratch 0
		.amdhsa_float_round_mode_32 0
		.amdhsa_float_round_mode_16_64 0
		.amdhsa_float_denorm_mode_32 3
		.amdhsa_float_denorm_mode_16_64 3
		.amdhsa_dx10_clamp 1
		.amdhsa_ieee_mode 1
		.amdhsa_fp16_overflow 0
		.amdhsa_tg_split 0
		.amdhsa_exception_fp_ieee_invalid_op 0
		.amdhsa_exception_fp_denorm_src 0
		.amdhsa_exception_fp_ieee_div_zero 0
		.amdhsa_exception_fp_ieee_overflow 0
		.amdhsa_exception_fp_ieee_underflow 0
		.amdhsa_exception_fp_ieee_inexact 0
		.amdhsa_exception_int_div_zero 0
	.end_amdhsa_kernel
	.section	.text._ZN5aiter35fused_qk_rmsnorm_group_quant_kernelIDF16_N4opus5fp4_tELi256ELi8ELi4ELb1ELb1ELb1ELb1ELb0ELb0EEEvPT0_PvPT_S7_S7_PKS6_S9_S9_S9_S9_ffiiiiiiiiiiiii,"axG",@progbits,_ZN5aiter35fused_qk_rmsnorm_group_quant_kernelIDF16_N4opus5fp4_tELi256ELi8ELi4ELb1ELb1ELb1ELb1ELb0ELb0EEEvPT0_PvPT_S7_S7_PKS6_S9_S9_S9_S9_ffiiiiiiiiiiiii,comdat
.Lfunc_end555:
	.size	_ZN5aiter35fused_qk_rmsnorm_group_quant_kernelIDF16_N4opus5fp4_tELi256ELi8ELi4ELb1ELb1ELb1ELb1ELb0ELb0EEEvPT0_PvPT_S7_S7_PKS6_S9_S9_S9_S9_ffiiiiiiiiiiiii, .Lfunc_end555-_ZN5aiter35fused_qk_rmsnorm_group_quant_kernelIDF16_N4opus5fp4_tELi256ELi8ELi4ELb1ELb1ELb1ELb1ELb0ELb0EEEvPT0_PvPT_S7_S7_PKS6_S9_S9_S9_S9_ffiiiiiiiiiiiii
                                        ; -- End function
	.section	.AMDGPU.csdata,"",@progbits
; Kernel info:
; codeLenInByte = 2480
; NumSgprs: 36
; NumVgprs: 25
; NumAgprs: 0
; TotalNumVgprs: 25
; ScratchSize: 0
; MemoryBound: 0
; FloatMode: 240
; IeeeMode: 1
; LDSByteSize: 32 bytes/workgroup (compile time only)
; SGPRBlocks: 4
; VGPRBlocks: 3
; NumSGPRsForWavesPerEU: 36
; NumVGPRsForWavesPerEU: 25
; AccumOffset: 28
; Occupancy: 8
; WaveLimiterHint : 0
; COMPUTE_PGM_RSRC2:SCRATCH_EN: 0
; COMPUTE_PGM_RSRC2:USER_SGPR: 6
; COMPUTE_PGM_RSRC2:TRAP_HANDLER: 0
; COMPUTE_PGM_RSRC2:TGID_X_EN: 1
; COMPUTE_PGM_RSRC2:TGID_Y_EN: 1
; COMPUTE_PGM_RSRC2:TGID_Z_EN: 0
; COMPUTE_PGM_RSRC2:TIDIG_COMP_CNT: 0
; COMPUTE_PGM_RSRC3_GFX90A:ACCUM_OFFSET: 6
; COMPUTE_PGM_RSRC3_GFX90A:TG_SPLIT: 0
	.section	.text._ZN5aiter35fused_qk_rmsnorm_group_quant_kernelItN4opus5fp4_tELi256ELi8ELi4ELb1ELb1ELb1ELb1ELb0ELb0EEEvPT0_PvPT_S7_S7_PKS6_S9_S9_S9_S9_ffiiiiiiiiiiiii,"axG",@progbits,_ZN5aiter35fused_qk_rmsnorm_group_quant_kernelItN4opus5fp4_tELi256ELi8ELi4ELb1ELb1ELb1ELb1ELb0ELb0EEEvPT0_PvPT_S7_S7_PKS6_S9_S9_S9_S9_ffiiiiiiiiiiiii,comdat
	.protected	_ZN5aiter35fused_qk_rmsnorm_group_quant_kernelItN4opus5fp4_tELi256ELi8ELi4ELb1ELb1ELb1ELb1ELb0ELb0EEEvPT0_PvPT_S7_S7_PKS6_S9_S9_S9_S9_ffiiiiiiiiiiiii ; -- Begin function _ZN5aiter35fused_qk_rmsnorm_group_quant_kernelItN4opus5fp4_tELi256ELi8ELi4ELb1ELb1ELb1ELb1ELb0ELb0EEEvPT0_PvPT_S7_S7_PKS6_S9_S9_S9_S9_ffiiiiiiiiiiiii
	.globl	_ZN5aiter35fused_qk_rmsnorm_group_quant_kernelItN4opus5fp4_tELi256ELi8ELi4ELb1ELb1ELb1ELb1ELb0ELb0EEEvPT0_PvPT_S7_S7_PKS6_S9_S9_S9_S9_ffiiiiiiiiiiiii
	.p2align	8
	.type	_ZN5aiter35fused_qk_rmsnorm_group_quant_kernelItN4opus5fp4_tELi256ELi8ELi4ELb1ELb1ELb1ELb1ELb0ELb0EEEvPT0_PvPT_S7_S7_PKS6_S9_S9_S9_S9_ffiiiiiiiiiiiii,@function
_ZN5aiter35fused_qk_rmsnorm_group_quant_kernelItN4opus5fp4_tELi256ELi8ELi4ELb1ELb1ELb1ELb1ELb0ELb0EEEvPT0_PvPT_S7_S7_PKS6_S9_S9_S9_S9_ffiiiiiiiiiiiii: ; @_ZN5aiter35fused_qk_rmsnorm_group_quant_kernelItN4opus5fp4_tELi256ELi8ELi4ELb1ELb1ELb1ELb1ELb0ELb0EEEvPT0_PvPT_S7_S7_PKS6_S9_S9_S9_S9_ffiiiiiiiiiiiii
; %bb.0:
	s_load_dwordx8 s[12:19], s[4:5], 0x50
	s_waitcnt lgkmcnt(0)
	s_cmp_ge_i32 s6, s14
	s_cbranch_scc1 .LBB556_17
; %bb.1:
	s_cmp_lg_u32 s7, 0
	s_cselect_b64 s[22:23], -1, 0
	s_cmp_eq_u32 s7, 0
	s_cselect_b64 s[8:9], -1, 0
	s_and_b64 s[0:1], s[8:9], exec
	s_cselect_b32 s7, s15, s16
	s_load_dwordx2 s[10:11], s[4:5], 0x30
	s_load_dwordx2 s[20:21], s[4:5], 0x48
	s_add_i32 s0, s7, 1
	s_lshr_b32 s1, s0, 31
	s_add_i32 s0, s0, s1
	s_lshl_b32 s0, s0, 1
	v_lshlrev_b32_e32 v1, 3, v0
	s_and_b32 s30, s0, -4
	v_cmp_gt_i32_e64 s[0:1], s7, v1
	v_mov_b32_e32 v10, 0
	v_mov_b32_e32 v11, 0
	;; [unrolled: 1-line block ×8, first 2 shown]
	s_and_saveexec_b64 s[2:3], s[0:1]
	s_cbranch_execz .LBB556_3
; %bb.2:
	s_load_dwordx2 s[14:15], s[4:5], 0x28
	s_load_dwordx2 s[26:27], s[4:5], 0x40
	s_and_b64 s[24:25], s[8:9], exec
	s_cselect_b32 s17, s17, s18
	s_mov_b32 s31, 0x20000
	s_waitcnt lgkmcnt(0)
	s_cselect_b32 s25, s15, s11
	s_cselect_b32 s24, s14, s10
	s_mul_hi_i32 s15, s17, s6
	s_mul_i32 s14, s17, s6
	s_lshl_b64 s[14:15], s[14:15], 1
	s_add_u32 s24, s24, s14
	s_addc_u32 s17, s25, s15
	s_and_b64 s[14:15], s[8:9], exec
	s_cselect_b32 s28, s26, s20
	s_cselect_b32 s14, s27, s21
	v_lshlrev_b32_e32 v2, 4, v0
	s_and_b32 s25, s17, 0xffff
	s_mov_b32 s26, s30
	s_mov_b32 s27, s31
	s_and_b32 s29, s14, 0xffff
	buffer_load_dwordx4 v[14:17], v2, s[24:27], 0 offen glc slc
	buffer_load_dwordx4 v[10:13], v2, s[28:31], 0 offen
.LBB556_3:
	s_or_b64 exec, exec, s[2:3]
	s_load_dwordx4 s[24:27], s[4:5], 0x7c
	s_and_b64 vcc, exec, s[22:23]
	s_cbranch_vccz .LBB556_7
; %bb.4:
	s_mov_b32 s36, 0
	s_mov_b32 s37, s36
	;; [unrolled: 1-line block ×8, first 2 shown]
	v_pk_mov_b32 v[2:3], s[36:37], s[36:37] op_sel:[0,1]
	v_pk_mov_b32 v[4:5], s[38:39], s[38:39] op_sel:[0,1]
	;; [unrolled: 1-line block ×4, first 2 shown]
	s_and_saveexec_b64 s[2:3], s[0:1]
	s_cbranch_execz .LBB556_6
; %bb.5:
	s_waitcnt vmcnt(1)
	v_cvt_f32_u32_sdwa v3, v14 dst_sel:DWORD dst_unused:UNUSED_PAD src0_sel:WORD_1
	v_cvt_f32_u32_sdwa v2, v14 dst_sel:DWORD dst_unused:UNUSED_PAD src0_sel:WORD_0
	v_cvt_f32_u32_sdwa v5, v15 dst_sel:DWORD dst_unused:UNUSED_PAD src0_sel:WORD_1
	v_cvt_f32_u32_sdwa v4, v15 dst_sel:DWORD dst_unused:UNUSED_PAD src0_sel:WORD_0
	;; [unrolled: 2-line block ×4, first 2 shown]
.LBB556_6:
	s_or_b64 exec, exec, s[2:3]
	s_cbranch_execz .LBB556_8
	s_branch .LBB556_11
.LBB556_7:
                                        ; implicit-def: $vgpr2_vgpr3_vgpr4_vgpr5_vgpr6_vgpr7_vgpr8_vgpr9
.LBB556_8:
	s_mov_b32 s36, 0
	s_mov_b32 s37, s36
	;; [unrolled: 1-line block ×8, first 2 shown]
	v_pk_mov_b32 v[2:3], s[36:37], s[36:37] op_sel:[0,1]
	v_pk_mov_b32 v[4:5], s[38:39], s[38:39] op_sel:[0,1]
	;; [unrolled: 1-line block ×4, first 2 shown]
	s_and_saveexec_b64 s[2:3], s[0:1]
	s_cbranch_execz .LBB556_10
; %bb.9:
	s_load_dwordx2 s[14:15], s[4:5], 0x38
	s_mul_hi_i32 s29, s19, s6
	s_mul_i32 s28, s19, s6
	s_lshl_b64 s[28:29], s[28:29], 1
	s_mov_b32 s31, 0x20000
	s_waitcnt lgkmcnt(0)
	s_add_u32 s28, s14, s28
	s_addc_u32 s14, s15, s29
	s_and_b32 s29, s14, 0xffff
	v_lshlrev_b32_e32 v26, 4, v0
	buffer_load_dwordx4 v[2:5], v26, s[28:31], 0 offen glc slc
	s_load_dwordx2 s[14:15], s[4:5], 0x20
	s_waitcnt vmcnt(2)
	v_cvt_f32_u32_sdwa v7, v14 dst_sel:DWORD dst_unused:UNUSED_PAD src0_sel:WORD_1
	v_cvt_f32_u32_sdwa v6, v14 dst_sel:DWORD dst_unused:UNUSED_PAD src0_sel:WORD_0
	v_cvt_f32_u32_sdwa v9, v15 dst_sel:DWORD dst_unused:UNUSED_PAD src0_sel:WORD_1
	v_cvt_f32_u32_sdwa v8, v15 dst_sel:DWORD dst_unused:UNUSED_PAD src0_sel:WORD_0
	;; [unrolled: 2-line block ×4, first 2 shown]
	s_mul_hi_i32 s27, s26, s6
	s_mul_i32 s26, s26, s6
	s_lshl_b64 s[26:27], s[26:27], 1
	s_waitcnt lgkmcnt(0)
	s_add_u32 s28, s14, s26
	s_mov_b32 s17, 0x7060302
	s_addc_u32 s14, s15, s27
	s_and_b32 s29, s14, 0xffff
	s_waitcnt vmcnt(0)
	v_cvt_f32_u32_sdwa v17, v2 dst_sel:DWORD dst_unused:UNUSED_PAD src0_sel:WORD_1
	v_cvt_f32_u32_sdwa v16, v2 dst_sel:DWORD dst_unused:UNUSED_PAD src0_sel:WORD_0
	v_cvt_f32_u32_sdwa v21, v3 dst_sel:DWORD dst_unused:UNUSED_PAD src0_sel:WORD_1
	v_cvt_f32_u32_sdwa v20, v3 dst_sel:DWORD dst_unused:UNUSED_PAD src0_sel:WORD_0
	;; [unrolled: 2-line block ×4, first 2 shown]
	v_pk_add_f32 v[2:3], v[6:7], v[16:17]
	v_pk_add_f32 v[4:5], v[8:9], v[20:21]
	;; [unrolled: 1-line block ×4, first 2 shown]
	v_perm_b32 v17, v9, v8, s17
	v_perm_b32 v16, v7, v6, s17
	;; [unrolled: 1-line block ×4, first 2 shown]
	buffer_store_dwordx4 v[14:17], v26, s[28:31], 0 offen glc slc
	;;#ASMSTART
	s_nop 0
	;;#ASMEND
.LBB556_10:
	s_or_b64 exec, exec, s[2:3]
.LBB556_11:
	s_waitcnt vmcnt(1)
	v_mul_f32_e32 v14, v3, v3
	v_fmac_f32_e32 v14, v2, v2
	v_fmac_f32_e32 v14, v4, v4
	;; [unrolled: 1-line block ×7, first 2 shown]
	v_and_b32_e32 v16, 63, v0
	v_cmp_eq_u32_e64 s[2:3], 63, v16
	v_mov_b32_dpp v15, v14 quad_perm:[1,0,3,2] row_mask:0xf bank_mask:0xf
	v_add_f32_e32 v14, v14, v15
	s_nop 1
	v_mov_b32_dpp v15, v14 quad_perm:[2,3,0,1] row_mask:0xf bank_mask:0xf
	v_add_f32_e32 v14, v14, v15
	s_nop 1
	v_mov_b32_dpp v15, v14 row_half_mirror row_mask:0xf bank_mask:0xf
	v_add_f32_e32 v14, v14, v15
	s_nop 1
	v_mov_b32_dpp v15, v14 row_mirror row_mask:0xf bank_mask:0xf
	v_add_f32_e32 v14, v14, v15
	s_nop 1
	v_mov_b32_dpp v15, v14 row_bcast:15 row_mask:0xf bank_mask:0xf
	v_add_f32_e32 v14, v14, v15
	s_nop 1
	v_mov_b32_dpp v15, v14 row_bcast:31 row_mask:0xf bank_mask:0xf
	s_and_saveexec_b64 s[14:15], s[2:3]
	s_cbranch_execz .LBB556_13
; %bb.12:
	v_add_f32_e32 v14, v14, v15
	v_lshrrev_b32_e32 v15, 4, v0
	v_and_b32_e32 v15, 60, v15
	ds_write_b32 v15, v14 offset:16
.LBB556_13:
	s_or_b64 exec, exec, s[14:15]
	v_and_b32_e32 v14, 3, v0
	v_lshlrev_b32_e32 v14, 2, v14
	s_waitcnt lgkmcnt(0)
	s_barrier
	ds_read_b32 v15, v14 offset:16
	s_load_dwordx2 s[14:15], s[4:5], 0x18
	s_waitcnt lgkmcnt(0)
	v_mov_b32_dpp v16, v15 quad_perm:[1,0,3,2] row_mask:0xf bank_mask:0xf
	v_add_f32_e32 v15, v15, v16
	s_nop 1
	v_mov_b32_dpp v16, v15 quad_perm:[2,3,0,1] row_mask:0xf bank_mask:0xf
	s_and_saveexec_b64 s[26:27], s[0:1]
	s_cbranch_execnz .LBB556_18
; %bb.14:
	s_or_b64 exec, exec, s[26:27]
	s_mov_b64 s[8:9], -1
	s_and_b64 vcc, exec, s[22:23]
	s_cbranch_vccnz .LBB556_19
.LBB556_15:
	s_andn2_b64 vcc, exec, s[8:9]
	s_cbranch_vccz .LBB556_22
.LBB556_16:
	s_cmp_lt_i32 s16, 1
	s_cbranch_scc0 .LBB556_25
.LBB556_17:
	s_endpgm
.LBB556_18:
	v_cvt_f32_u32_e32 v17, s7
	v_add_f32_e32 v15, v15, v16
	v_mov_b32_e32 v19, s13
	v_mov_b32_e32 v20, s12
	v_div_scale_f32 v16, s[28:29], v17, v17, v15
	v_rcp_f32_e32 v18, v16
	v_cndmask_b32_e64 v19, v19, v20, s[8:9]
	s_mov_b32 s7, 0x800000
	v_fma_f32 v20, -v16, v18, 1.0
	v_fmac_f32_e32 v18, v20, v18
	v_div_scale_f32 v20, vcc, v15, v17, v15
	v_mul_f32_e32 v21, v20, v18
	v_fma_f32 v22, -v16, v21, v20
	v_fmac_f32_e32 v21, v22, v18
	v_fma_f32 v16, -v16, v21, v20
	v_div_fmas_f32 v16, v16, v18, v21
	v_div_fixup_f32 v15, v16, v17, v15
	v_add_f32_e32 v15, v19, v15
	v_mul_f32_e32 v16, 0x4b800000, v15
	v_cmp_gt_f32_e32 vcc, s7, v15
	v_cndmask_b32_e32 v15, v15, v16, vcc
	v_rsq_f32_e32 v15, v15
	s_waitcnt vmcnt(0)
	v_cvt_f32_u32_sdwa v19, v10 dst_sel:DWORD dst_unused:UNUSED_PAD src0_sel:WORD_1
	v_cvt_f32_u32_sdwa v18, v10 dst_sel:DWORD dst_unused:UNUSED_PAD src0_sel:WORD_0
	v_cvt_f32_u32_sdwa v21, v11 dst_sel:DWORD dst_unused:UNUSED_PAD src0_sel:WORD_1
	v_mul_f32_e32 v16, 0x45800000, v15
	v_cndmask_b32_e32 v16, v15, v16, vcc
	v_mov_b32_e32 v17, v16
	v_cvt_f32_u32_sdwa v20, v11 dst_sel:DWORD dst_unused:UNUSED_PAD src0_sel:WORD_0
	;;#ASMSTART
	v_pk_mul_f32 v[2:3], v[2:3], v[16:17]
	;;#ASMEND
	;;#ASMSTART
	v_pk_mul_f32 v[4:5], v[4:5], v[16:17]
	;;#ASMEND
	;; [unrolled: 3-line block ×4, first 2 shown]
	v_cvt_f32_u32_sdwa v17, v12 dst_sel:DWORD dst_unused:UNUSED_PAD src0_sel:WORD_1
	v_cvt_f32_u32_sdwa v16, v12 dst_sel:DWORD dst_unused:UNUSED_PAD src0_sel:WORD_0
	v_pk_add_f32 v[10:11], v[18:19], 1.0 op_sel_hi:[1,0]
	v_cvt_f32_u32_sdwa v19, v13 dst_sel:DWORD dst_unused:UNUSED_PAD src0_sel:WORD_1
	v_cvt_f32_u32_sdwa v18, v13 dst_sel:DWORD dst_unused:UNUSED_PAD src0_sel:WORD_0
	;;#ASMSTART
	v_pk_mul_f32 v[2:3], v[2:3], v[10:11]
	;;#ASMEND
	v_pk_add_f32 v[10:11], v[20:21], 1.0 op_sel_hi:[1,0]
	;;#ASMSTART
	v_pk_mul_f32 v[4:5], v[4:5], v[10:11]
	;;#ASMEND
	v_pk_add_f32 v[10:11], v[16:17], 1.0 op_sel_hi:[1,0]
	;; [unrolled: 4-line block ×3, first 2 shown]
	;;#ASMSTART
	v_pk_mul_f32 v[8:9], v[8:9], v[10:11]
	;;#ASMEND
	s_or_b64 exec, exec, s[26:27]
	s_mov_b64 s[8:9], -1
	s_and_b64 vcc, exec, s[22:23]
	s_cbranch_vccz .LBB556_15
.LBB556_19:
	s_and_saveexec_b64 s[8:9], s[0:1]
	s_cbranch_execz .LBB556_21
; %bb.20:
	s_mul_hi_i32 s23, s25, s6
	s_mul_i32 s22, s25, s6
	s_lshl_b64 s[22:23], s[22:23], 1
	s_add_u32 s28, s14, s22
	s_addc_u32 s7, s15, s23
	s_and_b32 s29, s7, 0xffff
	s_mov_b32 s7, 0x7060302
	s_mov_b32 s31, 0x20000
	s_waitcnt vmcnt(0)
	v_perm_b32 v10, v3, v2, s7
	v_perm_b32 v11, v5, v4, s7
	;; [unrolled: 1-line block ×4, first 2 shown]
	v_lshlrev_b32_e32 v15, 4, v0
	buffer_store_dwordx4 v[10:13], v15, s[28:31], 0 offen
	;;#ASMSTART
	s_nop 0
	;;#ASMEND
.LBB556_21:
	s_or_b64 exec, exec, s[8:9]
	s_cbranch_execnz .LBB556_16
.LBB556_22:
	s_and_saveexec_b64 s[8:9], s[0:1]
	s_cbranch_execz .LBB556_24
; %bb.23:
	s_load_dwordx2 s[0:1], s[4:5], 0x10
	s_mul_hi_i32 s23, s24, s6
	s_mul_i32 s22, s24, s6
	s_lshl_b64 s[22:23], s[22:23], 1
	s_mov_b32 s31, 0x20000
	s_waitcnt lgkmcnt(0)
	s_add_u32 s28, s0, s22
	s_addc_u32 s0, s1, s23
	s_and_b32 s29, s0, 0xffff
	s_mov_b32 s0, 0x7060302
	v_perm_b32 v2, v3, v2, s0
	v_perm_b32 v3, v5, v4, s0
	v_perm_b32 v4, v7, v6, s0
	v_perm_b32 v5, v9, v8, s0
	v_lshlrev_b32_e32 v6, 4, v0
	buffer_store_dwordx4 v[2:5], v6, s[28:31], 0 offen
	;;#ASMSTART
	s_nop 0
	;;#ASMEND
.LBB556_24:
	s_or_b64 exec, exec, s[8:9]
	s_cmp_lt_i32 s16, 1
	s_cbranch_scc1 .LBB556_17
.LBB556_25:
	s_load_dword s0, s[4:5], 0x94
	s_waitcnt lgkmcnt(0)
	s_cmp_lg_u32 s0, 1
	s_cbranch_scc1 .LBB556_17
; %bb.26:
	s_lshl_b32 s0, s16, 1
	s_add_i32 s0, s0, 2
	v_cmp_gt_u32_e32 vcc, s16, v1
	s_and_b32 s22, s0, -4
	v_mov_b32_e32 v6, 0
	v_lshlrev_b32_e32 v1, 4, v0
	v_mov_b32_e32 v7, 0
	v_mov_b32_e32 v8, 0
	;; [unrolled: 1-line block ×7, first 2 shown]
	s_barrier
	s_and_saveexec_b64 s[0:1], vcc
	s_cbranch_execz .LBB556_28
; %bb.27:
	s_mul_hi_i32 s5, s18, s6
	s_mul_i32 s4, s18, s6
	s_and_b32 s21, s21, 0xffff
	s_lshl_b64 s[4:5], s[4:5], 1
	s_add_u32 s8, s10, s4
	s_mov_b32 s23, 0x20000
	s_addc_u32 s4, s11, s5
	s_and_b32 s9, s4, 0xffff
	s_mov_b32 s10, s22
	s_mov_b32 s11, s23
	buffer_load_dwordx4 v[6:9], v1, s[8:11], 0 offen glc slc
	buffer_load_dwordx4 v[2:5], v1, s[20:23], 0 offen
.LBB556_28:
	s_or_b64 exec, exec, s[0:1]
	s_waitcnt vmcnt(0)
	v_cvt_f32_u32_sdwa v13, v6 dst_sel:DWORD dst_unused:UNUSED_PAD src0_sel:WORD_1
	v_cvt_f32_u32_sdwa v12, v6 dst_sel:DWORD dst_unused:UNUSED_PAD src0_sel:WORD_0
	v_cvt_f32_u32_sdwa v6, v9 dst_sel:DWORD dst_unused:UNUSED_PAD src0_sel:WORD_1
	v_cvt_f32_u32_sdwa v9, v9 dst_sel:DWORD dst_unused:UNUSED_PAD src0_sel:WORD_0
	;; [unrolled: 2-line block ×4, first 2 shown]
	v_cndmask_b32_e32 v13, 0, v13, vcc
	v_cndmask_b32_e32 v7, 0, v6, vcc
	;; [unrolled: 1-line block ×5, first 2 shown]
	v_mul_f32_e32 v15, v13, v13
	v_cndmask_b32_e32 v10, 0, v10, vcc
	v_fmac_f32_e32 v15, v12, v12
	v_cndmask_b32_e32 v11, 0, v11, vcc
	v_fmac_f32_e32 v15, v10, v10
	;; [unrolled: 2-line block ×3, first 2 shown]
	v_fmac_f32_e32 v15, v8, v8
	v_fmac_f32_e32 v15, v9, v9
	v_fmac_f32_e32 v15, v6, v6
	v_fmac_f32_e32 v15, v7, v7
	s_nop 1
	v_mov_b32_dpp v16, v15 quad_perm:[1,0,3,2] row_mask:0xf bank_mask:0xf
	v_add_f32_e32 v15, v15, v16
	s_nop 1
	v_mov_b32_dpp v16, v15 quad_perm:[2,3,0,1] row_mask:0xf bank_mask:0xf
	v_add_f32_e32 v15, v15, v16
	s_nop 1
	v_mov_b32_dpp v16, v15 row_half_mirror row_mask:0xf bank_mask:0xf
	v_add_f32_e32 v15, v15, v16
	s_nop 1
	v_mov_b32_dpp v16, v15 row_mirror row_mask:0xf bank_mask:0xf
	v_add_f32_e32 v15, v15, v16
	s_nop 1
	v_mov_b32_dpp v16, v15 row_bcast:15 row_mask:0xf bank_mask:0xf
	v_add_f32_e32 v15, v15, v16
	s_nop 1
	v_mov_b32_dpp v16, v15 row_bcast:31 row_mask:0xf bank_mask:0xf
	s_and_saveexec_b64 s[0:1], s[2:3]
	s_cbranch_execz .LBB556_30
; %bb.29:
	v_lshrrev_b32_e32 v0, 4, v0
	v_add_f32_e32 v15, v15, v16
	v_and_b32_e32 v0, 60, v0
	ds_write_b32 v0, v15
.LBB556_30:
	s_or_b64 exec, exec, s[0:1]
	s_waitcnt lgkmcnt(0)
	s_barrier
	ds_read_b32 v0, v14
	s_waitcnt lgkmcnt(0)
	s_nop 0
	v_mov_b32_dpp v14, v0 quad_perm:[1,0,3,2] row_mask:0xf bank_mask:0xf
	v_add_f32_e32 v0, v0, v14
	s_nop 1
	v_mov_b32_dpp v14, v0 quad_perm:[2,3,0,1] row_mask:0xf bank_mask:0xf
	s_and_saveexec_b64 s[0:1], vcc
	s_cbranch_execz .LBB556_17
; %bb.31:
	v_cvt_f32_u32_e32 v15, s16
	v_add_f32_e32 v0, v0, v14
	s_mov_b32 s23, 0x20000
	v_div_scale_f32 v14, s[0:1], v15, v15, v0
	v_rcp_f32_e32 v16, v14
	v_div_scale_f32 v17, vcc, v0, v15, v0
	s_mov_b32 s0, 0x800000
	v_fma_f32 v18, -v14, v16, 1.0
	v_fmac_f32_e32 v16, v18, v16
	v_mul_f32_e32 v18, v17, v16
	v_fma_f32 v19, -v14, v18, v17
	v_fmac_f32_e32 v18, v19, v16
	v_fma_f32 v14, -v14, v18, v17
	v_div_fmas_f32 v14, v14, v16, v18
	v_div_fixup_f32 v0, v14, v15, v0
	v_add_f32_e32 v0, s13, v0
	v_mul_f32_e32 v14, 0x4b800000, v0
	v_cmp_gt_f32_e32 vcc, s0, v0
	v_cndmask_b32_e32 v0, v0, v14, vcc
	v_rsq_f32_e32 v0, v0
	v_cvt_f32_u32_sdwa v17, v2 dst_sel:DWORD dst_unused:UNUSED_PAD src0_sel:WORD_1
	v_cvt_f32_u32_sdwa v16, v2 dst_sel:DWORD dst_unused:UNUSED_PAD src0_sel:WORD_0
	v_cvt_f32_u32_sdwa v19, v3 dst_sel:DWORD dst_unused:UNUSED_PAD src0_sel:WORD_1
	v_mul_f32_e32 v14, 0x45800000, v0
	v_cndmask_b32_e32 v14, v0, v14, vcc
	v_mov_b32_e32 v15, v14
	;;#ASMSTART
	v_pk_mul_f32 v[12:13], v[12:13], v[14:15]
	;;#ASMEND
	;;#ASMSTART
	v_pk_mul_f32 v[10:11], v[10:11], v[14:15]
	;;#ASMEND
	;; [unrolled: 3-line block ×3, first 2 shown]
	v_cvt_f32_u32_sdwa v18, v3 dst_sel:DWORD dst_unused:UNUSED_PAD src0_sel:WORD_0
	;;#ASMSTART
	v_pk_mul_f32 v[2:3], v[6:7], v[14:15]
	;;#ASMEND
	v_cvt_f32_u32_sdwa v15, v4 dst_sel:DWORD dst_unused:UNUSED_PAD src0_sel:WORD_1
	v_cvt_f32_u32_sdwa v14, v4 dst_sel:DWORD dst_unused:UNUSED_PAD src0_sel:WORD_0
	v_pk_add_f32 v[6:7], v[16:17], 1.0 op_sel_hi:[1,0]
	v_cvt_f32_u32_sdwa v17, v5 dst_sel:DWORD dst_unused:UNUSED_PAD src0_sel:WORD_1
	v_cvt_f32_u32_sdwa v16, v5 dst_sel:DWORD dst_unused:UNUSED_PAD src0_sel:WORD_0
	s_mul_hi_i32 s1, s25, s6
	s_mul_i32 s0, s25, s6
	s_lshl_b64 s[0:1], s[0:1], 1
	s_add_u32 s20, s14, s0
	;;#ASMSTART
	v_pk_mul_f32 v[6:7], v[12:13], v[6:7]
	;;#ASMEND
	v_pk_add_f32 v[12:13], v[18:19], 1.0 op_sel_hi:[1,0]
	;;#ASMSTART
	v_pk_mul_f32 v[4:5], v[10:11], v[12:13]
	;;#ASMEND
	v_pk_add_f32 v[10:11], v[14:15], 1.0 op_sel_hi:[1,0]
	s_addc_u32 s0, s15, s1
	;;#ASMSTART
	v_pk_mul_f32 v[8:9], v[8:9], v[10:11]
	;;#ASMEND
	v_pk_add_f32 v[10:11], v[16:17], 1.0 op_sel_hi:[1,0]
	s_and_b32 s21, s0, 0xffff
	s_mov_b32 s0, 0x7060302
	;;#ASMSTART
	v_pk_mul_f32 v[10:11], v[2:3], v[10:11]
	;;#ASMEND
	v_perm_b32 v2, v7, v6, s0
	v_perm_b32 v3, v5, v4, s0
	;; [unrolled: 1-line block ×4, first 2 shown]
	buffer_store_dwordx4 v[2:5], v1, s[20:23], 0 offen
	;;#ASMSTART
	s_nop 0
	;;#ASMEND
	s_endpgm
	.section	.rodata,"a",@progbits
	.p2align	6, 0x0
	.amdhsa_kernel _ZN5aiter35fused_qk_rmsnorm_group_quant_kernelItN4opus5fp4_tELi256ELi8ELi4ELb1ELb1ELb1ELb1ELb0ELb0EEEvPT0_PvPT_S7_S7_PKS6_S9_S9_S9_S9_ffiiiiiiiiiiiii
		.amdhsa_group_segment_fixed_size 32
		.amdhsa_private_segment_fixed_size 0
		.amdhsa_kernarg_size 400
		.amdhsa_user_sgpr_count 6
		.amdhsa_user_sgpr_private_segment_buffer 1
		.amdhsa_user_sgpr_dispatch_ptr 0
		.amdhsa_user_sgpr_queue_ptr 0
		.amdhsa_user_sgpr_kernarg_segment_ptr 1
		.amdhsa_user_sgpr_dispatch_id 0
		.amdhsa_user_sgpr_flat_scratch_init 0
		.amdhsa_user_sgpr_kernarg_preload_length 0
		.amdhsa_user_sgpr_kernarg_preload_offset 0
		.amdhsa_user_sgpr_private_segment_size 0
		.amdhsa_uses_dynamic_stack 0
		.amdhsa_system_sgpr_private_segment_wavefront_offset 0
		.amdhsa_system_sgpr_workgroup_id_x 1
		.amdhsa_system_sgpr_workgroup_id_y 1
		.amdhsa_system_sgpr_workgroup_id_z 0
		.amdhsa_system_sgpr_workgroup_info 0
		.amdhsa_system_vgpr_workitem_id 0
		.amdhsa_next_free_vgpr 27
		.amdhsa_next_free_sgpr 44
		.amdhsa_accum_offset 28
		.amdhsa_reserve_vcc 1
		.amdhsa_reserve_flat_scratch 0
		.amdhsa_float_round_mode_32 0
		.amdhsa_float_round_mode_16_64 0
		.amdhsa_float_denorm_mode_32 3
		.amdhsa_float_denorm_mode_16_64 3
		.amdhsa_dx10_clamp 1
		.amdhsa_ieee_mode 1
		.amdhsa_fp16_overflow 0
		.amdhsa_tg_split 0
		.amdhsa_exception_fp_ieee_invalid_op 0
		.amdhsa_exception_fp_denorm_src 0
		.amdhsa_exception_fp_ieee_div_zero 0
		.amdhsa_exception_fp_ieee_overflow 0
		.amdhsa_exception_fp_ieee_underflow 0
		.amdhsa_exception_fp_ieee_inexact 0
		.amdhsa_exception_int_div_zero 0
	.end_amdhsa_kernel
	.section	.text._ZN5aiter35fused_qk_rmsnorm_group_quant_kernelItN4opus5fp4_tELi256ELi8ELi4ELb1ELb1ELb1ELb1ELb0ELb0EEEvPT0_PvPT_S7_S7_PKS6_S9_S9_S9_S9_ffiiiiiiiiiiiii,"axG",@progbits,_ZN5aiter35fused_qk_rmsnorm_group_quant_kernelItN4opus5fp4_tELi256ELi8ELi4ELb1ELb1ELb1ELb1ELb0ELb0EEEvPT0_PvPT_S7_S7_PKS6_S9_S9_S9_S9_ffiiiiiiiiiiiii,comdat
.Lfunc_end556:
	.size	_ZN5aiter35fused_qk_rmsnorm_group_quant_kernelItN4opus5fp4_tELi256ELi8ELi4ELb1ELb1ELb1ELb1ELb0ELb0EEEvPT0_PvPT_S7_S7_PKS6_S9_S9_S9_S9_ffiiiiiiiiiiiii, .Lfunc_end556-_ZN5aiter35fused_qk_rmsnorm_group_quant_kernelItN4opus5fp4_tELi256ELi8ELi4ELb1ELb1ELb1ELb1ELb0ELb0EEEvPT0_PvPT_S7_S7_PKS6_S9_S9_S9_S9_ffiiiiiiiiiiiii
                                        ; -- End function
	.section	.AMDGPU.csdata,"",@progbits
; Kernel info:
; codeLenInByte = 2516
; NumSgprs: 48
; NumVgprs: 27
; NumAgprs: 0
; TotalNumVgprs: 27
; ScratchSize: 0
; MemoryBound: 0
; FloatMode: 240
; IeeeMode: 1
; LDSByteSize: 32 bytes/workgroup (compile time only)
; SGPRBlocks: 5
; VGPRBlocks: 3
; NumSGPRsForWavesPerEU: 48
; NumVGPRsForWavesPerEU: 27
; AccumOffset: 28
; Occupancy: 8
; WaveLimiterHint : 0
; COMPUTE_PGM_RSRC2:SCRATCH_EN: 0
; COMPUTE_PGM_RSRC2:USER_SGPR: 6
; COMPUTE_PGM_RSRC2:TRAP_HANDLER: 0
; COMPUTE_PGM_RSRC2:TGID_X_EN: 1
; COMPUTE_PGM_RSRC2:TGID_Y_EN: 1
; COMPUTE_PGM_RSRC2:TGID_Z_EN: 0
; COMPUTE_PGM_RSRC2:TIDIG_COMP_CNT: 0
; COMPUTE_PGM_RSRC3_GFX90A:ACCUM_OFFSET: 6
; COMPUTE_PGM_RSRC3_GFX90A:TG_SPLIT: 0
	.section	.text._ZN5aiter35fused_qk_rmsnorm_group_quant_kernelIDF16_DB8_Li256ELi8ELi4ELb1ELb1ELb0ELb1ELb0ELb0EEEvPT0_PvPT_S6_S6_PKS5_S8_S8_S8_S8_ffiiiiiiiiiiiii,"axG",@progbits,_ZN5aiter35fused_qk_rmsnorm_group_quant_kernelIDF16_DB8_Li256ELi8ELi4ELb1ELb1ELb0ELb1ELb0ELb0EEEvPT0_PvPT_S6_S6_PKS5_S8_S8_S8_S8_ffiiiiiiiiiiiii,comdat
	.protected	_ZN5aiter35fused_qk_rmsnorm_group_quant_kernelIDF16_DB8_Li256ELi8ELi4ELb1ELb1ELb0ELb1ELb0ELb0EEEvPT0_PvPT_S6_S6_PKS5_S8_S8_S8_S8_ffiiiiiiiiiiiii ; -- Begin function _ZN5aiter35fused_qk_rmsnorm_group_quant_kernelIDF16_DB8_Li256ELi8ELi4ELb1ELb1ELb0ELb1ELb0ELb0EEEvPT0_PvPT_S6_S6_PKS5_S8_S8_S8_S8_ffiiiiiiiiiiiii
	.globl	_ZN5aiter35fused_qk_rmsnorm_group_quant_kernelIDF16_DB8_Li256ELi8ELi4ELb1ELb1ELb0ELb1ELb0ELb0EEEvPT0_PvPT_S6_S6_PKS5_S8_S8_S8_S8_ffiiiiiiiiiiiii
	.p2align	8
	.type	_ZN5aiter35fused_qk_rmsnorm_group_quant_kernelIDF16_DB8_Li256ELi8ELi4ELb1ELb1ELb0ELb1ELb0ELb0EEEvPT0_PvPT_S6_S6_PKS5_S8_S8_S8_S8_ffiiiiiiiiiiiii,@function
_ZN5aiter35fused_qk_rmsnorm_group_quant_kernelIDF16_DB8_Li256ELi8ELi4ELb1ELb1ELb0ELb1ELb0ELb0EEEvPT0_PvPT_S6_S6_PKS5_S8_S8_S8_S8_ffiiiiiiiiiiiii: ; @_ZN5aiter35fused_qk_rmsnorm_group_quant_kernelIDF16_DB8_Li256ELi8ELi4ELb1ELb1ELb0ELb1ELb0ELb0EEEvPT0_PvPT_S6_S6_PKS5_S8_S8_S8_S8_ffiiiiiiiiiiiii
; %bb.0:
	s_load_dwordx8 s[12:19], s[4:5], 0x50
	s_waitcnt lgkmcnt(0)
	s_cmp_ge_i32 s6, s14
	s_cbranch_scc1 .LBB557_17
; %bb.1:
	s_cmp_lg_u32 s7, 0
	s_cselect_b64 s[22:23], -1, 0
	s_cmp_eq_u32 s7, 0
	s_cselect_b64 s[2:3], -1, 0
	s_and_b64 s[0:1], s[2:3], exec
	s_cselect_b32 s7, s15, s16
	s_load_dwordx2 s[10:11], s[4:5], 0x30
	s_load_dwordx2 s[20:21], s[4:5], 0x48
	s_add_i32 s0, s7, 1
	s_lshr_b32 s1, s0, 31
	s_add_i32 s0, s0, s1
	s_lshl_b32 s0, s0, 1
	v_lshlrev_b32_e32 v1, 3, v0
	s_and_b32 s30, s0, -4
	v_cmp_gt_i32_e64 s[0:1], s7, v1
	v_mov_b32_e32 v2, 0
	v_mov_b32_e32 v3, 0
	;; [unrolled: 1-line block ×8, first 2 shown]
	s_and_saveexec_b64 s[8:9], s[0:1]
	s_cbranch_execz .LBB557_3
; %bb.2:
	s_load_dwordx2 s[14:15], s[4:5], 0x28
	s_load_dwordx2 s[26:27], s[4:5], 0x40
	s_and_b64 s[24:25], s[2:3], exec
	s_cselect_b32 s17, s17, s18
	s_mov_b32 s31, 0x20000
	s_waitcnt lgkmcnt(0)
	s_cselect_b32 s25, s15, s11
	s_cselect_b32 s24, s14, s10
	s_mul_hi_i32 s15, s17, s6
	s_mul_i32 s14, s17, s6
	s_lshl_b64 s[14:15], s[14:15], 1
	s_add_u32 s24, s24, s14
	s_addc_u32 s17, s25, s15
	s_and_b64 s[14:15], s[2:3], exec
	s_cselect_b32 s28, s26, s20
	s_cselect_b32 s14, s27, s21
	v_lshlrev_b32_e32 v10, 4, v0
	s_and_b32 s25, s17, 0xffff
	s_mov_b32 s26, s30
	s_mov_b32 s27, s31
	s_and_b32 s29, s14, 0xffff
	buffer_load_dwordx4 v[6:9], v10, s[24:27], 0 offen glc slc
	buffer_load_dwordx4 v[2:5], v10, s[28:31], 0 offen
.LBB557_3:
	s_or_b64 exec, exec, s[8:9]
	s_load_dwordx4 s[24:27], s[4:5], 0x7c
	s_and_b64 vcc, exec, s[22:23]
	s_cbranch_vccz .LBB557_7
; %bb.4:
	v_mov_b32_e32 v11, 0
	v_mov_b32_e32 v10, 0
	;; [unrolled: 1-line block ×8, first 2 shown]
	s_and_saveexec_b64 s[8:9], s[0:1]
	s_cbranch_execz .LBB557_6
; %bb.5:
	s_waitcnt vmcnt(1)
	v_cvt_f32_f16_sdwa v17, v6 dst_sel:DWORD dst_unused:UNUSED_PAD src0_sel:WORD_1
	v_cvt_f32_f16_e32 v16, v6
	v_cvt_f32_f16_sdwa v15, v7 dst_sel:DWORD dst_unused:UNUSED_PAD src0_sel:WORD_1
	v_cvt_f32_f16_e32 v14, v7
	;; [unrolled: 2-line block ×4, first 2 shown]
.LBB557_6:
	s_or_b64 exec, exec, s[8:9]
	s_cbranch_execz .LBB557_8
	s_branch .LBB557_11
.LBB557_7:
                                        ; implicit-def: $vgpr11
                                        ; implicit-def: $vgpr13
                                        ; implicit-def: $vgpr15
                                        ; implicit-def: $vgpr17
.LBB557_8:
	v_mov_b32_e32 v11, 0
	v_mov_b32_e32 v10, 0
	;; [unrolled: 1-line block ×8, first 2 shown]
	s_and_saveexec_b64 s[8:9], s[0:1]
	s_cbranch_execz .LBB557_10
; %bb.9:
	s_load_dwordx2 s[14:15], s[4:5], 0x38
	s_mul_hi_i32 s29, s19, s6
	s_mul_i32 s28, s19, s6
	s_lshl_b64 s[28:29], s[28:29], 1
	s_mov_b32 s31, 0x20000
	s_waitcnt lgkmcnt(0)
	s_add_u32 s28, s14, s28
	s_addc_u32 s14, s15, s29
	s_and_b32 s29, s14, 0xffff
	v_lshlrev_b32_e32 v26, 4, v0
	buffer_load_dwordx4 v[10:13], v26, s[28:31], 0 offen glc slc
	s_waitcnt vmcnt(2)
	v_cvt_f32_f16_sdwa v15, v6 dst_sel:DWORD dst_unused:UNUSED_PAD src0_sel:WORD_1
	v_cvt_f32_f16_e32 v14, v6
	v_cvt_f32_f16_sdwa v19, v7 dst_sel:DWORD dst_unused:UNUSED_PAD src0_sel:WORD_1
	v_cvt_f32_f16_e32 v18, v7
	v_cvt_f32_f16_sdwa v7, v8 dst_sel:DWORD dst_unused:UNUSED_PAD src0_sel:WORD_1
	v_cvt_f32_f16_e32 v6, v8
	v_cvt_f32_f16_sdwa v21, v9 dst_sel:DWORD dst_unused:UNUSED_PAD src0_sel:WORD_1
	v_cvt_f32_f16_e32 v20, v9
	s_load_dwordx2 s[14:15], s[4:5], 0x20
	s_mul_hi_i32 s27, s26, s6
	s_mul_i32 s26, s26, s6
	s_lshl_b64 s[26:27], s[26:27], 1
	s_waitcnt lgkmcnt(0)
	s_add_u32 s28, s14, s26
	s_addc_u32 s14, s15, s27
	s_and_b32 s29, s14, 0xffff
	s_waitcnt vmcnt(0)
	v_cvt_f32_f16_e32 v8, v10
	v_cvt_f32_f16_sdwa v9, v10 dst_sel:DWORD dst_unused:UNUSED_PAD src0_sel:WORD_1
	v_cvt_f32_f16_e32 v10, v11
	v_cvt_f32_f16_sdwa v11, v11 dst_sel:DWORD dst_unused:UNUSED_PAD src0_sel:WORD_1
	v_cvt_f32_f16_e32 v22, v12
	v_cvt_f32_f16_sdwa v23, v12 dst_sel:DWORD dst_unused:UNUSED_PAD src0_sel:WORD_1
	v_cvt_f32_f16_e32 v24, v13
	v_cvt_f32_f16_sdwa v25, v13 dst_sel:DWORD dst_unused:UNUSED_PAD src0_sel:WORD_1
	v_pk_add_f32 v[16:17], v[14:15], v[8:9]
	v_pk_add_f32 v[14:15], v[18:19], v[10:11]
	;; [unrolled: 1-line block ×4, first 2 shown]
	v_cvt_f16_f32_e32 v6, v17
	v_cvt_f16_f32_e32 v7, v15
	v_cvt_f16_f32_e32 v8, v13
	v_cvt_f16_f32_e32 v9, v11
	v_cvt_f16_f32_e32 v18, v10
	v_cvt_f16_f32_e32 v19, v12
	v_cvt_f16_f32_e32 v20, v14
	v_cvt_f16_f32_e32 v21, v16
	v_pack_b32_f16 v9, v18, v9
	v_pack_b32_f16 v8, v19, v8
	;; [unrolled: 1-line block ×4, first 2 shown]
	buffer_store_dwordx4 v[6:9], v26, s[28:31], 0 offen glc slc
	;;#ASMSTART
	s_nop 0
	;;#ASMEND
.LBB557_10:
	s_or_b64 exec, exec, s[8:9]
.LBB557_11:
	s_waitcnt vmcnt(1)
	v_mul_f32_e32 v6, v17, v17
	v_fmac_f32_e32 v6, v16, v16
	v_fmac_f32_e32 v6, v14, v14
	v_fmac_f32_e32 v6, v15, v15
	v_fmac_f32_e32 v6, v12, v12
	v_fmac_f32_e32 v6, v13, v13
	v_fmac_f32_e32 v6, v10, v10
	v_fmac_f32_e32 v6, v11, v11
	v_and_b32_e32 v8, 63, v0
	v_cmp_eq_u32_e64 s[8:9], 63, v8
	v_mov_b32_dpp v7, v6 quad_perm:[1,0,3,2] row_mask:0xf bank_mask:0xf
	v_add_f32_e32 v6, v6, v7
	s_nop 1
	v_mov_b32_dpp v7, v6 quad_perm:[2,3,0,1] row_mask:0xf bank_mask:0xf
	v_add_f32_e32 v6, v6, v7
	s_nop 1
	v_mov_b32_dpp v7, v6 row_half_mirror row_mask:0xf bank_mask:0xf
	v_add_f32_e32 v6, v6, v7
	s_nop 1
	v_mov_b32_dpp v7, v6 row_mirror row_mask:0xf bank_mask:0xf
	v_add_f32_e32 v6, v6, v7
	s_nop 1
	v_mov_b32_dpp v7, v6 row_bcast:15 row_mask:0xf bank_mask:0xf
	v_add_f32_e32 v6, v6, v7
	s_nop 1
	v_mov_b32_dpp v7, v6 row_bcast:31 row_mask:0xf bank_mask:0xf
	s_and_saveexec_b64 s[14:15], s[8:9]
	s_cbranch_execz .LBB557_13
; %bb.12:
	v_add_f32_e32 v6, v6, v7
	v_lshrrev_b32_e32 v7, 4, v0
	v_and_b32_e32 v7, 60, v7
	ds_write_b32 v7, v6 offset:16
.LBB557_13:
	s_or_b64 exec, exec, s[14:15]
	v_and_b32_e32 v6, 3, v0
	v_lshlrev_b32_e32 v18, 2, v6
	s_waitcnt lgkmcnt(0)
	s_barrier
	ds_read_b32 v6, v18 offset:16
	s_load_dwordx2 s[14:15], s[4:5], 0x18
	s_waitcnt lgkmcnt(0)
	v_mov_b32_dpp v7, v6 quad_perm:[1,0,3,2] row_mask:0xf bank_mask:0xf
	v_add_f32_e32 v6, v6, v7
	s_nop 1
	v_mov_b32_dpp v7, v6 quad_perm:[2,3,0,1] row_mask:0xf bank_mask:0xf
	s_and_saveexec_b64 s[26:27], s[0:1]
	s_cbranch_execnz .LBB557_18
; %bb.14:
	s_or_b64 exec, exec, s[26:27]
	s_mov_b64 s[2:3], -1
	s_and_b64 vcc, exec, s[22:23]
	s_cbranch_vccnz .LBB557_19
.LBB557_15:
	s_andn2_b64 vcc, exec, s[2:3]
	s_cbranch_vccz .LBB557_22
.LBB557_16:
	s_cmp_lt_i32 s16, 1
	s_cbranch_scc0 .LBB557_25
.LBB557_17:
	s_endpgm
.LBB557_18:
	v_cvt_f32_u32_e32 v8, s7
	v_add_f32_e32 v6, v6, v7
	v_mov_b32_e32 v19, s13
	v_mov_b32_e32 v20, s12
	v_div_scale_f32 v7, s[28:29], v8, v8, v6
	v_rcp_f32_e32 v9, v7
	v_cndmask_b32_e64 v19, v19, v20, s[2:3]
	s_mov_b32 s2, 0x800000
	s_waitcnt vmcnt(0)
	v_cvt_f32_f16_sdwa v23, v5 dst_sel:DWORD dst_unused:UNUSED_PAD src0_sel:WORD_1
	v_fma_f32 v20, -v7, v9, 1.0
	v_fmac_f32_e32 v9, v20, v9
	v_div_scale_f32 v20, vcc, v6, v8, v6
	v_mul_f32_e32 v21, v20, v9
	v_fma_f32 v22, -v7, v21, v20
	v_fmac_f32_e32 v21, v22, v9
	v_fma_f32 v7, -v7, v21, v20
	v_div_fmas_f32 v7, v7, v9, v21
	v_div_fixup_f32 v6, v7, v8, v6
	v_add_f32_e32 v6, v19, v6
	v_mul_f32_e32 v7, 0x4b800000, v6
	v_cmp_gt_f32_e32 vcc, s2, v6
	v_cndmask_b32_e32 v6, v6, v7, vcc
	v_rsq_f32_e32 v6, v6
	v_cvt_f32_f16_sdwa v21, v3 dst_sel:DWORD dst_unused:UNUSED_PAD src0_sel:WORD_1
	v_cvt_f32_f16_e32 v20, v3
	v_cvt_f32_f16_sdwa v3, v4 dst_sel:DWORD dst_unused:UNUSED_PAD src0_sel:WORD_1
	v_mul_f32_e32 v7, 0x45800000, v6
	v_cndmask_b32_e32 v6, v6, v7, vcc
	v_mov_b32_e32 v7, v6
	;;#ASMSTART
	v_pk_mul_f32 v[8:9], v[16:17], v[6:7]
	;;#ASMEND
	;;#ASMSTART
	v_pk_mul_f32 v[14:15], v[14:15], v[6:7]
	;;#ASMEND
	;; [unrolled: 3-line block ×4, first 2 shown]
	v_cvt_f32_f16_sdwa v11, v2 dst_sel:DWORD dst_unused:UNUSED_PAD src0_sel:WORD_1
	v_cvt_f32_f16_e32 v10, v2
	v_cvt_f32_f16_e32 v2, v4
	;; [unrolled: 1-line block ×3, first 2 shown]
	;;#ASMSTART
	v_pk_mul_f32 v[16:17], v[8:9], v[10:11]
	;;#ASMEND
	;;#ASMSTART
	v_pk_mul_f32 v[14:15], v[14:15], v[20:21]
	;;#ASMEND
	;;#ASMSTART
	v_pk_mul_f32 v[12:13], v[12:13], v[2:3]
	;;#ASMEND
	;;#ASMSTART
	v_pk_mul_f32 v[10:11], v[6:7], v[22:23]
	;;#ASMEND
	s_or_b64 exec, exec, s[26:27]
	s_mov_b64 s[2:3], -1
	s_and_b64 vcc, exec, s[22:23]
	s_cbranch_vccz .LBB557_15
.LBB557_19:
	s_and_saveexec_b64 s[2:3], s[0:1]
	s_cbranch_execz .LBB557_21
; %bb.20:
	s_mul_hi_i32 s23, s25, s6
	s_mul_i32 s22, s25, s6
	s_waitcnt vmcnt(0)
	v_cvt_f16_f32_e32 v2, v16
	v_cvt_f16_f32_e32 v3, v14
	;; [unrolled: 1-line block ×8, first 2 shown]
	s_lshl_b64 s[22:23], s[22:23], 1
	s_add_u32 s28, s14, s22
	s_addc_u32 s7, s15, s23
	s_and_b32 s29, s7, 0xffff
	s_mov_b32 s31, 0x20000
	v_pack_b32_f16 v5, v5, v6
	v_pack_b32_f16 v4, v4, v7
	;; [unrolled: 1-line block ×4, first 2 shown]
	v_lshlrev_b32_e32 v6, 4, v0
	buffer_store_dwordx4 v[2:5], v6, s[28:31], 0 offen
	;;#ASMSTART
	s_nop 0
	;;#ASMEND
.LBB557_21:
	s_or_b64 exec, exec, s[2:3]
	s_cbranch_execnz .LBB557_16
.LBB557_22:
	s_and_saveexec_b64 s[2:3], s[0:1]
	s_cbranch_execz .LBB557_24
; %bb.23:
	s_load_dwordx2 s[0:1], s[4:5], 0x10
	s_mul_hi_i32 s23, s24, s6
	s_mul_i32 s22, s24, s6
	s_waitcnt vmcnt(0)
	v_cvt_f16_f32_e32 v2, v16
	v_cvt_f16_f32_e32 v3, v14
	v_cvt_f16_f32_e32 v4, v12
	v_cvt_f16_f32_e32 v5, v10
	v_cvt_f16_f32_e32 v6, v11
	v_cvt_f16_f32_e32 v7, v13
	v_cvt_f16_f32_e32 v8, v15
	v_cvt_f16_f32_e32 v9, v17
	s_lshl_b64 s[22:23], s[22:23], 1
	s_waitcnt lgkmcnt(0)
	s_add_u32 s28, s0, s22
	s_addc_u32 s0, s1, s23
	s_mov_b32 s31, 0x20000
	s_and_b32 s29, s0, 0xffff
	v_pack_b32_f16 v5, v5, v6
	v_pack_b32_f16 v4, v4, v7
	;; [unrolled: 1-line block ×4, first 2 shown]
	v_lshlrev_b32_e32 v6, 4, v0
	buffer_store_dwordx4 v[2:5], v6, s[28:31], 0 offen
	;;#ASMSTART
	s_nop 0
	;;#ASMEND
.LBB557_24:
	s_or_b64 exec, exec, s[2:3]
	s_cmp_lt_i32 s16, 1
	s_cbranch_scc1 .LBB557_17
.LBB557_25:
	s_load_dword s0, s[4:5], 0x94
	s_waitcnt lgkmcnt(0)
	s_cmp_lg_u32 s0, 1
	s_cbranch_scc1 .LBB557_17
; %bb.26:
	s_lshl_b32 s0, s16, 1
	s_add_i32 s0, s0, 2
	v_cmp_gt_u32_e32 vcc, s16, v1
	s_and_b32 s22, s0, -4
	v_mov_b32_e32 v10, 0
	v_lshlrev_b32_e32 v1, 4, v0
	v_mov_b32_e32 v6, 0
	v_mov_b32_e32 v7, 0
	v_mov_b32_e32 v8, 0
	v_mov_b32_e32 v9, 0
	s_waitcnt vmcnt(0)
	v_mov_b32_e32 v2, 0
	v_mov_b32_e32 v3, 0
	;; [unrolled: 1-line block ×4, first 2 shown]
	s_barrier
	s_and_saveexec_b64 s[0:1], vcc
	s_cbranch_execz .LBB557_28
; %bb.27:
	s_mul_hi_i32 s3, s18, s6
	s_mul_i32 s2, s18, s6
	s_and_b32 s21, s21, 0xffff
	s_lshl_b64 s[2:3], s[2:3], 1
	s_add_u32 s28, s10, s2
	s_mov_b32 s23, 0x20000
	s_addc_u32 s2, s11, s3
	s_and_b32 s29, s2, 0xffff
	s_mov_b32 s30, s22
	s_mov_b32 s31, s23
	buffer_load_dwordx4 v[6:9], v1, s[28:31], 0 offen glc slc
	buffer_load_dwordx4 v[2:5], v1, s[20:23], 0 offen
.LBB557_28:
	s_or_b64 exec, exec, s[0:1]
	v_mov_b32_e32 v11, 0
	v_mov_b32_e32 v16, 0
	v_mov_b32_e32 v17, 0
	v_mov_b32_e32 v14, 0
	v_mov_b32_e32 v15, 0
	v_mov_b32_e32 v12, 0
	v_mov_b32_e32 v13, 0
	s_and_saveexec_b64 s[0:1], vcc
	s_cbranch_execz .LBB557_30
; %bb.29:
	s_waitcnt vmcnt(1)
	v_cvt_f32_f16_sdwa v11, v6 dst_sel:DWORD dst_unused:UNUSED_PAD src0_sel:WORD_1
	v_cvt_f32_f16_e32 v10, v6
	v_cvt_f32_f16_sdwa v17, v7 dst_sel:DWORD dst_unused:UNUSED_PAD src0_sel:WORD_1
	v_cvt_f32_f16_e32 v16, v7
	;; [unrolled: 2-line block ×4, first 2 shown]
.LBB557_30:
	s_or_b64 exec, exec, s[0:1]
	s_waitcnt vmcnt(1)
	v_mul_f32_e32 v6, v11, v11
	v_fmac_f32_e32 v6, v10, v10
	v_fmac_f32_e32 v6, v16, v16
	;; [unrolled: 1-line block ×7, first 2 shown]
	s_nop 1
	v_mov_b32_dpp v7, v6 quad_perm:[1,0,3,2] row_mask:0xf bank_mask:0xf
	v_add_f32_e32 v6, v6, v7
	s_nop 1
	v_mov_b32_dpp v7, v6 quad_perm:[2,3,0,1] row_mask:0xf bank_mask:0xf
	v_add_f32_e32 v6, v6, v7
	s_nop 1
	v_mov_b32_dpp v7, v6 row_half_mirror row_mask:0xf bank_mask:0xf
	v_add_f32_e32 v6, v6, v7
	s_nop 1
	v_mov_b32_dpp v7, v6 row_mirror row_mask:0xf bank_mask:0xf
	v_add_f32_e32 v6, v6, v7
	s_nop 1
	v_mov_b32_dpp v7, v6 row_bcast:15 row_mask:0xf bank_mask:0xf
	v_add_f32_e32 v6, v6, v7
	s_nop 1
	v_mov_b32_dpp v7, v6 row_bcast:31 row_mask:0xf bank_mask:0xf
	s_and_saveexec_b64 s[0:1], s[8:9]
	s_cbranch_execz .LBB557_32
; %bb.31:
	v_lshrrev_b32_e32 v0, 4, v0
	v_add_f32_e32 v6, v6, v7
	v_and_b32_e32 v0, 60, v0
	ds_write_b32 v0, v6
.LBB557_32:
	s_or_b64 exec, exec, s[0:1]
	s_waitcnt lgkmcnt(0)
	s_barrier
	ds_read_b32 v0, v18
	s_waitcnt lgkmcnt(0)
	s_nop 0
	v_mov_b32_dpp v6, v0 quad_perm:[1,0,3,2] row_mask:0xf bank_mask:0xf
	v_add_f32_e32 v0, v0, v6
	s_nop 1
	v_mov_b32_dpp v6, v0 quad_perm:[2,3,0,1] row_mask:0xf bank_mask:0xf
	s_and_saveexec_b64 s[0:1], vcc
	s_cbranch_execz .LBB557_17
; %bb.33:
	v_cvt_f32_u32_e32 v7, s16
	v_add_f32_e32 v0, v0, v6
	s_mov_b32 s23, 0x20000
	v_div_scale_f32 v6, s[0:1], v7, v7, v0
	v_rcp_f32_e32 v8, v6
	v_div_scale_f32 v9, vcc, v0, v7, v0
	s_mov_b32 s0, 0x800000
	v_fma_f32 v18, -v6, v8, 1.0
	v_fmac_f32_e32 v8, v18, v8
	v_mul_f32_e32 v18, v9, v8
	v_fma_f32 v19, -v6, v18, v9
	v_fmac_f32_e32 v18, v19, v8
	v_fma_f32 v6, -v6, v18, v9
	v_div_fmas_f32 v6, v6, v8, v18
	v_div_fixup_f32 v0, v6, v7, v0
	v_add_f32_e32 v0, s13, v0
	v_mul_f32_e32 v6, 0x4b800000, v0
	v_cmp_gt_f32_e32 vcc, s0, v0
	v_cndmask_b32_e32 v0, v0, v6, vcc
	v_rsq_f32_e32 v0, v0
	s_waitcnt vmcnt(0)
	v_cvt_f32_f16_sdwa v19, v5 dst_sel:DWORD dst_unused:UNUSED_PAD src0_sel:WORD_1
	v_cvt_f32_f16_e32 v18, v5
	s_mul_hi_i32 s1, s25, s6
	v_mul_f32_e32 v6, 0x45800000, v0
	v_cndmask_b32_e32 v6, v0, v6, vcc
	v_mov_b32_e32 v7, v6
	;;#ASMSTART
	v_pk_mul_f32 v[8:9], v[10:11], v[6:7]
	;;#ASMEND
	;;#ASMSTART
	v_pk_mul_f32 v[10:11], v[16:17], v[6:7]
	;;#ASMEND
	;; [unrolled: 3-line block ×4, first 2 shown]
	v_cvt_f32_f16_sdwa v13, v2 dst_sel:DWORD dst_unused:UNUSED_PAD src0_sel:WORD_1
	v_cvt_f32_f16_e32 v12, v2
	v_cvt_f32_f16_sdwa v17, v3 dst_sel:DWORD dst_unused:UNUSED_PAD src0_sel:WORD_1
	v_cvt_f32_f16_e32 v16, v3
	;; [unrolled: 2-line block ×3, first 2 shown]
	;;#ASMSTART
	v_pk_mul_f32 v[4:5], v[8:9], v[12:13]
	;;#ASMEND
	;;#ASMSTART
	v_pk_mul_f32 v[8:9], v[10:11], v[16:17]
	;;#ASMEND
	;; [unrolled: 3-line block ×4, first 2 shown]
	s_mul_i32 s0, s25, s6
	v_cvt_f16_f32_e32 v0, v4
	v_cvt_f16_f32_e32 v4, v5
	;; [unrolled: 1-line block ×8, first 2 shown]
	s_lshl_b64 s[0:1], s[0:1], 1
	s_add_u32 s20, s14, s0
	s_addc_u32 s0, s15, s1
	s_and_b32 s21, s0, 0xffff
	v_pack_b32_f16 v2, v0, v4
	v_pack_b32_f16 v3, v5, v8
	;; [unrolled: 1-line block ×4, first 2 shown]
	buffer_store_dwordx4 v[2:5], v1, s[20:23], 0 offen
	;;#ASMSTART
	s_nop 0
	;;#ASMEND
	s_endpgm
	.section	.rodata,"a",@progbits
	.p2align	6, 0x0
	.amdhsa_kernel _ZN5aiter35fused_qk_rmsnorm_group_quant_kernelIDF16_DB8_Li256ELi8ELi4ELb1ELb1ELb0ELb1ELb0ELb0EEEvPT0_PvPT_S6_S6_PKS5_S8_S8_S8_S8_ffiiiiiiiiiiiii
		.amdhsa_group_segment_fixed_size 32
		.amdhsa_private_segment_fixed_size 0
		.amdhsa_kernarg_size 400
		.amdhsa_user_sgpr_count 6
		.amdhsa_user_sgpr_private_segment_buffer 1
		.amdhsa_user_sgpr_dispatch_ptr 0
		.amdhsa_user_sgpr_queue_ptr 0
		.amdhsa_user_sgpr_kernarg_segment_ptr 1
		.amdhsa_user_sgpr_dispatch_id 0
		.amdhsa_user_sgpr_flat_scratch_init 0
		.amdhsa_user_sgpr_kernarg_preload_length 0
		.amdhsa_user_sgpr_kernarg_preload_offset 0
		.amdhsa_user_sgpr_private_segment_size 0
		.amdhsa_uses_dynamic_stack 0
		.amdhsa_system_sgpr_private_segment_wavefront_offset 0
		.amdhsa_system_sgpr_workgroup_id_x 1
		.amdhsa_system_sgpr_workgroup_id_y 1
		.amdhsa_system_sgpr_workgroup_id_z 0
		.amdhsa_system_sgpr_workgroup_info 0
		.amdhsa_system_vgpr_workitem_id 0
		.amdhsa_next_free_vgpr 27
		.amdhsa_next_free_sgpr 32
		.amdhsa_accum_offset 28
		.amdhsa_reserve_vcc 1
		.amdhsa_reserve_flat_scratch 0
		.amdhsa_float_round_mode_32 0
		.amdhsa_float_round_mode_16_64 0
		.amdhsa_float_denorm_mode_32 3
		.amdhsa_float_denorm_mode_16_64 3
		.amdhsa_dx10_clamp 1
		.amdhsa_ieee_mode 1
		.amdhsa_fp16_overflow 0
		.amdhsa_tg_split 0
		.amdhsa_exception_fp_ieee_invalid_op 0
		.amdhsa_exception_fp_denorm_src 0
		.amdhsa_exception_fp_ieee_div_zero 0
		.amdhsa_exception_fp_ieee_overflow 0
		.amdhsa_exception_fp_ieee_underflow 0
		.amdhsa_exception_fp_ieee_inexact 0
		.amdhsa_exception_int_div_zero 0
	.end_amdhsa_kernel
	.section	.text._ZN5aiter35fused_qk_rmsnorm_group_quant_kernelIDF16_DB8_Li256ELi8ELi4ELb1ELb1ELb0ELb1ELb0ELb0EEEvPT0_PvPT_S6_S6_PKS5_S8_S8_S8_S8_ffiiiiiiiiiiiii,"axG",@progbits,_ZN5aiter35fused_qk_rmsnorm_group_quant_kernelIDF16_DB8_Li256ELi8ELi4ELb1ELb1ELb0ELb1ELb0ELb0EEEvPT0_PvPT_S6_S6_PKS5_S8_S8_S8_S8_ffiiiiiiiiiiiii,comdat
.Lfunc_end557:
	.size	_ZN5aiter35fused_qk_rmsnorm_group_quant_kernelIDF16_DB8_Li256ELi8ELi4ELb1ELb1ELb0ELb1ELb0ELb0EEEvPT0_PvPT_S6_S6_PKS5_S8_S8_S8_S8_ffiiiiiiiiiiiii, .Lfunc_end557-_ZN5aiter35fused_qk_rmsnorm_group_quant_kernelIDF16_DB8_Li256ELi8ELi4ELb1ELb1ELb0ELb1ELb0ELb0EEEvPT0_PvPT_S6_S6_PKS5_S8_S8_S8_S8_ffiiiiiiiiiiiii
                                        ; -- End function
	.section	.AMDGPU.csdata,"",@progbits
; Kernel info:
; codeLenInByte = 2416
; NumSgprs: 36
; NumVgprs: 27
; NumAgprs: 0
; TotalNumVgprs: 27
; ScratchSize: 0
; MemoryBound: 0
; FloatMode: 240
; IeeeMode: 1
; LDSByteSize: 32 bytes/workgroup (compile time only)
; SGPRBlocks: 4
; VGPRBlocks: 3
; NumSGPRsForWavesPerEU: 36
; NumVGPRsForWavesPerEU: 27
; AccumOffset: 28
; Occupancy: 8
; WaveLimiterHint : 0
; COMPUTE_PGM_RSRC2:SCRATCH_EN: 0
; COMPUTE_PGM_RSRC2:USER_SGPR: 6
; COMPUTE_PGM_RSRC2:TRAP_HANDLER: 0
; COMPUTE_PGM_RSRC2:TGID_X_EN: 1
; COMPUTE_PGM_RSRC2:TGID_Y_EN: 1
; COMPUTE_PGM_RSRC2:TGID_Z_EN: 0
; COMPUTE_PGM_RSRC2:TIDIG_COMP_CNT: 0
; COMPUTE_PGM_RSRC3_GFX90A:ACCUM_OFFSET: 6
; COMPUTE_PGM_RSRC3_GFX90A:TG_SPLIT: 0
	.section	.text._ZN5aiter35fused_qk_rmsnorm_group_quant_kernelItDB8_Li256ELi8ELi4ELb1ELb1ELb0ELb1ELb0ELb0EEEvPT0_PvPT_S6_S6_PKS5_S8_S8_S8_S8_ffiiiiiiiiiiiii,"axG",@progbits,_ZN5aiter35fused_qk_rmsnorm_group_quant_kernelItDB8_Li256ELi8ELi4ELb1ELb1ELb0ELb1ELb0ELb0EEEvPT0_PvPT_S6_S6_PKS5_S8_S8_S8_S8_ffiiiiiiiiiiiii,comdat
	.protected	_ZN5aiter35fused_qk_rmsnorm_group_quant_kernelItDB8_Li256ELi8ELi4ELb1ELb1ELb0ELb1ELb0ELb0EEEvPT0_PvPT_S6_S6_PKS5_S8_S8_S8_S8_ffiiiiiiiiiiiii ; -- Begin function _ZN5aiter35fused_qk_rmsnorm_group_quant_kernelItDB8_Li256ELi8ELi4ELb1ELb1ELb0ELb1ELb0ELb0EEEvPT0_PvPT_S6_S6_PKS5_S8_S8_S8_S8_ffiiiiiiiiiiiii
	.globl	_ZN5aiter35fused_qk_rmsnorm_group_quant_kernelItDB8_Li256ELi8ELi4ELb1ELb1ELb0ELb1ELb0ELb0EEEvPT0_PvPT_S6_S6_PKS5_S8_S8_S8_S8_ffiiiiiiiiiiiii
	.p2align	8
	.type	_ZN5aiter35fused_qk_rmsnorm_group_quant_kernelItDB8_Li256ELi8ELi4ELb1ELb1ELb0ELb1ELb0ELb0EEEvPT0_PvPT_S6_S6_PKS5_S8_S8_S8_S8_ffiiiiiiiiiiiii,@function
_ZN5aiter35fused_qk_rmsnorm_group_quant_kernelItDB8_Li256ELi8ELi4ELb1ELb1ELb0ELb1ELb0ELb0EEEvPT0_PvPT_S6_S6_PKS5_S8_S8_S8_S8_ffiiiiiiiiiiiii: ; @_ZN5aiter35fused_qk_rmsnorm_group_quant_kernelItDB8_Li256ELi8ELi4ELb1ELb1ELb0ELb1ELb0ELb0EEEvPT0_PvPT_S6_S6_PKS5_S8_S8_S8_S8_ffiiiiiiiiiiiii
; %bb.0:
	s_load_dwordx8 s[12:19], s[4:5], 0x50
	s_waitcnt lgkmcnt(0)
	s_cmp_ge_i32 s6, s14
	s_cbranch_scc1 .LBB558_17
; %bb.1:
	s_cmp_lg_u32 s7, 0
	s_cselect_b64 s[22:23], -1, 0
	s_cmp_eq_u32 s7, 0
	s_cselect_b64 s[8:9], -1, 0
	s_and_b64 s[0:1], s[8:9], exec
	s_cselect_b32 s7, s15, s16
	s_load_dwordx2 s[10:11], s[4:5], 0x30
	s_load_dwordx2 s[20:21], s[4:5], 0x48
	s_add_i32 s0, s7, 1
	s_lshr_b32 s1, s0, 31
	s_add_i32 s0, s0, s1
	s_lshl_b32 s0, s0, 1
	v_lshlrev_b32_e32 v1, 3, v0
	s_and_b32 s30, s0, -4
	v_cmp_gt_i32_e64 s[0:1], s7, v1
	v_mov_b32_e32 v10, 0
	v_mov_b32_e32 v11, 0
	;; [unrolled: 1-line block ×8, first 2 shown]
	s_and_saveexec_b64 s[2:3], s[0:1]
	s_cbranch_execz .LBB558_3
; %bb.2:
	s_load_dwordx2 s[14:15], s[4:5], 0x28
	s_load_dwordx2 s[26:27], s[4:5], 0x40
	s_and_b64 s[24:25], s[8:9], exec
	s_cselect_b32 s17, s17, s18
	s_mov_b32 s31, 0x20000
	s_waitcnt lgkmcnt(0)
	s_cselect_b32 s25, s15, s11
	s_cselect_b32 s24, s14, s10
	s_mul_hi_i32 s15, s17, s6
	s_mul_i32 s14, s17, s6
	s_lshl_b64 s[14:15], s[14:15], 1
	s_add_u32 s24, s24, s14
	s_addc_u32 s17, s25, s15
	s_and_b64 s[14:15], s[8:9], exec
	s_cselect_b32 s28, s26, s20
	s_cselect_b32 s14, s27, s21
	v_lshlrev_b32_e32 v2, 4, v0
	s_and_b32 s25, s17, 0xffff
	s_mov_b32 s26, s30
	s_mov_b32 s27, s31
	s_and_b32 s29, s14, 0xffff
	buffer_load_dwordx4 v[14:17], v2, s[24:27], 0 offen glc slc
	buffer_load_dwordx4 v[10:13], v2, s[28:31], 0 offen
.LBB558_3:
	s_or_b64 exec, exec, s[2:3]
	s_load_dwordx4 s[24:27], s[4:5], 0x7c
	s_and_b64 vcc, exec, s[22:23]
	s_cbranch_vccz .LBB558_7
; %bb.4:
	s_mov_b32 s36, 0
	s_mov_b32 s37, s36
	;; [unrolled: 1-line block ×8, first 2 shown]
	v_pk_mov_b32 v[2:3], s[36:37], s[36:37] op_sel:[0,1]
	v_pk_mov_b32 v[4:5], s[38:39], s[38:39] op_sel:[0,1]
	;; [unrolled: 1-line block ×4, first 2 shown]
	s_and_saveexec_b64 s[2:3], s[0:1]
	s_cbranch_execz .LBB558_6
; %bb.5:
	s_waitcnt vmcnt(1)
	v_cvt_f32_u32_sdwa v3, v14 dst_sel:DWORD dst_unused:UNUSED_PAD src0_sel:WORD_1
	v_cvt_f32_u32_sdwa v2, v14 dst_sel:DWORD dst_unused:UNUSED_PAD src0_sel:WORD_0
	v_cvt_f32_u32_sdwa v5, v15 dst_sel:DWORD dst_unused:UNUSED_PAD src0_sel:WORD_1
	v_cvt_f32_u32_sdwa v4, v15 dst_sel:DWORD dst_unused:UNUSED_PAD src0_sel:WORD_0
	;; [unrolled: 2-line block ×4, first 2 shown]
.LBB558_6:
	s_or_b64 exec, exec, s[2:3]
	s_cbranch_execz .LBB558_8
	s_branch .LBB558_11
.LBB558_7:
                                        ; implicit-def: $vgpr2_vgpr3_vgpr4_vgpr5_vgpr6_vgpr7_vgpr8_vgpr9
.LBB558_8:
	s_mov_b32 s36, 0
	s_mov_b32 s37, s36
	;; [unrolled: 1-line block ×8, first 2 shown]
	v_pk_mov_b32 v[2:3], s[36:37], s[36:37] op_sel:[0,1]
	v_pk_mov_b32 v[4:5], s[38:39], s[38:39] op_sel:[0,1]
	;; [unrolled: 1-line block ×4, first 2 shown]
	s_and_saveexec_b64 s[2:3], s[0:1]
	s_cbranch_execz .LBB558_10
; %bb.9:
	s_load_dwordx2 s[14:15], s[4:5], 0x38
	s_mul_hi_i32 s29, s19, s6
	s_mul_i32 s28, s19, s6
	s_lshl_b64 s[28:29], s[28:29], 1
	s_mov_b32 s31, 0x20000
	s_waitcnt lgkmcnt(0)
	s_add_u32 s28, s14, s28
	s_addc_u32 s14, s15, s29
	s_and_b32 s29, s14, 0xffff
	v_lshlrev_b32_e32 v26, 4, v0
	buffer_load_dwordx4 v[2:5], v26, s[28:31], 0 offen glc slc
	s_load_dwordx2 s[14:15], s[4:5], 0x20
	s_waitcnt vmcnt(2)
	v_cvt_f32_u32_sdwa v7, v14 dst_sel:DWORD dst_unused:UNUSED_PAD src0_sel:WORD_1
	v_cvt_f32_u32_sdwa v6, v14 dst_sel:DWORD dst_unused:UNUSED_PAD src0_sel:WORD_0
	v_cvt_f32_u32_sdwa v9, v15 dst_sel:DWORD dst_unused:UNUSED_PAD src0_sel:WORD_1
	v_cvt_f32_u32_sdwa v8, v15 dst_sel:DWORD dst_unused:UNUSED_PAD src0_sel:WORD_0
	;; [unrolled: 2-line block ×4, first 2 shown]
	s_mul_hi_i32 s27, s26, s6
	s_mul_i32 s26, s26, s6
	s_lshl_b64 s[26:27], s[26:27], 1
	s_waitcnt lgkmcnt(0)
	s_add_u32 s28, s14, s26
	s_mov_b32 s17, 0x7060302
	s_addc_u32 s14, s15, s27
	s_and_b32 s29, s14, 0xffff
	s_waitcnt vmcnt(0)
	v_cvt_f32_u32_sdwa v17, v2 dst_sel:DWORD dst_unused:UNUSED_PAD src0_sel:WORD_1
	v_cvt_f32_u32_sdwa v16, v2 dst_sel:DWORD dst_unused:UNUSED_PAD src0_sel:WORD_0
	v_cvt_f32_u32_sdwa v21, v3 dst_sel:DWORD dst_unused:UNUSED_PAD src0_sel:WORD_1
	v_cvt_f32_u32_sdwa v20, v3 dst_sel:DWORD dst_unused:UNUSED_PAD src0_sel:WORD_0
	v_cvt_f32_u32_sdwa v23, v4 dst_sel:DWORD dst_unused:UNUSED_PAD src0_sel:WORD_1
	v_cvt_f32_u32_sdwa v22, v4 dst_sel:DWORD dst_unused:UNUSED_PAD src0_sel:WORD_0
	v_cvt_f32_u32_sdwa v25, v5 dst_sel:DWORD dst_unused:UNUSED_PAD src0_sel:WORD_1
	v_cvt_f32_u32_sdwa v24, v5 dst_sel:DWORD dst_unused:UNUSED_PAD src0_sel:WORD_0
	v_pk_add_f32 v[2:3], v[6:7], v[16:17]
	v_pk_add_f32 v[4:5], v[8:9], v[20:21]
	;; [unrolled: 1-line block ×4, first 2 shown]
	v_perm_b32 v17, v9, v8, s17
	v_perm_b32 v16, v7, v6, s17
	;; [unrolled: 1-line block ×4, first 2 shown]
	buffer_store_dwordx4 v[14:17], v26, s[28:31], 0 offen glc slc
	;;#ASMSTART
	s_nop 0
	;;#ASMEND
.LBB558_10:
	s_or_b64 exec, exec, s[2:3]
.LBB558_11:
	s_waitcnt vmcnt(1)
	v_mul_f32_e32 v14, v3, v3
	v_fmac_f32_e32 v14, v2, v2
	v_fmac_f32_e32 v14, v4, v4
	;; [unrolled: 1-line block ×7, first 2 shown]
	v_and_b32_e32 v16, 63, v0
	v_cmp_eq_u32_e64 s[2:3], 63, v16
	v_mov_b32_dpp v15, v14 quad_perm:[1,0,3,2] row_mask:0xf bank_mask:0xf
	v_add_f32_e32 v14, v14, v15
	s_nop 1
	v_mov_b32_dpp v15, v14 quad_perm:[2,3,0,1] row_mask:0xf bank_mask:0xf
	v_add_f32_e32 v14, v14, v15
	s_nop 1
	v_mov_b32_dpp v15, v14 row_half_mirror row_mask:0xf bank_mask:0xf
	v_add_f32_e32 v14, v14, v15
	s_nop 1
	v_mov_b32_dpp v15, v14 row_mirror row_mask:0xf bank_mask:0xf
	v_add_f32_e32 v14, v14, v15
	s_nop 1
	v_mov_b32_dpp v15, v14 row_bcast:15 row_mask:0xf bank_mask:0xf
	v_add_f32_e32 v14, v14, v15
	s_nop 1
	v_mov_b32_dpp v15, v14 row_bcast:31 row_mask:0xf bank_mask:0xf
	s_and_saveexec_b64 s[14:15], s[2:3]
	s_cbranch_execz .LBB558_13
; %bb.12:
	v_add_f32_e32 v14, v14, v15
	v_lshrrev_b32_e32 v15, 4, v0
	v_and_b32_e32 v15, 60, v15
	ds_write_b32 v15, v14 offset:16
.LBB558_13:
	s_or_b64 exec, exec, s[14:15]
	v_and_b32_e32 v14, 3, v0
	v_lshlrev_b32_e32 v14, 2, v14
	s_waitcnt lgkmcnt(0)
	s_barrier
	ds_read_b32 v15, v14 offset:16
	s_load_dwordx2 s[14:15], s[4:5], 0x18
	s_waitcnt lgkmcnt(0)
	v_mov_b32_dpp v16, v15 quad_perm:[1,0,3,2] row_mask:0xf bank_mask:0xf
	v_add_f32_e32 v15, v15, v16
	s_nop 1
	v_mov_b32_dpp v16, v15 quad_perm:[2,3,0,1] row_mask:0xf bank_mask:0xf
	s_and_saveexec_b64 s[26:27], s[0:1]
	s_cbranch_execnz .LBB558_18
; %bb.14:
	s_or_b64 exec, exec, s[26:27]
	s_mov_b64 s[8:9], -1
	s_and_b64 vcc, exec, s[22:23]
	s_cbranch_vccnz .LBB558_19
.LBB558_15:
	s_andn2_b64 vcc, exec, s[8:9]
	s_cbranch_vccz .LBB558_22
.LBB558_16:
	s_cmp_lt_i32 s16, 1
	s_cbranch_scc0 .LBB558_25
.LBB558_17:
	s_endpgm
.LBB558_18:
	v_cvt_f32_u32_e32 v17, s7
	v_add_f32_e32 v15, v15, v16
	v_mov_b32_e32 v19, s13
	v_mov_b32_e32 v20, s12
	v_div_scale_f32 v16, s[28:29], v17, v17, v15
	v_rcp_f32_e32 v18, v16
	v_cndmask_b32_e64 v19, v19, v20, s[8:9]
	s_mov_b32 s7, 0x800000
	v_fma_f32 v20, -v16, v18, 1.0
	v_fmac_f32_e32 v18, v20, v18
	v_div_scale_f32 v20, vcc, v15, v17, v15
	v_mul_f32_e32 v21, v20, v18
	v_fma_f32 v22, -v16, v21, v20
	v_fmac_f32_e32 v21, v22, v18
	v_fma_f32 v16, -v16, v21, v20
	v_div_fmas_f32 v16, v16, v18, v21
	v_div_fixup_f32 v15, v16, v17, v15
	v_add_f32_e32 v15, v19, v15
	v_mul_f32_e32 v16, 0x4b800000, v15
	v_cmp_gt_f32_e32 vcc, s7, v15
	v_cndmask_b32_e32 v15, v15, v16, vcc
	v_rsq_f32_e32 v15, v15
	s_waitcnt vmcnt(0)
	v_cvt_f32_u32_sdwa v19, v11 dst_sel:DWORD dst_unused:UNUSED_PAD src0_sel:WORD_1
	v_cvt_f32_u32_sdwa v18, v11 dst_sel:DWORD dst_unused:UNUSED_PAD src0_sel:WORD_0
	v_cvt_f32_u32_sdwa v11, v12 dst_sel:DWORD dst_unused:UNUSED_PAD src0_sel:WORD_1
	v_mul_f32_e32 v16, 0x45800000, v15
	v_cndmask_b32_e32 v16, v15, v16, vcc
	v_mov_b32_e32 v17, v16
	;;#ASMSTART
	v_pk_mul_f32 v[2:3], v[2:3], v[16:17]
	;;#ASMEND
	;;#ASMSTART
	v_pk_mul_f32 v[4:5], v[4:5], v[16:17]
	;;#ASMEND
	;; [unrolled: 3-line block ×4, first 2 shown]
	v_cvt_f32_u32_sdwa v17, v10 dst_sel:DWORD dst_unused:UNUSED_PAD src0_sel:WORD_1
	v_cvt_f32_u32_sdwa v16, v10 dst_sel:DWORD dst_unused:UNUSED_PAD src0_sel:WORD_0
	v_cvt_f32_u32_sdwa v10, v12 dst_sel:DWORD dst_unused:UNUSED_PAD src0_sel:WORD_0
	v_cvt_f32_u32_sdwa v21, v13 dst_sel:DWORD dst_unused:UNUSED_PAD src0_sel:WORD_1
	v_cvt_f32_u32_sdwa v20, v13 dst_sel:DWORD dst_unused:UNUSED_PAD src0_sel:WORD_0
	;;#ASMSTART
	v_pk_mul_f32 v[2:3], v[2:3], v[16:17]
	;;#ASMEND
	;;#ASMSTART
	v_pk_mul_f32 v[4:5], v[4:5], v[18:19]
	;;#ASMEND
	;; [unrolled: 3-line block ×4, first 2 shown]
	s_or_b64 exec, exec, s[26:27]
	s_mov_b64 s[8:9], -1
	s_and_b64 vcc, exec, s[22:23]
	s_cbranch_vccz .LBB558_15
.LBB558_19:
	s_and_saveexec_b64 s[8:9], s[0:1]
	s_cbranch_execz .LBB558_21
; %bb.20:
	s_mul_hi_i32 s23, s25, s6
	s_mul_i32 s22, s25, s6
	s_lshl_b64 s[22:23], s[22:23], 1
	s_add_u32 s28, s14, s22
	s_addc_u32 s7, s15, s23
	s_and_b32 s29, s7, 0xffff
	s_mov_b32 s7, 0x7060302
	s_mov_b32 s31, 0x20000
	s_waitcnt vmcnt(0)
	v_perm_b32 v10, v3, v2, s7
	v_perm_b32 v11, v5, v4, s7
	v_perm_b32 v12, v7, v6, s7
	v_perm_b32 v13, v9, v8, s7
	v_lshlrev_b32_e32 v15, 4, v0
	buffer_store_dwordx4 v[10:13], v15, s[28:31], 0 offen
	;;#ASMSTART
	s_nop 0
	;;#ASMEND
.LBB558_21:
	s_or_b64 exec, exec, s[8:9]
	s_cbranch_execnz .LBB558_16
.LBB558_22:
	s_and_saveexec_b64 s[8:9], s[0:1]
	s_cbranch_execz .LBB558_24
; %bb.23:
	s_load_dwordx2 s[0:1], s[4:5], 0x10
	s_mul_hi_i32 s23, s24, s6
	s_mul_i32 s22, s24, s6
	s_lshl_b64 s[22:23], s[22:23], 1
	s_mov_b32 s31, 0x20000
	s_waitcnt lgkmcnt(0)
	s_add_u32 s28, s0, s22
	s_addc_u32 s0, s1, s23
	s_and_b32 s29, s0, 0xffff
	s_mov_b32 s0, 0x7060302
	v_perm_b32 v2, v3, v2, s0
	v_perm_b32 v3, v5, v4, s0
	;; [unrolled: 1-line block ×4, first 2 shown]
	v_lshlrev_b32_e32 v6, 4, v0
	buffer_store_dwordx4 v[2:5], v6, s[28:31], 0 offen
	;;#ASMSTART
	s_nop 0
	;;#ASMEND
.LBB558_24:
	s_or_b64 exec, exec, s[8:9]
	s_cmp_lt_i32 s16, 1
	s_cbranch_scc1 .LBB558_17
.LBB558_25:
	s_load_dword s0, s[4:5], 0x94
	s_waitcnt lgkmcnt(0)
	s_cmp_lg_u32 s0, 1
	s_cbranch_scc1 .LBB558_17
; %bb.26:
	s_lshl_b32 s0, s16, 1
	s_add_i32 s0, s0, 2
	v_cmp_gt_u32_e32 vcc, s16, v1
	s_and_b32 s22, s0, -4
	v_mov_b32_e32 v6, 0
	v_lshlrev_b32_e32 v1, 4, v0
	v_mov_b32_e32 v7, 0
	v_mov_b32_e32 v8, 0
	;; [unrolled: 1-line block ×7, first 2 shown]
	s_barrier
	s_and_saveexec_b64 s[0:1], vcc
	s_cbranch_execz .LBB558_28
; %bb.27:
	s_mul_hi_i32 s5, s18, s6
	s_mul_i32 s4, s18, s6
	s_and_b32 s21, s21, 0xffff
	s_lshl_b64 s[4:5], s[4:5], 1
	s_add_u32 s8, s10, s4
	s_mov_b32 s23, 0x20000
	s_addc_u32 s4, s11, s5
	s_and_b32 s9, s4, 0xffff
	s_mov_b32 s10, s22
	s_mov_b32 s11, s23
	buffer_load_dwordx4 v[6:9], v1, s[8:11], 0 offen glc slc
	buffer_load_dwordx4 v[2:5], v1, s[20:23], 0 offen
.LBB558_28:
	s_or_b64 exec, exec, s[0:1]
	s_waitcnt vmcnt(0)
	v_cvt_f32_u32_sdwa v13, v6 dst_sel:DWORD dst_unused:UNUSED_PAD src0_sel:WORD_1
	v_cvt_f32_u32_sdwa v12, v6 dst_sel:DWORD dst_unused:UNUSED_PAD src0_sel:WORD_0
	v_cvt_f32_u32_sdwa v6, v9 dst_sel:DWORD dst_unused:UNUSED_PAD src0_sel:WORD_1
	v_cvt_f32_u32_sdwa v9, v9 dst_sel:DWORD dst_unused:UNUSED_PAD src0_sel:WORD_0
	;; [unrolled: 2-line block ×4, first 2 shown]
	v_cndmask_b32_e32 v13, 0, v13, vcc
	v_cndmask_b32_e32 v7, 0, v6, vcc
	;; [unrolled: 1-line block ×5, first 2 shown]
	v_mul_f32_e32 v15, v13, v13
	v_cndmask_b32_e32 v10, 0, v10, vcc
	v_fmac_f32_e32 v15, v12, v12
	v_cndmask_b32_e32 v11, 0, v11, vcc
	v_fmac_f32_e32 v15, v10, v10
	;; [unrolled: 2-line block ×3, first 2 shown]
	v_fmac_f32_e32 v15, v8, v8
	v_fmac_f32_e32 v15, v9, v9
	v_fmac_f32_e32 v15, v6, v6
	v_fmac_f32_e32 v15, v7, v7
	s_nop 1
	v_mov_b32_dpp v16, v15 quad_perm:[1,0,3,2] row_mask:0xf bank_mask:0xf
	v_add_f32_e32 v15, v15, v16
	s_nop 1
	v_mov_b32_dpp v16, v15 quad_perm:[2,3,0,1] row_mask:0xf bank_mask:0xf
	v_add_f32_e32 v15, v15, v16
	s_nop 1
	v_mov_b32_dpp v16, v15 row_half_mirror row_mask:0xf bank_mask:0xf
	v_add_f32_e32 v15, v15, v16
	s_nop 1
	v_mov_b32_dpp v16, v15 row_mirror row_mask:0xf bank_mask:0xf
	v_add_f32_e32 v15, v15, v16
	s_nop 1
	v_mov_b32_dpp v16, v15 row_bcast:15 row_mask:0xf bank_mask:0xf
	v_add_f32_e32 v15, v15, v16
	s_nop 1
	v_mov_b32_dpp v16, v15 row_bcast:31 row_mask:0xf bank_mask:0xf
	s_and_saveexec_b64 s[0:1], s[2:3]
	s_cbranch_execz .LBB558_30
; %bb.29:
	v_lshrrev_b32_e32 v0, 4, v0
	v_add_f32_e32 v15, v15, v16
	v_and_b32_e32 v0, 60, v0
	ds_write_b32 v0, v15
.LBB558_30:
	s_or_b64 exec, exec, s[0:1]
	s_waitcnt lgkmcnt(0)
	s_barrier
	ds_read_b32 v0, v14
	s_waitcnt lgkmcnt(0)
	s_nop 0
	v_mov_b32_dpp v14, v0 quad_perm:[1,0,3,2] row_mask:0xf bank_mask:0xf
	v_add_f32_e32 v0, v0, v14
	s_nop 1
	v_mov_b32_dpp v14, v0 quad_perm:[2,3,0,1] row_mask:0xf bank_mask:0xf
	s_and_saveexec_b64 s[0:1], vcc
	s_cbranch_execz .LBB558_17
; %bb.31:
	v_cvt_f32_u32_e32 v15, s16
	v_add_f32_e32 v0, v0, v14
	s_mov_b32 s23, 0x20000
	v_div_scale_f32 v14, s[0:1], v15, v15, v0
	v_rcp_f32_e32 v16, v14
	v_div_scale_f32 v17, vcc, v0, v15, v0
	s_mov_b32 s0, 0x800000
	v_fma_f32 v18, -v14, v16, 1.0
	v_fmac_f32_e32 v16, v18, v16
	v_mul_f32_e32 v18, v17, v16
	v_fma_f32 v19, -v14, v18, v17
	v_fmac_f32_e32 v18, v19, v16
	v_fma_f32 v14, -v14, v18, v17
	v_div_fmas_f32 v14, v14, v16, v18
	v_div_fixup_f32 v0, v14, v15, v0
	v_add_f32_e32 v0, s13, v0
	v_mul_f32_e32 v14, 0x4b800000, v0
	v_cmp_gt_f32_e32 vcc, s0, v0
	v_cndmask_b32_e32 v0, v0, v14, vcc
	v_rsq_f32_e32 v0, v0
	s_mul_hi_i32 s1, s25, s6
	s_mul_i32 s0, s25, s6
	s_lshl_b64 s[0:1], s[0:1], 1
	v_mul_f32_e32 v14, 0x45800000, v0
	v_cndmask_b32_e32 v14, v0, v14, vcc
	s_add_u32 s20, s14, s0
	v_mov_b32_e32 v15, v14
	s_addc_u32 s0, s15, s1
	;;#ASMSTART
	v_pk_mul_f32 v[12:13], v[12:13], v[14:15]
	;;#ASMEND
	;;#ASMSTART
	v_pk_mul_f32 v[10:11], v[10:11], v[14:15]
	;;#ASMEND
	;; [unrolled: 3-line block ×4, first 2 shown]
	v_cvt_f32_u32_sdwa v15, v2 dst_sel:DWORD dst_unused:UNUSED_PAD src0_sel:WORD_1
	v_cvt_f32_u32_sdwa v14, v2 dst_sel:DWORD dst_unused:UNUSED_PAD src0_sel:WORD_0
	v_cvt_f32_u32_sdwa v17, v3 dst_sel:DWORD dst_unused:UNUSED_PAD src0_sel:WORD_1
	v_cvt_f32_u32_sdwa v16, v3 dst_sel:DWORD dst_unused:UNUSED_PAD src0_sel:WORD_0
	;; [unrolled: 2-line block ×4, first 2 shown]
	;;#ASMSTART
	v_pk_mul_f32 v[4:5], v[12:13], v[14:15]
	;;#ASMEND
	s_and_b32 s21, s0, 0xffff
	s_mov_b32 s0, 0x7060302
	;;#ASMSTART
	v_pk_mul_f32 v[10:11], v[10:11], v[16:17]
	;;#ASMEND
	;;#ASMSTART
	v_pk_mul_f32 v[8:9], v[8:9], v[2:3]
	;;#ASMEND
	;; [unrolled: 3-line block ×3, first 2 shown]
	v_perm_b32 v2, v5, v4, s0
	v_perm_b32 v3, v11, v10, s0
	;; [unrolled: 1-line block ×4, first 2 shown]
	buffer_store_dwordx4 v[2:5], v1, s[20:23], 0 offen
	;;#ASMSTART
	s_nop 0
	;;#ASMEND
	s_endpgm
	.section	.rodata,"a",@progbits
	.p2align	6, 0x0
	.amdhsa_kernel _ZN5aiter35fused_qk_rmsnorm_group_quant_kernelItDB8_Li256ELi8ELi4ELb1ELb1ELb0ELb1ELb0ELb0EEEvPT0_PvPT_S6_S6_PKS5_S8_S8_S8_S8_ffiiiiiiiiiiiii
		.amdhsa_group_segment_fixed_size 32
		.amdhsa_private_segment_fixed_size 0
		.amdhsa_kernarg_size 400
		.amdhsa_user_sgpr_count 6
		.amdhsa_user_sgpr_private_segment_buffer 1
		.amdhsa_user_sgpr_dispatch_ptr 0
		.amdhsa_user_sgpr_queue_ptr 0
		.amdhsa_user_sgpr_kernarg_segment_ptr 1
		.amdhsa_user_sgpr_dispatch_id 0
		.amdhsa_user_sgpr_flat_scratch_init 0
		.amdhsa_user_sgpr_kernarg_preload_length 0
		.amdhsa_user_sgpr_kernarg_preload_offset 0
		.amdhsa_user_sgpr_private_segment_size 0
		.amdhsa_uses_dynamic_stack 0
		.amdhsa_system_sgpr_private_segment_wavefront_offset 0
		.amdhsa_system_sgpr_workgroup_id_x 1
		.amdhsa_system_sgpr_workgroup_id_y 1
		.amdhsa_system_sgpr_workgroup_id_z 0
		.amdhsa_system_sgpr_workgroup_info 0
		.amdhsa_system_vgpr_workitem_id 0
		.amdhsa_next_free_vgpr 27
		.amdhsa_next_free_sgpr 44
		.amdhsa_accum_offset 28
		.amdhsa_reserve_vcc 1
		.amdhsa_reserve_flat_scratch 0
		.amdhsa_float_round_mode_32 0
		.amdhsa_float_round_mode_16_64 0
		.amdhsa_float_denorm_mode_32 3
		.amdhsa_float_denorm_mode_16_64 3
		.amdhsa_dx10_clamp 1
		.amdhsa_ieee_mode 1
		.amdhsa_fp16_overflow 0
		.amdhsa_tg_split 0
		.amdhsa_exception_fp_ieee_invalid_op 0
		.amdhsa_exception_fp_denorm_src 0
		.amdhsa_exception_fp_ieee_div_zero 0
		.amdhsa_exception_fp_ieee_overflow 0
		.amdhsa_exception_fp_ieee_underflow 0
		.amdhsa_exception_fp_ieee_inexact 0
		.amdhsa_exception_int_div_zero 0
	.end_amdhsa_kernel
	.section	.text._ZN5aiter35fused_qk_rmsnorm_group_quant_kernelItDB8_Li256ELi8ELi4ELb1ELb1ELb0ELb1ELb0ELb0EEEvPT0_PvPT_S6_S6_PKS5_S8_S8_S8_S8_ffiiiiiiiiiiiii,"axG",@progbits,_ZN5aiter35fused_qk_rmsnorm_group_quant_kernelItDB8_Li256ELi8ELi4ELb1ELb1ELb0ELb1ELb0ELb0EEEvPT0_PvPT_S6_S6_PKS5_S8_S8_S8_S8_ffiiiiiiiiiiiii,comdat
.Lfunc_end558:
	.size	_ZN5aiter35fused_qk_rmsnorm_group_quant_kernelItDB8_Li256ELi8ELi4ELb1ELb1ELb0ELb1ELb0ELb0EEEvPT0_PvPT_S6_S6_PKS5_S8_S8_S8_S8_ffiiiiiiiiiiiii, .Lfunc_end558-_ZN5aiter35fused_qk_rmsnorm_group_quant_kernelItDB8_Li256ELi8ELi4ELb1ELb1ELb0ELb1ELb0ELb0EEEvPT0_PvPT_S6_S6_PKS5_S8_S8_S8_S8_ffiiiiiiiiiiiii
                                        ; -- End function
	.section	.AMDGPU.csdata,"",@progbits
; Kernel info:
; codeLenInByte = 2452
; NumSgprs: 48
; NumVgprs: 27
; NumAgprs: 0
; TotalNumVgprs: 27
; ScratchSize: 0
; MemoryBound: 0
; FloatMode: 240
; IeeeMode: 1
; LDSByteSize: 32 bytes/workgroup (compile time only)
; SGPRBlocks: 5
; VGPRBlocks: 3
; NumSGPRsForWavesPerEU: 48
; NumVGPRsForWavesPerEU: 27
; AccumOffset: 28
; Occupancy: 8
; WaveLimiterHint : 0
; COMPUTE_PGM_RSRC2:SCRATCH_EN: 0
; COMPUTE_PGM_RSRC2:USER_SGPR: 6
; COMPUTE_PGM_RSRC2:TRAP_HANDLER: 0
; COMPUTE_PGM_RSRC2:TGID_X_EN: 1
; COMPUTE_PGM_RSRC2:TGID_Y_EN: 1
; COMPUTE_PGM_RSRC2:TGID_Z_EN: 0
; COMPUTE_PGM_RSRC2:TIDIG_COMP_CNT: 0
; COMPUTE_PGM_RSRC3_GFX90A:ACCUM_OFFSET: 6
; COMPUTE_PGM_RSRC3_GFX90A:TG_SPLIT: 0
	.section	.text._ZN5aiter35fused_qk_rmsnorm_group_quant_kernelIDF16_N4opus5fp4_tELi256ELi8ELi4ELb1ELb1ELb0ELb1ELb0ELb0EEEvPT0_PvPT_S7_S7_PKS6_S9_S9_S9_S9_ffiiiiiiiiiiiii,"axG",@progbits,_ZN5aiter35fused_qk_rmsnorm_group_quant_kernelIDF16_N4opus5fp4_tELi256ELi8ELi4ELb1ELb1ELb0ELb1ELb0ELb0EEEvPT0_PvPT_S7_S7_PKS6_S9_S9_S9_S9_ffiiiiiiiiiiiii,comdat
	.protected	_ZN5aiter35fused_qk_rmsnorm_group_quant_kernelIDF16_N4opus5fp4_tELi256ELi8ELi4ELb1ELb1ELb0ELb1ELb0ELb0EEEvPT0_PvPT_S7_S7_PKS6_S9_S9_S9_S9_ffiiiiiiiiiiiii ; -- Begin function _ZN5aiter35fused_qk_rmsnorm_group_quant_kernelIDF16_N4opus5fp4_tELi256ELi8ELi4ELb1ELb1ELb0ELb1ELb0ELb0EEEvPT0_PvPT_S7_S7_PKS6_S9_S9_S9_S9_ffiiiiiiiiiiiii
	.globl	_ZN5aiter35fused_qk_rmsnorm_group_quant_kernelIDF16_N4opus5fp4_tELi256ELi8ELi4ELb1ELb1ELb0ELb1ELb0ELb0EEEvPT0_PvPT_S7_S7_PKS6_S9_S9_S9_S9_ffiiiiiiiiiiiii
	.p2align	8
	.type	_ZN5aiter35fused_qk_rmsnorm_group_quant_kernelIDF16_N4opus5fp4_tELi256ELi8ELi4ELb1ELb1ELb0ELb1ELb0ELb0EEEvPT0_PvPT_S7_S7_PKS6_S9_S9_S9_S9_ffiiiiiiiiiiiii,@function
_ZN5aiter35fused_qk_rmsnorm_group_quant_kernelIDF16_N4opus5fp4_tELi256ELi8ELi4ELb1ELb1ELb0ELb1ELb0ELb0EEEvPT0_PvPT_S7_S7_PKS6_S9_S9_S9_S9_ffiiiiiiiiiiiii: ; @_ZN5aiter35fused_qk_rmsnorm_group_quant_kernelIDF16_N4opus5fp4_tELi256ELi8ELi4ELb1ELb1ELb0ELb1ELb0ELb0EEEvPT0_PvPT_S7_S7_PKS6_S9_S9_S9_S9_ffiiiiiiiiiiiii
; %bb.0:
	s_load_dwordx8 s[12:19], s[4:5], 0x50
	s_waitcnt lgkmcnt(0)
	s_cmp_ge_i32 s6, s14
	s_cbranch_scc1 .LBB559_17
; %bb.1:
	s_cmp_lg_u32 s7, 0
	s_cselect_b64 s[22:23], -1, 0
	s_cmp_eq_u32 s7, 0
	s_cselect_b64 s[2:3], -1, 0
	s_and_b64 s[0:1], s[2:3], exec
	s_cselect_b32 s7, s15, s16
	s_load_dwordx2 s[10:11], s[4:5], 0x30
	s_load_dwordx2 s[20:21], s[4:5], 0x48
	s_add_i32 s0, s7, 1
	s_lshr_b32 s1, s0, 31
	s_add_i32 s0, s0, s1
	s_lshl_b32 s0, s0, 1
	v_lshlrev_b32_e32 v1, 3, v0
	s_and_b32 s30, s0, -4
	v_cmp_gt_i32_e64 s[0:1], s7, v1
	v_mov_b32_e32 v2, 0
	v_mov_b32_e32 v3, 0
	;; [unrolled: 1-line block ×8, first 2 shown]
	s_and_saveexec_b64 s[8:9], s[0:1]
	s_cbranch_execz .LBB559_3
; %bb.2:
	s_load_dwordx2 s[14:15], s[4:5], 0x28
	s_load_dwordx2 s[26:27], s[4:5], 0x40
	s_and_b64 s[24:25], s[2:3], exec
	s_cselect_b32 s17, s17, s18
	s_mov_b32 s31, 0x20000
	s_waitcnt lgkmcnt(0)
	s_cselect_b32 s25, s15, s11
	s_cselect_b32 s24, s14, s10
	s_mul_hi_i32 s15, s17, s6
	s_mul_i32 s14, s17, s6
	s_lshl_b64 s[14:15], s[14:15], 1
	s_add_u32 s24, s24, s14
	s_addc_u32 s17, s25, s15
	s_and_b64 s[14:15], s[2:3], exec
	s_cselect_b32 s28, s26, s20
	s_cselect_b32 s14, s27, s21
	v_lshlrev_b32_e32 v10, 4, v0
	s_and_b32 s25, s17, 0xffff
	s_mov_b32 s26, s30
	s_mov_b32 s27, s31
	s_and_b32 s29, s14, 0xffff
	buffer_load_dwordx4 v[6:9], v10, s[24:27], 0 offen glc slc
	buffer_load_dwordx4 v[2:5], v10, s[28:31], 0 offen
.LBB559_3:
	s_or_b64 exec, exec, s[8:9]
	s_load_dwordx4 s[24:27], s[4:5], 0x7c
	s_and_b64 vcc, exec, s[22:23]
	s_cbranch_vccz .LBB559_7
; %bb.4:
	v_mov_b32_e32 v11, 0
	v_mov_b32_e32 v10, 0
	v_mov_b32_e32 v13, 0
	v_mov_b32_e32 v12, 0
	v_mov_b32_e32 v15, 0
	v_mov_b32_e32 v14, 0
	v_mov_b32_e32 v17, 0
	v_mov_b32_e32 v16, 0
	s_and_saveexec_b64 s[8:9], s[0:1]
	s_cbranch_execz .LBB559_6
; %bb.5:
	s_waitcnt vmcnt(1)
	v_cvt_f32_f16_sdwa v17, v6 dst_sel:DWORD dst_unused:UNUSED_PAD src0_sel:WORD_1
	v_cvt_f32_f16_e32 v16, v6
	v_cvt_f32_f16_sdwa v15, v7 dst_sel:DWORD dst_unused:UNUSED_PAD src0_sel:WORD_1
	v_cvt_f32_f16_e32 v14, v7
	;; [unrolled: 2-line block ×4, first 2 shown]
.LBB559_6:
	s_or_b64 exec, exec, s[8:9]
	s_cbranch_execz .LBB559_8
	s_branch .LBB559_11
.LBB559_7:
                                        ; implicit-def: $vgpr11
                                        ; implicit-def: $vgpr13
                                        ; implicit-def: $vgpr15
                                        ; implicit-def: $vgpr17
.LBB559_8:
	v_mov_b32_e32 v11, 0
	v_mov_b32_e32 v10, 0
	;; [unrolled: 1-line block ×8, first 2 shown]
	s_and_saveexec_b64 s[8:9], s[0:1]
	s_cbranch_execz .LBB559_10
; %bb.9:
	s_load_dwordx2 s[14:15], s[4:5], 0x38
	s_mul_hi_i32 s29, s19, s6
	s_mul_i32 s28, s19, s6
	s_lshl_b64 s[28:29], s[28:29], 1
	s_mov_b32 s31, 0x20000
	s_waitcnt lgkmcnt(0)
	s_add_u32 s28, s14, s28
	s_addc_u32 s14, s15, s29
	s_and_b32 s29, s14, 0xffff
	v_lshlrev_b32_e32 v26, 4, v0
	buffer_load_dwordx4 v[10:13], v26, s[28:31], 0 offen glc slc
	s_waitcnt vmcnt(2)
	v_cvt_f32_f16_sdwa v15, v6 dst_sel:DWORD dst_unused:UNUSED_PAD src0_sel:WORD_1
	v_cvt_f32_f16_e32 v14, v6
	v_cvt_f32_f16_sdwa v19, v7 dst_sel:DWORD dst_unused:UNUSED_PAD src0_sel:WORD_1
	v_cvt_f32_f16_e32 v18, v7
	;; [unrolled: 2-line block ×4, first 2 shown]
	s_load_dwordx2 s[14:15], s[4:5], 0x20
	s_mul_hi_i32 s27, s26, s6
	s_mul_i32 s26, s26, s6
	s_lshl_b64 s[26:27], s[26:27], 1
	s_waitcnt lgkmcnt(0)
	s_add_u32 s28, s14, s26
	s_addc_u32 s14, s15, s27
	s_and_b32 s29, s14, 0xffff
	s_waitcnt vmcnt(0)
	v_cvt_f32_f16_e32 v8, v10
	v_cvt_f32_f16_sdwa v9, v10 dst_sel:DWORD dst_unused:UNUSED_PAD src0_sel:WORD_1
	v_cvt_f32_f16_e32 v10, v11
	v_cvt_f32_f16_sdwa v11, v11 dst_sel:DWORD dst_unused:UNUSED_PAD src0_sel:WORD_1
	v_cvt_f32_f16_e32 v22, v12
	v_cvt_f32_f16_sdwa v23, v12 dst_sel:DWORD dst_unused:UNUSED_PAD src0_sel:WORD_1
	v_cvt_f32_f16_e32 v24, v13
	v_cvt_f32_f16_sdwa v25, v13 dst_sel:DWORD dst_unused:UNUSED_PAD src0_sel:WORD_1
	v_pk_add_f32 v[16:17], v[14:15], v[8:9]
	v_pk_add_f32 v[14:15], v[18:19], v[10:11]
	;; [unrolled: 1-line block ×4, first 2 shown]
	v_cvt_f16_f32_e32 v6, v17
	v_cvt_f16_f32_e32 v7, v15
	;; [unrolled: 1-line block ×8, first 2 shown]
	v_pack_b32_f16 v9, v18, v9
	v_pack_b32_f16 v8, v19, v8
	;; [unrolled: 1-line block ×4, first 2 shown]
	buffer_store_dwordx4 v[6:9], v26, s[28:31], 0 offen glc slc
	;;#ASMSTART
	s_nop 0
	;;#ASMEND
.LBB559_10:
	s_or_b64 exec, exec, s[8:9]
.LBB559_11:
	s_waitcnt vmcnt(1)
	v_mul_f32_e32 v6, v17, v17
	v_fmac_f32_e32 v6, v16, v16
	v_fmac_f32_e32 v6, v14, v14
	;; [unrolled: 1-line block ×7, first 2 shown]
	v_and_b32_e32 v8, 63, v0
	v_cmp_eq_u32_e64 s[8:9], 63, v8
	v_mov_b32_dpp v7, v6 quad_perm:[1,0,3,2] row_mask:0xf bank_mask:0xf
	v_add_f32_e32 v6, v6, v7
	s_nop 1
	v_mov_b32_dpp v7, v6 quad_perm:[2,3,0,1] row_mask:0xf bank_mask:0xf
	v_add_f32_e32 v6, v6, v7
	s_nop 1
	v_mov_b32_dpp v7, v6 row_half_mirror row_mask:0xf bank_mask:0xf
	v_add_f32_e32 v6, v6, v7
	s_nop 1
	v_mov_b32_dpp v7, v6 row_mirror row_mask:0xf bank_mask:0xf
	v_add_f32_e32 v6, v6, v7
	s_nop 1
	v_mov_b32_dpp v7, v6 row_bcast:15 row_mask:0xf bank_mask:0xf
	v_add_f32_e32 v6, v6, v7
	s_nop 1
	v_mov_b32_dpp v7, v6 row_bcast:31 row_mask:0xf bank_mask:0xf
	s_and_saveexec_b64 s[14:15], s[8:9]
	s_cbranch_execz .LBB559_13
; %bb.12:
	v_add_f32_e32 v6, v6, v7
	v_lshrrev_b32_e32 v7, 4, v0
	v_and_b32_e32 v7, 60, v7
	ds_write_b32 v7, v6 offset:16
.LBB559_13:
	s_or_b64 exec, exec, s[14:15]
	v_and_b32_e32 v6, 3, v0
	v_lshlrev_b32_e32 v18, 2, v6
	s_waitcnt lgkmcnt(0)
	s_barrier
	ds_read_b32 v6, v18 offset:16
	s_load_dwordx2 s[14:15], s[4:5], 0x18
	s_waitcnt lgkmcnt(0)
	v_mov_b32_dpp v7, v6 quad_perm:[1,0,3,2] row_mask:0xf bank_mask:0xf
	v_add_f32_e32 v6, v6, v7
	s_nop 1
	v_mov_b32_dpp v7, v6 quad_perm:[2,3,0,1] row_mask:0xf bank_mask:0xf
	s_and_saveexec_b64 s[26:27], s[0:1]
	s_cbranch_execnz .LBB559_18
; %bb.14:
	s_or_b64 exec, exec, s[26:27]
	s_mov_b64 s[2:3], -1
	s_and_b64 vcc, exec, s[22:23]
	s_cbranch_vccnz .LBB559_19
.LBB559_15:
	s_andn2_b64 vcc, exec, s[2:3]
	s_cbranch_vccz .LBB559_22
.LBB559_16:
	s_cmp_lt_i32 s16, 1
	s_cbranch_scc0 .LBB559_25
.LBB559_17:
	s_endpgm
.LBB559_18:
	v_cvt_f32_u32_e32 v8, s7
	v_add_f32_e32 v6, v6, v7
	v_mov_b32_e32 v19, s13
	v_mov_b32_e32 v20, s12
	v_div_scale_f32 v7, s[28:29], v8, v8, v6
	v_rcp_f32_e32 v9, v7
	v_cndmask_b32_e64 v19, v19, v20, s[2:3]
	s_mov_b32 s2, 0x800000
	s_waitcnt vmcnt(0)
	v_cvt_f32_f16_sdwa v23, v5 dst_sel:DWORD dst_unused:UNUSED_PAD src0_sel:WORD_1
	v_fma_f32 v20, -v7, v9, 1.0
	v_fmac_f32_e32 v9, v20, v9
	v_div_scale_f32 v20, vcc, v6, v8, v6
	v_mul_f32_e32 v21, v20, v9
	v_fma_f32 v22, -v7, v21, v20
	v_fmac_f32_e32 v21, v22, v9
	v_fma_f32 v7, -v7, v21, v20
	v_div_fmas_f32 v7, v7, v9, v21
	v_div_fixup_f32 v6, v7, v8, v6
	v_add_f32_e32 v6, v19, v6
	v_mul_f32_e32 v7, 0x4b800000, v6
	v_cmp_gt_f32_e32 vcc, s2, v6
	v_cndmask_b32_e32 v6, v6, v7, vcc
	v_rsq_f32_e32 v6, v6
	v_cvt_f32_f16_sdwa v21, v3 dst_sel:DWORD dst_unused:UNUSED_PAD src0_sel:WORD_1
	v_cvt_f32_f16_e32 v20, v3
	v_cvt_f32_f16_sdwa v3, v4 dst_sel:DWORD dst_unused:UNUSED_PAD src0_sel:WORD_1
	v_mul_f32_e32 v7, 0x45800000, v6
	v_cndmask_b32_e32 v6, v6, v7, vcc
	v_mov_b32_e32 v7, v6
	;;#ASMSTART
	v_pk_mul_f32 v[8:9], v[16:17], v[6:7]
	;;#ASMEND
	;;#ASMSTART
	v_pk_mul_f32 v[14:15], v[14:15], v[6:7]
	;;#ASMEND
	;; [unrolled: 3-line block ×4, first 2 shown]
	v_cvt_f32_f16_sdwa v11, v2 dst_sel:DWORD dst_unused:UNUSED_PAD src0_sel:WORD_1
	v_cvt_f32_f16_e32 v10, v2
	v_cvt_f32_f16_e32 v2, v4
	;; [unrolled: 1-line block ×3, first 2 shown]
	;;#ASMSTART
	v_pk_mul_f32 v[16:17], v[8:9], v[10:11]
	;;#ASMEND
	;;#ASMSTART
	v_pk_mul_f32 v[14:15], v[14:15], v[20:21]
	;;#ASMEND
	;; [unrolled: 3-line block ×4, first 2 shown]
	s_or_b64 exec, exec, s[26:27]
	s_mov_b64 s[2:3], -1
	s_and_b64 vcc, exec, s[22:23]
	s_cbranch_vccz .LBB559_15
.LBB559_19:
	s_and_saveexec_b64 s[2:3], s[0:1]
	s_cbranch_execz .LBB559_21
; %bb.20:
	s_mul_hi_i32 s23, s25, s6
	s_mul_i32 s22, s25, s6
	s_waitcnt vmcnt(0)
	v_cvt_f16_f32_e32 v2, v16
	v_cvt_f16_f32_e32 v3, v14
	v_cvt_f16_f32_e32 v4, v12
	v_cvt_f16_f32_e32 v5, v10
	v_cvt_f16_f32_e32 v6, v11
	v_cvt_f16_f32_e32 v7, v13
	v_cvt_f16_f32_e32 v8, v15
	v_cvt_f16_f32_e32 v9, v17
	s_lshl_b64 s[22:23], s[22:23], 1
	s_add_u32 s28, s14, s22
	s_addc_u32 s7, s15, s23
	s_and_b32 s29, s7, 0xffff
	s_mov_b32 s31, 0x20000
	v_pack_b32_f16 v5, v5, v6
	v_pack_b32_f16 v4, v4, v7
	;; [unrolled: 1-line block ×4, first 2 shown]
	v_lshlrev_b32_e32 v6, 4, v0
	buffer_store_dwordx4 v[2:5], v6, s[28:31], 0 offen
	;;#ASMSTART
	s_nop 0
	;;#ASMEND
.LBB559_21:
	s_or_b64 exec, exec, s[2:3]
	s_cbranch_execnz .LBB559_16
.LBB559_22:
	s_and_saveexec_b64 s[2:3], s[0:1]
	s_cbranch_execz .LBB559_24
; %bb.23:
	s_load_dwordx2 s[0:1], s[4:5], 0x10
	s_mul_hi_i32 s23, s24, s6
	s_mul_i32 s22, s24, s6
	s_waitcnt vmcnt(0)
	v_cvt_f16_f32_e32 v2, v16
	v_cvt_f16_f32_e32 v3, v14
	;; [unrolled: 1-line block ×8, first 2 shown]
	s_lshl_b64 s[22:23], s[22:23], 1
	s_waitcnt lgkmcnt(0)
	s_add_u32 s28, s0, s22
	s_addc_u32 s0, s1, s23
	s_mov_b32 s31, 0x20000
	s_and_b32 s29, s0, 0xffff
	v_pack_b32_f16 v5, v5, v6
	v_pack_b32_f16 v4, v4, v7
	;; [unrolled: 1-line block ×4, first 2 shown]
	v_lshlrev_b32_e32 v6, 4, v0
	buffer_store_dwordx4 v[2:5], v6, s[28:31], 0 offen
	;;#ASMSTART
	s_nop 0
	;;#ASMEND
.LBB559_24:
	s_or_b64 exec, exec, s[2:3]
	s_cmp_lt_i32 s16, 1
	s_cbranch_scc1 .LBB559_17
.LBB559_25:
	s_load_dword s0, s[4:5], 0x94
	s_waitcnt lgkmcnt(0)
	s_cmp_lg_u32 s0, 1
	s_cbranch_scc1 .LBB559_17
; %bb.26:
	s_lshl_b32 s0, s16, 1
	s_add_i32 s0, s0, 2
	v_cmp_gt_u32_e32 vcc, s16, v1
	s_and_b32 s22, s0, -4
	v_mov_b32_e32 v10, 0
	v_lshlrev_b32_e32 v1, 4, v0
	v_mov_b32_e32 v6, 0
	v_mov_b32_e32 v7, 0
	v_mov_b32_e32 v8, 0
	v_mov_b32_e32 v9, 0
	s_waitcnt vmcnt(0)
	v_mov_b32_e32 v2, 0
	v_mov_b32_e32 v3, 0
	;; [unrolled: 1-line block ×4, first 2 shown]
	s_barrier
	s_and_saveexec_b64 s[0:1], vcc
	s_cbranch_execz .LBB559_28
; %bb.27:
	s_mul_hi_i32 s3, s18, s6
	s_mul_i32 s2, s18, s6
	s_and_b32 s21, s21, 0xffff
	s_lshl_b64 s[2:3], s[2:3], 1
	s_add_u32 s28, s10, s2
	s_mov_b32 s23, 0x20000
	s_addc_u32 s2, s11, s3
	s_and_b32 s29, s2, 0xffff
	s_mov_b32 s30, s22
	s_mov_b32 s31, s23
	buffer_load_dwordx4 v[6:9], v1, s[28:31], 0 offen glc slc
	buffer_load_dwordx4 v[2:5], v1, s[20:23], 0 offen
.LBB559_28:
	s_or_b64 exec, exec, s[0:1]
	v_mov_b32_e32 v11, 0
	v_mov_b32_e32 v16, 0
	;; [unrolled: 1-line block ×7, first 2 shown]
	s_and_saveexec_b64 s[0:1], vcc
	s_cbranch_execz .LBB559_30
; %bb.29:
	s_waitcnt vmcnt(1)
	v_cvt_f32_f16_sdwa v11, v6 dst_sel:DWORD dst_unused:UNUSED_PAD src0_sel:WORD_1
	v_cvt_f32_f16_e32 v10, v6
	v_cvt_f32_f16_sdwa v17, v7 dst_sel:DWORD dst_unused:UNUSED_PAD src0_sel:WORD_1
	v_cvt_f32_f16_e32 v16, v7
	;; [unrolled: 2-line block ×4, first 2 shown]
.LBB559_30:
	s_or_b64 exec, exec, s[0:1]
	s_waitcnt vmcnt(1)
	v_mul_f32_e32 v6, v11, v11
	v_fmac_f32_e32 v6, v10, v10
	v_fmac_f32_e32 v6, v16, v16
	;; [unrolled: 1-line block ×7, first 2 shown]
	s_nop 1
	v_mov_b32_dpp v7, v6 quad_perm:[1,0,3,2] row_mask:0xf bank_mask:0xf
	v_add_f32_e32 v6, v6, v7
	s_nop 1
	v_mov_b32_dpp v7, v6 quad_perm:[2,3,0,1] row_mask:0xf bank_mask:0xf
	v_add_f32_e32 v6, v6, v7
	s_nop 1
	v_mov_b32_dpp v7, v6 row_half_mirror row_mask:0xf bank_mask:0xf
	v_add_f32_e32 v6, v6, v7
	s_nop 1
	v_mov_b32_dpp v7, v6 row_mirror row_mask:0xf bank_mask:0xf
	v_add_f32_e32 v6, v6, v7
	s_nop 1
	v_mov_b32_dpp v7, v6 row_bcast:15 row_mask:0xf bank_mask:0xf
	v_add_f32_e32 v6, v6, v7
	s_nop 1
	v_mov_b32_dpp v7, v6 row_bcast:31 row_mask:0xf bank_mask:0xf
	s_and_saveexec_b64 s[0:1], s[8:9]
	s_cbranch_execz .LBB559_32
; %bb.31:
	v_lshrrev_b32_e32 v0, 4, v0
	v_add_f32_e32 v6, v6, v7
	v_and_b32_e32 v0, 60, v0
	ds_write_b32 v0, v6
.LBB559_32:
	s_or_b64 exec, exec, s[0:1]
	s_waitcnt lgkmcnt(0)
	s_barrier
	ds_read_b32 v0, v18
	s_waitcnt lgkmcnt(0)
	s_nop 0
	v_mov_b32_dpp v6, v0 quad_perm:[1,0,3,2] row_mask:0xf bank_mask:0xf
	v_add_f32_e32 v0, v0, v6
	s_nop 1
	v_mov_b32_dpp v6, v0 quad_perm:[2,3,0,1] row_mask:0xf bank_mask:0xf
	s_and_saveexec_b64 s[0:1], vcc
	s_cbranch_execz .LBB559_17
; %bb.33:
	v_cvt_f32_u32_e32 v7, s16
	v_add_f32_e32 v0, v0, v6
	s_mov_b32 s23, 0x20000
	v_div_scale_f32 v6, s[0:1], v7, v7, v0
	v_rcp_f32_e32 v8, v6
	v_div_scale_f32 v9, vcc, v0, v7, v0
	s_mov_b32 s0, 0x800000
	v_fma_f32 v18, -v6, v8, 1.0
	v_fmac_f32_e32 v8, v18, v8
	v_mul_f32_e32 v18, v9, v8
	v_fma_f32 v19, -v6, v18, v9
	v_fmac_f32_e32 v18, v19, v8
	v_fma_f32 v6, -v6, v18, v9
	v_div_fmas_f32 v6, v6, v8, v18
	v_div_fixup_f32 v0, v6, v7, v0
	v_add_f32_e32 v0, s13, v0
	v_mul_f32_e32 v6, 0x4b800000, v0
	v_cmp_gt_f32_e32 vcc, s0, v0
	v_cndmask_b32_e32 v0, v0, v6, vcc
	v_rsq_f32_e32 v0, v0
	s_waitcnt vmcnt(0)
	v_cvt_f32_f16_sdwa v19, v5 dst_sel:DWORD dst_unused:UNUSED_PAD src0_sel:WORD_1
	v_cvt_f32_f16_e32 v18, v5
	s_mul_hi_i32 s1, s25, s6
	v_mul_f32_e32 v6, 0x45800000, v0
	v_cndmask_b32_e32 v6, v0, v6, vcc
	v_mov_b32_e32 v7, v6
	;;#ASMSTART
	v_pk_mul_f32 v[8:9], v[10:11], v[6:7]
	;;#ASMEND
	;;#ASMSTART
	v_pk_mul_f32 v[10:11], v[16:17], v[6:7]
	;;#ASMEND
	;;#ASMSTART
	v_pk_mul_f32 v[14:15], v[14:15], v[6:7]
	;;#ASMEND
	;;#ASMSTART
	v_pk_mul_f32 v[6:7], v[12:13], v[6:7]
	;;#ASMEND
	v_cvt_f32_f16_sdwa v13, v2 dst_sel:DWORD dst_unused:UNUSED_PAD src0_sel:WORD_1
	v_cvt_f32_f16_e32 v12, v2
	v_cvt_f32_f16_sdwa v17, v3 dst_sel:DWORD dst_unused:UNUSED_PAD src0_sel:WORD_1
	v_cvt_f32_f16_e32 v16, v3
	;; [unrolled: 2-line block ×3, first 2 shown]
	;;#ASMSTART
	v_pk_mul_f32 v[4:5], v[8:9], v[12:13]
	;;#ASMEND
	;;#ASMSTART
	v_pk_mul_f32 v[8:9], v[10:11], v[16:17]
	;;#ASMEND
	;; [unrolled: 3-line block ×4, first 2 shown]
	s_mul_i32 s0, s25, s6
	v_cvt_f16_f32_e32 v0, v4
	v_cvt_f16_f32_e32 v4, v5
	;; [unrolled: 1-line block ×8, first 2 shown]
	s_lshl_b64 s[0:1], s[0:1], 1
	s_add_u32 s20, s14, s0
	s_addc_u32 s0, s15, s1
	s_and_b32 s21, s0, 0xffff
	v_pack_b32_f16 v2, v0, v4
	v_pack_b32_f16 v3, v5, v8
	;; [unrolled: 1-line block ×4, first 2 shown]
	buffer_store_dwordx4 v[2:5], v1, s[20:23], 0 offen
	;;#ASMSTART
	s_nop 0
	;;#ASMEND
	s_endpgm
	.section	.rodata,"a",@progbits
	.p2align	6, 0x0
	.amdhsa_kernel _ZN5aiter35fused_qk_rmsnorm_group_quant_kernelIDF16_N4opus5fp4_tELi256ELi8ELi4ELb1ELb1ELb0ELb1ELb0ELb0EEEvPT0_PvPT_S7_S7_PKS6_S9_S9_S9_S9_ffiiiiiiiiiiiii
		.amdhsa_group_segment_fixed_size 32
		.amdhsa_private_segment_fixed_size 0
		.amdhsa_kernarg_size 400
		.amdhsa_user_sgpr_count 6
		.amdhsa_user_sgpr_private_segment_buffer 1
		.amdhsa_user_sgpr_dispatch_ptr 0
		.amdhsa_user_sgpr_queue_ptr 0
		.amdhsa_user_sgpr_kernarg_segment_ptr 1
		.amdhsa_user_sgpr_dispatch_id 0
		.amdhsa_user_sgpr_flat_scratch_init 0
		.amdhsa_user_sgpr_kernarg_preload_length 0
		.amdhsa_user_sgpr_kernarg_preload_offset 0
		.amdhsa_user_sgpr_private_segment_size 0
		.amdhsa_uses_dynamic_stack 0
		.amdhsa_system_sgpr_private_segment_wavefront_offset 0
		.amdhsa_system_sgpr_workgroup_id_x 1
		.amdhsa_system_sgpr_workgroup_id_y 1
		.amdhsa_system_sgpr_workgroup_id_z 0
		.amdhsa_system_sgpr_workgroup_info 0
		.amdhsa_system_vgpr_workitem_id 0
		.amdhsa_next_free_vgpr 27
		.amdhsa_next_free_sgpr 32
		.amdhsa_accum_offset 28
		.amdhsa_reserve_vcc 1
		.amdhsa_reserve_flat_scratch 0
		.amdhsa_float_round_mode_32 0
		.amdhsa_float_round_mode_16_64 0
		.amdhsa_float_denorm_mode_32 3
		.amdhsa_float_denorm_mode_16_64 3
		.amdhsa_dx10_clamp 1
		.amdhsa_ieee_mode 1
		.amdhsa_fp16_overflow 0
		.amdhsa_tg_split 0
		.amdhsa_exception_fp_ieee_invalid_op 0
		.amdhsa_exception_fp_denorm_src 0
		.amdhsa_exception_fp_ieee_div_zero 0
		.amdhsa_exception_fp_ieee_overflow 0
		.amdhsa_exception_fp_ieee_underflow 0
		.amdhsa_exception_fp_ieee_inexact 0
		.amdhsa_exception_int_div_zero 0
	.end_amdhsa_kernel
	.section	.text._ZN5aiter35fused_qk_rmsnorm_group_quant_kernelIDF16_N4opus5fp4_tELi256ELi8ELi4ELb1ELb1ELb0ELb1ELb0ELb0EEEvPT0_PvPT_S7_S7_PKS6_S9_S9_S9_S9_ffiiiiiiiiiiiii,"axG",@progbits,_ZN5aiter35fused_qk_rmsnorm_group_quant_kernelIDF16_N4opus5fp4_tELi256ELi8ELi4ELb1ELb1ELb0ELb1ELb0ELb0EEEvPT0_PvPT_S7_S7_PKS6_S9_S9_S9_S9_ffiiiiiiiiiiiii,comdat
.Lfunc_end559:
	.size	_ZN5aiter35fused_qk_rmsnorm_group_quant_kernelIDF16_N4opus5fp4_tELi256ELi8ELi4ELb1ELb1ELb0ELb1ELb0ELb0EEEvPT0_PvPT_S7_S7_PKS6_S9_S9_S9_S9_ffiiiiiiiiiiiii, .Lfunc_end559-_ZN5aiter35fused_qk_rmsnorm_group_quant_kernelIDF16_N4opus5fp4_tELi256ELi8ELi4ELb1ELb1ELb0ELb1ELb0ELb0EEEvPT0_PvPT_S7_S7_PKS6_S9_S9_S9_S9_ffiiiiiiiiiiiii
                                        ; -- End function
	.section	.AMDGPU.csdata,"",@progbits
; Kernel info:
; codeLenInByte = 2416
; NumSgprs: 36
; NumVgprs: 27
; NumAgprs: 0
; TotalNumVgprs: 27
; ScratchSize: 0
; MemoryBound: 0
; FloatMode: 240
; IeeeMode: 1
; LDSByteSize: 32 bytes/workgroup (compile time only)
; SGPRBlocks: 4
; VGPRBlocks: 3
; NumSGPRsForWavesPerEU: 36
; NumVGPRsForWavesPerEU: 27
; AccumOffset: 28
; Occupancy: 8
; WaveLimiterHint : 0
; COMPUTE_PGM_RSRC2:SCRATCH_EN: 0
; COMPUTE_PGM_RSRC2:USER_SGPR: 6
; COMPUTE_PGM_RSRC2:TRAP_HANDLER: 0
; COMPUTE_PGM_RSRC2:TGID_X_EN: 1
; COMPUTE_PGM_RSRC2:TGID_Y_EN: 1
; COMPUTE_PGM_RSRC2:TGID_Z_EN: 0
; COMPUTE_PGM_RSRC2:TIDIG_COMP_CNT: 0
; COMPUTE_PGM_RSRC3_GFX90A:ACCUM_OFFSET: 6
; COMPUTE_PGM_RSRC3_GFX90A:TG_SPLIT: 0
	.section	.text._ZN5aiter35fused_qk_rmsnorm_group_quant_kernelItN4opus5fp4_tELi256ELi8ELi4ELb1ELb1ELb0ELb1ELb0ELb0EEEvPT0_PvPT_S7_S7_PKS6_S9_S9_S9_S9_ffiiiiiiiiiiiii,"axG",@progbits,_ZN5aiter35fused_qk_rmsnorm_group_quant_kernelItN4opus5fp4_tELi256ELi8ELi4ELb1ELb1ELb0ELb1ELb0ELb0EEEvPT0_PvPT_S7_S7_PKS6_S9_S9_S9_S9_ffiiiiiiiiiiiii,comdat
	.protected	_ZN5aiter35fused_qk_rmsnorm_group_quant_kernelItN4opus5fp4_tELi256ELi8ELi4ELb1ELb1ELb0ELb1ELb0ELb0EEEvPT0_PvPT_S7_S7_PKS6_S9_S9_S9_S9_ffiiiiiiiiiiiii ; -- Begin function _ZN5aiter35fused_qk_rmsnorm_group_quant_kernelItN4opus5fp4_tELi256ELi8ELi4ELb1ELb1ELb0ELb1ELb0ELb0EEEvPT0_PvPT_S7_S7_PKS6_S9_S9_S9_S9_ffiiiiiiiiiiiii
	.globl	_ZN5aiter35fused_qk_rmsnorm_group_quant_kernelItN4opus5fp4_tELi256ELi8ELi4ELb1ELb1ELb0ELb1ELb0ELb0EEEvPT0_PvPT_S7_S7_PKS6_S9_S9_S9_S9_ffiiiiiiiiiiiii
	.p2align	8
	.type	_ZN5aiter35fused_qk_rmsnorm_group_quant_kernelItN4opus5fp4_tELi256ELi8ELi4ELb1ELb1ELb0ELb1ELb0ELb0EEEvPT0_PvPT_S7_S7_PKS6_S9_S9_S9_S9_ffiiiiiiiiiiiii,@function
_ZN5aiter35fused_qk_rmsnorm_group_quant_kernelItN4opus5fp4_tELi256ELi8ELi4ELb1ELb1ELb0ELb1ELb0ELb0EEEvPT0_PvPT_S7_S7_PKS6_S9_S9_S9_S9_ffiiiiiiiiiiiii: ; @_ZN5aiter35fused_qk_rmsnorm_group_quant_kernelItN4opus5fp4_tELi256ELi8ELi4ELb1ELb1ELb0ELb1ELb0ELb0EEEvPT0_PvPT_S7_S7_PKS6_S9_S9_S9_S9_ffiiiiiiiiiiiii
; %bb.0:
	s_load_dwordx8 s[12:19], s[4:5], 0x50
	s_waitcnt lgkmcnt(0)
	s_cmp_ge_i32 s6, s14
	s_cbranch_scc1 .LBB560_17
; %bb.1:
	s_cmp_lg_u32 s7, 0
	s_cselect_b64 s[22:23], -1, 0
	s_cmp_eq_u32 s7, 0
	s_cselect_b64 s[8:9], -1, 0
	s_and_b64 s[0:1], s[8:9], exec
	s_cselect_b32 s7, s15, s16
	s_load_dwordx2 s[10:11], s[4:5], 0x30
	s_load_dwordx2 s[20:21], s[4:5], 0x48
	s_add_i32 s0, s7, 1
	s_lshr_b32 s1, s0, 31
	s_add_i32 s0, s0, s1
	s_lshl_b32 s0, s0, 1
	v_lshlrev_b32_e32 v1, 3, v0
	s_and_b32 s30, s0, -4
	v_cmp_gt_i32_e64 s[0:1], s7, v1
	v_mov_b32_e32 v10, 0
	v_mov_b32_e32 v11, 0
	;; [unrolled: 1-line block ×8, first 2 shown]
	s_and_saveexec_b64 s[2:3], s[0:1]
	s_cbranch_execz .LBB560_3
; %bb.2:
	s_load_dwordx2 s[14:15], s[4:5], 0x28
	s_load_dwordx2 s[26:27], s[4:5], 0x40
	s_and_b64 s[24:25], s[8:9], exec
	s_cselect_b32 s17, s17, s18
	s_mov_b32 s31, 0x20000
	s_waitcnt lgkmcnt(0)
	s_cselect_b32 s25, s15, s11
	s_cselect_b32 s24, s14, s10
	s_mul_hi_i32 s15, s17, s6
	s_mul_i32 s14, s17, s6
	s_lshl_b64 s[14:15], s[14:15], 1
	s_add_u32 s24, s24, s14
	s_addc_u32 s17, s25, s15
	s_and_b64 s[14:15], s[8:9], exec
	s_cselect_b32 s28, s26, s20
	s_cselect_b32 s14, s27, s21
	v_lshlrev_b32_e32 v2, 4, v0
	s_and_b32 s25, s17, 0xffff
	s_mov_b32 s26, s30
	s_mov_b32 s27, s31
	s_and_b32 s29, s14, 0xffff
	buffer_load_dwordx4 v[14:17], v2, s[24:27], 0 offen glc slc
	buffer_load_dwordx4 v[10:13], v2, s[28:31], 0 offen
.LBB560_3:
	s_or_b64 exec, exec, s[2:3]
	s_load_dwordx4 s[24:27], s[4:5], 0x7c
	s_and_b64 vcc, exec, s[22:23]
	s_cbranch_vccz .LBB560_7
; %bb.4:
	s_mov_b32 s36, 0
	s_mov_b32 s37, s36
	;; [unrolled: 1-line block ×8, first 2 shown]
	v_pk_mov_b32 v[2:3], s[36:37], s[36:37] op_sel:[0,1]
	v_pk_mov_b32 v[4:5], s[38:39], s[38:39] op_sel:[0,1]
	;; [unrolled: 1-line block ×4, first 2 shown]
	s_and_saveexec_b64 s[2:3], s[0:1]
	s_cbranch_execz .LBB560_6
; %bb.5:
	s_waitcnt vmcnt(1)
	v_cvt_f32_u32_sdwa v3, v14 dst_sel:DWORD dst_unused:UNUSED_PAD src0_sel:WORD_1
	v_cvt_f32_u32_sdwa v2, v14 dst_sel:DWORD dst_unused:UNUSED_PAD src0_sel:WORD_0
	v_cvt_f32_u32_sdwa v5, v15 dst_sel:DWORD dst_unused:UNUSED_PAD src0_sel:WORD_1
	v_cvt_f32_u32_sdwa v4, v15 dst_sel:DWORD dst_unused:UNUSED_PAD src0_sel:WORD_0
	;; [unrolled: 2-line block ×4, first 2 shown]
.LBB560_6:
	s_or_b64 exec, exec, s[2:3]
	s_cbranch_execz .LBB560_8
	s_branch .LBB560_11
.LBB560_7:
                                        ; implicit-def: $vgpr2_vgpr3_vgpr4_vgpr5_vgpr6_vgpr7_vgpr8_vgpr9
.LBB560_8:
	s_mov_b32 s36, 0
	s_mov_b32 s37, s36
	;; [unrolled: 1-line block ×8, first 2 shown]
	v_pk_mov_b32 v[2:3], s[36:37], s[36:37] op_sel:[0,1]
	v_pk_mov_b32 v[4:5], s[38:39], s[38:39] op_sel:[0,1]
	v_pk_mov_b32 v[6:7], s[40:41], s[40:41] op_sel:[0,1]
	v_pk_mov_b32 v[8:9], s[42:43], s[42:43] op_sel:[0,1]
	s_and_saveexec_b64 s[2:3], s[0:1]
	s_cbranch_execz .LBB560_10
; %bb.9:
	s_load_dwordx2 s[14:15], s[4:5], 0x38
	s_mul_hi_i32 s29, s19, s6
	s_mul_i32 s28, s19, s6
	s_lshl_b64 s[28:29], s[28:29], 1
	s_mov_b32 s31, 0x20000
	s_waitcnt lgkmcnt(0)
	s_add_u32 s28, s14, s28
	s_addc_u32 s14, s15, s29
	s_and_b32 s29, s14, 0xffff
	v_lshlrev_b32_e32 v26, 4, v0
	buffer_load_dwordx4 v[2:5], v26, s[28:31], 0 offen glc slc
	s_load_dwordx2 s[14:15], s[4:5], 0x20
	s_waitcnt vmcnt(2)
	v_cvt_f32_u32_sdwa v7, v14 dst_sel:DWORD dst_unused:UNUSED_PAD src0_sel:WORD_1
	v_cvt_f32_u32_sdwa v6, v14 dst_sel:DWORD dst_unused:UNUSED_PAD src0_sel:WORD_0
	v_cvt_f32_u32_sdwa v9, v15 dst_sel:DWORD dst_unused:UNUSED_PAD src0_sel:WORD_1
	v_cvt_f32_u32_sdwa v8, v15 dst_sel:DWORD dst_unused:UNUSED_PAD src0_sel:WORD_0
	;; [unrolled: 2-line block ×4, first 2 shown]
	s_mul_hi_i32 s27, s26, s6
	s_mul_i32 s26, s26, s6
	s_lshl_b64 s[26:27], s[26:27], 1
	s_waitcnt lgkmcnt(0)
	s_add_u32 s28, s14, s26
	s_mov_b32 s17, 0x7060302
	s_addc_u32 s14, s15, s27
	s_and_b32 s29, s14, 0xffff
	s_waitcnt vmcnt(0)
	v_cvt_f32_u32_sdwa v17, v2 dst_sel:DWORD dst_unused:UNUSED_PAD src0_sel:WORD_1
	v_cvt_f32_u32_sdwa v16, v2 dst_sel:DWORD dst_unused:UNUSED_PAD src0_sel:WORD_0
	v_cvt_f32_u32_sdwa v21, v3 dst_sel:DWORD dst_unused:UNUSED_PAD src0_sel:WORD_1
	v_cvt_f32_u32_sdwa v20, v3 dst_sel:DWORD dst_unused:UNUSED_PAD src0_sel:WORD_0
	;; [unrolled: 2-line block ×4, first 2 shown]
	v_pk_add_f32 v[2:3], v[6:7], v[16:17]
	v_pk_add_f32 v[4:5], v[8:9], v[20:21]
	;; [unrolled: 1-line block ×4, first 2 shown]
	v_perm_b32 v17, v9, v8, s17
	v_perm_b32 v16, v7, v6, s17
	;; [unrolled: 1-line block ×4, first 2 shown]
	buffer_store_dwordx4 v[14:17], v26, s[28:31], 0 offen glc slc
	;;#ASMSTART
	s_nop 0
	;;#ASMEND
.LBB560_10:
	s_or_b64 exec, exec, s[2:3]
.LBB560_11:
	s_waitcnt vmcnt(1)
	v_mul_f32_e32 v14, v3, v3
	v_fmac_f32_e32 v14, v2, v2
	v_fmac_f32_e32 v14, v4, v4
	;; [unrolled: 1-line block ×7, first 2 shown]
	v_and_b32_e32 v16, 63, v0
	v_cmp_eq_u32_e64 s[2:3], 63, v16
	v_mov_b32_dpp v15, v14 quad_perm:[1,0,3,2] row_mask:0xf bank_mask:0xf
	v_add_f32_e32 v14, v14, v15
	s_nop 1
	v_mov_b32_dpp v15, v14 quad_perm:[2,3,0,1] row_mask:0xf bank_mask:0xf
	v_add_f32_e32 v14, v14, v15
	s_nop 1
	v_mov_b32_dpp v15, v14 row_half_mirror row_mask:0xf bank_mask:0xf
	v_add_f32_e32 v14, v14, v15
	s_nop 1
	v_mov_b32_dpp v15, v14 row_mirror row_mask:0xf bank_mask:0xf
	v_add_f32_e32 v14, v14, v15
	s_nop 1
	v_mov_b32_dpp v15, v14 row_bcast:15 row_mask:0xf bank_mask:0xf
	v_add_f32_e32 v14, v14, v15
	s_nop 1
	v_mov_b32_dpp v15, v14 row_bcast:31 row_mask:0xf bank_mask:0xf
	s_and_saveexec_b64 s[14:15], s[2:3]
	s_cbranch_execz .LBB560_13
; %bb.12:
	v_add_f32_e32 v14, v14, v15
	v_lshrrev_b32_e32 v15, 4, v0
	v_and_b32_e32 v15, 60, v15
	ds_write_b32 v15, v14 offset:16
.LBB560_13:
	s_or_b64 exec, exec, s[14:15]
	v_and_b32_e32 v14, 3, v0
	v_lshlrev_b32_e32 v14, 2, v14
	s_waitcnt lgkmcnt(0)
	s_barrier
	ds_read_b32 v15, v14 offset:16
	s_load_dwordx2 s[14:15], s[4:5], 0x18
	s_waitcnt lgkmcnt(0)
	v_mov_b32_dpp v16, v15 quad_perm:[1,0,3,2] row_mask:0xf bank_mask:0xf
	v_add_f32_e32 v15, v15, v16
	s_nop 1
	v_mov_b32_dpp v16, v15 quad_perm:[2,3,0,1] row_mask:0xf bank_mask:0xf
	s_and_saveexec_b64 s[26:27], s[0:1]
	s_cbranch_execnz .LBB560_18
; %bb.14:
	s_or_b64 exec, exec, s[26:27]
	s_mov_b64 s[8:9], -1
	s_and_b64 vcc, exec, s[22:23]
	s_cbranch_vccnz .LBB560_19
.LBB560_15:
	s_andn2_b64 vcc, exec, s[8:9]
	s_cbranch_vccz .LBB560_22
.LBB560_16:
	s_cmp_lt_i32 s16, 1
	s_cbranch_scc0 .LBB560_25
.LBB560_17:
	s_endpgm
.LBB560_18:
	v_cvt_f32_u32_e32 v17, s7
	v_add_f32_e32 v15, v15, v16
	v_mov_b32_e32 v19, s13
	v_mov_b32_e32 v20, s12
	v_div_scale_f32 v16, s[28:29], v17, v17, v15
	v_rcp_f32_e32 v18, v16
	v_cndmask_b32_e64 v19, v19, v20, s[8:9]
	s_mov_b32 s7, 0x800000
	v_fma_f32 v20, -v16, v18, 1.0
	v_fmac_f32_e32 v18, v20, v18
	v_div_scale_f32 v20, vcc, v15, v17, v15
	v_mul_f32_e32 v21, v20, v18
	v_fma_f32 v22, -v16, v21, v20
	v_fmac_f32_e32 v21, v22, v18
	v_fma_f32 v16, -v16, v21, v20
	v_div_fmas_f32 v16, v16, v18, v21
	v_div_fixup_f32 v15, v16, v17, v15
	v_add_f32_e32 v15, v19, v15
	v_mul_f32_e32 v16, 0x4b800000, v15
	v_cmp_gt_f32_e32 vcc, s7, v15
	v_cndmask_b32_e32 v15, v15, v16, vcc
	v_rsq_f32_e32 v15, v15
	s_waitcnt vmcnt(0)
	v_cvt_f32_u32_sdwa v19, v11 dst_sel:DWORD dst_unused:UNUSED_PAD src0_sel:WORD_1
	v_cvt_f32_u32_sdwa v18, v11 dst_sel:DWORD dst_unused:UNUSED_PAD src0_sel:WORD_0
	v_cvt_f32_u32_sdwa v11, v12 dst_sel:DWORD dst_unused:UNUSED_PAD src0_sel:WORD_1
	v_mul_f32_e32 v16, 0x45800000, v15
	v_cndmask_b32_e32 v16, v15, v16, vcc
	v_mov_b32_e32 v17, v16
	;;#ASMSTART
	v_pk_mul_f32 v[2:3], v[2:3], v[16:17]
	;;#ASMEND
	;;#ASMSTART
	v_pk_mul_f32 v[4:5], v[4:5], v[16:17]
	;;#ASMEND
	;; [unrolled: 3-line block ×4, first 2 shown]
	v_cvt_f32_u32_sdwa v17, v10 dst_sel:DWORD dst_unused:UNUSED_PAD src0_sel:WORD_1
	v_cvt_f32_u32_sdwa v16, v10 dst_sel:DWORD dst_unused:UNUSED_PAD src0_sel:WORD_0
	v_cvt_f32_u32_sdwa v10, v12 dst_sel:DWORD dst_unused:UNUSED_PAD src0_sel:WORD_0
	v_cvt_f32_u32_sdwa v21, v13 dst_sel:DWORD dst_unused:UNUSED_PAD src0_sel:WORD_1
	v_cvt_f32_u32_sdwa v20, v13 dst_sel:DWORD dst_unused:UNUSED_PAD src0_sel:WORD_0
	;;#ASMSTART
	v_pk_mul_f32 v[2:3], v[2:3], v[16:17]
	;;#ASMEND
	;;#ASMSTART
	v_pk_mul_f32 v[4:5], v[4:5], v[18:19]
	;;#ASMEND
	;; [unrolled: 3-line block ×4, first 2 shown]
	s_or_b64 exec, exec, s[26:27]
	s_mov_b64 s[8:9], -1
	s_and_b64 vcc, exec, s[22:23]
	s_cbranch_vccz .LBB560_15
.LBB560_19:
	s_and_saveexec_b64 s[8:9], s[0:1]
	s_cbranch_execz .LBB560_21
; %bb.20:
	s_mul_hi_i32 s23, s25, s6
	s_mul_i32 s22, s25, s6
	s_lshl_b64 s[22:23], s[22:23], 1
	s_add_u32 s28, s14, s22
	s_addc_u32 s7, s15, s23
	s_and_b32 s29, s7, 0xffff
	s_mov_b32 s7, 0x7060302
	s_mov_b32 s31, 0x20000
	s_waitcnt vmcnt(0)
	v_perm_b32 v10, v3, v2, s7
	v_perm_b32 v11, v5, v4, s7
	;; [unrolled: 1-line block ×4, first 2 shown]
	v_lshlrev_b32_e32 v15, 4, v0
	buffer_store_dwordx4 v[10:13], v15, s[28:31], 0 offen
	;;#ASMSTART
	s_nop 0
	;;#ASMEND
.LBB560_21:
	s_or_b64 exec, exec, s[8:9]
	s_cbranch_execnz .LBB560_16
.LBB560_22:
	s_and_saveexec_b64 s[8:9], s[0:1]
	s_cbranch_execz .LBB560_24
; %bb.23:
	s_load_dwordx2 s[0:1], s[4:5], 0x10
	s_mul_hi_i32 s23, s24, s6
	s_mul_i32 s22, s24, s6
	s_lshl_b64 s[22:23], s[22:23], 1
	s_mov_b32 s31, 0x20000
	s_waitcnt lgkmcnt(0)
	s_add_u32 s28, s0, s22
	s_addc_u32 s0, s1, s23
	s_and_b32 s29, s0, 0xffff
	s_mov_b32 s0, 0x7060302
	v_perm_b32 v2, v3, v2, s0
	v_perm_b32 v3, v5, v4, s0
	v_perm_b32 v4, v7, v6, s0
	v_perm_b32 v5, v9, v8, s0
	v_lshlrev_b32_e32 v6, 4, v0
	buffer_store_dwordx4 v[2:5], v6, s[28:31], 0 offen
	;;#ASMSTART
	s_nop 0
	;;#ASMEND
.LBB560_24:
	s_or_b64 exec, exec, s[8:9]
	s_cmp_lt_i32 s16, 1
	s_cbranch_scc1 .LBB560_17
.LBB560_25:
	s_load_dword s0, s[4:5], 0x94
	s_waitcnt lgkmcnt(0)
	s_cmp_lg_u32 s0, 1
	s_cbranch_scc1 .LBB560_17
; %bb.26:
	s_lshl_b32 s0, s16, 1
	s_add_i32 s0, s0, 2
	v_cmp_gt_u32_e32 vcc, s16, v1
	s_and_b32 s22, s0, -4
	v_mov_b32_e32 v6, 0
	v_lshlrev_b32_e32 v1, 4, v0
	v_mov_b32_e32 v7, 0
	v_mov_b32_e32 v8, 0
	;; [unrolled: 1-line block ×7, first 2 shown]
	s_barrier
	s_and_saveexec_b64 s[0:1], vcc
	s_cbranch_execz .LBB560_28
; %bb.27:
	s_mul_hi_i32 s5, s18, s6
	s_mul_i32 s4, s18, s6
	s_and_b32 s21, s21, 0xffff
	s_lshl_b64 s[4:5], s[4:5], 1
	s_add_u32 s8, s10, s4
	s_mov_b32 s23, 0x20000
	s_addc_u32 s4, s11, s5
	s_and_b32 s9, s4, 0xffff
	s_mov_b32 s10, s22
	s_mov_b32 s11, s23
	buffer_load_dwordx4 v[6:9], v1, s[8:11], 0 offen glc slc
	buffer_load_dwordx4 v[2:5], v1, s[20:23], 0 offen
.LBB560_28:
	s_or_b64 exec, exec, s[0:1]
	s_waitcnt vmcnt(0)
	v_cvt_f32_u32_sdwa v13, v6 dst_sel:DWORD dst_unused:UNUSED_PAD src0_sel:WORD_1
	v_cvt_f32_u32_sdwa v12, v6 dst_sel:DWORD dst_unused:UNUSED_PAD src0_sel:WORD_0
	v_cvt_f32_u32_sdwa v6, v9 dst_sel:DWORD dst_unused:UNUSED_PAD src0_sel:WORD_1
	v_cvt_f32_u32_sdwa v9, v9 dst_sel:DWORD dst_unused:UNUSED_PAD src0_sel:WORD_0
	;; [unrolled: 2-line block ×4, first 2 shown]
	v_cndmask_b32_e32 v13, 0, v13, vcc
	v_cndmask_b32_e32 v7, 0, v6, vcc
	;; [unrolled: 1-line block ×5, first 2 shown]
	v_mul_f32_e32 v15, v13, v13
	v_cndmask_b32_e32 v10, 0, v10, vcc
	v_fmac_f32_e32 v15, v12, v12
	v_cndmask_b32_e32 v11, 0, v11, vcc
	v_fmac_f32_e32 v15, v10, v10
	;; [unrolled: 2-line block ×3, first 2 shown]
	v_fmac_f32_e32 v15, v8, v8
	v_fmac_f32_e32 v15, v9, v9
	;; [unrolled: 1-line block ×4, first 2 shown]
	s_nop 1
	v_mov_b32_dpp v16, v15 quad_perm:[1,0,3,2] row_mask:0xf bank_mask:0xf
	v_add_f32_e32 v15, v15, v16
	s_nop 1
	v_mov_b32_dpp v16, v15 quad_perm:[2,3,0,1] row_mask:0xf bank_mask:0xf
	v_add_f32_e32 v15, v15, v16
	s_nop 1
	v_mov_b32_dpp v16, v15 row_half_mirror row_mask:0xf bank_mask:0xf
	v_add_f32_e32 v15, v15, v16
	s_nop 1
	v_mov_b32_dpp v16, v15 row_mirror row_mask:0xf bank_mask:0xf
	v_add_f32_e32 v15, v15, v16
	s_nop 1
	v_mov_b32_dpp v16, v15 row_bcast:15 row_mask:0xf bank_mask:0xf
	v_add_f32_e32 v15, v15, v16
	s_nop 1
	v_mov_b32_dpp v16, v15 row_bcast:31 row_mask:0xf bank_mask:0xf
	s_and_saveexec_b64 s[0:1], s[2:3]
	s_cbranch_execz .LBB560_30
; %bb.29:
	v_lshrrev_b32_e32 v0, 4, v0
	v_add_f32_e32 v15, v15, v16
	v_and_b32_e32 v0, 60, v0
	ds_write_b32 v0, v15
.LBB560_30:
	s_or_b64 exec, exec, s[0:1]
	s_waitcnt lgkmcnt(0)
	s_barrier
	ds_read_b32 v0, v14
	s_waitcnt lgkmcnt(0)
	s_nop 0
	v_mov_b32_dpp v14, v0 quad_perm:[1,0,3,2] row_mask:0xf bank_mask:0xf
	v_add_f32_e32 v0, v0, v14
	s_nop 1
	v_mov_b32_dpp v14, v0 quad_perm:[2,3,0,1] row_mask:0xf bank_mask:0xf
	s_and_saveexec_b64 s[0:1], vcc
	s_cbranch_execz .LBB560_17
; %bb.31:
	v_cvt_f32_u32_e32 v15, s16
	v_add_f32_e32 v0, v0, v14
	s_mov_b32 s23, 0x20000
	v_div_scale_f32 v14, s[0:1], v15, v15, v0
	v_rcp_f32_e32 v16, v14
	v_div_scale_f32 v17, vcc, v0, v15, v0
	s_mov_b32 s0, 0x800000
	v_fma_f32 v18, -v14, v16, 1.0
	v_fmac_f32_e32 v16, v18, v16
	v_mul_f32_e32 v18, v17, v16
	v_fma_f32 v19, -v14, v18, v17
	v_fmac_f32_e32 v18, v19, v16
	v_fma_f32 v14, -v14, v18, v17
	v_div_fmas_f32 v14, v14, v16, v18
	v_div_fixup_f32 v0, v14, v15, v0
	v_add_f32_e32 v0, s13, v0
	v_mul_f32_e32 v14, 0x4b800000, v0
	v_cmp_gt_f32_e32 vcc, s0, v0
	v_cndmask_b32_e32 v0, v0, v14, vcc
	v_rsq_f32_e32 v0, v0
	s_mul_hi_i32 s1, s25, s6
	s_mul_i32 s0, s25, s6
	s_lshl_b64 s[0:1], s[0:1], 1
	v_mul_f32_e32 v14, 0x45800000, v0
	v_cndmask_b32_e32 v14, v0, v14, vcc
	s_add_u32 s20, s14, s0
	v_mov_b32_e32 v15, v14
	s_addc_u32 s0, s15, s1
	;;#ASMSTART
	v_pk_mul_f32 v[12:13], v[12:13], v[14:15]
	;;#ASMEND
	;;#ASMSTART
	v_pk_mul_f32 v[10:11], v[10:11], v[14:15]
	;;#ASMEND
	;; [unrolled: 3-line block ×4, first 2 shown]
	v_cvt_f32_u32_sdwa v15, v2 dst_sel:DWORD dst_unused:UNUSED_PAD src0_sel:WORD_1
	v_cvt_f32_u32_sdwa v14, v2 dst_sel:DWORD dst_unused:UNUSED_PAD src0_sel:WORD_0
	v_cvt_f32_u32_sdwa v17, v3 dst_sel:DWORD dst_unused:UNUSED_PAD src0_sel:WORD_1
	v_cvt_f32_u32_sdwa v16, v3 dst_sel:DWORD dst_unused:UNUSED_PAD src0_sel:WORD_0
	;; [unrolled: 2-line block ×4, first 2 shown]
	;;#ASMSTART
	v_pk_mul_f32 v[4:5], v[12:13], v[14:15]
	;;#ASMEND
	s_and_b32 s21, s0, 0xffff
	s_mov_b32 s0, 0x7060302
	;;#ASMSTART
	v_pk_mul_f32 v[10:11], v[10:11], v[16:17]
	;;#ASMEND
	;;#ASMSTART
	v_pk_mul_f32 v[8:9], v[8:9], v[2:3]
	;;#ASMEND
	;; [unrolled: 3-line block ×3, first 2 shown]
	v_perm_b32 v2, v5, v4, s0
	v_perm_b32 v3, v11, v10, s0
	;; [unrolled: 1-line block ×4, first 2 shown]
	buffer_store_dwordx4 v[2:5], v1, s[20:23], 0 offen
	;;#ASMSTART
	s_nop 0
	;;#ASMEND
	s_endpgm
	.section	.rodata,"a",@progbits
	.p2align	6, 0x0
	.amdhsa_kernel _ZN5aiter35fused_qk_rmsnorm_group_quant_kernelItN4opus5fp4_tELi256ELi8ELi4ELb1ELb1ELb0ELb1ELb0ELb0EEEvPT0_PvPT_S7_S7_PKS6_S9_S9_S9_S9_ffiiiiiiiiiiiii
		.amdhsa_group_segment_fixed_size 32
		.amdhsa_private_segment_fixed_size 0
		.amdhsa_kernarg_size 400
		.amdhsa_user_sgpr_count 6
		.amdhsa_user_sgpr_private_segment_buffer 1
		.amdhsa_user_sgpr_dispatch_ptr 0
		.amdhsa_user_sgpr_queue_ptr 0
		.amdhsa_user_sgpr_kernarg_segment_ptr 1
		.amdhsa_user_sgpr_dispatch_id 0
		.amdhsa_user_sgpr_flat_scratch_init 0
		.amdhsa_user_sgpr_kernarg_preload_length 0
		.amdhsa_user_sgpr_kernarg_preload_offset 0
		.amdhsa_user_sgpr_private_segment_size 0
		.amdhsa_uses_dynamic_stack 0
		.amdhsa_system_sgpr_private_segment_wavefront_offset 0
		.amdhsa_system_sgpr_workgroup_id_x 1
		.amdhsa_system_sgpr_workgroup_id_y 1
		.amdhsa_system_sgpr_workgroup_id_z 0
		.amdhsa_system_sgpr_workgroup_info 0
		.amdhsa_system_vgpr_workitem_id 0
		.amdhsa_next_free_vgpr 27
		.amdhsa_next_free_sgpr 44
		.amdhsa_accum_offset 28
		.amdhsa_reserve_vcc 1
		.amdhsa_reserve_flat_scratch 0
		.amdhsa_float_round_mode_32 0
		.amdhsa_float_round_mode_16_64 0
		.amdhsa_float_denorm_mode_32 3
		.amdhsa_float_denorm_mode_16_64 3
		.amdhsa_dx10_clamp 1
		.amdhsa_ieee_mode 1
		.amdhsa_fp16_overflow 0
		.amdhsa_tg_split 0
		.amdhsa_exception_fp_ieee_invalid_op 0
		.amdhsa_exception_fp_denorm_src 0
		.amdhsa_exception_fp_ieee_div_zero 0
		.amdhsa_exception_fp_ieee_overflow 0
		.amdhsa_exception_fp_ieee_underflow 0
		.amdhsa_exception_fp_ieee_inexact 0
		.amdhsa_exception_int_div_zero 0
	.end_amdhsa_kernel
	.section	.text._ZN5aiter35fused_qk_rmsnorm_group_quant_kernelItN4opus5fp4_tELi256ELi8ELi4ELb1ELb1ELb0ELb1ELb0ELb0EEEvPT0_PvPT_S7_S7_PKS6_S9_S9_S9_S9_ffiiiiiiiiiiiii,"axG",@progbits,_ZN5aiter35fused_qk_rmsnorm_group_quant_kernelItN4opus5fp4_tELi256ELi8ELi4ELb1ELb1ELb0ELb1ELb0ELb0EEEvPT0_PvPT_S7_S7_PKS6_S9_S9_S9_S9_ffiiiiiiiiiiiii,comdat
.Lfunc_end560:
	.size	_ZN5aiter35fused_qk_rmsnorm_group_quant_kernelItN4opus5fp4_tELi256ELi8ELi4ELb1ELb1ELb0ELb1ELb0ELb0EEEvPT0_PvPT_S7_S7_PKS6_S9_S9_S9_S9_ffiiiiiiiiiiiii, .Lfunc_end560-_ZN5aiter35fused_qk_rmsnorm_group_quant_kernelItN4opus5fp4_tELi256ELi8ELi4ELb1ELb1ELb0ELb1ELb0ELb0EEEvPT0_PvPT_S7_S7_PKS6_S9_S9_S9_S9_ffiiiiiiiiiiiii
                                        ; -- End function
	.section	.AMDGPU.csdata,"",@progbits
; Kernel info:
; codeLenInByte = 2452
; NumSgprs: 48
; NumVgprs: 27
; NumAgprs: 0
; TotalNumVgprs: 27
; ScratchSize: 0
; MemoryBound: 0
; FloatMode: 240
; IeeeMode: 1
; LDSByteSize: 32 bytes/workgroup (compile time only)
; SGPRBlocks: 5
; VGPRBlocks: 3
; NumSGPRsForWavesPerEU: 48
; NumVGPRsForWavesPerEU: 27
; AccumOffset: 28
; Occupancy: 8
; WaveLimiterHint : 0
; COMPUTE_PGM_RSRC2:SCRATCH_EN: 0
; COMPUTE_PGM_RSRC2:USER_SGPR: 6
; COMPUTE_PGM_RSRC2:TRAP_HANDLER: 0
; COMPUTE_PGM_RSRC2:TGID_X_EN: 1
; COMPUTE_PGM_RSRC2:TGID_Y_EN: 1
; COMPUTE_PGM_RSRC2:TGID_Z_EN: 0
; COMPUTE_PGM_RSRC2:TIDIG_COMP_CNT: 0
; COMPUTE_PGM_RSRC3_GFX90A:ACCUM_OFFSET: 6
; COMPUTE_PGM_RSRC3_GFX90A:TG_SPLIT: 0
	.section	.text._ZN5aiter35fused_qk_rmsnorm_group_quant_kernelIDF16_DB8_Li256ELi8ELi4ELb0ELb1ELb1ELb1ELb0ELb0EEEvPT0_PvPT_S6_S6_PKS5_S8_S8_S8_S8_ffiiiiiiiiiiiii,"axG",@progbits,_ZN5aiter35fused_qk_rmsnorm_group_quant_kernelIDF16_DB8_Li256ELi8ELi4ELb0ELb1ELb1ELb1ELb0ELb0EEEvPT0_PvPT_S6_S6_PKS5_S8_S8_S8_S8_ffiiiiiiiiiiiii,comdat
	.protected	_ZN5aiter35fused_qk_rmsnorm_group_quant_kernelIDF16_DB8_Li256ELi8ELi4ELb0ELb1ELb1ELb1ELb0ELb0EEEvPT0_PvPT_S6_S6_PKS5_S8_S8_S8_S8_ffiiiiiiiiiiiii ; -- Begin function _ZN5aiter35fused_qk_rmsnorm_group_quant_kernelIDF16_DB8_Li256ELi8ELi4ELb0ELb1ELb1ELb1ELb0ELb0EEEvPT0_PvPT_S6_S6_PKS5_S8_S8_S8_S8_ffiiiiiiiiiiiii
	.globl	_ZN5aiter35fused_qk_rmsnorm_group_quant_kernelIDF16_DB8_Li256ELi8ELi4ELb0ELb1ELb1ELb1ELb0ELb0EEEvPT0_PvPT_S6_S6_PKS5_S8_S8_S8_S8_ffiiiiiiiiiiiii
	.p2align	8
	.type	_ZN5aiter35fused_qk_rmsnorm_group_quant_kernelIDF16_DB8_Li256ELi8ELi4ELb0ELb1ELb1ELb1ELb0ELb0EEEvPT0_PvPT_S6_S6_PKS5_S8_S8_S8_S8_ffiiiiiiiiiiiii,@function
_ZN5aiter35fused_qk_rmsnorm_group_quant_kernelIDF16_DB8_Li256ELi8ELi4ELb0ELb1ELb1ELb1ELb0ELb0EEEvPT0_PvPT_S6_S6_PKS5_S8_S8_S8_S8_ffiiiiiiiiiiiii: ; @_ZN5aiter35fused_qk_rmsnorm_group_quant_kernelIDF16_DB8_Li256ELi8ELi4ELb0ELb1ELb1ELb1ELb0ELb0EEEvPT0_PvPT_S6_S6_PKS5_S8_S8_S8_S8_ffiiiiiiiiiiiii
; %bb.0:
	s_load_dwordx4 s[12:15], s[4:5], 0x50
	s_waitcnt lgkmcnt(0)
	s_cmp_ge_i32 s6, s14
	s_cbranch_scc1 .LBB561_12
; %bb.1:
	s_load_dwordx2 s[24:25], s[4:5], 0x30
	s_load_dwordx2 s[8:9], s[4:5], 0x48
	s_load_dwordx4 s[16:19], s[4:5], 0x60
	s_cmp_lg_u32 s7, 0
	s_cselect_b64 s[10:11], -1, 0
	s_cmp_eq_u32 s7, 0
	s_cselect_b64 vcc, -1, 0
	s_and_b64 s[0:1], vcc, exec
	s_waitcnt lgkmcnt(0)
	s_cselect_b32 s7, s15, s16
	s_add_i32 s0, s7, 1
	s_lshr_b32 s1, s0, 31
	s_add_i32 s0, s0, s1
	s_lshl_b32 s0, s0, 1
	v_lshlrev_b32_e32 v1, 3, v0
	s_and_b32 s22, s0, -4
	v_cmp_gt_i32_e64 s[2:3], s7, v1
	v_mov_b32_e32 v10, 0
	v_mov_b32_e32 v2, 0
	v_mov_b32_e32 v3, 0
	v_mov_b32_e32 v4, 0
	v_mov_b32_e32 v5, 0
	v_mov_b32_e32 v6, 0
	v_mov_b32_e32 v7, 0
	v_mov_b32_e32 v8, 0
	v_mov_b32_e32 v9, 0
	s_and_saveexec_b64 s[0:1], s[2:3]
	s_cbranch_execz .LBB561_3
; %bb.2:
	s_load_dwordx2 s[14:15], s[4:5], 0x28
	s_load_dwordx2 s[20:21], s[4:5], 0x40
	s_and_b64 s[26:27], vcc, exec
	s_cselect_b32 s17, s17, s18
	v_lshlrev_b32_e32 v11, 4, v0
	s_waitcnt lgkmcnt(0)
	s_cselect_b32 s19, s15, s25
	s_cselect_b32 s23, s14, s24
	s_mul_hi_i32 s15, s17, s6
	s_mul_i32 s14, s17, s6
	s_lshl_b64 s[14:15], s[14:15], 1
	s_add_u32 s28, s23, s14
	s_addc_u32 s17, s19, s15
	s_and_b64 s[14:15], vcc, exec
	s_mov_b32 s23, 0x20000
	s_cselect_b32 s20, s20, s8
	s_cselect_b32 s14, s21, s9
	s_and_b32 s29, s17, 0xffff
	s_mov_b32 s30, s22
	s_mov_b32 s31, s23
	s_and_b32 s21, s14, 0xffff
	buffer_load_dwordx4 v[6:9], v11, s[28:31], 0 offen glc slc
	buffer_load_dwordx4 v[2:5], v11, s[20:23], 0 offen
.LBB561_3:
	s_or_b64 exec, exec, s[0:1]
	v_mov_b32_e32 v11, 0
	v_mov_b32_e32 v14, 0
	v_mov_b32_e32 v15, 0
	v_mov_b32_e32 v16, 0
	v_mov_b32_e32 v17, 0
	v_mov_b32_e32 v12, 0
	v_mov_b32_e32 v13, 0
	s_and_saveexec_b64 s[0:1], s[2:3]
	s_cbranch_execz .LBB561_5
; %bb.4:
	s_waitcnt vmcnt(1)
	v_cvt_f32_f16_sdwa v11, v6 dst_sel:DWORD dst_unused:UNUSED_PAD src0_sel:WORD_1
	v_cvt_f32_f16_e32 v10, v6
	v_cvt_f32_f16_sdwa v15, v7 dst_sel:DWORD dst_unused:UNUSED_PAD src0_sel:WORD_1
	v_cvt_f32_f16_e32 v14, v7
	;; [unrolled: 2-line block ×4, first 2 shown]
.LBB561_5:
	s_or_b64 exec, exec, s[0:1]
	s_waitcnt vmcnt(1)
	v_mul_f32_e32 v6, v11, v11
	v_fmac_f32_e32 v6, v10, v10
	v_fmac_f32_e32 v6, v14, v14
	;; [unrolled: 1-line block ×7, first 2 shown]
	v_and_b32_e32 v8, 63, v0
	v_cmp_eq_u32_e64 s[0:1], 63, v8
	v_mov_b32_dpp v7, v6 quad_perm:[1,0,3,2] row_mask:0xf bank_mask:0xf
	v_add_f32_e32 v6, v6, v7
	s_nop 1
	v_mov_b32_dpp v7, v6 quad_perm:[2,3,0,1] row_mask:0xf bank_mask:0xf
	v_add_f32_e32 v6, v6, v7
	s_nop 1
	v_mov_b32_dpp v7, v6 row_half_mirror row_mask:0xf bank_mask:0xf
	v_add_f32_e32 v6, v6, v7
	s_nop 1
	v_mov_b32_dpp v7, v6 row_mirror row_mask:0xf bank_mask:0xf
	v_add_f32_e32 v6, v6, v7
	s_nop 1
	v_mov_b32_dpp v7, v6 row_bcast:15 row_mask:0xf bank_mask:0xf
	v_add_f32_e32 v6, v6, v7
	s_nop 1
	v_mov_b32_dpp v7, v6 row_bcast:31 row_mask:0xf bank_mask:0xf
	s_and_saveexec_b64 s[14:15], s[0:1]
	s_cbranch_execz .LBB561_7
; %bb.6:
	v_add_f32_e32 v6, v6, v7
	v_lshrrev_b32_e32 v7, 4, v0
	v_and_b32_e32 v7, 60, v7
	ds_write_b32 v7, v6 offset:16
.LBB561_7:
	s_or_b64 exec, exec, s[14:15]
	v_and_b32_e32 v6, 3, v0
	v_lshlrev_b32_e32 v18, 2, v6
	s_waitcnt lgkmcnt(0)
	s_barrier
	ds_read_b32 v6, v18 offset:16
	s_load_dwordx2 s[14:15], s[4:5], 0x18
	s_waitcnt lgkmcnt(0)
	v_mov_b32_dpp v7, v6 quad_perm:[1,0,3,2] row_mask:0xf bank_mask:0xf
	v_add_f32_e32 v6, v6, v7
	s_nop 1
	v_mov_b32_dpp v7, v6 quad_perm:[2,3,0,1] row_mask:0xf bank_mask:0xf
	s_and_saveexec_b64 s[20:21], s[2:3]
	s_cbranch_execz .LBB561_9
; %bb.8:
	v_cvt_f32_u32_e32 v8, s7
	v_add_f32_e32 v6, v6, v7
	v_mov_b32_e32 v19, s13
	v_mov_b32_e32 v20, s12
	v_div_scale_f32 v7, s[26:27], v8, v8, v6
	v_rcp_f32_e32 v9, v7
	v_cndmask_b32_e32 v19, v19, v20, vcc
	s_mov_b32 s7, 0x800000
	v_fma_f32 v20, -v7, v9, 1.0
	v_fmac_f32_e32 v9, v20, v9
	v_div_scale_f32 v20, vcc, v6, v8, v6
	v_mul_f32_e32 v21, v20, v9
	v_fma_f32 v22, -v7, v21, v20
	v_fmac_f32_e32 v21, v22, v9
	v_fma_f32 v7, -v7, v21, v20
	v_div_fmas_f32 v7, v7, v9, v21
	v_div_fixup_f32 v6, v7, v8, v6
	v_add_f32_e32 v6, v19, v6
	v_mul_f32_e32 v7, 0x4b800000, v6
	v_cmp_gt_f32_e32 vcc, s7, v6
	v_cndmask_b32_e32 v6, v6, v7, vcc
	v_rsq_f32_e32 v6, v6
	s_waitcnt vmcnt(0)
	v_cvt_f32_f16_sdwa v21, v3 dst_sel:DWORD dst_unused:UNUSED_PAD src0_sel:WORD_1
	v_cvt_f32_f16_e32 v20, v3
	v_mul_f32_e32 v7, 0x45800000, v6
	v_cndmask_b32_e32 v6, v6, v7, vcc
	v_mov_b32_e32 v7, v6
	;;#ASMSTART
	v_pk_mul_f32 v[8:9], v[10:11], v[6:7]
	;;#ASMEND
	v_cvt_f32_f16_sdwa v11, v2 dst_sel:DWORD dst_unused:UNUSED_PAD src0_sel:WORD_1
	v_cvt_f32_f16_e32 v10, v2
	;;#ASMSTART
	v_pk_mul_f32 v[14:15], v[14:15], v[6:7]
	;;#ASMEND
	;;#ASMSTART
	v_pk_mul_f32 v[16:17], v[16:17], v[6:7]
	;;#ASMEND
	;; [unrolled: 3-line block ×3, first 2 shown]
	v_pk_add_f32 v[6:7], v[10:11], 1.0 op_sel_hi:[1,0]
	;;#ASMSTART
	v_pk_mul_f32 v[10:11], v[8:9], v[6:7]
	;;#ASMEND
	v_cvt_f32_f16_sdwa v9, v4 dst_sel:DWORD dst_unused:UNUSED_PAD src0_sel:WORD_1
	v_cvt_f32_f16_e32 v8, v4
	v_cvt_f32_f16_sdwa v13, v5 dst_sel:DWORD dst_unused:UNUSED_PAD src0_sel:WORD_1
	v_cvt_f32_f16_e32 v12, v5
	v_pk_add_f32 v[6:7], v[20:21], 1.0 op_sel_hi:[1,0]
	v_pk_add_f32 v[4:5], v[8:9], 1.0 op_sel_hi:[1,0]
	;;#ASMSTART
	v_pk_mul_f32 v[14:15], v[14:15], v[6:7]
	;;#ASMEND
	;;#ASMSTART
	v_pk_mul_f32 v[16:17], v[16:17], v[4:5]
	;;#ASMEND
	v_pk_add_f32 v[4:5], v[12:13], 1.0 op_sel_hi:[1,0]
	;;#ASMSTART
	v_pk_mul_f32 v[12:13], v[2:3], v[4:5]
	;;#ASMEND
.LBB561_9:
	s_or_b64 exec, exec, s[20:21]
	s_load_dwordx2 s[26:27], s[4:5], 0x7c
	s_mov_b64 s[20:21], -1
	s_and_b64 vcc, exec, s[10:11]
	s_cbranch_vccnz .LBB561_13
; %bb.10:
	s_andn2_b64 vcc, exec, s[20:21]
	s_cbranch_vccz .LBB561_16
.LBB561_11:
	s_cmp_lt_i32 s16, 1
	s_cbranch_scc0 .LBB561_19
.LBB561_12:
	s_endpgm
.LBB561_13:
	s_and_saveexec_b64 s[10:11], s[2:3]
	s_cbranch_execz .LBB561_15
; %bb.14:
	s_waitcnt lgkmcnt(0)
	s_mul_hi_i32 s21, s27, s6
	s_mul_i32 s20, s27, s6
	s_waitcnt vmcnt(0)
	v_cvt_f16_f32_e32 v2, v10
	v_cvt_f16_f32_e32 v3, v14
	;; [unrolled: 1-line block ×8, first 2 shown]
	s_lshl_b64 s[20:21], s[20:21], 1
	s_add_u32 s20, s14, s20
	s_addc_u32 s7, s15, s21
	s_and_b32 s21, s7, 0xffff
	s_mov_b32 s23, 0x20000
	v_pack_b32_f16 v5, v5, v6
	v_pack_b32_f16 v4, v4, v7
	;; [unrolled: 1-line block ×4, first 2 shown]
	v_lshlrev_b32_e32 v6, 4, v0
	buffer_store_dwordx4 v[2:5], v6, s[20:23], 0 offen
	;;#ASMSTART
	s_nop 0
	;;#ASMEND
.LBB561_15:
	s_or_b64 exec, exec, s[10:11]
	s_cbranch_execnz .LBB561_11
.LBB561_16:
	s_and_saveexec_b64 s[10:11], s[2:3]
	s_cbranch_execz .LBB561_18
; %bb.17:
	s_load_dwordx2 s[2:3], s[4:5], 0x10
	s_waitcnt lgkmcnt(0)
	s_mul_hi_i32 s21, s26, s6
	s_mul_i32 s20, s26, s6
	s_waitcnt vmcnt(0)
	v_cvt_f16_f32_e32 v2, v10
	v_cvt_f16_f32_e32 v3, v14
	v_cvt_f16_f32_e32 v4, v16
	v_cvt_f16_f32_e32 v5, v12
	v_cvt_f16_f32_e32 v6, v13
	v_cvt_f16_f32_e32 v7, v17
	v_cvt_f16_f32_e32 v8, v15
	v_cvt_f16_f32_e32 v9, v11
	s_lshl_b64 s[20:21], s[20:21], 1
	s_add_u32 s20, s2, s20
	s_addc_u32 s2, s3, s21
	s_mov_b32 s23, 0x20000
	s_and_b32 s21, s2, 0xffff
	v_pack_b32_f16 v5, v5, v6
	v_pack_b32_f16 v4, v4, v7
	;; [unrolled: 1-line block ×4, first 2 shown]
	v_lshlrev_b32_e32 v6, 4, v0
	buffer_store_dwordx4 v[2:5], v6, s[20:23], 0 offen
	;;#ASMSTART
	s_nop 0
	;;#ASMEND
.LBB561_18:
	s_or_b64 exec, exec, s[10:11]
	s_cmp_lt_i32 s16, 1
	s_cbranch_scc1 .LBB561_12
.LBB561_19:
	s_load_dword s2, s[4:5], 0x94
	s_waitcnt lgkmcnt(0)
	s_cmp_lg_u32 s2, 1
	s_cbranch_scc1 .LBB561_12
; %bb.20:
	s_lshl_b32 s2, s16, 1
	s_add_i32 s2, s2, 2
	v_cmp_gt_u32_e32 vcc, s16, v1
	s_and_b32 s10, s2, -4
	v_mov_b32_e32 v10, 0
	v_lshlrev_b32_e32 v1, 4, v0
	v_mov_b32_e32 v6, 0
	v_mov_b32_e32 v7, 0
	;; [unrolled: 1-line block ×4, first 2 shown]
	s_waitcnt vmcnt(0)
	v_mov_b32_e32 v2, 0
	v_mov_b32_e32 v3, 0
	v_mov_b32_e32 v4, 0
	v_mov_b32_e32 v5, 0
	s_barrier
	s_and_saveexec_b64 s[2:3], vcc
	s_cbranch_execz .LBB561_22
; %bb.21:
	s_mul_hi_i32 s5, s18, s6
	s_mul_i32 s4, s18, s6
	s_and_b32 s9, s9, 0xffff
	s_lshl_b64 s[4:5], s[4:5], 1
	s_add_u32 s20, s24, s4
	s_mov_b32 s11, 0x20000
	s_addc_u32 s4, s25, s5
	s_and_b32 s21, s4, 0xffff
	s_mov_b32 s22, s10
	s_mov_b32 s23, s11
	buffer_load_dwordx4 v[6:9], v1, s[20:23], 0 offen glc slc
	buffer_load_dwordx4 v[2:5], v1, s[8:11], 0 offen
.LBB561_22:
	s_or_b64 exec, exec, s[2:3]
	v_mov_b32_e32 v11, 0
	v_mov_b32_e32 v16, 0
	v_mov_b32_e32 v17, 0
	v_mov_b32_e32 v14, 0
	v_mov_b32_e32 v15, 0
	v_mov_b32_e32 v12, 0
	v_mov_b32_e32 v13, 0
	s_and_saveexec_b64 s[2:3], vcc
	s_cbranch_execz .LBB561_24
; %bb.23:
	s_waitcnt vmcnt(1)
	v_cvt_f32_f16_sdwa v11, v6 dst_sel:DWORD dst_unused:UNUSED_PAD src0_sel:WORD_1
	v_cvt_f32_f16_e32 v10, v6
	v_cvt_f32_f16_sdwa v17, v7 dst_sel:DWORD dst_unused:UNUSED_PAD src0_sel:WORD_1
	v_cvt_f32_f16_e32 v16, v7
	;; [unrolled: 2-line block ×4, first 2 shown]
.LBB561_24:
	s_or_b64 exec, exec, s[2:3]
	s_waitcnt vmcnt(1)
	v_mul_f32_e32 v6, v11, v11
	v_fmac_f32_e32 v6, v10, v10
	v_fmac_f32_e32 v6, v16, v16
	;; [unrolled: 1-line block ×7, first 2 shown]
	s_nop 1
	v_mov_b32_dpp v7, v6 quad_perm:[1,0,3,2] row_mask:0xf bank_mask:0xf
	v_add_f32_e32 v6, v6, v7
	s_nop 1
	v_mov_b32_dpp v7, v6 quad_perm:[2,3,0,1] row_mask:0xf bank_mask:0xf
	v_add_f32_e32 v6, v6, v7
	s_nop 1
	v_mov_b32_dpp v7, v6 row_half_mirror row_mask:0xf bank_mask:0xf
	v_add_f32_e32 v6, v6, v7
	s_nop 1
	v_mov_b32_dpp v7, v6 row_mirror row_mask:0xf bank_mask:0xf
	v_add_f32_e32 v6, v6, v7
	s_nop 1
	v_mov_b32_dpp v7, v6 row_bcast:15 row_mask:0xf bank_mask:0xf
	v_add_f32_e32 v6, v6, v7
	s_nop 1
	v_mov_b32_dpp v7, v6 row_bcast:31 row_mask:0xf bank_mask:0xf
	s_and_saveexec_b64 s[2:3], s[0:1]
	s_cbranch_execz .LBB561_26
; %bb.25:
	v_lshrrev_b32_e32 v0, 4, v0
	v_add_f32_e32 v6, v6, v7
	v_and_b32_e32 v0, 60, v0
	ds_write_b32 v0, v6
.LBB561_26:
	s_or_b64 exec, exec, s[2:3]
	s_waitcnt lgkmcnt(0)
	s_barrier
	ds_read_b32 v0, v18
	s_waitcnt lgkmcnt(0)
	s_nop 0
	v_mov_b32_dpp v6, v0 quad_perm:[1,0,3,2] row_mask:0xf bank_mask:0xf
	v_add_f32_e32 v0, v0, v6
	s_nop 1
	v_mov_b32_dpp v6, v0 quad_perm:[2,3,0,1] row_mask:0xf bank_mask:0xf
	s_and_saveexec_b64 s[0:1], vcc
	s_cbranch_execz .LBB561_12
; %bb.27:
	v_cvt_f32_u32_e32 v7, s16
	v_add_f32_e32 v0, v0, v6
	s_mov_b32 s11, 0x20000
	v_div_scale_f32 v6, s[0:1], v7, v7, v0
	v_rcp_f32_e32 v8, v6
	v_div_scale_f32 v9, vcc, v0, v7, v0
	s_mov_b32 s0, 0x800000
	v_fma_f32 v18, -v6, v8, 1.0
	v_fmac_f32_e32 v8, v18, v8
	v_mul_f32_e32 v18, v9, v8
	v_fma_f32 v19, -v6, v18, v9
	v_fmac_f32_e32 v18, v19, v8
	v_fma_f32 v6, -v6, v18, v9
	v_div_fmas_f32 v6, v6, v8, v18
	v_div_fixup_f32 v0, v6, v7, v0
	v_add_f32_e32 v0, s13, v0
	v_mul_f32_e32 v6, 0x4b800000, v0
	v_cmp_gt_f32_e32 vcc, s0, v0
	v_cndmask_b32_e32 v0, v0, v6, vcc
	v_rsq_f32_e32 v0, v0
	s_waitcnt vmcnt(0)
	v_cvt_f32_f16_sdwa v19, v3 dst_sel:DWORD dst_unused:UNUSED_PAD src0_sel:WORD_1
	v_cvt_f32_f16_e32 v18, v3
	s_mul_hi_i32 s1, s27, s6
	v_mul_f32_e32 v6, 0x45800000, v0
	v_cndmask_b32_e32 v6, v0, v6, vcc
	v_mov_b32_e32 v7, v6
	;;#ASMSTART
	v_pk_mul_f32 v[8:9], v[10:11], v[6:7]
	;;#ASMEND
	;;#ASMSTART
	v_pk_mul_f32 v[10:11], v[16:17], v[6:7]
	;;#ASMEND
	v_cvt_f32_f16_sdwa v17, v2 dst_sel:DWORD dst_unused:UNUSED_PAD src0_sel:WORD_1
	v_cvt_f32_f16_e32 v16, v2
	;;#ASMSTART
	v_pk_mul_f32 v[14:15], v[14:15], v[6:7]
	;;#ASMEND
	;;#ASMSTART
	v_pk_mul_f32 v[2:3], v[12:13], v[6:7]
	;;#ASMEND
	v_cvt_f32_f16_sdwa v13, v4 dst_sel:DWORD dst_unused:UNUSED_PAD src0_sel:WORD_1
	v_cvt_f32_f16_e32 v12, v4
	v_pk_add_f32 v[6:7], v[16:17], 1.0 op_sel_hi:[1,0]
	v_cvt_f32_f16_sdwa v17, v5 dst_sel:DWORD dst_unused:UNUSED_PAD src0_sel:WORD_1
	v_cvt_f32_f16_e32 v16, v5
	;;#ASMSTART
	v_pk_mul_f32 v[6:7], v[8:9], v[6:7]
	;;#ASMEND
	v_pk_add_f32 v[8:9], v[18:19], 1.0 op_sel_hi:[1,0]
	;;#ASMSTART
	v_pk_mul_f32 v[4:5], v[10:11], v[8:9]
	;;#ASMEND
	v_pk_add_f32 v[8:9], v[12:13], 1.0 op_sel_hi:[1,0]
	;; [unrolled: 4-line block ×3, first 2 shown]
	;;#ASMSTART
	v_pk_mul_f32 v[2:3], v[2:3], v[10:11]
	;;#ASMEND
	s_mul_i32 s0, s27, s6
	v_cvt_f16_f32_e32 v0, v6
	v_cvt_f16_f32_e32 v6, v7
	;; [unrolled: 1-line block ×8, first 2 shown]
	s_lshl_b64 s[0:1], s[0:1], 1
	s_add_u32 s8, s14, s0
	s_addc_u32 s0, s15, s1
	s_and_b32 s9, s0, 0xffff
	v_pack_b32_f16 v2, v0, v6
	v_pack_b32_f16 v3, v4, v5
	;; [unrolled: 1-line block ×4, first 2 shown]
	buffer_store_dwordx4 v[2:5], v1, s[8:11], 0 offen
	;;#ASMSTART
	s_nop 0
	;;#ASMEND
	s_endpgm
	.section	.rodata,"a",@progbits
	.p2align	6, 0x0
	.amdhsa_kernel _ZN5aiter35fused_qk_rmsnorm_group_quant_kernelIDF16_DB8_Li256ELi8ELi4ELb0ELb1ELb1ELb1ELb0ELb0EEEvPT0_PvPT_S6_S6_PKS5_S8_S8_S8_S8_ffiiiiiiiiiiiii
		.amdhsa_group_segment_fixed_size 32
		.amdhsa_private_segment_fixed_size 0
		.amdhsa_kernarg_size 400
		.amdhsa_user_sgpr_count 6
		.amdhsa_user_sgpr_private_segment_buffer 1
		.amdhsa_user_sgpr_dispatch_ptr 0
		.amdhsa_user_sgpr_queue_ptr 0
		.amdhsa_user_sgpr_kernarg_segment_ptr 1
		.amdhsa_user_sgpr_dispatch_id 0
		.amdhsa_user_sgpr_flat_scratch_init 0
		.amdhsa_user_sgpr_kernarg_preload_length 0
		.amdhsa_user_sgpr_kernarg_preload_offset 0
		.amdhsa_user_sgpr_private_segment_size 0
		.amdhsa_uses_dynamic_stack 0
		.amdhsa_system_sgpr_private_segment_wavefront_offset 0
		.amdhsa_system_sgpr_workgroup_id_x 1
		.amdhsa_system_sgpr_workgroup_id_y 1
		.amdhsa_system_sgpr_workgroup_id_z 0
		.amdhsa_system_sgpr_workgroup_info 0
		.amdhsa_system_vgpr_workitem_id 0
		.amdhsa_next_free_vgpr 23
		.amdhsa_next_free_sgpr 32
		.amdhsa_accum_offset 24
		.amdhsa_reserve_vcc 1
		.amdhsa_reserve_flat_scratch 0
		.amdhsa_float_round_mode_32 0
		.amdhsa_float_round_mode_16_64 0
		.amdhsa_float_denorm_mode_32 3
		.amdhsa_float_denorm_mode_16_64 3
		.amdhsa_dx10_clamp 1
		.amdhsa_ieee_mode 1
		.amdhsa_fp16_overflow 0
		.amdhsa_tg_split 0
		.amdhsa_exception_fp_ieee_invalid_op 0
		.amdhsa_exception_fp_denorm_src 0
		.amdhsa_exception_fp_ieee_div_zero 0
		.amdhsa_exception_fp_ieee_overflow 0
		.amdhsa_exception_fp_ieee_underflow 0
		.amdhsa_exception_fp_ieee_inexact 0
		.amdhsa_exception_int_div_zero 0
	.end_amdhsa_kernel
	.section	.text._ZN5aiter35fused_qk_rmsnorm_group_quant_kernelIDF16_DB8_Li256ELi8ELi4ELb0ELb1ELb1ELb1ELb0ELb0EEEvPT0_PvPT_S6_S6_PKS5_S8_S8_S8_S8_ffiiiiiiiiiiiii,"axG",@progbits,_ZN5aiter35fused_qk_rmsnorm_group_quant_kernelIDF16_DB8_Li256ELi8ELi4ELb0ELb1ELb1ELb1ELb0ELb0EEEvPT0_PvPT_S6_S6_PKS5_S8_S8_S8_S8_ffiiiiiiiiiiiii,comdat
.Lfunc_end561:
	.size	_ZN5aiter35fused_qk_rmsnorm_group_quant_kernelIDF16_DB8_Li256ELi8ELi4ELb0ELb1ELb1ELb1ELb0ELb0EEEvPT0_PvPT_S6_S6_PKS5_S8_S8_S8_S8_ffiiiiiiiiiiiii, .Lfunc_end561-_ZN5aiter35fused_qk_rmsnorm_group_quant_kernelIDF16_DB8_Li256ELi8ELi4ELb0ELb1ELb1ELb1ELb0ELb0EEEvPT0_PvPT_S6_S6_PKS5_S8_S8_S8_S8_ffiiiiiiiiiiiii
                                        ; -- End function
	.section	.AMDGPU.csdata,"",@progbits
; Kernel info:
; codeLenInByte = 2100
; NumSgprs: 36
; NumVgprs: 23
; NumAgprs: 0
; TotalNumVgprs: 23
; ScratchSize: 0
; MemoryBound: 0
; FloatMode: 240
; IeeeMode: 1
; LDSByteSize: 32 bytes/workgroup (compile time only)
; SGPRBlocks: 4
; VGPRBlocks: 2
; NumSGPRsForWavesPerEU: 36
; NumVGPRsForWavesPerEU: 23
; AccumOffset: 24
; Occupancy: 8
; WaveLimiterHint : 0
; COMPUTE_PGM_RSRC2:SCRATCH_EN: 0
; COMPUTE_PGM_RSRC2:USER_SGPR: 6
; COMPUTE_PGM_RSRC2:TRAP_HANDLER: 0
; COMPUTE_PGM_RSRC2:TGID_X_EN: 1
; COMPUTE_PGM_RSRC2:TGID_Y_EN: 1
; COMPUTE_PGM_RSRC2:TGID_Z_EN: 0
; COMPUTE_PGM_RSRC2:TIDIG_COMP_CNT: 0
; COMPUTE_PGM_RSRC3_GFX90A:ACCUM_OFFSET: 5
; COMPUTE_PGM_RSRC3_GFX90A:TG_SPLIT: 0
	.section	.text._ZN5aiter35fused_qk_rmsnorm_group_quant_kernelItDB8_Li256ELi8ELi4ELb0ELb1ELb1ELb1ELb0ELb0EEEvPT0_PvPT_S6_S6_PKS5_S8_S8_S8_S8_ffiiiiiiiiiiiii,"axG",@progbits,_ZN5aiter35fused_qk_rmsnorm_group_quant_kernelItDB8_Li256ELi8ELi4ELb0ELb1ELb1ELb1ELb0ELb0EEEvPT0_PvPT_S6_S6_PKS5_S8_S8_S8_S8_ffiiiiiiiiiiiii,comdat
	.protected	_ZN5aiter35fused_qk_rmsnorm_group_quant_kernelItDB8_Li256ELi8ELi4ELb0ELb1ELb1ELb1ELb0ELb0EEEvPT0_PvPT_S6_S6_PKS5_S8_S8_S8_S8_ffiiiiiiiiiiiii ; -- Begin function _ZN5aiter35fused_qk_rmsnorm_group_quant_kernelItDB8_Li256ELi8ELi4ELb0ELb1ELb1ELb1ELb0ELb0EEEvPT0_PvPT_S6_S6_PKS5_S8_S8_S8_S8_ffiiiiiiiiiiiii
	.globl	_ZN5aiter35fused_qk_rmsnorm_group_quant_kernelItDB8_Li256ELi8ELi4ELb0ELb1ELb1ELb1ELb0ELb0EEEvPT0_PvPT_S6_S6_PKS5_S8_S8_S8_S8_ffiiiiiiiiiiiii
	.p2align	8
	.type	_ZN5aiter35fused_qk_rmsnorm_group_quant_kernelItDB8_Li256ELi8ELi4ELb0ELb1ELb1ELb1ELb0ELb0EEEvPT0_PvPT_S6_S6_PKS5_S8_S8_S8_S8_ffiiiiiiiiiiiii,@function
_ZN5aiter35fused_qk_rmsnorm_group_quant_kernelItDB8_Li256ELi8ELi4ELb0ELb1ELb1ELb1ELb0ELb0EEEvPT0_PvPT_S6_S6_PKS5_S8_S8_S8_S8_ffiiiiiiiiiiiii: ; @_ZN5aiter35fused_qk_rmsnorm_group_quant_kernelItDB8_Li256ELi8ELi4ELb0ELb1ELb1ELb1ELb0ELb0EEEvPT0_PvPT_S6_S6_PKS5_S8_S8_S8_S8_ffiiiiiiiiiiiii
; %bb.0:
	s_load_dwordx4 s[12:15], s[4:5], 0x50
	s_waitcnt lgkmcnt(0)
	s_cmp_ge_i32 s6, s14
	s_cbranch_scc1 .LBB562_10
; %bb.1:
	s_load_dwordx2 s[24:25], s[4:5], 0x30
	s_load_dwordx2 s[8:9], s[4:5], 0x48
	s_load_dwordx4 s[16:19], s[4:5], 0x60
	s_cmp_lg_u32 s7, 0
	s_cselect_b64 s[10:11], -1, 0
	s_cmp_eq_u32 s7, 0
	s_cselect_b64 vcc, -1, 0
	s_and_b64 s[0:1], vcc, exec
	s_waitcnt lgkmcnt(0)
	s_cselect_b32 s7, s15, s16
	s_add_i32 s0, s7, 1
	s_lshr_b32 s1, s0, 31
	s_add_i32 s0, s0, s1
	s_lshl_b32 s0, s0, 1
	v_lshlrev_b32_e32 v1, 3, v0
	s_and_b32 s22, s0, -4
	v_cmp_gt_i32_e64 s[2:3], s7, v1
	v_mov_b32_e32 v2, 0
	v_mov_b32_e32 v3, 0
	;; [unrolled: 1-line block ×8, first 2 shown]
	s_and_saveexec_b64 s[0:1], s[2:3]
	s_cbranch_execz .LBB562_3
; %bb.2:
	s_load_dwordx2 s[14:15], s[4:5], 0x28
	s_load_dwordx2 s[20:21], s[4:5], 0x40
	s_and_b64 s[26:27], vcc, exec
	s_cselect_b32 s17, s17, s18
	v_lshlrev_b32_e32 v10, 4, v0
	s_waitcnt lgkmcnt(0)
	s_cselect_b32 s19, s15, s25
	s_cselect_b32 s23, s14, s24
	s_mul_hi_i32 s15, s17, s6
	s_mul_i32 s14, s17, s6
	s_lshl_b64 s[14:15], s[14:15], 1
	s_add_u32 s28, s23, s14
	s_addc_u32 s17, s19, s15
	s_and_b64 s[14:15], vcc, exec
	s_mov_b32 s23, 0x20000
	s_cselect_b32 s20, s20, s8
	s_cselect_b32 s14, s21, s9
	s_and_b32 s29, s17, 0xffff
	s_mov_b32 s30, s22
	s_mov_b32 s31, s23
	s_and_b32 s21, s14, 0xffff
	buffer_load_dwordx4 v[6:9], v10, s[28:31], 0 offen glc slc
	buffer_load_dwordx4 v[2:5], v10, s[20:23], 0 offen
.LBB562_3:
	s_or_b64 exec, exec, s[0:1]
	s_waitcnt vmcnt(1)
	v_cvt_f32_u32_sdwa v14, v6 dst_sel:DWORD dst_unused:UNUSED_PAD src0_sel:WORD_0
	v_cvt_f32_u32_sdwa v15, v6 dst_sel:DWORD dst_unused:UNUSED_PAD src0_sel:WORD_1
	v_cvt_f32_u32_sdwa v6, v9 dst_sel:DWORD dst_unused:UNUSED_PAD src0_sel:WORD_1
	v_cvt_f32_u32_sdwa v9, v9 dst_sel:DWORD dst_unused:UNUSED_PAD src0_sel:WORD_0
	v_cvt_f32_u32_sdwa v10, v8 dst_sel:DWORD dst_unused:UNUSED_PAD src0_sel:WORD_1
	v_cvt_f32_u32_sdwa v8, v8 dst_sel:DWORD dst_unused:UNUSED_PAD src0_sel:WORD_0
	v_cvt_f32_u32_sdwa v12, v7 dst_sel:DWORD dst_unused:UNUSED_PAD src0_sel:WORD_0
	v_cvt_f32_u32_sdwa v13, v7 dst_sel:DWORD dst_unused:UNUSED_PAD src0_sel:WORD_1
	v_cndmask_b32_e64 v7, 0, v6, s[2:3]
	v_cndmask_b32_e64 v6, 0, v9, s[2:3]
	;; [unrolled: 1-line block ×6, first 2 shown]
	v_mul_f32_e32 v14, v9, v9
	v_cndmask_b32_e64 v12, 0, v12, s[2:3]
	v_fmac_f32_e32 v14, v8, v8
	v_cndmask_b32_e64 v13, 0, v13, s[2:3]
	v_fmac_f32_e32 v14, v12, v12
	v_fmac_f32_e32 v14, v13, v13
	;; [unrolled: 1-line block ×6, first 2 shown]
	v_and_b32_e32 v16, 63, v0
	v_cmp_eq_u32_e64 s[0:1], 63, v16
	v_mov_b32_dpp v15, v14 quad_perm:[1,0,3,2] row_mask:0xf bank_mask:0xf
	v_add_f32_e32 v14, v14, v15
	s_nop 1
	v_mov_b32_dpp v15, v14 quad_perm:[2,3,0,1] row_mask:0xf bank_mask:0xf
	v_add_f32_e32 v14, v14, v15
	s_nop 1
	v_mov_b32_dpp v15, v14 row_half_mirror row_mask:0xf bank_mask:0xf
	v_add_f32_e32 v14, v14, v15
	s_nop 1
	v_mov_b32_dpp v15, v14 row_mirror row_mask:0xf bank_mask:0xf
	v_add_f32_e32 v14, v14, v15
	s_nop 1
	v_mov_b32_dpp v15, v14 row_bcast:15 row_mask:0xf bank_mask:0xf
	v_add_f32_e32 v14, v14, v15
	s_nop 1
	v_mov_b32_dpp v15, v14 row_bcast:31 row_mask:0xf bank_mask:0xf
	s_and_saveexec_b64 s[14:15], s[0:1]
	s_cbranch_execz .LBB562_5
; %bb.4:
	v_add_f32_e32 v14, v14, v15
	v_lshrrev_b32_e32 v15, 4, v0
	v_and_b32_e32 v15, 60, v15
	ds_write_b32 v15, v14 offset:16
.LBB562_5:
	s_or_b64 exec, exec, s[14:15]
	v_and_b32_e32 v14, 3, v0
	v_lshlrev_b32_e32 v14, 2, v14
	s_waitcnt lgkmcnt(0)
	s_barrier
	ds_read_b32 v15, v14 offset:16
	s_load_dwordx2 s[14:15], s[4:5], 0x18
	s_waitcnt lgkmcnt(0)
	v_mov_b32_dpp v16, v15 quad_perm:[1,0,3,2] row_mask:0xf bank_mask:0xf
	v_add_f32_e32 v15, v15, v16
	s_nop 1
	v_mov_b32_dpp v16, v15 quad_perm:[2,3,0,1] row_mask:0xf bank_mask:0xf
	s_and_saveexec_b64 s[20:21], s[2:3]
	s_cbranch_execz .LBB562_7
; %bb.6:
	v_cvt_f32_u32_e32 v17, s7
	v_add_f32_e32 v15, v15, v16
	v_mov_b32_e32 v19, s13
	v_mov_b32_e32 v20, s12
	v_div_scale_f32 v16, s[26:27], v17, v17, v15
	v_rcp_f32_e32 v18, v16
	v_cndmask_b32_e32 v19, v19, v20, vcc
	s_mov_b32 s7, 0x800000
	v_fma_f32 v20, -v16, v18, 1.0
	v_fmac_f32_e32 v18, v20, v18
	v_div_scale_f32 v20, vcc, v15, v17, v15
	v_mul_f32_e32 v21, v20, v18
	v_fma_f32 v22, -v16, v21, v20
	v_fmac_f32_e32 v21, v22, v18
	v_fma_f32 v16, -v16, v21, v20
	v_div_fmas_f32 v16, v16, v18, v21
	v_div_fixup_f32 v15, v16, v17, v15
	v_add_f32_e32 v15, v19, v15
	v_mul_f32_e32 v16, 0x4b800000, v15
	v_cmp_gt_f32_e32 vcc, s7, v15
	v_cndmask_b32_e32 v15, v15, v16, vcc
	v_rsq_f32_e32 v15, v15
	s_waitcnt vmcnt(0)
	v_cvt_f32_u32_sdwa v19, v2 dst_sel:DWORD dst_unused:UNUSED_PAD src0_sel:WORD_1
	v_cvt_f32_u32_sdwa v18, v2 dst_sel:DWORD dst_unused:UNUSED_PAD src0_sel:WORD_0
	v_cvt_f32_u32_sdwa v21, v3 dst_sel:DWORD dst_unused:UNUSED_PAD src0_sel:WORD_1
	v_mul_f32_e32 v16, 0x45800000, v15
	v_cndmask_b32_e32 v16, v15, v16, vcc
	v_mov_b32_e32 v17, v16
	;;#ASMSTART
	v_pk_mul_f32 v[8:9], v[8:9], v[16:17]
	;;#ASMEND
	;;#ASMSTART
	v_pk_mul_f32 v[12:13], v[12:13], v[16:17]
	;;#ASMEND
	;; [unrolled: 3-line block ×3, first 2 shown]
	v_cvt_f32_u32_sdwa v20, v3 dst_sel:DWORD dst_unused:UNUSED_PAD src0_sel:WORD_0
	;;#ASMSTART
	v_pk_mul_f32 v[2:3], v[6:7], v[16:17]
	;;#ASMEND
	v_cvt_f32_u32_sdwa v17, v4 dst_sel:DWORD dst_unused:UNUSED_PAD src0_sel:WORD_1
	v_cvt_f32_u32_sdwa v16, v4 dst_sel:DWORD dst_unused:UNUSED_PAD src0_sel:WORD_0
	v_pk_add_f32 v[6:7], v[18:19], 1.0 op_sel_hi:[1,0]
	v_cvt_f32_u32_sdwa v19, v5 dst_sel:DWORD dst_unused:UNUSED_PAD src0_sel:WORD_1
	v_cvt_f32_u32_sdwa v18, v5 dst_sel:DWORD dst_unused:UNUSED_PAD src0_sel:WORD_0
	;;#ASMSTART
	v_pk_mul_f32 v[8:9], v[8:9], v[6:7]
	;;#ASMEND
	v_pk_add_f32 v[6:7], v[20:21], 1.0 op_sel_hi:[1,0]
	v_pk_add_f32 v[4:5], v[16:17], 1.0 op_sel_hi:[1,0]
	;;#ASMSTART
	v_pk_mul_f32 v[12:13], v[12:13], v[6:7]
	;;#ASMEND
	;;#ASMSTART
	v_pk_mul_f32 v[10:11], v[10:11], v[4:5]
	;;#ASMEND
	v_pk_add_f32 v[4:5], v[18:19], 1.0 op_sel_hi:[1,0]
	;;#ASMSTART
	v_pk_mul_f32 v[6:7], v[2:3], v[4:5]
	;;#ASMEND
.LBB562_7:
	s_or_b64 exec, exec, s[20:21]
	s_load_dwordx2 s[26:27], s[4:5], 0x7c
	s_mov_b64 s[20:21], -1
	s_and_b64 vcc, exec, s[10:11]
	s_cbranch_vccnz .LBB562_11
; %bb.8:
	s_andn2_b64 vcc, exec, s[20:21]
	s_cbranch_vccz .LBB562_14
.LBB562_9:
	s_cmp_lt_i32 s16, 1
	s_cbranch_scc0 .LBB562_17
.LBB562_10:
	s_endpgm
.LBB562_11:
	s_and_saveexec_b64 s[10:11], s[2:3]
	s_cbranch_execz .LBB562_13
; %bb.12:
	s_waitcnt lgkmcnt(0)
	s_mul_hi_i32 s21, s27, s6
	s_mul_i32 s20, s27, s6
	s_lshl_b64 s[20:21], s[20:21], 1
	s_add_u32 s20, s14, s20
	s_addc_u32 s7, s15, s21
	s_and_b32 s21, s7, 0xffff
	s_mov_b32 s7, 0x7060302
	s_mov_b32 s23, 0x20000
	s_waitcnt vmcnt(0)
	v_perm_b32 v2, v9, v8, s7
	v_perm_b32 v3, v13, v12, s7
	;; [unrolled: 1-line block ×4, first 2 shown]
	v_lshlrev_b32_e32 v15, 4, v0
	buffer_store_dwordx4 v[2:5], v15, s[20:23], 0 offen
	;;#ASMSTART
	s_nop 0
	;;#ASMEND
.LBB562_13:
	s_or_b64 exec, exec, s[10:11]
	s_cbranch_execnz .LBB562_9
.LBB562_14:
	s_and_saveexec_b64 s[10:11], s[2:3]
	s_cbranch_execz .LBB562_16
; %bb.15:
	s_load_dwordx2 s[2:3], s[4:5], 0x10
	s_waitcnt lgkmcnt(0)
	s_mul_hi_i32 s21, s26, s6
	s_mul_i32 s20, s26, s6
	s_lshl_b64 s[20:21], s[20:21], 1
	s_mov_b32 s23, 0x20000
	s_add_u32 s20, s2, s20
	s_addc_u32 s2, s3, s21
	s_and_b32 s21, s2, 0xffff
	s_mov_b32 s2, 0x7060302
	s_waitcnt vmcnt(0)
	v_perm_b32 v2, v9, v8, s2
	v_perm_b32 v3, v13, v12, s2
	;; [unrolled: 1-line block ×4, first 2 shown]
	v_lshlrev_b32_e32 v6, 4, v0
	buffer_store_dwordx4 v[2:5], v6, s[20:23], 0 offen
	;;#ASMSTART
	s_nop 0
	;;#ASMEND
.LBB562_16:
	s_or_b64 exec, exec, s[10:11]
	s_cmp_lt_i32 s16, 1
	s_cbranch_scc1 .LBB562_10
.LBB562_17:
	s_load_dword s2, s[4:5], 0x94
	s_waitcnt lgkmcnt(0)
	s_cmp_lg_u32 s2, 1
	s_cbranch_scc1 .LBB562_10
; %bb.18:
	s_lshl_b32 s2, s16, 1
	s_add_i32 s2, s2, 2
	v_cmp_gt_u32_e32 vcc, s16, v1
	s_and_b32 s10, s2, -4
	v_mov_b32_e32 v6, 0
	v_lshlrev_b32_e32 v1, 4, v0
	v_mov_b32_e32 v7, 0
	v_mov_b32_e32 v8, 0
	;; [unrolled: 1-line block ×3, first 2 shown]
	s_waitcnt vmcnt(0)
	v_mov_b32_e32 v2, 0
	v_mov_b32_e32 v3, 0
	;; [unrolled: 1-line block ×4, first 2 shown]
	s_barrier
	s_and_saveexec_b64 s[2:3], vcc
	s_cbranch_execz .LBB562_20
; %bb.19:
	s_mul_hi_i32 s5, s18, s6
	s_mul_i32 s4, s18, s6
	s_and_b32 s9, s9, 0xffff
	s_lshl_b64 s[4:5], s[4:5], 1
	s_add_u32 s20, s24, s4
	s_mov_b32 s11, 0x20000
	s_addc_u32 s4, s25, s5
	s_and_b32 s21, s4, 0xffff
	s_mov_b32 s22, s10
	s_mov_b32 s23, s11
	buffer_load_dwordx4 v[6:9], v1, s[20:23], 0 offen glc slc
	buffer_load_dwordx4 v[2:5], v1, s[8:11], 0 offen
.LBB562_20:
	s_or_b64 exec, exec, s[2:3]
	s_waitcnt vmcnt(1)
	v_cvt_f32_u32_sdwa v13, v6 dst_sel:DWORD dst_unused:UNUSED_PAD src0_sel:WORD_1
	v_cvt_f32_u32_sdwa v12, v6 dst_sel:DWORD dst_unused:UNUSED_PAD src0_sel:WORD_0
	v_cvt_f32_u32_sdwa v6, v9 dst_sel:DWORD dst_unused:UNUSED_PAD src0_sel:WORD_1
	v_cvt_f32_u32_sdwa v9, v9 dst_sel:DWORD dst_unused:UNUSED_PAD src0_sel:WORD_0
	v_cvt_f32_u32_sdwa v15, v8 dst_sel:DWORD dst_unused:UNUSED_PAD src0_sel:WORD_1
	v_cvt_f32_u32_sdwa v10, v7 dst_sel:DWORD dst_unused:UNUSED_PAD src0_sel:WORD_0
	v_cvt_f32_u32_sdwa v11, v7 dst_sel:DWORD dst_unused:UNUSED_PAD src0_sel:WORD_1
	v_cvt_f32_u32_sdwa v8, v8 dst_sel:DWORD dst_unused:UNUSED_PAD src0_sel:WORD_0
	v_cndmask_b32_e32 v13, 0, v13, vcc
	v_cndmask_b32_e32 v7, 0, v6, vcc
	;; [unrolled: 1-line block ×5, first 2 shown]
	v_mul_f32_e32 v15, v13, v13
	v_cndmask_b32_e32 v10, 0, v10, vcc
	v_fmac_f32_e32 v15, v12, v12
	v_cndmask_b32_e32 v11, 0, v11, vcc
	v_fmac_f32_e32 v15, v10, v10
	;; [unrolled: 2-line block ×3, first 2 shown]
	v_fmac_f32_e32 v15, v8, v8
	v_fmac_f32_e32 v15, v9, v9
	;; [unrolled: 1-line block ×4, first 2 shown]
	s_nop 1
	v_mov_b32_dpp v16, v15 quad_perm:[1,0,3,2] row_mask:0xf bank_mask:0xf
	v_add_f32_e32 v15, v15, v16
	s_nop 1
	v_mov_b32_dpp v16, v15 quad_perm:[2,3,0,1] row_mask:0xf bank_mask:0xf
	v_add_f32_e32 v15, v15, v16
	s_nop 1
	v_mov_b32_dpp v16, v15 row_half_mirror row_mask:0xf bank_mask:0xf
	v_add_f32_e32 v15, v15, v16
	s_nop 1
	v_mov_b32_dpp v16, v15 row_mirror row_mask:0xf bank_mask:0xf
	v_add_f32_e32 v15, v15, v16
	s_nop 1
	v_mov_b32_dpp v16, v15 row_bcast:15 row_mask:0xf bank_mask:0xf
	v_add_f32_e32 v15, v15, v16
	s_nop 1
	v_mov_b32_dpp v16, v15 row_bcast:31 row_mask:0xf bank_mask:0xf
	s_and_saveexec_b64 s[2:3], s[0:1]
	s_cbranch_execz .LBB562_22
; %bb.21:
	v_lshrrev_b32_e32 v0, 4, v0
	v_add_f32_e32 v15, v15, v16
	v_and_b32_e32 v0, 60, v0
	ds_write_b32 v0, v15
.LBB562_22:
	s_or_b64 exec, exec, s[2:3]
	s_waitcnt lgkmcnt(0)
	s_barrier
	ds_read_b32 v0, v14
	s_waitcnt lgkmcnt(0)
	s_nop 0
	v_mov_b32_dpp v14, v0 quad_perm:[1,0,3,2] row_mask:0xf bank_mask:0xf
	v_add_f32_e32 v0, v0, v14
	s_nop 1
	v_mov_b32_dpp v14, v0 quad_perm:[2,3,0,1] row_mask:0xf bank_mask:0xf
	s_and_saveexec_b64 s[0:1], vcc
	s_cbranch_execz .LBB562_10
; %bb.23:
	v_cvt_f32_u32_e32 v15, s16
	v_add_f32_e32 v0, v0, v14
	s_mov_b32 s11, 0x20000
	v_div_scale_f32 v14, s[0:1], v15, v15, v0
	v_rcp_f32_e32 v16, v14
	v_div_scale_f32 v17, vcc, v0, v15, v0
	s_mov_b32 s0, 0x800000
	v_fma_f32 v18, -v14, v16, 1.0
	v_fmac_f32_e32 v16, v18, v16
	v_mul_f32_e32 v18, v17, v16
	v_fma_f32 v19, -v14, v18, v17
	v_fmac_f32_e32 v18, v19, v16
	v_fma_f32 v14, -v14, v18, v17
	v_div_fmas_f32 v14, v14, v16, v18
	v_div_fixup_f32 v0, v14, v15, v0
	v_add_f32_e32 v0, s13, v0
	v_mul_f32_e32 v14, 0x4b800000, v0
	v_cmp_gt_f32_e32 vcc, s0, v0
	v_cndmask_b32_e32 v0, v0, v14, vcc
	v_rsq_f32_e32 v0, v0
	s_waitcnt vmcnt(0)
	v_cvt_f32_u32_sdwa v17, v2 dst_sel:DWORD dst_unused:UNUSED_PAD src0_sel:WORD_1
	v_cvt_f32_u32_sdwa v16, v2 dst_sel:DWORD dst_unused:UNUSED_PAD src0_sel:WORD_0
	v_cvt_f32_u32_sdwa v19, v3 dst_sel:DWORD dst_unused:UNUSED_PAD src0_sel:WORD_1
	v_mul_f32_e32 v14, 0x45800000, v0
	v_cndmask_b32_e32 v14, v0, v14, vcc
	v_mov_b32_e32 v15, v14
	;;#ASMSTART
	v_pk_mul_f32 v[12:13], v[12:13], v[14:15]
	;;#ASMEND
	;;#ASMSTART
	v_pk_mul_f32 v[10:11], v[10:11], v[14:15]
	;;#ASMEND
	;; [unrolled: 3-line block ×3, first 2 shown]
	v_cvt_f32_u32_sdwa v18, v3 dst_sel:DWORD dst_unused:UNUSED_PAD src0_sel:WORD_0
	;;#ASMSTART
	v_pk_mul_f32 v[2:3], v[6:7], v[14:15]
	;;#ASMEND
	v_cvt_f32_u32_sdwa v15, v4 dst_sel:DWORD dst_unused:UNUSED_PAD src0_sel:WORD_1
	v_cvt_f32_u32_sdwa v14, v4 dst_sel:DWORD dst_unused:UNUSED_PAD src0_sel:WORD_0
	v_pk_add_f32 v[6:7], v[16:17], 1.0 op_sel_hi:[1,0]
	v_cvt_f32_u32_sdwa v17, v5 dst_sel:DWORD dst_unused:UNUSED_PAD src0_sel:WORD_1
	v_cvt_f32_u32_sdwa v16, v5 dst_sel:DWORD dst_unused:UNUSED_PAD src0_sel:WORD_0
	s_mul_hi_i32 s1, s27, s6
	s_mul_i32 s0, s27, s6
	s_lshl_b64 s[0:1], s[0:1], 1
	s_add_u32 s8, s14, s0
	;;#ASMSTART
	v_pk_mul_f32 v[6:7], v[12:13], v[6:7]
	;;#ASMEND
	v_pk_add_f32 v[12:13], v[18:19], 1.0 op_sel_hi:[1,0]
	;;#ASMSTART
	v_pk_mul_f32 v[4:5], v[10:11], v[12:13]
	;;#ASMEND
	v_pk_add_f32 v[10:11], v[14:15], 1.0 op_sel_hi:[1,0]
	s_addc_u32 s0, s15, s1
	;;#ASMSTART
	v_pk_mul_f32 v[8:9], v[8:9], v[10:11]
	;;#ASMEND
	v_pk_add_f32 v[10:11], v[16:17], 1.0 op_sel_hi:[1,0]
	s_and_b32 s9, s0, 0xffff
	s_mov_b32 s0, 0x7060302
	;;#ASMSTART
	v_pk_mul_f32 v[10:11], v[2:3], v[10:11]
	;;#ASMEND
	v_perm_b32 v2, v7, v6, s0
	v_perm_b32 v3, v5, v4, s0
	v_perm_b32 v4, v9, v8, s0
	v_perm_b32 v5, v11, v10, s0
	buffer_store_dwordx4 v[2:5], v1, s[8:11], 0 offen
	;;#ASMSTART
	s_nop 0
	;;#ASMEND
	s_endpgm
	.section	.rodata,"a",@progbits
	.p2align	6, 0x0
	.amdhsa_kernel _ZN5aiter35fused_qk_rmsnorm_group_quant_kernelItDB8_Li256ELi8ELi4ELb0ELb1ELb1ELb1ELb0ELb0EEEvPT0_PvPT_S6_S6_PKS5_S8_S8_S8_S8_ffiiiiiiiiiiiii
		.amdhsa_group_segment_fixed_size 32
		.amdhsa_private_segment_fixed_size 0
		.amdhsa_kernarg_size 400
		.amdhsa_user_sgpr_count 6
		.amdhsa_user_sgpr_private_segment_buffer 1
		.amdhsa_user_sgpr_dispatch_ptr 0
		.amdhsa_user_sgpr_queue_ptr 0
		.amdhsa_user_sgpr_kernarg_segment_ptr 1
		.amdhsa_user_sgpr_dispatch_id 0
		.amdhsa_user_sgpr_flat_scratch_init 0
		.amdhsa_user_sgpr_kernarg_preload_length 0
		.amdhsa_user_sgpr_kernarg_preload_offset 0
		.amdhsa_user_sgpr_private_segment_size 0
		.amdhsa_uses_dynamic_stack 0
		.amdhsa_system_sgpr_private_segment_wavefront_offset 0
		.amdhsa_system_sgpr_workgroup_id_x 1
		.amdhsa_system_sgpr_workgroup_id_y 1
		.amdhsa_system_sgpr_workgroup_id_z 0
		.amdhsa_system_sgpr_workgroup_info 0
		.amdhsa_system_vgpr_workitem_id 0
		.amdhsa_next_free_vgpr 23
		.amdhsa_next_free_sgpr 32
		.amdhsa_accum_offset 24
		.amdhsa_reserve_vcc 1
		.amdhsa_reserve_flat_scratch 0
		.amdhsa_float_round_mode_32 0
		.amdhsa_float_round_mode_16_64 0
		.amdhsa_float_denorm_mode_32 3
		.amdhsa_float_denorm_mode_16_64 3
		.amdhsa_dx10_clamp 1
		.amdhsa_ieee_mode 1
		.amdhsa_fp16_overflow 0
		.amdhsa_tg_split 0
		.amdhsa_exception_fp_ieee_invalid_op 0
		.amdhsa_exception_fp_denorm_src 0
		.amdhsa_exception_fp_ieee_div_zero 0
		.amdhsa_exception_fp_ieee_overflow 0
		.amdhsa_exception_fp_ieee_underflow 0
		.amdhsa_exception_fp_ieee_inexact 0
		.amdhsa_exception_int_div_zero 0
	.end_amdhsa_kernel
	.section	.text._ZN5aiter35fused_qk_rmsnorm_group_quant_kernelItDB8_Li256ELi8ELi4ELb0ELb1ELb1ELb1ELb0ELb0EEEvPT0_PvPT_S6_S6_PKS5_S8_S8_S8_S8_ffiiiiiiiiiiiii,"axG",@progbits,_ZN5aiter35fused_qk_rmsnorm_group_quant_kernelItDB8_Li256ELi8ELi4ELb0ELb1ELb1ELb1ELb0ELb0EEEvPT0_PvPT_S6_S6_PKS5_S8_S8_S8_S8_ffiiiiiiiiiiiii,comdat
.Lfunc_end562:
	.size	_ZN5aiter35fused_qk_rmsnorm_group_quant_kernelItDB8_Li256ELi8ELi4ELb0ELb1ELb1ELb1ELb0ELb0EEEvPT0_PvPT_S6_S6_PKS5_S8_S8_S8_S8_ffiiiiiiiiiiiii, .Lfunc_end562-_ZN5aiter35fused_qk_rmsnorm_group_quant_kernelItDB8_Li256ELi8ELi4ELb0ELb1ELb1ELb1ELb0ELb0EEEvPT0_PvPT_S6_S6_PKS5_S8_S8_S8_S8_ffiiiiiiiiiiiii
                                        ; -- End function
	.section	.AMDGPU.csdata,"",@progbits
; Kernel info:
; codeLenInByte = 2092
; NumSgprs: 36
; NumVgprs: 23
; NumAgprs: 0
; TotalNumVgprs: 23
; ScratchSize: 0
; MemoryBound: 0
; FloatMode: 240
; IeeeMode: 1
; LDSByteSize: 32 bytes/workgroup (compile time only)
; SGPRBlocks: 4
; VGPRBlocks: 2
; NumSGPRsForWavesPerEU: 36
; NumVGPRsForWavesPerEU: 23
; AccumOffset: 24
; Occupancy: 8
; WaveLimiterHint : 0
; COMPUTE_PGM_RSRC2:SCRATCH_EN: 0
; COMPUTE_PGM_RSRC2:USER_SGPR: 6
; COMPUTE_PGM_RSRC2:TRAP_HANDLER: 0
; COMPUTE_PGM_RSRC2:TGID_X_EN: 1
; COMPUTE_PGM_RSRC2:TGID_Y_EN: 1
; COMPUTE_PGM_RSRC2:TGID_Z_EN: 0
; COMPUTE_PGM_RSRC2:TIDIG_COMP_CNT: 0
; COMPUTE_PGM_RSRC3_GFX90A:ACCUM_OFFSET: 5
; COMPUTE_PGM_RSRC3_GFX90A:TG_SPLIT: 0
	.section	.text._ZN5aiter35fused_qk_rmsnorm_group_quant_kernelIDF16_N4opus5fp4_tELi256ELi8ELi4ELb0ELb1ELb1ELb1ELb0ELb0EEEvPT0_PvPT_S7_S7_PKS6_S9_S9_S9_S9_ffiiiiiiiiiiiii,"axG",@progbits,_ZN5aiter35fused_qk_rmsnorm_group_quant_kernelIDF16_N4opus5fp4_tELi256ELi8ELi4ELb0ELb1ELb1ELb1ELb0ELb0EEEvPT0_PvPT_S7_S7_PKS6_S9_S9_S9_S9_ffiiiiiiiiiiiii,comdat
	.protected	_ZN5aiter35fused_qk_rmsnorm_group_quant_kernelIDF16_N4opus5fp4_tELi256ELi8ELi4ELb0ELb1ELb1ELb1ELb0ELb0EEEvPT0_PvPT_S7_S7_PKS6_S9_S9_S9_S9_ffiiiiiiiiiiiii ; -- Begin function _ZN5aiter35fused_qk_rmsnorm_group_quant_kernelIDF16_N4opus5fp4_tELi256ELi8ELi4ELb0ELb1ELb1ELb1ELb0ELb0EEEvPT0_PvPT_S7_S7_PKS6_S9_S9_S9_S9_ffiiiiiiiiiiiii
	.globl	_ZN5aiter35fused_qk_rmsnorm_group_quant_kernelIDF16_N4opus5fp4_tELi256ELi8ELi4ELb0ELb1ELb1ELb1ELb0ELb0EEEvPT0_PvPT_S7_S7_PKS6_S9_S9_S9_S9_ffiiiiiiiiiiiii
	.p2align	8
	.type	_ZN5aiter35fused_qk_rmsnorm_group_quant_kernelIDF16_N4opus5fp4_tELi256ELi8ELi4ELb0ELb1ELb1ELb1ELb0ELb0EEEvPT0_PvPT_S7_S7_PKS6_S9_S9_S9_S9_ffiiiiiiiiiiiii,@function
_ZN5aiter35fused_qk_rmsnorm_group_quant_kernelIDF16_N4opus5fp4_tELi256ELi8ELi4ELb0ELb1ELb1ELb1ELb0ELb0EEEvPT0_PvPT_S7_S7_PKS6_S9_S9_S9_S9_ffiiiiiiiiiiiii: ; @_ZN5aiter35fused_qk_rmsnorm_group_quant_kernelIDF16_N4opus5fp4_tELi256ELi8ELi4ELb0ELb1ELb1ELb1ELb0ELb0EEEvPT0_PvPT_S7_S7_PKS6_S9_S9_S9_S9_ffiiiiiiiiiiiii
; %bb.0:
	s_load_dwordx4 s[12:15], s[4:5], 0x50
	s_waitcnt lgkmcnt(0)
	s_cmp_ge_i32 s6, s14
	s_cbranch_scc1 .LBB563_12
; %bb.1:
	s_load_dwordx2 s[24:25], s[4:5], 0x30
	s_load_dwordx2 s[8:9], s[4:5], 0x48
	s_load_dwordx4 s[16:19], s[4:5], 0x60
	s_cmp_lg_u32 s7, 0
	s_cselect_b64 s[10:11], -1, 0
	s_cmp_eq_u32 s7, 0
	s_cselect_b64 vcc, -1, 0
	s_and_b64 s[0:1], vcc, exec
	s_waitcnt lgkmcnt(0)
	s_cselect_b32 s7, s15, s16
	s_add_i32 s0, s7, 1
	s_lshr_b32 s1, s0, 31
	s_add_i32 s0, s0, s1
	s_lshl_b32 s0, s0, 1
	v_lshlrev_b32_e32 v1, 3, v0
	s_and_b32 s22, s0, -4
	v_cmp_gt_i32_e64 s[2:3], s7, v1
	v_mov_b32_e32 v10, 0
	v_mov_b32_e32 v2, 0
	;; [unrolled: 1-line block ×9, first 2 shown]
	s_and_saveexec_b64 s[0:1], s[2:3]
	s_cbranch_execz .LBB563_3
; %bb.2:
	s_load_dwordx2 s[14:15], s[4:5], 0x28
	s_load_dwordx2 s[20:21], s[4:5], 0x40
	s_and_b64 s[26:27], vcc, exec
	s_cselect_b32 s17, s17, s18
	v_lshlrev_b32_e32 v11, 4, v0
	s_waitcnt lgkmcnt(0)
	s_cselect_b32 s19, s15, s25
	s_cselect_b32 s23, s14, s24
	s_mul_hi_i32 s15, s17, s6
	s_mul_i32 s14, s17, s6
	s_lshl_b64 s[14:15], s[14:15], 1
	s_add_u32 s28, s23, s14
	s_addc_u32 s17, s19, s15
	s_and_b64 s[14:15], vcc, exec
	s_mov_b32 s23, 0x20000
	s_cselect_b32 s20, s20, s8
	s_cselect_b32 s14, s21, s9
	s_and_b32 s29, s17, 0xffff
	s_mov_b32 s30, s22
	s_mov_b32 s31, s23
	s_and_b32 s21, s14, 0xffff
	buffer_load_dwordx4 v[6:9], v11, s[28:31], 0 offen glc slc
	buffer_load_dwordx4 v[2:5], v11, s[20:23], 0 offen
.LBB563_3:
	s_or_b64 exec, exec, s[0:1]
	v_mov_b32_e32 v11, 0
	v_mov_b32_e32 v14, 0
	;; [unrolled: 1-line block ×7, first 2 shown]
	s_and_saveexec_b64 s[0:1], s[2:3]
	s_cbranch_execz .LBB563_5
; %bb.4:
	s_waitcnt vmcnt(1)
	v_cvt_f32_f16_sdwa v11, v6 dst_sel:DWORD dst_unused:UNUSED_PAD src0_sel:WORD_1
	v_cvt_f32_f16_e32 v10, v6
	v_cvt_f32_f16_sdwa v15, v7 dst_sel:DWORD dst_unused:UNUSED_PAD src0_sel:WORD_1
	v_cvt_f32_f16_e32 v14, v7
	;; [unrolled: 2-line block ×4, first 2 shown]
.LBB563_5:
	s_or_b64 exec, exec, s[0:1]
	s_waitcnt vmcnt(1)
	v_mul_f32_e32 v6, v11, v11
	v_fmac_f32_e32 v6, v10, v10
	v_fmac_f32_e32 v6, v14, v14
	;; [unrolled: 1-line block ×7, first 2 shown]
	v_and_b32_e32 v8, 63, v0
	v_cmp_eq_u32_e64 s[0:1], 63, v8
	v_mov_b32_dpp v7, v6 quad_perm:[1,0,3,2] row_mask:0xf bank_mask:0xf
	v_add_f32_e32 v6, v6, v7
	s_nop 1
	v_mov_b32_dpp v7, v6 quad_perm:[2,3,0,1] row_mask:0xf bank_mask:0xf
	v_add_f32_e32 v6, v6, v7
	s_nop 1
	v_mov_b32_dpp v7, v6 row_half_mirror row_mask:0xf bank_mask:0xf
	v_add_f32_e32 v6, v6, v7
	s_nop 1
	v_mov_b32_dpp v7, v6 row_mirror row_mask:0xf bank_mask:0xf
	v_add_f32_e32 v6, v6, v7
	s_nop 1
	v_mov_b32_dpp v7, v6 row_bcast:15 row_mask:0xf bank_mask:0xf
	v_add_f32_e32 v6, v6, v7
	s_nop 1
	v_mov_b32_dpp v7, v6 row_bcast:31 row_mask:0xf bank_mask:0xf
	s_and_saveexec_b64 s[14:15], s[0:1]
	s_cbranch_execz .LBB563_7
; %bb.6:
	v_add_f32_e32 v6, v6, v7
	v_lshrrev_b32_e32 v7, 4, v0
	v_and_b32_e32 v7, 60, v7
	ds_write_b32 v7, v6 offset:16
.LBB563_7:
	s_or_b64 exec, exec, s[14:15]
	v_and_b32_e32 v6, 3, v0
	v_lshlrev_b32_e32 v18, 2, v6
	s_waitcnt lgkmcnt(0)
	s_barrier
	ds_read_b32 v6, v18 offset:16
	s_load_dwordx2 s[14:15], s[4:5], 0x18
	s_waitcnt lgkmcnt(0)
	v_mov_b32_dpp v7, v6 quad_perm:[1,0,3,2] row_mask:0xf bank_mask:0xf
	v_add_f32_e32 v6, v6, v7
	s_nop 1
	v_mov_b32_dpp v7, v6 quad_perm:[2,3,0,1] row_mask:0xf bank_mask:0xf
	s_and_saveexec_b64 s[20:21], s[2:3]
	s_cbranch_execz .LBB563_9
; %bb.8:
	v_cvt_f32_u32_e32 v8, s7
	v_add_f32_e32 v6, v6, v7
	v_mov_b32_e32 v19, s13
	v_mov_b32_e32 v20, s12
	v_div_scale_f32 v7, s[26:27], v8, v8, v6
	v_rcp_f32_e32 v9, v7
	v_cndmask_b32_e32 v19, v19, v20, vcc
	s_mov_b32 s7, 0x800000
	v_fma_f32 v20, -v7, v9, 1.0
	v_fmac_f32_e32 v9, v20, v9
	v_div_scale_f32 v20, vcc, v6, v8, v6
	v_mul_f32_e32 v21, v20, v9
	v_fma_f32 v22, -v7, v21, v20
	v_fmac_f32_e32 v21, v22, v9
	v_fma_f32 v7, -v7, v21, v20
	v_div_fmas_f32 v7, v7, v9, v21
	v_div_fixup_f32 v6, v7, v8, v6
	v_add_f32_e32 v6, v19, v6
	v_mul_f32_e32 v7, 0x4b800000, v6
	v_cmp_gt_f32_e32 vcc, s7, v6
	v_cndmask_b32_e32 v6, v6, v7, vcc
	v_rsq_f32_e32 v6, v6
	s_waitcnt vmcnt(0)
	v_cvt_f32_f16_sdwa v21, v3 dst_sel:DWORD dst_unused:UNUSED_PAD src0_sel:WORD_1
	v_cvt_f32_f16_e32 v20, v3
	v_mul_f32_e32 v7, 0x45800000, v6
	v_cndmask_b32_e32 v6, v6, v7, vcc
	v_mov_b32_e32 v7, v6
	;;#ASMSTART
	v_pk_mul_f32 v[8:9], v[10:11], v[6:7]
	;;#ASMEND
	v_cvt_f32_f16_sdwa v11, v2 dst_sel:DWORD dst_unused:UNUSED_PAD src0_sel:WORD_1
	v_cvt_f32_f16_e32 v10, v2
	;;#ASMSTART
	v_pk_mul_f32 v[14:15], v[14:15], v[6:7]
	;;#ASMEND
	;;#ASMSTART
	v_pk_mul_f32 v[16:17], v[16:17], v[6:7]
	;;#ASMEND
	;; [unrolled: 3-line block ×3, first 2 shown]
	v_pk_add_f32 v[6:7], v[10:11], 1.0 op_sel_hi:[1,0]
	;;#ASMSTART
	v_pk_mul_f32 v[10:11], v[8:9], v[6:7]
	;;#ASMEND
	v_cvt_f32_f16_sdwa v9, v4 dst_sel:DWORD dst_unused:UNUSED_PAD src0_sel:WORD_1
	v_cvt_f32_f16_e32 v8, v4
	v_cvt_f32_f16_sdwa v13, v5 dst_sel:DWORD dst_unused:UNUSED_PAD src0_sel:WORD_1
	v_cvt_f32_f16_e32 v12, v5
	v_pk_add_f32 v[6:7], v[20:21], 1.0 op_sel_hi:[1,0]
	v_pk_add_f32 v[4:5], v[8:9], 1.0 op_sel_hi:[1,0]
	;;#ASMSTART
	v_pk_mul_f32 v[14:15], v[14:15], v[6:7]
	;;#ASMEND
	;;#ASMSTART
	v_pk_mul_f32 v[16:17], v[16:17], v[4:5]
	;;#ASMEND
	v_pk_add_f32 v[4:5], v[12:13], 1.0 op_sel_hi:[1,0]
	;;#ASMSTART
	v_pk_mul_f32 v[12:13], v[2:3], v[4:5]
	;;#ASMEND
.LBB563_9:
	s_or_b64 exec, exec, s[20:21]
	s_load_dwordx2 s[26:27], s[4:5], 0x7c
	s_mov_b64 s[20:21], -1
	s_and_b64 vcc, exec, s[10:11]
	s_cbranch_vccnz .LBB563_13
; %bb.10:
	s_andn2_b64 vcc, exec, s[20:21]
	s_cbranch_vccz .LBB563_16
.LBB563_11:
	s_cmp_lt_i32 s16, 1
	s_cbranch_scc0 .LBB563_19
.LBB563_12:
	s_endpgm
.LBB563_13:
	s_and_saveexec_b64 s[10:11], s[2:3]
	s_cbranch_execz .LBB563_15
; %bb.14:
	s_waitcnt lgkmcnt(0)
	s_mul_hi_i32 s21, s27, s6
	s_mul_i32 s20, s27, s6
	s_waitcnt vmcnt(0)
	v_cvt_f16_f32_e32 v2, v10
	v_cvt_f16_f32_e32 v3, v14
	;; [unrolled: 1-line block ×8, first 2 shown]
	s_lshl_b64 s[20:21], s[20:21], 1
	s_add_u32 s20, s14, s20
	s_addc_u32 s7, s15, s21
	s_and_b32 s21, s7, 0xffff
	s_mov_b32 s23, 0x20000
	v_pack_b32_f16 v5, v5, v6
	v_pack_b32_f16 v4, v4, v7
	;; [unrolled: 1-line block ×4, first 2 shown]
	v_lshlrev_b32_e32 v6, 4, v0
	buffer_store_dwordx4 v[2:5], v6, s[20:23], 0 offen
	;;#ASMSTART
	s_nop 0
	;;#ASMEND
.LBB563_15:
	s_or_b64 exec, exec, s[10:11]
	s_cbranch_execnz .LBB563_11
.LBB563_16:
	s_and_saveexec_b64 s[10:11], s[2:3]
	s_cbranch_execz .LBB563_18
; %bb.17:
	s_load_dwordx2 s[2:3], s[4:5], 0x10
	s_waitcnt lgkmcnt(0)
	s_mul_hi_i32 s21, s26, s6
	s_mul_i32 s20, s26, s6
	s_waitcnt vmcnt(0)
	v_cvt_f16_f32_e32 v2, v10
	v_cvt_f16_f32_e32 v3, v14
	;; [unrolled: 1-line block ×8, first 2 shown]
	s_lshl_b64 s[20:21], s[20:21], 1
	s_add_u32 s20, s2, s20
	s_addc_u32 s2, s3, s21
	s_mov_b32 s23, 0x20000
	s_and_b32 s21, s2, 0xffff
	v_pack_b32_f16 v5, v5, v6
	v_pack_b32_f16 v4, v4, v7
	;; [unrolled: 1-line block ×4, first 2 shown]
	v_lshlrev_b32_e32 v6, 4, v0
	buffer_store_dwordx4 v[2:5], v6, s[20:23], 0 offen
	;;#ASMSTART
	s_nop 0
	;;#ASMEND
.LBB563_18:
	s_or_b64 exec, exec, s[10:11]
	s_cmp_lt_i32 s16, 1
	s_cbranch_scc1 .LBB563_12
.LBB563_19:
	s_load_dword s2, s[4:5], 0x94
	s_waitcnt lgkmcnt(0)
	s_cmp_lg_u32 s2, 1
	s_cbranch_scc1 .LBB563_12
; %bb.20:
	s_lshl_b32 s2, s16, 1
	s_add_i32 s2, s2, 2
	v_cmp_gt_u32_e32 vcc, s16, v1
	s_and_b32 s10, s2, -4
	v_mov_b32_e32 v10, 0
	v_lshlrev_b32_e32 v1, 4, v0
	v_mov_b32_e32 v6, 0
	v_mov_b32_e32 v7, 0
	;; [unrolled: 1-line block ×4, first 2 shown]
	s_waitcnt vmcnt(0)
	v_mov_b32_e32 v2, 0
	v_mov_b32_e32 v3, 0
	v_mov_b32_e32 v4, 0
	v_mov_b32_e32 v5, 0
	s_barrier
	s_and_saveexec_b64 s[2:3], vcc
	s_cbranch_execz .LBB563_22
; %bb.21:
	s_mul_hi_i32 s5, s18, s6
	s_mul_i32 s4, s18, s6
	s_and_b32 s9, s9, 0xffff
	s_lshl_b64 s[4:5], s[4:5], 1
	s_add_u32 s20, s24, s4
	s_mov_b32 s11, 0x20000
	s_addc_u32 s4, s25, s5
	s_and_b32 s21, s4, 0xffff
	s_mov_b32 s22, s10
	s_mov_b32 s23, s11
	buffer_load_dwordx4 v[6:9], v1, s[20:23], 0 offen glc slc
	buffer_load_dwordx4 v[2:5], v1, s[8:11], 0 offen
.LBB563_22:
	s_or_b64 exec, exec, s[2:3]
	v_mov_b32_e32 v11, 0
	v_mov_b32_e32 v16, 0
	;; [unrolled: 1-line block ×7, first 2 shown]
	s_and_saveexec_b64 s[2:3], vcc
	s_cbranch_execz .LBB563_24
; %bb.23:
	s_waitcnt vmcnt(1)
	v_cvt_f32_f16_sdwa v11, v6 dst_sel:DWORD dst_unused:UNUSED_PAD src0_sel:WORD_1
	v_cvt_f32_f16_e32 v10, v6
	v_cvt_f32_f16_sdwa v17, v7 dst_sel:DWORD dst_unused:UNUSED_PAD src0_sel:WORD_1
	v_cvt_f32_f16_e32 v16, v7
	;; [unrolled: 2-line block ×4, first 2 shown]
.LBB563_24:
	s_or_b64 exec, exec, s[2:3]
	s_waitcnt vmcnt(1)
	v_mul_f32_e32 v6, v11, v11
	v_fmac_f32_e32 v6, v10, v10
	v_fmac_f32_e32 v6, v16, v16
	v_fmac_f32_e32 v6, v17, v17
	v_fmac_f32_e32 v6, v14, v14
	v_fmac_f32_e32 v6, v15, v15
	v_fmac_f32_e32 v6, v12, v12
	v_fmac_f32_e32 v6, v13, v13
	s_nop 1
	v_mov_b32_dpp v7, v6 quad_perm:[1,0,3,2] row_mask:0xf bank_mask:0xf
	v_add_f32_e32 v6, v6, v7
	s_nop 1
	v_mov_b32_dpp v7, v6 quad_perm:[2,3,0,1] row_mask:0xf bank_mask:0xf
	v_add_f32_e32 v6, v6, v7
	s_nop 1
	v_mov_b32_dpp v7, v6 row_half_mirror row_mask:0xf bank_mask:0xf
	v_add_f32_e32 v6, v6, v7
	s_nop 1
	v_mov_b32_dpp v7, v6 row_mirror row_mask:0xf bank_mask:0xf
	v_add_f32_e32 v6, v6, v7
	s_nop 1
	v_mov_b32_dpp v7, v6 row_bcast:15 row_mask:0xf bank_mask:0xf
	v_add_f32_e32 v6, v6, v7
	s_nop 1
	v_mov_b32_dpp v7, v6 row_bcast:31 row_mask:0xf bank_mask:0xf
	s_and_saveexec_b64 s[2:3], s[0:1]
	s_cbranch_execz .LBB563_26
; %bb.25:
	v_lshrrev_b32_e32 v0, 4, v0
	v_add_f32_e32 v6, v6, v7
	v_and_b32_e32 v0, 60, v0
	ds_write_b32 v0, v6
.LBB563_26:
	s_or_b64 exec, exec, s[2:3]
	s_waitcnt lgkmcnt(0)
	s_barrier
	ds_read_b32 v0, v18
	s_waitcnt lgkmcnt(0)
	s_nop 0
	v_mov_b32_dpp v6, v0 quad_perm:[1,0,3,2] row_mask:0xf bank_mask:0xf
	v_add_f32_e32 v0, v0, v6
	s_nop 1
	v_mov_b32_dpp v6, v0 quad_perm:[2,3,0,1] row_mask:0xf bank_mask:0xf
	s_and_saveexec_b64 s[0:1], vcc
	s_cbranch_execz .LBB563_12
; %bb.27:
	v_cvt_f32_u32_e32 v7, s16
	v_add_f32_e32 v0, v0, v6
	s_mov_b32 s11, 0x20000
	v_div_scale_f32 v6, s[0:1], v7, v7, v0
	v_rcp_f32_e32 v8, v6
	v_div_scale_f32 v9, vcc, v0, v7, v0
	s_mov_b32 s0, 0x800000
	v_fma_f32 v18, -v6, v8, 1.0
	v_fmac_f32_e32 v8, v18, v8
	v_mul_f32_e32 v18, v9, v8
	v_fma_f32 v19, -v6, v18, v9
	v_fmac_f32_e32 v18, v19, v8
	v_fma_f32 v6, -v6, v18, v9
	v_div_fmas_f32 v6, v6, v8, v18
	v_div_fixup_f32 v0, v6, v7, v0
	v_add_f32_e32 v0, s13, v0
	v_mul_f32_e32 v6, 0x4b800000, v0
	v_cmp_gt_f32_e32 vcc, s0, v0
	v_cndmask_b32_e32 v0, v0, v6, vcc
	v_rsq_f32_e32 v0, v0
	s_waitcnt vmcnt(0)
	v_cvt_f32_f16_sdwa v19, v3 dst_sel:DWORD dst_unused:UNUSED_PAD src0_sel:WORD_1
	v_cvt_f32_f16_e32 v18, v3
	s_mul_hi_i32 s1, s27, s6
	v_mul_f32_e32 v6, 0x45800000, v0
	v_cndmask_b32_e32 v6, v0, v6, vcc
	v_mov_b32_e32 v7, v6
	;;#ASMSTART
	v_pk_mul_f32 v[8:9], v[10:11], v[6:7]
	;;#ASMEND
	;;#ASMSTART
	v_pk_mul_f32 v[10:11], v[16:17], v[6:7]
	;;#ASMEND
	v_cvt_f32_f16_sdwa v17, v2 dst_sel:DWORD dst_unused:UNUSED_PAD src0_sel:WORD_1
	v_cvt_f32_f16_e32 v16, v2
	;;#ASMSTART
	v_pk_mul_f32 v[14:15], v[14:15], v[6:7]
	;;#ASMEND
	;;#ASMSTART
	v_pk_mul_f32 v[2:3], v[12:13], v[6:7]
	;;#ASMEND
	v_cvt_f32_f16_sdwa v13, v4 dst_sel:DWORD dst_unused:UNUSED_PAD src0_sel:WORD_1
	v_cvt_f32_f16_e32 v12, v4
	v_pk_add_f32 v[6:7], v[16:17], 1.0 op_sel_hi:[1,0]
	v_cvt_f32_f16_sdwa v17, v5 dst_sel:DWORD dst_unused:UNUSED_PAD src0_sel:WORD_1
	v_cvt_f32_f16_e32 v16, v5
	;;#ASMSTART
	v_pk_mul_f32 v[6:7], v[8:9], v[6:7]
	;;#ASMEND
	v_pk_add_f32 v[8:9], v[18:19], 1.0 op_sel_hi:[1,0]
	;;#ASMSTART
	v_pk_mul_f32 v[4:5], v[10:11], v[8:9]
	;;#ASMEND
	v_pk_add_f32 v[8:9], v[12:13], 1.0 op_sel_hi:[1,0]
	;; [unrolled: 4-line block ×3, first 2 shown]
	;;#ASMSTART
	v_pk_mul_f32 v[2:3], v[2:3], v[10:11]
	;;#ASMEND
	s_mul_i32 s0, s27, s6
	v_cvt_f16_f32_e32 v0, v6
	v_cvt_f16_f32_e32 v6, v7
	;; [unrolled: 1-line block ×8, first 2 shown]
	s_lshl_b64 s[0:1], s[0:1], 1
	s_add_u32 s8, s14, s0
	s_addc_u32 s0, s15, s1
	s_and_b32 s9, s0, 0xffff
	v_pack_b32_f16 v2, v0, v6
	v_pack_b32_f16 v3, v4, v5
	;; [unrolled: 1-line block ×4, first 2 shown]
	buffer_store_dwordx4 v[2:5], v1, s[8:11], 0 offen
	;;#ASMSTART
	s_nop 0
	;;#ASMEND
	s_endpgm
	.section	.rodata,"a",@progbits
	.p2align	6, 0x0
	.amdhsa_kernel _ZN5aiter35fused_qk_rmsnorm_group_quant_kernelIDF16_N4opus5fp4_tELi256ELi8ELi4ELb0ELb1ELb1ELb1ELb0ELb0EEEvPT0_PvPT_S7_S7_PKS6_S9_S9_S9_S9_ffiiiiiiiiiiiii
		.amdhsa_group_segment_fixed_size 32
		.amdhsa_private_segment_fixed_size 0
		.amdhsa_kernarg_size 400
		.amdhsa_user_sgpr_count 6
		.amdhsa_user_sgpr_private_segment_buffer 1
		.amdhsa_user_sgpr_dispatch_ptr 0
		.amdhsa_user_sgpr_queue_ptr 0
		.amdhsa_user_sgpr_kernarg_segment_ptr 1
		.amdhsa_user_sgpr_dispatch_id 0
		.amdhsa_user_sgpr_flat_scratch_init 0
		.amdhsa_user_sgpr_kernarg_preload_length 0
		.amdhsa_user_sgpr_kernarg_preload_offset 0
		.amdhsa_user_sgpr_private_segment_size 0
		.amdhsa_uses_dynamic_stack 0
		.amdhsa_system_sgpr_private_segment_wavefront_offset 0
		.amdhsa_system_sgpr_workgroup_id_x 1
		.amdhsa_system_sgpr_workgroup_id_y 1
		.amdhsa_system_sgpr_workgroup_id_z 0
		.amdhsa_system_sgpr_workgroup_info 0
		.amdhsa_system_vgpr_workitem_id 0
		.amdhsa_next_free_vgpr 23
		.amdhsa_next_free_sgpr 32
		.amdhsa_accum_offset 24
		.amdhsa_reserve_vcc 1
		.amdhsa_reserve_flat_scratch 0
		.amdhsa_float_round_mode_32 0
		.amdhsa_float_round_mode_16_64 0
		.amdhsa_float_denorm_mode_32 3
		.amdhsa_float_denorm_mode_16_64 3
		.amdhsa_dx10_clamp 1
		.amdhsa_ieee_mode 1
		.amdhsa_fp16_overflow 0
		.amdhsa_tg_split 0
		.amdhsa_exception_fp_ieee_invalid_op 0
		.amdhsa_exception_fp_denorm_src 0
		.amdhsa_exception_fp_ieee_div_zero 0
		.amdhsa_exception_fp_ieee_overflow 0
		.amdhsa_exception_fp_ieee_underflow 0
		.amdhsa_exception_fp_ieee_inexact 0
		.amdhsa_exception_int_div_zero 0
	.end_amdhsa_kernel
	.section	.text._ZN5aiter35fused_qk_rmsnorm_group_quant_kernelIDF16_N4opus5fp4_tELi256ELi8ELi4ELb0ELb1ELb1ELb1ELb0ELb0EEEvPT0_PvPT_S7_S7_PKS6_S9_S9_S9_S9_ffiiiiiiiiiiiii,"axG",@progbits,_ZN5aiter35fused_qk_rmsnorm_group_quant_kernelIDF16_N4opus5fp4_tELi256ELi8ELi4ELb0ELb1ELb1ELb1ELb0ELb0EEEvPT0_PvPT_S7_S7_PKS6_S9_S9_S9_S9_ffiiiiiiiiiiiii,comdat
.Lfunc_end563:
	.size	_ZN5aiter35fused_qk_rmsnorm_group_quant_kernelIDF16_N4opus5fp4_tELi256ELi8ELi4ELb0ELb1ELb1ELb1ELb0ELb0EEEvPT0_PvPT_S7_S7_PKS6_S9_S9_S9_S9_ffiiiiiiiiiiiii, .Lfunc_end563-_ZN5aiter35fused_qk_rmsnorm_group_quant_kernelIDF16_N4opus5fp4_tELi256ELi8ELi4ELb0ELb1ELb1ELb1ELb0ELb0EEEvPT0_PvPT_S7_S7_PKS6_S9_S9_S9_S9_ffiiiiiiiiiiiii
                                        ; -- End function
	.section	.AMDGPU.csdata,"",@progbits
; Kernel info:
; codeLenInByte = 2100
; NumSgprs: 36
; NumVgprs: 23
; NumAgprs: 0
; TotalNumVgprs: 23
; ScratchSize: 0
; MemoryBound: 0
; FloatMode: 240
; IeeeMode: 1
; LDSByteSize: 32 bytes/workgroup (compile time only)
; SGPRBlocks: 4
; VGPRBlocks: 2
; NumSGPRsForWavesPerEU: 36
; NumVGPRsForWavesPerEU: 23
; AccumOffset: 24
; Occupancy: 8
; WaveLimiterHint : 0
; COMPUTE_PGM_RSRC2:SCRATCH_EN: 0
; COMPUTE_PGM_RSRC2:USER_SGPR: 6
; COMPUTE_PGM_RSRC2:TRAP_HANDLER: 0
; COMPUTE_PGM_RSRC2:TGID_X_EN: 1
; COMPUTE_PGM_RSRC2:TGID_Y_EN: 1
; COMPUTE_PGM_RSRC2:TGID_Z_EN: 0
; COMPUTE_PGM_RSRC2:TIDIG_COMP_CNT: 0
; COMPUTE_PGM_RSRC3_GFX90A:ACCUM_OFFSET: 5
; COMPUTE_PGM_RSRC3_GFX90A:TG_SPLIT: 0
	.section	.text._ZN5aiter35fused_qk_rmsnorm_group_quant_kernelItN4opus5fp4_tELi256ELi8ELi4ELb0ELb1ELb1ELb1ELb0ELb0EEEvPT0_PvPT_S7_S7_PKS6_S9_S9_S9_S9_ffiiiiiiiiiiiii,"axG",@progbits,_ZN5aiter35fused_qk_rmsnorm_group_quant_kernelItN4opus5fp4_tELi256ELi8ELi4ELb0ELb1ELb1ELb1ELb0ELb0EEEvPT0_PvPT_S7_S7_PKS6_S9_S9_S9_S9_ffiiiiiiiiiiiii,comdat
	.protected	_ZN5aiter35fused_qk_rmsnorm_group_quant_kernelItN4opus5fp4_tELi256ELi8ELi4ELb0ELb1ELb1ELb1ELb0ELb0EEEvPT0_PvPT_S7_S7_PKS6_S9_S9_S9_S9_ffiiiiiiiiiiiii ; -- Begin function _ZN5aiter35fused_qk_rmsnorm_group_quant_kernelItN4opus5fp4_tELi256ELi8ELi4ELb0ELb1ELb1ELb1ELb0ELb0EEEvPT0_PvPT_S7_S7_PKS6_S9_S9_S9_S9_ffiiiiiiiiiiiii
	.globl	_ZN5aiter35fused_qk_rmsnorm_group_quant_kernelItN4opus5fp4_tELi256ELi8ELi4ELb0ELb1ELb1ELb1ELb0ELb0EEEvPT0_PvPT_S7_S7_PKS6_S9_S9_S9_S9_ffiiiiiiiiiiiii
	.p2align	8
	.type	_ZN5aiter35fused_qk_rmsnorm_group_quant_kernelItN4opus5fp4_tELi256ELi8ELi4ELb0ELb1ELb1ELb1ELb0ELb0EEEvPT0_PvPT_S7_S7_PKS6_S9_S9_S9_S9_ffiiiiiiiiiiiii,@function
_ZN5aiter35fused_qk_rmsnorm_group_quant_kernelItN4opus5fp4_tELi256ELi8ELi4ELb0ELb1ELb1ELb1ELb0ELb0EEEvPT0_PvPT_S7_S7_PKS6_S9_S9_S9_S9_ffiiiiiiiiiiiii: ; @_ZN5aiter35fused_qk_rmsnorm_group_quant_kernelItN4opus5fp4_tELi256ELi8ELi4ELb0ELb1ELb1ELb1ELb0ELb0EEEvPT0_PvPT_S7_S7_PKS6_S9_S9_S9_S9_ffiiiiiiiiiiiii
; %bb.0:
	s_load_dwordx4 s[12:15], s[4:5], 0x50
	s_waitcnt lgkmcnt(0)
	s_cmp_ge_i32 s6, s14
	s_cbranch_scc1 .LBB564_10
; %bb.1:
	s_load_dwordx2 s[24:25], s[4:5], 0x30
	s_load_dwordx2 s[8:9], s[4:5], 0x48
	s_load_dwordx4 s[16:19], s[4:5], 0x60
	s_cmp_lg_u32 s7, 0
	s_cselect_b64 s[10:11], -1, 0
	s_cmp_eq_u32 s7, 0
	s_cselect_b64 vcc, -1, 0
	s_and_b64 s[0:1], vcc, exec
	s_waitcnt lgkmcnt(0)
	s_cselect_b32 s7, s15, s16
	s_add_i32 s0, s7, 1
	s_lshr_b32 s1, s0, 31
	s_add_i32 s0, s0, s1
	s_lshl_b32 s0, s0, 1
	v_lshlrev_b32_e32 v1, 3, v0
	s_and_b32 s22, s0, -4
	v_cmp_gt_i32_e64 s[2:3], s7, v1
	v_mov_b32_e32 v2, 0
	v_mov_b32_e32 v3, 0
	;; [unrolled: 1-line block ×8, first 2 shown]
	s_and_saveexec_b64 s[0:1], s[2:3]
	s_cbranch_execz .LBB564_3
; %bb.2:
	s_load_dwordx2 s[14:15], s[4:5], 0x28
	s_load_dwordx2 s[20:21], s[4:5], 0x40
	s_and_b64 s[26:27], vcc, exec
	s_cselect_b32 s17, s17, s18
	v_lshlrev_b32_e32 v10, 4, v0
	s_waitcnt lgkmcnt(0)
	s_cselect_b32 s19, s15, s25
	s_cselect_b32 s23, s14, s24
	s_mul_hi_i32 s15, s17, s6
	s_mul_i32 s14, s17, s6
	s_lshl_b64 s[14:15], s[14:15], 1
	s_add_u32 s28, s23, s14
	s_addc_u32 s17, s19, s15
	s_and_b64 s[14:15], vcc, exec
	s_mov_b32 s23, 0x20000
	s_cselect_b32 s20, s20, s8
	s_cselect_b32 s14, s21, s9
	s_and_b32 s29, s17, 0xffff
	s_mov_b32 s30, s22
	s_mov_b32 s31, s23
	s_and_b32 s21, s14, 0xffff
	buffer_load_dwordx4 v[6:9], v10, s[28:31], 0 offen glc slc
	buffer_load_dwordx4 v[2:5], v10, s[20:23], 0 offen
.LBB564_3:
	s_or_b64 exec, exec, s[0:1]
	s_waitcnt vmcnt(1)
	v_cvt_f32_u32_sdwa v14, v6 dst_sel:DWORD dst_unused:UNUSED_PAD src0_sel:WORD_0
	v_cvt_f32_u32_sdwa v15, v6 dst_sel:DWORD dst_unused:UNUSED_PAD src0_sel:WORD_1
	v_cvt_f32_u32_sdwa v6, v9 dst_sel:DWORD dst_unused:UNUSED_PAD src0_sel:WORD_1
	v_cvt_f32_u32_sdwa v9, v9 dst_sel:DWORD dst_unused:UNUSED_PAD src0_sel:WORD_0
	v_cvt_f32_u32_sdwa v10, v8 dst_sel:DWORD dst_unused:UNUSED_PAD src0_sel:WORD_1
	v_cvt_f32_u32_sdwa v8, v8 dst_sel:DWORD dst_unused:UNUSED_PAD src0_sel:WORD_0
	v_cvt_f32_u32_sdwa v12, v7 dst_sel:DWORD dst_unused:UNUSED_PAD src0_sel:WORD_0
	v_cvt_f32_u32_sdwa v13, v7 dst_sel:DWORD dst_unused:UNUSED_PAD src0_sel:WORD_1
	v_cndmask_b32_e64 v7, 0, v6, s[2:3]
	v_cndmask_b32_e64 v6, 0, v9, s[2:3]
	;; [unrolled: 1-line block ×6, first 2 shown]
	v_mul_f32_e32 v14, v9, v9
	v_cndmask_b32_e64 v12, 0, v12, s[2:3]
	v_fmac_f32_e32 v14, v8, v8
	v_cndmask_b32_e64 v13, 0, v13, s[2:3]
	v_fmac_f32_e32 v14, v12, v12
	v_fmac_f32_e32 v14, v13, v13
	;; [unrolled: 1-line block ×6, first 2 shown]
	v_and_b32_e32 v16, 63, v0
	v_cmp_eq_u32_e64 s[0:1], 63, v16
	v_mov_b32_dpp v15, v14 quad_perm:[1,0,3,2] row_mask:0xf bank_mask:0xf
	v_add_f32_e32 v14, v14, v15
	s_nop 1
	v_mov_b32_dpp v15, v14 quad_perm:[2,3,0,1] row_mask:0xf bank_mask:0xf
	v_add_f32_e32 v14, v14, v15
	s_nop 1
	v_mov_b32_dpp v15, v14 row_half_mirror row_mask:0xf bank_mask:0xf
	v_add_f32_e32 v14, v14, v15
	s_nop 1
	v_mov_b32_dpp v15, v14 row_mirror row_mask:0xf bank_mask:0xf
	v_add_f32_e32 v14, v14, v15
	s_nop 1
	v_mov_b32_dpp v15, v14 row_bcast:15 row_mask:0xf bank_mask:0xf
	v_add_f32_e32 v14, v14, v15
	s_nop 1
	v_mov_b32_dpp v15, v14 row_bcast:31 row_mask:0xf bank_mask:0xf
	s_and_saveexec_b64 s[14:15], s[0:1]
	s_cbranch_execz .LBB564_5
; %bb.4:
	v_add_f32_e32 v14, v14, v15
	v_lshrrev_b32_e32 v15, 4, v0
	v_and_b32_e32 v15, 60, v15
	ds_write_b32 v15, v14 offset:16
.LBB564_5:
	s_or_b64 exec, exec, s[14:15]
	v_and_b32_e32 v14, 3, v0
	v_lshlrev_b32_e32 v14, 2, v14
	s_waitcnt lgkmcnt(0)
	s_barrier
	ds_read_b32 v15, v14 offset:16
	s_load_dwordx2 s[14:15], s[4:5], 0x18
	s_waitcnt lgkmcnt(0)
	v_mov_b32_dpp v16, v15 quad_perm:[1,0,3,2] row_mask:0xf bank_mask:0xf
	v_add_f32_e32 v15, v15, v16
	s_nop 1
	v_mov_b32_dpp v16, v15 quad_perm:[2,3,0,1] row_mask:0xf bank_mask:0xf
	s_and_saveexec_b64 s[20:21], s[2:3]
	s_cbranch_execz .LBB564_7
; %bb.6:
	v_cvt_f32_u32_e32 v17, s7
	v_add_f32_e32 v15, v15, v16
	v_mov_b32_e32 v19, s13
	v_mov_b32_e32 v20, s12
	v_div_scale_f32 v16, s[26:27], v17, v17, v15
	v_rcp_f32_e32 v18, v16
	v_cndmask_b32_e32 v19, v19, v20, vcc
	s_mov_b32 s7, 0x800000
	v_fma_f32 v20, -v16, v18, 1.0
	v_fmac_f32_e32 v18, v20, v18
	v_div_scale_f32 v20, vcc, v15, v17, v15
	v_mul_f32_e32 v21, v20, v18
	v_fma_f32 v22, -v16, v21, v20
	v_fmac_f32_e32 v21, v22, v18
	v_fma_f32 v16, -v16, v21, v20
	v_div_fmas_f32 v16, v16, v18, v21
	v_div_fixup_f32 v15, v16, v17, v15
	v_add_f32_e32 v15, v19, v15
	v_mul_f32_e32 v16, 0x4b800000, v15
	v_cmp_gt_f32_e32 vcc, s7, v15
	v_cndmask_b32_e32 v15, v15, v16, vcc
	v_rsq_f32_e32 v15, v15
	s_waitcnt vmcnt(0)
	v_cvt_f32_u32_sdwa v19, v2 dst_sel:DWORD dst_unused:UNUSED_PAD src0_sel:WORD_1
	v_cvt_f32_u32_sdwa v18, v2 dst_sel:DWORD dst_unused:UNUSED_PAD src0_sel:WORD_0
	v_cvt_f32_u32_sdwa v21, v3 dst_sel:DWORD dst_unused:UNUSED_PAD src0_sel:WORD_1
	v_mul_f32_e32 v16, 0x45800000, v15
	v_cndmask_b32_e32 v16, v15, v16, vcc
	v_mov_b32_e32 v17, v16
	;;#ASMSTART
	v_pk_mul_f32 v[8:9], v[8:9], v[16:17]
	;;#ASMEND
	;;#ASMSTART
	v_pk_mul_f32 v[12:13], v[12:13], v[16:17]
	;;#ASMEND
	;; [unrolled: 3-line block ×3, first 2 shown]
	v_cvt_f32_u32_sdwa v20, v3 dst_sel:DWORD dst_unused:UNUSED_PAD src0_sel:WORD_0
	;;#ASMSTART
	v_pk_mul_f32 v[2:3], v[6:7], v[16:17]
	;;#ASMEND
	v_cvt_f32_u32_sdwa v17, v4 dst_sel:DWORD dst_unused:UNUSED_PAD src0_sel:WORD_1
	v_cvt_f32_u32_sdwa v16, v4 dst_sel:DWORD dst_unused:UNUSED_PAD src0_sel:WORD_0
	v_pk_add_f32 v[6:7], v[18:19], 1.0 op_sel_hi:[1,0]
	v_cvt_f32_u32_sdwa v19, v5 dst_sel:DWORD dst_unused:UNUSED_PAD src0_sel:WORD_1
	v_cvt_f32_u32_sdwa v18, v5 dst_sel:DWORD dst_unused:UNUSED_PAD src0_sel:WORD_0
	;;#ASMSTART
	v_pk_mul_f32 v[8:9], v[8:9], v[6:7]
	;;#ASMEND
	v_pk_add_f32 v[6:7], v[20:21], 1.0 op_sel_hi:[1,0]
	v_pk_add_f32 v[4:5], v[16:17], 1.0 op_sel_hi:[1,0]
	;;#ASMSTART
	v_pk_mul_f32 v[12:13], v[12:13], v[6:7]
	;;#ASMEND
	;;#ASMSTART
	v_pk_mul_f32 v[10:11], v[10:11], v[4:5]
	;;#ASMEND
	v_pk_add_f32 v[4:5], v[18:19], 1.0 op_sel_hi:[1,0]
	;;#ASMSTART
	v_pk_mul_f32 v[6:7], v[2:3], v[4:5]
	;;#ASMEND
.LBB564_7:
	s_or_b64 exec, exec, s[20:21]
	s_load_dwordx2 s[26:27], s[4:5], 0x7c
	s_mov_b64 s[20:21], -1
	s_and_b64 vcc, exec, s[10:11]
	s_cbranch_vccnz .LBB564_11
; %bb.8:
	s_andn2_b64 vcc, exec, s[20:21]
	s_cbranch_vccz .LBB564_14
.LBB564_9:
	s_cmp_lt_i32 s16, 1
	s_cbranch_scc0 .LBB564_17
.LBB564_10:
	s_endpgm
.LBB564_11:
	s_and_saveexec_b64 s[10:11], s[2:3]
	s_cbranch_execz .LBB564_13
; %bb.12:
	s_waitcnt lgkmcnt(0)
	s_mul_hi_i32 s21, s27, s6
	s_mul_i32 s20, s27, s6
	s_lshl_b64 s[20:21], s[20:21], 1
	s_add_u32 s20, s14, s20
	s_addc_u32 s7, s15, s21
	s_and_b32 s21, s7, 0xffff
	s_mov_b32 s7, 0x7060302
	s_mov_b32 s23, 0x20000
	s_waitcnt vmcnt(0)
	v_perm_b32 v2, v9, v8, s7
	v_perm_b32 v3, v13, v12, s7
	;; [unrolled: 1-line block ×4, first 2 shown]
	v_lshlrev_b32_e32 v15, 4, v0
	buffer_store_dwordx4 v[2:5], v15, s[20:23], 0 offen
	;;#ASMSTART
	s_nop 0
	;;#ASMEND
.LBB564_13:
	s_or_b64 exec, exec, s[10:11]
	s_cbranch_execnz .LBB564_9
.LBB564_14:
	s_and_saveexec_b64 s[10:11], s[2:3]
	s_cbranch_execz .LBB564_16
; %bb.15:
	s_load_dwordx2 s[2:3], s[4:5], 0x10
	s_waitcnt lgkmcnt(0)
	s_mul_hi_i32 s21, s26, s6
	s_mul_i32 s20, s26, s6
	s_lshl_b64 s[20:21], s[20:21], 1
	s_mov_b32 s23, 0x20000
	s_add_u32 s20, s2, s20
	s_addc_u32 s2, s3, s21
	s_and_b32 s21, s2, 0xffff
	s_mov_b32 s2, 0x7060302
	s_waitcnt vmcnt(0)
	v_perm_b32 v2, v9, v8, s2
	v_perm_b32 v3, v13, v12, s2
	;; [unrolled: 1-line block ×4, first 2 shown]
	v_lshlrev_b32_e32 v6, 4, v0
	buffer_store_dwordx4 v[2:5], v6, s[20:23], 0 offen
	;;#ASMSTART
	s_nop 0
	;;#ASMEND
.LBB564_16:
	s_or_b64 exec, exec, s[10:11]
	s_cmp_lt_i32 s16, 1
	s_cbranch_scc1 .LBB564_10
.LBB564_17:
	s_load_dword s2, s[4:5], 0x94
	s_waitcnt lgkmcnt(0)
	s_cmp_lg_u32 s2, 1
	s_cbranch_scc1 .LBB564_10
; %bb.18:
	s_lshl_b32 s2, s16, 1
	s_add_i32 s2, s2, 2
	v_cmp_gt_u32_e32 vcc, s16, v1
	s_and_b32 s10, s2, -4
	v_mov_b32_e32 v6, 0
	v_lshlrev_b32_e32 v1, 4, v0
	v_mov_b32_e32 v7, 0
	v_mov_b32_e32 v8, 0
	v_mov_b32_e32 v9, 0
	s_waitcnt vmcnt(0)
	v_mov_b32_e32 v2, 0
	v_mov_b32_e32 v3, 0
	;; [unrolled: 1-line block ×4, first 2 shown]
	s_barrier
	s_and_saveexec_b64 s[2:3], vcc
	s_cbranch_execz .LBB564_20
; %bb.19:
	s_mul_hi_i32 s5, s18, s6
	s_mul_i32 s4, s18, s6
	s_and_b32 s9, s9, 0xffff
	s_lshl_b64 s[4:5], s[4:5], 1
	s_add_u32 s20, s24, s4
	s_mov_b32 s11, 0x20000
	s_addc_u32 s4, s25, s5
	s_and_b32 s21, s4, 0xffff
	s_mov_b32 s22, s10
	s_mov_b32 s23, s11
	buffer_load_dwordx4 v[6:9], v1, s[20:23], 0 offen glc slc
	buffer_load_dwordx4 v[2:5], v1, s[8:11], 0 offen
.LBB564_20:
	s_or_b64 exec, exec, s[2:3]
	s_waitcnt vmcnt(1)
	v_cvt_f32_u32_sdwa v13, v6 dst_sel:DWORD dst_unused:UNUSED_PAD src0_sel:WORD_1
	v_cvt_f32_u32_sdwa v12, v6 dst_sel:DWORD dst_unused:UNUSED_PAD src0_sel:WORD_0
	v_cvt_f32_u32_sdwa v6, v9 dst_sel:DWORD dst_unused:UNUSED_PAD src0_sel:WORD_1
	v_cvt_f32_u32_sdwa v9, v9 dst_sel:DWORD dst_unused:UNUSED_PAD src0_sel:WORD_0
	;; [unrolled: 2-line block ×4, first 2 shown]
	v_cndmask_b32_e32 v13, 0, v13, vcc
	v_cndmask_b32_e32 v7, 0, v6, vcc
	;; [unrolled: 1-line block ×5, first 2 shown]
	v_mul_f32_e32 v15, v13, v13
	v_cndmask_b32_e32 v10, 0, v10, vcc
	v_fmac_f32_e32 v15, v12, v12
	v_cndmask_b32_e32 v11, 0, v11, vcc
	v_fmac_f32_e32 v15, v10, v10
	;; [unrolled: 2-line block ×3, first 2 shown]
	v_fmac_f32_e32 v15, v8, v8
	v_fmac_f32_e32 v15, v9, v9
	;; [unrolled: 1-line block ×4, first 2 shown]
	s_nop 1
	v_mov_b32_dpp v16, v15 quad_perm:[1,0,3,2] row_mask:0xf bank_mask:0xf
	v_add_f32_e32 v15, v15, v16
	s_nop 1
	v_mov_b32_dpp v16, v15 quad_perm:[2,3,0,1] row_mask:0xf bank_mask:0xf
	v_add_f32_e32 v15, v15, v16
	s_nop 1
	v_mov_b32_dpp v16, v15 row_half_mirror row_mask:0xf bank_mask:0xf
	v_add_f32_e32 v15, v15, v16
	s_nop 1
	v_mov_b32_dpp v16, v15 row_mirror row_mask:0xf bank_mask:0xf
	v_add_f32_e32 v15, v15, v16
	s_nop 1
	v_mov_b32_dpp v16, v15 row_bcast:15 row_mask:0xf bank_mask:0xf
	v_add_f32_e32 v15, v15, v16
	s_nop 1
	v_mov_b32_dpp v16, v15 row_bcast:31 row_mask:0xf bank_mask:0xf
	s_and_saveexec_b64 s[2:3], s[0:1]
	s_cbranch_execz .LBB564_22
; %bb.21:
	v_lshrrev_b32_e32 v0, 4, v0
	v_add_f32_e32 v15, v15, v16
	v_and_b32_e32 v0, 60, v0
	ds_write_b32 v0, v15
.LBB564_22:
	s_or_b64 exec, exec, s[2:3]
	s_waitcnt lgkmcnt(0)
	s_barrier
	ds_read_b32 v0, v14
	s_waitcnt lgkmcnt(0)
	s_nop 0
	v_mov_b32_dpp v14, v0 quad_perm:[1,0,3,2] row_mask:0xf bank_mask:0xf
	v_add_f32_e32 v0, v0, v14
	s_nop 1
	v_mov_b32_dpp v14, v0 quad_perm:[2,3,0,1] row_mask:0xf bank_mask:0xf
	s_and_saveexec_b64 s[0:1], vcc
	s_cbranch_execz .LBB564_10
; %bb.23:
	v_cvt_f32_u32_e32 v15, s16
	v_add_f32_e32 v0, v0, v14
	s_mov_b32 s11, 0x20000
	v_div_scale_f32 v14, s[0:1], v15, v15, v0
	v_rcp_f32_e32 v16, v14
	v_div_scale_f32 v17, vcc, v0, v15, v0
	s_mov_b32 s0, 0x800000
	v_fma_f32 v18, -v14, v16, 1.0
	v_fmac_f32_e32 v16, v18, v16
	v_mul_f32_e32 v18, v17, v16
	v_fma_f32 v19, -v14, v18, v17
	v_fmac_f32_e32 v18, v19, v16
	v_fma_f32 v14, -v14, v18, v17
	v_div_fmas_f32 v14, v14, v16, v18
	v_div_fixup_f32 v0, v14, v15, v0
	v_add_f32_e32 v0, s13, v0
	v_mul_f32_e32 v14, 0x4b800000, v0
	v_cmp_gt_f32_e32 vcc, s0, v0
	v_cndmask_b32_e32 v0, v0, v14, vcc
	v_rsq_f32_e32 v0, v0
	s_waitcnt vmcnt(0)
	v_cvt_f32_u32_sdwa v17, v2 dst_sel:DWORD dst_unused:UNUSED_PAD src0_sel:WORD_1
	v_cvt_f32_u32_sdwa v16, v2 dst_sel:DWORD dst_unused:UNUSED_PAD src0_sel:WORD_0
	v_cvt_f32_u32_sdwa v19, v3 dst_sel:DWORD dst_unused:UNUSED_PAD src0_sel:WORD_1
	v_mul_f32_e32 v14, 0x45800000, v0
	v_cndmask_b32_e32 v14, v0, v14, vcc
	v_mov_b32_e32 v15, v14
	;;#ASMSTART
	v_pk_mul_f32 v[12:13], v[12:13], v[14:15]
	;;#ASMEND
	;;#ASMSTART
	v_pk_mul_f32 v[10:11], v[10:11], v[14:15]
	;;#ASMEND
	;; [unrolled: 3-line block ×3, first 2 shown]
	v_cvt_f32_u32_sdwa v18, v3 dst_sel:DWORD dst_unused:UNUSED_PAD src0_sel:WORD_0
	;;#ASMSTART
	v_pk_mul_f32 v[2:3], v[6:7], v[14:15]
	;;#ASMEND
	v_cvt_f32_u32_sdwa v15, v4 dst_sel:DWORD dst_unused:UNUSED_PAD src0_sel:WORD_1
	v_cvt_f32_u32_sdwa v14, v4 dst_sel:DWORD dst_unused:UNUSED_PAD src0_sel:WORD_0
	v_pk_add_f32 v[6:7], v[16:17], 1.0 op_sel_hi:[1,0]
	v_cvt_f32_u32_sdwa v17, v5 dst_sel:DWORD dst_unused:UNUSED_PAD src0_sel:WORD_1
	v_cvt_f32_u32_sdwa v16, v5 dst_sel:DWORD dst_unused:UNUSED_PAD src0_sel:WORD_0
	s_mul_hi_i32 s1, s27, s6
	s_mul_i32 s0, s27, s6
	s_lshl_b64 s[0:1], s[0:1], 1
	s_add_u32 s8, s14, s0
	;;#ASMSTART
	v_pk_mul_f32 v[6:7], v[12:13], v[6:7]
	;;#ASMEND
	v_pk_add_f32 v[12:13], v[18:19], 1.0 op_sel_hi:[1,0]
	;;#ASMSTART
	v_pk_mul_f32 v[4:5], v[10:11], v[12:13]
	;;#ASMEND
	v_pk_add_f32 v[10:11], v[14:15], 1.0 op_sel_hi:[1,0]
	s_addc_u32 s0, s15, s1
	;;#ASMSTART
	v_pk_mul_f32 v[8:9], v[8:9], v[10:11]
	;;#ASMEND
	v_pk_add_f32 v[10:11], v[16:17], 1.0 op_sel_hi:[1,0]
	s_and_b32 s9, s0, 0xffff
	s_mov_b32 s0, 0x7060302
	;;#ASMSTART
	v_pk_mul_f32 v[10:11], v[2:3], v[10:11]
	;;#ASMEND
	v_perm_b32 v2, v7, v6, s0
	v_perm_b32 v3, v5, v4, s0
	;; [unrolled: 1-line block ×4, first 2 shown]
	buffer_store_dwordx4 v[2:5], v1, s[8:11], 0 offen
	;;#ASMSTART
	s_nop 0
	;;#ASMEND
	s_endpgm
	.section	.rodata,"a",@progbits
	.p2align	6, 0x0
	.amdhsa_kernel _ZN5aiter35fused_qk_rmsnorm_group_quant_kernelItN4opus5fp4_tELi256ELi8ELi4ELb0ELb1ELb1ELb1ELb0ELb0EEEvPT0_PvPT_S7_S7_PKS6_S9_S9_S9_S9_ffiiiiiiiiiiiii
		.amdhsa_group_segment_fixed_size 32
		.amdhsa_private_segment_fixed_size 0
		.amdhsa_kernarg_size 400
		.amdhsa_user_sgpr_count 6
		.amdhsa_user_sgpr_private_segment_buffer 1
		.amdhsa_user_sgpr_dispatch_ptr 0
		.amdhsa_user_sgpr_queue_ptr 0
		.amdhsa_user_sgpr_kernarg_segment_ptr 1
		.amdhsa_user_sgpr_dispatch_id 0
		.amdhsa_user_sgpr_flat_scratch_init 0
		.amdhsa_user_sgpr_kernarg_preload_length 0
		.amdhsa_user_sgpr_kernarg_preload_offset 0
		.amdhsa_user_sgpr_private_segment_size 0
		.amdhsa_uses_dynamic_stack 0
		.amdhsa_system_sgpr_private_segment_wavefront_offset 0
		.amdhsa_system_sgpr_workgroup_id_x 1
		.amdhsa_system_sgpr_workgroup_id_y 1
		.amdhsa_system_sgpr_workgroup_id_z 0
		.amdhsa_system_sgpr_workgroup_info 0
		.amdhsa_system_vgpr_workitem_id 0
		.amdhsa_next_free_vgpr 23
		.amdhsa_next_free_sgpr 32
		.amdhsa_accum_offset 24
		.amdhsa_reserve_vcc 1
		.amdhsa_reserve_flat_scratch 0
		.amdhsa_float_round_mode_32 0
		.amdhsa_float_round_mode_16_64 0
		.amdhsa_float_denorm_mode_32 3
		.amdhsa_float_denorm_mode_16_64 3
		.amdhsa_dx10_clamp 1
		.amdhsa_ieee_mode 1
		.amdhsa_fp16_overflow 0
		.amdhsa_tg_split 0
		.amdhsa_exception_fp_ieee_invalid_op 0
		.amdhsa_exception_fp_denorm_src 0
		.amdhsa_exception_fp_ieee_div_zero 0
		.amdhsa_exception_fp_ieee_overflow 0
		.amdhsa_exception_fp_ieee_underflow 0
		.amdhsa_exception_fp_ieee_inexact 0
		.amdhsa_exception_int_div_zero 0
	.end_amdhsa_kernel
	.section	.text._ZN5aiter35fused_qk_rmsnorm_group_quant_kernelItN4opus5fp4_tELi256ELi8ELi4ELb0ELb1ELb1ELb1ELb0ELb0EEEvPT0_PvPT_S7_S7_PKS6_S9_S9_S9_S9_ffiiiiiiiiiiiii,"axG",@progbits,_ZN5aiter35fused_qk_rmsnorm_group_quant_kernelItN4opus5fp4_tELi256ELi8ELi4ELb0ELb1ELb1ELb1ELb0ELb0EEEvPT0_PvPT_S7_S7_PKS6_S9_S9_S9_S9_ffiiiiiiiiiiiii,comdat
.Lfunc_end564:
	.size	_ZN5aiter35fused_qk_rmsnorm_group_quant_kernelItN4opus5fp4_tELi256ELi8ELi4ELb0ELb1ELb1ELb1ELb0ELb0EEEvPT0_PvPT_S7_S7_PKS6_S9_S9_S9_S9_ffiiiiiiiiiiiii, .Lfunc_end564-_ZN5aiter35fused_qk_rmsnorm_group_quant_kernelItN4opus5fp4_tELi256ELi8ELi4ELb0ELb1ELb1ELb1ELb0ELb0EEEvPT0_PvPT_S7_S7_PKS6_S9_S9_S9_S9_ffiiiiiiiiiiiii
                                        ; -- End function
	.section	.AMDGPU.csdata,"",@progbits
; Kernel info:
; codeLenInByte = 2092
; NumSgprs: 36
; NumVgprs: 23
; NumAgprs: 0
; TotalNumVgprs: 23
; ScratchSize: 0
; MemoryBound: 0
; FloatMode: 240
; IeeeMode: 1
; LDSByteSize: 32 bytes/workgroup (compile time only)
; SGPRBlocks: 4
; VGPRBlocks: 2
; NumSGPRsForWavesPerEU: 36
; NumVGPRsForWavesPerEU: 23
; AccumOffset: 24
; Occupancy: 8
; WaveLimiterHint : 0
; COMPUTE_PGM_RSRC2:SCRATCH_EN: 0
; COMPUTE_PGM_RSRC2:USER_SGPR: 6
; COMPUTE_PGM_RSRC2:TRAP_HANDLER: 0
; COMPUTE_PGM_RSRC2:TGID_X_EN: 1
; COMPUTE_PGM_RSRC2:TGID_Y_EN: 1
; COMPUTE_PGM_RSRC2:TGID_Z_EN: 0
; COMPUTE_PGM_RSRC2:TIDIG_COMP_CNT: 0
; COMPUTE_PGM_RSRC3_GFX90A:ACCUM_OFFSET: 5
; COMPUTE_PGM_RSRC3_GFX90A:TG_SPLIT: 0
	.section	.text._ZN5aiter35fused_qk_rmsnorm_group_quant_kernelIDF16_DB8_Li256ELi8ELi4ELb0ELb1ELb0ELb1ELb0ELb0EEEvPT0_PvPT_S6_S6_PKS5_S8_S8_S8_S8_ffiiiiiiiiiiiii,"axG",@progbits,_ZN5aiter35fused_qk_rmsnorm_group_quant_kernelIDF16_DB8_Li256ELi8ELi4ELb0ELb1ELb0ELb1ELb0ELb0EEEvPT0_PvPT_S6_S6_PKS5_S8_S8_S8_S8_ffiiiiiiiiiiiii,comdat
	.protected	_ZN5aiter35fused_qk_rmsnorm_group_quant_kernelIDF16_DB8_Li256ELi8ELi4ELb0ELb1ELb0ELb1ELb0ELb0EEEvPT0_PvPT_S6_S6_PKS5_S8_S8_S8_S8_ffiiiiiiiiiiiii ; -- Begin function _ZN5aiter35fused_qk_rmsnorm_group_quant_kernelIDF16_DB8_Li256ELi8ELi4ELb0ELb1ELb0ELb1ELb0ELb0EEEvPT0_PvPT_S6_S6_PKS5_S8_S8_S8_S8_ffiiiiiiiiiiiii
	.globl	_ZN5aiter35fused_qk_rmsnorm_group_quant_kernelIDF16_DB8_Li256ELi8ELi4ELb0ELb1ELb0ELb1ELb0ELb0EEEvPT0_PvPT_S6_S6_PKS5_S8_S8_S8_S8_ffiiiiiiiiiiiii
	.p2align	8
	.type	_ZN5aiter35fused_qk_rmsnorm_group_quant_kernelIDF16_DB8_Li256ELi8ELi4ELb0ELb1ELb0ELb1ELb0ELb0EEEvPT0_PvPT_S6_S6_PKS5_S8_S8_S8_S8_ffiiiiiiiiiiiii,@function
_ZN5aiter35fused_qk_rmsnorm_group_quant_kernelIDF16_DB8_Li256ELi8ELi4ELb0ELb1ELb0ELb1ELb0ELb0EEEvPT0_PvPT_S6_S6_PKS5_S8_S8_S8_S8_ffiiiiiiiiiiiii: ; @_ZN5aiter35fused_qk_rmsnorm_group_quant_kernelIDF16_DB8_Li256ELi8ELi4ELb0ELb1ELb0ELb1ELb0ELb0EEEvPT0_PvPT_S6_S6_PKS5_S8_S8_S8_S8_ffiiiiiiiiiiiii
; %bb.0:
	s_load_dwordx4 s[12:15], s[4:5], 0x50
	s_waitcnt lgkmcnt(0)
	s_cmp_ge_i32 s6, s14
	s_cbranch_scc1 .LBB565_12
; %bb.1:
	s_load_dwordx2 s[24:25], s[4:5], 0x30
	s_load_dwordx2 s[8:9], s[4:5], 0x48
	s_load_dwordx4 s[16:19], s[4:5], 0x60
	s_cmp_lg_u32 s7, 0
	s_cselect_b64 s[10:11], -1, 0
	s_cmp_eq_u32 s7, 0
	s_cselect_b64 vcc, -1, 0
	s_and_b64 s[0:1], vcc, exec
	s_waitcnt lgkmcnt(0)
	s_cselect_b32 s7, s15, s16
	s_add_i32 s0, s7, 1
	s_lshr_b32 s1, s0, 31
	s_add_i32 s0, s0, s1
	s_lshl_b32 s0, s0, 1
	v_lshlrev_b32_e32 v1, 3, v0
	s_and_b32 s22, s0, -4
	v_cmp_gt_i32_e64 s[2:3], s7, v1
	v_mov_b32_e32 v10, 0
	v_mov_b32_e32 v2, 0
	;; [unrolled: 1-line block ×9, first 2 shown]
	s_and_saveexec_b64 s[0:1], s[2:3]
	s_cbranch_execz .LBB565_3
; %bb.2:
	s_load_dwordx2 s[14:15], s[4:5], 0x28
	s_load_dwordx2 s[20:21], s[4:5], 0x40
	s_and_b64 s[26:27], vcc, exec
	s_cselect_b32 s17, s17, s18
	v_lshlrev_b32_e32 v11, 4, v0
	s_waitcnt lgkmcnt(0)
	s_cselect_b32 s19, s15, s25
	s_cselect_b32 s23, s14, s24
	s_mul_hi_i32 s15, s17, s6
	s_mul_i32 s14, s17, s6
	s_lshl_b64 s[14:15], s[14:15], 1
	s_add_u32 s28, s23, s14
	s_addc_u32 s17, s19, s15
	s_and_b64 s[14:15], vcc, exec
	s_mov_b32 s23, 0x20000
	s_cselect_b32 s20, s20, s8
	s_cselect_b32 s14, s21, s9
	s_and_b32 s29, s17, 0xffff
	s_mov_b32 s30, s22
	s_mov_b32 s31, s23
	s_and_b32 s21, s14, 0xffff
	buffer_load_dwordx4 v[6:9], v11, s[28:31], 0 offen glc slc
	buffer_load_dwordx4 v[2:5], v11, s[20:23], 0 offen
.LBB565_3:
	s_or_b64 exec, exec, s[0:1]
	v_mov_b32_e32 v11, 0
	v_mov_b32_e32 v12, 0
	;; [unrolled: 1-line block ×7, first 2 shown]
	s_and_saveexec_b64 s[0:1], s[2:3]
	s_cbranch_execz .LBB565_5
; %bb.4:
	s_waitcnt vmcnt(1)
	v_cvt_f32_f16_sdwa v11, v6 dst_sel:DWORD dst_unused:UNUSED_PAD src0_sel:WORD_1
	v_cvt_f32_f16_e32 v10, v6
	v_cvt_f32_f16_sdwa v13, v7 dst_sel:DWORD dst_unused:UNUSED_PAD src0_sel:WORD_1
	v_cvt_f32_f16_e32 v12, v7
	;; [unrolled: 2-line block ×4, first 2 shown]
.LBB565_5:
	s_or_b64 exec, exec, s[0:1]
	s_waitcnt vmcnt(1)
	v_mul_f32_e32 v6, v11, v11
	v_fmac_f32_e32 v6, v10, v10
	v_fmac_f32_e32 v6, v12, v12
	;; [unrolled: 1-line block ×7, first 2 shown]
	v_and_b32_e32 v8, 63, v0
	v_cmp_eq_u32_e64 s[0:1], 63, v8
	v_mov_b32_dpp v7, v6 quad_perm:[1,0,3,2] row_mask:0xf bank_mask:0xf
	v_add_f32_e32 v6, v6, v7
	s_nop 1
	v_mov_b32_dpp v7, v6 quad_perm:[2,3,0,1] row_mask:0xf bank_mask:0xf
	v_add_f32_e32 v6, v6, v7
	s_nop 1
	v_mov_b32_dpp v7, v6 row_half_mirror row_mask:0xf bank_mask:0xf
	v_add_f32_e32 v6, v6, v7
	s_nop 1
	v_mov_b32_dpp v7, v6 row_mirror row_mask:0xf bank_mask:0xf
	v_add_f32_e32 v6, v6, v7
	s_nop 1
	v_mov_b32_dpp v7, v6 row_bcast:15 row_mask:0xf bank_mask:0xf
	v_add_f32_e32 v6, v6, v7
	s_nop 1
	v_mov_b32_dpp v7, v6 row_bcast:31 row_mask:0xf bank_mask:0xf
	s_and_saveexec_b64 s[14:15], s[0:1]
	s_cbranch_execz .LBB565_7
; %bb.6:
	v_add_f32_e32 v6, v6, v7
	v_lshrrev_b32_e32 v7, 4, v0
	v_and_b32_e32 v7, 60, v7
	ds_write_b32 v7, v6 offset:16
.LBB565_7:
	s_or_b64 exec, exec, s[14:15]
	v_and_b32_e32 v6, 3, v0
	v_lshlrev_b32_e32 v18, 2, v6
	s_waitcnt lgkmcnt(0)
	s_barrier
	ds_read_b32 v6, v18 offset:16
	s_load_dwordx2 s[14:15], s[4:5], 0x18
	s_waitcnt lgkmcnt(0)
	v_mov_b32_dpp v7, v6 quad_perm:[1,0,3,2] row_mask:0xf bank_mask:0xf
	v_add_f32_e32 v6, v6, v7
	s_nop 1
	v_mov_b32_dpp v7, v6 quad_perm:[2,3,0,1] row_mask:0xf bank_mask:0xf
	s_and_saveexec_b64 s[20:21], s[2:3]
	s_cbranch_execz .LBB565_9
; %bb.8:
	v_cvt_f32_u32_e32 v8, s7
	v_add_f32_e32 v6, v6, v7
	v_mov_b32_e32 v19, s13
	v_mov_b32_e32 v20, s12
	v_div_scale_f32 v7, s[26:27], v8, v8, v6
	v_rcp_f32_e32 v9, v7
	v_cndmask_b32_e32 v19, v19, v20, vcc
	s_mov_b32 s7, 0x800000
	v_fma_f32 v20, -v7, v9, 1.0
	v_fmac_f32_e32 v9, v20, v9
	v_div_scale_f32 v20, vcc, v6, v8, v6
	v_mul_f32_e32 v21, v20, v9
	v_fma_f32 v22, -v7, v21, v20
	v_fmac_f32_e32 v21, v22, v9
	v_fma_f32 v7, -v7, v21, v20
	v_div_fmas_f32 v7, v7, v9, v21
	v_div_fixup_f32 v6, v7, v8, v6
	v_add_f32_e32 v6, v19, v6
	v_mul_f32_e32 v7, 0x4b800000, v6
	v_cmp_gt_f32_e32 vcc, s7, v6
	v_cndmask_b32_e32 v6, v6, v7, vcc
	v_rsq_f32_e32 v6, v6
	s_waitcnt vmcnt(0)
	v_cvt_f32_f16_sdwa v21, v5 dst_sel:DWORD dst_unused:UNUSED_PAD src0_sel:WORD_1
	v_cvt_f32_f16_e32 v20, v5
	v_mul_f32_e32 v7, 0x45800000, v6
	v_cndmask_b32_e32 v6, v6, v7, vcc
	v_mov_b32_e32 v7, v6
	;;#ASMSTART
	v_pk_mul_f32 v[8:9], v[10:11], v[6:7]
	;;#ASMEND
	;;#ASMSTART
	v_pk_mul_f32 v[12:13], v[12:13], v[6:7]
	;;#ASMEND
	;; [unrolled: 3-line block ×4, first 2 shown]
	v_cvt_f32_f16_sdwa v11, v2 dst_sel:DWORD dst_unused:UNUSED_PAD src0_sel:WORD_1
	v_cvt_f32_f16_e32 v10, v2
	v_cvt_f32_f16_sdwa v17, v3 dst_sel:DWORD dst_unused:UNUSED_PAD src0_sel:WORD_1
	v_cvt_f32_f16_e32 v16, v3
	;; [unrolled: 2-line block ×3, first 2 shown]
	;;#ASMSTART
	v_pk_mul_f32 v[10:11], v[8:9], v[10:11]
	;;#ASMEND
	;;#ASMSTART
	v_pk_mul_f32 v[12:13], v[12:13], v[16:17]
	;;#ASMEND
	;; [unrolled: 3-line block ×4, first 2 shown]
.LBB565_9:
	s_or_b64 exec, exec, s[20:21]
	s_load_dwordx2 s[26:27], s[4:5], 0x7c
	s_mov_b64 s[20:21], -1
	s_and_b64 vcc, exec, s[10:11]
	s_cbranch_vccnz .LBB565_13
; %bb.10:
	s_andn2_b64 vcc, exec, s[20:21]
	s_cbranch_vccz .LBB565_16
.LBB565_11:
	s_cmp_lt_i32 s16, 1
	s_cbranch_scc0 .LBB565_19
.LBB565_12:
	s_endpgm
.LBB565_13:
	s_and_saveexec_b64 s[10:11], s[2:3]
	s_cbranch_execz .LBB565_15
; %bb.14:
	s_waitcnt lgkmcnt(0)
	s_mul_hi_i32 s21, s27, s6
	s_mul_i32 s20, s27, s6
	s_waitcnt vmcnt(0)
	v_cvt_f16_f32_e32 v2, v10
	v_cvt_f16_f32_e32 v3, v12
	;; [unrolled: 1-line block ×8, first 2 shown]
	s_lshl_b64 s[20:21], s[20:21], 1
	s_add_u32 s20, s14, s20
	s_addc_u32 s7, s15, s21
	s_and_b32 s21, s7, 0xffff
	s_mov_b32 s23, 0x20000
	v_pack_b32_f16 v5, v5, v6
	v_pack_b32_f16 v4, v4, v7
	;; [unrolled: 1-line block ×4, first 2 shown]
	v_lshlrev_b32_e32 v6, 4, v0
	buffer_store_dwordx4 v[2:5], v6, s[20:23], 0 offen
	;;#ASMSTART
	s_nop 0
	;;#ASMEND
.LBB565_15:
	s_or_b64 exec, exec, s[10:11]
	s_cbranch_execnz .LBB565_11
.LBB565_16:
	s_and_saveexec_b64 s[10:11], s[2:3]
	s_cbranch_execz .LBB565_18
; %bb.17:
	s_load_dwordx2 s[2:3], s[4:5], 0x10
	s_waitcnt lgkmcnt(0)
	s_mul_hi_i32 s21, s26, s6
	s_mul_i32 s20, s26, s6
	s_waitcnt vmcnt(0)
	v_cvt_f16_f32_e32 v2, v10
	v_cvt_f16_f32_e32 v3, v12
	;; [unrolled: 1-line block ×8, first 2 shown]
	s_lshl_b64 s[20:21], s[20:21], 1
	s_add_u32 s20, s2, s20
	s_addc_u32 s2, s3, s21
	s_mov_b32 s23, 0x20000
	s_and_b32 s21, s2, 0xffff
	v_pack_b32_f16 v5, v5, v6
	v_pack_b32_f16 v4, v4, v7
	;; [unrolled: 1-line block ×4, first 2 shown]
	v_lshlrev_b32_e32 v6, 4, v0
	buffer_store_dwordx4 v[2:5], v6, s[20:23], 0 offen
	;;#ASMSTART
	s_nop 0
	;;#ASMEND
.LBB565_18:
	s_or_b64 exec, exec, s[10:11]
	s_cmp_lt_i32 s16, 1
	s_cbranch_scc1 .LBB565_12
.LBB565_19:
	s_load_dword s2, s[4:5], 0x94
	s_waitcnt lgkmcnt(0)
	s_cmp_lg_u32 s2, 1
	s_cbranch_scc1 .LBB565_12
; %bb.20:
	s_lshl_b32 s2, s16, 1
	s_add_i32 s2, s2, 2
	v_cmp_gt_u32_e32 vcc, s16, v1
	s_and_b32 s10, s2, -4
	v_mov_b32_e32 v10, 0
	v_lshlrev_b32_e32 v1, 4, v0
	v_mov_b32_e32 v6, 0
	v_mov_b32_e32 v7, 0
	;; [unrolled: 1-line block ×4, first 2 shown]
	s_waitcnt vmcnt(0)
	v_mov_b32_e32 v2, 0
	v_mov_b32_e32 v3, 0
	;; [unrolled: 1-line block ×4, first 2 shown]
	s_barrier
	s_and_saveexec_b64 s[2:3], vcc
	s_cbranch_execz .LBB565_22
; %bb.21:
	s_mul_hi_i32 s5, s18, s6
	s_mul_i32 s4, s18, s6
	s_and_b32 s9, s9, 0xffff
	s_lshl_b64 s[4:5], s[4:5], 1
	s_add_u32 s20, s24, s4
	s_mov_b32 s11, 0x20000
	s_addc_u32 s4, s25, s5
	s_and_b32 s21, s4, 0xffff
	s_mov_b32 s22, s10
	s_mov_b32 s23, s11
	buffer_load_dwordx4 v[6:9], v1, s[20:23], 0 offen glc slc
	buffer_load_dwordx4 v[2:5], v1, s[8:11], 0 offen
.LBB565_22:
	s_or_b64 exec, exec, s[2:3]
	v_mov_b32_e32 v11, 0
	v_mov_b32_e32 v16, 0
	v_mov_b32_e32 v17, 0
	v_mov_b32_e32 v14, 0
	v_mov_b32_e32 v15, 0
	v_mov_b32_e32 v12, 0
	v_mov_b32_e32 v13, 0
	s_and_saveexec_b64 s[2:3], vcc
	s_cbranch_execz .LBB565_24
; %bb.23:
	s_waitcnt vmcnt(1)
	v_cvt_f32_f16_sdwa v11, v6 dst_sel:DWORD dst_unused:UNUSED_PAD src0_sel:WORD_1
	v_cvt_f32_f16_e32 v10, v6
	v_cvt_f32_f16_sdwa v17, v7 dst_sel:DWORD dst_unused:UNUSED_PAD src0_sel:WORD_1
	v_cvt_f32_f16_e32 v16, v7
	;; [unrolled: 2-line block ×4, first 2 shown]
.LBB565_24:
	s_or_b64 exec, exec, s[2:3]
	s_waitcnt vmcnt(1)
	v_mul_f32_e32 v6, v11, v11
	v_fmac_f32_e32 v6, v10, v10
	v_fmac_f32_e32 v6, v16, v16
	;; [unrolled: 1-line block ×7, first 2 shown]
	s_nop 1
	v_mov_b32_dpp v7, v6 quad_perm:[1,0,3,2] row_mask:0xf bank_mask:0xf
	v_add_f32_e32 v6, v6, v7
	s_nop 1
	v_mov_b32_dpp v7, v6 quad_perm:[2,3,0,1] row_mask:0xf bank_mask:0xf
	v_add_f32_e32 v6, v6, v7
	s_nop 1
	v_mov_b32_dpp v7, v6 row_half_mirror row_mask:0xf bank_mask:0xf
	v_add_f32_e32 v6, v6, v7
	s_nop 1
	v_mov_b32_dpp v7, v6 row_mirror row_mask:0xf bank_mask:0xf
	v_add_f32_e32 v6, v6, v7
	s_nop 1
	v_mov_b32_dpp v7, v6 row_bcast:15 row_mask:0xf bank_mask:0xf
	v_add_f32_e32 v6, v6, v7
	s_nop 1
	v_mov_b32_dpp v7, v6 row_bcast:31 row_mask:0xf bank_mask:0xf
	s_and_saveexec_b64 s[2:3], s[0:1]
	s_cbranch_execz .LBB565_26
; %bb.25:
	v_lshrrev_b32_e32 v0, 4, v0
	v_add_f32_e32 v6, v6, v7
	v_and_b32_e32 v0, 60, v0
	ds_write_b32 v0, v6
.LBB565_26:
	s_or_b64 exec, exec, s[2:3]
	s_waitcnt lgkmcnt(0)
	s_barrier
	ds_read_b32 v0, v18
	s_waitcnt lgkmcnt(0)
	s_nop 0
	v_mov_b32_dpp v6, v0 quad_perm:[1,0,3,2] row_mask:0xf bank_mask:0xf
	v_add_f32_e32 v0, v0, v6
	s_nop 1
	v_mov_b32_dpp v6, v0 quad_perm:[2,3,0,1] row_mask:0xf bank_mask:0xf
	s_and_saveexec_b64 s[0:1], vcc
	s_cbranch_execz .LBB565_12
; %bb.27:
	v_cvt_f32_u32_e32 v7, s16
	v_add_f32_e32 v0, v0, v6
	s_mov_b32 s11, 0x20000
	v_div_scale_f32 v6, s[0:1], v7, v7, v0
	v_rcp_f32_e32 v8, v6
	v_div_scale_f32 v9, vcc, v0, v7, v0
	s_mov_b32 s0, 0x800000
	v_fma_f32 v18, -v6, v8, 1.0
	v_fmac_f32_e32 v8, v18, v8
	v_mul_f32_e32 v18, v9, v8
	v_fma_f32 v19, -v6, v18, v9
	v_fmac_f32_e32 v18, v19, v8
	v_fma_f32 v6, -v6, v18, v9
	v_div_fmas_f32 v6, v6, v8, v18
	v_div_fixup_f32 v0, v6, v7, v0
	v_add_f32_e32 v0, s13, v0
	v_mul_f32_e32 v6, 0x4b800000, v0
	v_cmp_gt_f32_e32 vcc, s0, v0
	v_cndmask_b32_e32 v0, v0, v6, vcc
	v_rsq_f32_e32 v0, v0
	s_waitcnt vmcnt(0)
	v_cvt_f32_f16_sdwa v19, v5 dst_sel:DWORD dst_unused:UNUSED_PAD src0_sel:WORD_1
	v_cvt_f32_f16_e32 v18, v5
	s_mul_hi_i32 s1, s27, s6
	v_mul_f32_e32 v6, 0x45800000, v0
	v_cndmask_b32_e32 v6, v0, v6, vcc
	v_mov_b32_e32 v7, v6
	;;#ASMSTART
	v_pk_mul_f32 v[8:9], v[10:11], v[6:7]
	;;#ASMEND
	;;#ASMSTART
	v_pk_mul_f32 v[10:11], v[16:17], v[6:7]
	;;#ASMEND
	;; [unrolled: 3-line block ×4, first 2 shown]
	v_cvt_f32_f16_sdwa v13, v2 dst_sel:DWORD dst_unused:UNUSED_PAD src0_sel:WORD_1
	v_cvt_f32_f16_e32 v12, v2
	v_cvt_f32_f16_sdwa v17, v3 dst_sel:DWORD dst_unused:UNUSED_PAD src0_sel:WORD_1
	v_cvt_f32_f16_e32 v16, v3
	;; [unrolled: 2-line block ×3, first 2 shown]
	;;#ASMSTART
	v_pk_mul_f32 v[4:5], v[8:9], v[12:13]
	;;#ASMEND
	;;#ASMSTART
	v_pk_mul_f32 v[8:9], v[10:11], v[16:17]
	;;#ASMEND
	;; [unrolled: 3-line block ×4, first 2 shown]
	s_mul_i32 s0, s27, s6
	v_cvt_f16_f32_e32 v0, v4
	v_cvt_f16_f32_e32 v4, v5
	;; [unrolled: 1-line block ×8, first 2 shown]
	s_lshl_b64 s[0:1], s[0:1], 1
	s_add_u32 s8, s14, s0
	s_addc_u32 s0, s15, s1
	s_and_b32 s9, s0, 0xffff
	v_pack_b32_f16 v2, v0, v4
	v_pack_b32_f16 v3, v5, v8
	;; [unrolled: 1-line block ×4, first 2 shown]
	buffer_store_dwordx4 v[2:5], v1, s[8:11], 0 offen
	;;#ASMSTART
	s_nop 0
	;;#ASMEND
	s_endpgm
	.section	.rodata,"a",@progbits
	.p2align	6, 0x0
	.amdhsa_kernel _ZN5aiter35fused_qk_rmsnorm_group_quant_kernelIDF16_DB8_Li256ELi8ELi4ELb0ELb1ELb0ELb1ELb0ELb0EEEvPT0_PvPT_S6_S6_PKS5_S8_S8_S8_S8_ffiiiiiiiiiiiii
		.amdhsa_group_segment_fixed_size 32
		.amdhsa_private_segment_fixed_size 0
		.amdhsa_kernarg_size 400
		.amdhsa_user_sgpr_count 6
		.amdhsa_user_sgpr_private_segment_buffer 1
		.amdhsa_user_sgpr_dispatch_ptr 0
		.amdhsa_user_sgpr_queue_ptr 0
		.amdhsa_user_sgpr_kernarg_segment_ptr 1
		.amdhsa_user_sgpr_dispatch_id 0
		.amdhsa_user_sgpr_flat_scratch_init 0
		.amdhsa_user_sgpr_kernarg_preload_length 0
		.amdhsa_user_sgpr_kernarg_preload_offset 0
		.amdhsa_user_sgpr_private_segment_size 0
		.amdhsa_uses_dynamic_stack 0
		.amdhsa_system_sgpr_private_segment_wavefront_offset 0
		.amdhsa_system_sgpr_workgroup_id_x 1
		.amdhsa_system_sgpr_workgroup_id_y 1
		.amdhsa_system_sgpr_workgroup_id_z 0
		.amdhsa_system_sgpr_workgroup_info 0
		.amdhsa_system_vgpr_workitem_id 0
		.amdhsa_next_free_vgpr 23
		.amdhsa_next_free_sgpr 32
		.amdhsa_accum_offset 24
		.amdhsa_reserve_vcc 1
		.amdhsa_reserve_flat_scratch 0
		.amdhsa_float_round_mode_32 0
		.amdhsa_float_round_mode_16_64 0
		.amdhsa_float_denorm_mode_32 3
		.amdhsa_float_denorm_mode_16_64 3
		.amdhsa_dx10_clamp 1
		.amdhsa_ieee_mode 1
		.amdhsa_fp16_overflow 0
		.amdhsa_tg_split 0
		.amdhsa_exception_fp_ieee_invalid_op 0
		.amdhsa_exception_fp_denorm_src 0
		.amdhsa_exception_fp_ieee_div_zero 0
		.amdhsa_exception_fp_ieee_overflow 0
		.amdhsa_exception_fp_ieee_underflow 0
		.amdhsa_exception_fp_ieee_inexact 0
		.amdhsa_exception_int_div_zero 0
	.end_amdhsa_kernel
	.section	.text._ZN5aiter35fused_qk_rmsnorm_group_quant_kernelIDF16_DB8_Li256ELi8ELi4ELb0ELb1ELb0ELb1ELb0ELb0EEEvPT0_PvPT_S6_S6_PKS5_S8_S8_S8_S8_ffiiiiiiiiiiiii,"axG",@progbits,_ZN5aiter35fused_qk_rmsnorm_group_quant_kernelIDF16_DB8_Li256ELi8ELi4ELb0ELb1ELb0ELb1ELb0ELb0EEEvPT0_PvPT_S6_S6_PKS5_S8_S8_S8_S8_ffiiiiiiiiiiiii,comdat
.Lfunc_end565:
	.size	_ZN5aiter35fused_qk_rmsnorm_group_quant_kernelIDF16_DB8_Li256ELi8ELi4ELb0ELb1ELb0ELb1ELb0ELb0EEEvPT0_PvPT_S6_S6_PKS5_S8_S8_S8_S8_ffiiiiiiiiiiiii, .Lfunc_end565-_ZN5aiter35fused_qk_rmsnorm_group_quant_kernelIDF16_DB8_Li256ELi8ELi4ELb0ELb1ELb0ELb1ELb0ELb0EEEvPT0_PvPT_S6_S6_PKS5_S8_S8_S8_S8_ffiiiiiiiiiiiii
                                        ; -- End function
	.section	.AMDGPU.csdata,"",@progbits
; Kernel info:
; codeLenInByte = 2036
; NumSgprs: 36
; NumVgprs: 23
; NumAgprs: 0
; TotalNumVgprs: 23
; ScratchSize: 0
; MemoryBound: 0
; FloatMode: 240
; IeeeMode: 1
; LDSByteSize: 32 bytes/workgroup (compile time only)
; SGPRBlocks: 4
; VGPRBlocks: 2
; NumSGPRsForWavesPerEU: 36
; NumVGPRsForWavesPerEU: 23
; AccumOffset: 24
; Occupancy: 8
; WaveLimiterHint : 0
; COMPUTE_PGM_RSRC2:SCRATCH_EN: 0
; COMPUTE_PGM_RSRC2:USER_SGPR: 6
; COMPUTE_PGM_RSRC2:TRAP_HANDLER: 0
; COMPUTE_PGM_RSRC2:TGID_X_EN: 1
; COMPUTE_PGM_RSRC2:TGID_Y_EN: 1
; COMPUTE_PGM_RSRC2:TGID_Z_EN: 0
; COMPUTE_PGM_RSRC2:TIDIG_COMP_CNT: 0
; COMPUTE_PGM_RSRC3_GFX90A:ACCUM_OFFSET: 5
; COMPUTE_PGM_RSRC3_GFX90A:TG_SPLIT: 0
	.section	.text._ZN5aiter35fused_qk_rmsnorm_group_quant_kernelItDB8_Li256ELi8ELi4ELb0ELb1ELb0ELb1ELb0ELb0EEEvPT0_PvPT_S6_S6_PKS5_S8_S8_S8_S8_ffiiiiiiiiiiiii,"axG",@progbits,_ZN5aiter35fused_qk_rmsnorm_group_quant_kernelItDB8_Li256ELi8ELi4ELb0ELb1ELb0ELb1ELb0ELb0EEEvPT0_PvPT_S6_S6_PKS5_S8_S8_S8_S8_ffiiiiiiiiiiiii,comdat
	.protected	_ZN5aiter35fused_qk_rmsnorm_group_quant_kernelItDB8_Li256ELi8ELi4ELb0ELb1ELb0ELb1ELb0ELb0EEEvPT0_PvPT_S6_S6_PKS5_S8_S8_S8_S8_ffiiiiiiiiiiiii ; -- Begin function _ZN5aiter35fused_qk_rmsnorm_group_quant_kernelItDB8_Li256ELi8ELi4ELb0ELb1ELb0ELb1ELb0ELb0EEEvPT0_PvPT_S6_S6_PKS5_S8_S8_S8_S8_ffiiiiiiiiiiiii
	.globl	_ZN5aiter35fused_qk_rmsnorm_group_quant_kernelItDB8_Li256ELi8ELi4ELb0ELb1ELb0ELb1ELb0ELb0EEEvPT0_PvPT_S6_S6_PKS5_S8_S8_S8_S8_ffiiiiiiiiiiiii
	.p2align	8
	.type	_ZN5aiter35fused_qk_rmsnorm_group_quant_kernelItDB8_Li256ELi8ELi4ELb0ELb1ELb0ELb1ELb0ELb0EEEvPT0_PvPT_S6_S6_PKS5_S8_S8_S8_S8_ffiiiiiiiiiiiii,@function
_ZN5aiter35fused_qk_rmsnorm_group_quant_kernelItDB8_Li256ELi8ELi4ELb0ELb1ELb0ELb1ELb0ELb0EEEvPT0_PvPT_S6_S6_PKS5_S8_S8_S8_S8_ffiiiiiiiiiiiii: ; @_ZN5aiter35fused_qk_rmsnorm_group_quant_kernelItDB8_Li256ELi8ELi4ELb0ELb1ELb0ELb1ELb0ELb0EEEvPT0_PvPT_S6_S6_PKS5_S8_S8_S8_S8_ffiiiiiiiiiiiii
; %bb.0:
	s_load_dwordx4 s[12:15], s[4:5], 0x50
	s_waitcnt lgkmcnt(0)
	s_cmp_ge_i32 s6, s14
	s_cbranch_scc1 .LBB566_10
; %bb.1:
	s_load_dwordx2 s[24:25], s[4:5], 0x30
	s_load_dwordx2 s[8:9], s[4:5], 0x48
	s_load_dwordx4 s[16:19], s[4:5], 0x60
	s_cmp_lg_u32 s7, 0
	s_cselect_b64 s[10:11], -1, 0
	s_cmp_eq_u32 s7, 0
	s_cselect_b64 vcc, -1, 0
	s_and_b64 s[0:1], vcc, exec
	s_waitcnt lgkmcnt(0)
	s_cselect_b32 s7, s15, s16
	s_add_i32 s0, s7, 1
	s_lshr_b32 s1, s0, 31
	s_add_i32 s0, s0, s1
	s_lshl_b32 s0, s0, 1
	v_lshlrev_b32_e32 v1, 3, v0
	s_and_b32 s22, s0, -4
	v_cmp_gt_i32_e64 s[2:3], s7, v1
	v_mov_b32_e32 v2, 0
	v_mov_b32_e32 v3, 0
	;; [unrolled: 1-line block ×8, first 2 shown]
	s_and_saveexec_b64 s[0:1], s[2:3]
	s_cbranch_execz .LBB566_3
; %bb.2:
	s_load_dwordx2 s[14:15], s[4:5], 0x28
	s_load_dwordx2 s[20:21], s[4:5], 0x40
	s_and_b64 s[26:27], vcc, exec
	s_cselect_b32 s17, s17, s18
	v_lshlrev_b32_e32 v10, 4, v0
	s_waitcnt lgkmcnt(0)
	s_cselect_b32 s19, s15, s25
	s_cselect_b32 s23, s14, s24
	s_mul_hi_i32 s15, s17, s6
	s_mul_i32 s14, s17, s6
	s_lshl_b64 s[14:15], s[14:15], 1
	s_add_u32 s28, s23, s14
	s_addc_u32 s17, s19, s15
	s_and_b64 s[14:15], vcc, exec
	s_mov_b32 s23, 0x20000
	s_cselect_b32 s20, s20, s8
	s_cselect_b32 s14, s21, s9
	s_and_b32 s29, s17, 0xffff
	s_mov_b32 s30, s22
	s_mov_b32 s31, s23
	s_and_b32 s21, s14, 0xffff
	buffer_load_dwordx4 v[6:9], v10, s[28:31], 0 offen glc slc
	buffer_load_dwordx4 v[2:5], v10, s[20:23], 0 offen
.LBB566_3:
	s_or_b64 exec, exec, s[0:1]
	s_waitcnt vmcnt(1)
	v_cvt_f32_u32_sdwa v13, v6 dst_sel:DWORD dst_unused:UNUSED_PAD src0_sel:WORD_1
	v_cvt_f32_u32_sdwa v12, v6 dst_sel:DWORD dst_unused:UNUSED_PAD src0_sel:WORD_0
	v_cvt_f32_u32_sdwa v6, v9 dst_sel:DWORD dst_unused:UNUSED_PAD src0_sel:WORD_1
	v_cvt_f32_u32_sdwa v9, v9 dst_sel:DWORD dst_unused:UNUSED_PAD src0_sel:WORD_0
	;; [unrolled: 2-line block ×4, first 2 shown]
	v_cndmask_b32_e64 v13, 0, v13, s[2:3]
	v_cndmask_b32_e64 v7, 0, v6, s[2:3]
	;; [unrolled: 1-line block ×5, first 2 shown]
	v_mul_f32_e32 v14, v13, v13
	v_cndmask_b32_e64 v10, 0, v10, s[2:3]
	v_fmac_f32_e32 v14, v12, v12
	v_cndmask_b32_e64 v11, 0, v11, s[2:3]
	v_fmac_f32_e32 v14, v10, v10
	;; [unrolled: 2-line block ×3, first 2 shown]
	v_fmac_f32_e32 v14, v8, v8
	v_fmac_f32_e32 v14, v9, v9
	v_fmac_f32_e32 v14, v6, v6
	v_fmac_f32_e32 v14, v7, v7
	v_and_b32_e32 v16, 63, v0
	v_cmp_eq_u32_e64 s[0:1], 63, v16
	v_mov_b32_dpp v15, v14 quad_perm:[1,0,3,2] row_mask:0xf bank_mask:0xf
	v_add_f32_e32 v14, v14, v15
	s_nop 1
	v_mov_b32_dpp v15, v14 quad_perm:[2,3,0,1] row_mask:0xf bank_mask:0xf
	v_add_f32_e32 v14, v14, v15
	s_nop 1
	v_mov_b32_dpp v15, v14 row_half_mirror row_mask:0xf bank_mask:0xf
	v_add_f32_e32 v14, v14, v15
	s_nop 1
	v_mov_b32_dpp v15, v14 row_mirror row_mask:0xf bank_mask:0xf
	v_add_f32_e32 v14, v14, v15
	s_nop 1
	v_mov_b32_dpp v15, v14 row_bcast:15 row_mask:0xf bank_mask:0xf
	v_add_f32_e32 v14, v14, v15
	s_nop 1
	v_mov_b32_dpp v15, v14 row_bcast:31 row_mask:0xf bank_mask:0xf
	s_and_saveexec_b64 s[14:15], s[0:1]
	s_cbranch_execz .LBB566_5
; %bb.4:
	v_add_f32_e32 v14, v14, v15
	v_lshrrev_b32_e32 v15, 4, v0
	v_and_b32_e32 v15, 60, v15
	ds_write_b32 v15, v14 offset:16
.LBB566_5:
	s_or_b64 exec, exec, s[14:15]
	v_and_b32_e32 v14, 3, v0
	v_lshlrev_b32_e32 v14, 2, v14
	s_waitcnt lgkmcnt(0)
	s_barrier
	ds_read_b32 v15, v14 offset:16
	s_load_dwordx2 s[14:15], s[4:5], 0x18
	s_waitcnt lgkmcnt(0)
	v_mov_b32_dpp v16, v15 quad_perm:[1,0,3,2] row_mask:0xf bank_mask:0xf
	v_add_f32_e32 v15, v15, v16
	s_nop 1
	v_mov_b32_dpp v16, v15 quad_perm:[2,3,0,1] row_mask:0xf bank_mask:0xf
	s_and_saveexec_b64 s[20:21], s[2:3]
	s_cbranch_execz .LBB566_7
; %bb.6:
	v_cvt_f32_u32_e32 v17, s7
	v_add_f32_e32 v15, v15, v16
	v_mov_b32_e32 v19, s13
	v_mov_b32_e32 v20, s12
	v_div_scale_f32 v16, s[26:27], v17, v17, v15
	v_rcp_f32_e32 v18, v16
	v_cndmask_b32_e32 v19, v19, v20, vcc
	s_mov_b32 s7, 0x800000
	v_fma_f32 v20, -v16, v18, 1.0
	v_fmac_f32_e32 v18, v20, v18
	v_div_scale_f32 v20, vcc, v15, v17, v15
	v_mul_f32_e32 v21, v20, v18
	v_fma_f32 v22, -v16, v21, v20
	v_fmac_f32_e32 v21, v22, v18
	v_fma_f32 v16, -v16, v21, v20
	v_div_fmas_f32 v16, v16, v18, v21
	v_div_fixup_f32 v15, v16, v17, v15
	v_add_f32_e32 v15, v19, v15
	v_mul_f32_e32 v16, 0x4b800000, v15
	v_cmp_gt_f32_e32 vcc, s7, v15
	v_cndmask_b32_e32 v15, v15, v16, vcc
	v_rsq_f32_e32 v15, v15
	s_waitcnt vmcnt(0)
	v_cvt_f32_u32_sdwa v19, v3 dst_sel:DWORD dst_unused:UNUSED_PAD src0_sel:WORD_1
	v_cvt_f32_u32_sdwa v18, v3 dst_sel:DWORD dst_unused:UNUSED_PAD src0_sel:WORD_0
	v_cvt_f32_u32_sdwa v3, v4 dst_sel:DWORD dst_unused:UNUSED_PAD src0_sel:WORD_1
	v_mul_f32_e32 v16, 0x45800000, v15
	v_cndmask_b32_e32 v16, v15, v16, vcc
	v_mov_b32_e32 v17, v16
	;;#ASMSTART
	v_pk_mul_f32 v[12:13], v[12:13], v[16:17]
	;;#ASMEND
	;;#ASMSTART
	v_pk_mul_f32 v[10:11], v[10:11], v[16:17]
	;;#ASMEND
	;;#ASMSTART
	v_pk_mul_f32 v[8:9], v[8:9], v[16:17]
	;;#ASMEND
	;;#ASMSTART
	v_pk_mul_f32 v[6:7], v[6:7], v[16:17]
	;;#ASMEND
	v_cvt_f32_u32_sdwa v17, v2 dst_sel:DWORD dst_unused:UNUSED_PAD src0_sel:WORD_1
	v_cvt_f32_u32_sdwa v16, v2 dst_sel:DWORD dst_unused:UNUSED_PAD src0_sel:WORD_0
	v_cvt_f32_u32_sdwa v2, v4 dst_sel:DWORD dst_unused:UNUSED_PAD src0_sel:WORD_0
	v_cvt_f32_u32_sdwa v21, v5 dst_sel:DWORD dst_unused:UNUSED_PAD src0_sel:WORD_1
	v_cvt_f32_u32_sdwa v20, v5 dst_sel:DWORD dst_unused:UNUSED_PAD src0_sel:WORD_0
	;;#ASMSTART
	v_pk_mul_f32 v[12:13], v[12:13], v[16:17]
	;;#ASMEND
	;;#ASMSTART
	v_pk_mul_f32 v[10:11], v[10:11], v[18:19]
	;;#ASMEND
	;; [unrolled: 3-line block ×4, first 2 shown]
.LBB566_7:
	s_or_b64 exec, exec, s[20:21]
	s_load_dwordx2 s[26:27], s[4:5], 0x7c
	s_mov_b64 s[20:21], -1
	s_and_b64 vcc, exec, s[10:11]
	s_cbranch_vccnz .LBB566_11
; %bb.8:
	s_andn2_b64 vcc, exec, s[20:21]
	s_cbranch_vccz .LBB566_14
.LBB566_9:
	s_cmp_lt_i32 s16, 1
	s_cbranch_scc0 .LBB566_17
.LBB566_10:
	s_endpgm
.LBB566_11:
	s_and_saveexec_b64 s[10:11], s[2:3]
	s_cbranch_execz .LBB566_13
; %bb.12:
	s_waitcnt lgkmcnt(0)
	s_mul_hi_i32 s21, s27, s6
	s_mul_i32 s20, s27, s6
	s_lshl_b64 s[20:21], s[20:21], 1
	s_add_u32 s20, s14, s20
	s_addc_u32 s7, s15, s21
	s_and_b32 s21, s7, 0xffff
	s_mov_b32 s7, 0x7060302
	s_mov_b32 s23, 0x20000
	s_waitcnt vmcnt(0)
	v_perm_b32 v2, v13, v12, s7
	v_perm_b32 v3, v11, v10, s7
	;; [unrolled: 1-line block ×4, first 2 shown]
	v_lshlrev_b32_e32 v15, 4, v0
	buffer_store_dwordx4 v[2:5], v15, s[20:23], 0 offen
	;;#ASMSTART
	s_nop 0
	;;#ASMEND
.LBB566_13:
	s_or_b64 exec, exec, s[10:11]
	s_cbranch_execnz .LBB566_9
.LBB566_14:
	s_and_saveexec_b64 s[10:11], s[2:3]
	s_cbranch_execz .LBB566_16
; %bb.15:
	s_load_dwordx2 s[2:3], s[4:5], 0x10
	s_waitcnt lgkmcnt(0)
	s_mul_hi_i32 s21, s26, s6
	s_mul_i32 s20, s26, s6
	s_lshl_b64 s[20:21], s[20:21], 1
	s_mov_b32 s23, 0x20000
	s_add_u32 s20, s2, s20
	s_addc_u32 s2, s3, s21
	s_and_b32 s21, s2, 0xffff
	s_mov_b32 s2, 0x7060302
	s_waitcnt vmcnt(0)
	v_perm_b32 v2, v13, v12, s2
	v_perm_b32 v3, v11, v10, s2
	v_perm_b32 v4, v9, v8, s2
	v_perm_b32 v5, v7, v6, s2
	v_lshlrev_b32_e32 v6, 4, v0
	buffer_store_dwordx4 v[2:5], v6, s[20:23], 0 offen
	;;#ASMSTART
	s_nop 0
	;;#ASMEND
.LBB566_16:
	s_or_b64 exec, exec, s[10:11]
	s_cmp_lt_i32 s16, 1
	s_cbranch_scc1 .LBB566_10
.LBB566_17:
	s_load_dword s2, s[4:5], 0x94
	s_waitcnt lgkmcnt(0)
	s_cmp_lg_u32 s2, 1
	s_cbranch_scc1 .LBB566_10
; %bb.18:
	s_lshl_b32 s2, s16, 1
	s_add_i32 s2, s2, 2
	v_cmp_gt_u32_e32 vcc, s16, v1
	s_and_b32 s10, s2, -4
	v_mov_b32_e32 v6, 0
	v_lshlrev_b32_e32 v1, 4, v0
	v_mov_b32_e32 v7, 0
	v_mov_b32_e32 v8, 0
	;; [unrolled: 1-line block ×3, first 2 shown]
	s_waitcnt vmcnt(0)
	v_mov_b32_e32 v2, 0
	v_mov_b32_e32 v3, 0
	;; [unrolled: 1-line block ×4, first 2 shown]
	s_barrier
	s_and_saveexec_b64 s[2:3], vcc
	s_cbranch_execz .LBB566_20
; %bb.19:
	s_mul_hi_i32 s5, s18, s6
	s_mul_i32 s4, s18, s6
	s_and_b32 s9, s9, 0xffff
	s_lshl_b64 s[4:5], s[4:5], 1
	s_add_u32 s20, s24, s4
	s_mov_b32 s11, 0x20000
	s_addc_u32 s4, s25, s5
	s_and_b32 s21, s4, 0xffff
	s_mov_b32 s22, s10
	s_mov_b32 s23, s11
	buffer_load_dwordx4 v[6:9], v1, s[20:23], 0 offen glc slc
	buffer_load_dwordx4 v[2:5], v1, s[8:11], 0 offen
.LBB566_20:
	s_or_b64 exec, exec, s[2:3]
	s_waitcnt vmcnt(1)
	v_cvt_f32_u32_sdwa v13, v6 dst_sel:DWORD dst_unused:UNUSED_PAD src0_sel:WORD_1
	v_cvt_f32_u32_sdwa v12, v6 dst_sel:DWORD dst_unused:UNUSED_PAD src0_sel:WORD_0
	v_cvt_f32_u32_sdwa v6, v9 dst_sel:DWORD dst_unused:UNUSED_PAD src0_sel:WORD_1
	v_cvt_f32_u32_sdwa v9, v9 dst_sel:DWORD dst_unused:UNUSED_PAD src0_sel:WORD_0
	;; [unrolled: 2-line block ×4, first 2 shown]
	v_cndmask_b32_e32 v13, 0, v13, vcc
	v_cndmask_b32_e32 v7, 0, v6, vcc
	;; [unrolled: 1-line block ×5, first 2 shown]
	v_mul_f32_e32 v15, v13, v13
	v_cndmask_b32_e32 v10, 0, v10, vcc
	v_fmac_f32_e32 v15, v12, v12
	v_cndmask_b32_e32 v11, 0, v11, vcc
	v_fmac_f32_e32 v15, v10, v10
	;; [unrolled: 2-line block ×3, first 2 shown]
	v_fmac_f32_e32 v15, v8, v8
	v_fmac_f32_e32 v15, v9, v9
	;; [unrolled: 1-line block ×4, first 2 shown]
	s_nop 1
	v_mov_b32_dpp v16, v15 quad_perm:[1,0,3,2] row_mask:0xf bank_mask:0xf
	v_add_f32_e32 v15, v15, v16
	s_nop 1
	v_mov_b32_dpp v16, v15 quad_perm:[2,3,0,1] row_mask:0xf bank_mask:0xf
	v_add_f32_e32 v15, v15, v16
	s_nop 1
	v_mov_b32_dpp v16, v15 row_half_mirror row_mask:0xf bank_mask:0xf
	v_add_f32_e32 v15, v15, v16
	s_nop 1
	v_mov_b32_dpp v16, v15 row_mirror row_mask:0xf bank_mask:0xf
	v_add_f32_e32 v15, v15, v16
	s_nop 1
	v_mov_b32_dpp v16, v15 row_bcast:15 row_mask:0xf bank_mask:0xf
	v_add_f32_e32 v15, v15, v16
	s_nop 1
	v_mov_b32_dpp v16, v15 row_bcast:31 row_mask:0xf bank_mask:0xf
	s_and_saveexec_b64 s[2:3], s[0:1]
	s_cbranch_execz .LBB566_22
; %bb.21:
	v_lshrrev_b32_e32 v0, 4, v0
	v_add_f32_e32 v15, v15, v16
	v_and_b32_e32 v0, 60, v0
	ds_write_b32 v0, v15
.LBB566_22:
	s_or_b64 exec, exec, s[2:3]
	s_waitcnt lgkmcnt(0)
	s_barrier
	ds_read_b32 v0, v14
	s_waitcnt lgkmcnt(0)
	s_nop 0
	v_mov_b32_dpp v14, v0 quad_perm:[1,0,3,2] row_mask:0xf bank_mask:0xf
	v_add_f32_e32 v0, v0, v14
	s_nop 1
	v_mov_b32_dpp v14, v0 quad_perm:[2,3,0,1] row_mask:0xf bank_mask:0xf
	s_and_saveexec_b64 s[0:1], vcc
	s_cbranch_execz .LBB566_10
; %bb.23:
	v_cvt_f32_u32_e32 v15, s16
	v_add_f32_e32 v0, v0, v14
	s_mov_b32 s11, 0x20000
	v_div_scale_f32 v14, s[0:1], v15, v15, v0
	v_rcp_f32_e32 v16, v14
	v_div_scale_f32 v17, vcc, v0, v15, v0
	s_mov_b32 s0, 0x800000
	v_fma_f32 v18, -v14, v16, 1.0
	v_fmac_f32_e32 v16, v18, v16
	v_mul_f32_e32 v18, v17, v16
	v_fma_f32 v19, -v14, v18, v17
	v_fmac_f32_e32 v18, v19, v16
	v_fma_f32 v14, -v14, v18, v17
	v_div_fmas_f32 v14, v14, v16, v18
	v_div_fixup_f32 v0, v14, v15, v0
	v_add_f32_e32 v0, s13, v0
	v_mul_f32_e32 v14, 0x4b800000, v0
	v_cmp_gt_f32_e32 vcc, s0, v0
	v_cndmask_b32_e32 v0, v0, v14, vcc
	v_rsq_f32_e32 v0, v0
	s_mul_hi_i32 s1, s27, s6
	s_mul_i32 s0, s27, s6
	s_lshl_b64 s[0:1], s[0:1], 1
	v_mul_f32_e32 v14, 0x45800000, v0
	v_cndmask_b32_e32 v14, v0, v14, vcc
	s_add_u32 s8, s14, s0
	v_mov_b32_e32 v15, v14
	s_addc_u32 s0, s15, s1
	;;#ASMSTART
	v_pk_mul_f32 v[12:13], v[12:13], v[14:15]
	;;#ASMEND
	;;#ASMSTART
	v_pk_mul_f32 v[10:11], v[10:11], v[14:15]
	;;#ASMEND
	;; [unrolled: 3-line block ×4, first 2 shown]
	s_waitcnt vmcnt(0)
	v_cvt_f32_u32_sdwa v15, v2 dst_sel:DWORD dst_unused:UNUSED_PAD src0_sel:WORD_1
	v_cvt_f32_u32_sdwa v14, v2 dst_sel:DWORD dst_unused:UNUSED_PAD src0_sel:WORD_0
	v_cvt_f32_u32_sdwa v17, v3 dst_sel:DWORD dst_unused:UNUSED_PAD src0_sel:WORD_1
	v_cvt_f32_u32_sdwa v16, v3 dst_sel:DWORD dst_unused:UNUSED_PAD src0_sel:WORD_0
	;; [unrolled: 2-line block ×4, first 2 shown]
	;;#ASMSTART
	v_pk_mul_f32 v[4:5], v[12:13], v[14:15]
	;;#ASMEND
	s_and_b32 s9, s0, 0xffff
	s_mov_b32 s0, 0x7060302
	;;#ASMSTART
	v_pk_mul_f32 v[10:11], v[10:11], v[16:17]
	;;#ASMEND
	;;#ASMSTART
	v_pk_mul_f32 v[8:9], v[8:9], v[2:3]
	;;#ASMEND
	;; [unrolled: 3-line block ×3, first 2 shown]
	v_perm_b32 v2, v5, v4, s0
	v_perm_b32 v3, v11, v10, s0
	;; [unrolled: 1-line block ×4, first 2 shown]
	buffer_store_dwordx4 v[2:5], v1, s[8:11], 0 offen
	;;#ASMSTART
	s_nop 0
	;;#ASMEND
	s_endpgm
	.section	.rodata,"a",@progbits
	.p2align	6, 0x0
	.amdhsa_kernel _ZN5aiter35fused_qk_rmsnorm_group_quant_kernelItDB8_Li256ELi8ELi4ELb0ELb1ELb0ELb1ELb0ELb0EEEvPT0_PvPT_S6_S6_PKS5_S8_S8_S8_S8_ffiiiiiiiiiiiii
		.amdhsa_group_segment_fixed_size 32
		.amdhsa_private_segment_fixed_size 0
		.amdhsa_kernarg_size 400
		.amdhsa_user_sgpr_count 6
		.amdhsa_user_sgpr_private_segment_buffer 1
		.amdhsa_user_sgpr_dispatch_ptr 0
		.amdhsa_user_sgpr_queue_ptr 0
		.amdhsa_user_sgpr_kernarg_segment_ptr 1
		.amdhsa_user_sgpr_dispatch_id 0
		.amdhsa_user_sgpr_flat_scratch_init 0
		.amdhsa_user_sgpr_kernarg_preload_length 0
		.amdhsa_user_sgpr_kernarg_preload_offset 0
		.amdhsa_user_sgpr_private_segment_size 0
		.amdhsa_uses_dynamic_stack 0
		.amdhsa_system_sgpr_private_segment_wavefront_offset 0
		.amdhsa_system_sgpr_workgroup_id_x 1
		.amdhsa_system_sgpr_workgroup_id_y 1
		.amdhsa_system_sgpr_workgroup_id_z 0
		.amdhsa_system_sgpr_workgroup_info 0
		.amdhsa_system_vgpr_workitem_id 0
		.amdhsa_next_free_vgpr 23
		.amdhsa_next_free_sgpr 32
		.amdhsa_accum_offset 24
		.amdhsa_reserve_vcc 1
		.amdhsa_reserve_flat_scratch 0
		.amdhsa_float_round_mode_32 0
		.amdhsa_float_round_mode_16_64 0
		.amdhsa_float_denorm_mode_32 3
		.amdhsa_float_denorm_mode_16_64 3
		.amdhsa_dx10_clamp 1
		.amdhsa_ieee_mode 1
		.amdhsa_fp16_overflow 0
		.amdhsa_tg_split 0
		.amdhsa_exception_fp_ieee_invalid_op 0
		.amdhsa_exception_fp_denorm_src 0
		.amdhsa_exception_fp_ieee_div_zero 0
		.amdhsa_exception_fp_ieee_overflow 0
		.amdhsa_exception_fp_ieee_underflow 0
		.amdhsa_exception_fp_ieee_inexact 0
		.amdhsa_exception_int_div_zero 0
	.end_amdhsa_kernel
	.section	.text._ZN5aiter35fused_qk_rmsnorm_group_quant_kernelItDB8_Li256ELi8ELi4ELb0ELb1ELb0ELb1ELb0ELb0EEEvPT0_PvPT_S6_S6_PKS5_S8_S8_S8_S8_ffiiiiiiiiiiiii,"axG",@progbits,_ZN5aiter35fused_qk_rmsnorm_group_quant_kernelItDB8_Li256ELi8ELi4ELb0ELb1ELb0ELb1ELb0ELb0EEEvPT0_PvPT_S6_S6_PKS5_S8_S8_S8_S8_ffiiiiiiiiiiiii,comdat
.Lfunc_end566:
	.size	_ZN5aiter35fused_qk_rmsnorm_group_quant_kernelItDB8_Li256ELi8ELi4ELb0ELb1ELb0ELb1ELb0ELb0EEEvPT0_PvPT_S6_S6_PKS5_S8_S8_S8_S8_ffiiiiiiiiiiiii, .Lfunc_end566-_ZN5aiter35fused_qk_rmsnorm_group_quant_kernelItDB8_Li256ELi8ELi4ELb0ELb1ELb0ELb1ELb0ELb0EEEvPT0_PvPT_S6_S6_PKS5_S8_S8_S8_S8_ffiiiiiiiiiiiii
                                        ; -- End function
	.section	.AMDGPU.csdata,"",@progbits
; Kernel info:
; codeLenInByte = 2028
; NumSgprs: 36
; NumVgprs: 23
; NumAgprs: 0
; TotalNumVgprs: 23
; ScratchSize: 0
; MemoryBound: 0
; FloatMode: 240
; IeeeMode: 1
; LDSByteSize: 32 bytes/workgroup (compile time only)
; SGPRBlocks: 4
; VGPRBlocks: 2
; NumSGPRsForWavesPerEU: 36
; NumVGPRsForWavesPerEU: 23
; AccumOffset: 24
; Occupancy: 8
; WaveLimiterHint : 0
; COMPUTE_PGM_RSRC2:SCRATCH_EN: 0
; COMPUTE_PGM_RSRC2:USER_SGPR: 6
; COMPUTE_PGM_RSRC2:TRAP_HANDLER: 0
; COMPUTE_PGM_RSRC2:TGID_X_EN: 1
; COMPUTE_PGM_RSRC2:TGID_Y_EN: 1
; COMPUTE_PGM_RSRC2:TGID_Z_EN: 0
; COMPUTE_PGM_RSRC2:TIDIG_COMP_CNT: 0
; COMPUTE_PGM_RSRC3_GFX90A:ACCUM_OFFSET: 5
; COMPUTE_PGM_RSRC3_GFX90A:TG_SPLIT: 0
	.section	.text._ZN5aiter35fused_qk_rmsnorm_group_quant_kernelIDF16_N4opus5fp4_tELi256ELi8ELi4ELb0ELb1ELb0ELb1ELb0ELb0EEEvPT0_PvPT_S7_S7_PKS6_S9_S9_S9_S9_ffiiiiiiiiiiiii,"axG",@progbits,_ZN5aiter35fused_qk_rmsnorm_group_quant_kernelIDF16_N4opus5fp4_tELi256ELi8ELi4ELb0ELb1ELb0ELb1ELb0ELb0EEEvPT0_PvPT_S7_S7_PKS6_S9_S9_S9_S9_ffiiiiiiiiiiiii,comdat
	.protected	_ZN5aiter35fused_qk_rmsnorm_group_quant_kernelIDF16_N4opus5fp4_tELi256ELi8ELi4ELb0ELb1ELb0ELb1ELb0ELb0EEEvPT0_PvPT_S7_S7_PKS6_S9_S9_S9_S9_ffiiiiiiiiiiiii ; -- Begin function _ZN5aiter35fused_qk_rmsnorm_group_quant_kernelIDF16_N4opus5fp4_tELi256ELi8ELi4ELb0ELb1ELb0ELb1ELb0ELb0EEEvPT0_PvPT_S7_S7_PKS6_S9_S9_S9_S9_ffiiiiiiiiiiiii
	.globl	_ZN5aiter35fused_qk_rmsnorm_group_quant_kernelIDF16_N4opus5fp4_tELi256ELi8ELi4ELb0ELb1ELb0ELb1ELb0ELb0EEEvPT0_PvPT_S7_S7_PKS6_S9_S9_S9_S9_ffiiiiiiiiiiiii
	.p2align	8
	.type	_ZN5aiter35fused_qk_rmsnorm_group_quant_kernelIDF16_N4opus5fp4_tELi256ELi8ELi4ELb0ELb1ELb0ELb1ELb0ELb0EEEvPT0_PvPT_S7_S7_PKS6_S9_S9_S9_S9_ffiiiiiiiiiiiii,@function
_ZN5aiter35fused_qk_rmsnorm_group_quant_kernelIDF16_N4opus5fp4_tELi256ELi8ELi4ELb0ELb1ELb0ELb1ELb0ELb0EEEvPT0_PvPT_S7_S7_PKS6_S9_S9_S9_S9_ffiiiiiiiiiiiii: ; @_ZN5aiter35fused_qk_rmsnorm_group_quant_kernelIDF16_N4opus5fp4_tELi256ELi8ELi4ELb0ELb1ELb0ELb1ELb0ELb0EEEvPT0_PvPT_S7_S7_PKS6_S9_S9_S9_S9_ffiiiiiiiiiiiii
; %bb.0:
	s_load_dwordx4 s[12:15], s[4:5], 0x50
	s_waitcnt lgkmcnt(0)
	s_cmp_ge_i32 s6, s14
	s_cbranch_scc1 .LBB567_12
; %bb.1:
	s_load_dwordx2 s[24:25], s[4:5], 0x30
	s_load_dwordx2 s[8:9], s[4:5], 0x48
	s_load_dwordx4 s[16:19], s[4:5], 0x60
	s_cmp_lg_u32 s7, 0
	s_cselect_b64 s[10:11], -1, 0
	s_cmp_eq_u32 s7, 0
	s_cselect_b64 vcc, -1, 0
	s_and_b64 s[0:1], vcc, exec
	s_waitcnt lgkmcnt(0)
	s_cselect_b32 s7, s15, s16
	s_add_i32 s0, s7, 1
	s_lshr_b32 s1, s0, 31
	s_add_i32 s0, s0, s1
	s_lshl_b32 s0, s0, 1
	v_lshlrev_b32_e32 v1, 3, v0
	s_and_b32 s22, s0, -4
	v_cmp_gt_i32_e64 s[2:3], s7, v1
	v_mov_b32_e32 v10, 0
	v_mov_b32_e32 v2, 0
	;; [unrolled: 1-line block ×9, first 2 shown]
	s_and_saveexec_b64 s[0:1], s[2:3]
	s_cbranch_execz .LBB567_3
; %bb.2:
	s_load_dwordx2 s[14:15], s[4:5], 0x28
	s_load_dwordx2 s[20:21], s[4:5], 0x40
	s_and_b64 s[26:27], vcc, exec
	s_cselect_b32 s17, s17, s18
	v_lshlrev_b32_e32 v11, 4, v0
	s_waitcnt lgkmcnt(0)
	s_cselect_b32 s19, s15, s25
	s_cselect_b32 s23, s14, s24
	s_mul_hi_i32 s15, s17, s6
	s_mul_i32 s14, s17, s6
	s_lshl_b64 s[14:15], s[14:15], 1
	s_add_u32 s28, s23, s14
	s_addc_u32 s17, s19, s15
	s_and_b64 s[14:15], vcc, exec
	s_mov_b32 s23, 0x20000
	s_cselect_b32 s20, s20, s8
	s_cselect_b32 s14, s21, s9
	s_and_b32 s29, s17, 0xffff
	s_mov_b32 s30, s22
	s_mov_b32 s31, s23
	s_and_b32 s21, s14, 0xffff
	buffer_load_dwordx4 v[6:9], v11, s[28:31], 0 offen glc slc
	buffer_load_dwordx4 v[2:5], v11, s[20:23], 0 offen
.LBB567_3:
	s_or_b64 exec, exec, s[0:1]
	v_mov_b32_e32 v11, 0
	v_mov_b32_e32 v12, 0
	;; [unrolled: 1-line block ×7, first 2 shown]
	s_and_saveexec_b64 s[0:1], s[2:3]
	s_cbranch_execz .LBB567_5
; %bb.4:
	s_waitcnt vmcnt(1)
	v_cvt_f32_f16_sdwa v11, v6 dst_sel:DWORD dst_unused:UNUSED_PAD src0_sel:WORD_1
	v_cvt_f32_f16_e32 v10, v6
	v_cvt_f32_f16_sdwa v13, v7 dst_sel:DWORD dst_unused:UNUSED_PAD src0_sel:WORD_1
	v_cvt_f32_f16_e32 v12, v7
	;; [unrolled: 2-line block ×4, first 2 shown]
.LBB567_5:
	s_or_b64 exec, exec, s[0:1]
	s_waitcnt vmcnt(1)
	v_mul_f32_e32 v6, v11, v11
	v_fmac_f32_e32 v6, v10, v10
	v_fmac_f32_e32 v6, v12, v12
	;; [unrolled: 1-line block ×7, first 2 shown]
	v_and_b32_e32 v8, 63, v0
	v_cmp_eq_u32_e64 s[0:1], 63, v8
	v_mov_b32_dpp v7, v6 quad_perm:[1,0,3,2] row_mask:0xf bank_mask:0xf
	v_add_f32_e32 v6, v6, v7
	s_nop 1
	v_mov_b32_dpp v7, v6 quad_perm:[2,3,0,1] row_mask:0xf bank_mask:0xf
	v_add_f32_e32 v6, v6, v7
	s_nop 1
	v_mov_b32_dpp v7, v6 row_half_mirror row_mask:0xf bank_mask:0xf
	v_add_f32_e32 v6, v6, v7
	s_nop 1
	v_mov_b32_dpp v7, v6 row_mirror row_mask:0xf bank_mask:0xf
	v_add_f32_e32 v6, v6, v7
	s_nop 1
	v_mov_b32_dpp v7, v6 row_bcast:15 row_mask:0xf bank_mask:0xf
	v_add_f32_e32 v6, v6, v7
	s_nop 1
	v_mov_b32_dpp v7, v6 row_bcast:31 row_mask:0xf bank_mask:0xf
	s_and_saveexec_b64 s[14:15], s[0:1]
	s_cbranch_execz .LBB567_7
; %bb.6:
	v_add_f32_e32 v6, v6, v7
	v_lshrrev_b32_e32 v7, 4, v0
	v_and_b32_e32 v7, 60, v7
	ds_write_b32 v7, v6 offset:16
.LBB567_7:
	s_or_b64 exec, exec, s[14:15]
	v_and_b32_e32 v6, 3, v0
	v_lshlrev_b32_e32 v18, 2, v6
	s_waitcnt lgkmcnt(0)
	s_barrier
	ds_read_b32 v6, v18 offset:16
	s_load_dwordx2 s[14:15], s[4:5], 0x18
	s_waitcnt lgkmcnt(0)
	v_mov_b32_dpp v7, v6 quad_perm:[1,0,3,2] row_mask:0xf bank_mask:0xf
	v_add_f32_e32 v6, v6, v7
	s_nop 1
	v_mov_b32_dpp v7, v6 quad_perm:[2,3,0,1] row_mask:0xf bank_mask:0xf
	s_and_saveexec_b64 s[20:21], s[2:3]
	s_cbranch_execz .LBB567_9
; %bb.8:
	v_cvt_f32_u32_e32 v8, s7
	v_add_f32_e32 v6, v6, v7
	v_mov_b32_e32 v19, s13
	v_mov_b32_e32 v20, s12
	v_div_scale_f32 v7, s[26:27], v8, v8, v6
	v_rcp_f32_e32 v9, v7
	v_cndmask_b32_e32 v19, v19, v20, vcc
	s_mov_b32 s7, 0x800000
	v_fma_f32 v20, -v7, v9, 1.0
	v_fmac_f32_e32 v9, v20, v9
	v_div_scale_f32 v20, vcc, v6, v8, v6
	v_mul_f32_e32 v21, v20, v9
	v_fma_f32 v22, -v7, v21, v20
	v_fmac_f32_e32 v21, v22, v9
	v_fma_f32 v7, -v7, v21, v20
	v_div_fmas_f32 v7, v7, v9, v21
	v_div_fixup_f32 v6, v7, v8, v6
	v_add_f32_e32 v6, v19, v6
	v_mul_f32_e32 v7, 0x4b800000, v6
	v_cmp_gt_f32_e32 vcc, s7, v6
	v_cndmask_b32_e32 v6, v6, v7, vcc
	v_rsq_f32_e32 v6, v6
	s_waitcnt vmcnt(0)
	v_cvt_f32_f16_sdwa v21, v5 dst_sel:DWORD dst_unused:UNUSED_PAD src0_sel:WORD_1
	v_cvt_f32_f16_e32 v20, v5
	v_mul_f32_e32 v7, 0x45800000, v6
	v_cndmask_b32_e32 v6, v6, v7, vcc
	v_mov_b32_e32 v7, v6
	;;#ASMSTART
	v_pk_mul_f32 v[8:9], v[10:11], v[6:7]
	;;#ASMEND
	;;#ASMSTART
	v_pk_mul_f32 v[12:13], v[12:13], v[6:7]
	;;#ASMEND
	;; [unrolled: 3-line block ×4, first 2 shown]
	v_cvt_f32_f16_sdwa v11, v2 dst_sel:DWORD dst_unused:UNUSED_PAD src0_sel:WORD_1
	v_cvt_f32_f16_e32 v10, v2
	v_cvt_f32_f16_sdwa v17, v3 dst_sel:DWORD dst_unused:UNUSED_PAD src0_sel:WORD_1
	v_cvt_f32_f16_e32 v16, v3
	;; [unrolled: 2-line block ×3, first 2 shown]
	;;#ASMSTART
	v_pk_mul_f32 v[10:11], v[8:9], v[10:11]
	;;#ASMEND
	;;#ASMSTART
	v_pk_mul_f32 v[12:13], v[12:13], v[16:17]
	;;#ASMEND
	;;#ASMSTART
	v_pk_mul_f32 v[14:15], v[14:15], v[2:3]
	;;#ASMEND
	;;#ASMSTART
	v_pk_mul_f32 v[16:17], v[6:7], v[20:21]
	;;#ASMEND
.LBB567_9:
	s_or_b64 exec, exec, s[20:21]
	s_load_dwordx2 s[26:27], s[4:5], 0x7c
	s_mov_b64 s[20:21], -1
	s_and_b64 vcc, exec, s[10:11]
	s_cbranch_vccnz .LBB567_13
; %bb.10:
	s_andn2_b64 vcc, exec, s[20:21]
	s_cbranch_vccz .LBB567_16
.LBB567_11:
	s_cmp_lt_i32 s16, 1
	s_cbranch_scc0 .LBB567_19
.LBB567_12:
	s_endpgm
.LBB567_13:
	s_and_saveexec_b64 s[10:11], s[2:3]
	s_cbranch_execz .LBB567_15
; %bb.14:
	s_waitcnt lgkmcnt(0)
	s_mul_hi_i32 s21, s27, s6
	s_mul_i32 s20, s27, s6
	s_waitcnt vmcnt(0)
	v_cvt_f16_f32_e32 v2, v10
	v_cvt_f16_f32_e32 v3, v12
	;; [unrolled: 1-line block ×8, first 2 shown]
	s_lshl_b64 s[20:21], s[20:21], 1
	s_add_u32 s20, s14, s20
	s_addc_u32 s7, s15, s21
	s_and_b32 s21, s7, 0xffff
	s_mov_b32 s23, 0x20000
	v_pack_b32_f16 v5, v5, v6
	v_pack_b32_f16 v4, v4, v7
	;; [unrolled: 1-line block ×4, first 2 shown]
	v_lshlrev_b32_e32 v6, 4, v0
	buffer_store_dwordx4 v[2:5], v6, s[20:23], 0 offen
	;;#ASMSTART
	s_nop 0
	;;#ASMEND
.LBB567_15:
	s_or_b64 exec, exec, s[10:11]
	s_cbranch_execnz .LBB567_11
.LBB567_16:
	s_and_saveexec_b64 s[10:11], s[2:3]
	s_cbranch_execz .LBB567_18
; %bb.17:
	s_load_dwordx2 s[2:3], s[4:5], 0x10
	s_waitcnt lgkmcnt(0)
	s_mul_hi_i32 s21, s26, s6
	s_mul_i32 s20, s26, s6
	s_waitcnt vmcnt(0)
	v_cvt_f16_f32_e32 v2, v10
	v_cvt_f16_f32_e32 v3, v12
	;; [unrolled: 1-line block ×8, first 2 shown]
	s_lshl_b64 s[20:21], s[20:21], 1
	s_add_u32 s20, s2, s20
	s_addc_u32 s2, s3, s21
	s_mov_b32 s23, 0x20000
	s_and_b32 s21, s2, 0xffff
	v_pack_b32_f16 v5, v5, v6
	v_pack_b32_f16 v4, v4, v7
	;; [unrolled: 1-line block ×4, first 2 shown]
	v_lshlrev_b32_e32 v6, 4, v0
	buffer_store_dwordx4 v[2:5], v6, s[20:23], 0 offen
	;;#ASMSTART
	s_nop 0
	;;#ASMEND
.LBB567_18:
	s_or_b64 exec, exec, s[10:11]
	s_cmp_lt_i32 s16, 1
	s_cbranch_scc1 .LBB567_12
.LBB567_19:
	s_load_dword s2, s[4:5], 0x94
	s_waitcnt lgkmcnt(0)
	s_cmp_lg_u32 s2, 1
	s_cbranch_scc1 .LBB567_12
; %bb.20:
	s_lshl_b32 s2, s16, 1
	s_add_i32 s2, s2, 2
	v_cmp_gt_u32_e32 vcc, s16, v1
	s_and_b32 s10, s2, -4
	v_mov_b32_e32 v10, 0
	v_lshlrev_b32_e32 v1, 4, v0
	v_mov_b32_e32 v6, 0
	v_mov_b32_e32 v7, 0
	v_mov_b32_e32 v8, 0
	v_mov_b32_e32 v9, 0
	s_waitcnt vmcnt(0)
	v_mov_b32_e32 v2, 0
	v_mov_b32_e32 v3, 0
	;; [unrolled: 1-line block ×4, first 2 shown]
	s_barrier
	s_and_saveexec_b64 s[2:3], vcc
	s_cbranch_execz .LBB567_22
; %bb.21:
	s_mul_hi_i32 s5, s18, s6
	s_mul_i32 s4, s18, s6
	s_and_b32 s9, s9, 0xffff
	s_lshl_b64 s[4:5], s[4:5], 1
	s_add_u32 s20, s24, s4
	s_mov_b32 s11, 0x20000
	s_addc_u32 s4, s25, s5
	s_and_b32 s21, s4, 0xffff
	s_mov_b32 s22, s10
	s_mov_b32 s23, s11
	buffer_load_dwordx4 v[6:9], v1, s[20:23], 0 offen glc slc
	buffer_load_dwordx4 v[2:5], v1, s[8:11], 0 offen
.LBB567_22:
	s_or_b64 exec, exec, s[2:3]
	v_mov_b32_e32 v11, 0
	v_mov_b32_e32 v16, 0
	;; [unrolled: 1-line block ×7, first 2 shown]
	s_and_saveexec_b64 s[2:3], vcc
	s_cbranch_execz .LBB567_24
; %bb.23:
	s_waitcnt vmcnt(1)
	v_cvt_f32_f16_sdwa v11, v6 dst_sel:DWORD dst_unused:UNUSED_PAD src0_sel:WORD_1
	v_cvt_f32_f16_e32 v10, v6
	v_cvt_f32_f16_sdwa v17, v7 dst_sel:DWORD dst_unused:UNUSED_PAD src0_sel:WORD_1
	v_cvt_f32_f16_e32 v16, v7
	;; [unrolled: 2-line block ×4, first 2 shown]
.LBB567_24:
	s_or_b64 exec, exec, s[2:3]
	s_waitcnt vmcnt(1)
	v_mul_f32_e32 v6, v11, v11
	v_fmac_f32_e32 v6, v10, v10
	v_fmac_f32_e32 v6, v16, v16
	;; [unrolled: 1-line block ×7, first 2 shown]
	s_nop 1
	v_mov_b32_dpp v7, v6 quad_perm:[1,0,3,2] row_mask:0xf bank_mask:0xf
	v_add_f32_e32 v6, v6, v7
	s_nop 1
	v_mov_b32_dpp v7, v6 quad_perm:[2,3,0,1] row_mask:0xf bank_mask:0xf
	v_add_f32_e32 v6, v6, v7
	s_nop 1
	v_mov_b32_dpp v7, v6 row_half_mirror row_mask:0xf bank_mask:0xf
	v_add_f32_e32 v6, v6, v7
	s_nop 1
	v_mov_b32_dpp v7, v6 row_mirror row_mask:0xf bank_mask:0xf
	v_add_f32_e32 v6, v6, v7
	s_nop 1
	v_mov_b32_dpp v7, v6 row_bcast:15 row_mask:0xf bank_mask:0xf
	v_add_f32_e32 v6, v6, v7
	s_nop 1
	v_mov_b32_dpp v7, v6 row_bcast:31 row_mask:0xf bank_mask:0xf
	s_and_saveexec_b64 s[2:3], s[0:1]
	s_cbranch_execz .LBB567_26
; %bb.25:
	v_lshrrev_b32_e32 v0, 4, v0
	v_add_f32_e32 v6, v6, v7
	v_and_b32_e32 v0, 60, v0
	ds_write_b32 v0, v6
.LBB567_26:
	s_or_b64 exec, exec, s[2:3]
	s_waitcnt lgkmcnt(0)
	s_barrier
	ds_read_b32 v0, v18
	s_waitcnt lgkmcnt(0)
	s_nop 0
	v_mov_b32_dpp v6, v0 quad_perm:[1,0,3,2] row_mask:0xf bank_mask:0xf
	v_add_f32_e32 v0, v0, v6
	s_nop 1
	v_mov_b32_dpp v6, v0 quad_perm:[2,3,0,1] row_mask:0xf bank_mask:0xf
	s_and_saveexec_b64 s[0:1], vcc
	s_cbranch_execz .LBB567_12
; %bb.27:
	v_cvt_f32_u32_e32 v7, s16
	v_add_f32_e32 v0, v0, v6
	s_mov_b32 s11, 0x20000
	v_div_scale_f32 v6, s[0:1], v7, v7, v0
	v_rcp_f32_e32 v8, v6
	v_div_scale_f32 v9, vcc, v0, v7, v0
	s_mov_b32 s0, 0x800000
	v_fma_f32 v18, -v6, v8, 1.0
	v_fmac_f32_e32 v8, v18, v8
	v_mul_f32_e32 v18, v9, v8
	v_fma_f32 v19, -v6, v18, v9
	v_fmac_f32_e32 v18, v19, v8
	v_fma_f32 v6, -v6, v18, v9
	v_div_fmas_f32 v6, v6, v8, v18
	v_div_fixup_f32 v0, v6, v7, v0
	v_add_f32_e32 v0, s13, v0
	v_mul_f32_e32 v6, 0x4b800000, v0
	v_cmp_gt_f32_e32 vcc, s0, v0
	v_cndmask_b32_e32 v0, v0, v6, vcc
	v_rsq_f32_e32 v0, v0
	s_waitcnt vmcnt(0)
	v_cvt_f32_f16_sdwa v19, v5 dst_sel:DWORD dst_unused:UNUSED_PAD src0_sel:WORD_1
	v_cvt_f32_f16_e32 v18, v5
	s_mul_hi_i32 s1, s27, s6
	v_mul_f32_e32 v6, 0x45800000, v0
	v_cndmask_b32_e32 v6, v0, v6, vcc
	v_mov_b32_e32 v7, v6
	;;#ASMSTART
	v_pk_mul_f32 v[8:9], v[10:11], v[6:7]
	;;#ASMEND
	;;#ASMSTART
	v_pk_mul_f32 v[10:11], v[16:17], v[6:7]
	;;#ASMEND
	;; [unrolled: 3-line block ×4, first 2 shown]
	v_cvt_f32_f16_sdwa v13, v2 dst_sel:DWORD dst_unused:UNUSED_PAD src0_sel:WORD_1
	v_cvt_f32_f16_e32 v12, v2
	v_cvt_f32_f16_sdwa v17, v3 dst_sel:DWORD dst_unused:UNUSED_PAD src0_sel:WORD_1
	v_cvt_f32_f16_e32 v16, v3
	;; [unrolled: 2-line block ×3, first 2 shown]
	;;#ASMSTART
	v_pk_mul_f32 v[4:5], v[8:9], v[12:13]
	;;#ASMEND
	;;#ASMSTART
	v_pk_mul_f32 v[8:9], v[10:11], v[16:17]
	;;#ASMEND
	;; [unrolled: 3-line block ×4, first 2 shown]
	s_mul_i32 s0, s27, s6
	v_cvt_f16_f32_e32 v0, v4
	v_cvt_f16_f32_e32 v4, v5
	;; [unrolled: 1-line block ×8, first 2 shown]
	s_lshl_b64 s[0:1], s[0:1], 1
	s_add_u32 s8, s14, s0
	s_addc_u32 s0, s15, s1
	s_and_b32 s9, s0, 0xffff
	v_pack_b32_f16 v2, v0, v4
	v_pack_b32_f16 v3, v5, v8
	;; [unrolled: 1-line block ×4, first 2 shown]
	buffer_store_dwordx4 v[2:5], v1, s[8:11], 0 offen
	;;#ASMSTART
	s_nop 0
	;;#ASMEND
	s_endpgm
	.section	.rodata,"a",@progbits
	.p2align	6, 0x0
	.amdhsa_kernel _ZN5aiter35fused_qk_rmsnorm_group_quant_kernelIDF16_N4opus5fp4_tELi256ELi8ELi4ELb0ELb1ELb0ELb1ELb0ELb0EEEvPT0_PvPT_S7_S7_PKS6_S9_S9_S9_S9_ffiiiiiiiiiiiii
		.amdhsa_group_segment_fixed_size 32
		.amdhsa_private_segment_fixed_size 0
		.amdhsa_kernarg_size 400
		.amdhsa_user_sgpr_count 6
		.amdhsa_user_sgpr_private_segment_buffer 1
		.amdhsa_user_sgpr_dispatch_ptr 0
		.amdhsa_user_sgpr_queue_ptr 0
		.amdhsa_user_sgpr_kernarg_segment_ptr 1
		.amdhsa_user_sgpr_dispatch_id 0
		.amdhsa_user_sgpr_flat_scratch_init 0
		.amdhsa_user_sgpr_kernarg_preload_length 0
		.amdhsa_user_sgpr_kernarg_preload_offset 0
		.amdhsa_user_sgpr_private_segment_size 0
		.amdhsa_uses_dynamic_stack 0
		.amdhsa_system_sgpr_private_segment_wavefront_offset 0
		.amdhsa_system_sgpr_workgroup_id_x 1
		.amdhsa_system_sgpr_workgroup_id_y 1
		.amdhsa_system_sgpr_workgroup_id_z 0
		.amdhsa_system_sgpr_workgroup_info 0
		.amdhsa_system_vgpr_workitem_id 0
		.amdhsa_next_free_vgpr 23
		.amdhsa_next_free_sgpr 32
		.amdhsa_accum_offset 24
		.amdhsa_reserve_vcc 1
		.amdhsa_reserve_flat_scratch 0
		.amdhsa_float_round_mode_32 0
		.amdhsa_float_round_mode_16_64 0
		.amdhsa_float_denorm_mode_32 3
		.amdhsa_float_denorm_mode_16_64 3
		.amdhsa_dx10_clamp 1
		.amdhsa_ieee_mode 1
		.amdhsa_fp16_overflow 0
		.amdhsa_tg_split 0
		.amdhsa_exception_fp_ieee_invalid_op 0
		.amdhsa_exception_fp_denorm_src 0
		.amdhsa_exception_fp_ieee_div_zero 0
		.amdhsa_exception_fp_ieee_overflow 0
		.amdhsa_exception_fp_ieee_underflow 0
		.amdhsa_exception_fp_ieee_inexact 0
		.amdhsa_exception_int_div_zero 0
	.end_amdhsa_kernel
	.section	.text._ZN5aiter35fused_qk_rmsnorm_group_quant_kernelIDF16_N4opus5fp4_tELi256ELi8ELi4ELb0ELb1ELb0ELb1ELb0ELb0EEEvPT0_PvPT_S7_S7_PKS6_S9_S9_S9_S9_ffiiiiiiiiiiiii,"axG",@progbits,_ZN5aiter35fused_qk_rmsnorm_group_quant_kernelIDF16_N4opus5fp4_tELi256ELi8ELi4ELb0ELb1ELb0ELb1ELb0ELb0EEEvPT0_PvPT_S7_S7_PKS6_S9_S9_S9_S9_ffiiiiiiiiiiiii,comdat
.Lfunc_end567:
	.size	_ZN5aiter35fused_qk_rmsnorm_group_quant_kernelIDF16_N4opus5fp4_tELi256ELi8ELi4ELb0ELb1ELb0ELb1ELb0ELb0EEEvPT0_PvPT_S7_S7_PKS6_S9_S9_S9_S9_ffiiiiiiiiiiiii, .Lfunc_end567-_ZN5aiter35fused_qk_rmsnorm_group_quant_kernelIDF16_N4opus5fp4_tELi256ELi8ELi4ELb0ELb1ELb0ELb1ELb0ELb0EEEvPT0_PvPT_S7_S7_PKS6_S9_S9_S9_S9_ffiiiiiiiiiiiii
                                        ; -- End function
	.section	.AMDGPU.csdata,"",@progbits
; Kernel info:
; codeLenInByte = 2036
; NumSgprs: 36
; NumVgprs: 23
; NumAgprs: 0
; TotalNumVgprs: 23
; ScratchSize: 0
; MemoryBound: 0
; FloatMode: 240
; IeeeMode: 1
; LDSByteSize: 32 bytes/workgroup (compile time only)
; SGPRBlocks: 4
; VGPRBlocks: 2
; NumSGPRsForWavesPerEU: 36
; NumVGPRsForWavesPerEU: 23
; AccumOffset: 24
; Occupancy: 8
; WaveLimiterHint : 0
; COMPUTE_PGM_RSRC2:SCRATCH_EN: 0
; COMPUTE_PGM_RSRC2:USER_SGPR: 6
; COMPUTE_PGM_RSRC2:TRAP_HANDLER: 0
; COMPUTE_PGM_RSRC2:TGID_X_EN: 1
; COMPUTE_PGM_RSRC2:TGID_Y_EN: 1
; COMPUTE_PGM_RSRC2:TGID_Z_EN: 0
; COMPUTE_PGM_RSRC2:TIDIG_COMP_CNT: 0
; COMPUTE_PGM_RSRC3_GFX90A:ACCUM_OFFSET: 5
; COMPUTE_PGM_RSRC3_GFX90A:TG_SPLIT: 0
	.section	.text._ZN5aiter35fused_qk_rmsnorm_group_quant_kernelItN4opus5fp4_tELi256ELi8ELi4ELb0ELb1ELb0ELb1ELb0ELb0EEEvPT0_PvPT_S7_S7_PKS6_S9_S9_S9_S9_ffiiiiiiiiiiiii,"axG",@progbits,_ZN5aiter35fused_qk_rmsnorm_group_quant_kernelItN4opus5fp4_tELi256ELi8ELi4ELb0ELb1ELb0ELb1ELb0ELb0EEEvPT0_PvPT_S7_S7_PKS6_S9_S9_S9_S9_ffiiiiiiiiiiiii,comdat
	.protected	_ZN5aiter35fused_qk_rmsnorm_group_quant_kernelItN4opus5fp4_tELi256ELi8ELi4ELb0ELb1ELb0ELb1ELb0ELb0EEEvPT0_PvPT_S7_S7_PKS6_S9_S9_S9_S9_ffiiiiiiiiiiiii ; -- Begin function _ZN5aiter35fused_qk_rmsnorm_group_quant_kernelItN4opus5fp4_tELi256ELi8ELi4ELb0ELb1ELb0ELb1ELb0ELb0EEEvPT0_PvPT_S7_S7_PKS6_S9_S9_S9_S9_ffiiiiiiiiiiiii
	.globl	_ZN5aiter35fused_qk_rmsnorm_group_quant_kernelItN4opus5fp4_tELi256ELi8ELi4ELb0ELb1ELb0ELb1ELb0ELb0EEEvPT0_PvPT_S7_S7_PKS6_S9_S9_S9_S9_ffiiiiiiiiiiiii
	.p2align	8
	.type	_ZN5aiter35fused_qk_rmsnorm_group_quant_kernelItN4opus5fp4_tELi256ELi8ELi4ELb0ELb1ELb0ELb1ELb0ELb0EEEvPT0_PvPT_S7_S7_PKS6_S9_S9_S9_S9_ffiiiiiiiiiiiii,@function
_ZN5aiter35fused_qk_rmsnorm_group_quant_kernelItN4opus5fp4_tELi256ELi8ELi4ELb0ELb1ELb0ELb1ELb0ELb0EEEvPT0_PvPT_S7_S7_PKS6_S9_S9_S9_S9_ffiiiiiiiiiiiii: ; @_ZN5aiter35fused_qk_rmsnorm_group_quant_kernelItN4opus5fp4_tELi256ELi8ELi4ELb0ELb1ELb0ELb1ELb0ELb0EEEvPT0_PvPT_S7_S7_PKS6_S9_S9_S9_S9_ffiiiiiiiiiiiii
; %bb.0:
	s_load_dwordx4 s[12:15], s[4:5], 0x50
	s_waitcnt lgkmcnt(0)
	s_cmp_ge_i32 s6, s14
	s_cbranch_scc1 .LBB568_10
; %bb.1:
	s_load_dwordx2 s[24:25], s[4:5], 0x30
	s_load_dwordx2 s[8:9], s[4:5], 0x48
	s_load_dwordx4 s[16:19], s[4:5], 0x60
	s_cmp_lg_u32 s7, 0
	s_cselect_b64 s[10:11], -1, 0
	s_cmp_eq_u32 s7, 0
	s_cselect_b64 vcc, -1, 0
	s_and_b64 s[0:1], vcc, exec
	s_waitcnt lgkmcnt(0)
	s_cselect_b32 s7, s15, s16
	s_add_i32 s0, s7, 1
	s_lshr_b32 s1, s0, 31
	s_add_i32 s0, s0, s1
	s_lshl_b32 s0, s0, 1
	v_lshlrev_b32_e32 v1, 3, v0
	s_and_b32 s22, s0, -4
	v_cmp_gt_i32_e64 s[2:3], s7, v1
	v_mov_b32_e32 v2, 0
	v_mov_b32_e32 v3, 0
	;; [unrolled: 1-line block ×8, first 2 shown]
	s_and_saveexec_b64 s[0:1], s[2:3]
	s_cbranch_execz .LBB568_3
; %bb.2:
	s_load_dwordx2 s[14:15], s[4:5], 0x28
	s_load_dwordx2 s[20:21], s[4:5], 0x40
	s_and_b64 s[26:27], vcc, exec
	s_cselect_b32 s17, s17, s18
	v_lshlrev_b32_e32 v10, 4, v0
	s_waitcnt lgkmcnt(0)
	s_cselect_b32 s19, s15, s25
	s_cselect_b32 s23, s14, s24
	s_mul_hi_i32 s15, s17, s6
	s_mul_i32 s14, s17, s6
	s_lshl_b64 s[14:15], s[14:15], 1
	s_add_u32 s28, s23, s14
	s_addc_u32 s17, s19, s15
	s_and_b64 s[14:15], vcc, exec
	s_mov_b32 s23, 0x20000
	s_cselect_b32 s20, s20, s8
	s_cselect_b32 s14, s21, s9
	s_and_b32 s29, s17, 0xffff
	s_mov_b32 s30, s22
	s_mov_b32 s31, s23
	s_and_b32 s21, s14, 0xffff
	buffer_load_dwordx4 v[6:9], v10, s[28:31], 0 offen glc slc
	buffer_load_dwordx4 v[2:5], v10, s[20:23], 0 offen
.LBB568_3:
	s_or_b64 exec, exec, s[0:1]
	s_waitcnt vmcnt(1)
	v_cvt_f32_u32_sdwa v13, v6 dst_sel:DWORD dst_unused:UNUSED_PAD src0_sel:WORD_1
	v_cvt_f32_u32_sdwa v12, v6 dst_sel:DWORD dst_unused:UNUSED_PAD src0_sel:WORD_0
	v_cvt_f32_u32_sdwa v6, v9 dst_sel:DWORD dst_unused:UNUSED_PAD src0_sel:WORD_1
	v_cvt_f32_u32_sdwa v9, v9 dst_sel:DWORD dst_unused:UNUSED_PAD src0_sel:WORD_0
	v_cvt_f32_u32_sdwa v14, v8 dst_sel:DWORD dst_unused:UNUSED_PAD src0_sel:WORD_1
	v_cvt_f32_u32_sdwa v10, v7 dst_sel:DWORD dst_unused:UNUSED_PAD src0_sel:WORD_0
	v_cvt_f32_u32_sdwa v11, v7 dst_sel:DWORD dst_unused:UNUSED_PAD src0_sel:WORD_1
	v_cvt_f32_u32_sdwa v8, v8 dst_sel:DWORD dst_unused:UNUSED_PAD src0_sel:WORD_0
	v_cndmask_b32_e64 v13, 0, v13, s[2:3]
	v_cndmask_b32_e64 v7, 0, v6, s[2:3]
	;; [unrolled: 1-line block ×5, first 2 shown]
	v_mul_f32_e32 v14, v13, v13
	v_cndmask_b32_e64 v10, 0, v10, s[2:3]
	v_fmac_f32_e32 v14, v12, v12
	v_cndmask_b32_e64 v11, 0, v11, s[2:3]
	v_fmac_f32_e32 v14, v10, v10
	;; [unrolled: 2-line block ×3, first 2 shown]
	v_fmac_f32_e32 v14, v8, v8
	v_fmac_f32_e32 v14, v9, v9
	;; [unrolled: 1-line block ×4, first 2 shown]
	v_and_b32_e32 v16, 63, v0
	v_cmp_eq_u32_e64 s[0:1], 63, v16
	v_mov_b32_dpp v15, v14 quad_perm:[1,0,3,2] row_mask:0xf bank_mask:0xf
	v_add_f32_e32 v14, v14, v15
	s_nop 1
	v_mov_b32_dpp v15, v14 quad_perm:[2,3,0,1] row_mask:0xf bank_mask:0xf
	v_add_f32_e32 v14, v14, v15
	s_nop 1
	v_mov_b32_dpp v15, v14 row_half_mirror row_mask:0xf bank_mask:0xf
	v_add_f32_e32 v14, v14, v15
	s_nop 1
	v_mov_b32_dpp v15, v14 row_mirror row_mask:0xf bank_mask:0xf
	v_add_f32_e32 v14, v14, v15
	s_nop 1
	v_mov_b32_dpp v15, v14 row_bcast:15 row_mask:0xf bank_mask:0xf
	v_add_f32_e32 v14, v14, v15
	s_nop 1
	v_mov_b32_dpp v15, v14 row_bcast:31 row_mask:0xf bank_mask:0xf
	s_and_saveexec_b64 s[14:15], s[0:1]
	s_cbranch_execz .LBB568_5
; %bb.4:
	v_add_f32_e32 v14, v14, v15
	v_lshrrev_b32_e32 v15, 4, v0
	v_and_b32_e32 v15, 60, v15
	ds_write_b32 v15, v14 offset:16
.LBB568_5:
	s_or_b64 exec, exec, s[14:15]
	v_and_b32_e32 v14, 3, v0
	v_lshlrev_b32_e32 v14, 2, v14
	s_waitcnt lgkmcnt(0)
	s_barrier
	ds_read_b32 v15, v14 offset:16
	s_load_dwordx2 s[14:15], s[4:5], 0x18
	s_waitcnt lgkmcnt(0)
	v_mov_b32_dpp v16, v15 quad_perm:[1,0,3,2] row_mask:0xf bank_mask:0xf
	v_add_f32_e32 v15, v15, v16
	s_nop 1
	v_mov_b32_dpp v16, v15 quad_perm:[2,3,0,1] row_mask:0xf bank_mask:0xf
	s_and_saveexec_b64 s[20:21], s[2:3]
	s_cbranch_execz .LBB568_7
; %bb.6:
	v_cvt_f32_u32_e32 v17, s7
	v_add_f32_e32 v15, v15, v16
	v_mov_b32_e32 v19, s13
	v_mov_b32_e32 v20, s12
	v_div_scale_f32 v16, s[26:27], v17, v17, v15
	v_rcp_f32_e32 v18, v16
	v_cndmask_b32_e32 v19, v19, v20, vcc
	s_mov_b32 s7, 0x800000
	v_fma_f32 v20, -v16, v18, 1.0
	v_fmac_f32_e32 v18, v20, v18
	v_div_scale_f32 v20, vcc, v15, v17, v15
	v_mul_f32_e32 v21, v20, v18
	v_fma_f32 v22, -v16, v21, v20
	v_fmac_f32_e32 v21, v22, v18
	v_fma_f32 v16, -v16, v21, v20
	v_div_fmas_f32 v16, v16, v18, v21
	v_div_fixup_f32 v15, v16, v17, v15
	v_add_f32_e32 v15, v19, v15
	v_mul_f32_e32 v16, 0x4b800000, v15
	v_cmp_gt_f32_e32 vcc, s7, v15
	v_cndmask_b32_e32 v15, v15, v16, vcc
	v_rsq_f32_e32 v15, v15
	s_waitcnt vmcnt(0)
	v_cvt_f32_u32_sdwa v19, v3 dst_sel:DWORD dst_unused:UNUSED_PAD src0_sel:WORD_1
	v_cvt_f32_u32_sdwa v18, v3 dst_sel:DWORD dst_unused:UNUSED_PAD src0_sel:WORD_0
	v_cvt_f32_u32_sdwa v3, v4 dst_sel:DWORD dst_unused:UNUSED_PAD src0_sel:WORD_1
	v_mul_f32_e32 v16, 0x45800000, v15
	v_cndmask_b32_e32 v16, v15, v16, vcc
	v_mov_b32_e32 v17, v16
	;;#ASMSTART
	v_pk_mul_f32 v[12:13], v[12:13], v[16:17]
	;;#ASMEND
	;;#ASMSTART
	v_pk_mul_f32 v[10:11], v[10:11], v[16:17]
	;;#ASMEND
	;; [unrolled: 3-line block ×4, first 2 shown]
	v_cvt_f32_u32_sdwa v17, v2 dst_sel:DWORD dst_unused:UNUSED_PAD src0_sel:WORD_1
	v_cvt_f32_u32_sdwa v16, v2 dst_sel:DWORD dst_unused:UNUSED_PAD src0_sel:WORD_0
	v_cvt_f32_u32_sdwa v2, v4 dst_sel:DWORD dst_unused:UNUSED_PAD src0_sel:WORD_0
	v_cvt_f32_u32_sdwa v21, v5 dst_sel:DWORD dst_unused:UNUSED_PAD src0_sel:WORD_1
	v_cvt_f32_u32_sdwa v20, v5 dst_sel:DWORD dst_unused:UNUSED_PAD src0_sel:WORD_0
	;;#ASMSTART
	v_pk_mul_f32 v[12:13], v[12:13], v[16:17]
	;;#ASMEND
	;;#ASMSTART
	v_pk_mul_f32 v[10:11], v[10:11], v[18:19]
	;;#ASMEND
	;;#ASMSTART
	v_pk_mul_f32 v[8:9], v[8:9], v[2:3]
	;;#ASMEND
	;;#ASMSTART
	v_pk_mul_f32 v[6:7], v[6:7], v[20:21]
	;;#ASMEND
.LBB568_7:
	s_or_b64 exec, exec, s[20:21]
	s_load_dwordx2 s[26:27], s[4:5], 0x7c
	s_mov_b64 s[20:21], -1
	s_and_b64 vcc, exec, s[10:11]
	s_cbranch_vccnz .LBB568_11
; %bb.8:
	s_andn2_b64 vcc, exec, s[20:21]
	s_cbranch_vccz .LBB568_14
.LBB568_9:
	s_cmp_lt_i32 s16, 1
	s_cbranch_scc0 .LBB568_17
.LBB568_10:
	s_endpgm
.LBB568_11:
	s_and_saveexec_b64 s[10:11], s[2:3]
	s_cbranch_execz .LBB568_13
; %bb.12:
	s_waitcnt lgkmcnt(0)
	s_mul_hi_i32 s21, s27, s6
	s_mul_i32 s20, s27, s6
	s_lshl_b64 s[20:21], s[20:21], 1
	s_add_u32 s20, s14, s20
	s_addc_u32 s7, s15, s21
	s_and_b32 s21, s7, 0xffff
	s_mov_b32 s7, 0x7060302
	s_mov_b32 s23, 0x20000
	s_waitcnt vmcnt(0)
	v_perm_b32 v2, v13, v12, s7
	v_perm_b32 v3, v11, v10, s7
	;; [unrolled: 1-line block ×4, first 2 shown]
	v_lshlrev_b32_e32 v15, 4, v0
	buffer_store_dwordx4 v[2:5], v15, s[20:23], 0 offen
	;;#ASMSTART
	s_nop 0
	;;#ASMEND
.LBB568_13:
	s_or_b64 exec, exec, s[10:11]
	s_cbranch_execnz .LBB568_9
.LBB568_14:
	s_and_saveexec_b64 s[10:11], s[2:3]
	s_cbranch_execz .LBB568_16
; %bb.15:
	s_load_dwordx2 s[2:3], s[4:5], 0x10
	s_waitcnt lgkmcnt(0)
	s_mul_hi_i32 s21, s26, s6
	s_mul_i32 s20, s26, s6
	s_lshl_b64 s[20:21], s[20:21], 1
	s_mov_b32 s23, 0x20000
	s_add_u32 s20, s2, s20
	s_addc_u32 s2, s3, s21
	s_and_b32 s21, s2, 0xffff
	s_mov_b32 s2, 0x7060302
	s_waitcnt vmcnt(0)
	v_perm_b32 v2, v13, v12, s2
	v_perm_b32 v3, v11, v10, s2
	;; [unrolled: 1-line block ×4, first 2 shown]
	v_lshlrev_b32_e32 v6, 4, v0
	buffer_store_dwordx4 v[2:5], v6, s[20:23], 0 offen
	;;#ASMSTART
	s_nop 0
	;;#ASMEND
.LBB568_16:
	s_or_b64 exec, exec, s[10:11]
	s_cmp_lt_i32 s16, 1
	s_cbranch_scc1 .LBB568_10
.LBB568_17:
	s_load_dword s2, s[4:5], 0x94
	s_waitcnt lgkmcnt(0)
	s_cmp_lg_u32 s2, 1
	s_cbranch_scc1 .LBB568_10
; %bb.18:
	s_lshl_b32 s2, s16, 1
	s_add_i32 s2, s2, 2
	v_cmp_gt_u32_e32 vcc, s16, v1
	s_and_b32 s10, s2, -4
	v_mov_b32_e32 v6, 0
	v_lshlrev_b32_e32 v1, 4, v0
	v_mov_b32_e32 v7, 0
	v_mov_b32_e32 v8, 0
	;; [unrolled: 1-line block ×3, first 2 shown]
	s_waitcnt vmcnt(0)
	v_mov_b32_e32 v2, 0
	v_mov_b32_e32 v3, 0
	v_mov_b32_e32 v4, 0
	v_mov_b32_e32 v5, 0
	s_barrier
	s_and_saveexec_b64 s[2:3], vcc
	s_cbranch_execz .LBB568_20
; %bb.19:
	s_mul_hi_i32 s5, s18, s6
	s_mul_i32 s4, s18, s6
	s_and_b32 s9, s9, 0xffff
	s_lshl_b64 s[4:5], s[4:5], 1
	s_add_u32 s20, s24, s4
	s_mov_b32 s11, 0x20000
	s_addc_u32 s4, s25, s5
	s_and_b32 s21, s4, 0xffff
	s_mov_b32 s22, s10
	s_mov_b32 s23, s11
	buffer_load_dwordx4 v[6:9], v1, s[20:23], 0 offen glc slc
	buffer_load_dwordx4 v[2:5], v1, s[8:11], 0 offen
.LBB568_20:
	s_or_b64 exec, exec, s[2:3]
	s_waitcnt vmcnt(1)
	v_cvt_f32_u32_sdwa v13, v6 dst_sel:DWORD dst_unused:UNUSED_PAD src0_sel:WORD_1
	v_cvt_f32_u32_sdwa v12, v6 dst_sel:DWORD dst_unused:UNUSED_PAD src0_sel:WORD_0
	v_cvt_f32_u32_sdwa v6, v9 dst_sel:DWORD dst_unused:UNUSED_PAD src0_sel:WORD_1
	v_cvt_f32_u32_sdwa v9, v9 dst_sel:DWORD dst_unused:UNUSED_PAD src0_sel:WORD_0
	;; [unrolled: 2-line block ×4, first 2 shown]
	v_cndmask_b32_e32 v13, 0, v13, vcc
	v_cndmask_b32_e32 v7, 0, v6, vcc
	;; [unrolled: 1-line block ×5, first 2 shown]
	v_mul_f32_e32 v15, v13, v13
	v_cndmask_b32_e32 v10, 0, v10, vcc
	v_fmac_f32_e32 v15, v12, v12
	v_cndmask_b32_e32 v11, 0, v11, vcc
	v_fmac_f32_e32 v15, v10, v10
	;; [unrolled: 2-line block ×3, first 2 shown]
	v_fmac_f32_e32 v15, v8, v8
	v_fmac_f32_e32 v15, v9, v9
	v_fmac_f32_e32 v15, v6, v6
	v_fmac_f32_e32 v15, v7, v7
	s_nop 1
	v_mov_b32_dpp v16, v15 quad_perm:[1,0,3,2] row_mask:0xf bank_mask:0xf
	v_add_f32_e32 v15, v15, v16
	s_nop 1
	v_mov_b32_dpp v16, v15 quad_perm:[2,3,0,1] row_mask:0xf bank_mask:0xf
	v_add_f32_e32 v15, v15, v16
	s_nop 1
	v_mov_b32_dpp v16, v15 row_half_mirror row_mask:0xf bank_mask:0xf
	v_add_f32_e32 v15, v15, v16
	s_nop 1
	v_mov_b32_dpp v16, v15 row_mirror row_mask:0xf bank_mask:0xf
	v_add_f32_e32 v15, v15, v16
	s_nop 1
	v_mov_b32_dpp v16, v15 row_bcast:15 row_mask:0xf bank_mask:0xf
	v_add_f32_e32 v15, v15, v16
	s_nop 1
	v_mov_b32_dpp v16, v15 row_bcast:31 row_mask:0xf bank_mask:0xf
	s_and_saveexec_b64 s[2:3], s[0:1]
	s_cbranch_execz .LBB568_22
; %bb.21:
	v_lshrrev_b32_e32 v0, 4, v0
	v_add_f32_e32 v15, v15, v16
	v_and_b32_e32 v0, 60, v0
	ds_write_b32 v0, v15
.LBB568_22:
	s_or_b64 exec, exec, s[2:3]
	s_waitcnt lgkmcnt(0)
	s_barrier
	ds_read_b32 v0, v14
	s_waitcnt lgkmcnt(0)
	s_nop 0
	v_mov_b32_dpp v14, v0 quad_perm:[1,0,3,2] row_mask:0xf bank_mask:0xf
	v_add_f32_e32 v0, v0, v14
	s_nop 1
	v_mov_b32_dpp v14, v0 quad_perm:[2,3,0,1] row_mask:0xf bank_mask:0xf
	s_and_saveexec_b64 s[0:1], vcc
	s_cbranch_execz .LBB568_10
; %bb.23:
	v_cvt_f32_u32_e32 v15, s16
	v_add_f32_e32 v0, v0, v14
	s_mov_b32 s11, 0x20000
	v_div_scale_f32 v14, s[0:1], v15, v15, v0
	v_rcp_f32_e32 v16, v14
	v_div_scale_f32 v17, vcc, v0, v15, v0
	s_mov_b32 s0, 0x800000
	v_fma_f32 v18, -v14, v16, 1.0
	v_fmac_f32_e32 v16, v18, v16
	v_mul_f32_e32 v18, v17, v16
	v_fma_f32 v19, -v14, v18, v17
	v_fmac_f32_e32 v18, v19, v16
	v_fma_f32 v14, -v14, v18, v17
	v_div_fmas_f32 v14, v14, v16, v18
	v_div_fixup_f32 v0, v14, v15, v0
	v_add_f32_e32 v0, s13, v0
	v_mul_f32_e32 v14, 0x4b800000, v0
	v_cmp_gt_f32_e32 vcc, s0, v0
	v_cndmask_b32_e32 v0, v0, v14, vcc
	v_rsq_f32_e32 v0, v0
	s_mul_hi_i32 s1, s27, s6
	s_mul_i32 s0, s27, s6
	s_lshl_b64 s[0:1], s[0:1], 1
	v_mul_f32_e32 v14, 0x45800000, v0
	v_cndmask_b32_e32 v14, v0, v14, vcc
	s_add_u32 s8, s14, s0
	v_mov_b32_e32 v15, v14
	s_addc_u32 s0, s15, s1
	;;#ASMSTART
	v_pk_mul_f32 v[12:13], v[12:13], v[14:15]
	;;#ASMEND
	;;#ASMSTART
	v_pk_mul_f32 v[10:11], v[10:11], v[14:15]
	;;#ASMEND
	;; [unrolled: 3-line block ×4, first 2 shown]
	s_waitcnt vmcnt(0)
	v_cvt_f32_u32_sdwa v15, v2 dst_sel:DWORD dst_unused:UNUSED_PAD src0_sel:WORD_1
	v_cvt_f32_u32_sdwa v14, v2 dst_sel:DWORD dst_unused:UNUSED_PAD src0_sel:WORD_0
	v_cvt_f32_u32_sdwa v17, v3 dst_sel:DWORD dst_unused:UNUSED_PAD src0_sel:WORD_1
	v_cvt_f32_u32_sdwa v16, v3 dst_sel:DWORD dst_unused:UNUSED_PAD src0_sel:WORD_0
	;; [unrolled: 2-line block ×4, first 2 shown]
	;;#ASMSTART
	v_pk_mul_f32 v[4:5], v[12:13], v[14:15]
	;;#ASMEND
	s_and_b32 s9, s0, 0xffff
	s_mov_b32 s0, 0x7060302
	;;#ASMSTART
	v_pk_mul_f32 v[10:11], v[10:11], v[16:17]
	;;#ASMEND
	;;#ASMSTART
	v_pk_mul_f32 v[8:9], v[8:9], v[2:3]
	;;#ASMEND
	;;#ASMSTART
	v_pk_mul_f32 v[6:7], v[6:7], v[18:19]
	;;#ASMEND
	v_perm_b32 v2, v5, v4, s0
	v_perm_b32 v3, v11, v10, s0
	;; [unrolled: 1-line block ×4, first 2 shown]
	buffer_store_dwordx4 v[2:5], v1, s[8:11], 0 offen
	;;#ASMSTART
	s_nop 0
	;;#ASMEND
	s_endpgm
	.section	.rodata,"a",@progbits
	.p2align	6, 0x0
	.amdhsa_kernel _ZN5aiter35fused_qk_rmsnorm_group_quant_kernelItN4opus5fp4_tELi256ELi8ELi4ELb0ELb1ELb0ELb1ELb0ELb0EEEvPT0_PvPT_S7_S7_PKS6_S9_S9_S9_S9_ffiiiiiiiiiiiii
		.amdhsa_group_segment_fixed_size 32
		.amdhsa_private_segment_fixed_size 0
		.amdhsa_kernarg_size 400
		.amdhsa_user_sgpr_count 6
		.amdhsa_user_sgpr_private_segment_buffer 1
		.amdhsa_user_sgpr_dispatch_ptr 0
		.amdhsa_user_sgpr_queue_ptr 0
		.amdhsa_user_sgpr_kernarg_segment_ptr 1
		.amdhsa_user_sgpr_dispatch_id 0
		.amdhsa_user_sgpr_flat_scratch_init 0
		.amdhsa_user_sgpr_kernarg_preload_length 0
		.amdhsa_user_sgpr_kernarg_preload_offset 0
		.amdhsa_user_sgpr_private_segment_size 0
		.amdhsa_uses_dynamic_stack 0
		.amdhsa_system_sgpr_private_segment_wavefront_offset 0
		.amdhsa_system_sgpr_workgroup_id_x 1
		.amdhsa_system_sgpr_workgroup_id_y 1
		.amdhsa_system_sgpr_workgroup_id_z 0
		.amdhsa_system_sgpr_workgroup_info 0
		.amdhsa_system_vgpr_workitem_id 0
		.amdhsa_next_free_vgpr 23
		.amdhsa_next_free_sgpr 32
		.amdhsa_accum_offset 24
		.amdhsa_reserve_vcc 1
		.amdhsa_reserve_flat_scratch 0
		.amdhsa_float_round_mode_32 0
		.amdhsa_float_round_mode_16_64 0
		.amdhsa_float_denorm_mode_32 3
		.amdhsa_float_denorm_mode_16_64 3
		.amdhsa_dx10_clamp 1
		.amdhsa_ieee_mode 1
		.amdhsa_fp16_overflow 0
		.amdhsa_tg_split 0
		.amdhsa_exception_fp_ieee_invalid_op 0
		.amdhsa_exception_fp_denorm_src 0
		.amdhsa_exception_fp_ieee_div_zero 0
		.amdhsa_exception_fp_ieee_overflow 0
		.amdhsa_exception_fp_ieee_underflow 0
		.amdhsa_exception_fp_ieee_inexact 0
		.amdhsa_exception_int_div_zero 0
	.end_amdhsa_kernel
	.section	.text._ZN5aiter35fused_qk_rmsnorm_group_quant_kernelItN4opus5fp4_tELi256ELi8ELi4ELb0ELb1ELb0ELb1ELb0ELb0EEEvPT0_PvPT_S7_S7_PKS6_S9_S9_S9_S9_ffiiiiiiiiiiiii,"axG",@progbits,_ZN5aiter35fused_qk_rmsnorm_group_quant_kernelItN4opus5fp4_tELi256ELi8ELi4ELb0ELb1ELb0ELb1ELb0ELb0EEEvPT0_PvPT_S7_S7_PKS6_S9_S9_S9_S9_ffiiiiiiiiiiiii,comdat
.Lfunc_end568:
	.size	_ZN5aiter35fused_qk_rmsnorm_group_quant_kernelItN4opus5fp4_tELi256ELi8ELi4ELb0ELb1ELb0ELb1ELb0ELb0EEEvPT0_PvPT_S7_S7_PKS6_S9_S9_S9_S9_ffiiiiiiiiiiiii, .Lfunc_end568-_ZN5aiter35fused_qk_rmsnorm_group_quant_kernelItN4opus5fp4_tELi256ELi8ELi4ELb0ELb1ELb0ELb1ELb0ELb0EEEvPT0_PvPT_S7_S7_PKS6_S9_S9_S9_S9_ffiiiiiiiiiiiii
                                        ; -- End function
	.section	.AMDGPU.csdata,"",@progbits
; Kernel info:
; codeLenInByte = 2028
; NumSgprs: 36
; NumVgprs: 23
; NumAgprs: 0
; TotalNumVgprs: 23
; ScratchSize: 0
; MemoryBound: 0
; FloatMode: 240
; IeeeMode: 1
; LDSByteSize: 32 bytes/workgroup (compile time only)
; SGPRBlocks: 4
; VGPRBlocks: 2
; NumSGPRsForWavesPerEU: 36
; NumVGPRsForWavesPerEU: 23
; AccumOffset: 24
; Occupancy: 8
; WaveLimiterHint : 0
; COMPUTE_PGM_RSRC2:SCRATCH_EN: 0
; COMPUTE_PGM_RSRC2:USER_SGPR: 6
; COMPUTE_PGM_RSRC2:TRAP_HANDLER: 0
; COMPUTE_PGM_RSRC2:TGID_X_EN: 1
; COMPUTE_PGM_RSRC2:TGID_Y_EN: 1
; COMPUTE_PGM_RSRC2:TGID_Z_EN: 0
; COMPUTE_PGM_RSRC2:TIDIG_COMP_CNT: 0
; COMPUTE_PGM_RSRC3_GFX90A:ACCUM_OFFSET: 5
; COMPUTE_PGM_RSRC3_GFX90A:TG_SPLIT: 0
	.section	.text._ZN5aiter35fused_qk_rmsnorm_group_quant_kernelIDF16_DB8_Li256ELi8ELi4ELb1ELb1ELb1ELb0ELb0ELb0EEEvPT0_PvPT_S6_S6_PKS5_S8_S8_S8_S8_ffiiiiiiiiiiiii,"axG",@progbits,_ZN5aiter35fused_qk_rmsnorm_group_quant_kernelIDF16_DB8_Li256ELi8ELi4ELb1ELb1ELb1ELb0ELb0ELb0EEEvPT0_PvPT_S6_S6_PKS5_S8_S8_S8_S8_ffiiiiiiiiiiiii,comdat
	.protected	_ZN5aiter35fused_qk_rmsnorm_group_quant_kernelIDF16_DB8_Li256ELi8ELi4ELb1ELb1ELb1ELb0ELb0ELb0EEEvPT0_PvPT_S6_S6_PKS5_S8_S8_S8_S8_ffiiiiiiiiiiiii ; -- Begin function _ZN5aiter35fused_qk_rmsnorm_group_quant_kernelIDF16_DB8_Li256ELi8ELi4ELb1ELb1ELb1ELb0ELb0ELb0EEEvPT0_PvPT_S6_S6_PKS5_S8_S8_S8_S8_ffiiiiiiiiiiiii
	.globl	_ZN5aiter35fused_qk_rmsnorm_group_quant_kernelIDF16_DB8_Li256ELi8ELi4ELb1ELb1ELb1ELb0ELb0ELb0EEEvPT0_PvPT_S6_S6_PKS5_S8_S8_S8_S8_ffiiiiiiiiiiiii
	.p2align	8
	.type	_ZN5aiter35fused_qk_rmsnorm_group_quant_kernelIDF16_DB8_Li256ELi8ELi4ELb1ELb1ELb1ELb0ELb0ELb0EEEvPT0_PvPT_S6_S6_PKS5_S8_S8_S8_S8_ffiiiiiiiiiiiii,@function
_ZN5aiter35fused_qk_rmsnorm_group_quant_kernelIDF16_DB8_Li256ELi8ELi4ELb1ELb1ELb1ELb0ELb0ELb0EEEvPT0_PvPT_S6_S6_PKS5_S8_S8_S8_S8_ffiiiiiiiiiiiii: ; @_ZN5aiter35fused_qk_rmsnorm_group_quant_kernelIDF16_DB8_Li256ELi8ELi4ELb1ELb1ELb1ELb0ELb0ELb0EEEvPT0_PvPT_S6_S6_PKS5_S8_S8_S8_S8_ffiiiiiiiiiiiii
; %bb.0:
	s_load_dwordx8 s[20:27], s[4:5], 0x50
	s_waitcnt lgkmcnt(0)
	s_cmp_ge_i32 s6, s22
	s_cbranch_scc1 .LBB569_17
; %bb.1:
	s_cmp_lg_u32 s7, 0
	s_cselect_b64 s[10:11], -1, 0
	s_cmp_eq_u32 s7, 0
	s_cselect_b64 s[8:9], -1, 0
	s_and_b64 s[0:1], s[8:9], exec
	s_load_dwordx2 s[28:29], s[4:5], 0x48
	s_load_dwordx2 s[34:35], s[4:5], 0x30
	s_load_dwordx8 s[12:19], s[4:5], 0x70
	s_cselect_b32 s7, s23, s24
	s_add_i32 s0, s7, 1
	s_lshr_b32 s1, s0, 31
	s_add_i32 s0, s0, s1
	s_lshl_b32 s0, s0, 1
	v_lshlrev_b32_e32 v1, 3, v0
	s_and_b32 s38, s0, -4
	v_cmp_gt_i32_e64 s[0:1], s7, v1
	v_mov_b32_e32 v20, 0
	v_mov_b32_e32 v21, 0
	;; [unrolled: 1-line block ×8, first 2 shown]
	s_and_saveexec_b64 s[2:3], s[0:1]
	s_cbranch_execz .LBB569_3
; %bb.2:
	s_waitcnt lgkmcnt(0)
	s_load_dwordx2 s[18:19], s[4:5], 0x28
	s_load_dwordx2 s[30:31], s[4:5], 0x40
	s_and_b64 s[36:37], s[8:9], exec
	s_cselect_b32 s22, s25, s26
	s_mov_b32 s39, 0x20000
	s_waitcnt lgkmcnt(0)
	s_cselect_b32 s25, s19, s35
	s_cselect_b32 s33, s18, s34
	s_mul_hi_i32 s19, s22, s6
	s_mul_i32 s18, s22, s6
	s_lshl_b64 s[18:19], s[18:19], 1
	s_add_u32 s40, s33, s18
	s_addc_u32 s22, s25, s19
	s_and_b64 s[18:19], s[8:9], exec
	s_cselect_b32 s36, s30, s28
	s_cselect_b32 s18, s31, s29
	v_lshlrev_b32_e32 v2, 4, v0
	s_and_b32 s41, s22, 0xffff
	s_mov_b32 s42, s38
	s_mov_b32 s43, s39
	s_and_b32 s37, s18, 0xffff
	buffer_load_dwordx4 v[24:27], v2, s[40:43], 0 offen glc slc
	buffer_load_dwordx4 v[20:23], v2, s[36:39], 0 offen
.LBB569_3:
	s_or_b64 exec, exec, s[2:3]
	s_and_b64 vcc, exec, s[10:11]
	s_cbranch_vccz .LBB569_7
; %bb.4:
	v_mov_b32_e32 v29, 0
	v_mov_b32_e32 v28, 0
	;; [unrolled: 1-line block ×8, first 2 shown]
	s_and_saveexec_b64 s[2:3], s[0:1]
	s_cbranch_execz .LBB569_6
; %bb.5:
	s_waitcnt vmcnt(1)
	v_cvt_f32_f16_sdwa v11, v24 dst_sel:DWORD dst_unused:UNUSED_PAD src0_sel:WORD_1
	v_cvt_f32_f16_e32 v10, v24
	v_cvt_f32_f16_sdwa v15, v25 dst_sel:DWORD dst_unused:UNUSED_PAD src0_sel:WORD_1
	v_cvt_f32_f16_e32 v14, v25
	v_cvt_f32_f16_sdwa v7, v26 dst_sel:DWORD dst_unused:UNUSED_PAD src0_sel:WORD_1
	v_cvt_f32_f16_e32 v6, v26
	v_cvt_f32_f16_sdwa v29, v27 dst_sel:DWORD dst_unused:UNUSED_PAD src0_sel:WORD_1
	v_cvt_f32_f16_e32 v28, v27
.LBB569_6:
	s_or_b64 exec, exec, s[2:3]
	s_cbranch_execz .LBB569_8
	s_branch .LBB569_11
.LBB569_7:
                                        ; implicit-def: $vgpr10_vgpr11_vgpr12_vgpr13_vgpr14_vgpr15_vgpr16_vgpr17
                                        ; implicit-def: $vgpr29
                                        ; implicit-def: $vgpr12_vgpr13_vgpr14_vgpr15_vgpr16_vgpr17_vgpr18_vgpr19
                                        ; implicit-def: $vgpr2_vgpr3_vgpr4_vgpr5_vgpr6_vgpr7_vgpr8_vgpr9
.LBB569_8:
	v_mov_b32_e32 v29, 0
	v_mov_b32_e32 v28, 0
	;; [unrolled: 1-line block ×8, first 2 shown]
	s_and_saveexec_b64 s[2:3], s[0:1]
	s_cbranch_execz .LBB569_10
; %bb.9:
	s_waitcnt lgkmcnt(0)
	s_load_dwordx2 s[18:19], s[4:5], 0x38
	s_mul_hi_i32 s31, s27, s6
	s_mul_i32 s30, s27, s6
	s_lshl_b64 s[30:31], s[30:31], 1
	s_mov_b32 s39, 0x20000
	s_waitcnt lgkmcnt(0)
	s_add_u32 s36, s18, s30
	s_addc_u32 s18, s19, s31
	s_and_b32 s37, s18, 0xffff
	v_lshlrev_b32_e32 v30, 4, v0
	buffer_load_dwordx4 v[2:5], v30, s[36:39], 0 offen glc slc
	s_waitcnt vmcnt(2)
	v_cvt_f32_f16_sdwa v7, v24 dst_sel:DWORD dst_unused:UNUSED_PAD src0_sel:WORD_1
	v_cvt_f32_f16_e32 v6, v24
	v_cvt_f32_f16_sdwa v9, v25 dst_sel:DWORD dst_unused:UNUSED_PAD src0_sel:WORD_1
	v_cvt_f32_f16_e32 v8, v25
	v_cvt_f32_f16_sdwa v13, v26 dst_sel:DWORD dst_unused:UNUSED_PAD src0_sel:WORD_1
	v_cvt_f32_f16_e32 v12, v26
	v_cvt_f32_f16_sdwa v17, v27 dst_sel:DWORD dst_unused:UNUSED_PAD src0_sel:WORD_1
	v_cvt_f32_f16_e32 v16, v27
	s_load_dwordx2 s[18:19], s[4:5], 0x20
	s_mul_hi_i32 s31, s17, s6
	s_mul_i32 s30, s17, s6
	s_lshl_b64 s[30:31], s[30:31], 1
	s_waitcnt lgkmcnt(0)
	s_add_u32 s36, s18, s30
	s_addc_u32 s17, s19, s31
	s_and_b32 s37, s17, 0xffff
	s_waitcnt vmcnt(0)
	v_cvt_f32_f16_e32 v10, v2
	v_cvt_f32_f16_sdwa v11, v2 dst_sel:DWORD dst_unused:UNUSED_PAD src0_sel:WORD_1
	v_cvt_f32_f16_e32 v2, v3
	v_cvt_f32_f16_sdwa v3, v3 dst_sel:DWORD dst_unused:UNUSED_PAD src0_sel:WORD_1
	;; [unrolled: 2-line block ×4, first 2 shown]
	v_pk_add_f32 v[10:11], v[6:7], v[10:11]
	v_pk_add_f32 v[14:15], v[8:9], v[2:3]
	;; [unrolled: 1-line block ×4, first 2 shown]
	v_cvt_f16_f32_e32 v2, v11
	v_cvt_f16_f32_e32 v3, v15
	;; [unrolled: 1-line block ×8, first 2 shown]
	v_pack_b32_f16 v5, v8, v5
	v_pack_b32_f16 v4, v9, v4
	;; [unrolled: 1-line block ×4, first 2 shown]
	buffer_store_dwordx4 v[2:5], v30, s[36:39], 0 offen glc slc
	;;#ASMSTART
	s_nop 0
	;;#ASMEND
.LBB569_10:
	s_or_b64 exec, exec, s[2:3]
.LBB569_11:
	v_mul_f32_e32 v2, v11, v11
	v_fmac_f32_e32 v2, v10, v10
	v_fmac_f32_e32 v2, v14, v14
	;; [unrolled: 1-line block ×7, first 2 shown]
	v_and_b32_e32 v4, 63, v0
	v_cmp_eq_u32_e64 s[2:3], 63, v4
	v_mov_b32_dpp v3, v2 quad_perm:[1,0,3,2] row_mask:0xf bank_mask:0xf
	v_add_f32_e32 v2, v2, v3
	s_nop 1
	v_mov_b32_dpp v3, v2 quad_perm:[2,3,0,1] row_mask:0xf bank_mask:0xf
	v_add_f32_e32 v2, v2, v3
	s_nop 1
	v_mov_b32_dpp v3, v2 row_half_mirror row_mask:0xf bank_mask:0xf
	v_add_f32_e32 v2, v2, v3
	s_nop 1
	v_mov_b32_dpp v3, v2 row_mirror row_mask:0xf bank_mask:0xf
	v_add_f32_e32 v2, v2, v3
	s_nop 1
	v_mov_b32_dpp v3, v2 row_bcast:15 row_mask:0xf bank_mask:0xf
	v_add_f32_e32 v2, v2, v3
	s_nop 1
	v_mov_b32_dpp v3, v2 row_bcast:31 row_mask:0xf bank_mask:0xf
	s_waitcnt lgkmcnt(0)
	s_and_saveexec_b64 s[18:19], s[2:3]
	s_cbranch_execz .LBB569_13
; %bb.12:
	v_add_f32_e32 v2, v2, v3
	v_lshrrev_b32_e32 v3, 4, v0
	v_and_b32_e32 v3, 60, v3
	ds_write_b32 v3, v2 offset:16
.LBB569_13:
	s_or_b64 exec, exec, s[18:19]
	v_and_b32_e32 v2, 3, v0
	v_lshlrev_b32_e32 v18, 2, v2
	s_waitcnt lgkmcnt(0)
	s_barrier
	ds_read_b32 v3, v18 offset:16
	s_load_dwordx2 s[18:19], s[4:5], 0x18
	s_waitcnt lgkmcnt(0)
	v_mov_b32_dpp v4, v3 quad_perm:[1,0,3,2] row_mask:0xf bank_mask:0xf
	v_add_f32_e32 v3, v3, v4
	s_nop 1
	v_mov_b32_dpp v4, v3 quad_perm:[2,3,0,1] row_mask:0xf bank_mask:0xf
	s_and_saveexec_b64 s[30:31], s[0:1]
	s_cbranch_execnz .LBB569_18
; %bb.14:
	s_or_b64 exec, exec, s[30:31]
	s_mov_b64 s[8:9], -1
	s_and_b64 vcc, exec, s[10:11]
	s_cbranch_vccnz .LBB569_19
.LBB569_15:
	s_andn2_b64 vcc, exec, s[8:9]
	s_cbranch_vccz .LBB569_22
.LBB569_16:
	s_cmp_lt_i32 s24, 1
	s_cbranch_scc0 .LBB569_31
.LBB569_17:
	s_endpgm
.LBB569_18:
	v_cvt_f32_u32_e32 v5, s7
	v_add_f32_e32 v3, v3, v4
	v_mov_b32_e32 v9, s21
	v_mov_b32_e32 v12, s20
	v_div_scale_f32 v4, s[36:37], v5, v5, v3
	v_rcp_f32_e32 v8, v4
	v_cndmask_b32_e64 v9, v9, v12, s[8:9]
	s_mov_b32 s7, 0x800000
	s_waitcnt vmcnt(0)
	v_cvt_f32_f16_sdwa v17, v22 dst_sel:DWORD dst_unused:UNUSED_PAD src0_sel:WORD_1
	v_fma_f32 v12, -v4, v8, 1.0
	v_fmac_f32_e32 v8, v12, v8
	v_div_scale_f32 v12, vcc, v3, v5, v3
	v_mul_f32_e32 v13, v12, v8
	v_fma_f32 v16, -v4, v13, v12
	v_fmac_f32_e32 v13, v16, v8
	v_fma_f32 v4, -v4, v13, v12
	v_div_fmas_f32 v4, v4, v8, v13
	v_div_fixup_f32 v3, v4, v5, v3
	v_add_f32_e32 v3, v9, v3
	v_mul_f32_e32 v4, 0x4b800000, v3
	v_cmp_gt_f32_e32 vcc, s7, v3
	v_cndmask_b32_e32 v3, v3, v4, vcc
	v_rsq_f32_e32 v3, v3
	v_cvt_f32_f16_e32 v16, v22
	v_mul_f32_e32 v4, 0x45800000, v3
	v_cndmask_b32_e32 v4, v3, v4, vcc
	v_mov_b32_e32 v5, v4
	;;#ASMSTART
	v_pk_mul_f32 v[8:9], v[10:11], v[4:5]
	;;#ASMEND
	v_cvt_f32_f16_sdwa v11, v20 dst_sel:DWORD dst_unused:UNUSED_PAD src0_sel:WORD_1
	v_cvt_f32_f16_e32 v10, v20
	;;#ASMSTART
	v_pk_mul_f32 v[12:13], v[14:15], v[4:5]
	;;#ASMEND
	v_cvt_f32_f16_sdwa v15, v21 dst_sel:DWORD dst_unused:UNUSED_PAD src0_sel:WORD_1
	v_cvt_f32_f16_e32 v14, v21
	v_cvt_f32_f16_sdwa v21, v23 dst_sel:DWORD dst_unused:UNUSED_PAD src0_sel:WORD_1
	v_cvt_f32_f16_e32 v20, v23
	v_pk_add_f32 v[10:11], v[10:11], 1.0 op_sel_hi:[1,0]
	;;#ASMSTART
	v_pk_mul_f32 v[6:7], v[6:7], v[4:5]
	;;#ASMEND
	;;#ASMSTART
	v_pk_mul_f32 v[4:5], v[28:29], v[4:5]
	;;#ASMEND
	;; [unrolled: 3-line block ×3, first 2 shown]
	v_pk_add_f32 v[8:9], v[14:15], 1.0 op_sel_hi:[1,0]
	;;#ASMSTART
	v_pk_mul_f32 v[14:15], v[12:13], v[8:9]
	;;#ASMEND
	v_pk_add_f32 v[8:9], v[16:17], 1.0 op_sel_hi:[1,0]
	;;#ASMSTART
	v_pk_mul_f32 v[6:7], v[6:7], v[8:9]
	;;#ASMEND
	;; [unrolled: 4-line block ×3, first 2 shown]
	s_or_b64 exec, exec, s[30:31]
	s_mov_b64 s[8:9], -1
	s_and_b64 vcc, exec, s[10:11]
	s_cbranch_vccz .LBB569_15
.LBB569_19:
	s_and_saveexec_b64 s[8:9], s[0:1]
	s_cbranch_execz .LBB569_21
; %bb.20:
	s_mul_hi_i32 s11, s16, s6
	s_mul_i32 s10, s16, s6
	v_cvt_f16_f32_e32 v3, v10
	v_cvt_f16_f32_e32 v4, v14
	;; [unrolled: 1-line block ×8, first 2 shown]
	s_lshl_b64 s[10:11], s[10:11], 1
	s_add_u32 s36, s18, s10
	s_addc_u32 s7, s19, s11
	s_and_b32 s37, s7, 0xffff
	s_mov_b32 s39, 0x20000
	s_waitcnt vmcnt(0)
	v_pack_b32_f16 v23, v8, v9
	v_pack_b32_f16 v22, v5, v12
	;; [unrolled: 1-line block ×4, first 2 shown]
	v_lshlrev_b32_e32 v3, 4, v0
	buffer_store_dwordx4 v[20:23], v3, s[36:39], 0 offen
	;;#ASMSTART
	s_nop 0
	;;#ASMEND
.LBB569_21:
	s_or_b64 exec, exec, s[8:9]
	s_cbranch_execnz .LBB569_16
.LBB569_22:
	v_mov_b32_e32 v3, 0
	s_and_saveexec_b64 s[8:9], s[0:1]
	s_cbranch_execz .LBB569_24
; %bb.23:
	s_load_dwordx2 s[10:11], s[4:5], 0x10
	s_mul_hi_i32 s31, s15, s6
	s_mul_i32 s30, s15, s6
	v_cvt_f16_f32_e32 v3, v10
	v_cvt_f16_f32_e32 v4, v14
	;; [unrolled: 1-line block ×8, first 2 shown]
	s_lshl_b64 s[30:31], s[30:31], 1
	s_waitcnt lgkmcnt(0)
	s_add_u32 s36, s10, s30
	s_addc_u32 s7, s11, s31
	s_mov_b32 s39, 0x20000
	s_and_b32 s37, s7, 0xffff
	s_waitcnt vmcnt(0)
	v_pack_b32_f16 v23, v8, v9
	v_pack_b32_f16 v22, v5, v12
	v_pack_b32_f16 v21, v4, v13
	v_pack_b32_f16 v20, v3, v16
	v_lshlrev_b32_e32 v3, 4, v0
	buffer_store_dwordx4 v[20:23], v3, s[36:39], 0 offen
	v_mov_b32_e32 v3, 0x2edbe6ff
	;;#ASMSTART
	s_nop 0
	;;#ASMEND
.LBB569_24:
	s_or_b64 exec, exec, s[8:9]
	s_and_saveexec_b64 s[8:9], s[0:1]
	s_cbranch_execz .LBB569_26
; %bb.25:
	v_and_b32_e32 v4, 0x7fffffff, v10
	v_and_b32_e32 v5, 0x7fffffff, v11
	;;#ASMSTART
	v_max3_f32 v3, v3, v4, v5

	;;#ASMEND
	v_and_b32_e32 v4, 0x7fffffff, v14
	v_and_b32_e32 v5, 0x7fffffff, v15
	;;#ASMSTART
	v_max3_f32 v3, v3, v4, v5

	;;#ASMEND
	;; [unrolled: 6-line block ×4, first 2 shown]
.LBB569_26:
	s_or_b64 exec, exec, s[8:9]
	;;#ASMSTART
	v_max_f32 v4, v3, v3 quad_perm:[1,0,3,2] row_mask:0xf bank_mask:0xf bound_ctrl:1
	;;#ASMEND
	;;#ASMSTART
	v_max_f32 v3, v4, v4 quad_perm:[2,3,0,1] row_mask:0xf bank_mask:0xf bound_ctrl:1
	;;#ASMEND
	v_cmp_eq_u32_e32 vcc, 0, v2
	v_cmp_gt_i32_e64 s[8:9], s23, v1
	v_mul_f32_e32 v3, 0x3b124925, v3
	s_and_b64 s[10:11], vcc, s[8:9]
	s_and_saveexec_b64 s[8:9], s[10:11]
	s_cbranch_execz .LBB569_28
; %bb.27:
	s_load_dwordx2 s[10:11], s[4:5], 0x8
	v_lshrrev_b32_e32 v2, 2, v0
	s_mul_hi_i32 s31, s13, s6
	s_mul_i32 s30, s13, s6
	v_mad_i64_i32 v[4:5], s[14:15], s14, v2, 0
	s_lshl_b64 s[14:15], s[30:31], 2
	s_waitcnt lgkmcnt(0)
	s_add_u32 s7, s10, s14
	s_addc_u32 s10, s11, s15
	v_lshlrev_b64 v[4:5], 2, v[4:5]
	v_mov_b32_e32 v2, s10
	v_add_co_u32_e32 v4, vcc, s7, v4
	v_addc_co_u32_e32 v5, vcc, v2, v5, vcc
	global_store_dword v[4:5], v3, off
.LBB569_28:
	s_or_b64 exec, exec, s[8:9]
	;;#ASMSTART
	v_rcp_f32 v2, v3
	;;#ASMEND
	s_and_saveexec_b64 s[14:15], s[0:1]
	s_cbranch_execz .LBB569_30
; %bb.29:
	s_load_dwordx2 s[0:1], s[4:5], 0x0
	s_mul_i32 s8, s12, s6
	v_mov_b32_e32 v3, v2
	;;#ASMSTART
	v_pk_mul_f32 v[4:5], v[10:11], v[2:3]
	;;#ASMEND
	s_mul_hi_i32 s7, s12, s6
	s_waitcnt lgkmcnt(0)
	s_add_u32 s8, s0, s8
	v_mov_b32_e32 v8, 0xc3e00000
	v_mov_b32_e32 v9, 0x43e00000
	;;#ASMSTART
	v_med3_f32 v4, v4, v8, v9
v_med3_f32 v5, v5, v8, v9
v_cvt_pk_fp8_f32 v10, v4, v5
	;;#ASMEND
	s_addc_u32 s0, s1, s7
	;;#ASMSTART
	v_pk_mul_f32 v[4:5], v[14:15], v[2:3]
	;;#ASMEND
	s_and_b32 s9, s0, 0xffff
	;;#ASMSTART
	v_med3_f32 v4, v4, v8, v9
v_med3_f32 v5, v5, v8, v9
v_cvt_pk_fp8_f32 v11, v4, v5
	;;#ASMEND
	s_mov_b32 s0, 0x5040100
	v_perm_b32 v5, v11, v10, s0
	s_movk_i32 s0, 0xff
	v_and_b32_e32 v4, 0xffffff00, v11
	v_and_b32_sdwa v10, v5, s0 dst_sel:DWORD dst_unused:UNUSED_PAD src0_sel:WORD_1 src1_sel:DWORD
	s_mov_b32 s12, 0xffff
	v_or_b32_sdwa v4, v10, v4 dst_sel:WORD_1 dst_unused:UNUSED_PAD src0_sel:DWORD src1_sel:DWORD
	s_add_i32 s1, s23, 3
	v_and_or_b32 v4, v5, s12, v4
	;;#ASMSTART
	v_pk_mul_f32 v[6:7], v[6:7], v[2:3]
	;;#ASMEND
	v_mov_b32_e32 v5, v6
	s_ashr_i32 s7, s1, 31
	;;#ASMSTART
	v_med3_f32 v5, v5, v8, v9
v_med3_f32 v7, v7, v8, v9
v_cvt_pk_fp8_f32 v6, v5, v7
	;;#ASMEND
	;;#ASMSTART
	v_pk_mul_f32 v[2:3], v[28:29], v[2:3]
	;;#ASMEND
	s_lshr_b32 s7, s7, 30
	;;#ASMSTART
	v_med3_f32 v2, v2, v8, v9
v_med3_f32 v3, v3, v8, v9
v_cvt_pk_fp8_f32 v5, v2, v3
	;;#ASMEND
	s_add_i32 s1, s1, s7
	v_lshlrev_b32_e32 v2, 16, v5
	s_and_b32 s10, s1, -4
	s_mov_b32 s11, 0x20000
	v_and_or_b32 v5, v6, s12, v2
	buffer_store_dwordx2 v[4:5], v1, s[8:11], 0 offen
	;;#ASMSTART
	s_nop 0
	;;#ASMEND
.LBB569_30:
	s_or_b64 exec, exec, s[14:15]
	s_cmp_lt_i32 s24, 1
	s_cbranch_scc1 .LBB569_17
.LBB569_31:
	s_load_dword s0, s[4:5], 0x94
	s_waitcnt lgkmcnt(0)
	s_cmp_lg_u32 s0, 1
	s_cbranch_scc1 .LBB569_17
; %bb.32:
	s_lshl_b32 s0, s24, 1
	s_add_i32 s0, s0, 2
	v_cmp_gt_u32_e32 vcc, s24, v1
	s_and_b32 s30, s0, -4
	v_mov_b32_e32 v10, 0
	v_lshlrev_b32_e32 v1, 4, v0
	v_mov_b32_e32 v6, 0
	v_mov_b32_e32 v7, 0
	;; [unrolled: 1-line block ×8, first 2 shown]
	s_barrier
	s_and_saveexec_b64 s[0:1], vcc
	s_cbranch_execz .LBB569_34
; %bb.33:
	s_mul_hi_i32 s5, s26, s6
	s_mul_i32 s4, s26, s6
	s_and_b32 s29, s29, 0xffff
	s_lshl_b64 s[4:5], s[4:5], 1
	s_add_u32 s8, s34, s4
	s_mov_b32 s31, 0x20000
	s_addc_u32 s4, s35, s5
	s_and_b32 s9, s4, 0xffff
	s_mov_b32 s10, s30
	s_mov_b32 s11, s31
	buffer_load_dwordx4 v[6:9], v1, s[8:11], 0 offen glc slc
	buffer_load_dwordx4 v[2:5], v1, s[28:31], 0 offen
.LBB569_34:
	s_or_b64 exec, exec, s[0:1]
	v_mov_b32_e32 v11, 0
	v_mov_b32_e32 v16, 0
	;; [unrolled: 1-line block ×7, first 2 shown]
	s_and_saveexec_b64 s[0:1], vcc
	s_cbranch_execz .LBB569_36
; %bb.35:
	s_waitcnt vmcnt(1)
	v_cvt_f32_f16_sdwa v11, v6 dst_sel:DWORD dst_unused:UNUSED_PAD src0_sel:WORD_1
	v_cvt_f32_f16_e32 v10, v6
	v_cvt_f32_f16_sdwa v17, v7 dst_sel:DWORD dst_unused:UNUSED_PAD src0_sel:WORD_1
	v_cvt_f32_f16_e32 v16, v7
	;; [unrolled: 2-line block ×4, first 2 shown]
.LBB569_36:
	s_or_b64 exec, exec, s[0:1]
	s_waitcnt vmcnt(1)
	v_mul_f32_e32 v6, v11, v11
	v_fmac_f32_e32 v6, v10, v10
	v_fmac_f32_e32 v6, v16, v16
	;; [unrolled: 1-line block ×7, first 2 shown]
	s_nop 1
	v_mov_b32_dpp v7, v6 quad_perm:[1,0,3,2] row_mask:0xf bank_mask:0xf
	v_add_f32_e32 v6, v6, v7
	s_nop 1
	v_mov_b32_dpp v7, v6 quad_perm:[2,3,0,1] row_mask:0xf bank_mask:0xf
	v_add_f32_e32 v6, v6, v7
	s_nop 1
	v_mov_b32_dpp v7, v6 row_half_mirror row_mask:0xf bank_mask:0xf
	v_add_f32_e32 v6, v6, v7
	s_nop 1
	v_mov_b32_dpp v7, v6 row_mirror row_mask:0xf bank_mask:0xf
	v_add_f32_e32 v6, v6, v7
	s_nop 1
	v_mov_b32_dpp v7, v6 row_bcast:15 row_mask:0xf bank_mask:0xf
	v_add_f32_e32 v6, v6, v7
	s_nop 1
	v_mov_b32_dpp v7, v6 row_bcast:31 row_mask:0xf bank_mask:0xf
	s_and_saveexec_b64 s[0:1], s[2:3]
	s_cbranch_execz .LBB569_38
; %bb.37:
	v_lshrrev_b32_e32 v0, 4, v0
	v_add_f32_e32 v6, v6, v7
	v_and_b32_e32 v0, 60, v0
	ds_write_b32 v0, v6
.LBB569_38:
	s_or_b64 exec, exec, s[0:1]
	s_waitcnt lgkmcnt(0)
	s_barrier
	ds_read_b32 v0, v18
	s_waitcnt lgkmcnt(0)
	s_nop 0
	v_mov_b32_dpp v6, v0 quad_perm:[1,0,3,2] row_mask:0xf bank_mask:0xf
	v_add_f32_e32 v0, v0, v6
	s_nop 1
	v_mov_b32_dpp v6, v0 quad_perm:[2,3,0,1] row_mask:0xf bank_mask:0xf
	s_and_saveexec_b64 s[0:1], vcc
	s_cbranch_execz .LBB569_17
; %bb.39:
	v_cvt_f32_u32_e32 v7, s24
	v_add_f32_e32 v0, v0, v6
	s_mov_b32 s31, 0x20000
	v_div_scale_f32 v6, s[0:1], v7, v7, v0
	v_rcp_f32_e32 v8, v6
	v_div_scale_f32 v9, vcc, v0, v7, v0
	s_mov_b32 s0, 0x800000
	v_fma_f32 v18, -v6, v8, 1.0
	v_fmac_f32_e32 v8, v18, v8
	v_mul_f32_e32 v18, v9, v8
	v_fma_f32 v19, -v6, v18, v9
	v_fmac_f32_e32 v18, v19, v8
	v_fma_f32 v6, -v6, v18, v9
	v_div_fmas_f32 v6, v6, v8, v18
	v_div_fixup_f32 v0, v6, v7, v0
	v_add_f32_e32 v0, s21, v0
	v_mul_f32_e32 v6, 0x4b800000, v0
	v_cmp_gt_f32_e32 vcc, s0, v0
	v_cndmask_b32_e32 v0, v0, v6, vcc
	v_rsq_f32_e32 v0, v0
	s_waitcnt vmcnt(0)
	v_cvt_f32_f16_sdwa v19, v3 dst_sel:DWORD dst_unused:UNUSED_PAD src0_sel:WORD_1
	v_cvt_f32_f16_e32 v18, v3
	s_mul_hi_i32 s1, s16, s6
	v_mul_f32_e32 v6, 0x45800000, v0
	v_cndmask_b32_e32 v6, v0, v6, vcc
	v_mov_b32_e32 v7, v6
	;;#ASMSTART
	v_pk_mul_f32 v[8:9], v[10:11], v[6:7]
	;;#ASMEND
	;;#ASMSTART
	v_pk_mul_f32 v[10:11], v[16:17], v[6:7]
	;;#ASMEND
	v_cvt_f32_f16_sdwa v17, v2 dst_sel:DWORD dst_unused:UNUSED_PAD src0_sel:WORD_1
	v_cvt_f32_f16_e32 v16, v2
	;;#ASMSTART
	v_pk_mul_f32 v[14:15], v[14:15], v[6:7]
	;;#ASMEND
	;;#ASMSTART
	v_pk_mul_f32 v[2:3], v[12:13], v[6:7]
	;;#ASMEND
	v_cvt_f32_f16_sdwa v13, v4 dst_sel:DWORD dst_unused:UNUSED_PAD src0_sel:WORD_1
	v_cvt_f32_f16_e32 v12, v4
	v_pk_add_f32 v[6:7], v[16:17], 1.0 op_sel_hi:[1,0]
	v_cvt_f32_f16_sdwa v17, v5 dst_sel:DWORD dst_unused:UNUSED_PAD src0_sel:WORD_1
	v_cvt_f32_f16_e32 v16, v5
	;;#ASMSTART
	v_pk_mul_f32 v[6:7], v[8:9], v[6:7]
	;;#ASMEND
	v_pk_add_f32 v[8:9], v[18:19], 1.0 op_sel_hi:[1,0]
	;;#ASMSTART
	v_pk_mul_f32 v[4:5], v[10:11], v[8:9]
	;;#ASMEND
	v_pk_add_f32 v[8:9], v[12:13], 1.0 op_sel_hi:[1,0]
	;; [unrolled: 4-line block ×3, first 2 shown]
	;;#ASMSTART
	v_pk_mul_f32 v[2:3], v[2:3], v[10:11]
	;;#ASMEND
	s_mul_i32 s0, s16, s6
	v_cvt_f16_f32_e32 v0, v6
	v_cvt_f16_f32_e32 v6, v7
	;; [unrolled: 1-line block ×8, first 2 shown]
	s_lshl_b64 s[0:1], s[0:1], 1
	s_add_u32 s28, s18, s0
	s_addc_u32 s0, s19, s1
	s_and_b32 s29, s0, 0xffff
	v_pack_b32_f16 v2, v0, v6
	v_pack_b32_f16 v3, v4, v5
	;; [unrolled: 1-line block ×4, first 2 shown]
	buffer_store_dwordx4 v[2:5], v1, s[28:31], 0 offen
	;;#ASMSTART
	s_nop 0
	;;#ASMEND
	s_endpgm
	.section	.rodata,"a",@progbits
	.p2align	6, 0x0
	.amdhsa_kernel _ZN5aiter35fused_qk_rmsnorm_group_quant_kernelIDF16_DB8_Li256ELi8ELi4ELb1ELb1ELb1ELb0ELb0ELb0EEEvPT0_PvPT_S6_S6_PKS5_S8_S8_S8_S8_ffiiiiiiiiiiiii
		.amdhsa_group_segment_fixed_size 32
		.amdhsa_private_segment_fixed_size 0
		.amdhsa_kernarg_size 400
		.amdhsa_user_sgpr_count 6
		.amdhsa_user_sgpr_private_segment_buffer 1
		.amdhsa_user_sgpr_dispatch_ptr 0
		.amdhsa_user_sgpr_queue_ptr 0
		.amdhsa_user_sgpr_kernarg_segment_ptr 1
		.amdhsa_user_sgpr_dispatch_id 0
		.amdhsa_user_sgpr_flat_scratch_init 0
		.amdhsa_user_sgpr_kernarg_preload_length 0
		.amdhsa_user_sgpr_kernarg_preload_offset 0
		.amdhsa_user_sgpr_private_segment_size 0
		.amdhsa_uses_dynamic_stack 0
		.amdhsa_system_sgpr_private_segment_wavefront_offset 0
		.amdhsa_system_sgpr_workgroup_id_x 1
		.amdhsa_system_sgpr_workgroup_id_y 1
		.amdhsa_system_sgpr_workgroup_id_z 0
		.amdhsa_system_sgpr_workgroup_info 0
		.amdhsa_system_vgpr_workitem_id 0
		.amdhsa_next_free_vgpr 31
		.amdhsa_next_free_sgpr 44
		.amdhsa_accum_offset 32
		.amdhsa_reserve_vcc 1
		.amdhsa_reserve_flat_scratch 0
		.amdhsa_float_round_mode_32 0
		.amdhsa_float_round_mode_16_64 0
		.amdhsa_float_denorm_mode_32 3
		.amdhsa_float_denorm_mode_16_64 3
		.amdhsa_dx10_clamp 1
		.amdhsa_ieee_mode 1
		.amdhsa_fp16_overflow 0
		.amdhsa_tg_split 0
		.amdhsa_exception_fp_ieee_invalid_op 0
		.amdhsa_exception_fp_denorm_src 0
		.amdhsa_exception_fp_ieee_div_zero 0
		.amdhsa_exception_fp_ieee_overflow 0
		.amdhsa_exception_fp_ieee_underflow 0
		.amdhsa_exception_fp_ieee_inexact 0
		.amdhsa_exception_int_div_zero 0
	.end_amdhsa_kernel
	.section	.text._ZN5aiter35fused_qk_rmsnorm_group_quant_kernelIDF16_DB8_Li256ELi8ELi4ELb1ELb1ELb1ELb0ELb0ELb0EEEvPT0_PvPT_S6_S6_PKS5_S8_S8_S8_S8_ffiiiiiiiiiiiii,"axG",@progbits,_ZN5aiter35fused_qk_rmsnorm_group_quant_kernelIDF16_DB8_Li256ELi8ELi4ELb1ELb1ELb1ELb0ELb0ELb0EEEvPT0_PvPT_S6_S6_PKS5_S8_S8_S8_S8_ffiiiiiiiiiiiii,comdat
.Lfunc_end569:
	.size	_ZN5aiter35fused_qk_rmsnorm_group_quant_kernelIDF16_DB8_Li256ELi8ELi4ELb1ELb1ELb1ELb0ELb0ELb0EEEvPT0_PvPT_S6_S6_PKS5_S8_S8_S8_S8_ffiiiiiiiiiiiii, .Lfunc_end569-_ZN5aiter35fused_qk_rmsnorm_group_quant_kernelIDF16_DB8_Li256ELi8ELi4ELb1ELb1ELb1ELb0ELb0ELb0EEEvPT0_PvPT_S6_S6_PKS5_S8_S8_S8_S8_ffiiiiiiiiiiiii
                                        ; -- End function
	.section	.AMDGPU.csdata,"",@progbits
; Kernel info:
; codeLenInByte = 3052
; NumSgprs: 48
; NumVgprs: 31
; NumAgprs: 0
; TotalNumVgprs: 31
; ScratchSize: 0
; MemoryBound: 0
; FloatMode: 240
; IeeeMode: 1
; LDSByteSize: 32 bytes/workgroup (compile time only)
; SGPRBlocks: 5
; VGPRBlocks: 3
; NumSGPRsForWavesPerEU: 48
; NumVGPRsForWavesPerEU: 31
; AccumOffset: 32
; Occupancy: 8
; WaveLimiterHint : 0
; COMPUTE_PGM_RSRC2:SCRATCH_EN: 0
; COMPUTE_PGM_RSRC2:USER_SGPR: 6
; COMPUTE_PGM_RSRC2:TRAP_HANDLER: 0
; COMPUTE_PGM_RSRC2:TGID_X_EN: 1
; COMPUTE_PGM_RSRC2:TGID_Y_EN: 1
; COMPUTE_PGM_RSRC2:TGID_Z_EN: 0
; COMPUTE_PGM_RSRC2:TIDIG_COMP_CNT: 0
; COMPUTE_PGM_RSRC3_GFX90A:ACCUM_OFFSET: 7
; COMPUTE_PGM_RSRC3_GFX90A:TG_SPLIT: 0
	.section	.text._ZN5aiter35fused_qk_rmsnorm_group_quant_kernelItDB8_Li256ELi8ELi4ELb1ELb1ELb1ELb0ELb0ELb0EEEvPT0_PvPT_S6_S6_PKS5_S8_S8_S8_S8_ffiiiiiiiiiiiii,"axG",@progbits,_ZN5aiter35fused_qk_rmsnorm_group_quant_kernelItDB8_Li256ELi8ELi4ELb1ELb1ELb1ELb0ELb0ELb0EEEvPT0_PvPT_S6_S6_PKS5_S8_S8_S8_S8_ffiiiiiiiiiiiii,comdat
	.protected	_ZN5aiter35fused_qk_rmsnorm_group_quant_kernelItDB8_Li256ELi8ELi4ELb1ELb1ELb1ELb0ELb0ELb0EEEvPT0_PvPT_S6_S6_PKS5_S8_S8_S8_S8_ffiiiiiiiiiiiii ; -- Begin function _ZN5aiter35fused_qk_rmsnorm_group_quant_kernelItDB8_Li256ELi8ELi4ELb1ELb1ELb1ELb0ELb0ELb0EEEvPT0_PvPT_S6_S6_PKS5_S8_S8_S8_S8_ffiiiiiiiiiiiii
	.globl	_ZN5aiter35fused_qk_rmsnorm_group_quant_kernelItDB8_Li256ELi8ELi4ELb1ELb1ELb1ELb0ELb0ELb0EEEvPT0_PvPT_S6_S6_PKS5_S8_S8_S8_S8_ffiiiiiiiiiiiii
	.p2align	8
	.type	_ZN5aiter35fused_qk_rmsnorm_group_quant_kernelItDB8_Li256ELi8ELi4ELb1ELb1ELb1ELb0ELb0ELb0EEEvPT0_PvPT_S6_S6_PKS5_S8_S8_S8_S8_ffiiiiiiiiiiiii,@function
_ZN5aiter35fused_qk_rmsnorm_group_quant_kernelItDB8_Li256ELi8ELi4ELb1ELb1ELb1ELb0ELb0ELb0EEEvPT0_PvPT_S6_S6_PKS5_S8_S8_S8_S8_ffiiiiiiiiiiiii: ; @_ZN5aiter35fused_qk_rmsnorm_group_quant_kernelItDB8_Li256ELi8ELi4ELb1ELb1ELb1ELb0ELb0ELb0EEEvPT0_PvPT_S6_S6_PKS5_S8_S8_S8_S8_ffiiiiiiiiiiiii
; %bb.0:
	s_load_dwordx8 s[20:27], s[4:5], 0x50
	s_waitcnt lgkmcnt(0)
	s_cmp_ge_i32 s6, s22
	s_cbranch_scc1 .LBB570_17
; %bb.1:
	s_cmp_lg_u32 s7, 0
	s_cselect_b64 s[10:11], -1, 0
	s_cmp_eq_u32 s7, 0
	s_cselect_b64 s[8:9], -1, 0
	s_and_b64 s[0:1], s[8:9], exec
	s_load_dwordx2 s[28:29], s[4:5], 0x48
	s_load_dwordx2 s[34:35], s[4:5], 0x30
	s_load_dwordx8 s[12:19], s[4:5], 0x70
	s_cselect_b32 s7, s23, s24
	s_add_i32 s0, s7, 1
	s_lshr_b32 s1, s0, 31
	s_add_i32 s0, s0, s1
	s_lshl_b32 s0, s0, 1
	v_lshlrev_b32_e32 v1, 3, v0
	s_and_b32 s38, s0, -4
	v_cmp_gt_i32_e64 s[0:1], s7, v1
	v_mov_b32_e32 v10, 0
	v_mov_b32_e32 v11, 0
	v_mov_b32_e32 v12, 0
	v_mov_b32_e32 v13, 0
	v_mov_b32_e32 v14, 0
	v_mov_b32_e32 v15, 0
	v_mov_b32_e32 v16, 0
	v_mov_b32_e32 v17, 0
	s_and_saveexec_b64 s[2:3], s[0:1]
	s_cbranch_execz .LBB570_3
; %bb.2:
	s_waitcnt lgkmcnt(0)
	s_load_dwordx2 s[18:19], s[4:5], 0x28
	s_load_dwordx2 s[30:31], s[4:5], 0x40
	s_and_b64 s[36:37], s[8:9], exec
	s_cselect_b32 s22, s25, s26
	s_mov_b32 s39, 0x20000
	s_waitcnt lgkmcnt(0)
	s_cselect_b32 s25, s19, s35
	s_cselect_b32 s33, s18, s34
	s_mul_hi_i32 s19, s22, s6
	s_mul_i32 s18, s22, s6
	s_lshl_b64 s[18:19], s[18:19], 1
	s_add_u32 s40, s33, s18
	s_addc_u32 s22, s25, s19
	s_and_b64 s[18:19], s[8:9], exec
	s_cselect_b32 s36, s30, s28
	s_cselect_b32 s18, s31, s29
	v_lshlrev_b32_e32 v2, 4, v0
	s_and_b32 s41, s22, 0xffff
	s_mov_b32 s42, s38
	s_mov_b32 s43, s39
	s_and_b32 s37, s18, 0xffff
	buffer_load_dwordx4 v[14:17], v2, s[40:43], 0 offen glc slc
	buffer_load_dwordx4 v[10:13], v2, s[36:39], 0 offen
.LBB570_3:
	s_or_b64 exec, exec, s[2:3]
	s_and_b64 vcc, exec, s[10:11]
	s_cbranch_vccz .LBB570_7
; %bb.4:
	s_mov_b32 s40, 0
	s_mov_b32 s41, s40
	;; [unrolled: 1-line block ×8, first 2 shown]
	v_pk_mov_b32 v[2:3], s[40:41], s[40:41] op_sel:[0,1]
	v_pk_mov_b32 v[4:5], s[42:43], s[42:43] op_sel:[0,1]
	;; [unrolled: 1-line block ×4, first 2 shown]
	s_and_saveexec_b64 s[2:3], s[0:1]
	s_cbranch_execz .LBB570_6
; %bb.5:
	s_waitcnt vmcnt(1)
	v_cvt_f32_u32_sdwa v3, v14 dst_sel:DWORD dst_unused:UNUSED_PAD src0_sel:WORD_1
	v_cvt_f32_u32_sdwa v2, v14 dst_sel:DWORD dst_unused:UNUSED_PAD src0_sel:WORD_0
	v_cvt_f32_u32_sdwa v5, v15 dst_sel:DWORD dst_unused:UNUSED_PAD src0_sel:WORD_1
	v_cvt_f32_u32_sdwa v4, v15 dst_sel:DWORD dst_unused:UNUSED_PAD src0_sel:WORD_0
	;; [unrolled: 2-line block ×4, first 2 shown]
.LBB570_6:
	s_or_b64 exec, exec, s[2:3]
	s_cbranch_execz .LBB570_8
	s_branch .LBB570_11
.LBB570_7:
                                        ; implicit-def: $vgpr2_vgpr3_vgpr4_vgpr5_vgpr6_vgpr7_vgpr8_vgpr9
.LBB570_8:
	s_mov_b32 s40, 0
	s_mov_b32 s41, s40
	;; [unrolled: 1-line block ×8, first 2 shown]
	v_pk_mov_b32 v[2:3], s[40:41], s[40:41] op_sel:[0,1]
	v_pk_mov_b32 v[4:5], s[42:43], s[42:43] op_sel:[0,1]
	;; [unrolled: 1-line block ×4, first 2 shown]
	s_and_saveexec_b64 s[2:3], s[0:1]
	s_cbranch_execz .LBB570_10
; %bb.9:
	s_waitcnt lgkmcnt(0)
	s_load_dwordx2 s[18:19], s[4:5], 0x38
	s_mul_hi_i32 s31, s27, s6
	s_mul_i32 s30, s27, s6
	s_lshl_b64 s[30:31], s[30:31], 1
	s_mov_b32 s39, 0x20000
	s_waitcnt lgkmcnt(0)
	s_add_u32 s36, s18, s30
	s_addc_u32 s18, s19, s31
	s_and_b32 s37, s18, 0xffff
	v_lshlrev_b32_e32 v26, 4, v0
	buffer_load_dwordx4 v[2:5], v26, s[36:39], 0 offen glc slc
	s_load_dwordx2 s[18:19], s[4:5], 0x20
	s_waitcnt vmcnt(2)
	v_cvt_f32_u32_sdwa v7, v14 dst_sel:DWORD dst_unused:UNUSED_PAD src0_sel:WORD_1
	v_cvt_f32_u32_sdwa v6, v14 dst_sel:DWORD dst_unused:UNUSED_PAD src0_sel:WORD_0
	v_cvt_f32_u32_sdwa v9, v15 dst_sel:DWORD dst_unused:UNUSED_PAD src0_sel:WORD_1
	v_cvt_f32_u32_sdwa v8, v15 dst_sel:DWORD dst_unused:UNUSED_PAD src0_sel:WORD_0
	;; [unrolled: 2-line block ×4, first 2 shown]
	s_mul_hi_i32 s31, s17, s6
	s_mul_i32 s30, s17, s6
	s_lshl_b64 s[30:31], s[30:31], 1
	s_waitcnt lgkmcnt(0)
	s_add_u32 s36, s18, s30
	s_mov_b32 s17, 0x7060302
	s_addc_u32 s18, s19, s31
	s_and_b32 s37, s18, 0xffff
	s_waitcnt vmcnt(0)
	v_cvt_f32_u32_sdwa v17, v2 dst_sel:DWORD dst_unused:UNUSED_PAD src0_sel:WORD_1
	v_cvt_f32_u32_sdwa v16, v2 dst_sel:DWORD dst_unused:UNUSED_PAD src0_sel:WORD_0
	v_cvt_f32_u32_sdwa v21, v3 dst_sel:DWORD dst_unused:UNUSED_PAD src0_sel:WORD_1
	v_cvt_f32_u32_sdwa v20, v3 dst_sel:DWORD dst_unused:UNUSED_PAD src0_sel:WORD_0
	;; [unrolled: 2-line block ×4, first 2 shown]
	v_pk_add_f32 v[2:3], v[6:7], v[16:17]
	v_pk_add_f32 v[4:5], v[8:9], v[20:21]
	;; [unrolled: 1-line block ×4, first 2 shown]
	v_perm_b32 v17, v9, v8, s17
	v_perm_b32 v16, v7, v6, s17
	;; [unrolled: 1-line block ×4, first 2 shown]
	buffer_store_dwordx4 v[14:17], v26, s[36:39], 0 offen glc slc
	;;#ASMSTART
	s_nop 0
	;;#ASMEND
.LBB570_10:
	s_or_b64 exec, exec, s[2:3]
.LBB570_11:
	s_waitcnt vmcnt(1)
	v_mul_f32_e32 v14, v3, v3
	v_fmac_f32_e32 v14, v2, v2
	v_fmac_f32_e32 v14, v4, v4
	;; [unrolled: 1-line block ×7, first 2 shown]
	v_and_b32_e32 v16, 63, v0
	v_cmp_eq_u32_e64 s[2:3], 63, v16
	v_mov_b32_dpp v15, v14 quad_perm:[1,0,3,2] row_mask:0xf bank_mask:0xf
	v_add_f32_e32 v14, v14, v15
	s_nop 1
	v_mov_b32_dpp v15, v14 quad_perm:[2,3,0,1] row_mask:0xf bank_mask:0xf
	v_add_f32_e32 v14, v14, v15
	s_nop 1
	v_mov_b32_dpp v15, v14 row_half_mirror row_mask:0xf bank_mask:0xf
	v_add_f32_e32 v14, v14, v15
	s_nop 1
	v_mov_b32_dpp v15, v14 row_mirror row_mask:0xf bank_mask:0xf
	v_add_f32_e32 v14, v14, v15
	s_nop 1
	v_mov_b32_dpp v15, v14 row_bcast:15 row_mask:0xf bank_mask:0xf
	v_add_f32_e32 v14, v14, v15
	s_nop 1
	v_mov_b32_dpp v15, v14 row_bcast:31 row_mask:0xf bank_mask:0xf
	s_waitcnt lgkmcnt(0)
	s_and_saveexec_b64 s[18:19], s[2:3]
	s_cbranch_execz .LBB570_13
; %bb.12:
	v_add_f32_e32 v14, v14, v15
	v_lshrrev_b32_e32 v15, 4, v0
	v_and_b32_e32 v15, 60, v15
	ds_write_b32 v15, v14 offset:16
.LBB570_13:
	s_or_b64 exec, exec, s[18:19]
	v_and_b32_e32 v15, 3, v0
	v_lshlrev_b32_e32 v14, 2, v15
	s_waitcnt lgkmcnt(0)
	s_barrier
	ds_read_b32 v16, v14 offset:16
	s_load_dwordx2 s[18:19], s[4:5], 0x18
	s_waitcnt lgkmcnt(0)
	v_mov_b32_dpp v17, v16 quad_perm:[1,0,3,2] row_mask:0xf bank_mask:0xf
	v_add_f32_e32 v16, v16, v17
	s_nop 1
	v_mov_b32_dpp v17, v16 quad_perm:[2,3,0,1] row_mask:0xf bank_mask:0xf
	s_and_saveexec_b64 s[30:31], s[0:1]
	s_cbranch_execnz .LBB570_18
; %bb.14:
	s_or_b64 exec, exec, s[30:31]
	s_mov_b64 s[8:9], -1
	s_and_b64 vcc, exec, s[10:11]
	s_cbranch_vccnz .LBB570_19
.LBB570_15:
	s_andn2_b64 vcc, exec, s[8:9]
	s_cbranch_vccz .LBB570_22
.LBB570_16:
	s_cmp_lt_i32 s24, 1
	s_cbranch_scc0 .LBB570_31
.LBB570_17:
	s_endpgm
.LBB570_18:
	v_cvt_f32_u32_e32 v18, s7
	v_add_f32_e32 v16, v16, v17
	v_mov_b32_e32 v20, s21
	v_mov_b32_e32 v21, s20
	v_div_scale_f32 v17, s[36:37], v18, v18, v16
	v_rcp_f32_e32 v19, v17
	v_cndmask_b32_e64 v20, v20, v21, s[8:9]
	s_mov_b32 s7, 0x800000
	v_fma_f32 v21, -v17, v19, 1.0
	v_fmac_f32_e32 v19, v21, v19
	v_div_scale_f32 v21, vcc, v16, v18, v16
	v_mul_f32_e32 v22, v21, v19
	v_fma_f32 v23, -v17, v22, v21
	v_fmac_f32_e32 v22, v23, v19
	v_fma_f32 v17, -v17, v22, v21
	v_div_fmas_f32 v17, v17, v19, v22
	v_div_fixup_f32 v16, v17, v18, v16
	v_add_f32_e32 v16, v20, v16
	v_mul_f32_e32 v17, 0x4b800000, v16
	v_cmp_gt_f32_e32 vcc, s7, v16
	v_cndmask_b32_e32 v16, v16, v17, vcc
	v_rsq_f32_e32 v16, v16
	s_waitcnt vmcnt(0)
	v_cvt_f32_u32_sdwa v19, v10 dst_sel:DWORD dst_unused:UNUSED_PAD src0_sel:WORD_1
	v_cvt_f32_u32_sdwa v18, v10 dst_sel:DWORD dst_unused:UNUSED_PAD src0_sel:WORD_0
	v_cvt_f32_u32_sdwa v21, v11 dst_sel:DWORD dst_unused:UNUSED_PAD src0_sel:WORD_1
	v_mul_f32_e32 v17, 0x45800000, v16
	v_cndmask_b32_e32 v16, v16, v17, vcc
	v_mov_b32_e32 v17, v16
	v_cvt_f32_u32_sdwa v20, v11 dst_sel:DWORD dst_unused:UNUSED_PAD src0_sel:WORD_0
	;;#ASMSTART
	v_pk_mul_f32 v[2:3], v[2:3], v[16:17]
	;;#ASMEND
	;;#ASMSTART
	v_pk_mul_f32 v[4:5], v[4:5], v[16:17]
	;;#ASMEND
	;; [unrolled: 3-line block ×4, first 2 shown]
	v_cvt_f32_u32_sdwa v17, v12 dst_sel:DWORD dst_unused:UNUSED_PAD src0_sel:WORD_1
	v_cvt_f32_u32_sdwa v16, v12 dst_sel:DWORD dst_unused:UNUSED_PAD src0_sel:WORD_0
	v_pk_add_f32 v[10:11], v[18:19], 1.0 op_sel_hi:[1,0]
	v_cvt_f32_u32_sdwa v19, v13 dst_sel:DWORD dst_unused:UNUSED_PAD src0_sel:WORD_1
	v_cvt_f32_u32_sdwa v18, v13 dst_sel:DWORD dst_unused:UNUSED_PAD src0_sel:WORD_0
	;;#ASMSTART
	v_pk_mul_f32 v[2:3], v[2:3], v[10:11]
	;;#ASMEND
	v_pk_add_f32 v[10:11], v[20:21], 1.0 op_sel_hi:[1,0]
	;;#ASMSTART
	v_pk_mul_f32 v[4:5], v[4:5], v[10:11]
	;;#ASMEND
	v_pk_add_f32 v[10:11], v[16:17], 1.0 op_sel_hi:[1,0]
	;; [unrolled: 4-line block ×3, first 2 shown]
	;;#ASMSTART
	v_pk_mul_f32 v[8:9], v[8:9], v[10:11]
	;;#ASMEND
	s_or_b64 exec, exec, s[30:31]
	s_mov_b64 s[8:9], -1
	s_and_b64 vcc, exec, s[10:11]
	s_cbranch_vccz .LBB570_15
.LBB570_19:
	s_and_saveexec_b64 s[8:9], s[0:1]
	s_cbranch_execz .LBB570_21
; %bb.20:
	s_mul_hi_i32 s11, s16, s6
	s_mul_i32 s10, s16, s6
	s_lshl_b64 s[10:11], s[10:11], 1
	s_add_u32 s36, s18, s10
	s_addc_u32 s7, s19, s11
	s_and_b32 s37, s7, 0xffff
	s_mov_b32 s7, 0x7060302
	s_mov_b32 s39, 0x20000
	s_waitcnt vmcnt(0)
	v_perm_b32 v10, v3, v2, s7
	v_perm_b32 v11, v5, v4, s7
	;; [unrolled: 1-line block ×4, first 2 shown]
	v_lshlrev_b32_e32 v16, 4, v0
	buffer_store_dwordx4 v[10:13], v16, s[36:39], 0 offen
	;;#ASMSTART
	s_nop 0
	;;#ASMEND
.LBB570_21:
	s_or_b64 exec, exec, s[8:9]
	s_cbranch_execnz .LBB570_16
.LBB570_22:
	s_waitcnt vmcnt(0)
	v_mov_b32_e32 v10, 0
	s_and_saveexec_b64 s[8:9], s[0:1]
	s_cbranch_execz .LBB570_24
; %bb.23:
	s_load_dwordx2 s[10:11], s[4:5], 0x10
	s_mul_hi_i32 s31, s15, s6
	s_mul_i32 s30, s15, s6
	s_lshl_b64 s[30:31], s[30:31], 1
	s_mov_b32 s39, 0x20000
	s_waitcnt lgkmcnt(0)
	s_add_u32 s36, s10, s30
	s_addc_u32 s7, s11, s31
	s_and_b32 s37, s7, 0xffff
	s_mov_b32 s7, 0x7060302
	v_perm_b32 v10, v3, v2, s7
	v_perm_b32 v11, v5, v4, s7
	;; [unrolled: 1-line block ×4, first 2 shown]
	v_lshlrev_b32_e32 v16, 4, v0
	buffer_store_dwordx4 v[10:13], v16, s[36:39], 0 offen
	;;#ASMSTART
	s_nop 0
	;;#ASMEND
	s_nop 0
	v_mov_b32_e32 v10, 0x2edbe6ff
.LBB570_24:
	s_or_b64 exec, exec, s[8:9]
	s_and_saveexec_b64 s[8:9], s[0:1]
	s_cbranch_execz .LBB570_26
; %bb.25:
	v_and_b32_e32 v11, 0x7fffffff, v2
	v_and_b32_e32 v12, 0x7fffffff, v3
	;;#ASMSTART
	v_max3_f32 v10, v10, v11, v12

	;;#ASMEND
	v_and_b32_e32 v11, 0x7fffffff, v4
	v_and_b32_e32 v12, 0x7fffffff, v5
	;;#ASMSTART
	v_max3_f32 v10, v10, v11, v12

	;;#ASMEND
	v_and_b32_e32 v11, 0x7fffffff, v6
	v_and_b32_e32 v12, 0x7fffffff, v7
	;;#ASMSTART
	v_max3_f32 v10, v10, v11, v12

	;;#ASMEND
	v_and_b32_e32 v11, 0x7fffffff, v8
	v_and_b32_e32 v12, 0x7fffffff, v9
	;;#ASMSTART
	v_max3_f32 v10, v10, v11, v12

	;;#ASMEND
.LBB570_26:
	s_or_b64 exec, exec, s[8:9]
	;;#ASMSTART
	v_max_f32 v11, v10, v10 quad_perm:[1,0,3,2] row_mask:0xf bank_mask:0xf bound_ctrl:1
	;;#ASMEND
	;;#ASMSTART
	v_max_f32 v10, v11, v11 quad_perm:[2,3,0,1] row_mask:0xf bank_mask:0xf bound_ctrl:1
	;;#ASMEND
	v_cmp_eq_u32_e32 vcc, 0, v15
	v_cmp_gt_i32_e64 s[8:9], s23, v1
	v_mul_f32_e32 v10, 0x3b124925, v10
	s_and_b64 s[10:11], vcc, s[8:9]
	s_and_saveexec_b64 s[8:9], s[10:11]
	s_cbranch_execz .LBB570_28
; %bb.27:
	s_load_dwordx2 s[10:11], s[4:5], 0x8
	v_lshrrev_b32_e32 v11, 2, v0
	s_mul_hi_i32 s31, s13, s6
	s_mul_i32 s30, s13, s6
	v_mad_i64_i32 v[12:13], s[14:15], s14, v11, 0
	s_lshl_b64 s[14:15], s[30:31], 2
	s_waitcnt lgkmcnt(0)
	s_add_u32 s7, s10, s14
	s_addc_u32 s10, s11, s15
	v_lshlrev_b64 v[12:13], 2, v[12:13]
	v_mov_b32_e32 v11, s10
	v_add_co_u32_e32 v12, vcc, s7, v12
	v_addc_co_u32_e32 v13, vcc, v11, v13, vcc
	global_store_dword v[12:13], v10, off
.LBB570_28:
	s_or_b64 exec, exec, s[8:9]
	;;#ASMSTART
	v_rcp_f32 v10, v10
	;;#ASMEND
	s_and_saveexec_b64 s[14:15], s[0:1]
	s_cbranch_execz .LBB570_30
; %bb.29:
	s_load_dwordx2 s[0:1], s[4:5], 0x0
	s_mul_i32 s8, s12, s6
	v_mov_b32_e32 v11, v10
	;;#ASMSTART
	v_pk_mul_f32 v[2:3], v[2:3], v[10:11]
	;;#ASMEND
	s_mul_hi_i32 s7, s12, s6
	s_waitcnt lgkmcnt(0)
	s_add_u32 s8, s0, s8
	v_mov_b32_e32 v12, 0xc3e00000
	v_mov_b32_e32 v13, 0x43e00000
	;;#ASMSTART
	v_med3_f32 v2, v2, v12, v13
v_med3_f32 v3, v3, v12, v13
v_cvt_pk_fp8_f32 v15, v2, v3
	;;#ASMEND
	s_addc_u32 s0, s1, s7
	;;#ASMSTART
	v_pk_mul_f32 v[2:3], v[4:5], v[10:11]
	;;#ASMEND
	s_and_b32 s9, s0, 0xffff
	;;#ASMSTART
	v_med3_f32 v2, v2, v12, v13
v_med3_f32 v3, v3, v12, v13
v_cvt_pk_fp8_f32 v4, v2, v3
	;;#ASMEND
	s_mov_b32 s0, 0x5040100
	v_perm_b32 v3, v4, v15, s0
	s_movk_i32 s0, 0xff
	v_and_b32_e32 v2, 0xffffff00, v4
	v_and_b32_sdwa v4, v3, s0 dst_sel:DWORD dst_unused:UNUSED_PAD src0_sel:WORD_1 src1_sel:DWORD
	s_mov_b32 s12, 0xffff
	v_or_b32_sdwa v2, v4, v2 dst_sel:WORD_1 dst_unused:UNUSED_PAD src0_sel:DWORD src1_sel:DWORD
	v_and_or_b32 v2, v3, s12, v2
	;;#ASMSTART
	v_pk_mul_f32 v[4:5], v[6:7], v[10:11]
	;;#ASMEND
	v_mov_b32_e32 v3, v5
	s_add_i32 s1, s23, 3
	;;#ASMSTART
	v_med3_f32 v4, v4, v12, v13
v_med3_f32 v3, v3, v12, v13
v_cvt_pk_fp8_f32 v6, v4, v3
	;;#ASMEND
	s_ashr_i32 s7, s1, 31
	;;#ASMSTART
	v_pk_mul_f32 v[4:5], v[8:9], v[10:11]
	;;#ASMEND
	v_mov_b32_e32 v3, v5
	s_lshr_b32 s7, s7, 30
	;;#ASMSTART
	v_med3_f32 v4, v4, v12, v13
v_med3_f32 v3, v3, v12, v13
v_cvt_pk_fp8_f32 v5, v4, v3
	;;#ASMEND
	s_add_i32 s1, s1, s7
	v_lshlrev_b32_e32 v3, 16, v5
	s_and_b32 s10, s1, -4
	s_mov_b32 s11, 0x20000
	v_and_or_b32 v3, v6, s12, v3
	buffer_store_dwordx2 v[2:3], v1, s[8:11], 0 offen
	;;#ASMSTART
	s_nop 0
	;;#ASMEND
.LBB570_30:
	s_or_b64 exec, exec, s[14:15]
	s_cmp_lt_i32 s24, 1
	s_cbranch_scc1 .LBB570_17
.LBB570_31:
	s_load_dword s0, s[4:5], 0x94
	s_waitcnt lgkmcnt(0)
	s_cmp_lg_u32 s0, 1
	s_cbranch_scc1 .LBB570_17
; %bb.32:
	s_lshl_b32 s0, s24, 1
	s_add_i32 s0, s0, 2
	v_cmp_gt_u32_e32 vcc, s24, v1
	s_and_b32 s30, s0, -4
	v_mov_b32_e32 v6, 0
	v_lshlrev_b32_e32 v1, 4, v0
	v_mov_b32_e32 v7, 0
	v_mov_b32_e32 v8, 0
	;; [unrolled: 1-line block ×7, first 2 shown]
	s_barrier
	s_and_saveexec_b64 s[0:1], vcc
	s_cbranch_execz .LBB570_34
; %bb.33:
	s_mul_hi_i32 s5, s26, s6
	s_mul_i32 s4, s26, s6
	s_and_b32 s29, s29, 0xffff
	s_lshl_b64 s[4:5], s[4:5], 1
	s_add_u32 s8, s34, s4
	s_mov_b32 s31, 0x20000
	s_addc_u32 s4, s35, s5
	s_and_b32 s9, s4, 0xffff
	s_mov_b32 s10, s30
	s_mov_b32 s11, s31
	buffer_load_dwordx4 v[6:9], v1, s[8:11], 0 offen glc slc
	buffer_load_dwordx4 v[2:5], v1, s[28:31], 0 offen
.LBB570_34:
	s_or_b64 exec, exec, s[0:1]
	s_waitcnt vmcnt(0)
	v_cvt_f32_u32_sdwa v13, v6 dst_sel:DWORD dst_unused:UNUSED_PAD src0_sel:WORD_1
	v_cvt_f32_u32_sdwa v12, v6 dst_sel:DWORD dst_unused:UNUSED_PAD src0_sel:WORD_0
	v_cvt_f32_u32_sdwa v6, v9 dst_sel:DWORD dst_unused:UNUSED_PAD src0_sel:WORD_1
	v_cvt_f32_u32_sdwa v9, v9 dst_sel:DWORD dst_unused:UNUSED_PAD src0_sel:WORD_0
	;; [unrolled: 2-line block ×4, first 2 shown]
	v_cndmask_b32_e32 v13, 0, v13, vcc
	v_cndmask_b32_e32 v7, 0, v6, vcc
	;; [unrolled: 1-line block ×5, first 2 shown]
	v_mul_f32_e32 v15, v13, v13
	v_cndmask_b32_e32 v10, 0, v10, vcc
	v_fmac_f32_e32 v15, v12, v12
	v_cndmask_b32_e32 v11, 0, v11, vcc
	v_fmac_f32_e32 v15, v10, v10
	;; [unrolled: 2-line block ×3, first 2 shown]
	v_fmac_f32_e32 v15, v8, v8
	v_fmac_f32_e32 v15, v9, v9
	;; [unrolled: 1-line block ×4, first 2 shown]
	s_nop 1
	v_mov_b32_dpp v16, v15 quad_perm:[1,0,3,2] row_mask:0xf bank_mask:0xf
	v_add_f32_e32 v15, v15, v16
	s_nop 1
	v_mov_b32_dpp v16, v15 quad_perm:[2,3,0,1] row_mask:0xf bank_mask:0xf
	v_add_f32_e32 v15, v15, v16
	s_nop 1
	v_mov_b32_dpp v16, v15 row_half_mirror row_mask:0xf bank_mask:0xf
	v_add_f32_e32 v15, v15, v16
	s_nop 1
	v_mov_b32_dpp v16, v15 row_mirror row_mask:0xf bank_mask:0xf
	v_add_f32_e32 v15, v15, v16
	s_nop 1
	v_mov_b32_dpp v16, v15 row_bcast:15 row_mask:0xf bank_mask:0xf
	v_add_f32_e32 v15, v15, v16
	s_nop 1
	v_mov_b32_dpp v16, v15 row_bcast:31 row_mask:0xf bank_mask:0xf
	s_and_saveexec_b64 s[0:1], s[2:3]
	s_cbranch_execz .LBB570_36
; %bb.35:
	v_lshrrev_b32_e32 v0, 4, v0
	v_add_f32_e32 v15, v15, v16
	v_and_b32_e32 v0, 60, v0
	ds_write_b32 v0, v15
.LBB570_36:
	s_or_b64 exec, exec, s[0:1]
	s_waitcnt lgkmcnt(0)
	s_barrier
	ds_read_b32 v0, v14
	s_waitcnt lgkmcnt(0)
	s_nop 0
	v_mov_b32_dpp v14, v0 quad_perm:[1,0,3,2] row_mask:0xf bank_mask:0xf
	v_add_f32_e32 v0, v0, v14
	s_nop 1
	v_mov_b32_dpp v14, v0 quad_perm:[2,3,0,1] row_mask:0xf bank_mask:0xf
	s_and_saveexec_b64 s[0:1], vcc
	s_cbranch_execz .LBB570_17
; %bb.37:
	v_cvt_f32_u32_e32 v15, s24
	v_add_f32_e32 v0, v0, v14
	s_mov_b32 s31, 0x20000
	v_div_scale_f32 v14, s[0:1], v15, v15, v0
	v_rcp_f32_e32 v16, v14
	v_div_scale_f32 v17, vcc, v0, v15, v0
	s_mov_b32 s0, 0x800000
	v_fma_f32 v18, -v14, v16, 1.0
	v_fmac_f32_e32 v16, v18, v16
	v_mul_f32_e32 v18, v17, v16
	v_fma_f32 v19, -v14, v18, v17
	v_fmac_f32_e32 v18, v19, v16
	v_fma_f32 v14, -v14, v18, v17
	v_div_fmas_f32 v14, v14, v16, v18
	v_div_fixup_f32 v0, v14, v15, v0
	v_add_f32_e32 v0, s21, v0
	v_mul_f32_e32 v14, 0x4b800000, v0
	v_cmp_gt_f32_e32 vcc, s0, v0
	v_cndmask_b32_e32 v0, v0, v14, vcc
	v_rsq_f32_e32 v0, v0
	v_cvt_f32_u32_sdwa v17, v2 dst_sel:DWORD dst_unused:UNUSED_PAD src0_sel:WORD_1
	v_cvt_f32_u32_sdwa v16, v2 dst_sel:DWORD dst_unused:UNUSED_PAD src0_sel:WORD_0
	v_cvt_f32_u32_sdwa v19, v3 dst_sel:DWORD dst_unused:UNUSED_PAD src0_sel:WORD_1
	v_mul_f32_e32 v14, 0x45800000, v0
	v_cndmask_b32_e32 v14, v0, v14, vcc
	v_mov_b32_e32 v15, v14
	;;#ASMSTART
	v_pk_mul_f32 v[12:13], v[12:13], v[14:15]
	;;#ASMEND
	;;#ASMSTART
	v_pk_mul_f32 v[10:11], v[10:11], v[14:15]
	;;#ASMEND
	;; [unrolled: 3-line block ×3, first 2 shown]
	v_cvt_f32_u32_sdwa v18, v3 dst_sel:DWORD dst_unused:UNUSED_PAD src0_sel:WORD_0
	;;#ASMSTART
	v_pk_mul_f32 v[2:3], v[6:7], v[14:15]
	;;#ASMEND
	v_cvt_f32_u32_sdwa v15, v4 dst_sel:DWORD dst_unused:UNUSED_PAD src0_sel:WORD_1
	v_cvt_f32_u32_sdwa v14, v4 dst_sel:DWORD dst_unused:UNUSED_PAD src0_sel:WORD_0
	v_pk_add_f32 v[6:7], v[16:17], 1.0 op_sel_hi:[1,0]
	v_cvt_f32_u32_sdwa v17, v5 dst_sel:DWORD dst_unused:UNUSED_PAD src0_sel:WORD_1
	v_cvt_f32_u32_sdwa v16, v5 dst_sel:DWORD dst_unused:UNUSED_PAD src0_sel:WORD_0
	s_mul_hi_i32 s1, s16, s6
	s_mul_i32 s0, s16, s6
	s_lshl_b64 s[0:1], s[0:1], 1
	s_add_u32 s28, s18, s0
	;;#ASMSTART
	v_pk_mul_f32 v[6:7], v[12:13], v[6:7]
	;;#ASMEND
	v_pk_add_f32 v[12:13], v[18:19], 1.0 op_sel_hi:[1,0]
	;;#ASMSTART
	v_pk_mul_f32 v[4:5], v[10:11], v[12:13]
	;;#ASMEND
	v_pk_add_f32 v[10:11], v[14:15], 1.0 op_sel_hi:[1,0]
	s_addc_u32 s0, s19, s1
	;;#ASMSTART
	v_pk_mul_f32 v[8:9], v[8:9], v[10:11]
	;;#ASMEND
	v_pk_add_f32 v[10:11], v[16:17], 1.0 op_sel_hi:[1,0]
	s_and_b32 s29, s0, 0xffff
	s_mov_b32 s0, 0x7060302
	;;#ASMSTART
	v_pk_mul_f32 v[10:11], v[2:3], v[10:11]
	;;#ASMEND
	v_perm_b32 v2, v7, v6, s0
	v_perm_b32 v3, v5, v4, s0
	;; [unrolled: 1-line block ×4, first 2 shown]
	buffer_store_dwordx4 v[2:5], v1, s[28:31], 0 offen
	;;#ASMSTART
	s_nop 0
	;;#ASMEND
	s_endpgm
	.section	.rodata,"a",@progbits
	.p2align	6, 0x0
	.amdhsa_kernel _ZN5aiter35fused_qk_rmsnorm_group_quant_kernelItDB8_Li256ELi8ELi4ELb1ELb1ELb1ELb0ELb0ELb0EEEvPT0_PvPT_S6_S6_PKS5_S8_S8_S8_S8_ffiiiiiiiiiiiii
		.amdhsa_group_segment_fixed_size 32
		.amdhsa_private_segment_fixed_size 0
		.amdhsa_kernarg_size 400
		.amdhsa_user_sgpr_count 6
		.amdhsa_user_sgpr_private_segment_buffer 1
		.amdhsa_user_sgpr_dispatch_ptr 0
		.amdhsa_user_sgpr_queue_ptr 0
		.amdhsa_user_sgpr_kernarg_segment_ptr 1
		.amdhsa_user_sgpr_dispatch_id 0
		.amdhsa_user_sgpr_flat_scratch_init 0
		.amdhsa_user_sgpr_kernarg_preload_length 0
		.amdhsa_user_sgpr_kernarg_preload_offset 0
		.amdhsa_user_sgpr_private_segment_size 0
		.amdhsa_uses_dynamic_stack 0
		.amdhsa_system_sgpr_private_segment_wavefront_offset 0
		.amdhsa_system_sgpr_workgroup_id_x 1
		.amdhsa_system_sgpr_workgroup_id_y 1
		.amdhsa_system_sgpr_workgroup_id_z 0
		.amdhsa_system_sgpr_workgroup_info 0
		.amdhsa_system_vgpr_workitem_id 0
		.amdhsa_next_free_vgpr 27
		.amdhsa_next_free_sgpr 48
		.amdhsa_accum_offset 28
		.amdhsa_reserve_vcc 1
		.amdhsa_reserve_flat_scratch 0
		.amdhsa_float_round_mode_32 0
		.amdhsa_float_round_mode_16_64 0
		.amdhsa_float_denorm_mode_32 3
		.amdhsa_float_denorm_mode_16_64 3
		.amdhsa_dx10_clamp 1
		.amdhsa_ieee_mode 1
		.amdhsa_fp16_overflow 0
		.amdhsa_tg_split 0
		.amdhsa_exception_fp_ieee_invalid_op 0
		.amdhsa_exception_fp_denorm_src 0
		.amdhsa_exception_fp_ieee_div_zero 0
		.amdhsa_exception_fp_ieee_overflow 0
		.amdhsa_exception_fp_ieee_underflow 0
		.amdhsa_exception_fp_ieee_inexact 0
		.amdhsa_exception_int_div_zero 0
	.end_amdhsa_kernel
	.section	.text._ZN5aiter35fused_qk_rmsnorm_group_quant_kernelItDB8_Li256ELi8ELi4ELb1ELb1ELb1ELb0ELb0ELb0EEEvPT0_PvPT_S6_S6_PKS5_S8_S8_S8_S8_ffiiiiiiiiiiiii,"axG",@progbits,_ZN5aiter35fused_qk_rmsnorm_group_quant_kernelItDB8_Li256ELi8ELi4ELb1ELb1ELb1ELb0ELb0ELb0EEEvPT0_PvPT_S6_S6_PKS5_S8_S8_S8_S8_ffiiiiiiiiiiiii,comdat
.Lfunc_end570:
	.size	_ZN5aiter35fused_qk_rmsnorm_group_quant_kernelItDB8_Li256ELi8ELi4ELb1ELb1ELb1ELb0ELb0ELb0EEEvPT0_PvPT_S6_S6_PKS5_S8_S8_S8_S8_ffiiiiiiiiiiiii, .Lfunc_end570-_ZN5aiter35fused_qk_rmsnorm_group_quant_kernelItDB8_Li256ELi8ELi4ELb1ELb1ELb1ELb0ELb0ELb0EEEvPT0_PvPT_S6_S6_PKS5_S8_S8_S8_S8_ffiiiiiiiiiiiii
                                        ; -- End function
	.section	.AMDGPU.csdata,"",@progbits
; Kernel info:
; codeLenInByte = 3108
; NumSgprs: 52
; NumVgprs: 27
; NumAgprs: 0
; TotalNumVgprs: 27
; ScratchSize: 0
; MemoryBound: 0
; FloatMode: 240
; IeeeMode: 1
; LDSByteSize: 32 bytes/workgroup (compile time only)
; SGPRBlocks: 6
; VGPRBlocks: 3
; NumSGPRsForWavesPerEU: 52
; NumVGPRsForWavesPerEU: 27
; AccumOffset: 28
; Occupancy: 8
; WaveLimiterHint : 0
; COMPUTE_PGM_RSRC2:SCRATCH_EN: 0
; COMPUTE_PGM_RSRC2:USER_SGPR: 6
; COMPUTE_PGM_RSRC2:TRAP_HANDLER: 0
; COMPUTE_PGM_RSRC2:TGID_X_EN: 1
; COMPUTE_PGM_RSRC2:TGID_Y_EN: 1
; COMPUTE_PGM_RSRC2:TGID_Z_EN: 0
; COMPUTE_PGM_RSRC2:TIDIG_COMP_CNT: 0
; COMPUTE_PGM_RSRC3_GFX90A:ACCUM_OFFSET: 6
; COMPUTE_PGM_RSRC3_GFX90A:TG_SPLIT: 0
	.section	.text._ZN5aiter35fused_qk_rmsnorm_group_quant_kernelIDF16_N4opus5fp4_tELi256ELi8ELi4ELb1ELb1ELb1ELb0ELb0ELb0EEEvPT0_PvPT_S7_S7_PKS6_S9_S9_S9_S9_ffiiiiiiiiiiiii,"axG",@progbits,_ZN5aiter35fused_qk_rmsnorm_group_quant_kernelIDF16_N4opus5fp4_tELi256ELi8ELi4ELb1ELb1ELb1ELb0ELb0ELb0EEEvPT0_PvPT_S7_S7_PKS6_S9_S9_S9_S9_ffiiiiiiiiiiiii,comdat
	.protected	_ZN5aiter35fused_qk_rmsnorm_group_quant_kernelIDF16_N4opus5fp4_tELi256ELi8ELi4ELb1ELb1ELb1ELb0ELb0ELb0EEEvPT0_PvPT_S7_S7_PKS6_S9_S9_S9_S9_ffiiiiiiiiiiiii ; -- Begin function _ZN5aiter35fused_qk_rmsnorm_group_quant_kernelIDF16_N4opus5fp4_tELi256ELi8ELi4ELb1ELb1ELb1ELb0ELb0ELb0EEEvPT0_PvPT_S7_S7_PKS6_S9_S9_S9_S9_ffiiiiiiiiiiiii
	.globl	_ZN5aiter35fused_qk_rmsnorm_group_quant_kernelIDF16_N4opus5fp4_tELi256ELi8ELi4ELb1ELb1ELb1ELb0ELb0ELb0EEEvPT0_PvPT_S7_S7_PKS6_S9_S9_S9_S9_ffiiiiiiiiiiiii
	.p2align	8
	.type	_ZN5aiter35fused_qk_rmsnorm_group_quant_kernelIDF16_N4opus5fp4_tELi256ELi8ELi4ELb1ELb1ELb1ELb0ELb0ELb0EEEvPT0_PvPT_S7_S7_PKS6_S9_S9_S9_S9_ffiiiiiiiiiiiii,@function
_ZN5aiter35fused_qk_rmsnorm_group_quant_kernelIDF16_N4opus5fp4_tELi256ELi8ELi4ELb1ELb1ELb1ELb0ELb0ELb0EEEvPT0_PvPT_S7_S7_PKS6_S9_S9_S9_S9_ffiiiiiiiiiiiii: ; @_ZN5aiter35fused_qk_rmsnorm_group_quant_kernelIDF16_N4opus5fp4_tELi256ELi8ELi4ELb1ELb1ELb1ELb0ELb0ELb0EEEvPT0_PvPT_S7_S7_PKS6_S9_S9_S9_S9_ffiiiiiiiiiiiii
; %bb.0:
	s_load_dwordx8 s[20:27], s[4:5], 0x50
	s_waitcnt lgkmcnt(0)
	s_cmp_ge_i32 s6, s22
	s_cbranch_scc1 .LBB571_17
; %bb.1:
	s_cmp_lg_u32 s7, 0
	s_cselect_b64 s[30:31], -1, 0
	s_cmp_eq_u32 s7, 0
	s_cselect_b64 s[8:9], -1, 0
	s_and_b64 s[0:1], s[8:9], exec
	s_load_dwordx2 s[28:29], s[4:5], 0x48
	s_load_dwordx2 s[10:11], s[4:5], 0x30
	s_load_dwordx8 s[12:19], s[4:5], 0x70
	s_cselect_b32 s7, s23, s24
	s_add_i32 s0, s7, 1
	s_lshr_b32 s1, s0, 31
	s_add_i32 s0, s0, s1
	s_lshl_b32 s0, s0, 1
	v_lshlrev_b32_e32 v1, 3, v0
	s_and_b32 s38, s0, -4
	v_cmp_gt_i32_e64 s[0:1], s7, v1
	v_mov_b32_e32 v2, 0
	v_mov_b32_e32 v3, 0
	;; [unrolled: 1-line block ×8, first 2 shown]
	s_and_saveexec_b64 s[2:3], s[0:1]
	s_cbranch_execz .LBB571_3
; %bb.2:
	s_waitcnt lgkmcnt(0)
	s_load_dwordx2 s[18:19], s[4:5], 0x28
	s_load_dwordx2 s[34:35], s[4:5], 0x40
	s_and_b64 s[36:37], s[8:9], exec
	s_cselect_b32 s22, s25, s26
	s_mov_b32 s39, 0x20000
	s_waitcnt lgkmcnt(0)
	s_cselect_b32 s25, s19, s11
	s_cselect_b32 s33, s18, s10
	s_mul_hi_i32 s19, s22, s6
	s_mul_i32 s18, s22, s6
	s_lshl_b64 s[18:19], s[18:19], 1
	s_add_u32 s40, s33, s18
	s_addc_u32 s22, s25, s19
	s_and_b64 s[18:19], s[8:9], exec
	s_cselect_b32 s36, s34, s28
	s_cselect_b32 s18, s35, s29
	v_lshlrev_b32_e32 v10, 4, v0
	s_and_b32 s41, s22, 0xffff
	s_mov_b32 s42, s38
	s_mov_b32 s43, s39
	s_and_b32 s37, s18, 0xffff
	buffer_load_dwordx4 v[6:9], v10, s[40:43], 0 offen glc slc
	buffer_load_dwordx4 v[2:5], v10, s[36:39], 0 offen
.LBB571_3:
	s_or_b64 exec, exec, s[2:3]
	s_and_b64 vcc, exec, s[30:31]
	s_cbranch_vccz .LBB571_7
; %bb.4:
	v_mov_b32_e32 v11, 0
	v_mov_b32_e32 v10, 0
	v_mov_b32_e32 v13, 0
	v_mov_b32_e32 v12, 0
	v_mov_b32_e32 v17, 0
	v_mov_b32_e32 v16, 0
	v_mov_b32_e32 v15, 0
	v_mov_b32_e32 v14, 0
	s_and_saveexec_b64 s[2:3], s[0:1]
	s_cbranch_execz .LBB571_6
; %bb.5:
	s_waitcnt vmcnt(1)
	v_cvt_f32_f16_sdwa v15, v6 dst_sel:DWORD dst_unused:UNUSED_PAD src0_sel:WORD_1
	v_cvt_f32_f16_e32 v14, v6
	v_cvt_f32_f16_sdwa v17, v7 dst_sel:DWORD dst_unused:UNUSED_PAD src0_sel:WORD_1
	v_cvt_f32_f16_e32 v16, v7
	;; [unrolled: 2-line block ×4, first 2 shown]
.LBB571_6:
	s_or_b64 exec, exec, s[2:3]
	s_cbranch_execz .LBB571_8
	s_branch .LBB571_11
.LBB571_7:
                                        ; implicit-def: $vgpr11
                                        ; implicit-def: $vgpr13
                                        ; implicit-def: $vgpr17
                                        ; implicit-def: $vgpr15
.LBB571_8:
	v_mov_b32_e32 v11, 0
	v_mov_b32_e32 v10, 0
	;; [unrolled: 1-line block ×8, first 2 shown]
	s_and_saveexec_b64 s[2:3], s[0:1]
	s_cbranch_execz .LBB571_10
; %bb.9:
	s_waitcnt lgkmcnt(0)
	s_load_dwordx2 s[18:19], s[4:5], 0x38
	s_mul_hi_i32 s35, s27, s6
	s_mul_i32 s34, s27, s6
	s_lshl_b64 s[34:35], s[34:35], 1
	s_mov_b32 s39, 0x20000
	s_waitcnt lgkmcnt(0)
	s_add_u32 s36, s18, s34
	s_addc_u32 s18, s19, s35
	s_and_b32 s37, s18, 0xffff
	v_lshlrev_b32_e32 v24, 4, v0
	buffer_load_dwordx4 v[10:13], v24, s[36:39], 0 offen glc slc
	s_waitcnt vmcnt(2)
	v_cvt_f32_f16_sdwa v15, v6 dst_sel:DWORD dst_unused:UNUSED_PAD src0_sel:WORD_1
	v_cvt_f32_f16_e32 v14, v6
	v_cvt_f32_f16_sdwa v17, v7 dst_sel:DWORD dst_unused:UNUSED_PAD src0_sel:WORD_1
	v_cvt_f32_f16_e32 v16, v7
	;; [unrolled: 2-line block ×4, first 2 shown]
	s_load_dwordx2 s[18:19], s[4:5], 0x20
	s_mul_hi_i32 s35, s17, s6
	s_mul_i32 s34, s17, s6
	s_lshl_b64 s[34:35], s[34:35], 1
	s_waitcnt lgkmcnt(0)
	s_add_u32 s36, s18, s34
	s_addc_u32 s17, s19, s35
	s_and_b32 s37, s17, 0xffff
	s_waitcnt vmcnt(0)
	v_cvt_f32_f16_e32 v8, v10
	v_cvt_f32_f16_sdwa v9, v10 dst_sel:DWORD dst_unused:UNUSED_PAD src0_sel:WORD_1
	v_cvt_f32_f16_e32 v10, v11
	v_cvt_f32_f16_sdwa v11, v11 dst_sel:DWORD dst_unused:UNUSED_PAD src0_sel:WORD_1
	;; [unrolled: 2-line block ×4, first 2 shown]
	v_pk_add_f32 v[14:15], v[14:15], v[8:9]
	v_pk_add_f32 v[16:17], v[16:17], v[10:11]
	;; [unrolled: 1-line block ×4, first 2 shown]
	v_cvt_f16_f32_e32 v6, v15
	v_cvt_f16_f32_e32 v7, v17
	;; [unrolled: 1-line block ×8, first 2 shown]
	v_pack_b32_f16 v9, v18, v9
	v_pack_b32_f16 v8, v19, v8
	;; [unrolled: 1-line block ×4, first 2 shown]
	buffer_store_dwordx4 v[6:9], v24, s[36:39], 0 offen glc slc
	;;#ASMSTART
	s_nop 0
	;;#ASMEND
.LBB571_10:
	s_or_b64 exec, exec, s[2:3]
.LBB571_11:
	s_waitcnt vmcnt(1)
	v_mul_f32_e32 v6, v15, v15
	v_fmac_f32_e32 v6, v14, v14
	v_fmac_f32_e32 v6, v16, v16
	;; [unrolled: 1-line block ×7, first 2 shown]
	v_and_b32_e32 v8, 63, v0
	v_cmp_eq_u32_e64 s[2:3], 63, v8
	v_mov_b32_dpp v7, v6 quad_perm:[1,0,3,2] row_mask:0xf bank_mask:0xf
	v_add_f32_e32 v6, v6, v7
	s_nop 1
	v_mov_b32_dpp v7, v6 quad_perm:[2,3,0,1] row_mask:0xf bank_mask:0xf
	v_add_f32_e32 v6, v6, v7
	s_nop 1
	v_mov_b32_dpp v7, v6 row_half_mirror row_mask:0xf bank_mask:0xf
	v_add_f32_e32 v6, v6, v7
	s_nop 1
	v_mov_b32_dpp v7, v6 row_mirror row_mask:0xf bank_mask:0xf
	v_add_f32_e32 v6, v6, v7
	s_nop 1
	v_mov_b32_dpp v7, v6 row_bcast:15 row_mask:0xf bank_mask:0xf
	v_add_f32_e32 v6, v6, v7
	s_nop 1
	v_mov_b32_dpp v7, v6 row_bcast:31 row_mask:0xf bank_mask:0xf
	s_waitcnt lgkmcnt(0)
	s_and_saveexec_b64 s[18:19], s[2:3]
	s_cbranch_execz .LBB571_13
; %bb.12:
	v_add_f32_e32 v6, v6, v7
	v_lshrrev_b32_e32 v7, 4, v0
	v_and_b32_e32 v7, 60, v7
	ds_write_b32 v7, v6 offset:16
.LBB571_13:
	s_or_b64 exec, exec, s[18:19]
	v_and_b32_e32 v6, 3, v0
	v_lshlrev_b32_e32 v18, 2, v6
	s_waitcnt lgkmcnt(0)
	s_barrier
	ds_read_b32 v7, v18 offset:16
	s_load_dwordx2 s[18:19], s[4:5], 0x18
	s_waitcnt lgkmcnt(0)
	v_mov_b32_dpp v8, v7 quad_perm:[1,0,3,2] row_mask:0xf bank_mask:0xf
	v_add_f32_e32 v7, v7, v8
	s_nop 1
	v_mov_b32_dpp v8, v7 quad_perm:[2,3,0,1] row_mask:0xf bank_mask:0xf
	s_and_saveexec_b64 s[34:35], s[0:1]
	s_cbranch_execnz .LBB571_18
; %bb.14:
	s_or_b64 exec, exec, s[34:35]
	s_mov_b64 s[8:9], -1
	s_and_b64 vcc, exec, s[30:31]
	s_cbranch_vccnz .LBB571_19
.LBB571_15:
	s_andn2_b64 vcc, exec, s[8:9]
	s_cbranch_vccz .LBB571_22
.LBB571_16:
	s_cmp_lt_i32 s24, 1
	s_cbranch_scc0 .LBB571_31
.LBB571_17:
	s_endpgm
.LBB571_18:
	v_cvt_f32_u32_e32 v9, s7
	v_add_f32_e32 v7, v7, v8
	v_mov_b32_e32 v20, s21
	v_mov_b32_e32 v21, s20
	v_div_scale_f32 v8, s[36:37], v9, v9, v7
	v_rcp_f32_e32 v19, v8
	v_cndmask_b32_e64 v20, v20, v21, s[8:9]
	s_mov_b32 s7, 0x800000
	v_fma_f32 v21, -v8, v19, 1.0
	v_fmac_f32_e32 v19, v21, v19
	v_div_scale_f32 v21, vcc, v7, v9, v7
	v_mul_f32_e32 v22, v21, v19
	v_fma_f32 v23, -v8, v22, v21
	v_fmac_f32_e32 v22, v23, v19
	v_fma_f32 v8, -v8, v22, v21
	v_div_fmas_f32 v8, v8, v19, v22
	v_div_fixup_f32 v7, v8, v9, v7
	v_add_f32_e32 v7, v20, v7
	v_mul_f32_e32 v8, 0x4b800000, v7
	v_cmp_gt_f32_e32 vcc, s7, v7
	v_cndmask_b32_e32 v7, v7, v8, vcc
	v_rsq_f32_e32 v7, v7
	s_waitcnt vmcnt(0)
	v_cvt_f32_f16_sdwa v21, v2 dst_sel:DWORD dst_unused:UNUSED_PAD src0_sel:WORD_1
	v_cvt_f32_f16_e32 v20, v2
	v_cvt_f32_f16_sdwa v23, v3 dst_sel:DWORD dst_unused:UNUSED_PAD src0_sel:WORD_1
	v_mul_f32_e32 v8, 0x45800000, v7
	v_cndmask_b32_e32 v8, v7, v8, vcc
	v_mov_b32_e32 v9, v8
	;;#ASMSTART
	v_pk_mul_f32 v[14:15], v[14:15], v[8:9]
	;;#ASMEND
	;;#ASMSTART
	v_pk_mul_f32 v[16:17], v[16:17], v[8:9]
	;;#ASMEND
	;; [unrolled: 3-line block ×3, first 2 shown]
	v_cvt_f32_f16_e32 v22, v3
	;;#ASMSTART
	v_pk_mul_f32 v[2:3], v[10:11], v[8:9]
	;;#ASMEND
	v_cvt_f32_f16_sdwa v11, v4 dst_sel:DWORD dst_unused:UNUSED_PAD src0_sel:WORD_1
	v_cvt_f32_f16_e32 v10, v4
	v_pk_add_f32 v[8:9], v[20:21], 1.0 op_sel_hi:[1,0]
	v_cvt_f32_f16_sdwa v21, v5 dst_sel:DWORD dst_unused:UNUSED_PAD src0_sel:WORD_1
	v_cvt_f32_f16_e32 v20, v5
	v_pk_add_f32 v[4:5], v[10:11], 1.0 op_sel_hi:[1,0]
	;;#ASMSTART
	v_pk_mul_f32 v[14:15], v[14:15], v[8:9]
	;;#ASMEND
	v_pk_add_f32 v[8:9], v[22:23], 1.0 op_sel_hi:[1,0]
	;;#ASMSTART
	v_pk_mul_f32 v[16:17], v[16:17], v[8:9]
	;;#ASMEND
	;;#ASMSTART
	v_pk_mul_f32 v[12:13], v[12:13], v[4:5]
	;;#ASMEND
	v_pk_add_f32 v[4:5], v[20:21], 1.0 op_sel_hi:[1,0]
	;;#ASMSTART
	v_pk_mul_f32 v[10:11], v[2:3], v[4:5]
	;;#ASMEND
	s_or_b64 exec, exec, s[34:35]
	s_mov_b64 s[8:9], -1
	s_and_b64 vcc, exec, s[30:31]
	s_cbranch_vccz .LBB571_15
.LBB571_19:
	s_and_saveexec_b64 s[8:9], s[0:1]
	s_cbranch_execz .LBB571_21
; %bb.20:
	s_mul_hi_i32 s31, s16, s6
	s_mul_i32 s30, s16, s6
	s_waitcnt vmcnt(0)
	v_cvt_f16_f32_e32 v2, v14
	v_cvt_f16_f32_e32 v3, v16
	;; [unrolled: 1-line block ×8, first 2 shown]
	s_lshl_b64 s[30:31], s[30:31], 1
	s_add_u32 s36, s18, s30
	s_addc_u32 s7, s19, s31
	s_and_b32 s37, s7, 0xffff
	s_mov_b32 s39, 0x20000
	v_pack_b32_f16 v5, v5, v7
	v_pack_b32_f16 v4, v4, v8
	;; [unrolled: 1-line block ×4, first 2 shown]
	v_lshlrev_b32_e32 v7, 4, v0
	buffer_store_dwordx4 v[2:5], v7, s[36:39], 0 offen
	;;#ASMSTART
	s_nop 0
	;;#ASMEND
.LBB571_21:
	s_or_b64 exec, exec, s[8:9]
	s_cbranch_execnz .LBB571_16
.LBB571_22:
	s_waitcnt vmcnt(0)
	v_mov_b32_e32 v2, 0
	s_and_saveexec_b64 s[8:9], s[0:1]
	s_cbranch_execz .LBB571_24
; %bb.23:
	s_load_dwordx2 s[30:31], s[4:5], 0x10
	s_mul_hi_i32 s35, s15, s6
	s_mul_i32 s34, s15, s6
	v_cvt_f16_f32_e32 v2, v14
	v_cvt_f16_f32_e32 v3, v16
	;; [unrolled: 1-line block ×8, first 2 shown]
	s_lshl_b64 s[34:35], s[34:35], 1
	s_waitcnt lgkmcnt(0)
	s_add_u32 s36, s30, s34
	s_addc_u32 s7, s31, s35
	s_mov_b32 s39, 0x20000
	s_and_b32 s37, s7, 0xffff
	v_pack_b32_f16 v5, v5, v7
	v_pack_b32_f16 v4, v4, v8
	v_pack_b32_f16 v3, v3, v9
	v_pack_b32_f16 v2, v2, v19
	v_lshlrev_b32_e32 v7, 4, v0
	buffer_store_dwordx4 v[2:5], v7, s[36:39], 0 offen
	;;#ASMSTART
	s_nop 0
	;;#ASMEND
	s_nop 0
	v_mov_b32_e32 v2, 0x2edbe6ff
.LBB571_24:
	s_or_b64 exec, exec, s[8:9]
	s_and_saveexec_b64 s[8:9], s[0:1]
	s_cbranch_execz .LBB571_26
; %bb.25:
	v_and_b32_e32 v3, 0x7fffffff, v14
	v_and_b32_e32 v4, 0x7fffffff, v15
	;;#ASMSTART
	v_max3_f32 v2, v2, v3, v4

	;;#ASMEND
	v_and_b32_e32 v3, 0x7fffffff, v16
	v_and_b32_e32 v4, 0x7fffffff, v17
	;;#ASMSTART
	v_max3_f32 v2, v2, v3, v4

	;;#ASMEND
	;; [unrolled: 6-line block ×4, first 2 shown]
.LBB571_26:
	s_or_b64 exec, exec, s[8:9]
	v_cmp_eq_u32_e32 vcc, 0, v6
	v_cmp_gt_i32_e64 s[8:9], s23, v1
	s_and_b64 s[30:31], vcc, s[8:9]
	;;#ASMSTART
	v_max_f32 v3, v2, v2 quad_perm:[1,0,3,2] row_mask:0xf bank_mask:0xf bound_ctrl:1
	;;#ASMEND
	;;#ASMSTART
	v_max_f32 v2, v3, v3 quad_perm:[2,3,0,1] row_mask:0xf bank_mask:0xf bound_ctrl:1
	;;#ASMEND
	s_and_saveexec_b64 s[8:9], s[30:31]
	s_cbranch_execz .LBB571_28
; %bb.27:
	s_load_dwordx2 s[30:31], s[4:5], 0x8
	v_mul_f32_e32 v2, 0x3e2aaaab, v2
	v_lshrrev_b32_e32 v3, 23, v2
	v_and_b32_e32 v4, 0x7f800000, v2
	v_and_b32_e32 v2, 0x7fffff, v2
	v_cmp_ne_u32_e32 vcc, 0, v2
	s_mul_hi_i32 s15, s13, s6
	s_mul_i32 s13, s13, s6
	s_mov_b32 s7, 0x7f800000
	v_addc_co_u32_e32 v2, vcc, 0, v3, vcc
	s_waitcnt lgkmcnt(0)
	s_add_u32 s30, s30, s13
	v_cmp_ne_u32_e32 vcc, s7, v4
	s_addc_u32 s31, s31, s15
	v_lshrrev_b32_e32 v5, 2, v0
	v_cndmask_b32_e32 v4, -1, v2, vcc
	v_pk_mov_b32 v[2:3], s[30:31], s[30:31] op_sel:[0,1]
	v_mad_i64_i32 v[2:3], s[14:15], s14, v5, v[2:3]
	global_store_byte v[2:3], v4, off
.LBB571_28:
	s_or_b64 exec, exec, s[8:9]
	s_and_saveexec_b64 s[8:9], s[0:1]
	s_cbranch_execz .LBB571_30
; %bb.29:
	s_load_dwordx2 s[0:1], s[4:5], 0x0
	s_mul_hi_i32 s7, s12, s6
	s_mul_i32 s12, s12, s6
	v_lshlrev_b32_e32 v2, 2, v0
	s_mov_b32 s15, 0x20000
	s_waitcnt lgkmcnt(0)
	s_add_u32 s12, s0, s12
	s_addc_u32 s0, s1, s7
	s_lshr_b32 s1, s23, 31
	s_add_i32 s1, s23, s1
	s_ashr_i32 s1, s1, 1
	s_add_i32 s1, s1, 3
	s_ashr_i32 s7, s1, 31
	s_lshr_b32 s7, s7, 30
	s_add_i32 s1, s1, s7
	s_and_b32 s14, s1, -4
	s_and_b32 s13, s0, 0xffff
	v_mov_b32_e32 v3, 0
	buffer_store_dword v3, v2, s[12:15], 0 offen
	;;#ASMSTART
	s_nop 0
	;;#ASMEND
.LBB571_30:
	s_or_b64 exec, exec, s[8:9]
	s_cmp_lt_i32 s24, 1
	s_cbranch_scc1 .LBB571_17
.LBB571_31:
	s_load_dword s0, s[4:5], 0x94
	s_waitcnt lgkmcnt(0)
	s_cmp_lg_u32 s0, 1
	s_cbranch_scc1 .LBB571_17
; %bb.32:
	s_lshl_b32 s0, s24, 1
	s_add_i32 s0, s0, 2
	v_cmp_gt_u32_e32 vcc, s24, v1
	s_and_b32 s30, s0, -4
	v_mov_b32_e32 v10, 0
	v_lshlrev_b32_e32 v1, 4, v0
	v_mov_b32_e32 v6, 0
	v_mov_b32_e32 v7, 0
	;; [unrolled: 1-line block ×4, first 2 shown]
	s_waitcnt vmcnt(0)
	v_mov_b32_e32 v2, 0
	v_mov_b32_e32 v3, 0
	;; [unrolled: 1-line block ×4, first 2 shown]
	s_barrier
	s_and_saveexec_b64 s[0:1], vcc
	s_cbranch_execz .LBB571_34
; %bb.33:
	s_mul_hi_i32 s5, s26, s6
	s_mul_i32 s4, s26, s6
	s_and_b32 s29, s29, 0xffff
	s_lshl_b64 s[4:5], s[4:5], 1
	s_add_u32 s8, s10, s4
	s_mov_b32 s31, 0x20000
	s_addc_u32 s4, s11, s5
	s_and_b32 s9, s4, 0xffff
	s_mov_b32 s10, s30
	s_mov_b32 s11, s31
	buffer_load_dwordx4 v[6:9], v1, s[8:11], 0 offen glc slc
	buffer_load_dwordx4 v[2:5], v1, s[28:31], 0 offen
.LBB571_34:
	s_or_b64 exec, exec, s[0:1]
	v_mov_b32_e32 v11, 0
	v_mov_b32_e32 v16, 0
	v_mov_b32_e32 v17, 0
	v_mov_b32_e32 v14, 0
	v_mov_b32_e32 v15, 0
	v_mov_b32_e32 v12, 0
	v_mov_b32_e32 v13, 0
	s_and_saveexec_b64 s[0:1], vcc
	s_cbranch_execz .LBB571_36
; %bb.35:
	s_waitcnt vmcnt(1)
	v_cvt_f32_f16_sdwa v11, v6 dst_sel:DWORD dst_unused:UNUSED_PAD src0_sel:WORD_1
	v_cvt_f32_f16_e32 v10, v6
	v_cvt_f32_f16_sdwa v17, v7 dst_sel:DWORD dst_unused:UNUSED_PAD src0_sel:WORD_1
	v_cvt_f32_f16_e32 v16, v7
	v_cvt_f32_f16_sdwa v15, v8 dst_sel:DWORD dst_unused:UNUSED_PAD src0_sel:WORD_1
	v_cvt_f32_f16_e32 v14, v8
	v_cvt_f32_f16_sdwa v13, v9 dst_sel:DWORD dst_unused:UNUSED_PAD src0_sel:WORD_1
	v_cvt_f32_f16_e32 v12, v9
.LBB571_36:
	s_or_b64 exec, exec, s[0:1]
	s_waitcnt vmcnt(1)
	v_mul_f32_e32 v6, v11, v11
	v_fmac_f32_e32 v6, v10, v10
	v_fmac_f32_e32 v6, v16, v16
	;; [unrolled: 1-line block ×7, first 2 shown]
	s_nop 1
	v_mov_b32_dpp v7, v6 quad_perm:[1,0,3,2] row_mask:0xf bank_mask:0xf
	v_add_f32_e32 v6, v6, v7
	s_nop 1
	v_mov_b32_dpp v7, v6 quad_perm:[2,3,0,1] row_mask:0xf bank_mask:0xf
	v_add_f32_e32 v6, v6, v7
	s_nop 1
	v_mov_b32_dpp v7, v6 row_half_mirror row_mask:0xf bank_mask:0xf
	v_add_f32_e32 v6, v6, v7
	s_nop 1
	v_mov_b32_dpp v7, v6 row_mirror row_mask:0xf bank_mask:0xf
	v_add_f32_e32 v6, v6, v7
	s_nop 1
	v_mov_b32_dpp v7, v6 row_bcast:15 row_mask:0xf bank_mask:0xf
	v_add_f32_e32 v6, v6, v7
	s_nop 1
	v_mov_b32_dpp v7, v6 row_bcast:31 row_mask:0xf bank_mask:0xf
	s_and_saveexec_b64 s[0:1], s[2:3]
	s_cbranch_execz .LBB571_38
; %bb.37:
	v_lshrrev_b32_e32 v0, 4, v0
	v_add_f32_e32 v6, v6, v7
	v_and_b32_e32 v0, 60, v0
	ds_write_b32 v0, v6
.LBB571_38:
	s_or_b64 exec, exec, s[0:1]
	s_waitcnt lgkmcnt(0)
	s_barrier
	ds_read_b32 v0, v18
	s_waitcnt lgkmcnt(0)
	s_nop 0
	v_mov_b32_dpp v6, v0 quad_perm:[1,0,3,2] row_mask:0xf bank_mask:0xf
	v_add_f32_e32 v0, v0, v6
	s_nop 1
	v_mov_b32_dpp v6, v0 quad_perm:[2,3,0,1] row_mask:0xf bank_mask:0xf
	s_and_saveexec_b64 s[0:1], vcc
	s_cbranch_execz .LBB571_17
; %bb.39:
	v_cvt_f32_u32_e32 v7, s24
	v_add_f32_e32 v0, v0, v6
	s_mov_b32 s31, 0x20000
	v_div_scale_f32 v6, s[0:1], v7, v7, v0
	v_rcp_f32_e32 v8, v6
	v_div_scale_f32 v9, vcc, v0, v7, v0
	s_mov_b32 s0, 0x800000
	v_fma_f32 v18, -v6, v8, 1.0
	v_fmac_f32_e32 v8, v18, v8
	v_mul_f32_e32 v18, v9, v8
	v_fma_f32 v19, -v6, v18, v9
	v_fmac_f32_e32 v18, v19, v8
	v_fma_f32 v6, -v6, v18, v9
	v_div_fmas_f32 v6, v6, v8, v18
	v_div_fixup_f32 v0, v6, v7, v0
	v_add_f32_e32 v0, s21, v0
	v_mul_f32_e32 v6, 0x4b800000, v0
	v_cmp_gt_f32_e32 vcc, s0, v0
	v_cndmask_b32_e32 v0, v0, v6, vcc
	v_rsq_f32_e32 v0, v0
	s_waitcnt vmcnt(0)
	v_cvt_f32_f16_sdwa v19, v3 dst_sel:DWORD dst_unused:UNUSED_PAD src0_sel:WORD_1
	v_cvt_f32_f16_e32 v18, v3
	s_mul_hi_i32 s1, s16, s6
	v_mul_f32_e32 v6, 0x45800000, v0
	v_cndmask_b32_e32 v6, v0, v6, vcc
	v_mov_b32_e32 v7, v6
	;;#ASMSTART
	v_pk_mul_f32 v[8:9], v[10:11], v[6:7]
	;;#ASMEND
	;;#ASMSTART
	v_pk_mul_f32 v[10:11], v[16:17], v[6:7]
	;;#ASMEND
	v_cvt_f32_f16_sdwa v17, v2 dst_sel:DWORD dst_unused:UNUSED_PAD src0_sel:WORD_1
	v_cvt_f32_f16_e32 v16, v2
	;;#ASMSTART
	v_pk_mul_f32 v[14:15], v[14:15], v[6:7]
	;;#ASMEND
	;;#ASMSTART
	v_pk_mul_f32 v[2:3], v[12:13], v[6:7]
	;;#ASMEND
	v_cvt_f32_f16_sdwa v13, v4 dst_sel:DWORD dst_unused:UNUSED_PAD src0_sel:WORD_1
	v_cvt_f32_f16_e32 v12, v4
	v_pk_add_f32 v[6:7], v[16:17], 1.0 op_sel_hi:[1,0]
	v_cvt_f32_f16_sdwa v17, v5 dst_sel:DWORD dst_unused:UNUSED_PAD src0_sel:WORD_1
	v_cvt_f32_f16_e32 v16, v5
	;;#ASMSTART
	v_pk_mul_f32 v[6:7], v[8:9], v[6:7]
	;;#ASMEND
	v_pk_add_f32 v[8:9], v[18:19], 1.0 op_sel_hi:[1,0]
	;;#ASMSTART
	v_pk_mul_f32 v[4:5], v[10:11], v[8:9]
	;;#ASMEND
	v_pk_add_f32 v[8:9], v[12:13], 1.0 op_sel_hi:[1,0]
	;; [unrolled: 4-line block ×3, first 2 shown]
	;;#ASMSTART
	v_pk_mul_f32 v[2:3], v[2:3], v[10:11]
	;;#ASMEND
	s_mul_i32 s0, s16, s6
	v_cvt_f16_f32_e32 v0, v6
	v_cvt_f16_f32_e32 v6, v7
	;; [unrolled: 1-line block ×8, first 2 shown]
	s_lshl_b64 s[0:1], s[0:1], 1
	s_add_u32 s28, s18, s0
	s_addc_u32 s0, s19, s1
	s_and_b32 s29, s0, 0xffff
	v_pack_b32_f16 v2, v0, v6
	v_pack_b32_f16 v3, v4, v5
	;; [unrolled: 1-line block ×4, first 2 shown]
	buffer_store_dwordx4 v[2:5], v1, s[28:31], 0 offen
	;;#ASMSTART
	s_nop 0
	;;#ASMEND
	s_endpgm
	.section	.rodata,"a",@progbits
	.p2align	6, 0x0
	.amdhsa_kernel _ZN5aiter35fused_qk_rmsnorm_group_quant_kernelIDF16_N4opus5fp4_tELi256ELi8ELi4ELb1ELb1ELb1ELb0ELb0ELb0EEEvPT0_PvPT_S7_S7_PKS6_S9_S9_S9_S9_ffiiiiiiiiiiiii
		.amdhsa_group_segment_fixed_size 32
		.amdhsa_private_segment_fixed_size 0
		.amdhsa_kernarg_size 400
		.amdhsa_user_sgpr_count 6
		.amdhsa_user_sgpr_private_segment_buffer 1
		.amdhsa_user_sgpr_dispatch_ptr 0
		.amdhsa_user_sgpr_queue_ptr 0
		.amdhsa_user_sgpr_kernarg_segment_ptr 1
		.amdhsa_user_sgpr_dispatch_id 0
		.amdhsa_user_sgpr_flat_scratch_init 0
		.amdhsa_user_sgpr_kernarg_preload_length 0
		.amdhsa_user_sgpr_kernarg_preload_offset 0
		.amdhsa_user_sgpr_private_segment_size 0
		.amdhsa_uses_dynamic_stack 0
		.amdhsa_system_sgpr_private_segment_wavefront_offset 0
		.amdhsa_system_sgpr_workgroup_id_x 1
		.amdhsa_system_sgpr_workgroup_id_y 1
		.amdhsa_system_sgpr_workgroup_id_z 0
		.amdhsa_system_sgpr_workgroup_info 0
		.amdhsa_system_vgpr_workitem_id 0
		.amdhsa_next_free_vgpr 25
		.amdhsa_next_free_sgpr 44
		.amdhsa_accum_offset 28
		.amdhsa_reserve_vcc 1
		.amdhsa_reserve_flat_scratch 0
		.amdhsa_float_round_mode_32 0
		.amdhsa_float_round_mode_16_64 0
		.amdhsa_float_denorm_mode_32 3
		.amdhsa_float_denorm_mode_16_64 3
		.amdhsa_dx10_clamp 1
		.amdhsa_ieee_mode 1
		.amdhsa_fp16_overflow 0
		.amdhsa_tg_split 0
		.amdhsa_exception_fp_ieee_invalid_op 0
		.amdhsa_exception_fp_denorm_src 0
		.amdhsa_exception_fp_ieee_div_zero 0
		.amdhsa_exception_fp_ieee_overflow 0
		.amdhsa_exception_fp_ieee_underflow 0
		.amdhsa_exception_fp_ieee_inexact 0
		.amdhsa_exception_int_div_zero 0
	.end_amdhsa_kernel
	.section	.text._ZN5aiter35fused_qk_rmsnorm_group_quant_kernelIDF16_N4opus5fp4_tELi256ELi8ELi4ELb1ELb1ELb1ELb0ELb0ELb0EEEvPT0_PvPT_S7_S7_PKS6_S9_S9_S9_S9_ffiiiiiiiiiiiii,"axG",@progbits,_ZN5aiter35fused_qk_rmsnorm_group_quant_kernelIDF16_N4opus5fp4_tELi256ELi8ELi4ELb1ELb1ELb1ELb0ELb0ELb0EEEvPT0_PvPT_S7_S7_PKS6_S9_S9_S9_S9_ffiiiiiiiiiiiii,comdat
.Lfunc_end571:
	.size	_ZN5aiter35fused_qk_rmsnorm_group_quant_kernelIDF16_N4opus5fp4_tELi256ELi8ELi4ELb1ELb1ELb1ELb0ELb0ELb0EEEvPT0_PvPT_S7_S7_PKS6_S9_S9_S9_S9_ffiiiiiiiiiiiii, .Lfunc_end571-_ZN5aiter35fused_qk_rmsnorm_group_quant_kernelIDF16_N4opus5fp4_tELi256ELi8ELi4ELb1ELb1ELb1ELb0ELb0ELb0EEEvPT0_PvPT_S7_S7_PKS6_S9_S9_S9_S9_ffiiiiiiiiiiiii
                                        ; -- End function
	.section	.AMDGPU.csdata,"",@progbits
; Kernel info:
; codeLenInByte = 2880
; NumSgprs: 48
; NumVgprs: 25
; NumAgprs: 0
; TotalNumVgprs: 25
; ScratchSize: 0
; MemoryBound: 0
; FloatMode: 240
; IeeeMode: 1
; LDSByteSize: 32 bytes/workgroup (compile time only)
; SGPRBlocks: 5
; VGPRBlocks: 3
; NumSGPRsForWavesPerEU: 48
; NumVGPRsForWavesPerEU: 25
; AccumOffset: 28
; Occupancy: 8
; WaveLimiterHint : 0
; COMPUTE_PGM_RSRC2:SCRATCH_EN: 0
; COMPUTE_PGM_RSRC2:USER_SGPR: 6
; COMPUTE_PGM_RSRC2:TRAP_HANDLER: 0
; COMPUTE_PGM_RSRC2:TGID_X_EN: 1
; COMPUTE_PGM_RSRC2:TGID_Y_EN: 1
; COMPUTE_PGM_RSRC2:TGID_Z_EN: 0
; COMPUTE_PGM_RSRC2:TIDIG_COMP_CNT: 0
; COMPUTE_PGM_RSRC3_GFX90A:ACCUM_OFFSET: 6
; COMPUTE_PGM_RSRC3_GFX90A:TG_SPLIT: 0
	.section	.text._ZN5aiter35fused_qk_rmsnorm_group_quant_kernelItN4opus5fp4_tELi256ELi8ELi4ELb1ELb1ELb1ELb0ELb0ELb0EEEvPT0_PvPT_S7_S7_PKS6_S9_S9_S9_S9_ffiiiiiiiiiiiii,"axG",@progbits,_ZN5aiter35fused_qk_rmsnorm_group_quant_kernelItN4opus5fp4_tELi256ELi8ELi4ELb1ELb1ELb1ELb0ELb0ELb0EEEvPT0_PvPT_S7_S7_PKS6_S9_S9_S9_S9_ffiiiiiiiiiiiii,comdat
	.protected	_ZN5aiter35fused_qk_rmsnorm_group_quant_kernelItN4opus5fp4_tELi256ELi8ELi4ELb1ELb1ELb1ELb0ELb0ELb0EEEvPT0_PvPT_S7_S7_PKS6_S9_S9_S9_S9_ffiiiiiiiiiiiii ; -- Begin function _ZN5aiter35fused_qk_rmsnorm_group_quant_kernelItN4opus5fp4_tELi256ELi8ELi4ELb1ELb1ELb1ELb0ELb0ELb0EEEvPT0_PvPT_S7_S7_PKS6_S9_S9_S9_S9_ffiiiiiiiiiiiii
	.globl	_ZN5aiter35fused_qk_rmsnorm_group_quant_kernelItN4opus5fp4_tELi256ELi8ELi4ELb1ELb1ELb1ELb0ELb0ELb0EEEvPT0_PvPT_S7_S7_PKS6_S9_S9_S9_S9_ffiiiiiiiiiiiii
	.p2align	8
	.type	_ZN5aiter35fused_qk_rmsnorm_group_quant_kernelItN4opus5fp4_tELi256ELi8ELi4ELb1ELb1ELb1ELb0ELb0ELb0EEEvPT0_PvPT_S7_S7_PKS6_S9_S9_S9_S9_ffiiiiiiiiiiiii,@function
_ZN5aiter35fused_qk_rmsnorm_group_quant_kernelItN4opus5fp4_tELi256ELi8ELi4ELb1ELb1ELb1ELb0ELb0ELb0EEEvPT0_PvPT_S7_S7_PKS6_S9_S9_S9_S9_ffiiiiiiiiiiiii: ; @_ZN5aiter35fused_qk_rmsnorm_group_quant_kernelItN4opus5fp4_tELi256ELi8ELi4ELb1ELb1ELb1ELb0ELb0ELb0EEEvPT0_PvPT_S7_S7_PKS6_S9_S9_S9_S9_ffiiiiiiiiiiiii
; %bb.0:
	s_load_dwordx8 s[20:27], s[4:5], 0x50
	s_waitcnt lgkmcnt(0)
	s_cmp_ge_i32 s6, s22
	s_cbranch_scc1 .LBB572_17
; %bb.1:
	s_cmp_lg_u32 s7, 0
	s_cselect_b64 s[30:31], -1, 0
	s_cmp_eq_u32 s7, 0
	s_cselect_b64 s[8:9], -1, 0
	s_and_b64 s[0:1], s[8:9], exec
	s_load_dwordx2 s[28:29], s[4:5], 0x48
	s_load_dwordx2 s[10:11], s[4:5], 0x30
	s_load_dwordx8 s[12:19], s[4:5], 0x70
	s_cselect_b32 s7, s23, s24
	s_add_i32 s0, s7, 1
	s_lshr_b32 s1, s0, 31
	s_add_i32 s0, s0, s1
	s_lshl_b32 s0, s0, 1
	v_lshlrev_b32_e32 v1, 3, v0
	s_and_b32 s38, s0, -4
	v_cmp_gt_i32_e64 s[0:1], s7, v1
	v_mov_b32_e32 v10, 0
	v_mov_b32_e32 v11, 0
	;; [unrolled: 1-line block ×8, first 2 shown]
	s_and_saveexec_b64 s[2:3], s[0:1]
	s_cbranch_execz .LBB572_3
; %bb.2:
	s_waitcnt lgkmcnt(0)
	s_load_dwordx2 s[18:19], s[4:5], 0x28
	s_load_dwordx2 s[34:35], s[4:5], 0x40
	s_and_b64 s[36:37], s[8:9], exec
	s_cselect_b32 s22, s25, s26
	s_mov_b32 s39, 0x20000
	s_waitcnt lgkmcnt(0)
	s_cselect_b32 s25, s19, s11
	s_cselect_b32 s33, s18, s10
	s_mul_hi_i32 s19, s22, s6
	s_mul_i32 s18, s22, s6
	s_lshl_b64 s[18:19], s[18:19], 1
	s_add_u32 s40, s33, s18
	s_addc_u32 s22, s25, s19
	s_and_b64 s[18:19], s[8:9], exec
	s_cselect_b32 s36, s34, s28
	s_cselect_b32 s18, s35, s29
	v_lshlrev_b32_e32 v2, 4, v0
	s_and_b32 s41, s22, 0xffff
	s_mov_b32 s42, s38
	s_mov_b32 s43, s39
	s_and_b32 s37, s18, 0xffff
	buffer_load_dwordx4 v[14:17], v2, s[40:43], 0 offen glc slc
	buffer_load_dwordx4 v[10:13], v2, s[36:39], 0 offen
.LBB572_3:
	s_or_b64 exec, exec, s[2:3]
	s_and_b64 vcc, exec, s[30:31]
	s_cbranch_vccz .LBB572_7
; %bb.4:
	s_mov_b32 s40, 0
	s_mov_b32 s41, s40
	s_mov_b32 s42, s40
	s_mov_b32 s43, s40
	s_mov_b32 s44, s40
	s_mov_b32 s45, s40
	s_mov_b32 s46, s40
	s_mov_b32 s47, s40
	v_pk_mov_b32 v[2:3], s[40:41], s[40:41] op_sel:[0,1]
	v_pk_mov_b32 v[4:5], s[42:43], s[42:43] op_sel:[0,1]
	;; [unrolled: 1-line block ×4, first 2 shown]
	s_and_saveexec_b64 s[2:3], s[0:1]
	s_cbranch_execz .LBB572_6
; %bb.5:
	s_waitcnt vmcnt(1)
	v_cvt_f32_u32_sdwa v3, v14 dst_sel:DWORD dst_unused:UNUSED_PAD src0_sel:WORD_1
	v_cvt_f32_u32_sdwa v2, v14 dst_sel:DWORD dst_unused:UNUSED_PAD src0_sel:WORD_0
	v_cvt_f32_u32_sdwa v5, v15 dst_sel:DWORD dst_unused:UNUSED_PAD src0_sel:WORD_1
	v_cvt_f32_u32_sdwa v4, v15 dst_sel:DWORD dst_unused:UNUSED_PAD src0_sel:WORD_0
	;; [unrolled: 2-line block ×4, first 2 shown]
.LBB572_6:
	s_or_b64 exec, exec, s[2:3]
	s_cbranch_execz .LBB572_8
	s_branch .LBB572_11
.LBB572_7:
                                        ; implicit-def: $vgpr2_vgpr3_vgpr4_vgpr5_vgpr6_vgpr7_vgpr8_vgpr9
.LBB572_8:
	s_mov_b32 s40, 0
	s_mov_b32 s41, s40
	s_mov_b32 s42, s40
	s_mov_b32 s43, s40
	s_mov_b32 s44, s40
	s_mov_b32 s45, s40
	s_mov_b32 s46, s40
	s_mov_b32 s47, s40
	v_pk_mov_b32 v[2:3], s[40:41], s[40:41] op_sel:[0,1]
	v_pk_mov_b32 v[4:5], s[42:43], s[42:43] op_sel:[0,1]
	;; [unrolled: 1-line block ×4, first 2 shown]
	s_and_saveexec_b64 s[2:3], s[0:1]
	s_cbranch_execz .LBB572_10
; %bb.9:
	s_waitcnt lgkmcnt(0)
	s_load_dwordx2 s[18:19], s[4:5], 0x38
	s_mul_hi_i32 s35, s27, s6
	s_mul_i32 s34, s27, s6
	s_lshl_b64 s[34:35], s[34:35], 1
	s_mov_b32 s39, 0x20000
	s_waitcnt lgkmcnt(0)
	s_add_u32 s36, s18, s34
	s_addc_u32 s18, s19, s35
	s_and_b32 s37, s18, 0xffff
	v_lshlrev_b32_e32 v26, 4, v0
	buffer_load_dwordx4 v[2:5], v26, s[36:39], 0 offen glc slc
	s_load_dwordx2 s[18:19], s[4:5], 0x20
	s_waitcnt vmcnt(2)
	v_cvt_f32_u32_sdwa v7, v14 dst_sel:DWORD dst_unused:UNUSED_PAD src0_sel:WORD_1
	v_cvt_f32_u32_sdwa v6, v14 dst_sel:DWORD dst_unused:UNUSED_PAD src0_sel:WORD_0
	v_cvt_f32_u32_sdwa v9, v15 dst_sel:DWORD dst_unused:UNUSED_PAD src0_sel:WORD_1
	v_cvt_f32_u32_sdwa v8, v15 dst_sel:DWORD dst_unused:UNUSED_PAD src0_sel:WORD_0
	;; [unrolled: 2-line block ×4, first 2 shown]
	s_mul_hi_i32 s35, s17, s6
	s_mul_i32 s34, s17, s6
	s_lshl_b64 s[34:35], s[34:35], 1
	s_waitcnt lgkmcnt(0)
	s_add_u32 s36, s18, s34
	s_mov_b32 s17, 0x7060302
	s_addc_u32 s18, s19, s35
	s_and_b32 s37, s18, 0xffff
	s_waitcnt vmcnt(0)
	v_cvt_f32_u32_sdwa v17, v2 dst_sel:DWORD dst_unused:UNUSED_PAD src0_sel:WORD_1
	v_cvt_f32_u32_sdwa v16, v2 dst_sel:DWORD dst_unused:UNUSED_PAD src0_sel:WORD_0
	v_cvt_f32_u32_sdwa v21, v3 dst_sel:DWORD dst_unused:UNUSED_PAD src0_sel:WORD_1
	v_cvt_f32_u32_sdwa v20, v3 dst_sel:DWORD dst_unused:UNUSED_PAD src0_sel:WORD_0
	v_cvt_f32_u32_sdwa v23, v4 dst_sel:DWORD dst_unused:UNUSED_PAD src0_sel:WORD_1
	v_cvt_f32_u32_sdwa v22, v4 dst_sel:DWORD dst_unused:UNUSED_PAD src0_sel:WORD_0
	v_cvt_f32_u32_sdwa v25, v5 dst_sel:DWORD dst_unused:UNUSED_PAD src0_sel:WORD_1
	v_cvt_f32_u32_sdwa v24, v5 dst_sel:DWORD dst_unused:UNUSED_PAD src0_sel:WORD_0
	v_pk_add_f32 v[2:3], v[6:7], v[16:17]
	v_pk_add_f32 v[4:5], v[8:9], v[20:21]
	v_pk_add_f32 v[6:7], v[14:15], v[22:23]
	v_pk_add_f32 v[8:9], v[18:19], v[24:25]
	v_perm_b32 v17, v9, v8, s17
	v_perm_b32 v16, v7, v6, s17
	;; [unrolled: 1-line block ×4, first 2 shown]
	buffer_store_dwordx4 v[14:17], v26, s[36:39], 0 offen glc slc
	;;#ASMSTART
	s_nop 0
	;;#ASMEND
.LBB572_10:
	s_or_b64 exec, exec, s[2:3]
.LBB572_11:
	s_waitcnt vmcnt(1)
	v_mul_f32_e32 v14, v3, v3
	v_fmac_f32_e32 v14, v2, v2
	v_fmac_f32_e32 v14, v4, v4
	;; [unrolled: 1-line block ×7, first 2 shown]
	v_and_b32_e32 v16, 63, v0
	v_cmp_eq_u32_e64 s[2:3], 63, v16
	v_mov_b32_dpp v15, v14 quad_perm:[1,0,3,2] row_mask:0xf bank_mask:0xf
	v_add_f32_e32 v14, v14, v15
	s_nop 1
	v_mov_b32_dpp v15, v14 quad_perm:[2,3,0,1] row_mask:0xf bank_mask:0xf
	v_add_f32_e32 v14, v14, v15
	s_nop 1
	v_mov_b32_dpp v15, v14 row_half_mirror row_mask:0xf bank_mask:0xf
	v_add_f32_e32 v14, v14, v15
	s_nop 1
	v_mov_b32_dpp v15, v14 row_mirror row_mask:0xf bank_mask:0xf
	v_add_f32_e32 v14, v14, v15
	s_nop 1
	v_mov_b32_dpp v15, v14 row_bcast:15 row_mask:0xf bank_mask:0xf
	v_add_f32_e32 v14, v14, v15
	s_nop 1
	v_mov_b32_dpp v15, v14 row_bcast:31 row_mask:0xf bank_mask:0xf
	s_waitcnt lgkmcnt(0)
	s_and_saveexec_b64 s[18:19], s[2:3]
	s_cbranch_execz .LBB572_13
; %bb.12:
	v_add_f32_e32 v14, v14, v15
	v_lshrrev_b32_e32 v15, 4, v0
	v_and_b32_e32 v15, 60, v15
	ds_write_b32 v15, v14 offset:16
.LBB572_13:
	s_or_b64 exec, exec, s[18:19]
	v_and_b32_e32 v15, 3, v0
	v_lshlrev_b32_e32 v14, 2, v15
	s_waitcnt lgkmcnt(0)
	s_barrier
	ds_read_b32 v16, v14 offset:16
	s_load_dwordx2 s[18:19], s[4:5], 0x18
	s_waitcnt lgkmcnt(0)
	v_mov_b32_dpp v17, v16 quad_perm:[1,0,3,2] row_mask:0xf bank_mask:0xf
	v_add_f32_e32 v16, v16, v17
	s_nop 1
	v_mov_b32_dpp v17, v16 quad_perm:[2,3,0,1] row_mask:0xf bank_mask:0xf
	s_and_saveexec_b64 s[34:35], s[0:1]
	s_cbranch_execnz .LBB572_18
; %bb.14:
	s_or_b64 exec, exec, s[34:35]
	s_mov_b64 s[8:9], -1
	s_and_b64 vcc, exec, s[30:31]
	s_cbranch_vccnz .LBB572_19
.LBB572_15:
	s_andn2_b64 vcc, exec, s[8:9]
	s_cbranch_vccz .LBB572_22
.LBB572_16:
	s_cmp_lt_i32 s24, 1
	s_cbranch_scc0 .LBB572_31
.LBB572_17:
	s_endpgm
.LBB572_18:
	v_cvt_f32_u32_e32 v18, s7
	v_add_f32_e32 v16, v16, v17
	v_mov_b32_e32 v20, s21
	v_mov_b32_e32 v21, s20
	v_div_scale_f32 v17, s[36:37], v18, v18, v16
	v_rcp_f32_e32 v19, v17
	v_cndmask_b32_e64 v20, v20, v21, s[8:9]
	s_mov_b32 s7, 0x800000
	v_fma_f32 v21, -v17, v19, 1.0
	v_fmac_f32_e32 v19, v21, v19
	v_div_scale_f32 v21, vcc, v16, v18, v16
	v_mul_f32_e32 v22, v21, v19
	v_fma_f32 v23, -v17, v22, v21
	v_fmac_f32_e32 v22, v23, v19
	v_fma_f32 v17, -v17, v22, v21
	v_div_fmas_f32 v17, v17, v19, v22
	v_div_fixup_f32 v16, v17, v18, v16
	v_add_f32_e32 v16, v20, v16
	v_mul_f32_e32 v17, 0x4b800000, v16
	v_cmp_gt_f32_e32 vcc, s7, v16
	v_cndmask_b32_e32 v16, v16, v17, vcc
	v_rsq_f32_e32 v16, v16
	s_waitcnt vmcnt(0)
	v_cvt_f32_u32_sdwa v19, v10 dst_sel:DWORD dst_unused:UNUSED_PAD src0_sel:WORD_1
	v_cvt_f32_u32_sdwa v18, v10 dst_sel:DWORD dst_unused:UNUSED_PAD src0_sel:WORD_0
	v_cvt_f32_u32_sdwa v21, v11 dst_sel:DWORD dst_unused:UNUSED_PAD src0_sel:WORD_1
	v_mul_f32_e32 v17, 0x45800000, v16
	v_cndmask_b32_e32 v16, v16, v17, vcc
	v_mov_b32_e32 v17, v16
	v_cvt_f32_u32_sdwa v20, v11 dst_sel:DWORD dst_unused:UNUSED_PAD src0_sel:WORD_0
	;;#ASMSTART
	v_pk_mul_f32 v[2:3], v[2:3], v[16:17]
	;;#ASMEND
	;;#ASMSTART
	v_pk_mul_f32 v[4:5], v[4:5], v[16:17]
	;;#ASMEND
	;; [unrolled: 3-line block ×4, first 2 shown]
	v_cvt_f32_u32_sdwa v17, v12 dst_sel:DWORD dst_unused:UNUSED_PAD src0_sel:WORD_1
	v_cvt_f32_u32_sdwa v16, v12 dst_sel:DWORD dst_unused:UNUSED_PAD src0_sel:WORD_0
	v_pk_add_f32 v[10:11], v[18:19], 1.0 op_sel_hi:[1,0]
	v_cvt_f32_u32_sdwa v19, v13 dst_sel:DWORD dst_unused:UNUSED_PAD src0_sel:WORD_1
	v_cvt_f32_u32_sdwa v18, v13 dst_sel:DWORD dst_unused:UNUSED_PAD src0_sel:WORD_0
	;;#ASMSTART
	v_pk_mul_f32 v[2:3], v[2:3], v[10:11]
	;;#ASMEND
	v_pk_add_f32 v[10:11], v[20:21], 1.0 op_sel_hi:[1,0]
	;;#ASMSTART
	v_pk_mul_f32 v[4:5], v[4:5], v[10:11]
	;;#ASMEND
	v_pk_add_f32 v[10:11], v[16:17], 1.0 op_sel_hi:[1,0]
	;; [unrolled: 4-line block ×3, first 2 shown]
	;;#ASMSTART
	v_pk_mul_f32 v[8:9], v[8:9], v[10:11]
	;;#ASMEND
	s_or_b64 exec, exec, s[34:35]
	s_mov_b64 s[8:9], -1
	s_and_b64 vcc, exec, s[30:31]
	s_cbranch_vccz .LBB572_15
.LBB572_19:
	s_and_saveexec_b64 s[8:9], s[0:1]
	s_cbranch_execz .LBB572_21
; %bb.20:
	s_mul_hi_i32 s31, s16, s6
	s_mul_i32 s30, s16, s6
	s_lshl_b64 s[30:31], s[30:31], 1
	s_add_u32 s36, s18, s30
	s_addc_u32 s7, s19, s31
	s_and_b32 s37, s7, 0xffff
	s_mov_b32 s7, 0x7060302
	s_mov_b32 s39, 0x20000
	s_waitcnt vmcnt(0)
	v_perm_b32 v10, v3, v2, s7
	v_perm_b32 v11, v5, v4, s7
	;; [unrolled: 1-line block ×4, first 2 shown]
	v_lshlrev_b32_e32 v16, 4, v0
	buffer_store_dwordx4 v[10:13], v16, s[36:39], 0 offen
	;;#ASMSTART
	s_nop 0
	;;#ASMEND
.LBB572_21:
	s_or_b64 exec, exec, s[8:9]
	s_cbranch_execnz .LBB572_16
.LBB572_22:
	s_waitcnt vmcnt(0)
	v_mov_b32_e32 v10, 0
	s_and_saveexec_b64 s[8:9], s[0:1]
	s_cbranch_execz .LBB572_24
; %bb.23:
	s_load_dwordx2 s[30:31], s[4:5], 0x10
	s_mul_hi_i32 s35, s15, s6
	s_mul_i32 s34, s15, s6
	s_lshl_b64 s[34:35], s[34:35], 1
	s_mov_b32 s39, 0x20000
	s_waitcnt lgkmcnt(0)
	s_add_u32 s36, s30, s34
	s_addc_u32 s7, s31, s35
	s_and_b32 s37, s7, 0xffff
	s_mov_b32 s7, 0x7060302
	v_perm_b32 v10, v3, v2, s7
	v_perm_b32 v11, v5, v4, s7
	;; [unrolled: 1-line block ×4, first 2 shown]
	v_lshlrev_b32_e32 v16, 4, v0
	buffer_store_dwordx4 v[10:13], v16, s[36:39], 0 offen
	;;#ASMSTART
	s_nop 0
	;;#ASMEND
	s_nop 0
	v_mov_b32_e32 v10, 0x2edbe6ff
.LBB572_24:
	s_or_b64 exec, exec, s[8:9]
	s_and_saveexec_b64 s[8:9], s[0:1]
	s_cbranch_execz .LBB572_26
; %bb.25:
	v_and_b32_e32 v2, 0x7fffffff, v2
	v_and_b32_e32 v3, 0x7fffffff, v3
	;;#ASMSTART
	v_max3_f32 v2, v10, v2, v3

	;;#ASMEND
	v_and_b32_e32 v3, 0x7fffffff, v4
	v_and_b32_e32 v4, 0x7fffffff, v5
	;;#ASMSTART
	v_max3_f32 v2, v2, v3, v4

	;;#ASMEND
	;; [unrolled: 6-line block ×4, first 2 shown]
.LBB572_26:
	s_or_b64 exec, exec, s[8:9]
	v_cmp_eq_u32_e32 vcc, 0, v15
	v_cmp_gt_i32_e64 s[8:9], s23, v1
	s_and_b64 s[30:31], vcc, s[8:9]
	;;#ASMSTART
	v_max_f32 v3, v10, v10 quad_perm:[1,0,3,2] row_mask:0xf bank_mask:0xf bound_ctrl:1
	;;#ASMEND
	;;#ASMSTART
	v_max_f32 v2, v3, v3 quad_perm:[2,3,0,1] row_mask:0xf bank_mask:0xf bound_ctrl:1
	;;#ASMEND
	s_and_saveexec_b64 s[8:9], s[30:31]
	s_cbranch_execz .LBB572_28
; %bb.27:
	s_load_dwordx2 s[30:31], s[4:5], 0x8
	v_mul_f32_e32 v2, 0x3e2aaaab, v2
	v_lshrrev_b32_e32 v3, 23, v2
	v_and_b32_e32 v4, 0x7f800000, v2
	v_and_b32_e32 v2, 0x7fffff, v2
	v_cmp_ne_u32_e32 vcc, 0, v2
	s_mul_hi_i32 s15, s13, s6
	s_mul_i32 s13, s13, s6
	s_mov_b32 s7, 0x7f800000
	v_addc_co_u32_e32 v2, vcc, 0, v3, vcc
	s_waitcnt lgkmcnt(0)
	s_add_u32 s30, s30, s13
	v_cmp_ne_u32_e32 vcc, s7, v4
	s_addc_u32 s31, s31, s15
	v_lshrrev_b32_e32 v5, 2, v0
	v_cndmask_b32_e32 v4, -1, v2, vcc
	v_pk_mov_b32 v[2:3], s[30:31], s[30:31] op_sel:[0,1]
	v_mad_i64_i32 v[2:3], s[14:15], s14, v5, v[2:3]
	global_store_byte v[2:3], v4, off
.LBB572_28:
	s_or_b64 exec, exec, s[8:9]
	s_and_saveexec_b64 s[8:9], s[0:1]
	s_cbranch_execz .LBB572_30
; %bb.29:
	s_load_dwordx2 s[0:1], s[4:5], 0x0
	s_mul_hi_i32 s7, s12, s6
	s_mul_i32 s12, s12, s6
	v_lshlrev_b32_e32 v2, 2, v0
	s_mov_b32 s15, 0x20000
	s_waitcnt lgkmcnt(0)
	s_add_u32 s12, s0, s12
	s_addc_u32 s0, s1, s7
	s_lshr_b32 s1, s23, 31
	s_add_i32 s1, s23, s1
	s_ashr_i32 s1, s1, 1
	s_add_i32 s1, s1, 3
	s_ashr_i32 s7, s1, 31
	s_lshr_b32 s7, s7, 30
	s_add_i32 s1, s1, s7
	s_and_b32 s14, s1, -4
	s_and_b32 s13, s0, 0xffff
	v_mov_b32_e32 v3, 0
	buffer_store_dword v3, v2, s[12:15], 0 offen
	;;#ASMSTART
	s_nop 0
	;;#ASMEND
.LBB572_30:
	s_or_b64 exec, exec, s[8:9]
	s_cmp_lt_i32 s24, 1
	s_cbranch_scc1 .LBB572_17
.LBB572_31:
	s_load_dword s0, s[4:5], 0x94
	s_waitcnt lgkmcnt(0)
	s_cmp_lg_u32 s0, 1
	s_cbranch_scc1 .LBB572_17
; %bb.32:
	s_lshl_b32 s0, s24, 1
	s_add_i32 s0, s0, 2
	v_cmp_gt_u32_e32 vcc, s24, v1
	s_and_b32 s30, s0, -4
	v_mov_b32_e32 v6, 0
	v_lshlrev_b32_e32 v1, 4, v0
	v_mov_b32_e32 v7, 0
	v_mov_b32_e32 v8, 0
	v_mov_b32_e32 v9, 0
	v_mov_b32_e32 v2, 0
	v_mov_b32_e32 v3, 0
	v_mov_b32_e32 v4, 0
	v_mov_b32_e32 v5, 0
	s_barrier
	s_and_saveexec_b64 s[0:1], vcc
	s_cbranch_execz .LBB572_34
; %bb.33:
	s_mul_hi_i32 s5, s26, s6
	s_mul_i32 s4, s26, s6
	s_and_b32 s29, s29, 0xffff
	s_lshl_b64 s[4:5], s[4:5], 1
	s_add_u32 s8, s10, s4
	s_mov_b32 s31, 0x20000
	s_addc_u32 s4, s11, s5
	s_and_b32 s9, s4, 0xffff
	s_mov_b32 s10, s30
	s_mov_b32 s11, s31
	buffer_load_dwordx4 v[6:9], v1, s[8:11], 0 offen glc slc
	buffer_load_dwordx4 v[2:5], v1, s[28:31], 0 offen
.LBB572_34:
	s_or_b64 exec, exec, s[0:1]
	s_waitcnt vmcnt(0)
	v_cvt_f32_u32_sdwa v13, v6 dst_sel:DWORD dst_unused:UNUSED_PAD src0_sel:WORD_1
	v_cvt_f32_u32_sdwa v12, v6 dst_sel:DWORD dst_unused:UNUSED_PAD src0_sel:WORD_0
	v_cvt_f32_u32_sdwa v6, v9 dst_sel:DWORD dst_unused:UNUSED_PAD src0_sel:WORD_1
	v_cvt_f32_u32_sdwa v9, v9 dst_sel:DWORD dst_unused:UNUSED_PAD src0_sel:WORD_0
	;; [unrolled: 2-line block ×4, first 2 shown]
	v_cndmask_b32_e32 v13, 0, v13, vcc
	v_cndmask_b32_e32 v7, 0, v6, vcc
	;; [unrolled: 1-line block ×5, first 2 shown]
	v_mul_f32_e32 v15, v13, v13
	v_cndmask_b32_e32 v10, 0, v10, vcc
	v_fmac_f32_e32 v15, v12, v12
	v_cndmask_b32_e32 v11, 0, v11, vcc
	v_fmac_f32_e32 v15, v10, v10
	;; [unrolled: 2-line block ×3, first 2 shown]
	v_fmac_f32_e32 v15, v8, v8
	v_fmac_f32_e32 v15, v9, v9
	;; [unrolled: 1-line block ×4, first 2 shown]
	s_nop 1
	v_mov_b32_dpp v16, v15 quad_perm:[1,0,3,2] row_mask:0xf bank_mask:0xf
	v_add_f32_e32 v15, v15, v16
	s_nop 1
	v_mov_b32_dpp v16, v15 quad_perm:[2,3,0,1] row_mask:0xf bank_mask:0xf
	v_add_f32_e32 v15, v15, v16
	s_nop 1
	v_mov_b32_dpp v16, v15 row_half_mirror row_mask:0xf bank_mask:0xf
	v_add_f32_e32 v15, v15, v16
	s_nop 1
	v_mov_b32_dpp v16, v15 row_mirror row_mask:0xf bank_mask:0xf
	v_add_f32_e32 v15, v15, v16
	s_nop 1
	v_mov_b32_dpp v16, v15 row_bcast:15 row_mask:0xf bank_mask:0xf
	v_add_f32_e32 v15, v15, v16
	s_nop 1
	v_mov_b32_dpp v16, v15 row_bcast:31 row_mask:0xf bank_mask:0xf
	s_and_saveexec_b64 s[0:1], s[2:3]
	s_cbranch_execz .LBB572_36
; %bb.35:
	v_lshrrev_b32_e32 v0, 4, v0
	v_add_f32_e32 v15, v15, v16
	v_and_b32_e32 v0, 60, v0
	ds_write_b32 v0, v15
.LBB572_36:
	s_or_b64 exec, exec, s[0:1]
	s_waitcnt lgkmcnt(0)
	s_barrier
	ds_read_b32 v0, v14
	s_waitcnt lgkmcnt(0)
	s_nop 0
	v_mov_b32_dpp v14, v0 quad_perm:[1,0,3,2] row_mask:0xf bank_mask:0xf
	v_add_f32_e32 v0, v0, v14
	s_nop 1
	v_mov_b32_dpp v14, v0 quad_perm:[2,3,0,1] row_mask:0xf bank_mask:0xf
	s_and_saveexec_b64 s[0:1], vcc
	s_cbranch_execz .LBB572_17
; %bb.37:
	v_cvt_f32_u32_e32 v15, s24
	v_add_f32_e32 v0, v0, v14
	s_mov_b32 s31, 0x20000
	v_div_scale_f32 v14, s[0:1], v15, v15, v0
	v_rcp_f32_e32 v16, v14
	v_div_scale_f32 v17, vcc, v0, v15, v0
	s_mov_b32 s0, 0x800000
	v_fma_f32 v18, -v14, v16, 1.0
	v_fmac_f32_e32 v16, v18, v16
	v_mul_f32_e32 v18, v17, v16
	v_fma_f32 v19, -v14, v18, v17
	v_fmac_f32_e32 v18, v19, v16
	v_fma_f32 v14, -v14, v18, v17
	v_div_fmas_f32 v14, v14, v16, v18
	v_div_fixup_f32 v0, v14, v15, v0
	v_add_f32_e32 v0, s21, v0
	v_mul_f32_e32 v14, 0x4b800000, v0
	v_cmp_gt_f32_e32 vcc, s0, v0
	v_cndmask_b32_e32 v0, v0, v14, vcc
	v_rsq_f32_e32 v0, v0
	v_cvt_f32_u32_sdwa v17, v2 dst_sel:DWORD dst_unused:UNUSED_PAD src0_sel:WORD_1
	v_cvt_f32_u32_sdwa v16, v2 dst_sel:DWORD dst_unused:UNUSED_PAD src0_sel:WORD_0
	v_cvt_f32_u32_sdwa v19, v3 dst_sel:DWORD dst_unused:UNUSED_PAD src0_sel:WORD_1
	v_mul_f32_e32 v14, 0x45800000, v0
	v_cndmask_b32_e32 v14, v0, v14, vcc
	v_mov_b32_e32 v15, v14
	;;#ASMSTART
	v_pk_mul_f32 v[12:13], v[12:13], v[14:15]
	;;#ASMEND
	;;#ASMSTART
	v_pk_mul_f32 v[10:11], v[10:11], v[14:15]
	;;#ASMEND
	;; [unrolled: 3-line block ×3, first 2 shown]
	v_cvt_f32_u32_sdwa v18, v3 dst_sel:DWORD dst_unused:UNUSED_PAD src0_sel:WORD_0
	;;#ASMSTART
	v_pk_mul_f32 v[2:3], v[6:7], v[14:15]
	;;#ASMEND
	v_cvt_f32_u32_sdwa v15, v4 dst_sel:DWORD dst_unused:UNUSED_PAD src0_sel:WORD_1
	v_cvt_f32_u32_sdwa v14, v4 dst_sel:DWORD dst_unused:UNUSED_PAD src0_sel:WORD_0
	v_pk_add_f32 v[6:7], v[16:17], 1.0 op_sel_hi:[1,0]
	v_cvt_f32_u32_sdwa v17, v5 dst_sel:DWORD dst_unused:UNUSED_PAD src0_sel:WORD_1
	v_cvt_f32_u32_sdwa v16, v5 dst_sel:DWORD dst_unused:UNUSED_PAD src0_sel:WORD_0
	s_mul_hi_i32 s1, s16, s6
	s_mul_i32 s0, s16, s6
	s_lshl_b64 s[0:1], s[0:1], 1
	s_add_u32 s28, s18, s0
	;;#ASMSTART
	v_pk_mul_f32 v[6:7], v[12:13], v[6:7]
	;;#ASMEND
	v_pk_add_f32 v[12:13], v[18:19], 1.0 op_sel_hi:[1,0]
	;;#ASMSTART
	v_pk_mul_f32 v[4:5], v[10:11], v[12:13]
	;;#ASMEND
	v_pk_add_f32 v[10:11], v[14:15], 1.0 op_sel_hi:[1,0]
	s_addc_u32 s0, s19, s1
	;;#ASMSTART
	v_pk_mul_f32 v[8:9], v[8:9], v[10:11]
	;;#ASMEND
	v_pk_add_f32 v[10:11], v[16:17], 1.0 op_sel_hi:[1,0]
	s_and_b32 s29, s0, 0xffff
	s_mov_b32 s0, 0x7060302
	;;#ASMSTART
	v_pk_mul_f32 v[10:11], v[2:3], v[10:11]
	;;#ASMEND
	v_perm_b32 v2, v7, v6, s0
	v_perm_b32 v3, v5, v4, s0
	;; [unrolled: 1-line block ×4, first 2 shown]
	buffer_store_dwordx4 v[2:5], v1, s[28:31], 0 offen
	;;#ASMSTART
	s_nop 0
	;;#ASMEND
	s_endpgm
	.section	.rodata,"a",@progbits
	.p2align	6, 0x0
	.amdhsa_kernel _ZN5aiter35fused_qk_rmsnorm_group_quant_kernelItN4opus5fp4_tELi256ELi8ELi4ELb1ELb1ELb1ELb0ELb0ELb0EEEvPT0_PvPT_S7_S7_PKS6_S9_S9_S9_S9_ffiiiiiiiiiiiii
		.amdhsa_group_segment_fixed_size 32
		.amdhsa_private_segment_fixed_size 0
		.amdhsa_kernarg_size 400
		.amdhsa_user_sgpr_count 6
		.amdhsa_user_sgpr_private_segment_buffer 1
		.amdhsa_user_sgpr_dispatch_ptr 0
		.amdhsa_user_sgpr_queue_ptr 0
		.amdhsa_user_sgpr_kernarg_segment_ptr 1
		.amdhsa_user_sgpr_dispatch_id 0
		.amdhsa_user_sgpr_flat_scratch_init 0
		.amdhsa_user_sgpr_kernarg_preload_length 0
		.amdhsa_user_sgpr_kernarg_preload_offset 0
		.amdhsa_user_sgpr_private_segment_size 0
		.amdhsa_uses_dynamic_stack 0
		.amdhsa_system_sgpr_private_segment_wavefront_offset 0
		.amdhsa_system_sgpr_workgroup_id_x 1
		.amdhsa_system_sgpr_workgroup_id_y 1
		.amdhsa_system_sgpr_workgroup_id_z 0
		.amdhsa_system_sgpr_workgroup_info 0
		.amdhsa_system_vgpr_workitem_id 0
		.amdhsa_next_free_vgpr 27
		.amdhsa_next_free_sgpr 48
		.amdhsa_accum_offset 28
		.amdhsa_reserve_vcc 1
		.amdhsa_reserve_flat_scratch 0
		.amdhsa_float_round_mode_32 0
		.amdhsa_float_round_mode_16_64 0
		.amdhsa_float_denorm_mode_32 3
		.amdhsa_float_denorm_mode_16_64 3
		.amdhsa_dx10_clamp 1
		.amdhsa_ieee_mode 1
		.amdhsa_fp16_overflow 0
		.amdhsa_tg_split 0
		.amdhsa_exception_fp_ieee_invalid_op 0
		.amdhsa_exception_fp_denorm_src 0
		.amdhsa_exception_fp_ieee_div_zero 0
		.amdhsa_exception_fp_ieee_overflow 0
		.amdhsa_exception_fp_ieee_underflow 0
		.amdhsa_exception_fp_ieee_inexact 0
		.amdhsa_exception_int_div_zero 0
	.end_amdhsa_kernel
	.section	.text._ZN5aiter35fused_qk_rmsnorm_group_quant_kernelItN4opus5fp4_tELi256ELi8ELi4ELb1ELb1ELb1ELb0ELb0ELb0EEEvPT0_PvPT_S7_S7_PKS6_S9_S9_S9_S9_ffiiiiiiiiiiiii,"axG",@progbits,_ZN5aiter35fused_qk_rmsnorm_group_quant_kernelItN4opus5fp4_tELi256ELi8ELi4ELb1ELb1ELb1ELb0ELb0ELb0EEEvPT0_PvPT_S7_S7_PKS6_S9_S9_S9_S9_ffiiiiiiiiiiiii,comdat
.Lfunc_end572:
	.size	_ZN5aiter35fused_qk_rmsnorm_group_quant_kernelItN4opus5fp4_tELi256ELi8ELi4ELb1ELb1ELb1ELb0ELb0ELb0EEEvPT0_PvPT_S7_S7_PKS6_S9_S9_S9_S9_ffiiiiiiiiiiiii, .Lfunc_end572-_ZN5aiter35fused_qk_rmsnorm_group_quant_kernelItN4opus5fp4_tELi256ELi8ELi4ELb1ELb1ELb1ELb0ELb0ELb0EEEvPT0_PvPT_S7_S7_PKS6_S9_S9_S9_S9_ffiiiiiiiiiiiii
                                        ; -- End function
	.section	.AMDGPU.csdata,"",@progbits
; Kernel info:
; codeLenInByte = 2920
; NumSgprs: 52
; NumVgprs: 27
; NumAgprs: 0
; TotalNumVgprs: 27
; ScratchSize: 0
; MemoryBound: 0
; FloatMode: 240
; IeeeMode: 1
; LDSByteSize: 32 bytes/workgroup (compile time only)
; SGPRBlocks: 6
; VGPRBlocks: 3
; NumSGPRsForWavesPerEU: 52
; NumVGPRsForWavesPerEU: 27
; AccumOffset: 28
; Occupancy: 8
; WaveLimiterHint : 0
; COMPUTE_PGM_RSRC2:SCRATCH_EN: 0
; COMPUTE_PGM_RSRC2:USER_SGPR: 6
; COMPUTE_PGM_RSRC2:TRAP_HANDLER: 0
; COMPUTE_PGM_RSRC2:TGID_X_EN: 1
; COMPUTE_PGM_RSRC2:TGID_Y_EN: 1
; COMPUTE_PGM_RSRC2:TGID_Z_EN: 0
; COMPUTE_PGM_RSRC2:TIDIG_COMP_CNT: 0
; COMPUTE_PGM_RSRC3_GFX90A:ACCUM_OFFSET: 6
; COMPUTE_PGM_RSRC3_GFX90A:TG_SPLIT: 0
	.section	.text._ZN5aiter35fused_qk_rmsnorm_group_quant_kernelIDF16_DB8_Li256ELi8ELi4ELb1ELb1ELb0ELb0ELb0ELb0EEEvPT0_PvPT_S6_S6_PKS5_S8_S8_S8_S8_ffiiiiiiiiiiiii,"axG",@progbits,_ZN5aiter35fused_qk_rmsnorm_group_quant_kernelIDF16_DB8_Li256ELi8ELi4ELb1ELb1ELb0ELb0ELb0ELb0EEEvPT0_PvPT_S6_S6_PKS5_S8_S8_S8_S8_ffiiiiiiiiiiiii,comdat
	.protected	_ZN5aiter35fused_qk_rmsnorm_group_quant_kernelIDF16_DB8_Li256ELi8ELi4ELb1ELb1ELb0ELb0ELb0ELb0EEEvPT0_PvPT_S6_S6_PKS5_S8_S8_S8_S8_ffiiiiiiiiiiiii ; -- Begin function _ZN5aiter35fused_qk_rmsnorm_group_quant_kernelIDF16_DB8_Li256ELi8ELi4ELb1ELb1ELb0ELb0ELb0ELb0EEEvPT0_PvPT_S6_S6_PKS5_S8_S8_S8_S8_ffiiiiiiiiiiiii
	.globl	_ZN5aiter35fused_qk_rmsnorm_group_quant_kernelIDF16_DB8_Li256ELi8ELi4ELb1ELb1ELb0ELb0ELb0ELb0EEEvPT0_PvPT_S6_S6_PKS5_S8_S8_S8_S8_ffiiiiiiiiiiiii
	.p2align	8
	.type	_ZN5aiter35fused_qk_rmsnorm_group_quant_kernelIDF16_DB8_Li256ELi8ELi4ELb1ELb1ELb0ELb0ELb0ELb0EEEvPT0_PvPT_S6_S6_PKS5_S8_S8_S8_S8_ffiiiiiiiiiiiii,@function
_ZN5aiter35fused_qk_rmsnorm_group_quant_kernelIDF16_DB8_Li256ELi8ELi4ELb1ELb1ELb0ELb0ELb0ELb0EEEvPT0_PvPT_S6_S6_PKS5_S8_S8_S8_S8_ffiiiiiiiiiiiii: ; @_ZN5aiter35fused_qk_rmsnorm_group_quant_kernelIDF16_DB8_Li256ELi8ELi4ELb1ELb1ELb0ELb0ELb0ELb0EEEvPT0_PvPT_S6_S6_PKS5_S8_S8_S8_S8_ffiiiiiiiiiiiii
; %bb.0:
	s_load_dwordx8 s[20:27], s[4:5], 0x50
	s_waitcnt lgkmcnt(0)
	s_cmp_ge_i32 s6, s22
	s_cbranch_scc1 .LBB573_17
; %bb.1:
	s_cmp_lg_u32 s7, 0
	s_cselect_b64 s[10:11], -1, 0
	s_cmp_eq_u32 s7, 0
	s_cselect_b64 s[8:9], -1, 0
	s_and_b64 s[0:1], s[8:9], exec
	s_load_dwordx2 s[28:29], s[4:5], 0x48
	s_load_dwordx2 s[34:35], s[4:5], 0x30
	s_load_dwordx8 s[12:19], s[4:5], 0x70
	s_cselect_b32 s7, s23, s24
	s_add_i32 s0, s7, 1
	s_lshr_b32 s1, s0, 31
	s_add_i32 s0, s0, s1
	s_lshl_b32 s0, s0, 1
	v_lshlrev_b32_e32 v1, 3, v0
	s_and_b32 s38, s0, -4
	v_cmp_gt_i32_e64 s[0:1], s7, v1
	v_mov_b32_e32 v24, 0
	v_mov_b32_e32 v25, 0
	;; [unrolled: 1-line block ×8, first 2 shown]
	s_and_saveexec_b64 s[2:3], s[0:1]
	s_cbranch_execz .LBB573_3
; %bb.2:
	s_waitcnt lgkmcnt(0)
	s_load_dwordx2 s[18:19], s[4:5], 0x28
	s_load_dwordx2 s[30:31], s[4:5], 0x40
	s_and_b64 s[36:37], s[8:9], exec
	s_cselect_b32 s22, s25, s26
	s_mov_b32 s39, 0x20000
	s_waitcnt lgkmcnt(0)
	s_cselect_b32 s25, s19, s35
	s_cselect_b32 s33, s18, s34
	s_mul_hi_i32 s19, s22, s6
	s_mul_i32 s18, s22, s6
	s_lshl_b64 s[18:19], s[18:19], 1
	s_add_u32 s40, s33, s18
	s_addc_u32 s22, s25, s19
	s_and_b64 s[18:19], s[8:9], exec
	s_cselect_b32 s36, s30, s28
	s_cselect_b32 s18, s31, s29
	v_lshlrev_b32_e32 v2, 4, v0
	s_and_b32 s41, s22, 0xffff
	s_mov_b32 s42, s38
	s_mov_b32 s43, s39
	s_and_b32 s37, s18, 0xffff
	buffer_load_dwordx4 v[28:31], v2, s[40:43], 0 offen glc slc
	buffer_load_dwordx4 v[24:27], v2, s[36:39], 0 offen
.LBB573_3:
	s_or_b64 exec, exec, s[2:3]
	s_and_b64 vcc, exec, s[10:11]
	s_cbranch_vccz .LBB573_7
; %bb.4:
	v_mov_b32_e32 v33, 0
	v_mov_b32_e32 v32, 0
	;; [unrolled: 1-line block ×8, first 2 shown]
	s_and_saveexec_b64 s[2:3], s[0:1]
	s_cbranch_execz .LBB573_6
; %bb.5:
	s_waitcnt vmcnt(1)
	v_cvt_f32_f16_sdwa v17, v28 dst_sel:DWORD dst_unused:UNUSED_PAD src0_sel:WORD_1
	v_cvt_f32_f16_e32 v16, v28
	v_cvt_f32_f16_sdwa v11, v29 dst_sel:DWORD dst_unused:UNUSED_PAD src0_sel:WORD_1
	v_cvt_f32_f16_e32 v10, v29
	;; [unrolled: 2-line block ×4, first 2 shown]
.LBB573_6:
	s_or_b64 exec, exec, s[2:3]
	s_cbranch_execz .LBB573_8
	s_branch .LBB573_11
.LBB573_7:
                                        ; implicit-def: $vgpr8_vgpr9_vgpr10_vgpr11_vgpr12_vgpr13_vgpr14_vgpr15
                                        ; implicit-def: $vgpr33
                                        ; implicit-def: $vgpr16_vgpr17_vgpr18_vgpr19_vgpr20_vgpr21_vgpr22_vgpr23
                                        ; implicit-def: $vgpr2_vgpr3_vgpr4_vgpr5_vgpr6_vgpr7_vgpr8_vgpr9
.LBB573_8:
	v_mov_b32_e32 v33, 0
	v_mov_b32_e32 v32, 0
	;; [unrolled: 1-line block ×8, first 2 shown]
	s_and_saveexec_b64 s[2:3], s[0:1]
	s_cbranch_execz .LBB573_10
; %bb.9:
	s_waitcnt lgkmcnt(0)
	s_load_dwordx2 s[18:19], s[4:5], 0x38
	s_mul_hi_i32 s31, s27, s6
	s_mul_i32 s30, s27, s6
	s_lshl_b64 s[30:31], s[30:31], 1
	s_mov_b32 s39, 0x20000
	s_waitcnt lgkmcnt(0)
	s_add_u32 s36, s18, s30
	s_addc_u32 s18, s19, s31
	s_and_b32 s37, s18, 0xffff
	v_lshlrev_b32_e32 v20, 4, v0
	buffer_load_dwordx4 v[2:5], v20, s[36:39], 0 offen glc slc
	s_waitcnt vmcnt(2)
	v_cvt_f32_f16_sdwa v7, v28 dst_sel:DWORD dst_unused:UNUSED_PAD src0_sel:WORD_1
	v_cvt_f32_f16_e32 v6, v28
	v_cvt_f32_f16_sdwa v9, v29 dst_sel:DWORD dst_unused:UNUSED_PAD src0_sel:WORD_1
	v_cvt_f32_f16_e32 v8, v29
	;; [unrolled: 2-line block ×4, first 2 shown]
	s_load_dwordx2 s[18:19], s[4:5], 0x20
	s_mul_hi_i32 s31, s17, s6
	s_mul_i32 s30, s17, s6
	s_lshl_b64 s[30:31], s[30:31], 1
	s_waitcnt lgkmcnt(0)
	s_add_u32 s36, s18, s30
	s_addc_u32 s17, s19, s31
	s_and_b32 s37, s17, 0xffff
	s_waitcnt vmcnt(0)
	v_cvt_f32_f16_e32 v10, v2
	v_cvt_f32_f16_sdwa v11, v2 dst_sel:DWORD dst_unused:UNUSED_PAD src0_sel:WORD_1
	v_cvt_f32_f16_e32 v2, v3
	v_cvt_f32_f16_sdwa v3, v3 dst_sel:DWORD dst_unused:UNUSED_PAD src0_sel:WORD_1
	;; [unrolled: 2-line block ×4, first 2 shown]
	v_pk_add_f32 v[16:17], v[6:7], v[10:11]
	v_pk_add_f32 v[10:11], v[8:9], v[2:3]
	;; [unrolled: 1-line block ×4, first 2 shown]
	v_cvt_f16_f32_e32 v2, v17
	v_cvt_f16_f32_e32 v3, v11
	;; [unrolled: 1-line block ×8, first 2 shown]
	v_pack_b32_f16 v5, v8, v5
	v_pack_b32_f16 v4, v9, v4
	;; [unrolled: 1-line block ×4, first 2 shown]
	buffer_store_dwordx4 v[2:5], v20, s[36:39], 0 offen glc slc
	;;#ASMSTART
	s_nop 0
	;;#ASMEND
.LBB573_10:
	s_or_b64 exec, exec, s[2:3]
.LBB573_11:
	v_mul_f32_e32 v2, v17, v17
	v_fmac_f32_e32 v2, v16, v16
	v_fmac_f32_e32 v2, v10, v10
	;; [unrolled: 1-line block ×7, first 2 shown]
	v_and_b32_e32 v4, 63, v0
	v_cmp_eq_u32_e64 s[2:3], 63, v4
	v_mov_b32_dpp v3, v2 quad_perm:[1,0,3,2] row_mask:0xf bank_mask:0xf
	v_add_f32_e32 v2, v2, v3
	s_nop 1
	v_mov_b32_dpp v3, v2 quad_perm:[2,3,0,1] row_mask:0xf bank_mask:0xf
	v_add_f32_e32 v2, v2, v3
	s_nop 1
	v_mov_b32_dpp v3, v2 row_half_mirror row_mask:0xf bank_mask:0xf
	v_add_f32_e32 v2, v2, v3
	s_nop 1
	v_mov_b32_dpp v3, v2 row_mirror row_mask:0xf bank_mask:0xf
	v_add_f32_e32 v2, v2, v3
	s_nop 1
	v_mov_b32_dpp v3, v2 row_bcast:15 row_mask:0xf bank_mask:0xf
	v_add_f32_e32 v2, v2, v3
	s_nop 1
	v_mov_b32_dpp v3, v2 row_bcast:31 row_mask:0xf bank_mask:0xf
	s_waitcnt lgkmcnt(0)
	s_and_saveexec_b64 s[18:19], s[2:3]
	s_cbranch_execz .LBB573_13
; %bb.12:
	v_add_f32_e32 v2, v2, v3
	v_lshrrev_b32_e32 v3, 4, v0
	v_and_b32_e32 v3, 60, v3
	ds_write_b32 v3, v2 offset:16
.LBB573_13:
	s_or_b64 exec, exec, s[18:19]
	v_and_b32_e32 v2, 3, v0
	v_lshlrev_b32_e32 v18, 2, v2
	s_waitcnt lgkmcnt(0)
	s_barrier
	ds_read_b32 v3, v18 offset:16
	s_load_dwordx2 s[18:19], s[4:5], 0x18
	s_waitcnt lgkmcnt(0)
	v_mov_b32_dpp v4, v3 quad_perm:[1,0,3,2] row_mask:0xf bank_mask:0xf
	v_add_f32_e32 v3, v3, v4
	s_nop 1
	v_mov_b32_dpp v4, v3 quad_perm:[2,3,0,1] row_mask:0xf bank_mask:0xf
	s_and_saveexec_b64 s[30:31], s[0:1]
	s_cbranch_execnz .LBB573_18
; %bb.14:
	s_or_b64 exec, exec, s[30:31]
	s_mov_b64 s[8:9], -1
	s_and_b64 vcc, exec, s[10:11]
	s_cbranch_vccnz .LBB573_19
.LBB573_15:
	s_andn2_b64 vcc, exec, s[8:9]
	s_cbranch_vccz .LBB573_22
.LBB573_16:
	s_cmp_lt_i32 s24, 1
	s_cbranch_scc0 .LBB573_31
.LBB573_17:
	s_endpgm
.LBB573_18:
	v_cvt_f32_u32_e32 v5, s7
	v_add_f32_e32 v3, v3, v4
	v_mov_b32_e32 v9, s21
	v_mov_b32_e32 v12, s20
	v_div_scale_f32 v4, s[36:37], v5, v5, v3
	v_rcp_f32_e32 v8, v4
	v_cndmask_b32_e64 v9, v9, v12, s[8:9]
	s_mov_b32 s7, 0x800000
	s_waitcnt vmcnt(0)
	v_cvt_f32_f16_sdwa v15, v25 dst_sel:DWORD dst_unused:UNUSED_PAD src0_sel:WORD_1
	v_fma_f32 v12, -v4, v8, 1.0
	v_fmac_f32_e32 v8, v12, v8
	v_div_scale_f32 v12, vcc, v3, v5, v3
	v_mul_f32_e32 v13, v12, v8
	v_fma_f32 v14, -v4, v13, v12
	v_fmac_f32_e32 v13, v14, v8
	v_fma_f32 v4, -v4, v13, v12
	v_div_fmas_f32 v4, v4, v8, v13
	v_div_fixup_f32 v3, v4, v5, v3
	v_add_f32_e32 v3, v9, v3
	v_mul_f32_e32 v4, 0x4b800000, v3
	v_cmp_gt_f32_e32 vcc, s7, v3
	v_cndmask_b32_e32 v3, v3, v4, vcc
	v_rsq_f32_e32 v3, v3
	v_cvt_f32_f16_sdwa v13, v24 dst_sel:DWORD dst_unused:UNUSED_PAD src0_sel:WORD_1
	v_cvt_f32_f16_e32 v12, v24
	v_cvt_f32_f16_e32 v14, v25
	v_mul_f32_e32 v4, 0x45800000, v3
	v_cndmask_b32_e32 v4, v3, v4, vcc
	v_mov_b32_e32 v5, v4
	;;#ASMSTART
	v_pk_mul_f32 v[8:9], v[16:17], v[4:5]
	;;#ASMEND
	;;#ASMSTART
	v_pk_mul_f32 v[10:11], v[10:11], v[4:5]
	;;#ASMEND
	;;#ASMSTART
	v_pk_mul_f32 v[6:7], v[6:7], v[4:5]
	;;#ASMEND
	;;#ASMSTART
	v_pk_mul_f32 v[4:5], v[32:33], v[4:5]
	;;#ASMEND
	v_cvt_f32_f16_sdwa v21, v26 dst_sel:DWORD dst_unused:UNUSED_PAD src0_sel:WORD_1
	v_cvt_f32_f16_e32 v20, v26
	v_cvt_f32_f16_sdwa v23, v27 dst_sel:DWORD dst_unused:UNUSED_PAD src0_sel:WORD_1
	v_cvt_f32_f16_e32 v22, v27
	;;#ASMSTART
	v_pk_mul_f32 v[16:17], v[8:9], v[12:13]
	;;#ASMEND
	;;#ASMSTART
	v_pk_mul_f32 v[10:11], v[10:11], v[14:15]
	;;#ASMEND
	;; [unrolled: 3-line block ×4, first 2 shown]
	s_or_b64 exec, exec, s[30:31]
	s_mov_b64 s[8:9], -1
	s_and_b64 vcc, exec, s[10:11]
	s_cbranch_vccz .LBB573_15
.LBB573_19:
	s_and_saveexec_b64 s[8:9], s[0:1]
	s_cbranch_execz .LBB573_21
; %bb.20:
	s_mul_hi_i32 s11, s16, s6
	s_mul_i32 s10, s16, s6
	v_cvt_f16_f32_e32 v3, v16
	v_cvt_f16_f32_e32 v4, v10
	;; [unrolled: 1-line block ×8, first 2 shown]
	s_lshl_b64 s[10:11], s[10:11], 1
	s_add_u32 s36, s18, s10
	s_addc_u32 s7, s19, s11
	s_and_b32 s37, s7, 0xffff
	s_mov_b32 s39, 0x20000
	v_pack_b32_f16 v15, v8, v9
	v_pack_b32_f16 v14, v5, v12
	;; [unrolled: 1-line block ×4, first 2 shown]
	v_lshlrev_b32_e32 v3, 4, v0
	buffer_store_dwordx4 v[12:15], v3, s[36:39], 0 offen
	;;#ASMSTART
	s_nop 0
	;;#ASMEND
.LBB573_21:
	s_or_b64 exec, exec, s[8:9]
	s_cbranch_execnz .LBB573_16
.LBB573_22:
	v_mov_b32_e32 v3, 0
	s_and_saveexec_b64 s[8:9], s[0:1]
	s_cbranch_execz .LBB573_24
; %bb.23:
	s_load_dwordx2 s[10:11], s[4:5], 0x10
	s_mul_hi_i32 s31, s15, s6
	s_mul_i32 s30, s15, s6
	v_cvt_f16_f32_e32 v3, v16
	v_cvt_f16_f32_e32 v4, v10
	;; [unrolled: 1-line block ×8, first 2 shown]
	s_lshl_b64 s[30:31], s[30:31], 1
	s_waitcnt lgkmcnt(0)
	s_add_u32 s36, s10, s30
	s_addc_u32 s7, s11, s31
	s_mov_b32 s39, 0x20000
	s_and_b32 s37, s7, 0xffff
	v_pack_b32_f16 v15, v8, v9
	v_pack_b32_f16 v14, v5, v12
	;; [unrolled: 1-line block ×4, first 2 shown]
	v_lshlrev_b32_e32 v3, 4, v0
	buffer_store_dwordx4 v[12:15], v3, s[36:39], 0 offen
	v_mov_b32_e32 v3, 0x2edbe6ff
	;;#ASMSTART
	s_nop 0
	;;#ASMEND
.LBB573_24:
	s_or_b64 exec, exec, s[8:9]
	s_and_saveexec_b64 s[8:9], s[0:1]
	s_cbranch_execz .LBB573_26
; %bb.25:
	v_and_b32_e32 v4, 0x7fffffff, v16
	v_and_b32_e32 v5, 0x7fffffff, v17
	;;#ASMSTART
	v_max3_f32 v3, v3, v4, v5

	;;#ASMEND
	v_and_b32_e32 v4, 0x7fffffff, v10
	v_and_b32_e32 v5, 0x7fffffff, v11
	;;#ASMSTART
	v_max3_f32 v3, v3, v4, v5

	;;#ASMEND
	v_and_b32_e32 v4, 0x7fffffff, v6
	v_and_b32_e32 v5, 0x7fffffff, v7
	;;#ASMSTART
	v_max3_f32 v3, v3, v4, v5

	;;#ASMEND
	v_and_b32_e32 v4, 0x7fffffff, v32
	v_and_b32_e32 v5, 0x7fffffff, v33
	;;#ASMSTART
	v_max3_f32 v3, v3, v4, v5

	;;#ASMEND
.LBB573_26:
	s_or_b64 exec, exec, s[8:9]
	;;#ASMSTART
	v_max_f32 v4, v3, v3 quad_perm:[1,0,3,2] row_mask:0xf bank_mask:0xf bound_ctrl:1
	;;#ASMEND
	;;#ASMSTART
	v_max_f32 v3, v4, v4 quad_perm:[2,3,0,1] row_mask:0xf bank_mask:0xf bound_ctrl:1
	;;#ASMEND
	v_cmp_eq_u32_e32 vcc, 0, v2
	v_cmp_gt_i32_e64 s[8:9], s23, v1
	v_mul_f32_e32 v3, 0x3b124925, v3
	s_and_b64 s[10:11], vcc, s[8:9]
	s_and_saveexec_b64 s[8:9], s[10:11]
	s_cbranch_execz .LBB573_28
; %bb.27:
	s_load_dwordx2 s[10:11], s[4:5], 0x8
	v_lshrrev_b32_e32 v2, 2, v0
	s_mul_hi_i32 s31, s13, s6
	s_mul_i32 s30, s13, s6
	v_mad_i64_i32 v[4:5], s[14:15], s14, v2, 0
	s_lshl_b64 s[14:15], s[30:31], 2
	s_waitcnt lgkmcnt(0)
	s_add_u32 s7, s10, s14
	s_addc_u32 s10, s11, s15
	v_lshlrev_b64 v[4:5], 2, v[4:5]
	v_mov_b32_e32 v2, s10
	v_add_co_u32_e32 v4, vcc, s7, v4
	v_addc_co_u32_e32 v5, vcc, v2, v5, vcc
	global_store_dword v[4:5], v3, off
.LBB573_28:
	s_or_b64 exec, exec, s[8:9]
	;;#ASMSTART
	v_rcp_f32 v2, v3
	;;#ASMEND
	s_and_saveexec_b64 s[14:15], s[0:1]
	s_cbranch_execz .LBB573_30
; %bb.29:
	s_load_dwordx2 s[0:1], s[4:5], 0x0
	s_mul_i32 s8, s12, s6
	v_mov_b32_e32 v3, v2
	;;#ASMSTART
	v_pk_mul_f32 v[4:5], v[16:17], v[2:3]
	;;#ASMEND
	s_mul_hi_i32 s7, s12, s6
	s_waitcnt lgkmcnt(0)
	s_add_u32 s8, s0, s8
	v_mov_b32_e32 v8, 0xc3e00000
	v_mov_b32_e32 v9, 0x43e00000
	;;#ASMSTART
	v_med3_f32 v4, v4, v8, v9
v_med3_f32 v5, v5, v8, v9
v_cvt_pk_fp8_f32 v12, v4, v5
	;;#ASMEND
	s_addc_u32 s0, s1, s7
	;;#ASMSTART
	v_pk_mul_f32 v[4:5], v[10:11], v[2:3]
	;;#ASMEND
	s_and_b32 s9, s0, 0xffff
	;;#ASMSTART
	v_med3_f32 v4, v4, v8, v9
v_med3_f32 v5, v5, v8, v9
v_cvt_pk_fp8_f32 v10, v4, v5
	;;#ASMEND
	s_mov_b32 s0, 0x5040100
	v_perm_b32 v5, v10, v12, s0
	s_movk_i32 s0, 0xff
	v_and_b32_e32 v4, 0xffffff00, v10
	v_and_b32_sdwa v10, v5, s0 dst_sel:DWORD dst_unused:UNUSED_PAD src0_sel:WORD_1 src1_sel:DWORD
	s_mov_b32 s12, 0xffff
	v_or_b32_sdwa v4, v10, v4 dst_sel:WORD_1 dst_unused:UNUSED_PAD src0_sel:DWORD src1_sel:DWORD
	s_add_i32 s1, s23, 3
	v_and_or_b32 v4, v5, s12, v4
	;;#ASMSTART
	v_pk_mul_f32 v[6:7], v[6:7], v[2:3]
	;;#ASMEND
	v_mov_b32_e32 v5, v6
	s_ashr_i32 s7, s1, 31
	;;#ASMSTART
	v_med3_f32 v5, v5, v8, v9
v_med3_f32 v7, v7, v8, v9
v_cvt_pk_fp8_f32 v6, v5, v7
	;;#ASMEND
	;;#ASMSTART
	v_pk_mul_f32 v[2:3], v[32:33], v[2:3]
	;;#ASMEND
	s_lshr_b32 s7, s7, 30
	;;#ASMSTART
	v_med3_f32 v2, v2, v8, v9
v_med3_f32 v3, v3, v8, v9
v_cvt_pk_fp8_f32 v5, v2, v3
	;;#ASMEND
	s_add_i32 s1, s1, s7
	v_lshlrev_b32_e32 v2, 16, v5
	s_and_b32 s10, s1, -4
	s_mov_b32 s11, 0x20000
	v_and_or_b32 v5, v6, s12, v2
	buffer_store_dwordx2 v[4:5], v1, s[8:11], 0 offen
	;;#ASMSTART
	s_nop 0
	;;#ASMEND
.LBB573_30:
	s_or_b64 exec, exec, s[14:15]
	s_cmp_lt_i32 s24, 1
	s_cbranch_scc1 .LBB573_17
.LBB573_31:
	s_load_dword s0, s[4:5], 0x94
	s_waitcnt lgkmcnt(0)
	s_cmp_lg_u32 s0, 1
	s_cbranch_scc1 .LBB573_17
; %bb.32:
	s_lshl_b32 s0, s24, 1
	s_add_i32 s0, s0, 2
	v_cmp_gt_u32_e32 vcc, s24, v1
	s_and_b32 s30, s0, -4
	v_mov_b32_e32 v10, 0
	v_lshlrev_b32_e32 v1, 4, v0
	v_mov_b32_e32 v6, 0
	v_mov_b32_e32 v7, 0
	;; [unrolled: 1-line block ×8, first 2 shown]
	s_barrier
	s_and_saveexec_b64 s[0:1], vcc
	s_cbranch_execz .LBB573_34
; %bb.33:
	s_mul_hi_i32 s5, s26, s6
	s_mul_i32 s4, s26, s6
	s_and_b32 s29, s29, 0xffff
	s_lshl_b64 s[4:5], s[4:5], 1
	s_add_u32 s8, s34, s4
	s_mov_b32 s31, 0x20000
	s_addc_u32 s4, s35, s5
	s_and_b32 s9, s4, 0xffff
	s_mov_b32 s10, s30
	s_mov_b32 s11, s31
	buffer_load_dwordx4 v[6:9], v1, s[8:11], 0 offen glc slc
	buffer_load_dwordx4 v[2:5], v1, s[28:31], 0 offen
.LBB573_34:
	s_or_b64 exec, exec, s[0:1]
	v_mov_b32_e32 v11, 0
	v_mov_b32_e32 v16, 0
	;; [unrolled: 1-line block ×7, first 2 shown]
	s_and_saveexec_b64 s[0:1], vcc
	s_cbranch_execz .LBB573_36
; %bb.35:
	s_waitcnt vmcnt(1)
	v_cvt_f32_f16_sdwa v11, v6 dst_sel:DWORD dst_unused:UNUSED_PAD src0_sel:WORD_1
	v_cvt_f32_f16_e32 v10, v6
	v_cvt_f32_f16_sdwa v17, v7 dst_sel:DWORD dst_unused:UNUSED_PAD src0_sel:WORD_1
	v_cvt_f32_f16_e32 v16, v7
	v_cvt_f32_f16_sdwa v15, v8 dst_sel:DWORD dst_unused:UNUSED_PAD src0_sel:WORD_1
	v_cvt_f32_f16_e32 v14, v8
	v_cvt_f32_f16_sdwa v13, v9 dst_sel:DWORD dst_unused:UNUSED_PAD src0_sel:WORD_1
	v_cvt_f32_f16_e32 v12, v9
.LBB573_36:
	s_or_b64 exec, exec, s[0:1]
	s_waitcnt vmcnt(1)
	v_mul_f32_e32 v6, v11, v11
	v_fmac_f32_e32 v6, v10, v10
	v_fmac_f32_e32 v6, v16, v16
	;; [unrolled: 1-line block ×7, first 2 shown]
	s_nop 1
	v_mov_b32_dpp v7, v6 quad_perm:[1,0,3,2] row_mask:0xf bank_mask:0xf
	v_add_f32_e32 v6, v6, v7
	s_nop 1
	v_mov_b32_dpp v7, v6 quad_perm:[2,3,0,1] row_mask:0xf bank_mask:0xf
	v_add_f32_e32 v6, v6, v7
	s_nop 1
	v_mov_b32_dpp v7, v6 row_half_mirror row_mask:0xf bank_mask:0xf
	v_add_f32_e32 v6, v6, v7
	s_nop 1
	v_mov_b32_dpp v7, v6 row_mirror row_mask:0xf bank_mask:0xf
	v_add_f32_e32 v6, v6, v7
	s_nop 1
	v_mov_b32_dpp v7, v6 row_bcast:15 row_mask:0xf bank_mask:0xf
	v_add_f32_e32 v6, v6, v7
	s_nop 1
	v_mov_b32_dpp v7, v6 row_bcast:31 row_mask:0xf bank_mask:0xf
	s_and_saveexec_b64 s[0:1], s[2:3]
	s_cbranch_execz .LBB573_38
; %bb.37:
	v_lshrrev_b32_e32 v0, 4, v0
	v_add_f32_e32 v6, v6, v7
	v_and_b32_e32 v0, 60, v0
	ds_write_b32 v0, v6
.LBB573_38:
	s_or_b64 exec, exec, s[0:1]
	s_waitcnt lgkmcnt(0)
	s_barrier
	ds_read_b32 v0, v18
	s_waitcnt lgkmcnt(0)
	s_nop 0
	v_mov_b32_dpp v6, v0 quad_perm:[1,0,3,2] row_mask:0xf bank_mask:0xf
	v_add_f32_e32 v0, v0, v6
	s_nop 1
	v_mov_b32_dpp v6, v0 quad_perm:[2,3,0,1] row_mask:0xf bank_mask:0xf
	s_and_saveexec_b64 s[0:1], vcc
	s_cbranch_execz .LBB573_17
; %bb.39:
	v_cvt_f32_u32_e32 v7, s24
	v_add_f32_e32 v0, v0, v6
	s_mov_b32 s31, 0x20000
	v_div_scale_f32 v6, s[0:1], v7, v7, v0
	v_rcp_f32_e32 v8, v6
	v_div_scale_f32 v9, vcc, v0, v7, v0
	s_mov_b32 s0, 0x800000
	v_fma_f32 v18, -v6, v8, 1.0
	v_fmac_f32_e32 v8, v18, v8
	v_mul_f32_e32 v18, v9, v8
	v_fma_f32 v19, -v6, v18, v9
	v_fmac_f32_e32 v18, v19, v8
	v_fma_f32 v6, -v6, v18, v9
	v_div_fmas_f32 v6, v6, v8, v18
	v_div_fixup_f32 v0, v6, v7, v0
	v_add_f32_e32 v0, s21, v0
	v_mul_f32_e32 v6, 0x4b800000, v0
	v_cmp_gt_f32_e32 vcc, s0, v0
	v_cndmask_b32_e32 v0, v0, v6, vcc
	v_rsq_f32_e32 v0, v0
	s_waitcnt vmcnt(0)
	v_cvt_f32_f16_sdwa v19, v5 dst_sel:DWORD dst_unused:UNUSED_PAD src0_sel:WORD_1
	v_cvt_f32_f16_e32 v18, v5
	s_mul_hi_i32 s1, s16, s6
	v_mul_f32_e32 v6, 0x45800000, v0
	v_cndmask_b32_e32 v6, v0, v6, vcc
	v_mov_b32_e32 v7, v6
	;;#ASMSTART
	v_pk_mul_f32 v[8:9], v[10:11], v[6:7]
	;;#ASMEND
	;;#ASMSTART
	v_pk_mul_f32 v[10:11], v[16:17], v[6:7]
	;;#ASMEND
	;; [unrolled: 3-line block ×4, first 2 shown]
	v_cvt_f32_f16_sdwa v13, v2 dst_sel:DWORD dst_unused:UNUSED_PAD src0_sel:WORD_1
	v_cvt_f32_f16_e32 v12, v2
	v_cvt_f32_f16_sdwa v17, v3 dst_sel:DWORD dst_unused:UNUSED_PAD src0_sel:WORD_1
	v_cvt_f32_f16_e32 v16, v3
	;; [unrolled: 2-line block ×3, first 2 shown]
	;;#ASMSTART
	v_pk_mul_f32 v[4:5], v[8:9], v[12:13]
	;;#ASMEND
	;;#ASMSTART
	v_pk_mul_f32 v[8:9], v[10:11], v[16:17]
	;;#ASMEND
	;; [unrolled: 3-line block ×4, first 2 shown]
	s_mul_i32 s0, s16, s6
	v_cvt_f16_f32_e32 v0, v4
	v_cvt_f16_f32_e32 v4, v5
	;; [unrolled: 1-line block ×8, first 2 shown]
	s_lshl_b64 s[0:1], s[0:1], 1
	s_add_u32 s28, s18, s0
	s_addc_u32 s0, s19, s1
	s_and_b32 s29, s0, 0xffff
	v_pack_b32_f16 v2, v0, v4
	v_pack_b32_f16 v3, v5, v8
	;; [unrolled: 1-line block ×4, first 2 shown]
	buffer_store_dwordx4 v[2:5], v1, s[28:31], 0 offen
	;;#ASMSTART
	s_nop 0
	;;#ASMEND
	s_endpgm
	.section	.rodata,"a",@progbits
	.p2align	6, 0x0
	.amdhsa_kernel _ZN5aiter35fused_qk_rmsnorm_group_quant_kernelIDF16_DB8_Li256ELi8ELi4ELb1ELb1ELb0ELb0ELb0ELb0EEEvPT0_PvPT_S6_S6_PKS5_S8_S8_S8_S8_ffiiiiiiiiiiiii
		.amdhsa_group_segment_fixed_size 32
		.amdhsa_private_segment_fixed_size 0
		.amdhsa_kernarg_size 400
		.amdhsa_user_sgpr_count 6
		.amdhsa_user_sgpr_private_segment_buffer 1
		.amdhsa_user_sgpr_dispatch_ptr 0
		.amdhsa_user_sgpr_queue_ptr 0
		.amdhsa_user_sgpr_kernarg_segment_ptr 1
		.amdhsa_user_sgpr_dispatch_id 0
		.amdhsa_user_sgpr_flat_scratch_init 0
		.amdhsa_user_sgpr_kernarg_preload_length 0
		.amdhsa_user_sgpr_kernarg_preload_offset 0
		.amdhsa_user_sgpr_private_segment_size 0
		.amdhsa_uses_dynamic_stack 0
		.amdhsa_system_sgpr_private_segment_wavefront_offset 0
		.amdhsa_system_sgpr_workgroup_id_x 1
		.amdhsa_system_sgpr_workgroup_id_y 1
		.amdhsa_system_sgpr_workgroup_id_z 0
		.amdhsa_system_sgpr_workgroup_info 0
		.amdhsa_system_vgpr_workitem_id 0
		.amdhsa_next_free_vgpr 34
		.amdhsa_next_free_sgpr 44
		.amdhsa_accum_offset 36
		.amdhsa_reserve_vcc 1
		.amdhsa_reserve_flat_scratch 0
		.amdhsa_float_round_mode_32 0
		.amdhsa_float_round_mode_16_64 0
		.amdhsa_float_denorm_mode_32 3
		.amdhsa_float_denorm_mode_16_64 3
		.amdhsa_dx10_clamp 1
		.amdhsa_ieee_mode 1
		.amdhsa_fp16_overflow 0
		.amdhsa_tg_split 0
		.amdhsa_exception_fp_ieee_invalid_op 0
		.amdhsa_exception_fp_denorm_src 0
		.amdhsa_exception_fp_ieee_div_zero 0
		.amdhsa_exception_fp_ieee_overflow 0
		.amdhsa_exception_fp_ieee_underflow 0
		.amdhsa_exception_fp_ieee_inexact 0
		.amdhsa_exception_int_div_zero 0
	.end_amdhsa_kernel
	.section	.text._ZN5aiter35fused_qk_rmsnorm_group_quant_kernelIDF16_DB8_Li256ELi8ELi4ELb1ELb1ELb0ELb0ELb0ELb0EEEvPT0_PvPT_S6_S6_PKS5_S8_S8_S8_S8_ffiiiiiiiiiiiii,"axG",@progbits,_ZN5aiter35fused_qk_rmsnorm_group_quant_kernelIDF16_DB8_Li256ELi8ELi4ELb1ELb1ELb0ELb0ELb0ELb0EEEvPT0_PvPT_S6_S6_PKS5_S8_S8_S8_S8_ffiiiiiiiiiiiii,comdat
.Lfunc_end573:
	.size	_ZN5aiter35fused_qk_rmsnorm_group_quant_kernelIDF16_DB8_Li256ELi8ELi4ELb1ELb1ELb0ELb0ELb0ELb0EEEvPT0_PvPT_S6_S6_PKS5_S8_S8_S8_S8_ffiiiiiiiiiiiii, .Lfunc_end573-_ZN5aiter35fused_qk_rmsnorm_group_quant_kernelIDF16_DB8_Li256ELi8ELi4ELb1ELb1ELb0ELb0ELb0ELb0EEEvPT0_PvPT_S6_S6_PKS5_S8_S8_S8_S8_ffiiiiiiiiiiiii
                                        ; -- End function
	.section	.AMDGPU.csdata,"",@progbits
; Kernel info:
; codeLenInByte = 2980
; NumSgprs: 48
; NumVgprs: 34
; NumAgprs: 0
; TotalNumVgprs: 34
; ScratchSize: 0
; MemoryBound: 0
; FloatMode: 240
; IeeeMode: 1
; LDSByteSize: 32 bytes/workgroup (compile time only)
; SGPRBlocks: 5
; VGPRBlocks: 4
; NumSGPRsForWavesPerEU: 48
; NumVGPRsForWavesPerEU: 34
; AccumOffset: 36
; Occupancy: 8
; WaveLimiterHint : 0
; COMPUTE_PGM_RSRC2:SCRATCH_EN: 0
; COMPUTE_PGM_RSRC2:USER_SGPR: 6
; COMPUTE_PGM_RSRC2:TRAP_HANDLER: 0
; COMPUTE_PGM_RSRC2:TGID_X_EN: 1
; COMPUTE_PGM_RSRC2:TGID_Y_EN: 1
; COMPUTE_PGM_RSRC2:TGID_Z_EN: 0
; COMPUTE_PGM_RSRC2:TIDIG_COMP_CNT: 0
; COMPUTE_PGM_RSRC3_GFX90A:ACCUM_OFFSET: 8
; COMPUTE_PGM_RSRC3_GFX90A:TG_SPLIT: 0
	.section	.text._ZN5aiter35fused_qk_rmsnorm_group_quant_kernelItDB8_Li256ELi8ELi4ELb1ELb1ELb0ELb0ELb0ELb0EEEvPT0_PvPT_S6_S6_PKS5_S8_S8_S8_S8_ffiiiiiiiiiiiii,"axG",@progbits,_ZN5aiter35fused_qk_rmsnorm_group_quant_kernelItDB8_Li256ELi8ELi4ELb1ELb1ELb0ELb0ELb0ELb0EEEvPT0_PvPT_S6_S6_PKS5_S8_S8_S8_S8_ffiiiiiiiiiiiii,comdat
	.protected	_ZN5aiter35fused_qk_rmsnorm_group_quant_kernelItDB8_Li256ELi8ELi4ELb1ELb1ELb0ELb0ELb0ELb0EEEvPT0_PvPT_S6_S6_PKS5_S8_S8_S8_S8_ffiiiiiiiiiiiii ; -- Begin function _ZN5aiter35fused_qk_rmsnorm_group_quant_kernelItDB8_Li256ELi8ELi4ELb1ELb1ELb0ELb0ELb0ELb0EEEvPT0_PvPT_S6_S6_PKS5_S8_S8_S8_S8_ffiiiiiiiiiiiii
	.globl	_ZN5aiter35fused_qk_rmsnorm_group_quant_kernelItDB8_Li256ELi8ELi4ELb1ELb1ELb0ELb0ELb0ELb0EEEvPT0_PvPT_S6_S6_PKS5_S8_S8_S8_S8_ffiiiiiiiiiiiii
	.p2align	8
	.type	_ZN5aiter35fused_qk_rmsnorm_group_quant_kernelItDB8_Li256ELi8ELi4ELb1ELb1ELb0ELb0ELb0ELb0EEEvPT0_PvPT_S6_S6_PKS5_S8_S8_S8_S8_ffiiiiiiiiiiiii,@function
_ZN5aiter35fused_qk_rmsnorm_group_quant_kernelItDB8_Li256ELi8ELi4ELb1ELb1ELb0ELb0ELb0ELb0EEEvPT0_PvPT_S6_S6_PKS5_S8_S8_S8_S8_ffiiiiiiiiiiiii: ; @_ZN5aiter35fused_qk_rmsnorm_group_quant_kernelItDB8_Li256ELi8ELi4ELb1ELb1ELb0ELb0ELb0ELb0EEEvPT0_PvPT_S6_S6_PKS5_S8_S8_S8_S8_ffiiiiiiiiiiiii
; %bb.0:
	s_load_dwordx8 s[20:27], s[4:5], 0x50
	s_waitcnt lgkmcnt(0)
	s_cmp_ge_i32 s6, s22
	s_cbranch_scc1 .LBB574_17
; %bb.1:
	s_cmp_lg_u32 s7, 0
	s_cselect_b64 s[10:11], -1, 0
	s_cmp_eq_u32 s7, 0
	s_cselect_b64 s[8:9], -1, 0
	s_and_b64 s[0:1], s[8:9], exec
	s_load_dwordx2 s[28:29], s[4:5], 0x48
	s_load_dwordx2 s[34:35], s[4:5], 0x30
	s_load_dwordx8 s[12:19], s[4:5], 0x70
	s_cselect_b32 s7, s23, s24
	s_add_i32 s0, s7, 1
	s_lshr_b32 s1, s0, 31
	s_add_i32 s0, s0, s1
	s_lshl_b32 s0, s0, 1
	v_lshlrev_b32_e32 v1, 3, v0
	s_and_b32 s38, s0, -4
	v_cmp_gt_i32_e64 s[0:1], s7, v1
	v_mov_b32_e32 v10, 0
	v_mov_b32_e32 v11, 0
	v_mov_b32_e32 v12, 0
	v_mov_b32_e32 v13, 0
	v_mov_b32_e32 v14, 0
	v_mov_b32_e32 v15, 0
	v_mov_b32_e32 v16, 0
	v_mov_b32_e32 v17, 0
	s_and_saveexec_b64 s[2:3], s[0:1]
	s_cbranch_execz .LBB574_3
; %bb.2:
	s_waitcnt lgkmcnt(0)
	s_load_dwordx2 s[18:19], s[4:5], 0x28
	s_load_dwordx2 s[30:31], s[4:5], 0x40
	s_and_b64 s[36:37], s[8:9], exec
	s_cselect_b32 s22, s25, s26
	s_mov_b32 s39, 0x20000
	s_waitcnt lgkmcnt(0)
	s_cselect_b32 s25, s19, s35
	s_cselect_b32 s33, s18, s34
	s_mul_hi_i32 s19, s22, s6
	s_mul_i32 s18, s22, s6
	s_lshl_b64 s[18:19], s[18:19], 1
	s_add_u32 s40, s33, s18
	s_addc_u32 s22, s25, s19
	s_and_b64 s[18:19], s[8:9], exec
	s_cselect_b32 s36, s30, s28
	s_cselect_b32 s18, s31, s29
	v_lshlrev_b32_e32 v2, 4, v0
	s_and_b32 s41, s22, 0xffff
	s_mov_b32 s42, s38
	s_mov_b32 s43, s39
	s_and_b32 s37, s18, 0xffff
	buffer_load_dwordx4 v[14:17], v2, s[40:43], 0 offen glc slc
	buffer_load_dwordx4 v[10:13], v2, s[36:39], 0 offen
.LBB574_3:
	s_or_b64 exec, exec, s[2:3]
	s_and_b64 vcc, exec, s[10:11]
	s_cbranch_vccz .LBB574_7
; %bb.4:
	s_mov_b32 s40, 0
	s_mov_b32 s41, s40
	;; [unrolled: 1-line block ×8, first 2 shown]
	v_pk_mov_b32 v[2:3], s[40:41], s[40:41] op_sel:[0,1]
	v_pk_mov_b32 v[4:5], s[42:43], s[42:43] op_sel:[0,1]
	;; [unrolled: 1-line block ×4, first 2 shown]
	s_and_saveexec_b64 s[2:3], s[0:1]
	s_cbranch_execz .LBB574_6
; %bb.5:
	s_waitcnt vmcnt(1)
	v_cvt_f32_u32_sdwa v3, v14 dst_sel:DWORD dst_unused:UNUSED_PAD src0_sel:WORD_1
	v_cvt_f32_u32_sdwa v2, v14 dst_sel:DWORD dst_unused:UNUSED_PAD src0_sel:WORD_0
	v_cvt_f32_u32_sdwa v5, v15 dst_sel:DWORD dst_unused:UNUSED_PAD src0_sel:WORD_1
	v_cvt_f32_u32_sdwa v4, v15 dst_sel:DWORD dst_unused:UNUSED_PAD src0_sel:WORD_0
	;; [unrolled: 2-line block ×4, first 2 shown]
.LBB574_6:
	s_or_b64 exec, exec, s[2:3]
	s_cbranch_execz .LBB574_8
	s_branch .LBB574_11
.LBB574_7:
                                        ; implicit-def: $vgpr2_vgpr3_vgpr4_vgpr5_vgpr6_vgpr7_vgpr8_vgpr9
.LBB574_8:
	s_mov_b32 s40, 0
	s_mov_b32 s41, s40
	;; [unrolled: 1-line block ×8, first 2 shown]
	v_pk_mov_b32 v[2:3], s[40:41], s[40:41] op_sel:[0,1]
	v_pk_mov_b32 v[4:5], s[42:43], s[42:43] op_sel:[0,1]
	;; [unrolled: 1-line block ×4, first 2 shown]
	s_and_saveexec_b64 s[2:3], s[0:1]
	s_cbranch_execz .LBB574_10
; %bb.9:
	s_waitcnt lgkmcnt(0)
	s_load_dwordx2 s[18:19], s[4:5], 0x38
	s_mul_hi_i32 s31, s27, s6
	s_mul_i32 s30, s27, s6
	s_lshl_b64 s[30:31], s[30:31], 1
	s_mov_b32 s39, 0x20000
	s_waitcnt lgkmcnt(0)
	s_add_u32 s36, s18, s30
	s_addc_u32 s18, s19, s31
	s_and_b32 s37, s18, 0xffff
	v_lshlrev_b32_e32 v26, 4, v0
	buffer_load_dwordx4 v[2:5], v26, s[36:39], 0 offen glc slc
	s_load_dwordx2 s[18:19], s[4:5], 0x20
	s_waitcnt vmcnt(2)
	v_cvt_f32_u32_sdwa v7, v14 dst_sel:DWORD dst_unused:UNUSED_PAD src0_sel:WORD_1
	v_cvt_f32_u32_sdwa v6, v14 dst_sel:DWORD dst_unused:UNUSED_PAD src0_sel:WORD_0
	v_cvt_f32_u32_sdwa v9, v15 dst_sel:DWORD dst_unused:UNUSED_PAD src0_sel:WORD_1
	v_cvt_f32_u32_sdwa v8, v15 dst_sel:DWORD dst_unused:UNUSED_PAD src0_sel:WORD_0
	;; [unrolled: 2-line block ×4, first 2 shown]
	s_mul_hi_i32 s31, s17, s6
	s_mul_i32 s30, s17, s6
	s_lshl_b64 s[30:31], s[30:31], 1
	s_waitcnt lgkmcnt(0)
	s_add_u32 s36, s18, s30
	s_mov_b32 s17, 0x7060302
	s_addc_u32 s18, s19, s31
	s_and_b32 s37, s18, 0xffff
	s_waitcnt vmcnt(0)
	v_cvt_f32_u32_sdwa v17, v2 dst_sel:DWORD dst_unused:UNUSED_PAD src0_sel:WORD_1
	v_cvt_f32_u32_sdwa v16, v2 dst_sel:DWORD dst_unused:UNUSED_PAD src0_sel:WORD_0
	v_cvt_f32_u32_sdwa v21, v3 dst_sel:DWORD dst_unused:UNUSED_PAD src0_sel:WORD_1
	v_cvt_f32_u32_sdwa v20, v3 dst_sel:DWORD dst_unused:UNUSED_PAD src0_sel:WORD_0
	;; [unrolled: 2-line block ×4, first 2 shown]
	v_pk_add_f32 v[2:3], v[6:7], v[16:17]
	v_pk_add_f32 v[4:5], v[8:9], v[20:21]
	;; [unrolled: 1-line block ×4, first 2 shown]
	v_perm_b32 v17, v9, v8, s17
	v_perm_b32 v16, v7, v6, s17
	;; [unrolled: 1-line block ×4, first 2 shown]
	buffer_store_dwordx4 v[14:17], v26, s[36:39], 0 offen glc slc
	;;#ASMSTART
	s_nop 0
	;;#ASMEND
.LBB574_10:
	s_or_b64 exec, exec, s[2:3]
.LBB574_11:
	s_waitcnt vmcnt(1)
	v_mul_f32_e32 v14, v3, v3
	v_fmac_f32_e32 v14, v2, v2
	v_fmac_f32_e32 v14, v4, v4
	;; [unrolled: 1-line block ×7, first 2 shown]
	v_and_b32_e32 v16, 63, v0
	v_cmp_eq_u32_e64 s[2:3], 63, v16
	v_mov_b32_dpp v15, v14 quad_perm:[1,0,3,2] row_mask:0xf bank_mask:0xf
	v_add_f32_e32 v14, v14, v15
	s_nop 1
	v_mov_b32_dpp v15, v14 quad_perm:[2,3,0,1] row_mask:0xf bank_mask:0xf
	v_add_f32_e32 v14, v14, v15
	s_nop 1
	v_mov_b32_dpp v15, v14 row_half_mirror row_mask:0xf bank_mask:0xf
	v_add_f32_e32 v14, v14, v15
	s_nop 1
	v_mov_b32_dpp v15, v14 row_mirror row_mask:0xf bank_mask:0xf
	v_add_f32_e32 v14, v14, v15
	s_nop 1
	v_mov_b32_dpp v15, v14 row_bcast:15 row_mask:0xf bank_mask:0xf
	v_add_f32_e32 v14, v14, v15
	s_nop 1
	v_mov_b32_dpp v15, v14 row_bcast:31 row_mask:0xf bank_mask:0xf
	s_waitcnt lgkmcnt(0)
	s_and_saveexec_b64 s[18:19], s[2:3]
	s_cbranch_execz .LBB574_13
; %bb.12:
	v_add_f32_e32 v14, v14, v15
	v_lshrrev_b32_e32 v15, 4, v0
	v_and_b32_e32 v15, 60, v15
	ds_write_b32 v15, v14 offset:16
.LBB574_13:
	s_or_b64 exec, exec, s[18:19]
	v_and_b32_e32 v15, 3, v0
	v_lshlrev_b32_e32 v14, 2, v15
	s_waitcnt lgkmcnt(0)
	s_barrier
	ds_read_b32 v16, v14 offset:16
	s_load_dwordx2 s[18:19], s[4:5], 0x18
	s_waitcnt lgkmcnt(0)
	v_mov_b32_dpp v17, v16 quad_perm:[1,0,3,2] row_mask:0xf bank_mask:0xf
	v_add_f32_e32 v16, v16, v17
	s_nop 1
	v_mov_b32_dpp v17, v16 quad_perm:[2,3,0,1] row_mask:0xf bank_mask:0xf
	s_and_saveexec_b64 s[30:31], s[0:1]
	s_cbranch_execnz .LBB574_18
; %bb.14:
	s_or_b64 exec, exec, s[30:31]
	s_mov_b64 s[8:9], -1
	s_and_b64 vcc, exec, s[10:11]
	s_cbranch_vccnz .LBB574_19
.LBB574_15:
	s_andn2_b64 vcc, exec, s[8:9]
	s_cbranch_vccz .LBB574_22
.LBB574_16:
	s_cmp_lt_i32 s24, 1
	s_cbranch_scc0 .LBB574_31
.LBB574_17:
	s_endpgm
.LBB574_18:
	v_cvt_f32_u32_e32 v18, s7
	v_add_f32_e32 v16, v16, v17
	v_mov_b32_e32 v20, s21
	v_mov_b32_e32 v21, s20
	v_div_scale_f32 v17, s[36:37], v18, v18, v16
	v_rcp_f32_e32 v19, v17
	v_cndmask_b32_e64 v20, v20, v21, s[8:9]
	s_mov_b32 s7, 0x800000
	v_fma_f32 v21, -v17, v19, 1.0
	v_fmac_f32_e32 v19, v21, v19
	v_div_scale_f32 v21, vcc, v16, v18, v16
	v_mul_f32_e32 v22, v21, v19
	v_fma_f32 v23, -v17, v22, v21
	v_fmac_f32_e32 v22, v23, v19
	v_fma_f32 v17, -v17, v22, v21
	v_div_fmas_f32 v17, v17, v19, v22
	v_div_fixup_f32 v16, v17, v18, v16
	v_add_f32_e32 v16, v20, v16
	v_mul_f32_e32 v17, 0x4b800000, v16
	v_cmp_gt_f32_e32 vcc, s7, v16
	v_cndmask_b32_e32 v16, v16, v17, vcc
	v_rsq_f32_e32 v16, v16
	s_waitcnt vmcnt(0)
	v_cvt_f32_u32_sdwa v19, v11 dst_sel:DWORD dst_unused:UNUSED_PAD src0_sel:WORD_1
	v_cvt_f32_u32_sdwa v18, v11 dst_sel:DWORD dst_unused:UNUSED_PAD src0_sel:WORD_0
	v_cvt_f32_u32_sdwa v11, v12 dst_sel:DWORD dst_unused:UNUSED_PAD src0_sel:WORD_1
	v_mul_f32_e32 v17, 0x45800000, v16
	v_cndmask_b32_e32 v16, v16, v17, vcc
	v_mov_b32_e32 v17, v16
	;;#ASMSTART
	v_pk_mul_f32 v[2:3], v[2:3], v[16:17]
	;;#ASMEND
	;;#ASMSTART
	v_pk_mul_f32 v[4:5], v[4:5], v[16:17]
	;;#ASMEND
	;; [unrolled: 3-line block ×4, first 2 shown]
	v_cvt_f32_u32_sdwa v17, v10 dst_sel:DWORD dst_unused:UNUSED_PAD src0_sel:WORD_1
	v_cvt_f32_u32_sdwa v16, v10 dst_sel:DWORD dst_unused:UNUSED_PAD src0_sel:WORD_0
	v_cvt_f32_u32_sdwa v10, v12 dst_sel:DWORD dst_unused:UNUSED_PAD src0_sel:WORD_0
	v_cvt_f32_u32_sdwa v21, v13 dst_sel:DWORD dst_unused:UNUSED_PAD src0_sel:WORD_1
	v_cvt_f32_u32_sdwa v20, v13 dst_sel:DWORD dst_unused:UNUSED_PAD src0_sel:WORD_0
	;;#ASMSTART
	v_pk_mul_f32 v[2:3], v[2:3], v[16:17]
	;;#ASMEND
	;;#ASMSTART
	v_pk_mul_f32 v[4:5], v[4:5], v[18:19]
	;;#ASMEND
	;; [unrolled: 3-line block ×4, first 2 shown]
	s_or_b64 exec, exec, s[30:31]
	s_mov_b64 s[8:9], -1
	s_and_b64 vcc, exec, s[10:11]
	s_cbranch_vccz .LBB574_15
.LBB574_19:
	s_and_saveexec_b64 s[8:9], s[0:1]
	s_cbranch_execz .LBB574_21
; %bb.20:
	s_mul_hi_i32 s11, s16, s6
	s_mul_i32 s10, s16, s6
	s_lshl_b64 s[10:11], s[10:11], 1
	s_add_u32 s36, s18, s10
	s_addc_u32 s7, s19, s11
	s_and_b32 s37, s7, 0xffff
	s_mov_b32 s7, 0x7060302
	s_mov_b32 s39, 0x20000
	s_waitcnt vmcnt(0)
	v_perm_b32 v10, v3, v2, s7
	v_perm_b32 v11, v5, v4, s7
	;; [unrolled: 1-line block ×4, first 2 shown]
	v_lshlrev_b32_e32 v16, 4, v0
	buffer_store_dwordx4 v[10:13], v16, s[36:39], 0 offen
	;;#ASMSTART
	s_nop 0
	;;#ASMEND
.LBB574_21:
	s_or_b64 exec, exec, s[8:9]
	s_cbranch_execnz .LBB574_16
.LBB574_22:
	s_waitcnt vmcnt(0)
	v_mov_b32_e32 v10, 0
	s_and_saveexec_b64 s[8:9], s[0:1]
	s_cbranch_execz .LBB574_24
; %bb.23:
	s_load_dwordx2 s[10:11], s[4:5], 0x10
	s_mul_hi_i32 s31, s15, s6
	s_mul_i32 s30, s15, s6
	s_lshl_b64 s[30:31], s[30:31], 1
	s_mov_b32 s39, 0x20000
	s_waitcnt lgkmcnt(0)
	s_add_u32 s36, s10, s30
	s_addc_u32 s7, s11, s31
	s_and_b32 s37, s7, 0xffff
	s_mov_b32 s7, 0x7060302
	v_perm_b32 v10, v3, v2, s7
	v_perm_b32 v11, v5, v4, s7
	;; [unrolled: 1-line block ×4, first 2 shown]
	v_lshlrev_b32_e32 v16, 4, v0
	buffer_store_dwordx4 v[10:13], v16, s[36:39], 0 offen
	;;#ASMSTART
	s_nop 0
	;;#ASMEND
	s_nop 0
	v_mov_b32_e32 v10, 0x2edbe6ff
.LBB574_24:
	s_or_b64 exec, exec, s[8:9]
	s_and_saveexec_b64 s[8:9], s[0:1]
	s_cbranch_execz .LBB574_26
; %bb.25:
	v_and_b32_e32 v11, 0x7fffffff, v2
	v_and_b32_e32 v12, 0x7fffffff, v3
	;;#ASMSTART
	v_max3_f32 v10, v10, v11, v12

	;;#ASMEND
	v_and_b32_e32 v11, 0x7fffffff, v4
	v_and_b32_e32 v12, 0x7fffffff, v5
	;;#ASMSTART
	v_max3_f32 v10, v10, v11, v12

	;;#ASMEND
	;; [unrolled: 6-line block ×4, first 2 shown]
.LBB574_26:
	s_or_b64 exec, exec, s[8:9]
	;;#ASMSTART
	v_max_f32 v11, v10, v10 quad_perm:[1,0,3,2] row_mask:0xf bank_mask:0xf bound_ctrl:1
	;;#ASMEND
	;;#ASMSTART
	v_max_f32 v10, v11, v11 quad_perm:[2,3,0,1] row_mask:0xf bank_mask:0xf bound_ctrl:1
	;;#ASMEND
	v_cmp_eq_u32_e32 vcc, 0, v15
	v_cmp_gt_i32_e64 s[8:9], s23, v1
	v_mul_f32_e32 v10, 0x3b124925, v10
	s_and_b64 s[10:11], vcc, s[8:9]
	s_and_saveexec_b64 s[8:9], s[10:11]
	s_cbranch_execz .LBB574_28
; %bb.27:
	s_load_dwordx2 s[10:11], s[4:5], 0x8
	v_lshrrev_b32_e32 v11, 2, v0
	s_mul_hi_i32 s31, s13, s6
	s_mul_i32 s30, s13, s6
	v_mad_i64_i32 v[12:13], s[14:15], s14, v11, 0
	s_lshl_b64 s[14:15], s[30:31], 2
	s_waitcnt lgkmcnt(0)
	s_add_u32 s7, s10, s14
	s_addc_u32 s10, s11, s15
	v_lshlrev_b64 v[12:13], 2, v[12:13]
	v_mov_b32_e32 v11, s10
	v_add_co_u32_e32 v12, vcc, s7, v12
	v_addc_co_u32_e32 v13, vcc, v11, v13, vcc
	global_store_dword v[12:13], v10, off
.LBB574_28:
	s_or_b64 exec, exec, s[8:9]
	;;#ASMSTART
	v_rcp_f32 v10, v10
	;;#ASMEND
	s_and_saveexec_b64 s[14:15], s[0:1]
	s_cbranch_execz .LBB574_30
; %bb.29:
	s_load_dwordx2 s[0:1], s[4:5], 0x0
	s_mul_i32 s8, s12, s6
	v_mov_b32_e32 v11, v10
	;;#ASMSTART
	v_pk_mul_f32 v[2:3], v[2:3], v[10:11]
	;;#ASMEND
	s_mul_hi_i32 s7, s12, s6
	s_waitcnt lgkmcnt(0)
	s_add_u32 s8, s0, s8
	v_mov_b32_e32 v12, 0xc3e00000
	v_mov_b32_e32 v13, 0x43e00000
	;;#ASMSTART
	v_med3_f32 v2, v2, v12, v13
v_med3_f32 v3, v3, v12, v13
v_cvt_pk_fp8_f32 v15, v2, v3
	;;#ASMEND
	s_addc_u32 s0, s1, s7
	;;#ASMSTART
	v_pk_mul_f32 v[2:3], v[4:5], v[10:11]
	;;#ASMEND
	s_and_b32 s9, s0, 0xffff
	;;#ASMSTART
	v_med3_f32 v2, v2, v12, v13
v_med3_f32 v3, v3, v12, v13
v_cvt_pk_fp8_f32 v4, v2, v3
	;;#ASMEND
	s_mov_b32 s0, 0x5040100
	v_perm_b32 v3, v4, v15, s0
	s_movk_i32 s0, 0xff
	v_and_b32_e32 v2, 0xffffff00, v4
	v_and_b32_sdwa v4, v3, s0 dst_sel:DWORD dst_unused:UNUSED_PAD src0_sel:WORD_1 src1_sel:DWORD
	s_mov_b32 s12, 0xffff
	v_or_b32_sdwa v2, v4, v2 dst_sel:WORD_1 dst_unused:UNUSED_PAD src0_sel:DWORD src1_sel:DWORD
	v_and_or_b32 v2, v3, s12, v2
	;;#ASMSTART
	v_pk_mul_f32 v[4:5], v[6:7], v[10:11]
	;;#ASMEND
	v_mov_b32_e32 v3, v5
	s_add_i32 s1, s23, 3
	;;#ASMSTART
	v_med3_f32 v4, v4, v12, v13
v_med3_f32 v3, v3, v12, v13
v_cvt_pk_fp8_f32 v6, v4, v3
	;;#ASMEND
	s_ashr_i32 s7, s1, 31
	;;#ASMSTART
	v_pk_mul_f32 v[4:5], v[8:9], v[10:11]
	;;#ASMEND
	v_mov_b32_e32 v3, v5
	s_lshr_b32 s7, s7, 30
	;;#ASMSTART
	v_med3_f32 v4, v4, v12, v13
v_med3_f32 v3, v3, v12, v13
v_cvt_pk_fp8_f32 v5, v4, v3
	;;#ASMEND
	s_add_i32 s1, s1, s7
	v_lshlrev_b32_e32 v3, 16, v5
	s_and_b32 s10, s1, -4
	s_mov_b32 s11, 0x20000
	v_and_or_b32 v3, v6, s12, v3
	buffer_store_dwordx2 v[2:3], v1, s[8:11], 0 offen
	;;#ASMSTART
	s_nop 0
	;;#ASMEND
.LBB574_30:
	s_or_b64 exec, exec, s[14:15]
	s_cmp_lt_i32 s24, 1
	s_cbranch_scc1 .LBB574_17
.LBB574_31:
	s_load_dword s0, s[4:5], 0x94
	s_waitcnt lgkmcnt(0)
	s_cmp_lg_u32 s0, 1
	s_cbranch_scc1 .LBB574_17
; %bb.32:
	s_lshl_b32 s0, s24, 1
	s_add_i32 s0, s0, 2
	v_cmp_gt_u32_e32 vcc, s24, v1
	s_and_b32 s30, s0, -4
	v_mov_b32_e32 v6, 0
	v_lshlrev_b32_e32 v1, 4, v0
	v_mov_b32_e32 v7, 0
	v_mov_b32_e32 v8, 0
	;; [unrolled: 1-line block ×7, first 2 shown]
	s_barrier
	s_and_saveexec_b64 s[0:1], vcc
	s_cbranch_execz .LBB574_34
; %bb.33:
	s_mul_hi_i32 s5, s26, s6
	s_mul_i32 s4, s26, s6
	s_and_b32 s29, s29, 0xffff
	s_lshl_b64 s[4:5], s[4:5], 1
	s_add_u32 s8, s34, s4
	s_mov_b32 s31, 0x20000
	s_addc_u32 s4, s35, s5
	s_and_b32 s9, s4, 0xffff
	s_mov_b32 s10, s30
	s_mov_b32 s11, s31
	buffer_load_dwordx4 v[6:9], v1, s[8:11], 0 offen glc slc
	buffer_load_dwordx4 v[2:5], v1, s[28:31], 0 offen
.LBB574_34:
	s_or_b64 exec, exec, s[0:1]
	s_waitcnt vmcnt(0)
	v_cvt_f32_u32_sdwa v13, v6 dst_sel:DWORD dst_unused:UNUSED_PAD src0_sel:WORD_1
	v_cvt_f32_u32_sdwa v12, v6 dst_sel:DWORD dst_unused:UNUSED_PAD src0_sel:WORD_0
	v_cvt_f32_u32_sdwa v6, v9 dst_sel:DWORD dst_unused:UNUSED_PAD src0_sel:WORD_1
	v_cvt_f32_u32_sdwa v9, v9 dst_sel:DWORD dst_unused:UNUSED_PAD src0_sel:WORD_0
	;; [unrolled: 2-line block ×4, first 2 shown]
	v_cndmask_b32_e32 v13, 0, v13, vcc
	v_cndmask_b32_e32 v7, 0, v6, vcc
	;; [unrolled: 1-line block ×5, first 2 shown]
	v_mul_f32_e32 v15, v13, v13
	v_cndmask_b32_e32 v10, 0, v10, vcc
	v_fmac_f32_e32 v15, v12, v12
	v_cndmask_b32_e32 v11, 0, v11, vcc
	v_fmac_f32_e32 v15, v10, v10
	;; [unrolled: 2-line block ×3, first 2 shown]
	v_fmac_f32_e32 v15, v8, v8
	v_fmac_f32_e32 v15, v9, v9
	;; [unrolled: 1-line block ×4, first 2 shown]
	s_nop 1
	v_mov_b32_dpp v16, v15 quad_perm:[1,0,3,2] row_mask:0xf bank_mask:0xf
	v_add_f32_e32 v15, v15, v16
	s_nop 1
	v_mov_b32_dpp v16, v15 quad_perm:[2,3,0,1] row_mask:0xf bank_mask:0xf
	v_add_f32_e32 v15, v15, v16
	s_nop 1
	v_mov_b32_dpp v16, v15 row_half_mirror row_mask:0xf bank_mask:0xf
	v_add_f32_e32 v15, v15, v16
	s_nop 1
	v_mov_b32_dpp v16, v15 row_mirror row_mask:0xf bank_mask:0xf
	v_add_f32_e32 v15, v15, v16
	s_nop 1
	v_mov_b32_dpp v16, v15 row_bcast:15 row_mask:0xf bank_mask:0xf
	v_add_f32_e32 v15, v15, v16
	s_nop 1
	v_mov_b32_dpp v16, v15 row_bcast:31 row_mask:0xf bank_mask:0xf
	s_and_saveexec_b64 s[0:1], s[2:3]
	s_cbranch_execz .LBB574_36
; %bb.35:
	v_lshrrev_b32_e32 v0, 4, v0
	v_add_f32_e32 v15, v15, v16
	v_and_b32_e32 v0, 60, v0
	ds_write_b32 v0, v15
.LBB574_36:
	s_or_b64 exec, exec, s[0:1]
	s_waitcnt lgkmcnt(0)
	s_barrier
	ds_read_b32 v0, v14
	s_waitcnt lgkmcnt(0)
	s_nop 0
	v_mov_b32_dpp v14, v0 quad_perm:[1,0,3,2] row_mask:0xf bank_mask:0xf
	v_add_f32_e32 v0, v0, v14
	s_nop 1
	v_mov_b32_dpp v14, v0 quad_perm:[2,3,0,1] row_mask:0xf bank_mask:0xf
	s_and_saveexec_b64 s[0:1], vcc
	s_cbranch_execz .LBB574_17
; %bb.37:
	v_cvt_f32_u32_e32 v15, s24
	v_add_f32_e32 v0, v0, v14
	s_mov_b32 s31, 0x20000
	v_div_scale_f32 v14, s[0:1], v15, v15, v0
	v_rcp_f32_e32 v16, v14
	v_div_scale_f32 v17, vcc, v0, v15, v0
	s_mov_b32 s0, 0x800000
	v_fma_f32 v18, -v14, v16, 1.0
	v_fmac_f32_e32 v16, v18, v16
	v_mul_f32_e32 v18, v17, v16
	v_fma_f32 v19, -v14, v18, v17
	v_fmac_f32_e32 v18, v19, v16
	v_fma_f32 v14, -v14, v18, v17
	v_div_fmas_f32 v14, v14, v16, v18
	v_div_fixup_f32 v0, v14, v15, v0
	v_add_f32_e32 v0, s21, v0
	v_mul_f32_e32 v14, 0x4b800000, v0
	v_cmp_gt_f32_e32 vcc, s0, v0
	v_cndmask_b32_e32 v0, v0, v14, vcc
	v_rsq_f32_e32 v0, v0
	s_mul_hi_i32 s1, s16, s6
	s_mul_i32 s0, s16, s6
	s_lshl_b64 s[0:1], s[0:1], 1
	v_mul_f32_e32 v14, 0x45800000, v0
	v_cndmask_b32_e32 v14, v0, v14, vcc
	s_add_u32 s28, s18, s0
	v_mov_b32_e32 v15, v14
	s_addc_u32 s0, s19, s1
	;;#ASMSTART
	v_pk_mul_f32 v[12:13], v[12:13], v[14:15]
	;;#ASMEND
	;;#ASMSTART
	v_pk_mul_f32 v[10:11], v[10:11], v[14:15]
	;;#ASMEND
	;; [unrolled: 3-line block ×4, first 2 shown]
	v_cvt_f32_u32_sdwa v15, v2 dst_sel:DWORD dst_unused:UNUSED_PAD src0_sel:WORD_1
	v_cvt_f32_u32_sdwa v14, v2 dst_sel:DWORD dst_unused:UNUSED_PAD src0_sel:WORD_0
	v_cvt_f32_u32_sdwa v17, v3 dst_sel:DWORD dst_unused:UNUSED_PAD src0_sel:WORD_1
	v_cvt_f32_u32_sdwa v16, v3 dst_sel:DWORD dst_unused:UNUSED_PAD src0_sel:WORD_0
	;; [unrolled: 2-line block ×4, first 2 shown]
	;;#ASMSTART
	v_pk_mul_f32 v[4:5], v[12:13], v[14:15]
	;;#ASMEND
	s_and_b32 s29, s0, 0xffff
	s_mov_b32 s0, 0x7060302
	;;#ASMSTART
	v_pk_mul_f32 v[10:11], v[10:11], v[16:17]
	;;#ASMEND
	;;#ASMSTART
	v_pk_mul_f32 v[8:9], v[8:9], v[2:3]
	;;#ASMEND
	;; [unrolled: 3-line block ×3, first 2 shown]
	v_perm_b32 v2, v5, v4, s0
	v_perm_b32 v3, v11, v10, s0
	;; [unrolled: 1-line block ×4, first 2 shown]
	buffer_store_dwordx4 v[2:5], v1, s[28:31], 0 offen
	;;#ASMSTART
	s_nop 0
	;;#ASMEND
	s_endpgm
	.section	.rodata,"a",@progbits
	.p2align	6, 0x0
	.amdhsa_kernel _ZN5aiter35fused_qk_rmsnorm_group_quant_kernelItDB8_Li256ELi8ELi4ELb1ELb1ELb0ELb0ELb0ELb0EEEvPT0_PvPT_S6_S6_PKS5_S8_S8_S8_S8_ffiiiiiiiiiiiii
		.amdhsa_group_segment_fixed_size 32
		.amdhsa_private_segment_fixed_size 0
		.amdhsa_kernarg_size 400
		.amdhsa_user_sgpr_count 6
		.amdhsa_user_sgpr_private_segment_buffer 1
		.amdhsa_user_sgpr_dispatch_ptr 0
		.amdhsa_user_sgpr_queue_ptr 0
		.amdhsa_user_sgpr_kernarg_segment_ptr 1
		.amdhsa_user_sgpr_dispatch_id 0
		.amdhsa_user_sgpr_flat_scratch_init 0
		.amdhsa_user_sgpr_kernarg_preload_length 0
		.amdhsa_user_sgpr_kernarg_preload_offset 0
		.amdhsa_user_sgpr_private_segment_size 0
		.amdhsa_uses_dynamic_stack 0
		.amdhsa_system_sgpr_private_segment_wavefront_offset 0
		.amdhsa_system_sgpr_workgroup_id_x 1
		.amdhsa_system_sgpr_workgroup_id_y 1
		.amdhsa_system_sgpr_workgroup_id_z 0
		.amdhsa_system_sgpr_workgroup_info 0
		.amdhsa_system_vgpr_workitem_id 0
		.amdhsa_next_free_vgpr 27
		.amdhsa_next_free_sgpr 48
		.amdhsa_accum_offset 28
		.amdhsa_reserve_vcc 1
		.amdhsa_reserve_flat_scratch 0
		.amdhsa_float_round_mode_32 0
		.amdhsa_float_round_mode_16_64 0
		.amdhsa_float_denorm_mode_32 3
		.amdhsa_float_denorm_mode_16_64 3
		.amdhsa_dx10_clamp 1
		.amdhsa_ieee_mode 1
		.amdhsa_fp16_overflow 0
		.amdhsa_tg_split 0
		.amdhsa_exception_fp_ieee_invalid_op 0
		.amdhsa_exception_fp_denorm_src 0
		.amdhsa_exception_fp_ieee_div_zero 0
		.amdhsa_exception_fp_ieee_overflow 0
		.amdhsa_exception_fp_ieee_underflow 0
		.amdhsa_exception_fp_ieee_inexact 0
		.amdhsa_exception_int_div_zero 0
	.end_amdhsa_kernel
	.section	.text._ZN5aiter35fused_qk_rmsnorm_group_quant_kernelItDB8_Li256ELi8ELi4ELb1ELb1ELb0ELb0ELb0ELb0EEEvPT0_PvPT_S6_S6_PKS5_S8_S8_S8_S8_ffiiiiiiiiiiiii,"axG",@progbits,_ZN5aiter35fused_qk_rmsnorm_group_quant_kernelItDB8_Li256ELi8ELi4ELb1ELb1ELb0ELb0ELb0ELb0EEEvPT0_PvPT_S6_S6_PKS5_S8_S8_S8_S8_ffiiiiiiiiiiiii,comdat
.Lfunc_end574:
	.size	_ZN5aiter35fused_qk_rmsnorm_group_quant_kernelItDB8_Li256ELi8ELi4ELb1ELb1ELb0ELb0ELb0ELb0EEEvPT0_PvPT_S6_S6_PKS5_S8_S8_S8_S8_ffiiiiiiiiiiiii, .Lfunc_end574-_ZN5aiter35fused_qk_rmsnorm_group_quant_kernelItDB8_Li256ELi8ELi4ELb1ELb1ELb0ELb0ELb0ELb0EEEvPT0_PvPT_S6_S6_PKS5_S8_S8_S8_S8_ffiiiiiiiiiiiii
                                        ; -- End function
	.section	.AMDGPU.csdata,"",@progbits
; Kernel info:
; codeLenInByte = 3044
; NumSgprs: 52
; NumVgprs: 27
; NumAgprs: 0
; TotalNumVgprs: 27
; ScratchSize: 0
; MemoryBound: 0
; FloatMode: 240
; IeeeMode: 1
; LDSByteSize: 32 bytes/workgroup (compile time only)
; SGPRBlocks: 6
; VGPRBlocks: 3
; NumSGPRsForWavesPerEU: 52
; NumVGPRsForWavesPerEU: 27
; AccumOffset: 28
; Occupancy: 8
; WaveLimiterHint : 0
; COMPUTE_PGM_RSRC2:SCRATCH_EN: 0
; COMPUTE_PGM_RSRC2:USER_SGPR: 6
; COMPUTE_PGM_RSRC2:TRAP_HANDLER: 0
; COMPUTE_PGM_RSRC2:TGID_X_EN: 1
; COMPUTE_PGM_RSRC2:TGID_Y_EN: 1
; COMPUTE_PGM_RSRC2:TGID_Z_EN: 0
; COMPUTE_PGM_RSRC2:TIDIG_COMP_CNT: 0
; COMPUTE_PGM_RSRC3_GFX90A:ACCUM_OFFSET: 6
; COMPUTE_PGM_RSRC3_GFX90A:TG_SPLIT: 0
	.section	.text._ZN5aiter35fused_qk_rmsnorm_group_quant_kernelIDF16_N4opus5fp4_tELi256ELi8ELi4ELb1ELb1ELb0ELb0ELb0ELb0EEEvPT0_PvPT_S7_S7_PKS6_S9_S9_S9_S9_ffiiiiiiiiiiiii,"axG",@progbits,_ZN5aiter35fused_qk_rmsnorm_group_quant_kernelIDF16_N4opus5fp4_tELi256ELi8ELi4ELb1ELb1ELb0ELb0ELb0ELb0EEEvPT0_PvPT_S7_S7_PKS6_S9_S9_S9_S9_ffiiiiiiiiiiiii,comdat
	.protected	_ZN5aiter35fused_qk_rmsnorm_group_quant_kernelIDF16_N4opus5fp4_tELi256ELi8ELi4ELb1ELb1ELb0ELb0ELb0ELb0EEEvPT0_PvPT_S7_S7_PKS6_S9_S9_S9_S9_ffiiiiiiiiiiiii ; -- Begin function _ZN5aiter35fused_qk_rmsnorm_group_quant_kernelIDF16_N4opus5fp4_tELi256ELi8ELi4ELb1ELb1ELb0ELb0ELb0ELb0EEEvPT0_PvPT_S7_S7_PKS6_S9_S9_S9_S9_ffiiiiiiiiiiiii
	.globl	_ZN5aiter35fused_qk_rmsnorm_group_quant_kernelIDF16_N4opus5fp4_tELi256ELi8ELi4ELb1ELb1ELb0ELb0ELb0ELb0EEEvPT0_PvPT_S7_S7_PKS6_S9_S9_S9_S9_ffiiiiiiiiiiiii
	.p2align	8
	.type	_ZN5aiter35fused_qk_rmsnorm_group_quant_kernelIDF16_N4opus5fp4_tELi256ELi8ELi4ELb1ELb1ELb0ELb0ELb0ELb0EEEvPT0_PvPT_S7_S7_PKS6_S9_S9_S9_S9_ffiiiiiiiiiiiii,@function
_ZN5aiter35fused_qk_rmsnorm_group_quant_kernelIDF16_N4opus5fp4_tELi256ELi8ELi4ELb1ELb1ELb0ELb0ELb0ELb0EEEvPT0_PvPT_S7_S7_PKS6_S9_S9_S9_S9_ffiiiiiiiiiiiii: ; @_ZN5aiter35fused_qk_rmsnorm_group_quant_kernelIDF16_N4opus5fp4_tELi256ELi8ELi4ELb1ELb1ELb0ELb0ELb0ELb0EEEvPT0_PvPT_S7_S7_PKS6_S9_S9_S9_S9_ffiiiiiiiiiiiii
; %bb.0:
	s_load_dwordx8 s[20:27], s[4:5], 0x50
	s_waitcnt lgkmcnt(0)
	s_cmp_ge_i32 s6, s22
	s_cbranch_scc1 .LBB575_17
; %bb.1:
	s_cmp_lg_u32 s7, 0
	s_cselect_b64 s[30:31], -1, 0
	s_cmp_eq_u32 s7, 0
	s_cselect_b64 s[8:9], -1, 0
	s_and_b64 s[0:1], s[8:9], exec
	s_load_dwordx2 s[28:29], s[4:5], 0x48
	s_load_dwordx2 s[10:11], s[4:5], 0x30
	s_load_dwordx8 s[12:19], s[4:5], 0x70
	s_cselect_b32 s7, s23, s24
	s_add_i32 s0, s7, 1
	s_lshr_b32 s1, s0, 31
	s_add_i32 s0, s0, s1
	s_lshl_b32 s0, s0, 1
	v_lshlrev_b32_e32 v1, 3, v0
	s_and_b32 s38, s0, -4
	v_cmp_gt_i32_e64 s[0:1], s7, v1
	v_mov_b32_e32 v2, 0
	v_mov_b32_e32 v3, 0
	;; [unrolled: 1-line block ×8, first 2 shown]
	s_and_saveexec_b64 s[2:3], s[0:1]
	s_cbranch_execz .LBB575_3
; %bb.2:
	s_waitcnt lgkmcnt(0)
	s_load_dwordx2 s[18:19], s[4:5], 0x28
	s_load_dwordx2 s[34:35], s[4:5], 0x40
	s_and_b64 s[36:37], s[8:9], exec
	s_cselect_b32 s22, s25, s26
	s_mov_b32 s39, 0x20000
	s_waitcnt lgkmcnt(0)
	s_cselect_b32 s25, s19, s11
	s_cselect_b32 s33, s18, s10
	s_mul_hi_i32 s19, s22, s6
	s_mul_i32 s18, s22, s6
	s_lshl_b64 s[18:19], s[18:19], 1
	s_add_u32 s40, s33, s18
	s_addc_u32 s22, s25, s19
	s_and_b64 s[18:19], s[8:9], exec
	s_cselect_b32 s36, s34, s28
	s_cselect_b32 s18, s35, s29
	v_lshlrev_b32_e32 v10, 4, v0
	s_and_b32 s41, s22, 0xffff
	s_mov_b32 s42, s38
	s_mov_b32 s43, s39
	s_and_b32 s37, s18, 0xffff
	buffer_load_dwordx4 v[6:9], v10, s[40:43], 0 offen glc slc
	buffer_load_dwordx4 v[2:5], v10, s[36:39], 0 offen
.LBB575_3:
	s_or_b64 exec, exec, s[2:3]
	s_and_b64 vcc, exec, s[30:31]
	s_cbranch_vccz .LBB575_7
; %bb.4:
	v_mov_b32_e32 v11, 0
	v_mov_b32_e32 v10, 0
	;; [unrolled: 1-line block ×8, first 2 shown]
	s_and_saveexec_b64 s[2:3], s[0:1]
	s_cbranch_execz .LBB575_6
; %bb.5:
	s_waitcnt vmcnt(1)
	v_cvt_f32_f16_sdwa v17, v6 dst_sel:DWORD dst_unused:UNUSED_PAD src0_sel:WORD_1
	v_cvt_f32_f16_e32 v16, v6
	v_cvt_f32_f16_sdwa v15, v7 dst_sel:DWORD dst_unused:UNUSED_PAD src0_sel:WORD_1
	v_cvt_f32_f16_e32 v14, v7
	;; [unrolled: 2-line block ×4, first 2 shown]
.LBB575_6:
	s_or_b64 exec, exec, s[2:3]
	s_cbranch_execz .LBB575_8
	s_branch .LBB575_11
.LBB575_7:
                                        ; implicit-def: $vgpr11
                                        ; implicit-def: $vgpr13
                                        ; implicit-def: $vgpr15
                                        ; implicit-def: $vgpr17
.LBB575_8:
	v_mov_b32_e32 v11, 0
	v_mov_b32_e32 v10, 0
	;; [unrolled: 1-line block ×8, first 2 shown]
	s_and_saveexec_b64 s[2:3], s[0:1]
	s_cbranch_execz .LBB575_10
; %bb.9:
	s_waitcnt lgkmcnt(0)
	s_load_dwordx2 s[18:19], s[4:5], 0x38
	s_mul_hi_i32 s35, s27, s6
	s_mul_i32 s34, s27, s6
	s_lshl_b64 s[34:35], s[34:35], 1
	s_mov_b32 s39, 0x20000
	s_waitcnt lgkmcnt(0)
	s_add_u32 s36, s18, s34
	s_addc_u32 s18, s19, s35
	s_and_b32 s37, s18, 0xffff
	v_lshlrev_b32_e32 v26, 4, v0
	buffer_load_dwordx4 v[10:13], v26, s[36:39], 0 offen glc slc
	s_waitcnt vmcnt(2)
	v_cvt_f32_f16_sdwa v15, v6 dst_sel:DWORD dst_unused:UNUSED_PAD src0_sel:WORD_1
	v_cvt_f32_f16_e32 v14, v6
	v_cvt_f32_f16_sdwa v19, v7 dst_sel:DWORD dst_unused:UNUSED_PAD src0_sel:WORD_1
	v_cvt_f32_f16_e32 v18, v7
	;; [unrolled: 2-line block ×4, first 2 shown]
	s_load_dwordx2 s[18:19], s[4:5], 0x20
	s_mul_hi_i32 s35, s17, s6
	s_mul_i32 s34, s17, s6
	s_lshl_b64 s[34:35], s[34:35], 1
	s_waitcnt lgkmcnt(0)
	s_add_u32 s36, s18, s34
	s_addc_u32 s17, s19, s35
	s_and_b32 s37, s17, 0xffff
	s_waitcnt vmcnt(0)
	v_cvt_f32_f16_e32 v8, v10
	v_cvt_f32_f16_sdwa v9, v10 dst_sel:DWORD dst_unused:UNUSED_PAD src0_sel:WORD_1
	v_cvt_f32_f16_e32 v10, v11
	v_cvt_f32_f16_sdwa v11, v11 dst_sel:DWORD dst_unused:UNUSED_PAD src0_sel:WORD_1
	;; [unrolled: 2-line block ×4, first 2 shown]
	v_pk_add_f32 v[16:17], v[14:15], v[8:9]
	v_pk_add_f32 v[14:15], v[18:19], v[10:11]
	;; [unrolled: 1-line block ×4, first 2 shown]
	v_cvt_f16_f32_e32 v6, v17
	v_cvt_f16_f32_e32 v7, v15
	v_cvt_f16_f32_e32 v8, v13
	v_cvt_f16_f32_e32 v9, v11
	v_cvt_f16_f32_e32 v18, v10
	v_cvt_f16_f32_e32 v19, v12
	v_cvt_f16_f32_e32 v20, v14
	v_cvt_f16_f32_e32 v21, v16
	v_pack_b32_f16 v9, v18, v9
	v_pack_b32_f16 v8, v19, v8
	;; [unrolled: 1-line block ×4, first 2 shown]
	buffer_store_dwordx4 v[6:9], v26, s[36:39], 0 offen glc slc
	;;#ASMSTART
	s_nop 0
	;;#ASMEND
.LBB575_10:
	s_or_b64 exec, exec, s[2:3]
.LBB575_11:
	s_waitcnt vmcnt(1)
	v_mul_f32_e32 v6, v17, v17
	v_fmac_f32_e32 v6, v16, v16
	v_fmac_f32_e32 v6, v14, v14
	;; [unrolled: 1-line block ×7, first 2 shown]
	v_and_b32_e32 v8, 63, v0
	v_cmp_eq_u32_e64 s[2:3], 63, v8
	v_mov_b32_dpp v7, v6 quad_perm:[1,0,3,2] row_mask:0xf bank_mask:0xf
	v_add_f32_e32 v6, v6, v7
	s_nop 1
	v_mov_b32_dpp v7, v6 quad_perm:[2,3,0,1] row_mask:0xf bank_mask:0xf
	v_add_f32_e32 v6, v6, v7
	s_nop 1
	v_mov_b32_dpp v7, v6 row_half_mirror row_mask:0xf bank_mask:0xf
	v_add_f32_e32 v6, v6, v7
	s_nop 1
	v_mov_b32_dpp v7, v6 row_mirror row_mask:0xf bank_mask:0xf
	v_add_f32_e32 v6, v6, v7
	s_nop 1
	v_mov_b32_dpp v7, v6 row_bcast:15 row_mask:0xf bank_mask:0xf
	v_add_f32_e32 v6, v6, v7
	s_nop 1
	v_mov_b32_dpp v7, v6 row_bcast:31 row_mask:0xf bank_mask:0xf
	s_waitcnt lgkmcnt(0)
	s_and_saveexec_b64 s[18:19], s[2:3]
	s_cbranch_execz .LBB575_13
; %bb.12:
	v_add_f32_e32 v6, v6, v7
	v_lshrrev_b32_e32 v7, 4, v0
	v_and_b32_e32 v7, 60, v7
	ds_write_b32 v7, v6 offset:16
.LBB575_13:
	s_or_b64 exec, exec, s[18:19]
	v_and_b32_e32 v6, 3, v0
	v_lshlrev_b32_e32 v18, 2, v6
	s_waitcnt lgkmcnt(0)
	s_barrier
	ds_read_b32 v7, v18 offset:16
	s_load_dwordx2 s[18:19], s[4:5], 0x18
	s_waitcnt lgkmcnt(0)
	v_mov_b32_dpp v8, v7 quad_perm:[1,0,3,2] row_mask:0xf bank_mask:0xf
	v_add_f32_e32 v7, v7, v8
	s_nop 1
	v_mov_b32_dpp v8, v7 quad_perm:[2,3,0,1] row_mask:0xf bank_mask:0xf
	s_and_saveexec_b64 s[34:35], s[0:1]
	s_cbranch_execnz .LBB575_18
; %bb.14:
	s_or_b64 exec, exec, s[34:35]
	s_mov_b64 s[8:9], -1
	s_and_b64 vcc, exec, s[30:31]
	s_cbranch_vccnz .LBB575_19
.LBB575_15:
	s_andn2_b64 vcc, exec, s[8:9]
	s_cbranch_vccz .LBB575_22
.LBB575_16:
	s_cmp_lt_i32 s24, 1
	s_cbranch_scc0 .LBB575_31
.LBB575_17:
	s_endpgm
.LBB575_18:
	v_cvt_f32_u32_e32 v9, s7
	v_add_f32_e32 v7, v7, v8
	v_mov_b32_e32 v20, s21
	v_mov_b32_e32 v21, s20
	v_div_scale_f32 v8, s[36:37], v9, v9, v7
	v_rcp_f32_e32 v19, v8
	v_cndmask_b32_e64 v20, v20, v21, s[8:9]
	s_mov_b32 s7, 0x800000
	v_fma_f32 v21, -v8, v19, 1.0
	v_fmac_f32_e32 v19, v21, v19
	v_div_scale_f32 v21, vcc, v7, v9, v7
	v_mul_f32_e32 v22, v21, v19
	v_fma_f32 v23, -v8, v22, v21
	v_fmac_f32_e32 v22, v23, v19
	v_fma_f32 v8, -v8, v22, v21
	v_div_fmas_f32 v8, v8, v19, v22
	v_div_fixup_f32 v7, v8, v9, v7
	v_add_f32_e32 v7, v20, v7
	v_mul_f32_e32 v8, 0x4b800000, v7
	v_cmp_gt_f32_e32 vcc, s7, v7
	v_cndmask_b32_e32 v7, v7, v8, vcc
	v_rsq_f32_e32 v7, v7
	s_waitcnt vmcnt(0)
	v_cvt_f32_f16_sdwa v21, v3 dst_sel:DWORD dst_unused:UNUSED_PAD src0_sel:WORD_1
	v_cvt_f32_f16_e32 v20, v3
	v_cvt_f32_f16_sdwa v3, v4 dst_sel:DWORD dst_unused:UNUSED_PAD src0_sel:WORD_1
	v_mul_f32_e32 v8, 0x45800000, v7
	v_cndmask_b32_e32 v8, v7, v8, vcc
	v_mov_b32_e32 v9, v8
	;;#ASMSTART
	v_pk_mul_f32 v[16:17], v[16:17], v[8:9]
	;;#ASMEND
	;;#ASMSTART
	v_pk_mul_f32 v[14:15], v[14:15], v[8:9]
	;;#ASMEND
	;; [unrolled: 3-line block ×4, first 2 shown]
	v_cvt_f32_f16_sdwa v11, v2 dst_sel:DWORD dst_unused:UNUSED_PAD src0_sel:WORD_1
	v_cvt_f32_f16_e32 v10, v2
	v_cvt_f32_f16_e32 v2, v4
	v_cvt_f32_f16_sdwa v23, v5 dst_sel:DWORD dst_unused:UNUSED_PAD src0_sel:WORD_1
	v_cvt_f32_f16_e32 v22, v5
	;;#ASMSTART
	v_pk_mul_f32 v[16:17], v[16:17], v[10:11]
	;;#ASMEND
	;;#ASMSTART
	v_pk_mul_f32 v[14:15], v[14:15], v[20:21]
	;;#ASMEND
	;; [unrolled: 3-line block ×4, first 2 shown]
	s_or_b64 exec, exec, s[34:35]
	s_mov_b64 s[8:9], -1
	s_and_b64 vcc, exec, s[30:31]
	s_cbranch_vccz .LBB575_15
.LBB575_19:
	s_and_saveexec_b64 s[8:9], s[0:1]
	s_cbranch_execz .LBB575_21
; %bb.20:
	s_mul_hi_i32 s31, s16, s6
	s_mul_i32 s30, s16, s6
	s_waitcnt vmcnt(0)
	v_cvt_f16_f32_e32 v2, v16
	v_cvt_f16_f32_e32 v3, v14
	;; [unrolled: 1-line block ×8, first 2 shown]
	s_lshl_b64 s[30:31], s[30:31], 1
	s_add_u32 s36, s18, s30
	s_addc_u32 s7, s19, s31
	s_and_b32 s37, s7, 0xffff
	s_mov_b32 s39, 0x20000
	v_pack_b32_f16 v5, v5, v7
	v_pack_b32_f16 v4, v4, v8
	;; [unrolled: 1-line block ×4, first 2 shown]
	v_lshlrev_b32_e32 v7, 4, v0
	buffer_store_dwordx4 v[2:5], v7, s[36:39], 0 offen
	;;#ASMSTART
	s_nop 0
	;;#ASMEND
.LBB575_21:
	s_or_b64 exec, exec, s[8:9]
	s_cbranch_execnz .LBB575_16
.LBB575_22:
	s_waitcnt vmcnt(0)
	v_mov_b32_e32 v2, 0
	s_and_saveexec_b64 s[8:9], s[0:1]
	s_cbranch_execz .LBB575_24
; %bb.23:
	s_load_dwordx2 s[30:31], s[4:5], 0x10
	s_mul_hi_i32 s35, s15, s6
	s_mul_i32 s34, s15, s6
	v_cvt_f16_f32_e32 v2, v16
	v_cvt_f16_f32_e32 v3, v14
	;; [unrolled: 1-line block ×8, first 2 shown]
	s_lshl_b64 s[34:35], s[34:35], 1
	s_waitcnt lgkmcnt(0)
	s_add_u32 s36, s30, s34
	s_addc_u32 s7, s31, s35
	s_mov_b32 s39, 0x20000
	s_and_b32 s37, s7, 0xffff
	v_pack_b32_f16 v5, v5, v7
	v_pack_b32_f16 v4, v4, v8
	v_pack_b32_f16 v3, v3, v9
	v_pack_b32_f16 v2, v2, v19
	v_lshlrev_b32_e32 v7, 4, v0
	buffer_store_dwordx4 v[2:5], v7, s[36:39], 0 offen
	;;#ASMSTART
	s_nop 0
	;;#ASMEND
	s_nop 0
	v_mov_b32_e32 v2, 0x2edbe6ff
.LBB575_24:
	s_or_b64 exec, exec, s[8:9]
	s_and_saveexec_b64 s[8:9], s[0:1]
	s_cbranch_execz .LBB575_26
; %bb.25:
	v_and_b32_e32 v3, 0x7fffffff, v16
	v_and_b32_e32 v4, 0x7fffffff, v17
	;;#ASMSTART
	v_max3_f32 v2, v2, v3, v4

	;;#ASMEND
	v_and_b32_e32 v3, 0x7fffffff, v14
	v_and_b32_e32 v4, 0x7fffffff, v15
	;;#ASMSTART
	v_max3_f32 v2, v2, v3, v4

	;;#ASMEND
	;; [unrolled: 6-line block ×4, first 2 shown]
.LBB575_26:
	s_or_b64 exec, exec, s[8:9]
	v_cmp_eq_u32_e32 vcc, 0, v6
	v_cmp_gt_i32_e64 s[8:9], s23, v1
	s_and_b64 s[30:31], vcc, s[8:9]
	;;#ASMSTART
	v_max_f32 v3, v2, v2 quad_perm:[1,0,3,2] row_mask:0xf bank_mask:0xf bound_ctrl:1
	;;#ASMEND
	;;#ASMSTART
	v_max_f32 v2, v3, v3 quad_perm:[2,3,0,1] row_mask:0xf bank_mask:0xf bound_ctrl:1
	;;#ASMEND
	s_and_saveexec_b64 s[8:9], s[30:31]
	s_cbranch_execz .LBB575_28
; %bb.27:
	s_load_dwordx2 s[30:31], s[4:5], 0x8
	v_mul_f32_e32 v2, 0x3e2aaaab, v2
	v_lshrrev_b32_e32 v3, 23, v2
	v_and_b32_e32 v4, 0x7f800000, v2
	v_and_b32_e32 v2, 0x7fffff, v2
	v_cmp_ne_u32_e32 vcc, 0, v2
	s_mul_hi_i32 s15, s13, s6
	s_mul_i32 s13, s13, s6
	s_mov_b32 s7, 0x7f800000
	v_addc_co_u32_e32 v2, vcc, 0, v3, vcc
	s_waitcnt lgkmcnt(0)
	s_add_u32 s30, s30, s13
	v_cmp_ne_u32_e32 vcc, s7, v4
	s_addc_u32 s31, s31, s15
	v_lshrrev_b32_e32 v5, 2, v0
	v_cndmask_b32_e32 v4, -1, v2, vcc
	v_pk_mov_b32 v[2:3], s[30:31], s[30:31] op_sel:[0,1]
	v_mad_i64_i32 v[2:3], s[14:15], s14, v5, v[2:3]
	global_store_byte v[2:3], v4, off
.LBB575_28:
	s_or_b64 exec, exec, s[8:9]
	s_and_saveexec_b64 s[8:9], s[0:1]
	s_cbranch_execz .LBB575_30
; %bb.29:
	s_load_dwordx2 s[0:1], s[4:5], 0x0
	s_mul_hi_i32 s7, s12, s6
	s_mul_i32 s12, s12, s6
	v_lshlrev_b32_e32 v2, 2, v0
	s_mov_b32 s15, 0x20000
	s_waitcnt lgkmcnt(0)
	s_add_u32 s12, s0, s12
	s_addc_u32 s0, s1, s7
	s_lshr_b32 s1, s23, 31
	s_add_i32 s1, s23, s1
	s_ashr_i32 s1, s1, 1
	s_add_i32 s1, s1, 3
	s_ashr_i32 s7, s1, 31
	s_lshr_b32 s7, s7, 30
	s_add_i32 s1, s1, s7
	s_and_b32 s14, s1, -4
	s_and_b32 s13, s0, 0xffff
	v_mov_b32_e32 v3, 0
	buffer_store_dword v3, v2, s[12:15], 0 offen
	;;#ASMSTART
	s_nop 0
	;;#ASMEND
.LBB575_30:
	s_or_b64 exec, exec, s[8:9]
	s_cmp_lt_i32 s24, 1
	s_cbranch_scc1 .LBB575_17
.LBB575_31:
	s_load_dword s0, s[4:5], 0x94
	s_waitcnt lgkmcnt(0)
	s_cmp_lg_u32 s0, 1
	s_cbranch_scc1 .LBB575_17
; %bb.32:
	s_lshl_b32 s0, s24, 1
	s_add_i32 s0, s0, 2
	v_cmp_gt_u32_e32 vcc, s24, v1
	s_and_b32 s30, s0, -4
	v_mov_b32_e32 v10, 0
	v_lshlrev_b32_e32 v1, 4, v0
	v_mov_b32_e32 v6, 0
	v_mov_b32_e32 v7, 0
	;; [unrolled: 1-line block ×4, first 2 shown]
	s_waitcnt vmcnt(0)
	v_mov_b32_e32 v2, 0
	v_mov_b32_e32 v3, 0
	v_mov_b32_e32 v4, 0
	v_mov_b32_e32 v5, 0
	s_barrier
	s_and_saveexec_b64 s[0:1], vcc
	s_cbranch_execz .LBB575_34
; %bb.33:
	s_mul_hi_i32 s5, s26, s6
	s_mul_i32 s4, s26, s6
	s_and_b32 s29, s29, 0xffff
	s_lshl_b64 s[4:5], s[4:5], 1
	s_add_u32 s8, s10, s4
	s_mov_b32 s31, 0x20000
	s_addc_u32 s4, s11, s5
	s_and_b32 s9, s4, 0xffff
	s_mov_b32 s10, s30
	s_mov_b32 s11, s31
	buffer_load_dwordx4 v[6:9], v1, s[8:11], 0 offen glc slc
	buffer_load_dwordx4 v[2:5], v1, s[28:31], 0 offen
.LBB575_34:
	s_or_b64 exec, exec, s[0:1]
	v_mov_b32_e32 v11, 0
	v_mov_b32_e32 v16, 0
	;; [unrolled: 1-line block ×7, first 2 shown]
	s_and_saveexec_b64 s[0:1], vcc
	s_cbranch_execz .LBB575_36
; %bb.35:
	s_waitcnt vmcnt(1)
	v_cvt_f32_f16_sdwa v11, v6 dst_sel:DWORD dst_unused:UNUSED_PAD src0_sel:WORD_1
	v_cvt_f32_f16_e32 v10, v6
	v_cvt_f32_f16_sdwa v17, v7 dst_sel:DWORD dst_unused:UNUSED_PAD src0_sel:WORD_1
	v_cvt_f32_f16_e32 v16, v7
	;; [unrolled: 2-line block ×4, first 2 shown]
.LBB575_36:
	s_or_b64 exec, exec, s[0:1]
	s_waitcnt vmcnt(1)
	v_mul_f32_e32 v6, v11, v11
	v_fmac_f32_e32 v6, v10, v10
	v_fmac_f32_e32 v6, v16, v16
	v_fmac_f32_e32 v6, v17, v17
	v_fmac_f32_e32 v6, v14, v14
	v_fmac_f32_e32 v6, v15, v15
	v_fmac_f32_e32 v6, v12, v12
	v_fmac_f32_e32 v6, v13, v13
	s_nop 1
	v_mov_b32_dpp v7, v6 quad_perm:[1,0,3,2] row_mask:0xf bank_mask:0xf
	v_add_f32_e32 v6, v6, v7
	s_nop 1
	v_mov_b32_dpp v7, v6 quad_perm:[2,3,0,1] row_mask:0xf bank_mask:0xf
	v_add_f32_e32 v6, v6, v7
	s_nop 1
	v_mov_b32_dpp v7, v6 row_half_mirror row_mask:0xf bank_mask:0xf
	v_add_f32_e32 v6, v6, v7
	s_nop 1
	v_mov_b32_dpp v7, v6 row_mirror row_mask:0xf bank_mask:0xf
	v_add_f32_e32 v6, v6, v7
	s_nop 1
	v_mov_b32_dpp v7, v6 row_bcast:15 row_mask:0xf bank_mask:0xf
	v_add_f32_e32 v6, v6, v7
	s_nop 1
	v_mov_b32_dpp v7, v6 row_bcast:31 row_mask:0xf bank_mask:0xf
	s_and_saveexec_b64 s[0:1], s[2:3]
	s_cbranch_execz .LBB575_38
; %bb.37:
	v_lshrrev_b32_e32 v0, 4, v0
	v_add_f32_e32 v6, v6, v7
	v_and_b32_e32 v0, 60, v0
	ds_write_b32 v0, v6
.LBB575_38:
	s_or_b64 exec, exec, s[0:1]
	s_waitcnt lgkmcnt(0)
	s_barrier
	ds_read_b32 v0, v18
	s_waitcnt lgkmcnt(0)
	s_nop 0
	v_mov_b32_dpp v6, v0 quad_perm:[1,0,3,2] row_mask:0xf bank_mask:0xf
	v_add_f32_e32 v0, v0, v6
	s_nop 1
	v_mov_b32_dpp v6, v0 quad_perm:[2,3,0,1] row_mask:0xf bank_mask:0xf
	s_and_saveexec_b64 s[0:1], vcc
	s_cbranch_execz .LBB575_17
; %bb.39:
	v_cvt_f32_u32_e32 v7, s24
	v_add_f32_e32 v0, v0, v6
	s_mov_b32 s31, 0x20000
	v_div_scale_f32 v6, s[0:1], v7, v7, v0
	v_rcp_f32_e32 v8, v6
	v_div_scale_f32 v9, vcc, v0, v7, v0
	s_mov_b32 s0, 0x800000
	v_fma_f32 v18, -v6, v8, 1.0
	v_fmac_f32_e32 v8, v18, v8
	v_mul_f32_e32 v18, v9, v8
	v_fma_f32 v19, -v6, v18, v9
	v_fmac_f32_e32 v18, v19, v8
	v_fma_f32 v6, -v6, v18, v9
	v_div_fmas_f32 v6, v6, v8, v18
	v_div_fixup_f32 v0, v6, v7, v0
	v_add_f32_e32 v0, s21, v0
	v_mul_f32_e32 v6, 0x4b800000, v0
	v_cmp_gt_f32_e32 vcc, s0, v0
	v_cndmask_b32_e32 v0, v0, v6, vcc
	v_rsq_f32_e32 v0, v0
	s_waitcnt vmcnt(0)
	v_cvt_f32_f16_sdwa v19, v5 dst_sel:DWORD dst_unused:UNUSED_PAD src0_sel:WORD_1
	v_cvt_f32_f16_e32 v18, v5
	s_mul_hi_i32 s1, s16, s6
	v_mul_f32_e32 v6, 0x45800000, v0
	v_cndmask_b32_e32 v6, v0, v6, vcc
	v_mov_b32_e32 v7, v6
	;;#ASMSTART
	v_pk_mul_f32 v[8:9], v[10:11], v[6:7]
	;;#ASMEND
	;;#ASMSTART
	v_pk_mul_f32 v[10:11], v[16:17], v[6:7]
	;;#ASMEND
	;; [unrolled: 3-line block ×4, first 2 shown]
	v_cvt_f32_f16_sdwa v13, v2 dst_sel:DWORD dst_unused:UNUSED_PAD src0_sel:WORD_1
	v_cvt_f32_f16_e32 v12, v2
	v_cvt_f32_f16_sdwa v17, v3 dst_sel:DWORD dst_unused:UNUSED_PAD src0_sel:WORD_1
	v_cvt_f32_f16_e32 v16, v3
	;; [unrolled: 2-line block ×3, first 2 shown]
	;;#ASMSTART
	v_pk_mul_f32 v[4:5], v[8:9], v[12:13]
	;;#ASMEND
	;;#ASMSTART
	v_pk_mul_f32 v[8:9], v[10:11], v[16:17]
	;;#ASMEND
	;; [unrolled: 3-line block ×4, first 2 shown]
	s_mul_i32 s0, s16, s6
	v_cvt_f16_f32_e32 v0, v4
	v_cvt_f16_f32_e32 v4, v5
	;; [unrolled: 1-line block ×8, first 2 shown]
	s_lshl_b64 s[0:1], s[0:1], 1
	s_add_u32 s28, s18, s0
	s_addc_u32 s0, s19, s1
	s_and_b32 s29, s0, 0xffff
	v_pack_b32_f16 v2, v0, v4
	v_pack_b32_f16 v3, v5, v8
	v_pack_b32_f16 v4, v9, v10
	v_pack_b32_f16 v5, v6, v7
	buffer_store_dwordx4 v[2:5], v1, s[28:31], 0 offen
	;;#ASMSTART
	s_nop 0
	;;#ASMEND
	s_endpgm
	.section	.rodata,"a",@progbits
	.p2align	6, 0x0
	.amdhsa_kernel _ZN5aiter35fused_qk_rmsnorm_group_quant_kernelIDF16_N4opus5fp4_tELi256ELi8ELi4ELb1ELb1ELb0ELb0ELb0ELb0EEEvPT0_PvPT_S7_S7_PKS6_S9_S9_S9_S9_ffiiiiiiiiiiiii
		.amdhsa_group_segment_fixed_size 32
		.amdhsa_private_segment_fixed_size 0
		.amdhsa_kernarg_size 400
		.amdhsa_user_sgpr_count 6
		.amdhsa_user_sgpr_private_segment_buffer 1
		.amdhsa_user_sgpr_dispatch_ptr 0
		.amdhsa_user_sgpr_queue_ptr 0
		.amdhsa_user_sgpr_kernarg_segment_ptr 1
		.amdhsa_user_sgpr_dispatch_id 0
		.amdhsa_user_sgpr_flat_scratch_init 0
		.amdhsa_user_sgpr_kernarg_preload_length 0
		.amdhsa_user_sgpr_kernarg_preload_offset 0
		.amdhsa_user_sgpr_private_segment_size 0
		.amdhsa_uses_dynamic_stack 0
		.amdhsa_system_sgpr_private_segment_wavefront_offset 0
		.amdhsa_system_sgpr_workgroup_id_x 1
		.amdhsa_system_sgpr_workgroup_id_y 1
		.amdhsa_system_sgpr_workgroup_id_z 0
		.amdhsa_system_sgpr_workgroup_info 0
		.amdhsa_system_vgpr_workitem_id 0
		.amdhsa_next_free_vgpr 27
		.amdhsa_next_free_sgpr 44
		.amdhsa_accum_offset 28
		.amdhsa_reserve_vcc 1
		.amdhsa_reserve_flat_scratch 0
		.amdhsa_float_round_mode_32 0
		.amdhsa_float_round_mode_16_64 0
		.amdhsa_float_denorm_mode_32 3
		.amdhsa_float_denorm_mode_16_64 3
		.amdhsa_dx10_clamp 1
		.amdhsa_ieee_mode 1
		.amdhsa_fp16_overflow 0
		.amdhsa_tg_split 0
		.amdhsa_exception_fp_ieee_invalid_op 0
		.amdhsa_exception_fp_denorm_src 0
		.amdhsa_exception_fp_ieee_div_zero 0
		.amdhsa_exception_fp_ieee_overflow 0
		.amdhsa_exception_fp_ieee_underflow 0
		.amdhsa_exception_fp_ieee_inexact 0
		.amdhsa_exception_int_div_zero 0
	.end_amdhsa_kernel
	.section	.text._ZN5aiter35fused_qk_rmsnorm_group_quant_kernelIDF16_N4opus5fp4_tELi256ELi8ELi4ELb1ELb1ELb0ELb0ELb0ELb0EEEvPT0_PvPT_S7_S7_PKS6_S9_S9_S9_S9_ffiiiiiiiiiiiii,"axG",@progbits,_ZN5aiter35fused_qk_rmsnorm_group_quant_kernelIDF16_N4opus5fp4_tELi256ELi8ELi4ELb1ELb1ELb0ELb0ELb0ELb0EEEvPT0_PvPT_S7_S7_PKS6_S9_S9_S9_S9_ffiiiiiiiiiiiii,comdat
.Lfunc_end575:
	.size	_ZN5aiter35fused_qk_rmsnorm_group_quant_kernelIDF16_N4opus5fp4_tELi256ELi8ELi4ELb1ELb1ELb0ELb0ELb0ELb0EEEvPT0_PvPT_S7_S7_PKS6_S9_S9_S9_S9_ffiiiiiiiiiiiii, .Lfunc_end575-_ZN5aiter35fused_qk_rmsnorm_group_quant_kernelIDF16_N4opus5fp4_tELi256ELi8ELi4ELb1ELb1ELb0ELb0ELb0ELb0EEEvPT0_PvPT_S7_S7_PKS6_S9_S9_S9_S9_ffiiiiiiiiiiiii
                                        ; -- End function
	.section	.AMDGPU.csdata,"",@progbits
; Kernel info:
; codeLenInByte = 2816
; NumSgprs: 48
; NumVgprs: 27
; NumAgprs: 0
; TotalNumVgprs: 27
; ScratchSize: 0
; MemoryBound: 0
; FloatMode: 240
; IeeeMode: 1
; LDSByteSize: 32 bytes/workgroup (compile time only)
; SGPRBlocks: 5
; VGPRBlocks: 3
; NumSGPRsForWavesPerEU: 48
; NumVGPRsForWavesPerEU: 27
; AccumOffset: 28
; Occupancy: 8
; WaveLimiterHint : 0
; COMPUTE_PGM_RSRC2:SCRATCH_EN: 0
; COMPUTE_PGM_RSRC2:USER_SGPR: 6
; COMPUTE_PGM_RSRC2:TRAP_HANDLER: 0
; COMPUTE_PGM_RSRC2:TGID_X_EN: 1
; COMPUTE_PGM_RSRC2:TGID_Y_EN: 1
; COMPUTE_PGM_RSRC2:TGID_Z_EN: 0
; COMPUTE_PGM_RSRC2:TIDIG_COMP_CNT: 0
; COMPUTE_PGM_RSRC3_GFX90A:ACCUM_OFFSET: 6
; COMPUTE_PGM_RSRC3_GFX90A:TG_SPLIT: 0
	.section	.text._ZN5aiter35fused_qk_rmsnorm_group_quant_kernelItN4opus5fp4_tELi256ELi8ELi4ELb1ELb1ELb0ELb0ELb0ELb0EEEvPT0_PvPT_S7_S7_PKS6_S9_S9_S9_S9_ffiiiiiiiiiiiii,"axG",@progbits,_ZN5aiter35fused_qk_rmsnorm_group_quant_kernelItN4opus5fp4_tELi256ELi8ELi4ELb1ELb1ELb0ELb0ELb0ELb0EEEvPT0_PvPT_S7_S7_PKS6_S9_S9_S9_S9_ffiiiiiiiiiiiii,comdat
	.protected	_ZN5aiter35fused_qk_rmsnorm_group_quant_kernelItN4opus5fp4_tELi256ELi8ELi4ELb1ELb1ELb0ELb0ELb0ELb0EEEvPT0_PvPT_S7_S7_PKS6_S9_S9_S9_S9_ffiiiiiiiiiiiii ; -- Begin function _ZN5aiter35fused_qk_rmsnorm_group_quant_kernelItN4opus5fp4_tELi256ELi8ELi4ELb1ELb1ELb0ELb0ELb0ELb0EEEvPT0_PvPT_S7_S7_PKS6_S9_S9_S9_S9_ffiiiiiiiiiiiii
	.globl	_ZN5aiter35fused_qk_rmsnorm_group_quant_kernelItN4opus5fp4_tELi256ELi8ELi4ELb1ELb1ELb0ELb0ELb0ELb0EEEvPT0_PvPT_S7_S7_PKS6_S9_S9_S9_S9_ffiiiiiiiiiiiii
	.p2align	8
	.type	_ZN5aiter35fused_qk_rmsnorm_group_quant_kernelItN4opus5fp4_tELi256ELi8ELi4ELb1ELb1ELb0ELb0ELb0ELb0EEEvPT0_PvPT_S7_S7_PKS6_S9_S9_S9_S9_ffiiiiiiiiiiiii,@function
_ZN5aiter35fused_qk_rmsnorm_group_quant_kernelItN4opus5fp4_tELi256ELi8ELi4ELb1ELb1ELb0ELb0ELb0ELb0EEEvPT0_PvPT_S7_S7_PKS6_S9_S9_S9_S9_ffiiiiiiiiiiiii: ; @_ZN5aiter35fused_qk_rmsnorm_group_quant_kernelItN4opus5fp4_tELi256ELi8ELi4ELb1ELb1ELb0ELb0ELb0ELb0EEEvPT0_PvPT_S7_S7_PKS6_S9_S9_S9_S9_ffiiiiiiiiiiiii
; %bb.0:
	s_load_dwordx8 s[20:27], s[4:5], 0x50
	s_waitcnt lgkmcnt(0)
	s_cmp_ge_i32 s6, s22
	s_cbranch_scc1 .LBB576_17
; %bb.1:
	s_cmp_lg_u32 s7, 0
	s_cselect_b64 s[30:31], -1, 0
	s_cmp_eq_u32 s7, 0
	s_cselect_b64 s[8:9], -1, 0
	s_and_b64 s[0:1], s[8:9], exec
	s_load_dwordx2 s[28:29], s[4:5], 0x48
	s_load_dwordx2 s[10:11], s[4:5], 0x30
	s_load_dwordx8 s[12:19], s[4:5], 0x70
	s_cselect_b32 s7, s23, s24
	s_add_i32 s0, s7, 1
	s_lshr_b32 s1, s0, 31
	s_add_i32 s0, s0, s1
	s_lshl_b32 s0, s0, 1
	v_lshlrev_b32_e32 v1, 3, v0
	s_and_b32 s38, s0, -4
	v_cmp_gt_i32_e64 s[0:1], s7, v1
	v_mov_b32_e32 v10, 0
	v_mov_b32_e32 v11, 0
	;; [unrolled: 1-line block ×8, first 2 shown]
	s_and_saveexec_b64 s[2:3], s[0:1]
	s_cbranch_execz .LBB576_3
; %bb.2:
	s_waitcnt lgkmcnt(0)
	s_load_dwordx2 s[18:19], s[4:5], 0x28
	s_load_dwordx2 s[34:35], s[4:5], 0x40
	s_and_b64 s[36:37], s[8:9], exec
	s_cselect_b32 s22, s25, s26
	s_mov_b32 s39, 0x20000
	s_waitcnt lgkmcnt(0)
	s_cselect_b32 s25, s19, s11
	s_cselect_b32 s33, s18, s10
	s_mul_hi_i32 s19, s22, s6
	s_mul_i32 s18, s22, s6
	s_lshl_b64 s[18:19], s[18:19], 1
	s_add_u32 s40, s33, s18
	s_addc_u32 s22, s25, s19
	s_and_b64 s[18:19], s[8:9], exec
	s_cselect_b32 s36, s34, s28
	s_cselect_b32 s18, s35, s29
	v_lshlrev_b32_e32 v2, 4, v0
	s_and_b32 s41, s22, 0xffff
	s_mov_b32 s42, s38
	s_mov_b32 s43, s39
	s_and_b32 s37, s18, 0xffff
	buffer_load_dwordx4 v[14:17], v2, s[40:43], 0 offen glc slc
	buffer_load_dwordx4 v[10:13], v2, s[36:39], 0 offen
.LBB576_3:
	s_or_b64 exec, exec, s[2:3]
	s_and_b64 vcc, exec, s[30:31]
	s_cbranch_vccz .LBB576_7
; %bb.4:
	s_mov_b32 s40, 0
	s_mov_b32 s41, s40
	;; [unrolled: 1-line block ×8, first 2 shown]
	v_pk_mov_b32 v[2:3], s[40:41], s[40:41] op_sel:[0,1]
	v_pk_mov_b32 v[4:5], s[42:43], s[42:43] op_sel:[0,1]
	;; [unrolled: 1-line block ×4, first 2 shown]
	s_and_saveexec_b64 s[2:3], s[0:1]
	s_cbranch_execz .LBB576_6
; %bb.5:
	s_waitcnt vmcnt(1)
	v_cvt_f32_u32_sdwa v3, v14 dst_sel:DWORD dst_unused:UNUSED_PAD src0_sel:WORD_1
	v_cvt_f32_u32_sdwa v2, v14 dst_sel:DWORD dst_unused:UNUSED_PAD src0_sel:WORD_0
	v_cvt_f32_u32_sdwa v5, v15 dst_sel:DWORD dst_unused:UNUSED_PAD src0_sel:WORD_1
	v_cvt_f32_u32_sdwa v4, v15 dst_sel:DWORD dst_unused:UNUSED_PAD src0_sel:WORD_0
	;; [unrolled: 2-line block ×4, first 2 shown]
.LBB576_6:
	s_or_b64 exec, exec, s[2:3]
	s_cbranch_execz .LBB576_8
	s_branch .LBB576_11
.LBB576_7:
                                        ; implicit-def: $vgpr2_vgpr3_vgpr4_vgpr5_vgpr6_vgpr7_vgpr8_vgpr9
.LBB576_8:
	s_mov_b32 s40, 0
	s_mov_b32 s41, s40
	;; [unrolled: 1-line block ×8, first 2 shown]
	v_pk_mov_b32 v[2:3], s[40:41], s[40:41] op_sel:[0,1]
	v_pk_mov_b32 v[4:5], s[42:43], s[42:43] op_sel:[0,1]
	;; [unrolled: 1-line block ×4, first 2 shown]
	s_and_saveexec_b64 s[2:3], s[0:1]
	s_cbranch_execz .LBB576_10
; %bb.9:
	s_waitcnt lgkmcnt(0)
	s_load_dwordx2 s[18:19], s[4:5], 0x38
	s_mul_hi_i32 s35, s27, s6
	s_mul_i32 s34, s27, s6
	s_lshl_b64 s[34:35], s[34:35], 1
	s_mov_b32 s39, 0x20000
	s_waitcnt lgkmcnt(0)
	s_add_u32 s36, s18, s34
	s_addc_u32 s18, s19, s35
	s_and_b32 s37, s18, 0xffff
	v_lshlrev_b32_e32 v26, 4, v0
	buffer_load_dwordx4 v[2:5], v26, s[36:39], 0 offen glc slc
	s_load_dwordx2 s[18:19], s[4:5], 0x20
	s_waitcnt vmcnt(2)
	v_cvt_f32_u32_sdwa v7, v14 dst_sel:DWORD dst_unused:UNUSED_PAD src0_sel:WORD_1
	v_cvt_f32_u32_sdwa v6, v14 dst_sel:DWORD dst_unused:UNUSED_PAD src0_sel:WORD_0
	v_cvt_f32_u32_sdwa v9, v15 dst_sel:DWORD dst_unused:UNUSED_PAD src0_sel:WORD_1
	v_cvt_f32_u32_sdwa v8, v15 dst_sel:DWORD dst_unused:UNUSED_PAD src0_sel:WORD_0
	;; [unrolled: 2-line block ×4, first 2 shown]
	s_mul_hi_i32 s35, s17, s6
	s_mul_i32 s34, s17, s6
	s_lshl_b64 s[34:35], s[34:35], 1
	s_waitcnt lgkmcnt(0)
	s_add_u32 s36, s18, s34
	s_mov_b32 s17, 0x7060302
	s_addc_u32 s18, s19, s35
	s_and_b32 s37, s18, 0xffff
	s_waitcnt vmcnt(0)
	v_cvt_f32_u32_sdwa v17, v2 dst_sel:DWORD dst_unused:UNUSED_PAD src0_sel:WORD_1
	v_cvt_f32_u32_sdwa v16, v2 dst_sel:DWORD dst_unused:UNUSED_PAD src0_sel:WORD_0
	v_cvt_f32_u32_sdwa v21, v3 dst_sel:DWORD dst_unused:UNUSED_PAD src0_sel:WORD_1
	v_cvt_f32_u32_sdwa v20, v3 dst_sel:DWORD dst_unused:UNUSED_PAD src0_sel:WORD_0
	v_cvt_f32_u32_sdwa v23, v4 dst_sel:DWORD dst_unused:UNUSED_PAD src0_sel:WORD_1
	v_cvt_f32_u32_sdwa v22, v4 dst_sel:DWORD dst_unused:UNUSED_PAD src0_sel:WORD_0
	v_cvt_f32_u32_sdwa v25, v5 dst_sel:DWORD dst_unused:UNUSED_PAD src0_sel:WORD_1
	v_cvt_f32_u32_sdwa v24, v5 dst_sel:DWORD dst_unused:UNUSED_PAD src0_sel:WORD_0
	v_pk_add_f32 v[2:3], v[6:7], v[16:17]
	v_pk_add_f32 v[4:5], v[8:9], v[20:21]
	;; [unrolled: 1-line block ×4, first 2 shown]
	v_perm_b32 v17, v9, v8, s17
	v_perm_b32 v16, v7, v6, s17
	;; [unrolled: 1-line block ×4, first 2 shown]
	buffer_store_dwordx4 v[14:17], v26, s[36:39], 0 offen glc slc
	;;#ASMSTART
	s_nop 0
	;;#ASMEND
.LBB576_10:
	s_or_b64 exec, exec, s[2:3]
.LBB576_11:
	s_waitcnt vmcnt(1)
	v_mul_f32_e32 v14, v3, v3
	v_fmac_f32_e32 v14, v2, v2
	v_fmac_f32_e32 v14, v4, v4
	;; [unrolled: 1-line block ×7, first 2 shown]
	v_and_b32_e32 v16, 63, v0
	v_cmp_eq_u32_e64 s[2:3], 63, v16
	v_mov_b32_dpp v15, v14 quad_perm:[1,0,3,2] row_mask:0xf bank_mask:0xf
	v_add_f32_e32 v14, v14, v15
	s_nop 1
	v_mov_b32_dpp v15, v14 quad_perm:[2,3,0,1] row_mask:0xf bank_mask:0xf
	v_add_f32_e32 v14, v14, v15
	s_nop 1
	v_mov_b32_dpp v15, v14 row_half_mirror row_mask:0xf bank_mask:0xf
	v_add_f32_e32 v14, v14, v15
	s_nop 1
	v_mov_b32_dpp v15, v14 row_mirror row_mask:0xf bank_mask:0xf
	v_add_f32_e32 v14, v14, v15
	s_nop 1
	v_mov_b32_dpp v15, v14 row_bcast:15 row_mask:0xf bank_mask:0xf
	v_add_f32_e32 v14, v14, v15
	s_nop 1
	v_mov_b32_dpp v15, v14 row_bcast:31 row_mask:0xf bank_mask:0xf
	s_waitcnt lgkmcnt(0)
	s_and_saveexec_b64 s[18:19], s[2:3]
	s_cbranch_execz .LBB576_13
; %bb.12:
	v_add_f32_e32 v14, v14, v15
	v_lshrrev_b32_e32 v15, 4, v0
	v_and_b32_e32 v15, 60, v15
	ds_write_b32 v15, v14 offset:16
.LBB576_13:
	s_or_b64 exec, exec, s[18:19]
	v_and_b32_e32 v15, 3, v0
	v_lshlrev_b32_e32 v14, 2, v15
	s_waitcnt lgkmcnt(0)
	s_barrier
	ds_read_b32 v16, v14 offset:16
	s_load_dwordx2 s[18:19], s[4:5], 0x18
	s_waitcnt lgkmcnt(0)
	v_mov_b32_dpp v17, v16 quad_perm:[1,0,3,2] row_mask:0xf bank_mask:0xf
	v_add_f32_e32 v16, v16, v17
	s_nop 1
	v_mov_b32_dpp v17, v16 quad_perm:[2,3,0,1] row_mask:0xf bank_mask:0xf
	s_and_saveexec_b64 s[34:35], s[0:1]
	s_cbranch_execnz .LBB576_18
; %bb.14:
	s_or_b64 exec, exec, s[34:35]
	s_mov_b64 s[8:9], -1
	s_and_b64 vcc, exec, s[30:31]
	s_cbranch_vccnz .LBB576_19
.LBB576_15:
	s_andn2_b64 vcc, exec, s[8:9]
	s_cbranch_vccz .LBB576_22
.LBB576_16:
	s_cmp_lt_i32 s24, 1
	s_cbranch_scc0 .LBB576_31
.LBB576_17:
	s_endpgm
.LBB576_18:
	v_cvt_f32_u32_e32 v18, s7
	v_add_f32_e32 v16, v16, v17
	v_mov_b32_e32 v20, s21
	v_mov_b32_e32 v21, s20
	v_div_scale_f32 v17, s[36:37], v18, v18, v16
	v_rcp_f32_e32 v19, v17
	v_cndmask_b32_e64 v20, v20, v21, s[8:9]
	s_mov_b32 s7, 0x800000
	v_fma_f32 v21, -v17, v19, 1.0
	v_fmac_f32_e32 v19, v21, v19
	v_div_scale_f32 v21, vcc, v16, v18, v16
	v_mul_f32_e32 v22, v21, v19
	v_fma_f32 v23, -v17, v22, v21
	v_fmac_f32_e32 v22, v23, v19
	v_fma_f32 v17, -v17, v22, v21
	v_div_fmas_f32 v17, v17, v19, v22
	v_div_fixup_f32 v16, v17, v18, v16
	v_add_f32_e32 v16, v20, v16
	v_mul_f32_e32 v17, 0x4b800000, v16
	v_cmp_gt_f32_e32 vcc, s7, v16
	v_cndmask_b32_e32 v16, v16, v17, vcc
	v_rsq_f32_e32 v16, v16
	s_waitcnt vmcnt(0)
	v_cvt_f32_u32_sdwa v19, v11 dst_sel:DWORD dst_unused:UNUSED_PAD src0_sel:WORD_1
	v_cvt_f32_u32_sdwa v18, v11 dst_sel:DWORD dst_unused:UNUSED_PAD src0_sel:WORD_0
	v_cvt_f32_u32_sdwa v11, v12 dst_sel:DWORD dst_unused:UNUSED_PAD src0_sel:WORD_1
	v_mul_f32_e32 v17, 0x45800000, v16
	v_cndmask_b32_e32 v16, v16, v17, vcc
	v_mov_b32_e32 v17, v16
	;;#ASMSTART
	v_pk_mul_f32 v[2:3], v[2:3], v[16:17]
	;;#ASMEND
	;;#ASMSTART
	v_pk_mul_f32 v[4:5], v[4:5], v[16:17]
	;;#ASMEND
	;; [unrolled: 3-line block ×4, first 2 shown]
	v_cvt_f32_u32_sdwa v17, v10 dst_sel:DWORD dst_unused:UNUSED_PAD src0_sel:WORD_1
	v_cvt_f32_u32_sdwa v16, v10 dst_sel:DWORD dst_unused:UNUSED_PAD src0_sel:WORD_0
	v_cvt_f32_u32_sdwa v10, v12 dst_sel:DWORD dst_unused:UNUSED_PAD src0_sel:WORD_0
	v_cvt_f32_u32_sdwa v21, v13 dst_sel:DWORD dst_unused:UNUSED_PAD src0_sel:WORD_1
	v_cvt_f32_u32_sdwa v20, v13 dst_sel:DWORD dst_unused:UNUSED_PAD src0_sel:WORD_0
	;;#ASMSTART
	v_pk_mul_f32 v[2:3], v[2:3], v[16:17]
	;;#ASMEND
	;;#ASMSTART
	v_pk_mul_f32 v[4:5], v[4:5], v[18:19]
	;;#ASMEND
	;; [unrolled: 3-line block ×4, first 2 shown]
	s_or_b64 exec, exec, s[34:35]
	s_mov_b64 s[8:9], -1
	s_and_b64 vcc, exec, s[30:31]
	s_cbranch_vccz .LBB576_15
.LBB576_19:
	s_and_saveexec_b64 s[8:9], s[0:1]
	s_cbranch_execz .LBB576_21
; %bb.20:
	s_mul_hi_i32 s31, s16, s6
	s_mul_i32 s30, s16, s6
	s_lshl_b64 s[30:31], s[30:31], 1
	s_add_u32 s36, s18, s30
	s_addc_u32 s7, s19, s31
	s_and_b32 s37, s7, 0xffff
	s_mov_b32 s7, 0x7060302
	s_mov_b32 s39, 0x20000
	s_waitcnt vmcnt(0)
	v_perm_b32 v10, v3, v2, s7
	v_perm_b32 v11, v5, v4, s7
	;; [unrolled: 1-line block ×4, first 2 shown]
	v_lshlrev_b32_e32 v16, 4, v0
	buffer_store_dwordx4 v[10:13], v16, s[36:39], 0 offen
	;;#ASMSTART
	s_nop 0
	;;#ASMEND
.LBB576_21:
	s_or_b64 exec, exec, s[8:9]
	s_cbranch_execnz .LBB576_16
.LBB576_22:
	s_waitcnt vmcnt(0)
	v_mov_b32_e32 v10, 0
	s_and_saveexec_b64 s[8:9], s[0:1]
	s_cbranch_execz .LBB576_24
; %bb.23:
	s_load_dwordx2 s[30:31], s[4:5], 0x10
	s_mul_hi_i32 s35, s15, s6
	s_mul_i32 s34, s15, s6
	s_lshl_b64 s[34:35], s[34:35], 1
	s_mov_b32 s39, 0x20000
	s_waitcnt lgkmcnt(0)
	s_add_u32 s36, s30, s34
	s_addc_u32 s7, s31, s35
	s_and_b32 s37, s7, 0xffff
	s_mov_b32 s7, 0x7060302
	v_perm_b32 v10, v3, v2, s7
	v_perm_b32 v11, v5, v4, s7
	;; [unrolled: 1-line block ×4, first 2 shown]
	v_lshlrev_b32_e32 v16, 4, v0
	buffer_store_dwordx4 v[10:13], v16, s[36:39], 0 offen
	;;#ASMSTART
	s_nop 0
	;;#ASMEND
	s_nop 0
	v_mov_b32_e32 v10, 0x2edbe6ff
.LBB576_24:
	s_or_b64 exec, exec, s[8:9]
	s_and_saveexec_b64 s[8:9], s[0:1]
	s_cbranch_execz .LBB576_26
; %bb.25:
	v_and_b32_e32 v2, 0x7fffffff, v2
	v_and_b32_e32 v3, 0x7fffffff, v3
	;;#ASMSTART
	v_max3_f32 v2, v10, v2, v3

	;;#ASMEND
	v_and_b32_e32 v3, 0x7fffffff, v4
	v_and_b32_e32 v4, 0x7fffffff, v5
	;;#ASMSTART
	v_max3_f32 v2, v2, v3, v4

	;;#ASMEND
	;; [unrolled: 6-line block ×4, first 2 shown]
.LBB576_26:
	s_or_b64 exec, exec, s[8:9]
	v_cmp_eq_u32_e32 vcc, 0, v15
	v_cmp_gt_i32_e64 s[8:9], s23, v1
	s_and_b64 s[30:31], vcc, s[8:9]
	;;#ASMSTART
	v_max_f32 v3, v10, v10 quad_perm:[1,0,3,2] row_mask:0xf bank_mask:0xf bound_ctrl:1
	;;#ASMEND
	;;#ASMSTART
	v_max_f32 v2, v3, v3 quad_perm:[2,3,0,1] row_mask:0xf bank_mask:0xf bound_ctrl:1
	;;#ASMEND
	s_and_saveexec_b64 s[8:9], s[30:31]
	s_cbranch_execz .LBB576_28
; %bb.27:
	s_load_dwordx2 s[30:31], s[4:5], 0x8
	v_mul_f32_e32 v2, 0x3e2aaaab, v2
	v_lshrrev_b32_e32 v3, 23, v2
	v_and_b32_e32 v4, 0x7f800000, v2
	v_and_b32_e32 v2, 0x7fffff, v2
	v_cmp_ne_u32_e32 vcc, 0, v2
	s_mul_hi_i32 s15, s13, s6
	s_mul_i32 s13, s13, s6
	s_mov_b32 s7, 0x7f800000
	v_addc_co_u32_e32 v2, vcc, 0, v3, vcc
	s_waitcnt lgkmcnt(0)
	s_add_u32 s30, s30, s13
	v_cmp_ne_u32_e32 vcc, s7, v4
	s_addc_u32 s31, s31, s15
	v_lshrrev_b32_e32 v5, 2, v0
	v_cndmask_b32_e32 v4, -1, v2, vcc
	v_pk_mov_b32 v[2:3], s[30:31], s[30:31] op_sel:[0,1]
	v_mad_i64_i32 v[2:3], s[14:15], s14, v5, v[2:3]
	global_store_byte v[2:3], v4, off
.LBB576_28:
	s_or_b64 exec, exec, s[8:9]
	s_and_saveexec_b64 s[8:9], s[0:1]
	s_cbranch_execz .LBB576_30
; %bb.29:
	s_load_dwordx2 s[0:1], s[4:5], 0x0
	s_mul_hi_i32 s7, s12, s6
	s_mul_i32 s12, s12, s6
	v_lshlrev_b32_e32 v2, 2, v0
	s_mov_b32 s15, 0x20000
	s_waitcnt lgkmcnt(0)
	s_add_u32 s12, s0, s12
	s_addc_u32 s0, s1, s7
	s_lshr_b32 s1, s23, 31
	s_add_i32 s1, s23, s1
	s_ashr_i32 s1, s1, 1
	s_add_i32 s1, s1, 3
	s_ashr_i32 s7, s1, 31
	s_lshr_b32 s7, s7, 30
	s_add_i32 s1, s1, s7
	s_and_b32 s14, s1, -4
	s_and_b32 s13, s0, 0xffff
	v_mov_b32_e32 v3, 0
	buffer_store_dword v3, v2, s[12:15], 0 offen
	;;#ASMSTART
	s_nop 0
	;;#ASMEND
.LBB576_30:
	s_or_b64 exec, exec, s[8:9]
	s_cmp_lt_i32 s24, 1
	s_cbranch_scc1 .LBB576_17
.LBB576_31:
	s_load_dword s0, s[4:5], 0x94
	s_waitcnt lgkmcnt(0)
	s_cmp_lg_u32 s0, 1
	s_cbranch_scc1 .LBB576_17
; %bb.32:
	s_lshl_b32 s0, s24, 1
	s_add_i32 s0, s0, 2
	v_cmp_gt_u32_e32 vcc, s24, v1
	s_and_b32 s30, s0, -4
	v_mov_b32_e32 v6, 0
	v_lshlrev_b32_e32 v1, 4, v0
	v_mov_b32_e32 v7, 0
	v_mov_b32_e32 v8, 0
	;; [unrolled: 1-line block ×7, first 2 shown]
	s_barrier
	s_and_saveexec_b64 s[0:1], vcc
	s_cbranch_execz .LBB576_34
; %bb.33:
	s_mul_hi_i32 s5, s26, s6
	s_mul_i32 s4, s26, s6
	s_and_b32 s29, s29, 0xffff
	s_lshl_b64 s[4:5], s[4:5], 1
	s_add_u32 s8, s10, s4
	s_mov_b32 s31, 0x20000
	s_addc_u32 s4, s11, s5
	s_and_b32 s9, s4, 0xffff
	s_mov_b32 s10, s30
	s_mov_b32 s11, s31
	buffer_load_dwordx4 v[6:9], v1, s[8:11], 0 offen glc slc
	buffer_load_dwordx4 v[2:5], v1, s[28:31], 0 offen
.LBB576_34:
	s_or_b64 exec, exec, s[0:1]
	s_waitcnt vmcnt(0)
	v_cvt_f32_u32_sdwa v13, v6 dst_sel:DWORD dst_unused:UNUSED_PAD src0_sel:WORD_1
	v_cvt_f32_u32_sdwa v12, v6 dst_sel:DWORD dst_unused:UNUSED_PAD src0_sel:WORD_0
	v_cvt_f32_u32_sdwa v6, v9 dst_sel:DWORD dst_unused:UNUSED_PAD src0_sel:WORD_1
	v_cvt_f32_u32_sdwa v9, v9 dst_sel:DWORD dst_unused:UNUSED_PAD src0_sel:WORD_0
	;; [unrolled: 2-line block ×4, first 2 shown]
	v_cndmask_b32_e32 v13, 0, v13, vcc
	v_cndmask_b32_e32 v7, 0, v6, vcc
	v_cndmask_b32_e32 v6, 0, v9, vcc
	v_cndmask_b32_e32 v9, 0, v15, vcc
	v_cndmask_b32_e32 v12, 0, v12, vcc
	v_mul_f32_e32 v15, v13, v13
	v_cndmask_b32_e32 v10, 0, v10, vcc
	v_fmac_f32_e32 v15, v12, v12
	v_cndmask_b32_e32 v11, 0, v11, vcc
	v_fmac_f32_e32 v15, v10, v10
	;; [unrolled: 2-line block ×3, first 2 shown]
	v_fmac_f32_e32 v15, v8, v8
	v_fmac_f32_e32 v15, v9, v9
	;; [unrolled: 1-line block ×4, first 2 shown]
	s_nop 1
	v_mov_b32_dpp v16, v15 quad_perm:[1,0,3,2] row_mask:0xf bank_mask:0xf
	v_add_f32_e32 v15, v15, v16
	s_nop 1
	v_mov_b32_dpp v16, v15 quad_perm:[2,3,0,1] row_mask:0xf bank_mask:0xf
	v_add_f32_e32 v15, v15, v16
	s_nop 1
	v_mov_b32_dpp v16, v15 row_half_mirror row_mask:0xf bank_mask:0xf
	v_add_f32_e32 v15, v15, v16
	s_nop 1
	v_mov_b32_dpp v16, v15 row_mirror row_mask:0xf bank_mask:0xf
	v_add_f32_e32 v15, v15, v16
	s_nop 1
	v_mov_b32_dpp v16, v15 row_bcast:15 row_mask:0xf bank_mask:0xf
	v_add_f32_e32 v15, v15, v16
	s_nop 1
	v_mov_b32_dpp v16, v15 row_bcast:31 row_mask:0xf bank_mask:0xf
	s_and_saveexec_b64 s[0:1], s[2:3]
	s_cbranch_execz .LBB576_36
; %bb.35:
	v_lshrrev_b32_e32 v0, 4, v0
	v_add_f32_e32 v15, v15, v16
	v_and_b32_e32 v0, 60, v0
	ds_write_b32 v0, v15
.LBB576_36:
	s_or_b64 exec, exec, s[0:1]
	s_waitcnt lgkmcnt(0)
	s_barrier
	ds_read_b32 v0, v14
	s_waitcnt lgkmcnt(0)
	s_nop 0
	v_mov_b32_dpp v14, v0 quad_perm:[1,0,3,2] row_mask:0xf bank_mask:0xf
	v_add_f32_e32 v0, v0, v14
	s_nop 1
	v_mov_b32_dpp v14, v0 quad_perm:[2,3,0,1] row_mask:0xf bank_mask:0xf
	s_and_saveexec_b64 s[0:1], vcc
	s_cbranch_execz .LBB576_17
; %bb.37:
	v_cvt_f32_u32_e32 v15, s24
	v_add_f32_e32 v0, v0, v14
	s_mov_b32 s31, 0x20000
	v_div_scale_f32 v14, s[0:1], v15, v15, v0
	v_rcp_f32_e32 v16, v14
	v_div_scale_f32 v17, vcc, v0, v15, v0
	s_mov_b32 s0, 0x800000
	v_fma_f32 v18, -v14, v16, 1.0
	v_fmac_f32_e32 v16, v18, v16
	v_mul_f32_e32 v18, v17, v16
	v_fma_f32 v19, -v14, v18, v17
	v_fmac_f32_e32 v18, v19, v16
	v_fma_f32 v14, -v14, v18, v17
	v_div_fmas_f32 v14, v14, v16, v18
	v_div_fixup_f32 v0, v14, v15, v0
	v_add_f32_e32 v0, s21, v0
	v_mul_f32_e32 v14, 0x4b800000, v0
	v_cmp_gt_f32_e32 vcc, s0, v0
	v_cndmask_b32_e32 v0, v0, v14, vcc
	v_rsq_f32_e32 v0, v0
	s_mul_hi_i32 s1, s16, s6
	s_mul_i32 s0, s16, s6
	s_lshl_b64 s[0:1], s[0:1], 1
	v_mul_f32_e32 v14, 0x45800000, v0
	v_cndmask_b32_e32 v14, v0, v14, vcc
	s_add_u32 s28, s18, s0
	v_mov_b32_e32 v15, v14
	s_addc_u32 s0, s19, s1
	;;#ASMSTART
	v_pk_mul_f32 v[12:13], v[12:13], v[14:15]
	;;#ASMEND
	;;#ASMSTART
	v_pk_mul_f32 v[10:11], v[10:11], v[14:15]
	;;#ASMEND
	;; [unrolled: 3-line block ×4, first 2 shown]
	v_cvt_f32_u32_sdwa v15, v2 dst_sel:DWORD dst_unused:UNUSED_PAD src0_sel:WORD_1
	v_cvt_f32_u32_sdwa v14, v2 dst_sel:DWORD dst_unused:UNUSED_PAD src0_sel:WORD_0
	v_cvt_f32_u32_sdwa v17, v3 dst_sel:DWORD dst_unused:UNUSED_PAD src0_sel:WORD_1
	v_cvt_f32_u32_sdwa v16, v3 dst_sel:DWORD dst_unused:UNUSED_PAD src0_sel:WORD_0
	;; [unrolled: 2-line block ×4, first 2 shown]
	;;#ASMSTART
	v_pk_mul_f32 v[4:5], v[12:13], v[14:15]
	;;#ASMEND
	s_and_b32 s29, s0, 0xffff
	s_mov_b32 s0, 0x7060302
	;;#ASMSTART
	v_pk_mul_f32 v[10:11], v[10:11], v[16:17]
	;;#ASMEND
	;;#ASMSTART
	v_pk_mul_f32 v[8:9], v[8:9], v[2:3]
	;;#ASMEND
	;; [unrolled: 3-line block ×3, first 2 shown]
	v_perm_b32 v2, v5, v4, s0
	v_perm_b32 v3, v11, v10, s0
	;; [unrolled: 1-line block ×4, first 2 shown]
	buffer_store_dwordx4 v[2:5], v1, s[28:31], 0 offen
	;;#ASMSTART
	s_nop 0
	;;#ASMEND
	s_endpgm
	.section	.rodata,"a",@progbits
	.p2align	6, 0x0
	.amdhsa_kernel _ZN5aiter35fused_qk_rmsnorm_group_quant_kernelItN4opus5fp4_tELi256ELi8ELi4ELb1ELb1ELb0ELb0ELb0ELb0EEEvPT0_PvPT_S7_S7_PKS6_S9_S9_S9_S9_ffiiiiiiiiiiiii
		.amdhsa_group_segment_fixed_size 32
		.amdhsa_private_segment_fixed_size 0
		.amdhsa_kernarg_size 400
		.amdhsa_user_sgpr_count 6
		.amdhsa_user_sgpr_private_segment_buffer 1
		.amdhsa_user_sgpr_dispatch_ptr 0
		.amdhsa_user_sgpr_queue_ptr 0
		.amdhsa_user_sgpr_kernarg_segment_ptr 1
		.amdhsa_user_sgpr_dispatch_id 0
		.amdhsa_user_sgpr_flat_scratch_init 0
		.amdhsa_user_sgpr_kernarg_preload_length 0
		.amdhsa_user_sgpr_kernarg_preload_offset 0
		.amdhsa_user_sgpr_private_segment_size 0
		.amdhsa_uses_dynamic_stack 0
		.amdhsa_system_sgpr_private_segment_wavefront_offset 0
		.amdhsa_system_sgpr_workgroup_id_x 1
		.amdhsa_system_sgpr_workgroup_id_y 1
		.amdhsa_system_sgpr_workgroup_id_z 0
		.amdhsa_system_sgpr_workgroup_info 0
		.amdhsa_system_vgpr_workitem_id 0
		.amdhsa_next_free_vgpr 27
		.amdhsa_next_free_sgpr 48
		.amdhsa_accum_offset 28
		.amdhsa_reserve_vcc 1
		.amdhsa_reserve_flat_scratch 0
		.amdhsa_float_round_mode_32 0
		.amdhsa_float_round_mode_16_64 0
		.amdhsa_float_denorm_mode_32 3
		.amdhsa_float_denorm_mode_16_64 3
		.amdhsa_dx10_clamp 1
		.amdhsa_ieee_mode 1
		.amdhsa_fp16_overflow 0
		.amdhsa_tg_split 0
		.amdhsa_exception_fp_ieee_invalid_op 0
		.amdhsa_exception_fp_denorm_src 0
		.amdhsa_exception_fp_ieee_div_zero 0
		.amdhsa_exception_fp_ieee_overflow 0
		.amdhsa_exception_fp_ieee_underflow 0
		.amdhsa_exception_fp_ieee_inexact 0
		.amdhsa_exception_int_div_zero 0
	.end_amdhsa_kernel
	.section	.text._ZN5aiter35fused_qk_rmsnorm_group_quant_kernelItN4opus5fp4_tELi256ELi8ELi4ELb1ELb1ELb0ELb0ELb0ELb0EEEvPT0_PvPT_S7_S7_PKS6_S9_S9_S9_S9_ffiiiiiiiiiiiii,"axG",@progbits,_ZN5aiter35fused_qk_rmsnorm_group_quant_kernelItN4opus5fp4_tELi256ELi8ELi4ELb1ELb1ELb0ELb0ELb0ELb0EEEvPT0_PvPT_S7_S7_PKS6_S9_S9_S9_S9_ffiiiiiiiiiiiii,comdat
.Lfunc_end576:
	.size	_ZN5aiter35fused_qk_rmsnorm_group_quant_kernelItN4opus5fp4_tELi256ELi8ELi4ELb1ELb1ELb0ELb0ELb0ELb0EEEvPT0_PvPT_S7_S7_PKS6_S9_S9_S9_S9_ffiiiiiiiiiiiii, .Lfunc_end576-_ZN5aiter35fused_qk_rmsnorm_group_quant_kernelItN4opus5fp4_tELi256ELi8ELi4ELb1ELb1ELb0ELb0ELb0ELb0EEEvPT0_PvPT_S7_S7_PKS6_S9_S9_S9_S9_ffiiiiiiiiiiiii
                                        ; -- End function
	.section	.AMDGPU.csdata,"",@progbits
; Kernel info:
; codeLenInByte = 2856
; NumSgprs: 52
; NumVgprs: 27
; NumAgprs: 0
; TotalNumVgprs: 27
; ScratchSize: 0
; MemoryBound: 0
; FloatMode: 240
; IeeeMode: 1
; LDSByteSize: 32 bytes/workgroup (compile time only)
; SGPRBlocks: 6
; VGPRBlocks: 3
; NumSGPRsForWavesPerEU: 52
; NumVGPRsForWavesPerEU: 27
; AccumOffset: 28
; Occupancy: 8
; WaveLimiterHint : 0
; COMPUTE_PGM_RSRC2:SCRATCH_EN: 0
; COMPUTE_PGM_RSRC2:USER_SGPR: 6
; COMPUTE_PGM_RSRC2:TRAP_HANDLER: 0
; COMPUTE_PGM_RSRC2:TGID_X_EN: 1
; COMPUTE_PGM_RSRC2:TGID_Y_EN: 1
; COMPUTE_PGM_RSRC2:TGID_Z_EN: 0
; COMPUTE_PGM_RSRC2:TIDIG_COMP_CNT: 0
; COMPUTE_PGM_RSRC3_GFX90A:ACCUM_OFFSET: 6
; COMPUTE_PGM_RSRC3_GFX90A:TG_SPLIT: 0
	.section	.text._ZN5aiter35fused_qk_rmsnorm_group_quant_kernelIDF16_DB8_Li256ELi8ELi4ELb1ELb0ELb1ELb0ELb0ELb0EEEvPT0_PvPT_S6_S6_PKS5_S8_S8_S8_S8_ffiiiiiiiiiiiii,"axG",@progbits,_ZN5aiter35fused_qk_rmsnorm_group_quant_kernelIDF16_DB8_Li256ELi8ELi4ELb1ELb0ELb1ELb0ELb0ELb0EEEvPT0_PvPT_S6_S6_PKS5_S8_S8_S8_S8_ffiiiiiiiiiiiii,comdat
	.protected	_ZN5aiter35fused_qk_rmsnorm_group_quant_kernelIDF16_DB8_Li256ELi8ELi4ELb1ELb0ELb1ELb0ELb0ELb0EEEvPT0_PvPT_S6_S6_PKS5_S8_S8_S8_S8_ffiiiiiiiiiiiii ; -- Begin function _ZN5aiter35fused_qk_rmsnorm_group_quant_kernelIDF16_DB8_Li256ELi8ELi4ELb1ELb0ELb1ELb0ELb0ELb0EEEvPT0_PvPT_S6_S6_PKS5_S8_S8_S8_S8_ffiiiiiiiiiiiii
	.globl	_ZN5aiter35fused_qk_rmsnorm_group_quant_kernelIDF16_DB8_Li256ELi8ELi4ELb1ELb0ELb1ELb0ELb0ELb0EEEvPT0_PvPT_S6_S6_PKS5_S8_S8_S8_S8_ffiiiiiiiiiiiii
	.p2align	8
	.type	_ZN5aiter35fused_qk_rmsnorm_group_quant_kernelIDF16_DB8_Li256ELi8ELi4ELb1ELb0ELb1ELb0ELb0ELb0EEEvPT0_PvPT_S6_S6_PKS5_S8_S8_S8_S8_ffiiiiiiiiiiiii,@function
_ZN5aiter35fused_qk_rmsnorm_group_quant_kernelIDF16_DB8_Li256ELi8ELi4ELb1ELb0ELb1ELb0ELb0ELb0EEEvPT0_PvPT_S6_S6_PKS5_S8_S8_S8_S8_ffiiiiiiiiiiiii: ; @_ZN5aiter35fused_qk_rmsnorm_group_quant_kernelIDF16_DB8_Li256ELi8ELi4ELb1ELb0ELb1ELb0ELb0ELb0EEEvPT0_PvPT_S6_S6_PKS5_S8_S8_S8_S8_ffiiiiiiiiiiiii
; %bb.0:
	s_load_dwordx8 s[12:19], s[4:5], 0x50
	s_waitcnt lgkmcnt(0)
	s_cmp_ge_i32 s6, s14
	s_cbranch_scc1 .LBB577_17
; %bb.1:
	s_cmp_lg_u32 s7, 0
	s_cselect_b64 s[10:11], -1, 0
	s_cmp_eq_u32 s7, 0
	s_cselect_b64 s[8:9], -1, 0
	s_and_b64 s[0:1], s[8:9], exec
	s_load_dwordx2 s[20:21], s[4:5], 0x48
	s_load_dwordx2 s[36:37], s[4:5], 0x30
	s_load_dwordx4 s[24:27], s[4:5], 0x70
	s_cselect_b32 s7, s15, s16
	s_add_i32 s0, s7, 1
	s_lshr_b32 s1, s0, 31
	s_add_i32 s0, s0, s1
	s_lshl_b32 s0, s0, 1
	v_lshlrev_b32_e32 v1, 3, v0
	s_and_b32 s30, s0, -4
	v_cmp_gt_i32_e64 s[0:1], s7, v1
	v_mov_b32_e32 v20, 0
	v_mov_b32_e32 v21, 0
	;; [unrolled: 1-line block ×8, first 2 shown]
	s_and_saveexec_b64 s[2:3], s[0:1]
	s_cbranch_execz .LBB577_3
; %bb.2:
	s_load_dwordx2 s[22:23], s[4:5], 0x28
	s_load_dwordx2 s[28:29], s[4:5], 0x40
	s_and_b64 s[34:35], s[8:9], exec
	s_cselect_b32 s14, s17, s18
	s_mov_b32 s31, 0x20000
	s_waitcnt lgkmcnt(0)
	s_cselect_b32 s17, s23, s37
	s_cselect_b32 s27, s22, s36
	s_mul_hi_i32 s23, s14, s6
	s_mul_i32 s22, s14, s6
	s_lshl_b64 s[22:23], s[22:23], 1
	s_add_u32 s40, s27, s22
	s_addc_u32 s14, s17, s23
	s_and_b64 s[22:23], s[8:9], exec
	s_cselect_b32 s28, s28, s20
	s_cselect_b32 s17, s29, s21
	v_lshlrev_b32_e32 v2, 4, v0
	s_and_b32 s41, s14, 0xffff
	s_mov_b32 s42, s30
	s_mov_b32 s43, s31
	s_and_b32 s29, s17, 0xffff
	buffer_load_dwordx4 v[24:27], v2, s[40:43], 0 offen glc slc
	buffer_load_dwordx4 v[20:23], v2, s[28:31], 0 offen
.LBB577_3:
	s_or_b64 exec, exec, s[2:3]
	s_load_dwordx2 s[34:35], s[4:5], 0x80
	s_and_b64 vcc, exec, s[10:11]
	s_cbranch_vccz .LBB577_7
; %bb.4:
	v_mov_b32_e32 v29, 0
	v_mov_b32_e32 v28, 0
	;; [unrolled: 1-line block ×8, first 2 shown]
	s_and_saveexec_b64 s[2:3], s[0:1]
	s_cbranch_execz .LBB577_6
; %bb.5:
	s_waitcnt vmcnt(1)
	v_cvt_f32_f16_sdwa v11, v24 dst_sel:DWORD dst_unused:UNUSED_PAD src0_sel:WORD_1
	v_cvt_f32_f16_e32 v10, v24
	v_cvt_f32_f16_sdwa v15, v25 dst_sel:DWORD dst_unused:UNUSED_PAD src0_sel:WORD_1
	v_cvt_f32_f16_e32 v14, v25
	;; [unrolled: 2-line block ×4, first 2 shown]
.LBB577_6:
	s_or_b64 exec, exec, s[2:3]
	s_cbranch_execz .LBB577_8
	s_branch .LBB577_11
.LBB577_7:
                                        ; implicit-def: $vgpr10_vgpr11_vgpr12_vgpr13_vgpr14_vgpr15_vgpr16_vgpr17
                                        ; implicit-def: $vgpr29
                                        ; implicit-def: $vgpr12_vgpr13_vgpr14_vgpr15_vgpr16_vgpr17_vgpr18_vgpr19
                                        ; implicit-def: $vgpr2_vgpr3_vgpr4_vgpr5_vgpr6_vgpr7_vgpr8_vgpr9
.LBB577_8:
	v_mov_b32_e32 v29, 0
	v_mov_b32_e32 v28, 0
	v_mov_b32_e32 v7, 0
	v_mov_b32_e32 v6, 0
	v_mov_b32_e32 v15, 0
	v_mov_b32_e32 v14, 0
	v_mov_b32_e32 v11, 0
	v_mov_b32_e32 v10, 0
	s_and_saveexec_b64 s[2:3], s[0:1]
	s_cbranch_execz .LBB577_10
; %bb.9:
	s_load_dwordx2 s[22:23], s[4:5], 0x38
	s_mul_hi_i32 s29, s19, s6
	s_mul_i32 s28, s19, s6
	s_lshl_b64 s[28:29], s[28:29], 1
	s_mov_b32 s31, 0x20000
	s_waitcnt lgkmcnt(0)
	s_add_u32 s28, s22, s28
	s_addc_u32 s14, s23, s29
	s_and_b32 s29, s14, 0xffff
	v_lshlrev_b32_e32 v30, 4, v0
	buffer_load_dwordx4 v[2:5], v30, s[28:31], 0 offen glc slc
	s_waitcnt vmcnt(2)
	v_cvt_f32_f16_sdwa v7, v24 dst_sel:DWORD dst_unused:UNUSED_PAD src0_sel:WORD_1
	v_cvt_f32_f16_e32 v6, v24
	v_cvt_f32_f16_sdwa v9, v25 dst_sel:DWORD dst_unused:UNUSED_PAD src0_sel:WORD_1
	v_cvt_f32_f16_e32 v8, v25
	v_cvt_f32_f16_sdwa v13, v26 dst_sel:DWORD dst_unused:UNUSED_PAD src0_sel:WORD_1
	v_cvt_f32_f16_e32 v12, v26
	v_cvt_f32_f16_sdwa v17, v27 dst_sel:DWORD dst_unused:UNUSED_PAD src0_sel:WORD_1
	v_cvt_f32_f16_e32 v16, v27
	s_load_dwordx2 s[22:23], s[4:5], 0x20
	s_mul_hi_i32 s29, s35, s6
	s_mul_i32 s28, s35, s6
	s_lshl_b64 s[28:29], s[28:29], 1
	s_waitcnt lgkmcnt(0)
	s_add_u32 s28, s22, s28
	s_addc_u32 s14, s23, s29
	s_and_b32 s29, s14, 0xffff
	s_waitcnt vmcnt(0)
	v_cvt_f32_f16_e32 v10, v2
	v_cvt_f32_f16_sdwa v11, v2 dst_sel:DWORD dst_unused:UNUSED_PAD src0_sel:WORD_1
	v_cvt_f32_f16_e32 v2, v3
	v_cvt_f32_f16_sdwa v3, v3 dst_sel:DWORD dst_unused:UNUSED_PAD src0_sel:WORD_1
	;; [unrolled: 2-line block ×4, first 2 shown]
	v_pk_add_f32 v[10:11], v[6:7], v[10:11]
	v_pk_add_f32 v[14:15], v[8:9], v[2:3]
	;; [unrolled: 1-line block ×4, first 2 shown]
	v_cvt_f16_f32_e32 v2, v11
	v_cvt_f16_f32_e32 v3, v15
	;; [unrolled: 1-line block ×8, first 2 shown]
	v_pack_b32_f16 v5, v8, v5
	v_pack_b32_f16 v4, v9, v4
	v_pack_b32_f16 v3, v12, v3
	v_pack_b32_f16 v2, v13, v2
	buffer_store_dwordx4 v[2:5], v30, s[28:31], 0 offen glc slc
	;;#ASMSTART
	s_nop 0
	;;#ASMEND
.LBB577_10:
	s_or_b64 exec, exec, s[2:3]
.LBB577_11:
	v_mul_f32_e32 v2, v11, v11
	v_fmac_f32_e32 v2, v10, v10
	v_fmac_f32_e32 v2, v14, v14
	;; [unrolled: 1-line block ×7, first 2 shown]
	v_and_b32_e32 v4, 63, v0
	v_cmp_eq_u32_e64 s[2:3], 63, v4
	v_mov_b32_dpp v3, v2 quad_perm:[1,0,3,2] row_mask:0xf bank_mask:0xf
	v_add_f32_e32 v2, v2, v3
	s_nop 1
	v_mov_b32_dpp v3, v2 quad_perm:[2,3,0,1] row_mask:0xf bank_mask:0xf
	v_add_f32_e32 v2, v2, v3
	s_nop 1
	v_mov_b32_dpp v3, v2 row_half_mirror row_mask:0xf bank_mask:0xf
	v_add_f32_e32 v2, v2, v3
	s_nop 1
	v_mov_b32_dpp v3, v2 row_mirror row_mask:0xf bank_mask:0xf
	v_add_f32_e32 v2, v2, v3
	s_nop 1
	v_mov_b32_dpp v3, v2 row_bcast:15 row_mask:0xf bank_mask:0xf
	v_add_f32_e32 v2, v2, v3
	s_nop 1
	v_mov_b32_dpp v3, v2 row_bcast:31 row_mask:0xf bank_mask:0xf
	s_and_saveexec_b64 s[22:23], s[2:3]
	s_cbranch_execz .LBB577_13
; %bb.12:
	v_add_f32_e32 v2, v2, v3
	v_lshrrev_b32_e32 v3, 4, v0
	v_and_b32_e32 v3, 60, v3
	ds_write_b32 v3, v2 offset:16
.LBB577_13:
	s_or_b64 exec, exec, s[22:23]
	v_and_b32_e32 v2, 3, v0
	v_lshlrev_b32_e32 v18, 2, v2
	s_waitcnt lgkmcnt(0)
	s_barrier
	ds_read_b32 v3, v18 offset:16
	s_load_dwordx2 s[38:39], s[4:5], 0x18
	s_waitcnt lgkmcnt(0)
	v_mov_b32_dpp v4, v3 quad_perm:[1,0,3,2] row_mask:0xf bank_mask:0xf
	v_add_f32_e32 v3, v3, v4
	s_nop 1
	v_mov_b32_dpp v4, v3 quad_perm:[2,3,0,1] row_mask:0xf bank_mask:0xf
	s_and_saveexec_b64 s[22:23], s[0:1]
	s_cbranch_execnz .LBB577_18
; %bb.14:
	s_or_b64 exec, exec, s[22:23]
	s_mov_b64 s[8:9], -1
	s_and_b64 vcc, exec, s[10:11]
	s_cbranch_vccnz .LBB577_19
.LBB577_15:
	s_andn2_b64 vcc, exec, s[8:9]
	s_cbranch_vccz .LBB577_22
.LBB577_16:
	s_cmp_lt_i32 s16, 1
	s_cbranch_scc0 .LBB577_29
.LBB577_17:
	s_endpgm
.LBB577_18:
	v_cvt_f32_u32_e32 v5, s7
	v_add_f32_e32 v3, v3, v4
	v_mov_b32_e32 v9, s13
	v_mov_b32_e32 v12, s12
	v_div_scale_f32 v4, s[28:29], v5, v5, v3
	v_rcp_f32_e32 v8, v4
	v_cndmask_b32_e64 v9, v9, v12, s[8:9]
	s_mov_b32 s7, 0x800000
	s_waitcnt vmcnt(0)
	v_cvt_f32_f16_sdwa v17, v22 dst_sel:DWORD dst_unused:UNUSED_PAD src0_sel:WORD_1
	v_fma_f32 v12, -v4, v8, 1.0
	v_fmac_f32_e32 v8, v12, v8
	v_div_scale_f32 v12, vcc, v3, v5, v3
	v_mul_f32_e32 v13, v12, v8
	v_fma_f32 v16, -v4, v13, v12
	v_fmac_f32_e32 v13, v16, v8
	v_fma_f32 v4, -v4, v13, v12
	v_div_fmas_f32 v4, v4, v8, v13
	v_div_fixup_f32 v3, v4, v5, v3
	v_add_f32_e32 v3, v9, v3
	v_mul_f32_e32 v4, 0x4b800000, v3
	v_cmp_gt_f32_e32 vcc, s7, v3
	v_cndmask_b32_e32 v3, v3, v4, vcc
	v_rsq_f32_e32 v3, v3
	v_cvt_f32_f16_e32 v16, v22
	v_mul_f32_e32 v4, 0x45800000, v3
	v_cndmask_b32_e32 v4, v3, v4, vcc
	v_mov_b32_e32 v5, v4
	;;#ASMSTART
	v_pk_mul_f32 v[8:9], v[10:11], v[4:5]
	;;#ASMEND
	v_cvt_f32_f16_sdwa v11, v20 dst_sel:DWORD dst_unused:UNUSED_PAD src0_sel:WORD_1
	v_cvt_f32_f16_e32 v10, v20
	;;#ASMSTART
	v_pk_mul_f32 v[12:13], v[14:15], v[4:5]
	;;#ASMEND
	v_cvt_f32_f16_sdwa v15, v21 dst_sel:DWORD dst_unused:UNUSED_PAD src0_sel:WORD_1
	v_cvt_f32_f16_e32 v14, v21
	v_cvt_f32_f16_sdwa v21, v23 dst_sel:DWORD dst_unused:UNUSED_PAD src0_sel:WORD_1
	v_cvt_f32_f16_e32 v20, v23
	v_pk_add_f32 v[10:11], v[10:11], 1.0 op_sel_hi:[1,0]
	;;#ASMSTART
	v_pk_mul_f32 v[6:7], v[6:7], v[4:5]
	;;#ASMEND
	;;#ASMSTART
	v_pk_mul_f32 v[4:5], v[28:29], v[4:5]
	;;#ASMEND
	;; [unrolled: 3-line block ×3, first 2 shown]
	v_pk_add_f32 v[8:9], v[14:15], 1.0 op_sel_hi:[1,0]
	;;#ASMSTART
	v_pk_mul_f32 v[14:15], v[12:13], v[8:9]
	;;#ASMEND
	v_pk_add_f32 v[8:9], v[16:17], 1.0 op_sel_hi:[1,0]
	;;#ASMSTART
	v_pk_mul_f32 v[6:7], v[6:7], v[8:9]
	;;#ASMEND
	;; [unrolled: 4-line block ×3, first 2 shown]
	s_or_b64 exec, exec, s[22:23]
	s_mov_b64 s[8:9], -1
	s_and_b64 vcc, exec, s[10:11]
	s_cbranch_vccz .LBB577_15
.LBB577_19:
	s_and_saveexec_b64 s[8:9], s[0:1]
	s_cbranch_execz .LBB577_21
; %bb.20:
	s_mul_hi_i32 s11, s34, s6
	s_mul_i32 s10, s34, s6
	v_cvt_f16_f32_e32 v3, v10
	v_cvt_f16_f32_e32 v4, v14
	v_cvt_f16_f32_e32 v5, v6
	v_cvt_f16_f32_e32 v8, v28
	v_cvt_f16_f32_e32 v9, v29
	v_cvt_f16_f32_e32 v12, v7
	v_cvt_f16_f32_e32 v13, v15
	v_cvt_f16_f32_e32 v16, v11
	s_lshl_b64 s[10:11], s[10:11], 1
	s_add_u32 s28, s38, s10
	s_addc_u32 s7, s39, s11
	s_and_b32 s29, s7, 0xffff
	s_mov_b32 s31, 0x20000
	s_waitcnt vmcnt(0)
	v_pack_b32_f16 v23, v8, v9
	v_pack_b32_f16 v22, v5, v12
	;; [unrolled: 1-line block ×4, first 2 shown]
	v_lshlrev_b32_e32 v3, 4, v0
	buffer_store_dwordx4 v[20:23], v3, s[28:31], 0 offen
	;;#ASMSTART
	s_nop 0
	;;#ASMEND
.LBB577_21:
	s_or_b64 exec, exec, s[8:9]
	s_cbranch_execnz .LBB577_16
.LBB577_22:
	v_mov_b32_e32 v3, 0
	s_and_saveexec_b64 s[8:9], s[0:1]
	s_cbranch_execz .LBB577_24
; %bb.23:
	v_and_b32_e32 v3, 0x7fffffff, v10
	v_and_b32_e32 v4, 0x7fffffff, v11
	v_mov_b32_e32 v5, 0x2edbe6ff
	;;#ASMSTART
	v_max3_f32 v3, v5, v3, v4

	;;#ASMEND
	v_and_b32_e32 v4, 0x7fffffff, v14
	v_and_b32_e32 v5, 0x7fffffff, v15
	;;#ASMSTART
	v_max3_f32 v3, v3, v4, v5

	;;#ASMEND
	v_and_b32_e32 v4, 0x7fffffff, v6
	v_and_b32_e32 v5, 0x7fffffff, v7
	;;#ASMSTART
	v_max3_f32 v3, v3, v4, v5

	;;#ASMEND
	v_and_b32_e32 v4, 0x7fffffff, v28
	v_and_b32_e32 v5, 0x7fffffff, v29
	;;#ASMSTART
	v_max3_f32 v3, v3, v4, v5

	;;#ASMEND
.LBB577_24:
	s_or_b64 exec, exec, s[8:9]
	;;#ASMSTART
	v_max_f32 v4, v3, v3 quad_perm:[1,0,3,2] row_mask:0xf bank_mask:0xf bound_ctrl:1
	;;#ASMEND
	;;#ASMSTART
	v_max_f32 v3, v4, v4 quad_perm:[2,3,0,1] row_mask:0xf bank_mask:0xf bound_ctrl:1
	;;#ASMEND
	v_cmp_eq_u32_e32 vcc, 0, v2
	v_cmp_gt_i32_e64 s[8:9], s15, v1
	v_mul_f32_e32 v3, 0x3b124925, v3
	s_and_b64 s[10:11], vcc, s[8:9]
	s_and_saveexec_b64 s[8:9], s[10:11]
	s_cbranch_execz .LBB577_26
; %bb.25:
	s_load_dwordx2 s[10:11], s[4:5], 0x8
	s_mul_hi_i32 s23, s25, s6
	s_mul_i32 s22, s25, s6
	v_lshrrev_b32_e32 v2, 2, v0
	s_lshl_b64 s[22:23], s[22:23], 2
	v_mad_i64_i32 v[4:5], s[26:27], s26, v2, 0
	s_waitcnt lgkmcnt(0)
	s_add_u32 s7, s10, s22
	s_addc_u32 s10, s11, s23
	v_lshlrev_b64 v[4:5], 2, v[4:5]
	v_mov_b32_e32 v2, s10
	v_add_co_u32_e32 v4, vcc, s7, v4
	v_addc_co_u32_e32 v5, vcc, v2, v5, vcc
	global_store_dword v[4:5], v3, off
.LBB577_26:
	s_or_b64 exec, exec, s[8:9]
	;;#ASMSTART
	v_rcp_f32 v2, v3
	;;#ASMEND
	s_and_saveexec_b64 s[22:23], s[0:1]
	s_cbranch_execz .LBB577_28
; %bb.27:
	s_load_dwordx2 s[0:1], s[4:5], 0x0
	s_mul_i32 s8, s24, s6
	v_mov_b32_e32 v3, v2
	;;#ASMSTART
	v_pk_mul_f32 v[4:5], v[10:11], v[2:3]
	;;#ASMEND
	s_mul_hi_i32 s7, s24, s6
	s_waitcnt lgkmcnt(0)
	s_add_u32 s8, s0, s8
	v_mov_b32_e32 v8, 0xc3e00000
	v_mov_b32_e32 v9, 0x43e00000
	;;#ASMSTART
	v_med3_f32 v4, v4, v8, v9
v_med3_f32 v5, v5, v8, v9
v_cvt_pk_fp8_f32 v10, v4, v5
	;;#ASMEND
	s_addc_u32 s0, s1, s7
	;;#ASMSTART
	v_pk_mul_f32 v[4:5], v[14:15], v[2:3]
	;;#ASMEND
	s_and_b32 s9, s0, 0xffff
	;;#ASMSTART
	v_med3_f32 v4, v4, v8, v9
v_med3_f32 v5, v5, v8, v9
v_cvt_pk_fp8_f32 v11, v4, v5
	;;#ASMEND
	s_mov_b32 s0, 0x5040100
	v_perm_b32 v5, v11, v10, s0
	s_movk_i32 s0, 0xff
	v_and_b32_e32 v4, 0xffffff00, v11
	v_and_b32_sdwa v10, v5, s0 dst_sel:DWORD dst_unused:UNUSED_PAD src0_sel:WORD_1 src1_sel:DWORD
	s_mov_b32 s12, 0xffff
	v_or_b32_sdwa v4, v10, v4 dst_sel:WORD_1 dst_unused:UNUSED_PAD src0_sel:DWORD src1_sel:DWORD
	s_add_i32 s1, s15, 3
	v_and_or_b32 v4, v5, s12, v4
	;;#ASMSTART
	v_pk_mul_f32 v[6:7], v[6:7], v[2:3]
	;;#ASMEND
	v_mov_b32_e32 v5, v7
	s_ashr_i32 s7, s1, 31
	;;#ASMSTART
	v_med3_f32 v6, v6, v8, v9
v_med3_f32 v5, v5, v8, v9
v_cvt_pk_fp8_f32 v7, v6, v5
	;;#ASMEND
	;;#ASMSTART
	v_pk_mul_f32 v[2:3], v[28:29], v[2:3]
	;;#ASMEND
	s_lshr_b32 s7, s7, 30
	;;#ASMSTART
	v_med3_f32 v2, v2, v8, v9
v_med3_f32 v3, v3, v8, v9
v_cvt_pk_fp8_f32 v5, v2, v3
	;;#ASMEND
	s_add_i32 s1, s1, s7
	v_lshlrev_b32_e32 v2, 16, v5
	s_and_b32 s10, s1, -4
	s_mov_b32 s11, 0x20000
	v_and_or_b32 v5, v7, s12, v2
	buffer_store_dwordx2 v[4:5], v1, s[8:11], 0 offen
	;;#ASMSTART
	s_nop 0
	;;#ASMEND
.LBB577_28:
	s_or_b64 exec, exec, s[22:23]
	s_cmp_lt_i32 s16, 1
	s_cbranch_scc1 .LBB577_17
.LBB577_29:
	s_load_dword s0, s[4:5], 0x94
	s_waitcnt lgkmcnt(0)
	s_cmp_lg_u32 s0, 1
	s_cbranch_scc1 .LBB577_17
; %bb.30:
	s_lshl_b32 s0, s16, 1
	s_add_i32 s0, s0, 2
	v_cmp_gt_u32_e32 vcc, s16, v1
	s_and_b32 s22, s0, -4
	v_mov_b32_e32 v10, 0
	v_lshlrev_b32_e32 v1, 4, v0
	v_mov_b32_e32 v6, 0
	v_mov_b32_e32 v7, 0
	;; [unrolled: 1-line block ×8, first 2 shown]
	s_barrier
	s_and_saveexec_b64 s[0:1], vcc
	s_cbranch_execz .LBB577_32
; %bb.31:
	s_mul_hi_i32 s5, s18, s6
	s_mul_i32 s4, s18, s6
	s_and_b32 s21, s21, 0xffff
	s_lshl_b64 s[4:5], s[4:5], 1
	s_add_u32 s8, s36, s4
	s_mov_b32 s23, 0x20000
	s_addc_u32 s4, s37, s5
	s_and_b32 s9, s4, 0xffff
	s_mov_b32 s10, s22
	s_mov_b32 s11, s23
	buffer_load_dwordx4 v[6:9], v1, s[8:11], 0 offen glc slc
	buffer_load_dwordx4 v[2:5], v1, s[20:23], 0 offen
.LBB577_32:
	s_or_b64 exec, exec, s[0:1]
	v_mov_b32_e32 v11, 0
	v_mov_b32_e32 v16, 0
	;; [unrolled: 1-line block ×7, first 2 shown]
	s_and_saveexec_b64 s[0:1], vcc
	s_cbranch_execz .LBB577_34
; %bb.33:
	s_waitcnt vmcnt(1)
	v_cvt_f32_f16_sdwa v11, v6 dst_sel:DWORD dst_unused:UNUSED_PAD src0_sel:WORD_1
	v_cvt_f32_f16_e32 v10, v6
	v_cvt_f32_f16_sdwa v17, v7 dst_sel:DWORD dst_unused:UNUSED_PAD src0_sel:WORD_1
	v_cvt_f32_f16_e32 v16, v7
	;; [unrolled: 2-line block ×4, first 2 shown]
.LBB577_34:
	s_or_b64 exec, exec, s[0:1]
	s_waitcnt vmcnt(1)
	v_mul_f32_e32 v6, v11, v11
	v_fmac_f32_e32 v6, v10, v10
	v_fmac_f32_e32 v6, v16, v16
	;; [unrolled: 1-line block ×7, first 2 shown]
	s_nop 1
	v_mov_b32_dpp v7, v6 quad_perm:[1,0,3,2] row_mask:0xf bank_mask:0xf
	v_add_f32_e32 v6, v6, v7
	s_nop 1
	v_mov_b32_dpp v7, v6 quad_perm:[2,3,0,1] row_mask:0xf bank_mask:0xf
	v_add_f32_e32 v6, v6, v7
	s_nop 1
	v_mov_b32_dpp v7, v6 row_half_mirror row_mask:0xf bank_mask:0xf
	v_add_f32_e32 v6, v6, v7
	s_nop 1
	v_mov_b32_dpp v7, v6 row_mirror row_mask:0xf bank_mask:0xf
	v_add_f32_e32 v6, v6, v7
	s_nop 1
	v_mov_b32_dpp v7, v6 row_bcast:15 row_mask:0xf bank_mask:0xf
	v_add_f32_e32 v6, v6, v7
	s_nop 1
	v_mov_b32_dpp v7, v6 row_bcast:31 row_mask:0xf bank_mask:0xf
	s_and_saveexec_b64 s[0:1], s[2:3]
	s_cbranch_execz .LBB577_36
; %bb.35:
	v_lshrrev_b32_e32 v0, 4, v0
	v_add_f32_e32 v6, v6, v7
	v_and_b32_e32 v0, 60, v0
	ds_write_b32 v0, v6
.LBB577_36:
	s_or_b64 exec, exec, s[0:1]
	s_waitcnt lgkmcnt(0)
	s_barrier
	ds_read_b32 v0, v18
	s_waitcnt lgkmcnt(0)
	s_nop 0
	v_mov_b32_dpp v6, v0 quad_perm:[1,0,3,2] row_mask:0xf bank_mask:0xf
	v_add_f32_e32 v0, v0, v6
	s_nop 1
	v_mov_b32_dpp v6, v0 quad_perm:[2,3,0,1] row_mask:0xf bank_mask:0xf
	s_and_saveexec_b64 s[0:1], vcc
	s_cbranch_execz .LBB577_17
; %bb.37:
	v_cvt_f32_u32_e32 v7, s16
	v_add_f32_e32 v0, v0, v6
	s_mov_b32 s23, 0x20000
	v_div_scale_f32 v6, s[0:1], v7, v7, v0
	v_rcp_f32_e32 v8, v6
	v_div_scale_f32 v9, vcc, v0, v7, v0
	s_mov_b32 s0, 0x800000
	v_fma_f32 v18, -v6, v8, 1.0
	v_fmac_f32_e32 v8, v18, v8
	v_mul_f32_e32 v18, v9, v8
	v_fma_f32 v19, -v6, v18, v9
	v_fmac_f32_e32 v18, v19, v8
	v_fma_f32 v6, -v6, v18, v9
	v_div_fmas_f32 v6, v6, v8, v18
	v_div_fixup_f32 v0, v6, v7, v0
	v_add_f32_e32 v0, s13, v0
	v_mul_f32_e32 v6, 0x4b800000, v0
	v_cmp_gt_f32_e32 vcc, s0, v0
	v_cndmask_b32_e32 v0, v0, v6, vcc
	v_rsq_f32_e32 v0, v0
	s_waitcnt vmcnt(0)
	v_cvt_f32_f16_sdwa v19, v3 dst_sel:DWORD dst_unused:UNUSED_PAD src0_sel:WORD_1
	v_cvt_f32_f16_e32 v18, v3
	s_mul_hi_i32 s1, s34, s6
	v_mul_f32_e32 v6, 0x45800000, v0
	v_cndmask_b32_e32 v6, v0, v6, vcc
	v_mov_b32_e32 v7, v6
	;;#ASMSTART
	v_pk_mul_f32 v[8:9], v[10:11], v[6:7]
	;;#ASMEND
	;;#ASMSTART
	v_pk_mul_f32 v[10:11], v[16:17], v[6:7]
	;;#ASMEND
	v_cvt_f32_f16_sdwa v17, v2 dst_sel:DWORD dst_unused:UNUSED_PAD src0_sel:WORD_1
	v_cvt_f32_f16_e32 v16, v2
	;;#ASMSTART
	v_pk_mul_f32 v[14:15], v[14:15], v[6:7]
	;;#ASMEND
	;;#ASMSTART
	v_pk_mul_f32 v[2:3], v[12:13], v[6:7]
	;;#ASMEND
	v_cvt_f32_f16_sdwa v13, v4 dst_sel:DWORD dst_unused:UNUSED_PAD src0_sel:WORD_1
	v_cvt_f32_f16_e32 v12, v4
	v_pk_add_f32 v[6:7], v[16:17], 1.0 op_sel_hi:[1,0]
	v_cvt_f32_f16_sdwa v17, v5 dst_sel:DWORD dst_unused:UNUSED_PAD src0_sel:WORD_1
	v_cvt_f32_f16_e32 v16, v5
	;;#ASMSTART
	v_pk_mul_f32 v[6:7], v[8:9], v[6:7]
	;;#ASMEND
	v_pk_add_f32 v[8:9], v[18:19], 1.0 op_sel_hi:[1,0]
	;;#ASMSTART
	v_pk_mul_f32 v[4:5], v[10:11], v[8:9]
	;;#ASMEND
	v_pk_add_f32 v[8:9], v[12:13], 1.0 op_sel_hi:[1,0]
	;; [unrolled: 4-line block ×3, first 2 shown]
	;;#ASMSTART
	v_pk_mul_f32 v[2:3], v[2:3], v[10:11]
	;;#ASMEND
	s_mul_i32 s0, s34, s6
	v_cvt_f16_f32_e32 v0, v6
	v_cvt_f16_f32_e32 v6, v7
	;; [unrolled: 1-line block ×8, first 2 shown]
	s_lshl_b64 s[0:1], s[0:1], 1
	s_add_u32 s20, s38, s0
	s_addc_u32 s0, s39, s1
	s_and_b32 s21, s0, 0xffff
	v_pack_b32_f16 v2, v0, v6
	v_pack_b32_f16 v3, v4, v5
	;; [unrolled: 1-line block ×4, first 2 shown]
	buffer_store_dwordx4 v[2:5], v1, s[20:23], 0 offen
	;;#ASMSTART
	s_nop 0
	;;#ASMEND
	s_endpgm
	.section	.rodata,"a",@progbits
	.p2align	6, 0x0
	.amdhsa_kernel _ZN5aiter35fused_qk_rmsnorm_group_quant_kernelIDF16_DB8_Li256ELi8ELi4ELb1ELb0ELb1ELb0ELb0ELb0EEEvPT0_PvPT_S6_S6_PKS5_S8_S8_S8_S8_ffiiiiiiiiiiiii
		.amdhsa_group_segment_fixed_size 32
		.amdhsa_private_segment_fixed_size 0
		.amdhsa_kernarg_size 400
		.amdhsa_user_sgpr_count 6
		.amdhsa_user_sgpr_private_segment_buffer 1
		.amdhsa_user_sgpr_dispatch_ptr 0
		.amdhsa_user_sgpr_queue_ptr 0
		.amdhsa_user_sgpr_kernarg_segment_ptr 1
		.amdhsa_user_sgpr_dispatch_id 0
		.amdhsa_user_sgpr_flat_scratch_init 0
		.amdhsa_user_sgpr_kernarg_preload_length 0
		.amdhsa_user_sgpr_kernarg_preload_offset 0
		.amdhsa_user_sgpr_private_segment_size 0
		.amdhsa_uses_dynamic_stack 0
		.amdhsa_system_sgpr_private_segment_wavefront_offset 0
		.amdhsa_system_sgpr_workgroup_id_x 1
		.amdhsa_system_sgpr_workgroup_id_y 1
		.amdhsa_system_sgpr_workgroup_id_z 0
		.amdhsa_system_sgpr_workgroup_info 0
		.amdhsa_system_vgpr_workitem_id 0
		.amdhsa_next_free_vgpr 31
		.amdhsa_next_free_sgpr 44
		.amdhsa_accum_offset 32
		.amdhsa_reserve_vcc 1
		.amdhsa_reserve_flat_scratch 0
		.amdhsa_float_round_mode_32 0
		.amdhsa_float_round_mode_16_64 0
		.amdhsa_float_denorm_mode_32 3
		.amdhsa_float_denorm_mode_16_64 3
		.amdhsa_dx10_clamp 1
		.amdhsa_ieee_mode 1
		.amdhsa_fp16_overflow 0
		.amdhsa_tg_split 0
		.amdhsa_exception_fp_ieee_invalid_op 0
		.amdhsa_exception_fp_denorm_src 0
		.amdhsa_exception_fp_ieee_div_zero 0
		.amdhsa_exception_fp_ieee_overflow 0
		.amdhsa_exception_fp_ieee_underflow 0
		.amdhsa_exception_fp_ieee_inexact 0
		.amdhsa_exception_int_div_zero 0
	.end_amdhsa_kernel
	.section	.text._ZN5aiter35fused_qk_rmsnorm_group_quant_kernelIDF16_DB8_Li256ELi8ELi4ELb1ELb0ELb1ELb0ELb0ELb0EEEvPT0_PvPT_S6_S6_PKS5_S8_S8_S8_S8_ffiiiiiiiiiiiii,"axG",@progbits,_ZN5aiter35fused_qk_rmsnorm_group_quant_kernelIDF16_DB8_Li256ELi8ELi4ELb1ELb0ELb1ELb0ELb0ELb0EEEvPT0_PvPT_S6_S6_PKS5_S8_S8_S8_S8_ffiiiiiiiiiiiii,comdat
.Lfunc_end577:
	.size	_ZN5aiter35fused_qk_rmsnorm_group_quant_kernelIDF16_DB8_Li256ELi8ELi4ELb1ELb0ELb1ELb0ELb0ELb0EEEvPT0_PvPT_S6_S6_PKS5_S8_S8_S8_S8_ffiiiiiiiiiiiii, .Lfunc_end577-_ZN5aiter35fused_qk_rmsnorm_group_quant_kernelIDF16_DB8_Li256ELi8ELi4ELb1ELb0ELb1ELb0ELb0ELb0EEEvPT0_PvPT_S6_S6_PKS5_S8_S8_S8_S8_ffiiiiiiiiiiiii
                                        ; -- End function
	.section	.AMDGPU.csdata,"",@progbits
; Kernel info:
; codeLenInByte = 2900
; NumSgprs: 48
; NumVgprs: 31
; NumAgprs: 0
; TotalNumVgprs: 31
; ScratchSize: 0
; MemoryBound: 0
; FloatMode: 240
; IeeeMode: 1
; LDSByteSize: 32 bytes/workgroup (compile time only)
; SGPRBlocks: 5
; VGPRBlocks: 3
; NumSGPRsForWavesPerEU: 48
; NumVGPRsForWavesPerEU: 31
; AccumOffset: 32
; Occupancy: 8
; WaveLimiterHint : 0
; COMPUTE_PGM_RSRC2:SCRATCH_EN: 0
; COMPUTE_PGM_RSRC2:USER_SGPR: 6
; COMPUTE_PGM_RSRC2:TRAP_HANDLER: 0
; COMPUTE_PGM_RSRC2:TGID_X_EN: 1
; COMPUTE_PGM_RSRC2:TGID_Y_EN: 1
; COMPUTE_PGM_RSRC2:TGID_Z_EN: 0
; COMPUTE_PGM_RSRC2:TIDIG_COMP_CNT: 0
; COMPUTE_PGM_RSRC3_GFX90A:ACCUM_OFFSET: 7
; COMPUTE_PGM_RSRC3_GFX90A:TG_SPLIT: 0
	.section	.text._ZN5aiter35fused_qk_rmsnorm_group_quant_kernelItDB8_Li256ELi8ELi4ELb1ELb0ELb1ELb0ELb0ELb0EEEvPT0_PvPT_S6_S6_PKS5_S8_S8_S8_S8_ffiiiiiiiiiiiii,"axG",@progbits,_ZN5aiter35fused_qk_rmsnorm_group_quant_kernelItDB8_Li256ELi8ELi4ELb1ELb0ELb1ELb0ELb0ELb0EEEvPT0_PvPT_S6_S6_PKS5_S8_S8_S8_S8_ffiiiiiiiiiiiii,comdat
	.protected	_ZN5aiter35fused_qk_rmsnorm_group_quant_kernelItDB8_Li256ELi8ELi4ELb1ELb0ELb1ELb0ELb0ELb0EEEvPT0_PvPT_S6_S6_PKS5_S8_S8_S8_S8_ffiiiiiiiiiiiii ; -- Begin function _ZN5aiter35fused_qk_rmsnorm_group_quant_kernelItDB8_Li256ELi8ELi4ELb1ELb0ELb1ELb0ELb0ELb0EEEvPT0_PvPT_S6_S6_PKS5_S8_S8_S8_S8_ffiiiiiiiiiiiii
	.globl	_ZN5aiter35fused_qk_rmsnorm_group_quant_kernelItDB8_Li256ELi8ELi4ELb1ELb0ELb1ELb0ELb0ELb0EEEvPT0_PvPT_S6_S6_PKS5_S8_S8_S8_S8_ffiiiiiiiiiiiii
	.p2align	8
	.type	_ZN5aiter35fused_qk_rmsnorm_group_quant_kernelItDB8_Li256ELi8ELi4ELb1ELb0ELb1ELb0ELb0ELb0EEEvPT0_PvPT_S6_S6_PKS5_S8_S8_S8_S8_ffiiiiiiiiiiiii,@function
_ZN5aiter35fused_qk_rmsnorm_group_quant_kernelItDB8_Li256ELi8ELi4ELb1ELb0ELb1ELb0ELb0ELb0EEEvPT0_PvPT_S6_S6_PKS5_S8_S8_S8_S8_ffiiiiiiiiiiiii: ; @_ZN5aiter35fused_qk_rmsnorm_group_quant_kernelItDB8_Li256ELi8ELi4ELb1ELb0ELb1ELb0ELb0ELb0EEEvPT0_PvPT_S6_S6_PKS5_S8_S8_S8_S8_ffiiiiiiiiiiiii
; %bb.0:
	s_load_dwordx8 s[12:19], s[4:5], 0x50
	s_waitcnt lgkmcnt(0)
	s_cmp_ge_i32 s6, s14
	s_cbranch_scc1 .LBB578_17
; %bb.1:
	s_cmp_lg_u32 s7, 0
	s_cselect_b64 s[10:11], -1, 0
	s_cmp_eq_u32 s7, 0
	s_cselect_b64 s[8:9], -1, 0
	s_and_b64 s[0:1], s[8:9], exec
	s_load_dwordx2 s[20:21], s[4:5], 0x48
	s_load_dwordx2 s[36:37], s[4:5], 0x30
	s_load_dwordx4 s[24:27], s[4:5], 0x70
	s_cselect_b32 s7, s15, s16
	s_add_i32 s0, s7, 1
	s_lshr_b32 s1, s0, 31
	s_add_i32 s0, s0, s1
	s_lshl_b32 s0, s0, 1
	v_lshlrev_b32_e32 v1, 3, v0
	s_and_b32 s30, s0, -4
	v_cmp_gt_i32_e64 s[0:1], s7, v1
	v_mov_b32_e32 v10, 0
	v_mov_b32_e32 v11, 0
	;; [unrolled: 1-line block ×8, first 2 shown]
	s_and_saveexec_b64 s[2:3], s[0:1]
	s_cbranch_execz .LBB578_3
; %bb.2:
	s_load_dwordx2 s[22:23], s[4:5], 0x28
	s_load_dwordx2 s[28:29], s[4:5], 0x40
	s_and_b64 s[34:35], s[8:9], exec
	s_cselect_b32 s14, s17, s18
	s_mov_b32 s31, 0x20000
	s_waitcnt lgkmcnt(0)
	s_cselect_b32 s17, s23, s37
	s_cselect_b32 s27, s22, s36
	s_mul_hi_i32 s23, s14, s6
	s_mul_i32 s22, s14, s6
	s_lshl_b64 s[22:23], s[22:23], 1
	s_add_u32 s40, s27, s22
	s_addc_u32 s14, s17, s23
	s_and_b64 s[22:23], s[8:9], exec
	s_cselect_b32 s28, s28, s20
	s_cselect_b32 s17, s29, s21
	v_lshlrev_b32_e32 v2, 4, v0
	s_and_b32 s41, s14, 0xffff
	s_mov_b32 s42, s30
	s_mov_b32 s43, s31
	s_and_b32 s29, s17, 0xffff
	buffer_load_dwordx4 v[14:17], v2, s[40:43], 0 offen glc slc
	buffer_load_dwordx4 v[10:13], v2, s[28:31], 0 offen
.LBB578_3:
	s_or_b64 exec, exec, s[2:3]
	s_load_dwordx2 s[34:35], s[4:5], 0x80
	s_and_b64 vcc, exec, s[10:11]
	s_cbranch_vccz .LBB578_7
; %bb.4:
	s_mov_b32 s40, 0
	s_mov_b32 s41, s40
	;; [unrolled: 1-line block ×8, first 2 shown]
	v_pk_mov_b32 v[2:3], s[40:41], s[40:41] op_sel:[0,1]
	v_pk_mov_b32 v[4:5], s[42:43], s[42:43] op_sel:[0,1]
	v_pk_mov_b32 v[6:7], s[44:45], s[44:45] op_sel:[0,1]
	v_pk_mov_b32 v[8:9], s[46:47], s[46:47] op_sel:[0,1]
	s_and_saveexec_b64 s[2:3], s[0:1]
	s_cbranch_execz .LBB578_6
; %bb.5:
	s_waitcnt vmcnt(1)
	v_cvt_f32_u32_sdwa v3, v14 dst_sel:DWORD dst_unused:UNUSED_PAD src0_sel:WORD_1
	v_cvt_f32_u32_sdwa v2, v14 dst_sel:DWORD dst_unused:UNUSED_PAD src0_sel:WORD_0
	v_cvt_f32_u32_sdwa v5, v15 dst_sel:DWORD dst_unused:UNUSED_PAD src0_sel:WORD_1
	v_cvt_f32_u32_sdwa v4, v15 dst_sel:DWORD dst_unused:UNUSED_PAD src0_sel:WORD_0
	;; [unrolled: 2-line block ×4, first 2 shown]
.LBB578_6:
	s_or_b64 exec, exec, s[2:3]
	s_cbranch_execz .LBB578_8
	s_branch .LBB578_11
.LBB578_7:
                                        ; implicit-def: $vgpr2_vgpr3_vgpr4_vgpr5_vgpr6_vgpr7_vgpr8_vgpr9
.LBB578_8:
	s_mov_b32 s40, 0
	s_mov_b32 s41, s40
	;; [unrolled: 1-line block ×8, first 2 shown]
	v_pk_mov_b32 v[2:3], s[40:41], s[40:41] op_sel:[0,1]
	v_pk_mov_b32 v[4:5], s[42:43], s[42:43] op_sel:[0,1]
	;; [unrolled: 1-line block ×4, first 2 shown]
	s_and_saveexec_b64 s[2:3], s[0:1]
	s_cbranch_execz .LBB578_10
; %bb.9:
	s_load_dwordx2 s[22:23], s[4:5], 0x38
	s_mul_hi_i32 s29, s19, s6
	s_mul_i32 s28, s19, s6
	s_lshl_b64 s[28:29], s[28:29], 1
	s_mov_b32 s31, 0x20000
	s_waitcnt lgkmcnt(0)
	s_add_u32 s28, s22, s28
	s_addc_u32 s14, s23, s29
	s_and_b32 s29, s14, 0xffff
	v_lshlrev_b32_e32 v26, 4, v0
	buffer_load_dwordx4 v[2:5], v26, s[28:31], 0 offen glc slc
	s_load_dwordx2 s[22:23], s[4:5], 0x20
	s_waitcnt vmcnt(2)
	v_cvt_f32_u32_sdwa v7, v14 dst_sel:DWORD dst_unused:UNUSED_PAD src0_sel:WORD_1
	v_cvt_f32_u32_sdwa v6, v14 dst_sel:DWORD dst_unused:UNUSED_PAD src0_sel:WORD_0
	v_cvt_f32_u32_sdwa v9, v15 dst_sel:DWORD dst_unused:UNUSED_PAD src0_sel:WORD_1
	v_cvt_f32_u32_sdwa v8, v15 dst_sel:DWORD dst_unused:UNUSED_PAD src0_sel:WORD_0
	;; [unrolled: 2-line block ×4, first 2 shown]
	s_mul_hi_i32 s29, s35, s6
	s_mul_i32 s28, s35, s6
	s_lshl_b64 s[28:29], s[28:29], 1
	s_waitcnt lgkmcnt(0)
	s_add_u32 s28, s22, s28
	s_mov_b32 s14, 0x7060302
	s_addc_u32 s17, s23, s29
	s_and_b32 s29, s17, 0xffff
	s_waitcnt vmcnt(0)
	v_cvt_f32_u32_sdwa v17, v2 dst_sel:DWORD dst_unused:UNUSED_PAD src0_sel:WORD_1
	v_cvt_f32_u32_sdwa v16, v2 dst_sel:DWORD dst_unused:UNUSED_PAD src0_sel:WORD_0
	v_cvt_f32_u32_sdwa v21, v3 dst_sel:DWORD dst_unused:UNUSED_PAD src0_sel:WORD_1
	v_cvt_f32_u32_sdwa v20, v3 dst_sel:DWORD dst_unused:UNUSED_PAD src0_sel:WORD_0
	;; [unrolled: 2-line block ×4, first 2 shown]
	v_pk_add_f32 v[2:3], v[6:7], v[16:17]
	v_pk_add_f32 v[4:5], v[8:9], v[20:21]
	;; [unrolled: 1-line block ×4, first 2 shown]
	v_perm_b32 v17, v9, v8, s14
	v_perm_b32 v16, v7, v6, s14
	;; [unrolled: 1-line block ×4, first 2 shown]
	buffer_store_dwordx4 v[14:17], v26, s[28:31], 0 offen glc slc
	;;#ASMSTART
	s_nop 0
	;;#ASMEND
.LBB578_10:
	s_or_b64 exec, exec, s[2:3]
.LBB578_11:
	s_waitcnt vmcnt(1)
	v_mul_f32_e32 v14, v3, v3
	v_fmac_f32_e32 v14, v2, v2
	v_fmac_f32_e32 v14, v4, v4
	;; [unrolled: 1-line block ×7, first 2 shown]
	v_and_b32_e32 v16, 63, v0
	v_cmp_eq_u32_e64 s[2:3], 63, v16
	v_mov_b32_dpp v15, v14 quad_perm:[1,0,3,2] row_mask:0xf bank_mask:0xf
	v_add_f32_e32 v14, v14, v15
	s_nop 1
	v_mov_b32_dpp v15, v14 quad_perm:[2,3,0,1] row_mask:0xf bank_mask:0xf
	v_add_f32_e32 v14, v14, v15
	s_nop 1
	v_mov_b32_dpp v15, v14 row_half_mirror row_mask:0xf bank_mask:0xf
	v_add_f32_e32 v14, v14, v15
	s_nop 1
	v_mov_b32_dpp v15, v14 row_mirror row_mask:0xf bank_mask:0xf
	v_add_f32_e32 v14, v14, v15
	s_nop 1
	v_mov_b32_dpp v15, v14 row_bcast:15 row_mask:0xf bank_mask:0xf
	v_add_f32_e32 v14, v14, v15
	s_nop 1
	v_mov_b32_dpp v15, v14 row_bcast:31 row_mask:0xf bank_mask:0xf
	s_and_saveexec_b64 s[22:23], s[2:3]
	s_cbranch_execz .LBB578_13
; %bb.12:
	v_add_f32_e32 v14, v14, v15
	v_lshrrev_b32_e32 v15, 4, v0
	v_and_b32_e32 v15, 60, v15
	ds_write_b32 v15, v14 offset:16
.LBB578_13:
	s_or_b64 exec, exec, s[22:23]
	v_and_b32_e32 v15, 3, v0
	v_lshlrev_b32_e32 v14, 2, v15
	s_waitcnt lgkmcnt(0)
	s_barrier
	ds_read_b32 v16, v14 offset:16
	s_load_dwordx2 s[38:39], s[4:5], 0x18
	s_waitcnt lgkmcnt(0)
	v_mov_b32_dpp v17, v16 quad_perm:[1,0,3,2] row_mask:0xf bank_mask:0xf
	v_add_f32_e32 v16, v16, v17
	s_nop 1
	v_mov_b32_dpp v17, v16 quad_perm:[2,3,0,1] row_mask:0xf bank_mask:0xf
	s_and_saveexec_b64 s[22:23], s[0:1]
	s_cbranch_execnz .LBB578_18
; %bb.14:
	s_or_b64 exec, exec, s[22:23]
	s_mov_b64 s[8:9], -1
	s_and_b64 vcc, exec, s[10:11]
	s_cbranch_vccnz .LBB578_19
.LBB578_15:
	s_andn2_b64 vcc, exec, s[8:9]
	s_cbranch_vccz .LBB578_22
.LBB578_16:
	s_cmp_lt_i32 s16, 1
	s_cbranch_scc0 .LBB578_29
.LBB578_17:
	s_endpgm
.LBB578_18:
	v_cvt_f32_u32_e32 v18, s7
	v_add_f32_e32 v16, v16, v17
	v_mov_b32_e32 v20, s13
	v_mov_b32_e32 v21, s12
	v_div_scale_f32 v17, s[28:29], v18, v18, v16
	v_rcp_f32_e32 v19, v17
	v_cndmask_b32_e64 v20, v20, v21, s[8:9]
	s_mov_b32 s7, 0x800000
	v_fma_f32 v21, -v17, v19, 1.0
	v_fmac_f32_e32 v19, v21, v19
	v_div_scale_f32 v21, vcc, v16, v18, v16
	v_mul_f32_e32 v22, v21, v19
	v_fma_f32 v23, -v17, v22, v21
	v_fmac_f32_e32 v22, v23, v19
	v_fma_f32 v17, -v17, v22, v21
	v_div_fmas_f32 v17, v17, v19, v22
	v_div_fixup_f32 v16, v17, v18, v16
	v_add_f32_e32 v16, v20, v16
	v_mul_f32_e32 v17, 0x4b800000, v16
	v_cmp_gt_f32_e32 vcc, s7, v16
	v_cndmask_b32_e32 v16, v16, v17, vcc
	v_rsq_f32_e32 v16, v16
	s_waitcnt vmcnt(0)
	v_cvt_f32_u32_sdwa v19, v10 dst_sel:DWORD dst_unused:UNUSED_PAD src0_sel:WORD_1
	v_cvt_f32_u32_sdwa v18, v10 dst_sel:DWORD dst_unused:UNUSED_PAD src0_sel:WORD_0
	v_cvt_f32_u32_sdwa v21, v11 dst_sel:DWORD dst_unused:UNUSED_PAD src0_sel:WORD_1
	v_mul_f32_e32 v17, 0x45800000, v16
	v_cndmask_b32_e32 v16, v16, v17, vcc
	v_mov_b32_e32 v17, v16
	v_cvt_f32_u32_sdwa v20, v11 dst_sel:DWORD dst_unused:UNUSED_PAD src0_sel:WORD_0
	;;#ASMSTART
	v_pk_mul_f32 v[2:3], v[2:3], v[16:17]
	;;#ASMEND
	;;#ASMSTART
	v_pk_mul_f32 v[4:5], v[4:5], v[16:17]
	;;#ASMEND
	;; [unrolled: 3-line block ×4, first 2 shown]
	v_cvt_f32_u32_sdwa v17, v12 dst_sel:DWORD dst_unused:UNUSED_PAD src0_sel:WORD_1
	v_cvt_f32_u32_sdwa v16, v12 dst_sel:DWORD dst_unused:UNUSED_PAD src0_sel:WORD_0
	v_pk_add_f32 v[10:11], v[18:19], 1.0 op_sel_hi:[1,0]
	v_cvt_f32_u32_sdwa v19, v13 dst_sel:DWORD dst_unused:UNUSED_PAD src0_sel:WORD_1
	v_cvt_f32_u32_sdwa v18, v13 dst_sel:DWORD dst_unused:UNUSED_PAD src0_sel:WORD_0
	;;#ASMSTART
	v_pk_mul_f32 v[2:3], v[2:3], v[10:11]
	;;#ASMEND
	v_pk_add_f32 v[10:11], v[20:21], 1.0 op_sel_hi:[1,0]
	;;#ASMSTART
	v_pk_mul_f32 v[4:5], v[4:5], v[10:11]
	;;#ASMEND
	v_pk_add_f32 v[10:11], v[16:17], 1.0 op_sel_hi:[1,0]
	;; [unrolled: 4-line block ×3, first 2 shown]
	;;#ASMSTART
	v_pk_mul_f32 v[8:9], v[8:9], v[10:11]
	;;#ASMEND
	s_or_b64 exec, exec, s[22:23]
	s_mov_b64 s[8:9], -1
	s_and_b64 vcc, exec, s[10:11]
	s_cbranch_vccz .LBB578_15
.LBB578_19:
	s_and_saveexec_b64 s[8:9], s[0:1]
	s_cbranch_execz .LBB578_21
; %bb.20:
	s_mul_hi_i32 s11, s34, s6
	s_mul_i32 s10, s34, s6
	s_lshl_b64 s[10:11], s[10:11], 1
	s_add_u32 s28, s38, s10
	s_addc_u32 s7, s39, s11
	s_and_b32 s29, s7, 0xffff
	s_mov_b32 s7, 0x7060302
	s_mov_b32 s31, 0x20000
	s_waitcnt vmcnt(0)
	v_perm_b32 v10, v3, v2, s7
	v_perm_b32 v11, v5, v4, s7
	;; [unrolled: 1-line block ×4, first 2 shown]
	v_lshlrev_b32_e32 v16, 4, v0
	buffer_store_dwordx4 v[10:13], v16, s[28:31], 0 offen
	;;#ASMSTART
	s_nop 0
	;;#ASMEND
.LBB578_21:
	s_or_b64 exec, exec, s[8:9]
	s_cbranch_execnz .LBB578_16
.LBB578_22:
	s_waitcnt vmcnt(0)
	v_mov_b32_e32 v10, 0
	s_and_saveexec_b64 s[8:9], s[0:1]
	s_cbranch_execz .LBB578_24
; %bb.23:
	v_and_b32_e32 v10, 0x7fffffff, v2
	v_and_b32_e32 v11, 0x7fffffff, v3
	v_mov_b32_e32 v12, 0x2edbe6ff
	;;#ASMSTART
	v_max3_f32 v10, v12, v10, v11

	;;#ASMEND
	v_and_b32_e32 v11, 0x7fffffff, v4
	v_and_b32_e32 v12, 0x7fffffff, v5
	;;#ASMSTART
	v_max3_f32 v10, v10, v11, v12

	;;#ASMEND
	v_and_b32_e32 v11, 0x7fffffff, v6
	v_and_b32_e32 v12, 0x7fffffff, v7
	;; [unrolled: 6-line block ×3, first 2 shown]
	;;#ASMSTART
	v_max3_f32 v10, v10, v11, v12

	;;#ASMEND
.LBB578_24:
	s_or_b64 exec, exec, s[8:9]
	;;#ASMSTART
	v_max_f32 v11, v10, v10 quad_perm:[1,0,3,2] row_mask:0xf bank_mask:0xf bound_ctrl:1
	;;#ASMEND
	;;#ASMSTART
	v_max_f32 v10, v11, v11 quad_perm:[2,3,0,1] row_mask:0xf bank_mask:0xf bound_ctrl:1
	;;#ASMEND
	v_cmp_eq_u32_e32 vcc, 0, v15
	v_cmp_gt_i32_e64 s[8:9], s15, v1
	v_mul_f32_e32 v10, 0x3b124925, v10
	s_and_b64 s[10:11], vcc, s[8:9]
	s_and_saveexec_b64 s[8:9], s[10:11]
	s_cbranch_execz .LBB578_26
; %bb.25:
	s_load_dwordx2 s[10:11], s[4:5], 0x8
	s_mul_hi_i32 s23, s25, s6
	s_mul_i32 s22, s25, s6
	v_lshrrev_b32_e32 v11, 2, v0
	s_lshl_b64 s[22:23], s[22:23], 2
	v_mad_i64_i32 v[12:13], s[26:27], s26, v11, 0
	s_waitcnt lgkmcnt(0)
	s_add_u32 s7, s10, s22
	s_addc_u32 s10, s11, s23
	v_lshlrev_b64 v[12:13], 2, v[12:13]
	v_mov_b32_e32 v11, s10
	v_add_co_u32_e32 v12, vcc, s7, v12
	v_addc_co_u32_e32 v13, vcc, v11, v13, vcc
	global_store_dword v[12:13], v10, off
.LBB578_26:
	s_or_b64 exec, exec, s[8:9]
	;;#ASMSTART
	v_rcp_f32 v10, v10
	;;#ASMEND
	s_and_saveexec_b64 s[22:23], s[0:1]
	s_cbranch_execz .LBB578_28
; %bb.27:
	s_load_dwordx2 s[0:1], s[4:5], 0x0
	s_mul_i32 s8, s24, s6
	v_mov_b32_e32 v11, v10
	;;#ASMSTART
	v_pk_mul_f32 v[2:3], v[2:3], v[10:11]
	;;#ASMEND
	s_mul_hi_i32 s7, s24, s6
	s_waitcnt lgkmcnt(0)
	s_add_u32 s8, s0, s8
	v_mov_b32_e32 v12, 0xc3e00000
	v_mov_b32_e32 v13, 0x43e00000
	;;#ASMSTART
	v_med3_f32 v2, v2, v12, v13
v_med3_f32 v3, v3, v12, v13
v_cvt_pk_fp8_f32 v15, v2, v3
	;;#ASMEND
	s_addc_u32 s0, s1, s7
	;;#ASMSTART
	v_pk_mul_f32 v[2:3], v[4:5], v[10:11]
	;;#ASMEND
	s_and_b32 s9, s0, 0xffff
	;;#ASMSTART
	v_med3_f32 v2, v2, v12, v13
v_med3_f32 v3, v3, v12, v13
v_cvt_pk_fp8_f32 v4, v2, v3
	;;#ASMEND
	s_mov_b32 s0, 0x5040100
	v_perm_b32 v3, v4, v15, s0
	s_movk_i32 s0, 0xff
	v_and_b32_e32 v2, 0xffffff00, v4
	v_and_b32_sdwa v4, v3, s0 dst_sel:DWORD dst_unused:UNUSED_PAD src0_sel:WORD_1 src1_sel:DWORD
	s_mov_b32 s12, 0xffff
	v_or_b32_sdwa v2, v4, v2 dst_sel:WORD_1 dst_unused:UNUSED_PAD src0_sel:DWORD src1_sel:DWORD
	v_and_or_b32 v2, v3, s12, v2
	;;#ASMSTART
	v_pk_mul_f32 v[4:5], v[6:7], v[10:11]
	;;#ASMEND
	v_mov_b32_e32 v3, v5
	s_add_i32 s1, s15, 3
	;;#ASMSTART
	v_med3_f32 v4, v4, v12, v13
v_med3_f32 v3, v3, v12, v13
v_cvt_pk_fp8_f32 v6, v4, v3
	;;#ASMEND
	s_ashr_i32 s7, s1, 31
	;;#ASMSTART
	v_pk_mul_f32 v[4:5], v[8:9], v[10:11]
	;;#ASMEND
	v_mov_b32_e32 v3, v5
	s_lshr_b32 s7, s7, 30
	;;#ASMSTART
	v_med3_f32 v4, v4, v12, v13
v_med3_f32 v3, v3, v12, v13
v_cvt_pk_fp8_f32 v5, v4, v3
	;;#ASMEND
	s_add_i32 s1, s1, s7
	v_lshlrev_b32_e32 v3, 16, v5
	s_and_b32 s10, s1, -4
	s_mov_b32 s11, 0x20000
	v_and_or_b32 v3, v6, s12, v3
	buffer_store_dwordx2 v[2:3], v1, s[8:11], 0 offen
	;;#ASMSTART
	s_nop 0
	;;#ASMEND
.LBB578_28:
	s_or_b64 exec, exec, s[22:23]
	s_cmp_lt_i32 s16, 1
	s_cbranch_scc1 .LBB578_17
.LBB578_29:
	s_load_dword s0, s[4:5], 0x94
	s_waitcnt lgkmcnt(0)
	s_cmp_lg_u32 s0, 1
	s_cbranch_scc1 .LBB578_17
; %bb.30:
	s_lshl_b32 s0, s16, 1
	s_add_i32 s0, s0, 2
	v_cmp_gt_u32_e32 vcc, s16, v1
	s_and_b32 s22, s0, -4
	v_mov_b32_e32 v6, 0
	v_lshlrev_b32_e32 v1, 4, v0
	v_mov_b32_e32 v7, 0
	v_mov_b32_e32 v8, 0
	;; [unrolled: 1-line block ×7, first 2 shown]
	s_barrier
	s_and_saveexec_b64 s[0:1], vcc
	s_cbranch_execz .LBB578_32
; %bb.31:
	s_mul_hi_i32 s5, s18, s6
	s_mul_i32 s4, s18, s6
	s_and_b32 s21, s21, 0xffff
	s_lshl_b64 s[4:5], s[4:5], 1
	s_add_u32 s8, s36, s4
	s_mov_b32 s23, 0x20000
	s_addc_u32 s4, s37, s5
	s_and_b32 s9, s4, 0xffff
	s_mov_b32 s10, s22
	s_mov_b32 s11, s23
	buffer_load_dwordx4 v[6:9], v1, s[8:11], 0 offen glc slc
	buffer_load_dwordx4 v[2:5], v1, s[20:23], 0 offen
.LBB578_32:
	s_or_b64 exec, exec, s[0:1]
	s_waitcnt vmcnt(0)
	v_cvt_f32_u32_sdwa v13, v6 dst_sel:DWORD dst_unused:UNUSED_PAD src0_sel:WORD_1
	v_cvt_f32_u32_sdwa v12, v6 dst_sel:DWORD dst_unused:UNUSED_PAD src0_sel:WORD_0
	v_cvt_f32_u32_sdwa v6, v9 dst_sel:DWORD dst_unused:UNUSED_PAD src0_sel:WORD_1
	v_cvt_f32_u32_sdwa v9, v9 dst_sel:DWORD dst_unused:UNUSED_PAD src0_sel:WORD_0
	;; [unrolled: 2-line block ×4, first 2 shown]
	v_cndmask_b32_e32 v13, 0, v13, vcc
	v_cndmask_b32_e32 v7, 0, v6, vcc
	;; [unrolled: 1-line block ×5, first 2 shown]
	v_mul_f32_e32 v15, v13, v13
	v_cndmask_b32_e32 v10, 0, v10, vcc
	v_fmac_f32_e32 v15, v12, v12
	v_cndmask_b32_e32 v11, 0, v11, vcc
	v_fmac_f32_e32 v15, v10, v10
	;; [unrolled: 2-line block ×3, first 2 shown]
	v_fmac_f32_e32 v15, v8, v8
	v_fmac_f32_e32 v15, v9, v9
	;; [unrolled: 1-line block ×4, first 2 shown]
	s_nop 1
	v_mov_b32_dpp v16, v15 quad_perm:[1,0,3,2] row_mask:0xf bank_mask:0xf
	v_add_f32_e32 v15, v15, v16
	s_nop 1
	v_mov_b32_dpp v16, v15 quad_perm:[2,3,0,1] row_mask:0xf bank_mask:0xf
	v_add_f32_e32 v15, v15, v16
	s_nop 1
	v_mov_b32_dpp v16, v15 row_half_mirror row_mask:0xf bank_mask:0xf
	v_add_f32_e32 v15, v15, v16
	s_nop 1
	v_mov_b32_dpp v16, v15 row_mirror row_mask:0xf bank_mask:0xf
	v_add_f32_e32 v15, v15, v16
	s_nop 1
	v_mov_b32_dpp v16, v15 row_bcast:15 row_mask:0xf bank_mask:0xf
	v_add_f32_e32 v15, v15, v16
	s_nop 1
	v_mov_b32_dpp v16, v15 row_bcast:31 row_mask:0xf bank_mask:0xf
	s_and_saveexec_b64 s[0:1], s[2:3]
	s_cbranch_execz .LBB578_34
; %bb.33:
	v_lshrrev_b32_e32 v0, 4, v0
	v_add_f32_e32 v15, v15, v16
	v_and_b32_e32 v0, 60, v0
	ds_write_b32 v0, v15
.LBB578_34:
	s_or_b64 exec, exec, s[0:1]
	s_waitcnt lgkmcnt(0)
	s_barrier
	ds_read_b32 v0, v14
	s_waitcnt lgkmcnt(0)
	s_nop 0
	v_mov_b32_dpp v14, v0 quad_perm:[1,0,3,2] row_mask:0xf bank_mask:0xf
	v_add_f32_e32 v0, v0, v14
	s_nop 1
	v_mov_b32_dpp v14, v0 quad_perm:[2,3,0,1] row_mask:0xf bank_mask:0xf
	s_and_saveexec_b64 s[0:1], vcc
	s_cbranch_execz .LBB578_17
; %bb.35:
	v_cvt_f32_u32_e32 v15, s16
	v_add_f32_e32 v0, v0, v14
	s_mov_b32 s23, 0x20000
	v_div_scale_f32 v14, s[0:1], v15, v15, v0
	v_rcp_f32_e32 v16, v14
	v_div_scale_f32 v17, vcc, v0, v15, v0
	s_mov_b32 s0, 0x800000
	v_fma_f32 v18, -v14, v16, 1.0
	v_fmac_f32_e32 v16, v18, v16
	v_mul_f32_e32 v18, v17, v16
	v_fma_f32 v19, -v14, v18, v17
	v_fmac_f32_e32 v18, v19, v16
	v_fma_f32 v14, -v14, v18, v17
	v_div_fmas_f32 v14, v14, v16, v18
	v_div_fixup_f32 v0, v14, v15, v0
	v_add_f32_e32 v0, s13, v0
	v_mul_f32_e32 v14, 0x4b800000, v0
	v_cmp_gt_f32_e32 vcc, s0, v0
	v_cndmask_b32_e32 v0, v0, v14, vcc
	v_rsq_f32_e32 v0, v0
	v_cvt_f32_u32_sdwa v17, v2 dst_sel:DWORD dst_unused:UNUSED_PAD src0_sel:WORD_1
	v_cvt_f32_u32_sdwa v16, v2 dst_sel:DWORD dst_unused:UNUSED_PAD src0_sel:WORD_0
	v_cvt_f32_u32_sdwa v19, v3 dst_sel:DWORD dst_unused:UNUSED_PAD src0_sel:WORD_1
	v_mul_f32_e32 v14, 0x45800000, v0
	v_cndmask_b32_e32 v14, v0, v14, vcc
	v_mov_b32_e32 v15, v14
	;;#ASMSTART
	v_pk_mul_f32 v[12:13], v[12:13], v[14:15]
	;;#ASMEND
	;;#ASMSTART
	v_pk_mul_f32 v[10:11], v[10:11], v[14:15]
	;;#ASMEND
	;; [unrolled: 3-line block ×3, first 2 shown]
	v_cvt_f32_u32_sdwa v18, v3 dst_sel:DWORD dst_unused:UNUSED_PAD src0_sel:WORD_0
	;;#ASMSTART
	v_pk_mul_f32 v[2:3], v[6:7], v[14:15]
	;;#ASMEND
	v_cvt_f32_u32_sdwa v15, v4 dst_sel:DWORD dst_unused:UNUSED_PAD src0_sel:WORD_1
	v_cvt_f32_u32_sdwa v14, v4 dst_sel:DWORD dst_unused:UNUSED_PAD src0_sel:WORD_0
	v_pk_add_f32 v[6:7], v[16:17], 1.0 op_sel_hi:[1,0]
	v_cvt_f32_u32_sdwa v17, v5 dst_sel:DWORD dst_unused:UNUSED_PAD src0_sel:WORD_1
	v_cvt_f32_u32_sdwa v16, v5 dst_sel:DWORD dst_unused:UNUSED_PAD src0_sel:WORD_0
	s_mul_hi_i32 s1, s34, s6
	s_mul_i32 s0, s34, s6
	s_lshl_b64 s[0:1], s[0:1], 1
	s_add_u32 s20, s38, s0
	;;#ASMSTART
	v_pk_mul_f32 v[6:7], v[12:13], v[6:7]
	;;#ASMEND
	v_pk_add_f32 v[12:13], v[18:19], 1.0 op_sel_hi:[1,0]
	;;#ASMSTART
	v_pk_mul_f32 v[4:5], v[10:11], v[12:13]
	;;#ASMEND
	v_pk_add_f32 v[10:11], v[14:15], 1.0 op_sel_hi:[1,0]
	s_addc_u32 s0, s39, s1
	;;#ASMSTART
	v_pk_mul_f32 v[8:9], v[8:9], v[10:11]
	;;#ASMEND
	v_pk_add_f32 v[10:11], v[16:17], 1.0 op_sel_hi:[1,0]
	s_and_b32 s21, s0, 0xffff
	s_mov_b32 s0, 0x7060302
	;;#ASMSTART
	v_pk_mul_f32 v[10:11], v[2:3], v[10:11]
	;;#ASMEND
	v_perm_b32 v2, v7, v6, s0
	v_perm_b32 v3, v5, v4, s0
	;; [unrolled: 1-line block ×4, first 2 shown]
	buffer_store_dwordx4 v[2:5], v1, s[20:23], 0 offen
	;;#ASMSTART
	s_nop 0
	;;#ASMEND
	s_endpgm
	.section	.rodata,"a",@progbits
	.p2align	6, 0x0
	.amdhsa_kernel _ZN5aiter35fused_qk_rmsnorm_group_quant_kernelItDB8_Li256ELi8ELi4ELb1ELb0ELb1ELb0ELb0ELb0EEEvPT0_PvPT_S6_S6_PKS5_S8_S8_S8_S8_ffiiiiiiiiiiiii
		.amdhsa_group_segment_fixed_size 32
		.amdhsa_private_segment_fixed_size 0
		.amdhsa_kernarg_size 400
		.amdhsa_user_sgpr_count 6
		.amdhsa_user_sgpr_private_segment_buffer 1
		.amdhsa_user_sgpr_dispatch_ptr 0
		.amdhsa_user_sgpr_queue_ptr 0
		.amdhsa_user_sgpr_kernarg_segment_ptr 1
		.amdhsa_user_sgpr_dispatch_id 0
		.amdhsa_user_sgpr_flat_scratch_init 0
		.amdhsa_user_sgpr_kernarg_preload_length 0
		.amdhsa_user_sgpr_kernarg_preload_offset 0
		.amdhsa_user_sgpr_private_segment_size 0
		.amdhsa_uses_dynamic_stack 0
		.amdhsa_system_sgpr_private_segment_wavefront_offset 0
		.amdhsa_system_sgpr_workgroup_id_x 1
		.amdhsa_system_sgpr_workgroup_id_y 1
		.amdhsa_system_sgpr_workgroup_id_z 0
		.amdhsa_system_sgpr_workgroup_info 0
		.amdhsa_system_vgpr_workitem_id 0
		.amdhsa_next_free_vgpr 27
		.amdhsa_next_free_sgpr 48
		.amdhsa_accum_offset 28
		.amdhsa_reserve_vcc 1
		.amdhsa_reserve_flat_scratch 0
		.amdhsa_float_round_mode_32 0
		.amdhsa_float_round_mode_16_64 0
		.amdhsa_float_denorm_mode_32 3
		.amdhsa_float_denorm_mode_16_64 3
		.amdhsa_dx10_clamp 1
		.amdhsa_ieee_mode 1
		.amdhsa_fp16_overflow 0
		.amdhsa_tg_split 0
		.amdhsa_exception_fp_ieee_invalid_op 0
		.amdhsa_exception_fp_denorm_src 0
		.amdhsa_exception_fp_ieee_div_zero 0
		.amdhsa_exception_fp_ieee_overflow 0
		.amdhsa_exception_fp_ieee_underflow 0
		.amdhsa_exception_fp_ieee_inexact 0
		.amdhsa_exception_int_div_zero 0
	.end_amdhsa_kernel
	.section	.text._ZN5aiter35fused_qk_rmsnorm_group_quant_kernelItDB8_Li256ELi8ELi4ELb1ELb0ELb1ELb0ELb0ELb0EEEvPT0_PvPT_S6_S6_PKS5_S8_S8_S8_S8_ffiiiiiiiiiiiii,"axG",@progbits,_ZN5aiter35fused_qk_rmsnorm_group_quant_kernelItDB8_Li256ELi8ELi4ELb1ELb0ELb1ELb0ELb0ELb0EEEvPT0_PvPT_S6_S6_PKS5_S8_S8_S8_S8_ffiiiiiiiiiiiii,comdat
.Lfunc_end578:
	.size	_ZN5aiter35fused_qk_rmsnorm_group_quant_kernelItDB8_Li256ELi8ELi4ELb1ELb0ELb1ELb0ELb0ELb0EEEvPT0_PvPT_S6_S6_PKS5_S8_S8_S8_S8_ffiiiiiiiiiiiii, .Lfunc_end578-_ZN5aiter35fused_qk_rmsnorm_group_quant_kernelItDB8_Li256ELi8ELi4ELb1ELb0ELb1ELb0ELb0ELb0EEEvPT0_PvPT_S6_S6_PKS5_S8_S8_S8_S8_ffiiiiiiiiiiiii
                                        ; -- End function
	.section	.AMDGPU.csdata,"",@progbits
; Kernel info:
; codeLenInByte = 2980
; NumSgprs: 52
; NumVgprs: 27
; NumAgprs: 0
; TotalNumVgprs: 27
; ScratchSize: 0
; MemoryBound: 0
; FloatMode: 240
; IeeeMode: 1
; LDSByteSize: 32 bytes/workgroup (compile time only)
; SGPRBlocks: 6
; VGPRBlocks: 3
; NumSGPRsForWavesPerEU: 52
; NumVGPRsForWavesPerEU: 27
; AccumOffset: 28
; Occupancy: 8
; WaveLimiterHint : 0
; COMPUTE_PGM_RSRC2:SCRATCH_EN: 0
; COMPUTE_PGM_RSRC2:USER_SGPR: 6
; COMPUTE_PGM_RSRC2:TRAP_HANDLER: 0
; COMPUTE_PGM_RSRC2:TGID_X_EN: 1
; COMPUTE_PGM_RSRC2:TGID_Y_EN: 1
; COMPUTE_PGM_RSRC2:TGID_Z_EN: 0
; COMPUTE_PGM_RSRC2:TIDIG_COMP_CNT: 0
; COMPUTE_PGM_RSRC3_GFX90A:ACCUM_OFFSET: 6
; COMPUTE_PGM_RSRC3_GFX90A:TG_SPLIT: 0
	.section	.text._ZN5aiter35fused_qk_rmsnorm_group_quant_kernelIDF16_N4opus5fp4_tELi256ELi8ELi4ELb1ELb0ELb1ELb0ELb0ELb0EEEvPT0_PvPT_S7_S7_PKS6_S9_S9_S9_S9_ffiiiiiiiiiiiii,"axG",@progbits,_ZN5aiter35fused_qk_rmsnorm_group_quant_kernelIDF16_N4opus5fp4_tELi256ELi8ELi4ELb1ELb0ELb1ELb0ELb0ELb0EEEvPT0_PvPT_S7_S7_PKS6_S9_S9_S9_S9_ffiiiiiiiiiiiii,comdat
	.protected	_ZN5aiter35fused_qk_rmsnorm_group_quant_kernelIDF16_N4opus5fp4_tELi256ELi8ELi4ELb1ELb0ELb1ELb0ELb0ELb0EEEvPT0_PvPT_S7_S7_PKS6_S9_S9_S9_S9_ffiiiiiiiiiiiii ; -- Begin function _ZN5aiter35fused_qk_rmsnorm_group_quant_kernelIDF16_N4opus5fp4_tELi256ELi8ELi4ELb1ELb0ELb1ELb0ELb0ELb0EEEvPT0_PvPT_S7_S7_PKS6_S9_S9_S9_S9_ffiiiiiiiiiiiii
	.globl	_ZN5aiter35fused_qk_rmsnorm_group_quant_kernelIDF16_N4opus5fp4_tELi256ELi8ELi4ELb1ELb0ELb1ELb0ELb0ELb0EEEvPT0_PvPT_S7_S7_PKS6_S9_S9_S9_S9_ffiiiiiiiiiiiii
	.p2align	8
	.type	_ZN5aiter35fused_qk_rmsnorm_group_quant_kernelIDF16_N4opus5fp4_tELi256ELi8ELi4ELb1ELb0ELb1ELb0ELb0ELb0EEEvPT0_PvPT_S7_S7_PKS6_S9_S9_S9_S9_ffiiiiiiiiiiiii,@function
_ZN5aiter35fused_qk_rmsnorm_group_quant_kernelIDF16_N4opus5fp4_tELi256ELi8ELi4ELb1ELb0ELb1ELb0ELb0ELb0EEEvPT0_PvPT_S7_S7_PKS6_S9_S9_S9_S9_ffiiiiiiiiiiiii: ; @_ZN5aiter35fused_qk_rmsnorm_group_quant_kernelIDF16_N4opus5fp4_tELi256ELi8ELi4ELb1ELb0ELb1ELb0ELb0ELb0EEEvPT0_PvPT_S7_S7_PKS6_S9_S9_S9_S9_ffiiiiiiiiiiiii
; %bb.0:
	s_load_dwordx8 s[12:19], s[4:5], 0x50
	s_waitcnt lgkmcnt(0)
	s_cmp_ge_i32 s6, s14
	s_cbranch_scc1 .LBB579_17
; %bb.1:
	s_cmp_lg_u32 s7, 0
	s_cselect_b64 s[22:23], -1, 0
	s_cmp_eq_u32 s7, 0
	s_cselect_b64 s[8:9], -1, 0
	s_and_b64 s[0:1], s[8:9], exec
	s_load_dwordx2 s[20:21], s[4:5], 0x48
	s_load_dwordx2 s[34:35], s[4:5], 0x30
	s_load_dwordx4 s[24:27], s[4:5], 0x70
	s_cselect_b32 s7, s15, s16
	s_add_i32 s0, s7, 1
	s_lshr_b32 s1, s0, 31
	s_add_i32 s0, s0, s1
	s_lshl_b32 s0, s0, 1
	v_lshlrev_b32_e32 v1, 3, v0
	s_and_b32 s30, s0, -4
	v_cmp_gt_i32_e64 s[0:1], s7, v1
	v_mov_b32_e32 v2, 0
	v_mov_b32_e32 v3, 0
	;; [unrolled: 1-line block ×8, first 2 shown]
	s_and_saveexec_b64 s[2:3], s[0:1]
	s_cbranch_execz .LBB579_3
; %bb.2:
	s_load_dwordx2 s[10:11], s[4:5], 0x28
	s_load_dwordx2 s[28:29], s[4:5], 0x40
	s_and_b64 s[36:37], s[8:9], exec
	s_cselect_b32 s14, s17, s18
	s_mov_b32 s31, 0x20000
	s_waitcnt lgkmcnt(0)
	s_cselect_b32 s17, s11, s35
	s_cselect_b32 s27, s10, s34
	s_mul_hi_i32 s11, s14, s6
	s_mul_i32 s10, s14, s6
	s_lshl_b64 s[10:11], s[10:11], 1
	s_add_u32 s36, s27, s10
	s_addc_u32 s14, s17, s11
	s_and_b64 s[10:11], s[8:9], exec
	s_cselect_b32 s28, s28, s20
	s_cselect_b32 s10, s29, s21
	v_lshlrev_b32_e32 v10, 4, v0
	s_and_b32 s37, s14, 0xffff
	s_mov_b32 s38, s30
	s_mov_b32 s39, s31
	s_and_b32 s29, s10, 0xffff
	buffer_load_dwordx4 v[6:9], v10, s[36:39], 0 offen glc slc
	buffer_load_dwordx4 v[2:5], v10, s[28:31], 0 offen
.LBB579_3:
	s_or_b64 exec, exec, s[2:3]
	s_load_dwordx2 s[10:11], s[4:5], 0x80
	s_and_b64 vcc, exec, s[22:23]
	s_cbranch_vccz .LBB579_7
; %bb.4:
	v_mov_b32_e32 v11, 0
	v_mov_b32_e32 v10, 0
	;; [unrolled: 1-line block ×8, first 2 shown]
	s_and_saveexec_b64 s[2:3], s[0:1]
	s_cbranch_execz .LBB579_6
; %bb.5:
	s_waitcnt vmcnt(1)
	v_cvt_f32_f16_sdwa v15, v6 dst_sel:DWORD dst_unused:UNUSED_PAD src0_sel:WORD_1
	v_cvt_f32_f16_e32 v14, v6
	v_cvt_f32_f16_sdwa v17, v7 dst_sel:DWORD dst_unused:UNUSED_PAD src0_sel:WORD_1
	v_cvt_f32_f16_e32 v16, v7
	;; [unrolled: 2-line block ×4, first 2 shown]
.LBB579_6:
	s_or_b64 exec, exec, s[2:3]
	s_cbranch_execz .LBB579_8
	s_branch .LBB579_11
.LBB579_7:
                                        ; implicit-def: $vgpr11
                                        ; implicit-def: $vgpr13
                                        ; implicit-def: $vgpr17
                                        ; implicit-def: $vgpr15
.LBB579_8:
	v_mov_b32_e32 v11, 0
	v_mov_b32_e32 v10, 0
	;; [unrolled: 1-line block ×8, first 2 shown]
	s_and_saveexec_b64 s[2:3], s[0:1]
	s_cbranch_execz .LBB579_10
; %bb.9:
	s_load_dwordx2 s[28:29], s[4:5], 0x38
	s_mul_hi_i32 s37, s19, s6
	s_mul_i32 s36, s19, s6
	s_lshl_b64 s[36:37], s[36:37], 1
	s_mov_b32 s31, 0x20000
	s_waitcnt lgkmcnt(0)
	s_add_u32 s28, s28, s36
	s_addc_u32 s14, s29, s37
	s_and_b32 s29, s14, 0xffff
	v_lshlrev_b32_e32 v24, 4, v0
	buffer_load_dwordx4 v[10:13], v24, s[28:31], 0 offen glc slc
	s_waitcnt vmcnt(2)
	v_cvt_f32_f16_sdwa v15, v6 dst_sel:DWORD dst_unused:UNUSED_PAD src0_sel:WORD_1
	v_cvt_f32_f16_e32 v14, v6
	v_cvt_f32_f16_sdwa v17, v7 dst_sel:DWORD dst_unused:UNUSED_PAD src0_sel:WORD_1
	v_cvt_f32_f16_e32 v16, v7
	;; [unrolled: 2-line block ×4, first 2 shown]
	s_load_dwordx2 s[28:29], s[4:5], 0x20
	s_mul_hi_i32 s37, s11, s6
	s_mul_i32 s36, s11, s6
	s_lshl_b64 s[36:37], s[36:37], 1
	s_waitcnt lgkmcnt(0)
	s_add_u32 s28, s28, s36
	s_addc_u32 s11, s29, s37
	s_and_b32 s29, s11, 0xffff
	s_waitcnt vmcnt(0)
	v_cvt_f32_f16_e32 v8, v10
	v_cvt_f32_f16_sdwa v9, v10 dst_sel:DWORD dst_unused:UNUSED_PAD src0_sel:WORD_1
	v_cvt_f32_f16_e32 v10, v11
	v_cvt_f32_f16_sdwa v11, v11 dst_sel:DWORD dst_unused:UNUSED_PAD src0_sel:WORD_1
	;; [unrolled: 2-line block ×4, first 2 shown]
	v_pk_add_f32 v[14:15], v[14:15], v[8:9]
	v_pk_add_f32 v[16:17], v[16:17], v[10:11]
	;; [unrolled: 1-line block ×4, first 2 shown]
	v_cvt_f16_f32_e32 v6, v15
	v_cvt_f16_f32_e32 v7, v17
	;; [unrolled: 1-line block ×8, first 2 shown]
	v_pack_b32_f16 v9, v18, v9
	v_pack_b32_f16 v8, v19, v8
	;; [unrolled: 1-line block ×4, first 2 shown]
	buffer_store_dwordx4 v[6:9], v24, s[28:31], 0 offen glc slc
	;;#ASMSTART
	s_nop 0
	;;#ASMEND
.LBB579_10:
	s_or_b64 exec, exec, s[2:3]
.LBB579_11:
	s_waitcnt vmcnt(1)
	v_mul_f32_e32 v6, v15, v15
	v_fmac_f32_e32 v6, v14, v14
	v_fmac_f32_e32 v6, v16, v16
	;; [unrolled: 1-line block ×7, first 2 shown]
	v_and_b32_e32 v8, 63, v0
	v_cmp_eq_u32_e64 s[2:3], 63, v8
	v_mov_b32_dpp v7, v6 quad_perm:[1,0,3,2] row_mask:0xf bank_mask:0xf
	v_add_f32_e32 v6, v6, v7
	s_nop 1
	v_mov_b32_dpp v7, v6 quad_perm:[2,3,0,1] row_mask:0xf bank_mask:0xf
	v_add_f32_e32 v6, v6, v7
	s_nop 1
	v_mov_b32_dpp v7, v6 row_half_mirror row_mask:0xf bank_mask:0xf
	v_add_f32_e32 v6, v6, v7
	s_nop 1
	v_mov_b32_dpp v7, v6 row_mirror row_mask:0xf bank_mask:0xf
	v_add_f32_e32 v6, v6, v7
	s_nop 1
	v_mov_b32_dpp v7, v6 row_bcast:15 row_mask:0xf bank_mask:0xf
	v_add_f32_e32 v6, v6, v7
	s_nop 1
	v_mov_b32_dpp v7, v6 row_bcast:31 row_mask:0xf bank_mask:0xf
	s_and_saveexec_b64 s[28:29], s[2:3]
	s_cbranch_execz .LBB579_13
; %bb.12:
	v_add_f32_e32 v6, v6, v7
	v_lshrrev_b32_e32 v7, 4, v0
	v_and_b32_e32 v7, 60, v7
	ds_write_b32 v7, v6 offset:16
.LBB579_13:
	s_or_b64 exec, exec, s[28:29]
	v_and_b32_e32 v6, 3, v0
	v_lshlrev_b32_e32 v18, 2, v6
	s_waitcnt lgkmcnt(0)
	s_barrier
	ds_read_b32 v7, v18 offset:16
	s_load_dwordx2 s[36:37], s[4:5], 0x18
	s_waitcnt lgkmcnt(0)
	v_mov_b32_dpp v8, v7 quad_perm:[1,0,3,2] row_mask:0xf bank_mask:0xf
	v_add_f32_e32 v7, v7, v8
	s_nop 1
	v_mov_b32_dpp v8, v7 quad_perm:[2,3,0,1] row_mask:0xf bank_mask:0xf
	s_and_saveexec_b64 s[28:29], s[0:1]
	s_cbranch_execnz .LBB579_18
; %bb.14:
	s_or_b64 exec, exec, s[28:29]
	s_mov_b64 s[8:9], -1
	s_and_b64 vcc, exec, s[22:23]
	s_cbranch_vccnz .LBB579_19
.LBB579_15:
	s_andn2_b64 vcc, exec, s[8:9]
	s_cbranch_vccz .LBB579_22
.LBB579_16:
	s_cmp_lt_i32 s16, 1
	s_cbranch_scc0 .LBB579_29
.LBB579_17:
	s_endpgm
.LBB579_18:
	v_cvt_f32_u32_e32 v9, s7
	v_add_f32_e32 v7, v7, v8
	v_mov_b32_e32 v20, s13
	v_mov_b32_e32 v21, s12
	v_div_scale_f32 v8, s[38:39], v9, v9, v7
	v_rcp_f32_e32 v19, v8
	v_cndmask_b32_e64 v20, v20, v21, s[8:9]
	s_mov_b32 s7, 0x800000
	v_fma_f32 v21, -v8, v19, 1.0
	v_fmac_f32_e32 v19, v21, v19
	v_div_scale_f32 v21, vcc, v7, v9, v7
	v_mul_f32_e32 v22, v21, v19
	v_fma_f32 v23, -v8, v22, v21
	v_fmac_f32_e32 v22, v23, v19
	v_fma_f32 v8, -v8, v22, v21
	v_div_fmas_f32 v8, v8, v19, v22
	v_div_fixup_f32 v7, v8, v9, v7
	v_add_f32_e32 v7, v20, v7
	v_mul_f32_e32 v8, 0x4b800000, v7
	v_cmp_gt_f32_e32 vcc, s7, v7
	v_cndmask_b32_e32 v7, v7, v8, vcc
	v_rsq_f32_e32 v7, v7
	s_waitcnt vmcnt(0)
	v_cvt_f32_f16_sdwa v21, v2 dst_sel:DWORD dst_unused:UNUSED_PAD src0_sel:WORD_1
	v_cvt_f32_f16_e32 v20, v2
	v_cvt_f32_f16_sdwa v23, v3 dst_sel:DWORD dst_unused:UNUSED_PAD src0_sel:WORD_1
	v_mul_f32_e32 v8, 0x45800000, v7
	v_cndmask_b32_e32 v8, v7, v8, vcc
	v_mov_b32_e32 v9, v8
	;;#ASMSTART
	v_pk_mul_f32 v[14:15], v[14:15], v[8:9]
	;;#ASMEND
	;;#ASMSTART
	v_pk_mul_f32 v[16:17], v[16:17], v[8:9]
	;;#ASMEND
	;; [unrolled: 3-line block ×3, first 2 shown]
	v_cvt_f32_f16_e32 v22, v3
	;;#ASMSTART
	v_pk_mul_f32 v[2:3], v[10:11], v[8:9]
	;;#ASMEND
	v_cvt_f32_f16_sdwa v11, v4 dst_sel:DWORD dst_unused:UNUSED_PAD src0_sel:WORD_1
	v_cvt_f32_f16_e32 v10, v4
	v_pk_add_f32 v[8:9], v[20:21], 1.0 op_sel_hi:[1,0]
	v_cvt_f32_f16_sdwa v21, v5 dst_sel:DWORD dst_unused:UNUSED_PAD src0_sel:WORD_1
	v_cvt_f32_f16_e32 v20, v5
	v_pk_add_f32 v[4:5], v[10:11], 1.0 op_sel_hi:[1,0]
	;;#ASMSTART
	v_pk_mul_f32 v[14:15], v[14:15], v[8:9]
	;;#ASMEND
	v_pk_add_f32 v[8:9], v[22:23], 1.0 op_sel_hi:[1,0]
	;;#ASMSTART
	v_pk_mul_f32 v[16:17], v[16:17], v[8:9]
	;;#ASMEND
	;;#ASMSTART
	v_pk_mul_f32 v[12:13], v[12:13], v[4:5]
	;;#ASMEND
	v_pk_add_f32 v[4:5], v[20:21], 1.0 op_sel_hi:[1,0]
	;;#ASMSTART
	v_pk_mul_f32 v[10:11], v[2:3], v[4:5]
	;;#ASMEND
	s_or_b64 exec, exec, s[28:29]
	s_mov_b64 s[8:9], -1
	s_and_b64 vcc, exec, s[22:23]
	s_cbranch_vccz .LBB579_15
.LBB579_19:
	s_and_saveexec_b64 s[8:9], s[0:1]
	s_cbranch_execz .LBB579_21
; %bb.20:
	s_mul_hi_i32 s23, s10, s6
	s_mul_i32 s22, s10, s6
	s_waitcnt vmcnt(0)
	v_cvt_f16_f32_e32 v2, v14
	v_cvt_f16_f32_e32 v3, v16
	;; [unrolled: 1-line block ×8, first 2 shown]
	s_lshl_b64 s[22:23], s[22:23], 1
	s_add_u32 s28, s36, s22
	s_addc_u32 s7, s37, s23
	s_and_b32 s29, s7, 0xffff
	s_mov_b32 s31, 0x20000
	v_pack_b32_f16 v5, v5, v7
	v_pack_b32_f16 v4, v4, v8
	;; [unrolled: 1-line block ×4, first 2 shown]
	v_lshlrev_b32_e32 v7, 4, v0
	buffer_store_dwordx4 v[2:5], v7, s[28:31], 0 offen
	;;#ASMSTART
	s_nop 0
	;;#ASMEND
.LBB579_21:
	s_or_b64 exec, exec, s[8:9]
	s_cbranch_execnz .LBB579_16
.LBB579_22:
	s_waitcnt vmcnt(0)
	v_mov_b32_e32 v2, 0
	s_and_saveexec_b64 s[8:9], s[0:1]
	s_cbranch_execz .LBB579_24
; %bb.23:
	v_and_b32_e32 v2, 0x7fffffff, v14
	v_and_b32_e32 v3, 0x7fffffff, v15
	v_mov_b32_e32 v4, 0x2edbe6ff
	;;#ASMSTART
	v_max3_f32 v2, v4, v2, v3

	;;#ASMEND
	v_and_b32_e32 v3, 0x7fffffff, v16
	v_and_b32_e32 v4, 0x7fffffff, v17
	;;#ASMSTART
	v_max3_f32 v2, v2, v3, v4

	;;#ASMEND
	v_and_b32_e32 v3, 0x7fffffff, v12
	v_and_b32_e32 v4, 0x7fffffff, v13
	;; [unrolled: 6-line block ×3, first 2 shown]
	;;#ASMSTART
	v_max3_f32 v2, v2, v3, v4

	;;#ASMEND
.LBB579_24:
	s_or_b64 exec, exec, s[8:9]
	v_cmp_eq_u32_e32 vcc, 0, v6
	v_cmp_gt_i32_e64 s[8:9], s15, v1
	s_and_b64 s[22:23], vcc, s[8:9]
	;;#ASMSTART
	v_max_f32 v3, v2, v2 quad_perm:[1,0,3,2] row_mask:0xf bank_mask:0xf bound_ctrl:1
	;;#ASMEND
	;;#ASMSTART
	v_max_f32 v2, v3, v3 quad_perm:[2,3,0,1] row_mask:0xf bank_mask:0xf bound_ctrl:1
	;;#ASMEND
	s_and_saveexec_b64 s[8:9], s[22:23]
	s_cbranch_execz .LBB579_26
; %bb.25:
	s_load_dwordx2 s[22:23], s[4:5], 0x8
	v_mul_f32_e32 v2, 0x3e2aaaab, v2
	v_lshrrev_b32_e32 v3, 23, v2
	v_and_b32_e32 v4, 0x7f800000, v2
	v_and_b32_e32 v2, 0x7fffff, v2
	v_cmp_ne_u32_e32 vcc, 0, v2
	s_mul_i32 s12, s25, s6
	s_mov_b32 s7, 0x7f800000
	v_addc_co_u32_e32 v2, vcc, 0, v3, vcc
	s_mul_hi_i32 s11, s25, s6
	s_waitcnt lgkmcnt(0)
	s_add_u32 s22, s22, s12
	v_cmp_ne_u32_e32 vcc, s7, v4
	s_addc_u32 s23, s23, s11
	v_lshrrev_b32_e32 v5, 2, v0
	v_cndmask_b32_e32 v4, -1, v2, vcc
	v_pk_mov_b32 v[2:3], s[22:23], s[22:23] op_sel:[0,1]
	v_mad_i64_i32 v[2:3], s[22:23], s26, v5, v[2:3]
	global_store_byte v[2:3], v4, off
.LBB579_26:
	s_or_b64 exec, exec, s[8:9]
	s_and_saveexec_b64 s[8:9], s[0:1]
	s_cbranch_execz .LBB579_28
; %bb.27:
	s_load_dwordx2 s[0:1], s[4:5], 0x0
	s_mul_i32 s11, s24, s6
	s_mul_hi_i32 s7, s24, s6
	v_lshlrev_b32_e32 v2, 2, v0
	s_mov_b32 s27, 0x20000
	s_waitcnt lgkmcnt(0)
	s_add_u32 s24, s0, s11
	s_addc_u32 s0, s1, s7
	s_lshr_b32 s1, s15, 31
	s_add_i32 s1, s15, s1
	s_ashr_i32 s1, s1, 1
	s_add_i32 s1, s1, 3
	s_ashr_i32 s7, s1, 31
	s_lshr_b32 s7, s7, 30
	s_add_i32 s1, s1, s7
	s_and_b32 s26, s1, -4
	s_and_b32 s25, s0, 0xffff
	v_mov_b32_e32 v3, 0
	buffer_store_dword v3, v2, s[24:27], 0 offen
	;;#ASMSTART
	s_nop 0
	;;#ASMEND
.LBB579_28:
	s_or_b64 exec, exec, s[8:9]
	s_cmp_lt_i32 s16, 1
	s_cbranch_scc1 .LBB579_17
.LBB579_29:
	s_load_dword s0, s[4:5], 0x94
	s_waitcnt lgkmcnt(0)
	s_cmp_lg_u32 s0, 1
	s_cbranch_scc1 .LBB579_17
; %bb.30:
	s_lshl_b32 s0, s16, 1
	s_add_i32 s0, s0, 2
	v_cmp_gt_u32_e32 vcc, s16, v1
	s_and_b32 s22, s0, -4
	v_mov_b32_e32 v10, 0
	v_lshlrev_b32_e32 v1, 4, v0
	v_mov_b32_e32 v6, 0
	v_mov_b32_e32 v7, 0
	v_mov_b32_e32 v8, 0
	v_mov_b32_e32 v9, 0
	s_waitcnt vmcnt(0)
	v_mov_b32_e32 v2, 0
	v_mov_b32_e32 v3, 0
	;; [unrolled: 1-line block ×4, first 2 shown]
	s_barrier
	s_and_saveexec_b64 s[0:1], vcc
	s_cbranch_execz .LBB579_32
; %bb.31:
	s_mul_hi_i32 s5, s18, s6
	s_mul_i32 s4, s18, s6
	s_and_b32 s21, s21, 0xffff
	s_lshl_b64 s[4:5], s[4:5], 1
	s_add_u32 s24, s34, s4
	s_mov_b32 s23, 0x20000
	s_addc_u32 s4, s35, s5
	s_and_b32 s25, s4, 0xffff
	s_mov_b32 s26, s22
	s_mov_b32 s27, s23
	buffer_load_dwordx4 v[6:9], v1, s[24:27], 0 offen glc slc
	buffer_load_dwordx4 v[2:5], v1, s[20:23], 0 offen
.LBB579_32:
	s_or_b64 exec, exec, s[0:1]
	v_mov_b32_e32 v11, 0
	v_mov_b32_e32 v16, 0
	;; [unrolled: 1-line block ×7, first 2 shown]
	s_and_saveexec_b64 s[0:1], vcc
	s_cbranch_execz .LBB579_34
; %bb.33:
	s_waitcnt vmcnt(1)
	v_cvt_f32_f16_sdwa v11, v6 dst_sel:DWORD dst_unused:UNUSED_PAD src0_sel:WORD_1
	v_cvt_f32_f16_e32 v10, v6
	v_cvt_f32_f16_sdwa v17, v7 dst_sel:DWORD dst_unused:UNUSED_PAD src0_sel:WORD_1
	v_cvt_f32_f16_e32 v16, v7
	;; [unrolled: 2-line block ×4, first 2 shown]
.LBB579_34:
	s_or_b64 exec, exec, s[0:1]
	s_waitcnt vmcnt(1)
	v_mul_f32_e32 v6, v11, v11
	v_fmac_f32_e32 v6, v10, v10
	v_fmac_f32_e32 v6, v16, v16
	;; [unrolled: 1-line block ×7, first 2 shown]
	s_nop 1
	v_mov_b32_dpp v7, v6 quad_perm:[1,0,3,2] row_mask:0xf bank_mask:0xf
	v_add_f32_e32 v6, v6, v7
	s_nop 1
	v_mov_b32_dpp v7, v6 quad_perm:[2,3,0,1] row_mask:0xf bank_mask:0xf
	v_add_f32_e32 v6, v6, v7
	s_nop 1
	v_mov_b32_dpp v7, v6 row_half_mirror row_mask:0xf bank_mask:0xf
	v_add_f32_e32 v6, v6, v7
	s_nop 1
	v_mov_b32_dpp v7, v6 row_mirror row_mask:0xf bank_mask:0xf
	v_add_f32_e32 v6, v6, v7
	s_nop 1
	v_mov_b32_dpp v7, v6 row_bcast:15 row_mask:0xf bank_mask:0xf
	v_add_f32_e32 v6, v6, v7
	s_nop 1
	v_mov_b32_dpp v7, v6 row_bcast:31 row_mask:0xf bank_mask:0xf
	s_and_saveexec_b64 s[0:1], s[2:3]
	s_cbranch_execz .LBB579_36
; %bb.35:
	v_lshrrev_b32_e32 v0, 4, v0
	v_add_f32_e32 v6, v6, v7
	v_and_b32_e32 v0, 60, v0
	ds_write_b32 v0, v6
.LBB579_36:
	s_or_b64 exec, exec, s[0:1]
	s_waitcnt lgkmcnt(0)
	s_barrier
	ds_read_b32 v0, v18
	s_waitcnt lgkmcnt(0)
	s_nop 0
	v_mov_b32_dpp v6, v0 quad_perm:[1,0,3,2] row_mask:0xf bank_mask:0xf
	v_add_f32_e32 v0, v0, v6
	s_nop 1
	v_mov_b32_dpp v6, v0 quad_perm:[2,3,0,1] row_mask:0xf bank_mask:0xf
	s_and_saveexec_b64 s[0:1], vcc
	s_cbranch_execz .LBB579_17
; %bb.37:
	v_cvt_f32_u32_e32 v7, s16
	v_add_f32_e32 v0, v0, v6
	s_mov_b32 s23, 0x20000
	v_div_scale_f32 v6, s[0:1], v7, v7, v0
	v_rcp_f32_e32 v8, v6
	v_div_scale_f32 v9, vcc, v0, v7, v0
	s_mov_b32 s0, 0x800000
	v_fma_f32 v18, -v6, v8, 1.0
	v_fmac_f32_e32 v8, v18, v8
	v_mul_f32_e32 v18, v9, v8
	v_fma_f32 v19, -v6, v18, v9
	v_fmac_f32_e32 v18, v19, v8
	v_fma_f32 v6, -v6, v18, v9
	v_div_fmas_f32 v6, v6, v8, v18
	v_div_fixup_f32 v0, v6, v7, v0
	v_add_f32_e32 v0, s13, v0
	v_mul_f32_e32 v6, 0x4b800000, v0
	v_cmp_gt_f32_e32 vcc, s0, v0
	v_cndmask_b32_e32 v0, v0, v6, vcc
	v_rsq_f32_e32 v0, v0
	s_waitcnt vmcnt(0)
	v_cvt_f32_f16_sdwa v19, v3 dst_sel:DWORD dst_unused:UNUSED_PAD src0_sel:WORD_1
	v_cvt_f32_f16_e32 v18, v3
	s_mul_hi_i32 s1, s10, s6
	v_mul_f32_e32 v6, 0x45800000, v0
	v_cndmask_b32_e32 v6, v0, v6, vcc
	v_mov_b32_e32 v7, v6
	;;#ASMSTART
	v_pk_mul_f32 v[8:9], v[10:11], v[6:7]
	;;#ASMEND
	;;#ASMSTART
	v_pk_mul_f32 v[10:11], v[16:17], v[6:7]
	;;#ASMEND
	v_cvt_f32_f16_sdwa v17, v2 dst_sel:DWORD dst_unused:UNUSED_PAD src0_sel:WORD_1
	v_cvt_f32_f16_e32 v16, v2
	;;#ASMSTART
	v_pk_mul_f32 v[14:15], v[14:15], v[6:7]
	;;#ASMEND
	;;#ASMSTART
	v_pk_mul_f32 v[2:3], v[12:13], v[6:7]
	;;#ASMEND
	v_cvt_f32_f16_sdwa v13, v4 dst_sel:DWORD dst_unused:UNUSED_PAD src0_sel:WORD_1
	v_cvt_f32_f16_e32 v12, v4
	v_pk_add_f32 v[6:7], v[16:17], 1.0 op_sel_hi:[1,0]
	v_cvt_f32_f16_sdwa v17, v5 dst_sel:DWORD dst_unused:UNUSED_PAD src0_sel:WORD_1
	v_cvt_f32_f16_e32 v16, v5
	;;#ASMSTART
	v_pk_mul_f32 v[6:7], v[8:9], v[6:7]
	;;#ASMEND
	v_pk_add_f32 v[8:9], v[18:19], 1.0 op_sel_hi:[1,0]
	;;#ASMSTART
	v_pk_mul_f32 v[4:5], v[10:11], v[8:9]
	;;#ASMEND
	v_pk_add_f32 v[8:9], v[12:13], 1.0 op_sel_hi:[1,0]
	;; [unrolled: 4-line block ×3, first 2 shown]
	;;#ASMSTART
	v_pk_mul_f32 v[2:3], v[2:3], v[10:11]
	;;#ASMEND
	s_mul_i32 s0, s10, s6
	v_cvt_f16_f32_e32 v0, v6
	v_cvt_f16_f32_e32 v6, v7
	;; [unrolled: 1-line block ×8, first 2 shown]
	s_lshl_b64 s[0:1], s[0:1], 1
	s_add_u32 s20, s36, s0
	s_addc_u32 s0, s37, s1
	s_and_b32 s21, s0, 0xffff
	v_pack_b32_f16 v2, v0, v6
	v_pack_b32_f16 v3, v4, v5
	;; [unrolled: 1-line block ×4, first 2 shown]
	buffer_store_dwordx4 v[2:5], v1, s[20:23], 0 offen
	;;#ASMSTART
	s_nop 0
	;;#ASMEND
	s_endpgm
	.section	.rodata,"a",@progbits
	.p2align	6, 0x0
	.amdhsa_kernel _ZN5aiter35fused_qk_rmsnorm_group_quant_kernelIDF16_N4opus5fp4_tELi256ELi8ELi4ELb1ELb0ELb1ELb0ELb0ELb0EEEvPT0_PvPT_S7_S7_PKS6_S9_S9_S9_S9_ffiiiiiiiiiiiii
		.amdhsa_group_segment_fixed_size 32
		.amdhsa_private_segment_fixed_size 0
		.amdhsa_kernarg_size 400
		.amdhsa_user_sgpr_count 6
		.amdhsa_user_sgpr_private_segment_buffer 1
		.amdhsa_user_sgpr_dispatch_ptr 0
		.amdhsa_user_sgpr_queue_ptr 0
		.amdhsa_user_sgpr_kernarg_segment_ptr 1
		.amdhsa_user_sgpr_dispatch_id 0
		.amdhsa_user_sgpr_flat_scratch_init 0
		.amdhsa_user_sgpr_kernarg_preload_length 0
		.amdhsa_user_sgpr_kernarg_preload_offset 0
		.amdhsa_user_sgpr_private_segment_size 0
		.amdhsa_uses_dynamic_stack 0
		.amdhsa_system_sgpr_private_segment_wavefront_offset 0
		.amdhsa_system_sgpr_workgroup_id_x 1
		.amdhsa_system_sgpr_workgroup_id_y 1
		.amdhsa_system_sgpr_workgroup_id_z 0
		.amdhsa_system_sgpr_workgroup_info 0
		.amdhsa_system_vgpr_workitem_id 0
		.amdhsa_next_free_vgpr 25
		.amdhsa_next_free_sgpr 40
		.amdhsa_accum_offset 28
		.amdhsa_reserve_vcc 1
		.amdhsa_reserve_flat_scratch 0
		.amdhsa_float_round_mode_32 0
		.amdhsa_float_round_mode_16_64 0
		.amdhsa_float_denorm_mode_32 3
		.amdhsa_float_denorm_mode_16_64 3
		.amdhsa_dx10_clamp 1
		.amdhsa_ieee_mode 1
		.amdhsa_fp16_overflow 0
		.amdhsa_tg_split 0
		.amdhsa_exception_fp_ieee_invalid_op 0
		.amdhsa_exception_fp_denorm_src 0
		.amdhsa_exception_fp_ieee_div_zero 0
		.amdhsa_exception_fp_ieee_overflow 0
		.amdhsa_exception_fp_ieee_underflow 0
		.amdhsa_exception_fp_ieee_inexact 0
		.amdhsa_exception_int_div_zero 0
	.end_amdhsa_kernel
	.section	.text._ZN5aiter35fused_qk_rmsnorm_group_quant_kernelIDF16_N4opus5fp4_tELi256ELi8ELi4ELb1ELb0ELb1ELb0ELb0ELb0EEEvPT0_PvPT_S7_S7_PKS6_S9_S9_S9_S9_ffiiiiiiiiiiiii,"axG",@progbits,_ZN5aiter35fused_qk_rmsnorm_group_quant_kernelIDF16_N4opus5fp4_tELi256ELi8ELi4ELb1ELb0ELb1ELb0ELb0ELb0EEEvPT0_PvPT_S7_S7_PKS6_S9_S9_S9_S9_ffiiiiiiiiiiiii,comdat
.Lfunc_end579:
	.size	_ZN5aiter35fused_qk_rmsnorm_group_quant_kernelIDF16_N4opus5fp4_tELi256ELi8ELi4ELb1ELb0ELb1ELb0ELb0ELb0EEEvPT0_PvPT_S7_S7_PKS6_S9_S9_S9_S9_ffiiiiiiiiiiiii, .Lfunc_end579-_ZN5aiter35fused_qk_rmsnorm_group_quant_kernelIDF16_N4opus5fp4_tELi256ELi8ELi4ELb1ELb0ELb1ELb0ELb0ELb0EEEvPT0_PvPT_S7_S7_PKS6_S9_S9_S9_S9_ffiiiiiiiiiiiii
                                        ; -- End function
	.section	.AMDGPU.csdata,"",@progbits
; Kernel info:
; codeLenInByte = 2728
; NumSgprs: 44
; NumVgprs: 25
; NumAgprs: 0
; TotalNumVgprs: 25
; ScratchSize: 0
; MemoryBound: 0
; FloatMode: 240
; IeeeMode: 1
; LDSByteSize: 32 bytes/workgroup (compile time only)
; SGPRBlocks: 5
; VGPRBlocks: 3
; NumSGPRsForWavesPerEU: 44
; NumVGPRsForWavesPerEU: 25
; AccumOffset: 28
; Occupancy: 8
; WaveLimiterHint : 0
; COMPUTE_PGM_RSRC2:SCRATCH_EN: 0
; COMPUTE_PGM_RSRC2:USER_SGPR: 6
; COMPUTE_PGM_RSRC2:TRAP_HANDLER: 0
; COMPUTE_PGM_RSRC2:TGID_X_EN: 1
; COMPUTE_PGM_RSRC2:TGID_Y_EN: 1
; COMPUTE_PGM_RSRC2:TGID_Z_EN: 0
; COMPUTE_PGM_RSRC2:TIDIG_COMP_CNT: 0
; COMPUTE_PGM_RSRC3_GFX90A:ACCUM_OFFSET: 6
; COMPUTE_PGM_RSRC3_GFX90A:TG_SPLIT: 0
	.section	.text._ZN5aiter35fused_qk_rmsnorm_group_quant_kernelItN4opus5fp4_tELi256ELi8ELi4ELb1ELb0ELb1ELb0ELb0ELb0EEEvPT0_PvPT_S7_S7_PKS6_S9_S9_S9_S9_ffiiiiiiiiiiiii,"axG",@progbits,_ZN5aiter35fused_qk_rmsnorm_group_quant_kernelItN4opus5fp4_tELi256ELi8ELi4ELb1ELb0ELb1ELb0ELb0ELb0EEEvPT0_PvPT_S7_S7_PKS6_S9_S9_S9_S9_ffiiiiiiiiiiiii,comdat
	.protected	_ZN5aiter35fused_qk_rmsnorm_group_quant_kernelItN4opus5fp4_tELi256ELi8ELi4ELb1ELb0ELb1ELb0ELb0ELb0EEEvPT0_PvPT_S7_S7_PKS6_S9_S9_S9_S9_ffiiiiiiiiiiiii ; -- Begin function _ZN5aiter35fused_qk_rmsnorm_group_quant_kernelItN4opus5fp4_tELi256ELi8ELi4ELb1ELb0ELb1ELb0ELb0ELb0EEEvPT0_PvPT_S7_S7_PKS6_S9_S9_S9_S9_ffiiiiiiiiiiiii
	.globl	_ZN5aiter35fused_qk_rmsnorm_group_quant_kernelItN4opus5fp4_tELi256ELi8ELi4ELb1ELb0ELb1ELb0ELb0ELb0EEEvPT0_PvPT_S7_S7_PKS6_S9_S9_S9_S9_ffiiiiiiiiiiiii
	.p2align	8
	.type	_ZN5aiter35fused_qk_rmsnorm_group_quant_kernelItN4opus5fp4_tELi256ELi8ELi4ELb1ELb0ELb1ELb0ELb0ELb0EEEvPT0_PvPT_S7_S7_PKS6_S9_S9_S9_S9_ffiiiiiiiiiiiii,@function
_ZN5aiter35fused_qk_rmsnorm_group_quant_kernelItN4opus5fp4_tELi256ELi8ELi4ELb1ELb0ELb1ELb0ELb0ELb0EEEvPT0_PvPT_S7_S7_PKS6_S9_S9_S9_S9_ffiiiiiiiiiiiii: ; @_ZN5aiter35fused_qk_rmsnorm_group_quant_kernelItN4opus5fp4_tELi256ELi8ELi4ELb1ELb0ELb1ELb0ELb0ELb0EEEvPT0_PvPT_S7_S7_PKS6_S9_S9_S9_S9_ffiiiiiiiiiiiii
; %bb.0:
	s_load_dwordx8 s[12:19], s[4:5], 0x50
	s_waitcnt lgkmcnt(0)
	s_cmp_ge_i32 s6, s14
	s_cbranch_scc1 .LBB580_17
; %bb.1:
	s_cmp_lg_u32 s7, 0
	s_cselect_b64 s[22:23], -1, 0
	s_cmp_eq_u32 s7, 0
	s_cselect_b64 s[8:9], -1, 0
	s_and_b64 s[0:1], s[8:9], exec
	s_load_dwordx2 s[20:21], s[4:5], 0x48
	s_load_dwordx2 s[34:35], s[4:5], 0x30
	s_load_dwordx4 s[24:27], s[4:5], 0x70
	s_cselect_b32 s7, s15, s16
	s_add_i32 s0, s7, 1
	s_lshr_b32 s1, s0, 31
	s_add_i32 s0, s0, s1
	s_lshl_b32 s0, s0, 1
	v_lshlrev_b32_e32 v1, 3, v0
	s_and_b32 s30, s0, -4
	v_cmp_gt_i32_e64 s[0:1], s7, v1
	v_mov_b32_e32 v10, 0
	v_mov_b32_e32 v11, 0
	;; [unrolled: 1-line block ×8, first 2 shown]
	s_and_saveexec_b64 s[2:3], s[0:1]
	s_cbranch_execz .LBB580_3
; %bb.2:
	s_load_dwordx2 s[10:11], s[4:5], 0x28
	s_load_dwordx2 s[28:29], s[4:5], 0x40
	s_and_b64 s[36:37], s[8:9], exec
	s_cselect_b32 s14, s17, s18
	s_mov_b32 s31, 0x20000
	s_waitcnt lgkmcnt(0)
	s_cselect_b32 s17, s11, s35
	s_cselect_b32 s27, s10, s34
	s_mul_hi_i32 s11, s14, s6
	s_mul_i32 s10, s14, s6
	s_lshl_b64 s[10:11], s[10:11], 1
	s_add_u32 s36, s27, s10
	s_addc_u32 s14, s17, s11
	s_and_b64 s[10:11], s[8:9], exec
	s_cselect_b32 s28, s28, s20
	s_cselect_b32 s10, s29, s21
	v_lshlrev_b32_e32 v2, 4, v0
	s_and_b32 s37, s14, 0xffff
	s_mov_b32 s38, s30
	s_mov_b32 s39, s31
	s_and_b32 s29, s10, 0xffff
	buffer_load_dwordx4 v[14:17], v2, s[36:39], 0 offen glc slc
	buffer_load_dwordx4 v[10:13], v2, s[28:31], 0 offen
.LBB580_3:
	s_or_b64 exec, exec, s[2:3]
	s_load_dwordx2 s[10:11], s[4:5], 0x80
	s_and_b64 vcc, exec, s[22:23]
	s_cbranch_vccz .LBB580_7
; %bb.4:
	s_mov_b32 s36, 0
	s_mov_b32 s37, s36
	;; [unrolled: 1-line block ×8, first 2 shown]
	v_pk_mov_b32 v[2:3], s[36:37], s[36:37] op_sel:[0,1]
	v_pk_mov_b32 v[4:5], s[38:39], s[38:39] op_sel:[0,1]
	;; [unrolled: 1-line block ×4, first 2 shown]
	s_and_saveexec_b64 s[2:3], s[0:1]
	s_cbranch_execz .LBB580_6
; %bb.5:
	s_waitcnt vmcnt(1)
	v_cvt_f32_u32_sdwa v3, v14 dst_sel:DWORD dst_unused:UNUSED_PAD src0_sel:WORD_1
	v_cvt_f32_u32_sdwa v2, v14 dst_sel:DWORD dst_unused:UNUSED_PAD src0_sel:WORD_0
	v_cvt_f32_u32_sdwa v5, v15 dst_sel:DWORD dst_unused:UNUSED_PAD src0_sel:WORD_1
	v_cvt_f32_u32_sdwa v4, v15 dst_sel:DWORD dst_unused:UNUSED_PAD src0_sel:WORD_0
	;; [unrolled: 2-line block ×4, first 2 shown]
.LBB580_6:
	s_or_b64 exec, exec, s[2:3]
	s_cbranch_execz .LBB580_8
	s_branch .LBB580_11
.LBB580_7:
                                        ; implicit-def: $vgpr2_vgpr3_vgpr4_vgpr5_vgpr6_vgpr7_vgpr8_vgpr9
.LBB580_8:
	s_mov_b32 s36, 0
	s_mov_b32 s37, s36
	;; [unrolled: 1-line block ×8, first 2 shown]
	v_pk_mov_b32 v[2:3], s[36:37], s[36:37] op_sel:[0,1]
	v_pk_mov_b32 v[4:5], s[38:39], s[38:39] op_sel:[0,1]
	;; [unrolled: 1-line block ×4, first 2 shown]
	s_and_saveexec_b64 s[2:3], s[0:1]
	s_cbranch_execz .LBB580_10
; %bb.9:
	s_load_dwordx2 s[28:29], s[4:5], 0x38
	s_mul_hi_i32 s37, s19, s6
	s_mul_i32 s36, s19, s6
	s_lshl_b64 s[36:37], s[36:37], 1
	s_mov_b32 s31, 0x20000
	s_waitcnt lgkmcnt(0)
	s_add_u32 s28, s28, s36
	s_addc_u32 s14, s29, s37
	s_and_b32 s29, s14, 0xffff
	v_lshlrev_b32_e32 v26, 4, v0
	buffer_load_dwordx4 v[2:5], v26, s[28:31], 0 offen glc slc
	s_load_dwordx2 s[28:29], s[4:5], 0x20
	s_waitcnt vmcnt(2)
	v_cvt_f32_u32_sdwa v7, v14 dst_sel:DWORD dst_unused:UNUSED_PAD src0_sel:WORD_1
	v_cvt_f32_u32_sdwa v6, v14 dst_sel:DWORD dst_unused:UNUSED_PAD src0_sel:WORD_0
	v_cvt_f32_u32_sdwa v9, v15 dst_sel:DWORD dst_unused:UNUSED_PAD src0_sel:WORD_1
	v_cvt_f32_u32_sdwa v8, v15 dst_sel:DWORD dst_unused:UNUSED_PAD src0_sel:WORD_0
	;; [unrolled: 2-line block ×4, first 2 shown]
	s_mul_hi_i32 s37, s11, s6
	s_mul_i32 s36, s11, s6
	s_lshl_b64 s[36:37], s[36:37], 1
	s_waitcnt lgkmcnt(0)
	s_add_u32 s28, s28, s36
	s_mov_b32 s11, 0x7060302
	s_addc_u32 s14, s29, s37
	s_and_b32 s29, s14, 0xffff
	s_waitcnt vmcnt(0)
	v_cvt_f32_u32_sdwa v17, v2 dst_sel:DWORD dst_unused:UNUSED_PAD src0_sel:WORD_1
	v_cvt_f32_u32_sdwa v16, v2 dst_sel:DWORD dst_unused:UNUSED_PAD src0_sel:WORD_0
	v_cvt_f32_u32_sdwa v21, v3 dst_sel:DWORD dst_unused:UNUSED_PAD src0_sel:WORD_1
	v_cvt_f32_u32_sdwa v20, v3 dst_sel:DWORD dst_unused:UNUSED_PAD src0_sel:WORD_0
	;; [unrolled: 2-line block ×4, first 2 shown]
	v_pk_add_f32 v[2:3], v[6:7], v[16:17]
	v_pk_add_f32 v[4:5], v[8:9], v[20:21]
	;; [unrolled: 1-line block ×4, first 2 shown]
	v_perm_b32 v17, v9, v8, s11
	v_perm_b32 v16, v7, v6, s11
	;; [unrolled: 1-line block ×4, first 2 shown]
	buffer_store_dwordx4 v[14:17], v26, s[28:31], 0 offen glc slc
	;;#ASMSTART
	s_nop 0
	;;#ASMEND
.LBB580_10:
	s_or_b64 exec, exec, s[2:3]
.LBB580_11:
	s_waitcnt vmcnt(1)
	v_mul_f32_e32 v14, v3, v3
	v_fmac_f32_e32 v14, v2, v2
	v_fmac_f32_e32 v14, v4, v4
	;; [unrolled: 1-line block ×7, first 2 shown]
	v_and_b32_e32 v16, 63, v0
	v_cmp_eq_u32_e64 s[2:3], 63, v16
	v_mov_b32_dpp v15, v14 quad_perm:[1,0,3,2] row_mask:0xf bank_mask:0xf
	v_add_f32_e32 v14, v14, v15
	s_nop 1
	v_mov_b32_dpp v15, v14 quad_perm:[2,3,0,1] row_mask:0xf bank_mask:0xf
	v_add_f32_e32 v14, v14, v15
	s_nop 1
	v_mov_b32_dpp v15, v14 row_half_mirror row_mask:0xf bank_mask:0xf
	v_add_f32_e32 v14, v14, v15
	s_nop 1
	v_mov_b32_dpp v15, v14 row_mirror row_mask:0xf bank_mask:0xf
	v_add_f32_e32 v14, v14, v15
	s_nop 1
	v_mov_b32_dpp v15, v14 row_bcast:15 row_mask:0xf bank_mask:0xf
	v_add_f32_e32 v14, v14, v15
	s_nop 1
	v_mov_b32_dpp v15, v14 row_bcast:31 row_mask:0xf bank_mask:0xf
	s_and_saveexec_b64 s[28:29], s[2:3]
	s_cbranch_execz .LBB580_13
; %bb.12:
	v_add_f32_e32 v14, v14, v15
	v_lshrrev_b32_e32 v15, 4, v0
	v_and_b32_e32 v15, 60, v15
	ds_write_b32 v15, v14 offset:16
.LBB580_13:
	s_or_b64 exec, exec, s[28:29]
	v_and_b32_e32 v15, 3, v0
	v_lshlrev_b32_e32 v14, 2, v15
	s_waitcnt lgkmcnt(0)
	s_barrier
	ds_read_b32 v16, v14 offset:16
	s_load_dwordx2 s[36:37], s[4:5], 0x18
	s_waitcnt lgkmcnt(0)
	v_mov_b32_dpp v17, v16 quad_perm:[1,0,3,2] row_mask:0xf bank_mask:0xf
	v_add_f32_e32 v16, v16, v17
	s_nop 1
	v_mov_b32_dpp v17, v16 quad_perm:[2,3,0,1] row_mask:0xf bank_mask:0xf
	s_and_saveexec_b64 s[28:29], s[0:1]
	s_cbranch_execnz .LBB580_18
; %bb.14:
	s_or_b64 exec, exec, s[28:29]
	s_mov_b64 s[8:9], -1
	s_and_b64 vcc, exec, s[22:23]
	s_cbranch_vccnz .LBB580_19
.LBB580_15:
	s_andn2_b64 vcc, exec, s[8:9]
	s_cbranch_vccz .LBB580_22
.LBB580_16:
	s_cmp_lt_i32 s16, 1
	s_cbranch_scc0 .LBB580_29
.LBB580_17:
	s_endpgm
.LBB580_18:
	v_cvt_f32_u32_e32 v18, s7
	v_add_f32_e32 v16, v16, v17
	v_mov_b32_e32 v20, s13
	v_mov_b32_e32 v21, s12
	v_div_scale_f32 v17, s[38:39], v18, v18, v16
	v_rcp_f32_e32 v19, v17
	v_cndmask_b32_e64 v20, v20, v21, s[8:9]
	s_mov_b32 s7, 0x800000
	v_fma_f32 v21, -v17, v19, 1.0
	v_fmac_f32_e32 v19, v21, v19
	v_div_scale_f32 v21, vcc, v16, v18, v16
	v_mul_f32_e32 v22, v21, v19
	v_fma_f32 v23, -v17, v22, v21
	v_fmac_f32_e32 v22, v23, v19
	v_fma_f32 v17, -v17, v22, v21
	v_div_fmas_f32 v17, v17, v19, v22
	v_div_fixup_f32 v16, v17, v18, v16
	v_add_f32_e32 v16, v20, v16
	v_mul_f32_e32 v17, 0x4b800000, v16
	v_cmp_gt_f32_e32 vcc, s7, v16
	v_cndmask_b32_e32 v16, v16, v17, vcc
	v_rsq_f32_e32 v16, v16
	s_waitcnt vmcnt(0)
	v_cvt_f32_u32_sdwa v19, v10 dst_sel:DWORD dst_unused:UNUSED_PAD src0_sel:WORD_1
	v_cvt_f32_u32_sdwa v18, v10 dst_sel:DWORD dst_unused:UNUSED_PAD src0_sel:WORD_0
	v_cvt_f32_u32_sdwa v21, v11 dst_sel:DWORD dst_unused:UNUSED_PAD src0_sel:WORD_1
	v_mul_f32_e32 v17, 0x45800000, v16
	v_cndmask_b32_e32 v16, v16, v17, vcc
	v_mov_b32_e32 v17, v16
	v_cvt_f32_u32_sdwa v20, v11 dst_sel:DWORD dst_unused:UNUSED_PAD src0_sel:WORD_0
	;;#ASMSTART
	v_pk_mul_f32 v[2:3], v[2:3], v[16:17]
	;;#ASMEND
	;;#ASMSTART
	v_pk_mul_f32 v[4:5], v[4:5], v[16:17]
	;;#ASMEND
	;; [unrolled: 3-line block ×4, first 2 shown]
	v_cvt_f32_u32_sdwa v17, v12 dst_sel:DWORD dst_unused:UNUSED_PAD src0_sel:WORD_1
	v_cvt_f32_u32_sdwa v16, v12 dst_sel:DWORD dst_unused:UNUSED_PAD src0_sel:WORD_0
	v_pk_add_f32 v[10:11], v[18:19], 1.0 op_sel_hi:[1,0]
	v_cvt_f32_u32_sdwa v19, v13 dst_sel:DWORD dst_unused:UNUSED_PAD src0_sel:WORD_1
	v_cvt_f32_u32_sdwa v18, v13 dst_sel:DWORD dst_unused:UNUSED_PAD src0_sel:WORD_0
	;;#ASMSTART
	v_pk_mul_f32 v[2:3], v[2:3], v[10:11]
	;;#ASMEND
	v_pk_add_f32 v[10:11], v[20:21], 1.0 op_sel_hi:[1,0]
	;;#ASMSTART
	v_pk_mul_f32 v[4:5], v[4:5], v[10:11]
	;;#ASMEND
	v_pk_add_f32 v[10:11], v[16:17], 1.0 op_sel_hi:[1,0]
	;; [unrolled: 4-line block ×3, first 2 shown]
	;;#ASMSTART
	v_pk_mul_f32 v[8:9], v[8:9], v[10:11]
	;;#ASMEND
	s_or_b64 exec, exec, s[28:29]
	s_mov_b64 s[8:9], -1
	s_and_b64 vcc, exec, s[22:23]
	s_cbranch_vccz .LBB580_15
.LBB580_19:
	s_and_saveexec_b64 s[8:9], s[0:1]
	s_cbranch_execz .LBB580_21
; %bb.20:
	s_mul_hi_i32 s23, s10, s6
	s_mul_i32 s22, s10, s6
	s_lshl_b64 s[22:23], s[22:23], 1
	s_add_u32 s28, s36, s22
	s_addc_u32 s7, s37, s23
	s_and_b32 s29, s7, 0xffff
	s_mov_b32 s7, 0x7060302
	s_mov_b32 s31, 0x20000
	s_waitcnt vmcnt(0)
	v_perm_b32 v10, v3, v2, s7
	v_perm_b32 v11, v5, v4, s7
	;; [unrolled: 1-line block ×4, first 2 shown]
	v_lshlrev_b32_e32 v16, 4, v0
	buffer_store_dwordx4 v[10:13], v16, s[28:31], 0 offen
	;;#ASMSTART
	s_nop 0
	;;#ASMEND
.LBB580_21:
	s_or_b64 exec, exec, s[8:9]
	s_cbranch_execnz .LBB580_16
.LBB580_22:
	s_waitcnt vmcnt(0)
	v_mov_b32_e32 v10, 0
	s_and_saveexec_b64 s[8:9], s[0:1]
	s_cbranch_execz .LBB580_24
; %bb.23:
	v_and_b32_e32 v2, 0x7fffffff, v2
	v_and_b32_e32 v3, 0x7fffffff, v3
	v_mov_b32_e32 v10, 0x2edbe6ff
	;;#ASMSTART
	v_max3_f32 v2, v10, v2, v3

	;;#ASMEND
	v_and_b32_e32 v3, 0x7fffffff, v4
	v_and_b32_e32 v4, 0x7fffffff, v5
	;;#ASMSTART
	v_max3_f32 v2, v2, v3, v4

	;;#ASMEND
	v_and_b32_e32 v3, 0x7fffffff, v6
	v_and_b32_e32 v4, 0x7fffffff, v7
	;; [unrolled: 6-line block ×3, first 2 shown]
	;;#ASMSTART
	v_max3_f32 v10, v2, v3, v4

	;;#ASMEND
.LBB580_24:
	s_or_b64 exec, exec, s[8:9]
	v_cmp_eq_u32_e32 vcc, 0, v15
	v_cmp_gt_i32_e64 s[8:9], s15, v1
	s_and_b64 s[22:23], vcc, s[8:9]
	;;#ASMSTART
	v_max_f32 v3, v10, v10 quad_perm:[1,0,3,2] row_mask:0xf bank_mask:0xf bound_ctrl:1
	;;#ASMEND
	;;#ASMSTART
	v_max_f32 v2, v3, v3 quad_perm:[2,3,0,1] row_mask:0xf bank_mask:0xf bound_ctrl:1
	;;#ASMEND
	s_and_saveexec_b64 s[8:9], s[22:23]
	s_cbranch_execz .LBB580_26
; %bb.25:
	s_load_dwordx2 s[22:23], s[4:5], 0x8
	v_mul_f32_e32 v2, 0x3e2aaaab, v2
	v_lshrrev_b32_e32 v3, 23, v2
	v_and_b32_e32 v4, 0x7f800000, v2
	v_and_b32_e32 v2, 0x7fffff, v2
	v_cmp_ne_u32_e32 vcc, 0, v2
	s_mul_i32 s12, s25, s6
	s_mov_b32 s7, 0x7f800000
	v_addc_co_u32_e32 v2, vcc, 0, v3, vcc
	s_mul_hi_i32 s11, s25, s6
	s_waitcnt lgkmcnt(0)
	s_add_u32 s22, s22, s12
	v_cmp_ne_u32_e32 vcc, s7, v4
	s_addc_u32 s23, s23, s11
	v_lshrrev_b32_e32 v5, 2, v0
	v_cndmask_b32_e32 v4, -1, v2, vcc
	v_pk_mov_b32 v[2:3], s[22:23], s[22:23] op_sel:[0,1]
	v_mad_i64_i32 v[2:3], s[22:23], s26, v5, v[2:3]
	global_store_byte v[2:3], v4, off
.LBB580_26:
	s_or_b64 exec, exec, s[8:9]
	s_and_saveexec_b64 s[8:9], s[0:1]
	s_cbranch_execz .LBB580_28
; %bb.27:
	s_load_dwordx2 s[0:1], s[4:5], 0x0
	s_mul_i32 s11, s24, s6
	s_mul_hi_i32 s7, s24, s6
	v_lshlrev_b32_e32 v2, 2, v0
	s_mov_b32 s27, 0x20000
	s_waitcnt lgkmcnt(0)
	s_add_u32 s24, s0, s11
	s_addc_u32 s0, s1, s7
	s_lshr_b32 s1, s15, 31
	s_add_i32 s1, s15, s1
	s_ashr_i32 s1, s1, 1
	s_add_i32 s1, s1, 3
	s_ashr_i32 s7, s1, 31
	s_lshr_b32 s7, s7, 30
	s_add_i32 s1, s1, s7
	s_and_b32 s26, s1, -4
	s_and_b32 s25, s0, 0xffff
	v_mov_b32_e32 v3, 0
	buffer_store_dword v3, v2, s[24:27], 0 offen
	;;#ASMSTART
	s_nop 0
	;;#ASMEND
.LBB580_28:
	s_or_b64 exec, exec, s[8:9]
	s_cmp_lt_i32 s16, 1
	s_cbranch_scc1 .LBB580_17
.LBB580_29:
	s_load_dword s0, s[4:5], 0x94
	s_waitcnt lgkmcnt(0)
	s_cmp_lg_u32 s0, 1
	s_cbranch_scc1 .LBB580_17
; %bb.30:
	s_lshl_b32 s0, s16, 1
	s_add_i32 s0, s0, 2
	v_cmp_gt_u32_e32 vcc, s16, v1
	s_and_b32 s22, s0, -4
	v_mov_b32_e32 v6, 0
	v_lshlrev_b32_e32 v1, 4, v0
	v_mov_b32_e32 v7, 0
	v_mov_b32_e32 v8, 0
	;; [unrolled: 1-line block ×7, first 2 shown]
	s_barrier
	s_and_saveexec_b64 s[0:1], vcc
	s_cbranch_execz .LBB580_32
; %bb.31:
	s_mul_hi_i32 s5, s18, s6
	s_mul_i32 s4, s18, s6
	s_and_b32 s21, s21, 0xffff
	s_lshl_b64 s[4:5], s[4:5], 1
	s_add_u32 s24, s34, s4
	s_mov_b32 s23, 0x20000
	s_addc_u32 s4, s35, s5
	s_and_b32 s25, s4, 0xffff
	s_mov_b32 s26, s22
	s_mov_b32 s27, s23
	buffer_load_dwordx4 v[6:9], v1, s[24:27], 0 offen glc slc
	buffer_load_dwordx4 v[2:5], v1, s[20:23], 0 offen
.LBB580_32:
	s_or_b64 exec, exec, s[0:1]
	s_waitcnt vmcnt(0)
	v_cvt_f32_u32_sdwa v13, v6 dst_sel:DWORD dst_unused:UNUSED_PAD src0_sel:WORD_1
	v_cvt_f32_u32_sdwa v12, v6 dst_sel:DWORD dst_unused:UNUSED_PAD src0_sel:WORD_0
	v_cvt_f32_u32_sdwa v6, v9 dst_sel:DWORD dst_unused:UNUSED_PAD src0_sel:WORD_1
	v_cvt_f32_u32_sdwa v9, v9 dst_sel:DWORD dst_unused:UNUSED_PAD src0_sel:WORD_0
	;; [unrolled: 2-line block ×4, first 2 shown]
	v_cndmask_b32_e32 v13, 0, v13, vcc
	v_cndmask_b32_e32 v7, 0, v6, vcc
	;; [unrolled: 1-line block ×5, first 2 shown]
	v_mul_f32_e32 v15, v13, v13
	v_cndmask_b32_e32 v10, 0, v10, vcc
	v_fmac_f32_e32 v15, v12, v12
	v_cndmask_b32_e32 v11, 0, v11, vcc
	v_fmac_f32_e32 v15, v10, v10
	;; [unrolled: 2-line block ×3, first 2 shown]
	v_fmac_f32_e32 v15, v8, v8
	v_fmac_f32_e32 v15, v9, v9
	;; [unrolled: 1-line block ×4, first 2 shown]
	s_nop 1
	v_mov_b32_dpp v16, v15 quad_perm:[1,0,3,2] row_mask:0xf bank_mask:0xf
	v_add_f32_e32 v15, v15, v16
	s_nop 1
	v_mov_b32_dpp v16, v15 quad_perm:[2,3,0,1] row_mask:0xf bank_mask:0xf
	v_add_f32_e32 v15, v15, v16
	s_nop 1
	v_mov_b32_dpp v16, v15 row_half_mirror row_mask:0xf bank_mask:0xf
	v_add_f32_e32 v15, v15, v16
	s_nop 1
	v_mov_b32_dpp v16, v15 row_mirror row_mask:0xf bank_mask:0xf
	v_add_f32_e32 v15, v15, v16
	s_nop 1
	v_mov_b32_dpp v16, v15 row_bcast:15 row_mask:0xf bank_mask:0xf
	v_add_f32_e32 v15, v15, v16
	s_nop 1
	v_mov_b32_dpp v16, v15 row_bcast:31 row_mask:0xf bank_mask:0xf
	s_and_saveexec_b64 s[0:1], s[2:3]
	s_cbranch_execz .LBB580_34
; %bb.33:
	v_lshrrev_b32_e32 v0, 4, v0
	v_add_f32_e32 v15, v15, v16
	v_and_b32_e32 v0, 60, v0
	ds_write_b32 v0, v15
.LBB580_34:
	s_or_b64 exec, exec, s[0:1]
	s_waitcnt lgkmcnt(0)
	s_barrier
	ds_read_b32 v0, v14
	s_waitcnt lgkmcnt(0)
	s_nop 0
	v_mov_b32_dpp v14, v0 quad_perm:[1,0,3,2] row_mask:0xf bank_mask:0xf
	v_add_f32_e32 v0, v0, v14
	s_nop 1
	v_mov_b32_dpp v14, v0 quad_perm:[2,3,0,1] row_mask:0xf bank_mask:0xf
	s_and_saveexec_b64 s[0:1], vcc
	s_cbranch_execz .LBB580_17
; %bb.35:
	v_cvt_f32_u32_e32 v15, s16
	v_add_f32_e32 v0, v0, v14
	s_mov_b32 s23, 0x20000
	v_div_scale_f32 v14, s[0:1], v15, v15, v0
	v_rcp_f32_e32 v16, v14
	v_div_scale_f32 v17, vcc, v0, v15, v0
	s_mov_b32 s0, 0x800000
	v_fma_f32 v18, -v14, v16, 1.0
	v_fmac_f32_e32 v16, v18, v16
	v_mul_f32_e32 v18, v17, v16
	v_fma_f32 v19, -v14, v18, v17
	v_fmac_f32_e32 v18, v19, v16
	v_fma_f32 v14, -v14, v18, v17
	v_div_fmas_f32 v14, v14, v16, v18
	v_div_fixup_f32 v0, v14, v15, v0
	v_add_f32_e32 v0, s13, v0
	v_mul_f32_e32 v14, 0x4b800000, v0
	v_cmp_gt_f32_e32 vcc, s0, v0
	v_cndmask_b32_e32 v0, v0, v14, vcc
	v_rsq_f32_e32 v0, v0
	v_cvt_f32_u32_sdwa v17, v2 dst_sel:DWORD dst_unused:UNUSED_PAD src0_sel:WORD_1
	v_cvt_f32_u32_sdwa v16, v2 dst_sel:DWORD dst_unused:UNUSED_PAD src0_sel:WORD_0
	v_cvt_f32_u32_sdwa v19, v3 dst_sel:DWORD dst_unused:UNUSED_PAD src0_sel:WORD_1
	v_mul_f32_e32 v14, 0x45800000, v0
	v_cndmask_b32_e32 v14, v0, v14, vcc
	v_mov_b32_e32 v15, v14
	;;#ASMSTART
	v_pk_mul_f32 v[12:13], v[12:13], v[14:15]
	;;#ASMEND
	;;#ASMSTART
	v_pk_mul_f32 v[10:11], v[10:11], v[14:15]
	;;#ASMEND
	;;#ASMSTART
	v_pk_mul_f32 v[8:9], v[8:9], v[14:15]
	;;#ASMEND
	v_cvt_f32_u32_sdwa v18, v3 dst_sel:DWORD dst_unused:UNUSED_PAD src0_sel:WORD_0
	;;#ASMSTART
	v_pk_mul_f32 v[2:3], v[6:7], v[14:15]
	;;#ASMEND
	v_cvt_f32_u32_sdwa v15, v4 dst_sel:DWORD dst_unused:UNUSED_PAD src0_sel:WORD_1
	v_cvt_f32_u32_sdwa v14, v4 dst_sel:DWORD dst_unused:UNUSED_PAD src0_sel:WORD_0
	v_pk_add_f32 v[6:7], v[16:17], 1.0 op_sel_hi:[1,0]
	v_cvt_f32_u32_sdwa v17, v5 dst_sel:DWORD dst_unused:UNUSED_PAD src0_sel:WORD_1
	v_cvt_f32_u32_sdwa v16, v5 dst_sel:DWORD dst_unused:UNUSED_PAD src0_sel:WORD_0
	s_mul_hi_i32 s1, s10, s6
	s_mul_i32 s0, s10, s6
	s_lshl_b64 s[0:1], s[0:1], 1
	s_add_u32 s20, s36, s0
	;;#ASMSTART
	v_pk_mul_f32 v[6:7], v[12:13], v[6:7]
	;;#ASMEND
	v_pk_add_f32 v[12:13], v[18:19], 1.0 op_sel_hi:[1,0]
	;;#ASMSTART
	v_pk_mul_f32 v[4:5], v[10:11], v[12:13]
	;;#ASMEND
	v_pk_add_f32 v[10:11], v[14:15], 1.0 op_sel_hi:[1,0]
	s_addc_u32 s0, s37, s1
	;;#ASMSTART
	v_pk_mul_f32 v[8:9], v[8:9], v[10:11]
	;;#ASMEND
	v_pk_add_f32 v[10:11], v[16:17], 1.0 op_sel_hi:[1,0]
	s_and_b32 s21, s0, 0xffff
	s_mov_b32 s0, 0x7060302
	;;#ASMSTART
	v_pk_mul_f32 v[10:11], v[2:3], v[10:11]
	;;#ASMEND
	v_perm_b32 v2, v7, v6, s0
	v_perm_b32 v3, v5, v4, s0
	v_perm_b32 v4, v9, v8, s0
	v_perm_b32 v5, v11, v10, s0
	buffer_store_dwordx4 v[2:5], v1, s[20:23], 0 offen
	;;#ASMSTART
	s_nop 0
	;;#ASMEND
	s_endpgm
	.section	.rodata,"a",@progbits
	.p2align	6, 0x0
	.amdhsa_kernel _ZN5aiter35fused_qk_rmsnorm_group_quant_kernelItN4opus5fp4_tELi256ELi8ELi4ELb1ELb0ELb1ELb0ELb0ELb0EEEvPT0_PvPT_S7_S7_PKS6_S9_S9_S9_S9_ffiiiiiiiiiiiii
		.amdhsa_group_segment_fixed_size 32
		.amdhsa_private_segment_fixed_size 0
		.amdhsa_kernarg_size 400
		.amdhsa_user_sgpr_count 6
		.amdhsa_user_sgpr_private_segment_buffer 1
		.amdhsa_user_sgpr_dispatch_ptr 0
		.amdhsa_user_sgpr_queue_ptr 0
		.amdhsa_user_sgpr_kernarg_segment_ptr 1
		.amdhsa_user_sgpr_dispatch_id 0
		.amdhsa_user_sgpr_flat_scratch_init 0
		.amdhsa_user_sgpr_kernarg_preload_length 0
		.amdhsa_user_sgpr_kernarg_preload_offset 0
		.amdhsa_user_sgpr_private_segment_size 0
		.amdhsa_uses_dynamic_stack 0
		.amdhsa_system_sgpr_private_segment_wavefront_offset 0
		.amdhsa_system_sgpr_workgroup_id_x 1
		.amdhsa_system_sgpr_workgroup_id_y 1
		.amdhsa_system_sgpr_workgroup_id_z 0
		.amdhsa_system_sgpr_workgroup_info 0
		.amdhsa_system_vgpr_workitem_id 0
		.amdhsa_next_free_vgpr 27
		.amdhsa_next_free_sgpr 44
		.amdhsa_accum_offset 28
		.amdhsa_reserve_vcc 1
		.amdhsa_reserve_flat_scratch 0
		.amdhsa_float_round_mode_32 0
		.amdhsa_float_round_mode_16_64 0
		.amdhsa_float_denorm_mode_32 3
		.amdhsa_float_denorm_mode_16_64 3
		.amdhsa_dx10_clamp 1
		.amdhsa_ieee_mode 1
		.amdhsa_fp16_overflow 0
		.amdhsa_tg_split 0
		.amdhsa_exception_fp_ieee_invalid_op 0
		.amdhsa_exception_fp_denorm_src 0
		.amdhsa_exception_fp_ieee_div_zero 0
		.amdhsa_exception_fp_ieee_overflow 0
		.amdhsa_exception_fp_ieee_underflow 0
		.amdhsa_exception_fp_ieee_inexact 0
		.amdhsa_exception_int_div_zero 0
	.end_amdhsa_kernel
	.section	.text._ZN5aiter35fused_qk_rmsnorm_group_quant_kernelItN4opus5fp4_tELi256ELi8ELi4ELb1ELb0ELb1ELb0ELb0ELb0EEEvPT0_PvPT_S7_S7_PKS6_S9_S9_S9_S9_ffiiiiiiiiiiiii,"axG",@progbits,_ZN5aiter35fused_qk_rmsnorm_group_quant_kernelItN4opus5fp4_tELi256ELi8ELi4ELb1ELb0ELb1ELb0ELb0ELb0EEEvPT0_PvPT_S7_S7_PKS6_S9_S9_S9_S9_ffiiiiiiiiiiiii,comdat
.Lfunc_end580:
	.size	_ZN5aiter35fused_qk_rmsnorm_group_quant_kernelItN4opus5fp4_tELi256ELi8ELi4ELb1ELb0ELb1ELb0ELb0ELb0EEEvPT0_PvPT_S7_S7_PKS6_S9_S9_S9_S9_ffiiiiiiiiiiiii, .Lfunc_end580-_ZN5aiter35fused_qk_rmsnorm_group_quant_kernelItN4opus5fp4_tELi256ELi8ELi4ELb1ELb0ELb1ELb0ELb0ELb0EEEvPT0_PvPT_S7_S7_PKS6_S9_S9_S9_S9_ffiiiiiiiiiiiii
                                        ; -- End function
	.section	.AMDGPU.csdata,"",@progbits
; Kernel info:
; codeLenInByte = 2792
; NumSgprs: 48
; NumVgprs: 27
; NumAgprs: 0
; TotalNumVgprs: 27
; ScratchSize: 0
; MemoryBound: 0
; FloatMode: 240
; IeeeMode: 1
; LDSByteSize: 32 bytes/workgroup (compile time only)
; SGPRBlocks: 5
; VGPRBlocks: 3
; NumSGPRsForWavesPerEU: 48
; NumVGPRsForWavesPerEU: 27
; AccumOffset: 28
; Occupancy: 8
; WaveLimiterHint : 0
; COMPUTE_PGM_RSRC2:SCRATCH_EN: 0
; COMPUTE_PGM_RSRC2:USER_SGPR: 6
; COMPUTE_PGM_RSRC2:TRAP_HANDLER: 0
; COMPUTE_PGM_RSRC2:TGID_X_EN: 1
; COMPUTE_PGM_RSRC2:TGID_Y_EN: 1
; COMPUTE_PGM_RSRC2:TGID_Z_EN: 0
; COMPUTE_PGM_RSRC2:TIDIG_COMP_CNT: 0
; COMPUTE_PGM_RSRC3_GFX90A:ACCUM_OFFSET: 6
; COMPUTE_PGM_RSRC3_GFX90A:TG_SPLIT: 0
	.section	.text._ZN5aiter35fused_qk_rmsnorm_group_quant_kernelIDF16_DB8_Li256ELi8ELi4ELb1ELb0ELb0ELb0ELb0ELb0EEEvPT0_PvPT_S6_S6_PKS5_S8_S8_S8_S8_ffiiiiiiiiiiiii,"axG",@progbits,_ZN5aiter35fused_qk_rmsnorm_group_quant_kernelIDF16_DB8_Li256ELi8ELi4ELb1ELb0ELb0ELb0ELb0ELb0EEEvPT0_PvPT_S6_S6_PKS5_S8_S8_S8_S8_ffiiiiiiiiiiiii,comdat
	.protected	_ZN5aiter35fused_qk_rmsnorm_group_quant_kernelIDF16_DB8_Li256ELi8ELi4ELb1ELb0ELb0ELb0ELb0ELb0EEEvPT0_PvPT_S6_S6_PKS5_S8_S8_S8_S8_ffiiiiiiiiiiiii ; -- Begin function _ZN5aiter35fused_qk_rmsnorm_group_quant_kernelIDF16_DB8_Li256ELi8ELi4ELb1ELb0ELb0ELb0ELb0ELb0EEEvPT0_PvPT_S6_S6_PKS5_S8_S8_S8_S8_ffiiiiiiiiiiiii
	.globl	_ZN5aiter35fused_qk_rmsnorm_group_quant_kernelIDF16_DB8_Li256ELi8ELi4ELb1ELb0ELb0ELb0ELb0ELb0EEEvPT0_PvPT_S6_S6_PKS5_S8_S8_S8_S8_ffiiiiiiiiiiiii
	.p2align	8
	.type	_ZN5aiter35fused_qk_rmsnorm_group_quant_kernelIDF16_DB8_Li256ELi8ELi4ELb1ELb0ELb0ELb0ELb0ELb0EEEvPT0_PvPT_S6_S6_PKS5_S8_S8_S8_S8_ffiiiiiiiiiiiii,@function
_ZN5aiter35fused_qk_rmsnorm_group_quant_kernelIDF16_DB8_Li256ELi8ELi4ELb1ELb0ELb0ELb0ELb0ELb0EEEvPT0_PvPT_S6_S6_PKS5_S8_S8_S8_S8_ffiiiiiiiiiiiii: ; @_ZN5aiter35fused_qk_rmsnorm_group_quant_kernelIDF16_DB8_Li256ELi8ELi4ELb1ELb0ELb0ELb0ELb0ELb0EEEvPT0_PvPT_S6_S6_PKS5_S8_S8_S8_S8_ffiiiiiiiiiiiii
; %bb.0:
	s_load_dwordx8 s[12:19], s[4:5], 0x50
	s_waitcnt lgkmcnt(0)
	s_cmp_ge_i32 s6, s14
	s_cbranch_scc1 .LBB581_17
; %bb.1:
	s_cmp_lg_u32 s7, 0
	s_cselect_b64 s[10:11], -1, 0
	s_cmp_eq_u32 s7, 0
	s_cselect_b64 s[8:9], -1, 0
	s_and_b64 s[0:1], s[8:9], exec
	s_load_dwordx2 s[20:21], s[4:5], 0x48
	s_load_dwordx2 s[36:37], s[4:5], 0x30
	s_load_dwordx4 s[24:27], s[4:5], 0x70
	s_cselect_b32 s7, s15, s16
	s_add_i32 s0, s7, 1
	s_lshr_b32 s1, s0, 31
	s_add_i32 s0, s0, s1
	s_lshl_b32 s0, s0, 1
	v_lshlrev_b32_e32 v1, 3, v0
	s_and_b32 s30, s0, -4
	v_cmp_gt_i32_e64 s[0:1], s7, v1
	v_mov_b32_e32 v24, 0
	v_mov_b32_e32 v25, 0
	;; [unrolled: 1-line block ×8, first 2 shown]
	s_and_saveexec_b64 s[2:3], s[0:1]
	s_cbranch_execz .LBB581_3
; %bb.2:
	s_load_dwordx2 s[22:23], s[4:5], 0x28
	s_load_dwordx2 s[28:29], s[4:5], 0x40
	s_and_b64 s[34:35], s[8:9], exec
	s_cselect_b32 s14, s17, s18
	s_mov_b32 s31, 0x20000
	s_waitcnt lgkmcnt(0)
	s_cselect_b32 s17, s23, s37
	s_cselect_b32 s27, s22, s36
	s_mul_hi_i32 s23, s14, s6
	s_mul_i32 s22, s14, s6
	s_lshl_b64 s[22:23], s[22:23], 1
	s_add_u32 s40, s27, s22
	s_addc_u32 s14, s17, s23
	s_and_b64 s[22:23], s[8:9], exec
	s_cselect_b32 s28, s28, s20
	s_cselect_b32 s17, s29, s21
	v_lshlrev_b32_e32 v2, 4, v0
	s_and_b32 s41, s14, 0xffff
	s_mov_b32 s42, s30
	s_mov_b32 s43, s31
	s_and_b32 s29, s17, 0xffff
	buffer_load_dwordx4 v[28:31], v2, s[40:43], 0 offen glc slc
	buffer_load_dwordx4 v[24:27], v2, s[28:31], 0 offen
.LBB581_3:
	s_or_b64 exec, exec, s[2:3]
	s_load_dwordx2 s[34:35], s[4:5], 0x80
	s_and_b64 vcc, exec, s[10:11]
	s_cbranch_vccz .LBB581_7
; %bb.4:
	v_mov_b32_e32 v33, 0
	v_mov_b32_e32 v32, 0
	;; [unrolled: 1-line block ×8, first 2 shown]
	s_and_saveexec_b64 s[2:3], s[0:1]
	s_cbranch_execz .LBB581_6
; %bb.5:
	s_waitcnt vmcnt(1)
	v_cvt_f32_f16_sdwa v17, v28 dst_sel:DWORD dst_unused:UNUSED_PAD src0_sel:WORD_1
	v_cvt_f32_f16_e32 v16, v28
	v_cvt_f32_f16_sdwa v11, v29 dst_sel:DWORD dst_unused:UNUSED_PAD src0_sel:WORD_1
	v_cvt_f32_f16_e32 v10, v29
	;; [unrolled: 2-line block ×4, first 2 shown]
.LBB581_6:
	s_or_b64 exec, exec, s[2:3]
	s_cbranch_execz .LBB581_8
	s_branch .LBB581_11
.LBB581_7:
                                        ; implicit-def: $vgpr8_vgpr9_vgpr10_vgpr11_vgpr12_vgpr13_vgpr14_vgpr15
                                        ; implicit-def: $vgpr33
                                        ; implicit-def: $vgpr16_vgpr17_vgpr18_vgpr19_vgpr20_vgpr21_vgpr22_vgpr23
                                        ; implicit-def: $vgpr2_vgpr3_vgpr4_vgpr5_vgpr6_vgpr7_vgpr8_vgpr9
.LBB581_8:
	v_mov_b32_e32 v33, 0
	v_mov_b32_e32 v32, 0
	v_mov_b32_e32 v7, 0
	v_mov_b32_e32 v6, 0
	v_mov_b32_e32 v11, 0
	v_mov_b32_e32 v10, 0
	v_mov_b32_e32 v17, 0
	v_mov_b32_e32 v16, 0
	s_and_saveexec_b64 s[2:3], s[0:1]
	s_cbranch_execz .LBB581_10
; %bb.9:
	s_load_dwordx2 s[22:23], s[4:5], 0x38
	s_mul_hi_i32 s29, s19, s6
	s_mul_i32 s28, s19, s6
	s_lshl_b64 s[28:29], s[28:29], 1
	s_mov_b32 s31, 0x20000
	s_waitcnt lgkmcnt(0)
	s_add_u32 s28, s22, s28
	s_addc_u32 s14, s23, s29
	s_and_b32 s29, s14, 0xffff
	v_lshlrev_b32_e32 v20, 4, v0
	buffer_load_dwordx4 v[2:5], v20, s[28:31], 0 offen glc slc
	s_waitcnt vmcnt(2)
	v_cvt_f32_f16_sdwa v7, v28 dst_sel:DWORD dst_unused:UNUSED_PAD src0_sel:WORD_1
	v_cvt_f32_f16_e32 v6, v28
	v_cvt_f32_f16_sdwa v9, v29 dst_sel:DWORD dst_unused:UNUSED_PAD src0_sel:WORD_1
	v_cvt_f32_f16_e32 v8, v29
	;; [unrolled: 2-line block ×4, first 2 shown]
	s_load_dwordx2 s[22:23], s[4:5], 0x20
	s_mul_hi_i32 s29, s35, s6
	s_mul_i32 s28, s35, s6
	s_lshl_b64 s[28:29], s[28:29], 1
	s_waitcnt lgkmcnt(0)
	s_add_u32 s28, s22, s28
	s_addc_u32 s14, s23, s29
	s_and_b32 s29, s14, 0xffff
	s_waitcnt vmcnt(0)
	v_cvt_f32_f16_e32 v10, v2
	v_cvt_f32_f16_sdwa v11, v2 dst_sel:DWORD dst_unused:UNUSED_PAD src0_sel:WORD_1
	v_cvt_f32_f16_e32 v2, v3
	v_cvt_f32_f16_sdwa v3, v3 dst_sel:DWORD dst_unused:UNUSED_PAD src0_sel:WORD_1
	;; [unrolled: 2-line block ×4, first 2 shown]
	v_pk_add_f32 v[16:17], v[6:7], v[10:11]
	v_pk_add_f32 v[10:11], v[8:9], v[2:3]
	;; [unrolled: 1-line block ×4, first 2 shown]
	v_cvt_f16_f32_e32 v2, v17
	v_cvt_f16_f32_e32 v3, v11
	;; [unrolled: 1-line block ×8, first 2 shown]
	v_pack_b32_f16 v5, v8, v5
	v_pack_b32_f16 v4, v9, v4
	;; [unrolled: 1-line block ×4, first 2 shown]
	buffer_store_dwordx4 v[2:5], v20, s[28:31], 0 offen glc slc
	;;#ASMSTART
	s_nop 0
	;;#ASMEND
.LBB581_10:
	s_or_b64 exec, exec, s[2:3]
.LBB581_11:
	v_mul_f32_e32 v2, v17, v17
	v_fmac_f32_e32 v2, v16, v16
	v_fmac_f32_e32 v2, v10, v10
	v_fmac_f32_e32 v2, v11, v11
	v_fmac_f32_e32 v2, v6, v6
	v_fmac_f32_e32 v2, v7, v7
	v_fmac_f32_e32 v2, v32, v32
	v_fmac_f32_e32 v2, v33, v33
	v_and_b32_e32 v4, 63, v0
	v_cmp_eq_u32_e64 s[2:3], 63, v4
	v_mov_b32_dpp v3, v2 quad_perm:[1,0,3,2] row_mask:0xf bank_mask:0xf
	v_add_f32_e32 v2, v2, v3
	s_nop 1
	v_mov_b32_dpp v3, v2 quad_perm:[2,3,0,1] row_mask:0xf bank_mask:0xf
	v_add_f32_e32 v2, v2, v3
	s_nop 1
	v_mov_b32_dpp v3, v2 row_half_mirror row_mask:0xf bank_mask:0xf
	v_add_f32_e32 v2, v2, v3
	s_nop 1
	v_mov_b32_dpp v3, v2 row_mirror row_mask:0xf bank_mask:0xf
	v_add_f32_e32 v2, v2, v3
	s_nop 1
	v_mov_b32_dpp v3, v2 row_bcast:15 row_mask:0xf bank_mask:0xf
	v_add_f32_e32 v2, v2, v3
	s_nop 1
	v_mov_b32_dpp v3, v2 row_bcast:31 row_mask:0xf bank_mask:0xf
	s_and_saveexec_b64 s[22:23], s[2:3]
	s_cbranch_execz .LBB581_13
; %bb.12:
	v_add_f32_e32 v2, v2, v3
	v_lshrrev_b32_e32 v3, 4, v0
	v_and_b32_e32 v3, 60, v3
	ds_write_b32 v3, v2 offset:16
.LBB581_13:
	s_or_b64 exec, exec, s[22:23]
	v_and_b32_e32 v2, 3, v0
	v_lshlrev_b32_e32 v18, 2, v2
	s_waitcnt lgkmcnt(0)
	s_barrier
	ds_read_b32 v3, v18 offset:16
	s_load_dwordx2 s[38:39], s[4:5], 0x18
	s_waitcnt lgkmcnt(0)
	v_mov_b32_dpp v4, v3 quad_perm:[1,0,3,2] row_mask:0xf bank_mask:0xf
	v_add_f32_e32 v3, v3, v4
	s_nop 1
	v_mov_b32_dpp v4, v3 quad_perm:[2,3,0,1] row_mask:0xf bank_mask:0xf
	s_and_saveexec_b64 s[22:23], s[0:1]
	s_cbranch_execnz .LBB581_18
; %bb.14:
	s_or_b64 exec, exec, s[22:23]
	s_mov_b64 s[8:9], -1
	s_and_b64 vcc, exec, s[10:11]
	s_cbranch_vccnz .LBB581_19
.LBB581_15:
	s_andn2_b64 vcc, exec, s[8:9]
	s_cbranch_vccz .LBB581_22
.LBB581_16:
	s_cmp_lt_i32 s16, 1
	s_cbranch_scc0 .LBB581_29
.LBB581_17:
	s_endpgm
.LBB581_18:
	v_cvt_f32_u32_e32 v5, s7
	v_add_f32_e32 v3, v3, v4
	v_mov_b32_e32 v9, s13
	v_mov_b32_e32 v12, s12
	v_div_scale_f32 v4, s[28:29], v5, v5, v3
	v_rcp_f32_e32 v8, v4
	v_cndmask_b32_e64 v9, v9, v12, s[8:9]
	s_mov_b32 s7, 0x800000
	s_waitcnt vmcnt(0)
	v_cvt_f32_f16_sdwa v15, v25 dst_sel:DWORD dst_unused:UNUSED_PAD src0_sel:WORD_1
	v_fma_f32 v12, -v4, v8, 1.0
	v_fmac_f32_e32 v8, v12, v8
	v_div_scale_f32 v12, vcc, v3, v5, v3
	v_mul_f32_e32 v13, v12, v8
	v_fma_f32 v14, -v4, v13, v12
	v_fmac_f32_e32 v13, v14, v8
	v_fma_f32 v4, -v4, v13, v12
	v_div_fmas_f32 v4, v4, v8, v13
	v_div_fixup_f32 v3, v4, v5, v3
	v_add_f32_e32 v3, v9, v3
	v_mul_f32_e32 v4, 0x4b800000, v3
	v_cmp_gt_f32_e32 vcc, s7, v3
	v_cndmask_b32_e32 v3, v3, v4, vcc
	v_rsq_f32_e32 v3, v3
	v_cvt_f32_f16_sdwa v13, v24 dst_sel:DWORD dst_unused:UNUSED_PAD src0_sel:WORD_1
	v_cvt_f32_f16_e32 v12, v24
	v_cvt_f32_f16_e32 v14, v25
	v_mul_f32_e32 v4, 0x45800000, v3
	v_cndmask_b32_e32 v4, v3, v4, vcc
	v_mov_b32_e32 v5, v4
	;;#ASMSTART
	v_pk_mul_f32 v[8:9], v[16:17], v[4:5]
	;;#ASMEND
	;;#ASMSTART
	v_pk_mul_f32 v[10:11], v[10:11], v[4:5]
	;;#ASMEND
	;; [unrolled: 3-line block ×4, first 2 shown]
	v_cvt_f32_f16_sdwa v21, v26 dst_sel:DWORD dst_unused:UNUSED_PAD src0_sel:WORD_1
	v_cvt_f32_f16_e32 v20, v26
	v_cvt_f32_f16_sdwa v23, v27 dst_sel:DWORD dst_unused:UNUSED_PAD src0_sel:WORD_1
	v_cvt_f32_f16_e32 v22, v27
	;;#ASMSTART
	v_pk_mul_f32 v[16:17], v[8:9], v[12:13]
	;;#ASMEND
	;;#ASMSTART
	v_pk_mul_f32 v[10:11], v[10:11], v[14:15]
	;;#ASMEND
	;; [unrolled: 3-line block ×4, first 2 shown]
	s_or_b64 exec, exec, s[22:23]
	s_mov_b64 s[8:9], -1
	s_and_b64 vcc, exec, s[10:11]
	s_cbranch_vccz .LBB581_15
.LBB581_19:
	s_and_saveexec_b64 s[8:9], s[0:1]
	s_cbranch_execz .LBB581_21
; %bb.20:
	s_mul_hi_i32 s11, s34, s6
	s_mul_i32 s10, s34, s6
	v_cvt_f16_f32_e32 v3, v16
	v_cvt_f16_f32_e32 v4, v10
	v_cvt_f16_f32_e32 v5, v6
	v_cvt_f16_f32_e32 v8, v32
	v_cvt_f16_f32_e32 v9, v33
	v_cvt_f16_f32_e32 v12, v7
	v_cvt_f16_f32_e32 v13, v11
	v_cvt_f16_f32_e32 v19, v17
	s_lshl_b64 s[10:11], s[10:11], 1
	s_add_u32 s28, s38, s10
	s_addc_u32 s7, s39, s11
	s_and_b32 s29, s7, 0xffff
	s_mov_b32 s31, 0x20000
	v_pack_b32_f16 v15, v8, v9
	v_pack_b32_f16 v14, v5, v12
	;; [unrolled: 1-line block ×4, first 2 shown]
	v_lshlrev_b32_e32 v3, 4, v0
	buffer_store_dwordx4 v[12:15], v3, s[28:31], 0 offen
	;;#ASMSTART
	s_nop 0
	;;#ASMEND
.LBB581_21:
	s_or_b64 exec, exec, s[8:9]
	s_cbranch_execnz .LBB581_16
.LBB581_22:
	v_mov_b32_e32 v3, 0
	s_and_saveexec_b64 s[8:9], s[0:1]
	s_cbranch_execz .LBB581_24
; %bb.23:
	v_and_b32_e32 v3, 0x7fffffff, v16
	v_and_b32_e32 v4, 0x7fffffff, v17
	v_mov_b32_e32 v5, 0x2edbe6ff
	;;#ASMSTART
	v_max3_f32 v3, v5, v3, v4

	;;#ASMEND
	v_and_b32_e32 v4, 0x7fffffff, v10
	v_and_b32_e32 v5, 0x7fffffff, v11
	;;#ASMSTART
	v_max3_f32 v3, v3, v4, v5

	;;#ASMEND
	v_and_b32_e32 v4, 0x7fffffff, v6
	v_and_b32_e32 v5, 0x7fffffff, v7
	;; [unrolled: 6-line block ×3, first 2 shown]
	;;#ASMSTART
	v_max3_f32 v3, v3, v4, v5

	;;#ASMEND
.LBB581_24:
	s_or_b64 exec, exec, s[8:9]
	;;#ASMSTART
	v_max_f32 v4, v3, v3 quad_perm:[1,0,3,2] row_mask:0xf bank_mask:0xf bound_ctrl:1
	;;#ASMEND
	;;#ASMSTART
	v_max_f32 v3, v4, v4 quad_perm:[2,3,0,1] row_mask:0xf bank_mask:0xf bound_ctrl:1
	;;#ASMEND
	v_cmp_eq_u32_e32 vcc, 0, v2
	v_cmp_gt_i32_e64 s[8:9], s15, v1
	v_mul_f32_e32 v3, 0x3b124925, v3
	s_and_b64 s[10:11], vcc, s[8:9]
	s_and_saveexec_b64 s[8:9], s[10:11]
	s_cbranch_execz .LBB581_26
; %bb.25:
	s_load_dwordx2 s[10:11], s[4:5], 0x8
	s_mul_hi_i32 s23, s25, s6
	s_mul_i32 s22, s25, s6
	v_lshrrev_b32_e32 v2, 2, v0
	s_lshl_b64 s[22:23], s[22:23], 2
	v_mad_i64_i32 v[4:5], s[26:27], s26, v2, 0
	s_waitcnt lgkmcnt(0)
	s_add_u32 s7, s10, s22
	s_addc_u32 s10, s11, s23
	v_lshlrev_b64 v[4:5], 2, v[4:5]
	v_mov_b32_e32 v2, s10
	v_add_co_u32_e32 v4, vcc, s7, v4
	v_addc_co_u32_e32 v5, vcc, v2, v5, vcc
	global_store_dword v[4:5], v3, off
.LBB581_26:
	s_or_b64 exec, exec, s[8:9]
	;;#ASMSTART
	v_rcp_f32 v2, v3
	;;#ASMEND
	s_and_saveexec_b64 s[22:23], s[0:1]
	s_cbranch_execz .LBB581_28
; %bb.27:
	s_load_dwordx2 s[0:1], s[4:5], 0x0
	s_mul_i32 s8, s24, s6
	v_mov_b32_e32 v3, v2
	;;#ASMSTART
	v_pk_mul_f32 v[4:5], v[16:17], v[2:3]
	;;#ASMEND
	s_mul_hi_i32 s7, s24, s6
	s_waitcnt lgkmcnt(0)
	s_add_u32 s8, s0, s8
	v_mov_b32_e32 v8, 0xc3e00000
	v_mov_b32_e32 v9, 0x43e00000
	;;#ASMSTART
	v_med3_f32 v4, v4, v8, v9
v_med3_f32 v5, v5, v8, v9
v_cvt_pk_fp8_f32 v12, v4, v5
	;;#ASMEND
	s_addc_u32 s0, s1, s7
	;;#ASMSTART
	v_pk_mul_f32 v[4:5], v[10:11], v[2:3]
	;;#ASMEND
	s_and_b32 s9, s0, 0xffff
	;;#ASMSTART
	v_med3_f32 v4, v4, v8, v9
v_med3_f32 v5, v5, v8, v9
v_cvt_pk_fp8_f32 v10, v4, v5
	;;#ASMEND
	s_mov_b32 s0, 0x5040100
	v_perm_b32 v5, v10, v12, s0
	s_movk_i32 s0, 0xff
	v_and_b32_e32 v4, 0xffffff00, v10
	v_and_b32_sdwa v10, v5, s0 dst_sel:DWORD dst_unused:UNUSED_PAD src0_sel:WORD_1 src1_sel:DWORD
	s_mov_b32 s12, 0xffff
	v_or_b32_sdwa v4, v10, v4 dst_sel:WORD_1 dst_unused:UNUSED_PAD src0_sel:DWORD src1_sel:DWORD
	s_add_i32 s1, s15, 3
	v_and_or_b32 v4, v5, s12, v4
	;;#ASMSTART
	v_pk_mul_f32 v[6:7], v[6:7], v[2:3]
	;;#ASMEND
	v_mov_b32_e32 v5, v7
	s_ashr_i32 s7, s1, 31
	;;#ASMSTART
	v_med3_f32 v6, v6, v8, v9
v_med3_f32 v5, v5, v8, v9
v_cvt_pk_fp8_f32 v7, v6, v5
	;;#ASMEND
	;;#ASMSTART
	v_pk_mul_f32 v[2:3], v[32:33], v[2:3]
	;;#ASMEND
	s_lshr_b32 s7, s7, 30
	;;#ASMSTART
	v_med3_f32 v2, v2, v8, v9
v_med3_f32 v3, v3, v8, v9
v_cvt_pk_fp8_f32 v5, v2, v3
	;;#ASMEND
	s_add_i32 s1, s1, s7
	v_lshlrev_b32_e32 v2, 16, v5
	s_and_b32 s10, s1, -4
	s_mov_b32 s11, 0x20000
	v_and_or_b32 v5, v7, s12, v2
	buffer_store_dwordx2 v[4:5], v1, s[8:11], 0 offen
	;;#ASMSTART
	s_nop 0
	;;#ASMEND
.LBB581_28:
	s_or_b64 exec, exec, s[22:23]
	s_cmp_lt_i32 s16, 1
	s_cbranch_scc1 .LBB581_17
.LBB581_29:
	s_load_dword s0, s[4:5], 0x94
	s_waitcnt lgkmcnt(0)
	s_cmp_lg_u32 s0, 1
	s_cbranch_scc1 .LBB581_17
; %bb.30:
	s_lshl_b32 s0, s16, 1
	s_add_i32 s0, s0, 2
	v_cmp_gt_u32_e32 vcc, s16, v1
	s_and_b32 s22, s0, -4
	v_mov_b32_e32 v10, 0
	v_lshlrev_b32_e32 v1, 4, v0
	v_mov_b32_e32 v6, 0
	v_mov_b32_e32 v7, 0
	;; [unrolled: 1-line block ×8, first 2 shown]
	s_barrier
	s_and_saveexec_b64 s[0:1], vcc
	s_cbranch_execz .LBB581_32
; %bb.31:
	s_mul_hi_i32 s5, s18, s6
	s_mul_i32 s4, s18, s6
	s_and_b32 s21, s21, 0xffff
	s_lshl_b64 s[4:5], s[4:5], 1
	s_add_u32 s8, s36, s4
	s_mov_b32 s23, 0x20000
	s_addc_u32 s4, s37, s5
	s_and_b32 s9, s4, 0xffff
	s_mov_b32 s10, s22
	s_mov_b32 s11, s23
	buffer_load_dwordx4 v[6:9], v1, s[8:11], 0 offen glc slc
	buffer_load_dwordx4 v[2:5], v1, s[20:23], 0 offen
.LBB581_32:
	s_or_b64 exec, exec, s[0:1]
	v_mov_b32_e32 v11, 0
	v_mov_b32_e32 v16, 0
	;; [unrolled: 1-line block ×7, first 2 shown]
	s_and_saveexec_b64 s[0:1], vcc
	s_cbranch_execz .LBB581_34
; %bb.33:
	s_waitcnt vmcnt(1)
	v_cvt_f32_f16_sdwa v11, v6 dst_sel:DWORD dst_unused:UNUSED_PAD src0_sel:WORD_1
	v_cvt_f32_f16_e32 v10, v6
	v_cvt_f32_f16_sdwa v17, v7 dst_sel:DWORD dst_unused:UNUSED_PAD src0_sel:WORD_1
	v_cvt_f32_f16_e32 v16, v7
	;; [unrolled: 2-line block ×4, first 2 shown]
.LBB581_34:
	s_or_b64 exec, exec, s[0:1]
	s_waitcnt vmcnt(1)
	v_mul_f32_e32 v6, v11, v11
	v_fmac_f32_e32 v6, v10, v10
	v_fmac_f32_e32 v6, v16, v16
	;; [unrolled: 1-line block ×7, first 2 shown]
	s_nop 1
	v_mov_b32_dpp v7, v6 quad_perm:[1,0,3,2] row_mask:0xf bank_mask:0xf
	v_add_f32_e32 v6, v6, v7
	s_nop 1
	v_mov_b32_dpp v7, v6 quad_perm:[2,3,0,1] row_mask:0xf bank_mask:0xf
	v_add_f32_e32 v6, v6, v7
	s_nop 1
	v_mov_b32_dpp v7, v6 row_half_mirror row_mask:0xf bank_mask:0xf
	v_add_f32_e32 v6, v6, v7
	s_nop 1
	v_mov_b32_dpp v7, v6 row_mirror row_mask:0xf bank_mask:0xf
	v_add_f32_e32 v6, v6, v7
	s_nop 1
	v_mov_b32_dpp v7, v6 row_bcast:15 row_mask:0xf bank_mask:0xf
	v_add_f32_e32 v6, v6, v7
	s_nop 1
	v_mov_b32_dpp v7, v6 row_bcast:31 row_mask:0xf bank_mask:0xf
	s_and_saveexec_b64 s[0:1], s[2:3]
	s_cbranch_execz .LBB581_36
; %bb.35:
	v_lshrrev_b32_e32 v0, 4, v0
	v_add_f32_e32 v6, v6, v7
	v_and_b32_e32 v0, 60, v0
	ds_write_b32 v0, v6
.LBB581_36:
	s_or_b64 exec, exec, s[0:1]
	s_waitcnt lgkmcnt(0)
	s_barrier
	ds_read_b32 v0, v18
	s_waitcnt lgkmcnt(0)
	s_nop 0
	v_mov_b32_dpp v6, v0 quad_perm:[1,0,3,2] row_mask:0xf bank_mask:0xf
	v_add_f32_e32 v0, v0, v6
	s_nop 1
	v_mov_b32_dpp v6, v0 quad_perm:[2,3,0,1] row_mask:0xf bank_mask:0xf
	s_and_saveexec_b64 s[0:1], vcc
	s_cbranch_execz .LBB581_17
; %bb.37:
	v_cvt_f32_u32_e32 v7, s16
	v_add_f32_e32 v0, v0, v6
	s_mov_b32 s23, 0x20000
	v_div_scale_f32 v6, s[0:1], v7, v7, v0
	v_rcp_f32_e32 v8, v6
	v_div_scale_f32 v9, vcc, v0, v7, v0
	s_mov_b32 s0, 0x800000
	v_fma_f32 v18, -v6, v8, 1.0
	v_fmac_f32_e32 v8, v18, v8
	v_mul_f32_e32 v18, v9, v8
	v_fma_f32 v19, -v6, v18, v9
	v_fmac_f32_e32 v18, v19, v8
	v_fma_f32 v6, -v6, v18, v9
	v_div_fmas_f32 v6, v6, v8, v18
	v_div_fixup_f32 v0, v6, v7, v0
	v_add_f32_e32 v0, s13, v0
	v_mul_f32_e32 v6, 0x4b800000, v0
	v_cmp_gt_f32_e32 vcc, s0, v0
	v_cndmask_b32_e32 v0, v0, v6, vcc
	v_rsq_f32_e32 v0, v0
	s_waitcnt vmcnt(0)
	v_cvt_f32_f16_sdwa v19, v5 dst_sel:DWORD dst_unused:UNUSED_PAD src0_sel:WORD_1
	v_cvt_f32_f16_e32 v18, v5
	s_mul_hi_i32 s1, s34, s6
	v_mul_f32_e32 v6, 0x45800000, v0
	v_cndmask_b32_e32 v6, v0, v6, vcc
	v_mov_b32_e32 v7, v6
	;;#ASMSTART
	v_pk_mul_f32 v[8:9], v[10:11], v[6:7]
	;;#ASMEND
	;;#ASMSTART
	v_pk_mul_f32 v[10:11], v[16:17], v[6:7]
	;;#ASMEND
	;;#ASMSTART
	v_pk_mul_f32 v[14:15], v[14:15], v[6:7]
	;;#ASMEND
	;;#ASMSTART
	v_pk_mul_f32 v[6:7], v[12:13], v[6:7]
	;;#ASMEND
	v_cvt_f32_f16_sdwa v13, v2 dst_sel:DWORD dst_unused:UNUSED_PAD src0_sel:WORD_1
	v_cvt_f32_f16_e32 v12, v2
	v_cvt_f32_f16_sdwa v17, v3 dst_sel:DWORD dst_unused:UNUSED_PAD src0_sel:WORD_1
	v_cvt_f32_f16_e32 v16, v3
	;; [unrolled: 2-line block ×3, first 2 shown]
	;;#ASMSTART
	v_pk_mul_f32 v[4:5], v[8:9], v[12:13]
	;;#ASMEND
	;;#ASMSTART
	v_pk_mul_f32 v[8:9], v[10:11], v[16:17]
	;;#ASMEND
	;; [unrolled: 3-line block ×4, first 2 shown]
	s_mul_i32 s0, s34, s6
	v_cvt_f16_f32_e32 v0, v4
	v_cvt_f16_f32_e32 v4, v5
	v_cvt_f16_f32_e32 v5, v8
	v_cvt_f16_f32_e32 v8, v9
	v_cvt_f16_f32_e32 v9, v2
	v_cvt_f16_f32_e32 v10, v3
	v_cvt_f16_f32_e32 v6, v6
	v_cvt_f16_f32_e32 v7, v7
	s_lshl_b64 s[0:1], s[0:1], 1
	s_add_u32 s20, s38, s0
	s_addc_u32 s0, s39, s1
	s_and_b32 s21, s0, 0xffff
	v_pack_b32_f16 v2, v0, v4
	v_pack_b32_f16 v3, v5, v8
	;; [unrolled: 1-line block ×4, first 2 shown]
	buffer_store_dwordx4 v[2:5], v1, s[20:23], 0 offen
	;;#ASMSTART
	s_nop 0
	;;#ASMEND
	s_endpgm
	.section	.rodata,"a",@progbits
	.p2align	6, 0x0
	.amdhsa_kernel _ZN5aiter35fused_qk_rmsnorm_group_quant_kernelIDF16_DB8_Li256ELi8ELi4ELb1ELb0ELb0ELb0ELb0ELb0EEEvPT0_PvPT_S6_S6_PKS5_S8_S8_S8_S8_ffiiiiiiiiiiiii
		.amdhsa_group_segment_fixed_size 32
		.amdhsa_private_segment_fixed_size 0
		.amdhsa_kernarg_size 400
		.amdhsa_user_sgpr_count 6
		.amdhsa_user_sgpr_private_segment_buffer 1
		.amdhsa_user_sgpr_dispatch_ptr 0
		.amdhsa_user_sgpr_queue_ptr 0
		.amdhsa_user_sgpr_kernarg_segment_ptr 1
		.amdhsa_user_sgpr_dispatch_id 0
		.amdhsa_user_sgpr_flat_scratch_init 0
		.amdhsa_user_sgpr_kernarg_preload_length 0
		.amdhsa_user_sgpr_kernarg_preload_offset 0
		.amdhsa_user_sgpr_private_segment_size 0
		.amdhsa_uses_dynamic_stack 0
		.amdhsa_system_sgpr_private_segment_wavefront_offset 0
		.amdhsa_system_sgpr_workgroup_id_x 1
		.amdhsa_system_sgpr_workgroup_id_y 1
		.amdhsa_system_sgpr_workgroup_id_z 0
		.amdhsa_system_sgpr_workgroup_info 0
		.amdhsa_system_vgpr_workitem_id 0
		.amdhsa_next_free_vgpr 34
		.amdhsa_next_free_sgpr 44
		.amdhsa_accum_offset 36
		.amdhsa_reserve_vcc 1
		.amdhsa_reserve_flat_scratch 0
		.amdhsa_float_round_mode_32 0
		.amdhsa_float_round_mode_16_64 0
		.amdhsa_float_denorm_mode_32 3
		.amdhsa_float_denorm_mode_16_64 3
		.amdhsa_dx10_clamp 1
		.amdhsa_ieee_mode 1
		.amdhsa_fp16_overflow 0
		.amdhsa_tg_split 0
		.amdhsa_exception_fp_ieee_invalid_op 0
		.amdhsa_exception_fp_denorm_src 0
		.amdhsa_exception_fp_ieee_div_zero 0
		.amdhsa_exception_fp_ieee_overflow 0
		.amdhsa_exception_fp_ieee_underflow 0
		.amdhsa_exception_fp_ieee_inexact 0
		.amdhsa_exception_int_div_zero 0
	.end_amdhsa_kernel
	.section	.text._ZN5aiter35fused_qk_rmsnorm_group_quant_kernelIDF16_DB8_Li256ELi8ELi4ELb1ELb0ELb0ELb0ELb0ELb0EEEvPT0_PvPT_S6_S6_PKS5_S8_S8_S8_S8_ffiiiiiiiiiiiii,"axG",@progbits,_ZN5aiter35fused_qk_rmsnorm_group_quant_kernelIDF16_DB8_Li256ELi8ELi4ELb1ELb0ELb0ELb0ELb0ELb0EEEvPT0_PvPT_S6_S6_PKS5_S8_S8_S8_S8_ffiiiiiiiiiiiii,comdat
.Lfunc_end581:
	.size	_ZN5aiter35fused_qk_rmsnorm_group_quant_kernelIDF16_DB8_Li256ELi8ELi4ELb1ELb0ELb0ELb0ELb0ELb0EEEvPT0_PvPT_S6_S6_PKS5_S8_S8_S8_S8_ffiiiiiiiiiiiii, .Lfunc_end581-_ZN5aiter35fused_qk_rmsnorm_group_quant_kernelIDF16_DB8_Li256ELi8ELi4ELb1ELb0ELb0ELb0ELb0ELb0EEEvPT0_PvPT_S6_S6_PKS5_S8_S8_S8_S8_ffiiiiiiiiiiiii
                                        ; -- End function
	.section	.AMDGPU.csdata,"",@progbits
; Kernel info:
; codeLenInByte = 2832
; NumSgprs: 48
; NumVgprs: 34
; NumAgprs: 0
; TotalNumVgprs: 34
; ScratchSize: 0
; MemoryBound: 0
; FloatMode: 240
; IeeeMode: 1
; LDSByteSize: 32 bytes/workgroup (compile time only)
; SGPRBlocks: 5
; VGPRBlocks: 4
; NumSGPRsForWavesPerEU: 48
; NumVGPRsForWavesPerEU: 34
; AccumOffset: 36
; Occupancy: 8
; WaveLimiterHint : 0
; COMPUTE_PGM_RSRC2:SCRATCH_EN: 0
; COMPUTE_PGM_RSRC2:USER_SGPR: 6
; COMPUTE_PGM_RSRC2:TRAP_HANDLER: 0
; COMPUTE_PGM_RSRC2:TGID_X_EN: 1
; COMPUTE_PGM_RSRC2:TGID_Y_EN: 1
; COMPUTE_PGM_RSRC2:TGID_Z_EN: 0
; COMPUTE_PGM_RSRC2:TIDIG_COMP_CNT: 0
; COMPUTE_PGM_RSRC3_GFX90A:ACCUM_OFFSET: 8
; COMPUTE_PGM_RSRC3_GFX90A:TG_SPLIT: 0
	.section	.text._ZN5aiter35fused_qk_rmsnorm_group_quant_kernelItDB8_Li256ELi8ELi4ELb1ELb0ELb0ELb0ELb0ELb0EEEvPT0_PvPT_S6_S6_PKS5_S8_S8_S8_S8_ffiiiiiiiiiiiii,"axG",@progbits,_ZN5aiter35fused_qk_rmsnorm_group_quant_kernelItDB8_Li256ELi8ELi4ELb1ELb0ELb0ELb0ELb0ELb0EEEvPT0_PvPT_S6_S6_PKS5_S8_S8_S8_S8_ffiiiiiiiiiiiii,comdat
	.protected	_ZN5aiter35fused_qk_rmsnorm_group_quant_kernelItDB8_Li256ELi8ELi4ELb1ELb0ELb0ELb0ELb0ELb0EEEvPT0_PvPT_S6_S6_PKS5_S8_S8_S8_S8_ffiiiiiiiiiiiii ; -- Begin function _ZN5aiter35fused_qk_rmsnorm_group_quant_kernelItDB8_Li256ELi8ELi4ELb1ELb0ELb0ELb0ELb0ELb0EEEvPT0_PvPT_S6_S6_PKS5_S8_S8_S8_S8_ffiiiiiiiiiiiii
	.globl	_ZN5aiter35fused_qk_rmsnorm_group_quant_kernelItDB8_Li256ELi8ELi4ELb1ELb0ELb0ELb0ELb0ELb0EEEvPT0_PvPT_S6_S6_PKS5_S8_S8_S8_S8_ffiiiiiiiiiiiii
	.p2align	8
	.type	_ZN5aiter35fused_qk_rmsnorm_group_quant_kernelItDB8_Li256ELi8ELi4ELb1ELb0ELb0ELb0ELb0ELb0EEEvPT0_PvPT_S6_S6_PKS5_S8_S8_S8_S8_ffiiiiiiiiiiiii,@function
_ZN5aiter35fused_qk_rmsnorm_group_quant_kernelItDB8_Li256ELi8ELi4ELb1ELb0ELb0ELb0ELb0ELb0EEEvPT0_PvPT_S6_S6_PKS5_S8_S8_S8_S8_ffiiiiiiiiiiiii: ; @_ZN5aiter35fused_qk_rmsnorm_group_quant_kernelItDB8_Li256ELi8ELi4ELb1ELb0ELb0ELb0ELb0ELb0EEEvPT0_PvPT_S6_S6_PKS5_S8_S8_S8_S8_ffiiiiiiiiiiiii
; %bb.0:
	s_load_dwordx8 s[12:19], s[4:5], 0x50
	s_waitcnt lgkmcnt(0)
	s_cmp_ge_i32 s6, s14
	s_cbranch_scc1 .LBB582_17
; %bb.1:
	s_cmp_lg_u32 s7, 0
	s_cselect_b64 s[10:11], -1, 0
	s_cmp_eq_u32 s7, 0
	s_cselect_b64 s[8:9], -1, 0
	s_and_b64 s[0:1], s[8:9], exec
	s_load_dwordx2 s[20:21], s[4:5], 0x48
	s_load_dwordx2 s[36:37], s[4:5], 0x30
	s_load_dwordx4 s[24:27], s[4:5], 0x70
	s_cselect_b32 s7, s15, s16
	s_add_i32 s0, s7, 1
	s_lshr_b32 s1, s0, 31
	s_add_i32 s0, s0, s1
	s_lshl_b32 s0, s0, 1
	v_lshlrev_b32_e32 v1, 3, v0
	s_and_b32 s30, s0, -4
	v_cmp_gt_i32_e64 s[0:1], s7, v1
	v_mov_b32_e32 v10, 0
	v_mov_b32_e32 v11, 0
	;; [unrolled: 1-line block ×8, first 2 shown]
	s_and_saveexec_b64 s[2:3], s[0:1]
	s_cbranch_execz .LBB582_3
; %bb.2:
	s_load_dwordx2 s[22:23], s[4:5], 0x28
	s_load_dwordx2 s[28:29], s[4:5], 0x40
	s_and_b64 s[34:35], s[8:9], exec
	s_cselect_b32 s14, s17, s18
	s_mov_b32 s31, 0x20000
	s_waitcnt lgkmcnt(0)
	s_cselect_b32 s17, s23, s37
	s_cselect_b32 s27, s22, s36
	s_mul_hi_i32 s23, s14, s6
	s_mul_i32 s22, s14, s6
	s_lshl_b64 s[22:23], s[22:23], 1
	s_add_u32 s40, s27, s22
	s_addc_u32 s14, s17, s23
	s_and_b64 s[22:23], s[8:9], exec
	s_cselect_b32 s28, s28, s20
	s_cselect_b32 s17, s29, s21
	v_lshlrev_b32_e32 v2, 4, v0
	s_and_b32 s41, s14, 0xffff
	s_mov_b32 s42, s30
	s_mov_b32 s43, s31
	s_and_b32 s29, s17, 0xffff
	buffer_load_dwordx4 v[14:17], v2, s[40:43], 0 offen glc slc
	buffer_load_dwordx4 v[10:13], v2, s[28:31], 0 offen
.LBB582_3:
	s_or_b64 exec, exec, s[2:3]
	s_load_dwordx2 s[34:35], s[4:5], 0x80
	s_and_b64 vcc, exec, s[10:11]
	s_cbranch_vccz .LBB582_7
; %bb.4:
	s_mov_b32 s40, 0
	s_mov_b32 s41, s40
	s_mov_b32 s42, s40
	s_mov_b32 s43, s40
	s_mov_b32 s44, s40
	s_mov_b32 s45, s40
	s_mov_b32 s46, s40
	s_mov_b32 s47, s40
	v_pk_mov_b32 v[2:3], s[40:41], s[40:41] op_sel:[0,1]
	v_pk_mov_b32 v[4:5], s[42:43], s[42:43] op_sel:[0,1]
	;; [unrolled: 1-line block ×4, first 2 shown]
	s_and_saveexec_b64 s[2:3], s[0:1]
	s_cbranch_execz .LBB582_6
; %bb.5:
	s_waitcnt vmcnt(1)
	v_cvt_f32_u32_sdwa v3, v14 dst_sel:DWORD dst_unused:UNUSED_PAD src0_sel:WORD_1
	v_cvt_f32_u32_sdwa v2, v14 dst_sel:DWORD dst_unused:UNUSED_PAD src0_sel:WORD_0
	v_cvt_f32_u32_sdwa v5, v15 dst_sel:DWORD dst_unused:UNUSED_PAD src0_sel:WORD_1
	v_cvt_f32_u32_sdwa v4, v15 dst_sel:DWORD dst_unused:UNUSED_PAD src0_sel:WORD_0
	;; [unrolled: 2-line block ×4, first 2 shown]
.LBB582_6:
	s_or_b64 exec, exec, s[2:3]
	s_cbranch_execz .LBB582_8
	s_branch .LBB582_11
.LBB582_7:
                                        ; implicit-def: $vgpr2_vgpr3_vgpr4_vgpr5_vgpr6_vgpr7_vgpr8_vgpr9
.LBB582_8:
	s_mov_b32 s40, 0
	s_mov_b32 s41, s40
	;; [unrolled: 1-line block ×8, first 2 shown]
	v_pk_mov_b32 v[2:3], s[40:41], s[40:41] op_sel:[0,1]
	v_pk_mov_b32 v[4:5], s[42:43], s[42:43] op_sel:[0,1]
	;; [unrolled: 1-line block ×4, first 2 shown]
	s_and_saveexec_b64 s[2:3], s[0:1]
	s_cbranch_execz .LBB582_10
; %bb.9:
	s_load_dwordx2 s[22:23], s[4:5], 0x38
	s_mul_hi_i32 s29, s19, s6
	s_mul_i32 s28, s19, s6
	s_lshl_b64 s[28:29], s[28:29], 1
	s_mov_b32 s31, 0x20000
	s_waitcnt lgkmcnt(0)
	s_add_u32 s28, s22, s28
	s_addc_u32 s14, s23, s29
	s_and_b32 s29, s14, 0xffff
	v_lshlrev_b32_e32 v26, 4, v0
	buffer_load_dwordx4 v[2:5], v26, s[28:31], 0 offen glc slc
	s_load_dwordx2 s[22:23], s[4:5], 0x20
	s_waitcnt vmcnt(2)
	v_cvt_f32_u32_sdwa v7, v14 dst_sel:DWORD dst_unused:UNUSED_PAD src0_sel:WORD_1
	v_cvt_f32_u32_sdwa v6, v14 dst_sel:DWORD dst_unused:UNUSED_PAD src0_sel:WORD_0
	v_cvt_f32_u32_sdwa v9, v15 dst_sel:DWORD dst_unused:UNUSED_PAD src0_sel:WORD_1
	v_cvt_f32_u32_sdwa v8, v15 dst_sel:DWORD dst_unused:UNUSED_PAD src0_sel:WORD_0
	;; [unrolled: 2-line block ×4, first 2 shown]
	s_mul_hi_i32 s29, s35, s6
	s_mul_i32 s28, s35, s6
	s_lshl_b64 s[28:29], s[28:29], 1
	s_waitcnt lgkmcnt(0)
	s_add_u32 s28, s22, s28
	s_mov_b32 s14, 0x7060302
	s_addc_u32 s17, s23, s29
	s_and_b32 s29, s17, 0xffff
	s_waitcnt vmcnt(0)
	v_cvt_f32_u32_sdwa v17, v2 dst_sel:DWORD dst_unused:UNUSED_PAD src0_sel:WORD_1
	v_cvt_f32_u32_sdwa v16, v2 dst_sel:DWORD dst_unused:UNUSED_PAD src0_sel:WORD_0
	v_cvt_f32_u32_sdwa v21, v3 dst_sel:DWORD dst_unused:UNUSED_PAD src0_sel:WORD_1
	v_cvt_f32_u32_sdwa v20, v3 dst_sel:DWORD dst_unused:UNUSED_PAD src0_sel:WORD_0
	;; [unrolled: 2-line block ×4, first 2 shown]
	v_pk_add_f32 v[2:3], v[6:7], v[16:17]
	v_pk_add_f32 v[4:5], v[8:9], v[20:21]
	;; [unrolled: 1-line block ×4, first 2 shown]
	v_perm_b32 v17, v9, v8, s14
	v_perm_b32 v16, v7, v6, s14
	;; [unrolled: 1-line block ×4, first 2 shown]
	buffer_store_dwordx4 v[14:17], v26, s[28:31], 0 offen glc slc
	;;#ASMSTART
	s_nop 0
	;;#ASMEND
.LBB582_10:
	s_or_b64 exec, exec, s[2:3]
.LBB582_11:
	s_waitcnt vmcnt(1)
	v_mul_f32_e32 v14, v3, v3
	v_fmac_f32_e32 v14, v2, v2
	v_fmac_f32_e32 v14, v4, v4
	;; [unrolled: 1-line block ×7, first 2 shown]
	v_and_b32_e32 v16, 63, v0
	v_cmp_eq_u32_e64 s[2:3], 63, v16
	v_mov_b32_dpp v15, v14 quad_perm:[1,0,3,2] row_mask:0xf bank_mask:0xf
	v_add_f32_e32 v14, v14, v15
	s_nop 1
	v_mov_b32_dpp v15, v14 quad_perm:[2,3,0,1] row_mask:0xf bank_mask:0xf
	v_add_f32_e32 v14, v14, v15
	s_nop 1
	v_mov_b32_dpp v15, v14 row_half_mirror row_mask:0xf bank_mask:0xf
	v_add_f32_e32 v14, v14, v15
	s_nop 1
	v_mov_b32_dpp v15, v14 row_mirror row_mask:0xf bank_mask:0xf
	v_add_f32_e32 v14, v14, v15
	s_nop 1
	v_mov_b32_dpp v15, v14 row_bcast:15 row_mask:0xf bank_mask:0xf
	v_add_f32_e32 v14, v14, v15
	s_nop 1
	v_mov_b32_dpp v15, v14 row_bcast:31 row_mask:0xf bank_mask:0xf
	s_and_saveexec_b64 s[22:23], s[2:3]
	s_cbranch_execz .LBB582_13
; %bb.12:
	v_add_f32_e32 v14, v14, v15
	v_lshrrev_b32_e32 v15, 4, v0
	v_and_b32_e32 v15, 60, v15
	ds_write_b32 v15, v14 offset:16
.LBB582_13:
	s_or_b64 exec, exec, s[22:23]
	v_and_b32_e32 v15, 3, v0
	v_lshlrev_b32_e32 v14, 2, v15
	s_waitcnt lgkmcnt(0)
	s_barrier
	ds_read_b32 v16, v14 offset:16
	s_load_dwordx2 s[38:39], s[4:5], 0x18
	s_waitcnt lgkmcnt(0)
	v_mov_b32_dpp v17, v16 quad_perm:[1,0,3,2] row_mask:0xf bank_mask:0xf
	v_add_f32_e32 v16, v16, v17
	s_nop 1
	v_mov_b32_dpp v17, v16 quad_perm:[2,3,0,1] row_mask:0xf bank_mask:0xf
	s_and_saveexec_b64 s[22:23], s[0:1]
	s_cbranch_execnz .LBB582_18
; %bb.14:
	s_or_b64 exec, exec, s[22:23]
	s_mov_b64 s[8:9], -1
	s_and_b64 vcc, exec, s[10:11]
	s_cbranch_vccnz .LBB582_19
.LBB582_15:
	s_andn2_b64 vcc, exec, s[8:9]
	s_cbranch_vccz .LBB582_22
.LBB582_16:
	s_cmp_lt_i32 s16, 1
	s_cbranch_scc0 .LBB582_29
.LBB582_17:
	s_endpgm
.LBB582_18:
	v_cvt_f32_u32_e32 v18, s7
	v_add_f32_e32 v16, v16, v17
	v_mov_b32_e32 v20, s13
	v_mov_b32_e32 v21, s12
	v_div_scale_f32 v17, s[28:29], v18, v18, v16
	v_rcp_f32_e32 v19, v17
	v_cndmask_b32_e64 v20, v20, v21, s[8:9]
	s_mov_b32 s7, 0x800000
	v_fma_f32 v21, -v17, v19, 1.0
	v_fmac_f32_e32 v19, v21, v19
	v_div_scale_f32 v21, vcc, v16, v18, v16
	v_mul_f32_e32 v22, v21, v19
	v_fma_f32 v23, -v17, v22, v21
	v_fmac_f32_e32 v22, v23, v19
	v_fma_f32 v17, -v17, v22, v21
	v_div_fmas_f32 v17, v17, v19, v22
	v_div_fixup_f32 v16, v17, v18, v16
	v_add_f32_e32 v16, v20, v16
	v_mul_f32_e32 v17, 0x4b800000, v16
	v_cmp_gt_f32_e32 vcc, s7, v16
	v_cndmask_b32_e32 v16, v16, v17, vcc
	v_rsq_f32_e32 v16, v16
	s_waitcnt vmcnt(0)
	v_cvt_f32_u32_sdwa v19, v11 dst_sel:DWORD dst_unused:UNUSED_PAD src0_sel:WORD_1
	v_cvt_f32_u32_sdwa v18, v11 dst_sel:DWORD dst_unused:UNUSED_PAD src0_sel:WORD_0
	v_cvt_f32_u32_sdwa v11, v12 dst_sel:DWORD dst_unused:UNUSED_PAD src0_sel:WORD_1
	v_mul_f32_e32 v17, 0x45800000, v16
	v_cndmask_b32_e32 v16, v16, v17, vcc
	v_mov_b32_e32 v17, v16
	;;#ASMSTART
	v_pk_mul_f32 v[2:3], v[2:3], v[16:17]
	;;#ASMEND
	;;#ASMSTART
	v_pk_mul_f32 v[4:5], v[4:5], v[16:17]
	;;#ASMEND
	;;#ASMSTART
	v_pk_mul_f32 v[6:7], v[6:7], v[16:17]
	;;#ASMEND
	;;#ASMSTART
	v_pk_mul_f32 v[8:9], v[8:9], v[16:17]
	;;#ASMEND
	v_cvt_f32_u32_sdwa v17, v10 dst_sel:DWORD dst_unused:UNUSED_PAD src0_sel:WORD_1
	v_cvt_f32_u32_sdwa v16, v10 dst_sel:DWORD dst_unused:UNUSED_PAD src0_sel:WORD_0
	v_cvt_f32_u32_sdwa v10, v12 dst_sel:DWORD dst_unused:UNUSED_PAD src0_sel:WORD_0
	v_cvt_f32_u32_sdwa v21, v13 dst_sel:DWORD dst_unused:UNUSED_PAD src0_sel:WORD_1
	v_cvt_f32_u32_sdwa v20, v13 dst_sel:DWORD dst_unused:UNUSED_PAD src0_sel:WORD_0
	;;#ASMSTART
	v_pk_mul_f32 v[2:3], v[2:3], v[16:17]
	;;#ASMEND
	;;#ASMSTART
	v_pk_mul_f32 v[4:5], v[4:5], v[18:19]
	;;#ASMEND
	;; [unrolled: 3-line block ×4, first 2 shown]
	s_or_b64 exec, exec, s[22:23]
	s_mov_b64 s[8:9], -1
	s_and_b64 vcc, exec, s[10:11]
	s_cbranch_vccz .LBB582_15
.LBB582_19:
	s_and_saveexec_b64 s[8:9], s[0:1]
	s_cbranch_execz .LBB582_21
; %bb.20:
	s_mul_hi_i32 s11, s34, s6
	s_mul_i32 s10, s34, s6
	s_lshl_b64 s[10:11], s[10:11], 1
	s_add_u32 s28, s38, s10
	s_addc_u32 s7, s39, s11
	s_and_b32 s29, s7, 0xffff
	s_mov_b32 s7, 0x7060302
	s_mov_b32 s31, 0x20000
	s_waitcnt vmcnt(0)
	v_perm_b32 v10, v3, v2, s7
	v_perm_b32 v11, v5, v4, s7
	;; [unrolled: 1-line block ×4, first 2 shown]
	v_lshlrev_b32_e32 v16, 4, v0
	buffer_store_dwordx4 v[10:13], v16, s[28:31], 0 offen
	;;#ASMSTART
	s_nop 0
	;;#ASMEND
.LBB582_21:
	s_or_b64 exec, exec, s[8:9]
	s_cbranch_execnz .LBB582_16
.LBB582_22:
	s_waitcnt vmcnt(0)
	v_mov_b32_e32 v10, 0
	s_and_saveexec_b64 s[8:9], s[0:1]
	s_cbranch_execz .LBB582_24
; %bb.23:
	v_and_b32_e32 v10, 0x7fffffff, v2
	v_and_b32_e32 v11, 0x7fffffff, v3
	v_mov_b32_e32 v12, 0x2edbe6ff
	;;#ASMSTART
	v_max3_f32 v10, v12, v10, v11

	;;#ASMEND
	v_and_b32_e32 v11, 0x7fffffff, v4
	v_and_b32_e32 v12, 0x7fffffff, v5
	;;#ASMSTART
	v_max3_f32 v10, v10, v11, v12

	;;#ASMEND
	v_and_b32_e32 v11, 0x7fffffff, v6
	v_and_b32_e32 v12, 0x7fffffff, v7
	;; [unrolled: 6-line block ×3, first 2 shown]
	;;#ASMSTART
	v_max3_f32 v10, v10, v11, v12

	;;#ASMEND
.LBB582_24:
	s_or_b64 exec, exec, s[8:9]
	;;#ASMSTART
	v_max_f32 v11, v10, v10 quad_perm:[1,0,3,2] row_mask:0xf bank_mask:0xf bound_ctrl:1
	;;#ASMEND
	;;#ASMSTART
	v_max_f32 v10, v11, v11 quad_perm:[2,3,0,1] row_mask:0xf bank_mask:0xf bound_ctrl:1
	;;#ASMEND
	v_cmp_eq_u32_e32 vcc, 0, v15
	v_cmp_gt_i32_e64 s[8:9], s15, v1
	v_mul_f32_e32 v10, 0x3b124925, v10
	s_and_b64 s[10:11], vcc, s[8:9]
	s_and_saveexec_b64 s[8:9], s[10:11]
	s_cbranch_execz .LBB582_26
; %bb.25:
	s_load_dwordx2 s[10:11], s[4:5], 0x8
	s_mul_hi_i32 s23, s25, s6
	s_mul_i32 s22, s25, s6
	v_lshrrev_b32_e32 v11, 2, v0
	s_lshl_b64 s[22:23], s[22:23], 2
	v_mad_i64_i32 v[12:13], s[26:27], s26, v11, 0
	s_waitcnt lgkmcnt(0)
	s_add_u32 s7, s10, s22
	s_addc_u32 s10, s11, s23
	v_lshlrev_b64 v[12:13], 2, v[12:13]
	v_mov_b32_e32 v11, s10
	v_add_co_u32_e32 v12, vcc, s7, v12
	v_addc_co_u32_e32 v13, vcc, v11, v13, vcc
	global_store_dword v[12:13], v10, off
.LBB582_26:
	s_or_b64 exec, exec, s[8:9]
	;;#ASMSTART
	v_rcp_f32 v10, v10
	;;#ASMEND
	s_and_saveexec_b64 s[22:23], s[0:1]
	s_cbranch_execz .LBB582_28
; %bb.27:
	s_load_dwordx2 s[0:1], s[4:5], 0x0
	s_mul_i32 s8, s24, s6
	v_mov_b32_e32 v11, v10
	;;#ASMSTART
	v_pk_mul_f32 v[2:3], v[2:3], v[10:11]
	;;#ASMEND
	s_mul_hi_i32 s7, s24, s6
	s_waitcnt lgkmcnt(0)
	s_add_u32 s8, s0, s8
	v_mov_b32_e32 v12, 0xc3e00000
	v_mov_b32_e32 v13, 0x43e00000
	;;#ASMSTART
	v_med3_f32 v2, v2, v12, v13
v_med3_f32 v3, v3, v12, v13
v_cvt_pk_fp8_f32 v15, v2, v3
	;;#ASMEND
	s_addc_u32 s0, s1, s7
	;;#ASMSTART
	v_pk_mul_f32 v[2:3], v[4:5], v[10:11]
	;;#ASMEND
	s_and_b32 s9, s0, 0xffff
	;;#ASMSTART
	v_med3_f32 v2, v2, v12, v13
v_med3_f32 v3, v3, v12, v13
v_cvt_pk_fp8_f32 v4, v2, v3
	;;#ASMEND
	s_mov_b32 s0, 0x5040100
	v_perm_b32 v3, v4, v15, s0
	s_movk_i32 s0, 0xff
	v_and_b32_e32 v2, 0xffffff00, v4
	v_and_b32_sdwa v4, v3, s0 dst_sel:DWORD dst_unused:UNUSED_PAD src0_sel:WORD_1 src1_sel:DWORD
	s_mov_b32 s12, 0xffff
	v_or_b32_sdwa v2, v4, v2 dst_sel:WORD_1 dst_unused:UNUSED_PAD src0_sel:DWORD src1_sel:DWORD
	v_and_or_b32 v2, v3, s12, v2
	;;#ASMSTART
	v_pk_mul_f32 v[4:5], v[6:7], v[10:11]
	;;#ASMEND
	v_mov_b32_e32 v3, v5
	s_add_i32 s1, s15, 3
	;;#ASMSTART
	v_med3_f32 v4, v4, v12, v13
v_med3_f32 v3, v3, v12, v13
v_cvt_pk_fp8_f32 v6, v4, v3
	;;#ASMEND
	s_ashr_i32 s7, s1, 31
	;;#ASMSTART
	v_pk_mul_f32 v[4:5], v[8:9], v[10:11]
	;;#ASMEND
	v_mov_b32_e32 v3, v5
	s_lshr_b32 s7, s7, 30
	;;#ASMSTART
	v_med3_f32 v4, v4, v12, v13
v_med3_f32 v3, v3, v12, v13
v_cvt_pk_fp8_f32 v5, v4, v3
	;;#ASMEND
	s_add_i32 s1, s1, s7
	v_lshlrev_b32_e32 v3, 16, v5
	s_and_b32 s10, s1, -4
	s_mov_b32 s11, 0x20000
	v_and_or_b32 v3, v6, s12, v3
	buffer_store_dwordx2 v[2:3], v1, s[8:11], 0 offen
	;;#ASMSTART
	s_nop 0
	;;#ASMEND
.LBB582_28:
	s_or_b64 exec, exec, s[22:23]
	s_cmp_lt_i32 s16, 1
	s_cbranch_scc1 .LBB582_17
.LBB582_29:
	s_load_dword s0, s[4:5], 0x94
	s_waitcnt lgkmcnt(0)
	s_cmp_lg_u32 s0, 1
	s_cbranch_scc1 .LBB582_17
; %bb.30:
	s_lshl_b32 s0, s16, 1
	s_add_i32 s0, s0, 2
	v_cmp_gt_u32_e32 vcc, s16, v1
	s_and_b32 s22, s0, -4
	v_mov_b32_e32 v6, 0
	v_lshlrev_b32_e32 v1, 4, v0
	v_mov_b32_e32 v7, 0
	v_mov_b32_e32 v8, 0
	;; [unrolled: 1-line block ×7, first 2 shown]
	s_barrier
	s_and_saveexec_b64 s[0:1], vcc
	s_cbranch_execz .LBB582_32
; %bb.31:
	s_mul_hi_i32 s5, s18, s6
	s_mul_i32 s4, s18, s6
	s_and_b32 s21, s21, 0xffff
	s_lshl_b64 s[4:5], s[4:5], 1
	s_add_u32 s8, s36, s4
	s_mov_b32 s23, 0x20000
	s_addc_u32 s4, s37, s5
	s_and_b32 s9, s4, 0xffff
	s_mov_b32 s10, s22
	s_mov_b32 s11, s23
	buffer_load_dwordx4 v[6:9], v1, s[8:11], 0 offen glc slc
	buffer_load_dwordx4 v[2:5], v1, s[20:23], 0 offen
.LBB582_32:
	s_or_b64 exec, exec, s[0:1]
	s_waitcnt vmcnt(0)
	v_cvt_f32_u32_sdwa v13, v6 dst_sel:DWORD dst_unused:UNUSED_PAD src0_sel:WORD_1
	v_cvt_f32_u32_sdwa v12, v6 dst_sel:DWORD dst_unused:UNUSED_PAD src0_sel:WORD_0
	v_cvt_f32_u32_sdwa v6, v9 dst_sel:DWORD dst_unused:UNUSED_PAD src0_sel:WORD_1
	v_cvt_f32_u32_sdwa v9, v9 dst_sel:DWORD dst_unused:UNUSED_PAD src0_sel:WORD_0
	;; [unrolled: 2-line block ×4, first 2 shown]
	v_cndmask_b32_e32 v13, 0, v13, vcc
	v_cndmask_b32_e32 v7, 0, v6, vcc
	;; [unrolled: 1-line block ×5, first 2 shown]
	v_mul_f32_e32 v15, v13, v13
	v_cndmask_b32_e32 v10, 0, v10, vcc
	v_fmac_f32_e32 v15, v12, v12
	v_cndmask_b32_e32 v11, 0, v11, vcc
	v_fmac_f32_e32 v15, v10, v10
	;; [unrolled: 2-line block ×3, first 2 shown]
	v_fmac_f32_e32 v15, v8, v8
	v_fmac_f32_e32 v15, v9, v9
	;; [unrolled: 1-line block ×4, first 2 shown]
	s_nop 1
	v_mov_b32_dpp v16, v15 quad_perm:[1,0,3,2] row_mask:0xf bank_mask:0xf
	v_add_f32_e32 v15, v15, v16
	s_nop 1
	v_mov_b32_dpp v16, v15 quad_perm:[2,3,0,1] row_mask:0xf bank_mask:0xf
	v_add_f32_e32 v15, v15, v16
	s_nop 1
	v_mov_b32_dpp v16, v15 row_half_mirror row_mask:0xf bank_mask:0xf
	v_add_f32_e32 v15, v15, v16
	s_nop 1
	v_mov_b32_dpp v16, v15 row_mirror row_mask:0xf bank_mask:0xf
	v_add_f32_e32 v15, v15, v16
	s_nop 1
	v_mov_b32_dpp v16, v15 row_bcast:15 row_mask:0xf bank_mask:0xf
	v_add_f32_e32 v15, v15, v16
	s_nop 1
	v_mov_b32_dpp v16, v15 row_bcast:31 row_mask:0xf bank_mask:0xf
	s_and_saveexec_b64 s[0:1], s[2:3]
	s_cbranch_execz .LBB582_34
; %bb.33:
	v_lshrrev_b32_e32 v0, 4, v0
	v_add_f32_e32 v15, v15, v16
	v_and_b32_e32 v0, 60, v0
	ds_write_b32 v0, v15
.LBB582_34:
	s_or_b64 exec, exec, s[0:1]
	s_waitcnt lgkmcnt(0)
	s_barrier
	ds_read_b32 v0, v14
	s_waitcnt lgkmcnt(0)
	s_nop 0
	v_mov_b32_dpp v14, v0 quad_perm:[1,0,3,2] row_mask:0xf bank_mask:0xf
	v_add_f32_e32 v0, v0, v14
	s_nop 1
	v_mov_b32_dpp v14, v0 quad_perm:[2,3,0,1] row_mask:0xf bank_mask:0xf
	s_and_saveexec_b64 s[0:1], vcc
	s_cbranch_execz .LBB582_17
; %bb.35:
	v_cvt_f32_u32_e32 v15, s16
	v_add_f32_e32 v0, v0, v14
	s_mov_b32 s23, 0x20000
	v_div_scale_f32 v14, s[0:1], v15, v15, v0
	v_rcp_f32_e32 v16, v14
	v_div_scale_f32 v17, vcc, v0, v15, v0
	s_mov_b32 s0, 0x800000
	v_fma_f32 v18, -v14, v16, 1.0
	v_fmac_f32_e32 v16, v18, v16
	v_mul_f32_e32 v18, v17, v16
	v_fma_f32 v19, -v14, v18, v17
	v_fmac_f32_e32 v18, v19, v16
	v_fma_f32 v14, -v14, v18, v17
	v_div_fmas_f32 v14, v14, v16, v18
	v_div_fixup_f32 v0, v14, v15, v0
	v_add_f32_e32 v0, s13, v0
	v_mul_f32_e32 v14, 0x4b800000, v0
	v_cmp_gt_f32_e32 vcc, s0, v0
	v_cndmask_b32_e32 v0, v0, v14, vcc
	v_rsq_f32_e32 v0, v0
	s_mul_hi_i32 s1, s34, s6
	s_mul_i32 s0, s34, s6
	s_lshl_b64 s[0:1], s[0:1], 1
	v_mul_f32_e32 v14, 0x45800000, v0
	v_cndmask_b32_e32 v14, v0, v14, vcc
	s_add_u32 s20, s38, s0
	v_mov_b32_e32 v15, v14
	s_addc_u32 s0, s39, s1
	;;#ASMSTART
	v_pk_mul_f32 v[12:13], v[12:13], v[14:15]
	;;#ASMEND
	;;#ASMSTART
	v_pk_mul_f32 v[10:11], v[10:11], v[14:15]
	;;#ASMEND
	;; [unrolled: 3-line block ×4, first 2 shown]
	v_cvt_f32_u32_sdwa v15, v2 dst_sel:DWORD dst_unused:UNUSED_PAD src0_sel:WORD_1
	v_cvt_f32_u32_sdwa v14, v2 dst_sel:DWORD dst_unused:UNUSED_PAD src0_sel:WORD_0
	v_cvt_f32_u32_sdwa v17, v3 dst_sel:DWORD dst_unused:UNUSED_PAD src0_sel:WORD_1
	v_cvt_f32_u32_sdwa v16, v3 dst_sel:DWORD dst_unused:UNUSED_PAD src0_sel:WORD_0
	;; [unrolled: 2-line block ×4, first 2 shown]
	;;#ASMSTART
	v_pk_mul_f32 v[4:5], v[12:13], v[14:15]
	;;#ASMEND
	s_and_b32 s21, s0, 0xffff
	s_mov_b32 s0, 0x7060302
	;;#ASMSTART
	v_pk_mul_f32 v[10:11], v[10:11], v[16:17]
	;;#ASMEND
	;;#ASMSTART
	v_pk_mul_f32 v[8:9], v[8:9], v[2:3]
	;;#ASMEND
	;; [unrolled: 3-line block ×3, first 2 shown]
	v_perm_b32 v2, v5, v4, s0
	v_perm_b32 v3, v11, v10, s0
	;; [unrolled: 1-line block ×4, first 2 shown]
	buffer_store_dwordx4 v[2:5], v1, s[20:23], 0 offen
	;;#ASMSTART
	s_nop 0
	;;#ASMEND
	s_endpgm
	.section	.rodata,"a",@progbits
	.p2align	6, 0x0
	.amdhsa_kernel _ZN5aiter35fused_qk_rmsnorm_group_quant_kernelItDB8_Li256ELi8ELi4ELb1ELb0ELb0ELb0ELb0ELb0EEEvPT0_PvPT_S6_S6_PKS5_S8_S8_S8_S8_ffiiiiiiiiiiiii
		.amdhsa_group_segment_fixed_size 32
		.amdhsa_private_segment_fixed_size 0
		.amdhsa_kernarg_size 400
		.amdhsa_user_sgpr_count 6
		.amdhsa_user_sgpr_private_segment_buffer 1
		.amdhsa_user_sgpr_dispatch_ptr 0
		.amdhsa_user_sgpr_queue_ptr 0
		.amdhsa_user_sgpr_kernarg_segment_ptr 1
		.amdhsa_user_sgpr_dispatch_id 0
		.amdhsa_user_sgpr_flat_scratch_init 0
		.amdhsa_user_sgpr_kernarg_preload_length 0
		.amdhsa_user_sgpr_kernarg_preload_offset 0
		.amdhsa_user_sgpr_private_segment_size 0
		.amdhsa_uses_dynamic_stack 0
		.amdhsa_system_sgpr_private_segment_wavefront_offset 0
		.amdhsa_system_sgpr_workgroup_id_x 1
		.amdhsa_system_sgpr_workgroup_id_y 1
		.amdhsa_system_sgpr_workgroup_id_z 0
		.amdhsa_system_sgpr_workgroup_info 0
		.amdhsa_system_vgpr_workitem_id 0
		.amdhsa_next_free_vgpr 27
		.amdhsa_next_free_sgpr 48
		.amdhsa_accum_offset 28
		.amdhsa_reserve_vcc 1
		.amdhsa_reserve_flat_scratch 0
		.amdhsa_float_round_mode_32 0
		.amdhsa_float_round_mode_16_64 0
		.amdhsa_float_denorm_mode_32 3
		.amdhsa_float_denorm_mode_16_64 3
		.amdhsa_dx10_clamp 1
		.amdhsa_ieee_mode 1
		.amdhsa_fp16_overflow 0
		.amdhsa_tg_split 0
		.amdhsa_exception_fp_ieee_invalid_op 0
		.amdhsa_exception_fp_denorm_src 0
		.amdhsa_exception_fp_ieee_div_zero 0
		.amdhsa_exception_fp_ieee_overflow 0
		.amdhsa_exception_fp_ieee_underflow 0
		.amdhsa_exception_fp_ieee_inexact 0
		.amdhsa_exception_int_div_zero 0
	.end_amdhsa_kernel
	.section	.text._ZN5aiter35fused_qk_rmsnorm_group_quant_kernelItDB8_Li256ELi8ELi4ELb1ELb0ELb0ELb0ELb0ELb0EEEvPT0_PvPT_S6_S6_PKS5_S8_S8_S8_S8_ffiiiiiiiiiiiii,"axG",@progbits,_ZN5aiter35fused_qk_rmsnorm_group_quant_kernelItDB8_Li256ELi8ELi4ELb1ELb0ELb0ELb0ELb0ELb0EEEvPT0_PvPT_S6_S6_PKS5_S8_S8_S8_S8_ffiiiiiiiiiiiii,comdat
.Lfunc_end582:
	.size	_ZN5aiter35fused_qk_rmsnorm_group_quant_kernelItDB8_Li256ELi8ELi4ELb1ELb0ELb0ELb0ELb0ELb0EEEvPT0_PvPT_S6_S6_PKS5_S8_S8_S8_S8_ffiiiiiiiiiiiii, .Lfunc_end582-_ZN5aiter35fused_qk_rmsnorm_group_quant_kernelItDB8_Li256ELi8ELi4ELb1ELb0ELb0ELb0ELb0ELb0EEEvPT0_PvPT_S6_S6_PKS5_S8_S8_S8_S8_ffiiiiiiiiiiiii
                                        ; -- End function
	.section	.AMDGPU.csdata,"",@progbits
; Kernel info:
; codeLenInByte = 2916
; NumSgprs: 52
; NumVgprs: 27
; NumAgprs: 0
; TotalNumVgprs: 27
; ScratchSize: 0
; MemoryBound: 0
; FloatMode: 240
; IeeeMode: 1
; LDSByteSize: 32 bytes/workgroup (compile time only)
; SGPRBlocks: 6
; VGPRBlocks: 3
; NumSGPRsForWavesPerEU: 52
; NumVGPRsForWavesPerEU: 27
; AccumOffset: 28
; Occupancy: 8
; WaveLimiterHint : 0
; COMPUTE_PGM_RSRC2:SCRATCH_EN: 0
; COMPUTE_PGM_RSRC2:USER_SGPR: 6
; COMPUTE_PGM_RSRC2:TRAP_HANDLER: 0
; COMPUTE_PGM_RSRC2:TGID_X_EN: 1
; COMPUTE_PGM_RSRC2:TGID_Y_EN: 1
; COMPUTE_PGM_RSRC2:TGID_Z_EN: 0
; COMPUTE_PGM_RSRC2:TIDIG_COMP_CNT: 0
; COMPUTE_PGM_RSRC3_GFX90A:ACCUM_OFFSET: 6
; COMPUTE_PGM_RSRC3_GFX90A:TG_SPLIT: 0
	.section	.text._ZN5aiter35fused_qk_rmsnorm_group_quant_kernelIDF16_N4opus5fp4_tELi256ELi8ELi4ELb1ELb0ELb0ELb0ELb0ELb0EEEvPT0_PvPT_S7_S7_PKS6_S9_S9_S9_S9_ffiiiiiiiiiiiii,"axG",@progbits,_ZN5aiter35fused_qk_rmsnorm_group_quant_kernelIDF16_N4opus5fp4_tELi256ELi8ELi4ELb1ELb0ELb0ELb0ELb0ELb0EEEvPT0_PvPT_S7_S7_PKS6_S9_S9_S9_S9_ffiiiiiiiiiiiii,comdat
	.protected	_ZN5aiter35fused_qk_rmsnorm_group_quant_kernelIDF16_N4opus5fp4_tELi256ELi8ELi4ELb1ELb0ELb0ELb0ELb0ELb0EEEvPT0_PvPT_S7_S7_PKS6_S9_S9_S9_S9_ffiiiiiiiiiiiii ; -- Begin function _ZN5aiter35fused_qk_rmsnorm_group_quant_kernelIDF16_N4opus5fp4_tELi256ELi8ELi4ELb1ELb0ELb0ELb0ELb0ELb0EEEvPT0_PvPT_S7_S7_PKS6_S9_S9_S9_S9_ffiiiiiiiiiiiii
	.globl	_ZN5aiter35fused_qk_rmsnorm_group_quant_kernelIDF16_N4opus5fp4_tELi256ELi8ELi4ELb1ELb0ELb0ELb0ELb0ELb0EEEvPT0_PvPT_S7_S7_PKS6_S9_S9_S9_S9_ffiiiiiiiiiiiii
	.p2align	8
	.type	_ZN5aiter35fused_qk_rmsnorm_group_quant_kernelIDF16_N4opus5fp4_tELi256ELi8ELi4ELb1ELb0ELb0ELb0ELb0ELb0EEEvPT0_PvPT_S7_S7_PKS6_S9_S9_S9_S9_ffiiiiiiiiiiiii,@function
_ZN5aiter35fused_qk_rmsnorm_group_quant_kernelIDF16_N4opus5fp4_tELi256ELi8ELi4ELb1ELb0ELb0ELb0ELb0ELb0EEEvPT0_PvPT_S7_S7_PKS6_S9_S9_S9_S9_ffiiiiiiiiiiiii: ; @_ZN5aiter35fused_qk_rmsnorm_group_quant_kernelIDF16_N4opus5fp4_tELi256ELi8ELi4ELb1ELb0ELb0ELb0ELb0ELb0EEEvPT0_PvPT_S7_S7_PKS6_S9_S9_S9_S9_ffiiiiiiiiiiiii
; %bb.0:
	s_load_dwordx8 s[12:19], s[4:5], 0x50
	s_waitcnt lgkmcnt(0)
	s_cmp_ge_i32 s6, s14
	s_cbranch_scc1 .LBB583_17
; %bb.1:
	s_cmp_lg_u32 s7, 0
	s_cselect_b64 s[22:23], -1, 0
	s_cmp_eq_u32 s7, 0
	s_cselect_b64 s[8:9], -1, 0
	s_and_b64 s[0:1], s[8:9], exec
	s_load_dwordx2 s[20:21], s[4:5], 0x48
	s_load_dwordx2 s[34:35], s[4:5], 0x30
	s_load_dwordx4 s[24:27], s[4:5], 0x70
	s_cselect_b32 s7, s15, s16
	s_add_i32 s0, s7, 1
	s_lshr_b32 s1, s0, 31
	s_add_i32 s0, s0, s1
	s_lshl_b32 s0, s0, 1
	v_lshlrev_b32_e32 v1, 3, v0
	s_and_b32 s30, s0, -4
	v_cmp_gt_i32_e64 s[0:1], s7, v1
	v_mov_b32_e32 v2, 0
	v_mov_b32_e32 v3, 0
	v_mov_b32_e32 v4, 0
	v_mov_b32_e32 v5, 0
	v_mov_b32_e32 v6, 0
	v_mov_b32_e32 v7, 0
	v_mov_b32_e32 v8, 0
	v_mov_b32_e32 v9, 0
	s_and_saveexec_b64 s[2:3], s[0:1]
	s_cbranch_execz .LBB583_3
; %bb.2:
	s_load_dwordx2 s[10:11], s[4:5], 0x28
	s_load_dwordx2 s[28:29], s[4:5], 0x40
	s_and_b64 s[36:37], s[8:9], exec
	s_cselect_b32 s14, s17, s18
	s_mov_b32 s31, 0x20000
	s_waitcnt lgkmcnt(0)
	s_cselect_b32 s17, s11, s35
	s_cselect_b32 s27, s10, s34
	s_mul_hi_i32 s11, s14, s6
	s_mul_i32 s10, s14, s6
	s_lshl_b64 s[10:11], s[10:11], 1
	s_add_u32 s36, s27, s10
	s_addc_u32 s14, s17, s11
	s_and_b64 s[10:11], s[8:9], exec
	s_cselect_b32 s28, s28, s20
	s_cselect_b32 s10, s29, s21
	v_lshlrev_b32_e32 v10, 4, v0
	s_and_b32 s37, s14, 0xffff
	s_mov_b32 s38, s30
	s_mov_b32 s39, s31
	s_and_b32 s29, s10, 0xffff
	buffer_load_dwordx4 v[6:9], v10, s[36:39], 0 offen glc slc
	buffer_load_dwordx4 v[2:5], v10, s[28:31], 0 offen
.LBB583_3:
	s_or_b64 exec, exec, s[2:3]
	s_load_dwordx2 s[10:11], s[4:5], 0x80
	s_and_b64 vcc, exec, s[22:23]
	s_cbranch_vccz .LBB583_7
; %bb.4:
	v_mov_b32_e32 v11, 0
	v_mov_b32_e32 v10, 0
	v_mov_b32_e32 v13, 0
	v_mov_b32_e32 v12, 0
	v_mov_b32_e32 v15, 0
	v_mov_b32_e32 v14, 0
	v_mov_b32_e32 v17, 0
	v_mov_b32_e32 v16, 0
	s_and_saveexec_b64 s[2:3], s[0:1]
	s_cbranch_execz .LBB583_6
; %bb.5:
	s_waitcnt vmcnt(1)
	v_cvt_f32_f16_sdwa v17, v6 dst_sel:DWORD dst_unused:UNUSED_PAD src0_sel:WORD_1
	v_cvt_f32_f16_e32 v16, v6
	v_cvt_f32_f16_sdwa v15, v7 dst_sel:DWORD dst_unused:UNUSED_PAD src0_sel:WORD_1
	v_cvt_f32_f16_e32 v14, v7
	;; [unrolled: 2-line block ×4, first 2 shown]
.LBB583_6:
	s_or_b64 exec, exec, s[2:3]
	s_cbranch_execz .LBB583_8
	s_branch .LBB583_11
.LBB583_7:
                                        ; implicit-def: $vgpr11
                                        ; implicit-def: $vgpr13
                                        ; implicit-def: $vgpr15
                                        ; implicit-def: $vgpr17
.LBB583_8:
	v_mov_b32_e32 v11, 0
	v_mov_b32_e32 v10, 0
	v_mov_b32_e32 v13, 0
	v_mov_b32_e32 v12, 0
	v_mov_b32_e32 v15, 0
	v_mov_b32_e32 v14, 0
	v_mov_b32_e32 v17, 0
	v_mov_b32_e32 v16, 0
	s_and_saveexec_b64 s[2:3], s[0:1]
	s_cbranch_execz .LBB583_10
; %bb.9:
	s_load_dwordx2 s[28:29], s[4:5], 0x38
	s_mul_hi_i32 s37, s19, s6
	s_mul_i32 s36, s19, s6
	s_lshl_b64 s[36:37], s[36:37], 1
	s_mov_b32 s31, 0x20000
	s_waitcnt lgkmcnt(0)
	s_add_u32 s28, s28, s36
	s_addc_u32 s14, s29, s37
	s_and_b32 s29, s14, 0xffff
	v_lshlrev_b32_e32 v26, 4, v0
	buffer_load_dwordx4 v[10:13], v26, s[28:31], 0 offen glc slc
	s_waitcnt vmcnt(2)
	v_cvt_f32_f16_sdwa v15, v6 dst_sel:DWORD dst_unused:UNUSED_PAD src0_sel:WORD_1
	v_cvt_f32_f16_e32 v14, v6
	v_cvt_f32_f16_sdwa v19, v7 dst_sel:DWORD dst_unused:UNUSED_PAD src0_sel:WORD_1
	v_cvt_f32_f16_e32 v18, v7
	;; [unrolled: 2-line block ×4, first 2 shown]
	s_load_dwordx2 s[28:29], s[4:5], 0x20
	s_mul_hi_i32 s37, s11, s6
	s_mul_i32 s36, s11, s6
	s_lshl_b64 s[36:37], s[36:37], 1
	s_waitcnt lgkmcnt(0)
	s_add_u32 s28, s28, s36
	s_addc_u32 s11, s29, s37
	s_and_b32 s29, s11, 0xffff
	s_waitcnt vmcnt(0)
	v_cvt_f32_f16_e32 v8, v10
	v_cvt_f32_f16_sdwa v9, v10 dst_sel:DWORD dst_unused:UNUSED_PAD src0_sel:WORD_1
	v_cvt_f32_f16_e32 v10, v11
	v_cvt_f32_f16_sdwa v11, v11 dst_sel:DWORD dst_unused:UNUSED_PAD src0_sel:WORD_1
	;; [unrolled: 2-line block ×4, first 2 shown]
	v_pk_add_f32 v[16:17], v[14:15], v[8:9]
	v_pk_add_f32 v[14:15], v[18:19], v[10:11]
	;; [unrolled: 1-line block ×4, first 2 shown]
	v_cvt_f16_f32_e32 v6, v17
	v_cvt_f16_f32_e32 v7, v15
	;; [unrolled: 1-line block ×8, first 2 shown]
	v_pack_b32_f16 v9, v18, v9
	v_pack_b32_f16 v8, v19, v8
	v_pack_b32_f16 v7, v20, v7
	v_pack_b32_f16 v6, v21, v6
	buffer_store_dwordx4 v[6:9], v26, s[28:31], 0 offen glc slc
	;;#ASMSTART
	s_nop 0
	;;#ASMEND
.LBB583_10:
	s_or_b64 exec, exec, s[2:3]
.LBB583_11:
	s_waitcnt vmcnt(1)
	v_mul_f32_e32 v6, v17, v17
	v_fmac_f32_e32 v6, v16, v16
	v_fmac_f32_e32 v6, v14, v14
	;; [unrolled: 1-line block ×7, first 2 shown]
	v_and_b32_e32 v8, 63, v0
	v_cmp_eq_u32_e64 s[2:3], 63, v8
	v_mov_b32_dpp v7, v6 quad_perm:[1,0,3,2] row_mask:0xf bank_mask:0xf
	v_add_f32_e32 v6, v6, v7
	s_nop 1
	v_mov_b32_dpp v7, v6 quad_perm:[2,3,0,1] row_mask:0xf bank_mask:0xf
	v_add_f32_e32 v6, v6, v7
	s_nop 1
	v_mov_b32_dpp v7, v6 row_half_mirror row_mask:0xf bank_mask:0xf
	v_add_f32_e32 v6, v6, v7
	s_nop 1
	v_mov_b32_dpp v7, v6 row_mirror row_mask:0xf bank_mask:0xf
	v_add_f32_e32 v6, v6, v7
	s_nop 1
	v_mov_b32_dpp v7, v6 row_bcast:15 row_mask:0xf bank_mask:0xf
	v_add_f32_e32 v6, v6, v7
	s_nop 1
	v_mov_b32_dpp v7, v6 row_bcast:31 row_mask:0xf bank_mask:0xf
	s_and_saveexec_b64 s[28:29], s[2:3]
	s_cbranch_execz .LBB583_13
; %bb.12:
	v_add_f32_e32 v6, v6, v7
	v_lshrrev_b32_e32 v7, 4, v0
	v_and_b32_e32 v7, 60, v7
	ds_write_b32 v7, v6 offset:16
.LBB583_13:
	s_or_b64 exec, exec, s[28:29]
	v_and_b32_e32 v6, 3, v0
	v_lshlrev_b32_e32 v18, 2, v6
	s_waitcnt lgkmcnt(0)
	s_barrier
	ds_read_b32 v7, v18 offset:16
	s_load_dwordx2 s[36:37], s[4:5], 0x18
	s_waitcnt lgkmcnt(0)
	v_mov_b32_dpp v8, v7 quad_perm:[1,0,3,2] row_mask:0xf bank_mask:0xf
	v_add_f32_e32 v7, v7, v8
	s_nop 1
	v_mov_b32_dpp v8, v7 quad_perm:[2,3,0,1] row_mask:0xf bank_mask:0xf
	s_and_saveexec_b64 s[28:29], s[0:1]
	s_cbranch_execnz .LBB583_18
; %bb.14:
	s_or_b64 exec, exec, s[28:29]
	s_mov_b64 s[8:9], -1
	s_and_b64 vcc, exec, s[22:23]
	s_cbranch_vccnz .LBB583_19
.LBB583_15:
	s_andn2_b64 vcc, exec, s[8:9]
	s_cbranch_vccz .LBB583_22
.LBB583_16:
	s_cmp_lt_i32 s16, 1
	s_cbranch_scc0 .LBB583_29
.LBB583_17:
	s_endpgm
.LBB583_18:
	v_cvt_f32_u32_e32 v9, s7
	v_add_f32_e32 v7, v7, v8
	v_mov_b32_e32 v20, s13
	v_mov_b32_e32 v21, s12
	v_div_scale_f32 v8, s[38:39], v9, v9, v7
	v_rcp_f32_e32 v19, v8
	v_cndmask_b32_e64 v20, v20, v21, s[8:9]
	s_mov_b32 s7, 0x800000
	v_fma_f32 v21, -v8, v19, 1.0
	v_fmac_f32_e32 v19, v21, v19
	v_div_scale_f32 v21, vcc, v7, v9, v7
	v_mul_f32_e32 v22, v21, v19
	v_fma_f32 v23, -v8, v22, v21
	v_fmac_f32_e32 v22, v23, v19
	v_fma_f32 v8, -v8, v22, v21
	v_div_fmas_f32 v8, v8, v19, v22
	v_div_fixup_f32 v7, v8, v9, v7
	v_add_f32_e32 v7, v20, v7
	v_mul_f32_e32 v8, 0x4b800000, v7
	v_cmp_gt_f32_e32 vcc, s7, v7
	v_cndmask_b32_e32 v7, v7, v8, vcc
	v_rsq_f32_e32 v7, v7
	s_waitcnt vmcnt(0)
	v_cvt_f32_f16_sdwa v21, v3 dst_sel:DWORD dst_unused:UNUSED_PAD src0_sel:WORD_1
	v_cvt_f32_f16_e32 v20, v3
	v_cvt_f32_f16_sdwa v3, v4 dst_sel:DWORD dst_unused:UNUSED_PAD src0_sel:WORD_1
	v_mul_f32_e32 v8, 0x45800000, v7
	v_cndmask_b32_e32 v8, v7, v8, vcc
	v_mov_b32_e32 v9, v8
	;;#ASMSTART
	v_pk_mul_f32 v[16:17], v[16:17], v[8:9]
	;;#ASMEND
	;;#ASMSTART
	v_pk_mul_f32 v[14:15], v[14:15], v[8:9]
	;;#ASMEND
	;; [unrolled: 3-line block ×4, first 2 shown]
	v_cvt_f32_f16_sdwa v11, v2 dst_sel:DWORD dst_unused:UNUSED_PAD src0_sel:WORD_1
	v_cvt_f32_f16_e32 v10, v2
	v_cvt_f32_f16_e32 v2, v4
	v_cvt_f32_f16_sdwa v23, v5 dst_sel:DWORD dst_unused:UNUSED_PAD src0_sel:WORD_1
	v_cvt_f32_f16_e32 v22, v5
	;;#ASMSTART
	v_pk_mul_f32 v[16:17], v[16:17], v[10:11]
	;;#ASMEND
	;;#ASMSTART
	v_pk_mul_f32 v[14:15], v[14:15], v[20:21]
	;;#ASMEND
	;;#ASMSTART
	v_pk_mul_f32 v[12:13], v[12:13], v[2:3]
	;;#ASMEND
	;;#ASMSTART
	v_pk_mul_f32 v[10:11], v[8:9], v[22:23]
	;;#ASMEND
	s_or_b64 exec, exec, s[28:29]
	s_mov_b64 s[8:9], -1
	s_and_b64 vcc, exec, s[22:23]
	s_cbranch_vccz .LBB583_15
.LBB583_19:
	s_and_saveexec_b64 s[8:9], s[0:1]
	s_cbranch_execz .LBB583_21
; %bb.20:
	s_mul_hi_i32 s23, s10, s6
	s_mul_i32 s22, s10, s6
	s_waitcnt vmcnt(0)
	v_cvt_f16_f32_e32 v2, v16
	v_cvt_f16_f32_e32 v3, v14
	;; [unrolled: 1-line block ×8, first 2 shown]
	s_lshl_b64 s[22:23], s[22:23], 1
	s_add_u32 s28, s36, s22
	s_addc_u32 s7, s37, s23
	s_and_b32 s29, s7, 0xffff
	s_mov_b32 s31, 0x20000
	v_pack_b32_f16 v5, v5, v7
	v_pack_b32_f16 v4, v4, v8
	;; [unrolled: 1-line block ×4, first 2 shown]
	v_lshlrev_b32_e32 v7, 4, v0
	buffer_store_dwordx4 v[2:5], v7, s[28:31], 0 offen
	;;#ASMSTART
	s_nop 0
	;;#ASMEND
.LBB583_21:
	s_or_b64 exec, exec, s[8:9]
	s_cbranch_execnz .LBB583_16
.LBB583_22:
	s_waitcnt vmcnt(0)
	v_mov_b32_e32 v2, 0
	s_and_saveexec_b64 s[8:9], s[0:1]
	s_cbranch_execz .LBB583_24
; %bb.23:
	v_and_b32_e32 v2, 0x7fffffff, v16
	v_and_b32_e32 v3, 0x7fffffff, v17
	v_mov_b32_e32 v4, 0x2edbe6ff
	;;#ASMSTART
	v_max3_f32 v2, v4, v2, v3

	;;#ASMEND
	v_and_b32_e32 v3, 0x7fffffff, v14
	v_and_b32_e32 v4, 0x7fffffff, v15
	;;#ASMSTART
	v_max3_f32 v2, v2, v3, v4

	;;#ASMEND
	v_and_b32_e32 v3, 0x7fffffff, v12
	v_and_b32_e32 v4, 0x7fffffff, v13
	;; [unrolled: 6-line block ×3, first 2 shown]
	;;#ASMSTART
	v_max3_f32 v2, v2, v3, v4

	;;#ASMEND
.LBB583_24:
	s_or_b64 exec, exec, s[8:9]
	v_cmp_eq_u32_e32 vcc, 0, v6
	v_cmp_gt_i32_e64 s[8:9], s15, v1
	s_and_b64 s[22:23], vcc, s[8:9]
	;;#ASMSTART
	v_max_f32 v3, v2, v2 quad_perm:[1,0,3,2] row_mask:0xf bank_mask:0xf bound_ctrl:1
	;;#ASMEND
	;;#ASMSTART
	v_max_f32 v2, v3, v3 quad_perm:[2,3,0,1] row_mask:0xf bank_mask:0xf bound_ctrl:1
	;;#ASMEND
	s_and_saveexec_b64 s[8:9], s[22:23]
	s_cbranch_execz .LBB583_26
; %bb.25:
	s_load_dwordx2 s[22:23], s[4:5], 0x8
	v_mul_f32_e32 v2, 0x3e2aaaab, v2
	v_lshrrev_b32_e32 v3, 23, v2
	v_and_b32_e32 v4, 0x7f800000, v2
	v_and_b32_e32 v2, 0x7fffff, v2
	v_cmp_ne_u32_e32 vcc, 0, v2
	s_mul_i32 s12, s25, s6
	s_mov_b32 s7, 0x7f800000
	v_addc_co_u32_e32 v2, vcc, 0, v3, vcc
	s_mul_hi_i32 s11, s25, s6
	s_waitcnt lgkmcnt(0)
	s_add_u32 s22, s22, s12
	v_cmp_ne_u32_e32 vcc, s7, v4
	s_addc_u32 s23, s23, s11
	v_lshrrev_b32_e32 v5, 2, v0
	v_cndmask_b32_e32 v4, -1, v2, vcc
	v_pk_mov_b32 v[2:3], s[22:23], s[22:23] op_sel:[0,1]
	v_mad_i64_i32 v[2:3], s[22:23], s26, v5, v[2:3]
	global_store_byte v[2:3], v4, off
.LBB583_26:
	s_or_b64 exec, exec, s[8:9]
	s_and_saveexec_b64 s[8:9], s[0:1]
	s_cbranch_execz .LBB583_28
; %bb.27:
	s_load_dwordx2 s[0:1], s[4:5], 0x0
	s_mul_i32 s11, s24, s6
	s_mul_hi_i32 s7, s24, s6
	v_lshlrev_b32_e32 v2, 2, v0
	s_mov_b32 s27, 0x20000
	s_waitcnt lgkmcnt(0)
	s_add_u32 s24, s0, s11
	s_addc_u32 s0, s1, s7
	s_lshr_b32 s1, s15, 31
	s_add_i32 s1, s15, s1
	s_ashr_i32 s1, s1, 1
	s_add_i32 s1, s1, 3
	s_ashr_i32 s7, s1, 31
	s_lshr_b32 s7, s7, 30
	s_add_i32 s1, s1, s7
	s_and_b32 s26, s1, -4
	s_and_b32 s25, s0, 0xffff
	v_mov_b32_e32 v3, 0
	buffer_store_dword v3, v2, s[24:27], 0 offen
	;;#ASMSTART
	s_nop 0
	;;#ASMEND
.LBB583_28:
	s_or_b64 exec, exec, s[8:9]
	s_cmp_lt_i32 s16, 1
	s_cbranch_scc1 .LBB583_17
.LBB583_29:
	s_load_dword s0, s[4:5], 0x94
	s_waitcnt lgkmcnt(0)
	s_cmp_lg_u32 s0, 1
	s_cbranch_scc1 .LBB583_17
; %bb.30:
	s_lshl_b32 s0, s16, 1
	s_add_i32 s0, s0, 2
	v_cmp_gt_u32_e32 vcc, s16, v1
	s_and_b32 s22, s0, -4
	v_mov_b32_e32 v10, 0
	v_lshlrev_b32_e32 v1, 4, v0
	v_mov_b32_e32 v6, 0
	v_mov_b32_e32 v7, 0
	v_mov_b32_e32 v8, 0
	v_mov_b32_e32 v9, 0
	s_waitcnt vmcnt(0)
	v_mov_b32_e32 v2, 0
	v_mov_b32_e32 v3, 0
	;; [unrolled: 1-line block ×4, first 2 shown]
	s_barrier
	s_and_saveexec_b64 s[0:1], vcc
	s_cbranch_execz .LBB583_32
; %bb.31:
	s_mul_hi_i32 s5, s18, s6
	s_mul_i32 s4, s18, s6
	s_and_b32 s21, s21, 0xffff
	s_lshl_b64 s[4:5], s[4:5], 1
	s_add_u32 s24, s34, s4
	s_mov_b32 s23, 0x20000
	s_addc_u32 s4, s35, s5
	s_and_b32 s25, s4, 0xffff
	s_mov_b32 s26, s22
	s_mov_b32 s27, s23
	buffer_load_dwordx4 v[6:9], v1, s[24:27], 0 offen glc slc
	buffer_load_dwordx4 v[2:5], v1, s[20:23], 0 offen
.LBB583_32:
	s_or_b64 exec, exec, s[0:1]
	v_mov_b32_e32 v11, 0
	v_mov_b32_e32 v16, 0
	;; [unrolled: 1-line block ×7, first 2 shown]
	s_and_saveexec_b64 s[0:1], vcc
	s_cbranch_execz .LBB583_34
; %bb.33:
	s_waitcnt vmcnt(1)
	v_cvt_f32_f16_sdwa v11, v6 dst_sel:DWORD dst_unused:UNUSED_PAD src0_sel:WORD_1
	v_cvt_f32_f16_e32 v10, v6
	v_cvt_f32_f16_sdwa v17, v7 dst_sel:DWORD dst_unused:UNUSED_PAD src0_sel:WORD_1
	v_cvt_f32_f16_e32 v16, v7
	;; [unrolled: 2-line block ×4, first 2 shown]
.LBB583_34:
	s_or_b64 exec, exec, s[0:1]
	s_waitcnt vmcnt(1)
	v_mul_f32_e32 v6, v11, v11
	v_fmac_f32_e32 v6, v10, v10
	v_fmac_f32_e32 v6, v16, v16
	;; [unrolled: 1-line block ×7, first 2 shown]
	s_nop 1
	v_mov_b32_dpp v7, v6 quad_perm:[1,0,3,2] row_mask:0xf bank_mask:0xf
	v_add_f32_e32 v6, v6, v7
	s_nop 1
	v_mov_b32_dpp v7, v6 quad_perm:[2,3,0,1] row_mask:0xf bank_mask:0xf
	v_add_f32_e32 v6, v6, v7
	s_nop 1
	v_mov_b32_dpp v7, v6 row_half_mirror row_mask:0xf bank_mask:0xf
	v_add_f32_e32 v6, v6, v7
	s_nop 1
	v_mov_b32_dpp v7, v6 row_mirror row_mask:0xf bank_mask:0xf
	v_add_f32_e32 v6, v6, v7
	s_nop 1
	v_mov_b32_dpp v7, v6 row_bcast:15 row_mask:0xf bank_mask:0xf
	v_add_f32_e32 v6, v6, v7
	s_nop 1
	v_mov_b32_dpp v7, v6 row_bcast:31 row_mask:0xf bank_mask:0xf
	s_and_saveexec_b64 s[0:1], s[2:3]
	s_cbranch_execz .LBB583_36
; %bb.35:
	v_lshrrev_b32_e32 v0, 4, v0
	v_add_f32_e32 v6, v6, v7
	v_and_b32_e32 v0, 60, v0
	ds_write_b32 v0, v6
.LBB583_36:
	s_or_b64 exec, exec, s[0:1]
	s_waitcnt lgkmcnt(0)
	s_barrier
	ds_read_b32 v0, v18
	s_waitcnt lgkmcnt(0)
	s_nop 0
	v_mov_b32_dpp v6, v0 quad_perm:[1,0,3,2] row_mask:0xf bank_mask:0xf
	v_add_f32_e32 v0, v0, v6
	s_nop 1
	v_mov_b32_dpp v6, v0 quad_perm:[2,3,0,1] row_mask:0xf bank_mask:0xf
	s_and_saveexec_b64 s[0:1], vcc
	s_cbranch_execz .LBB583_17
; %bb.37:
	v_cvt_f32_u32_e32 v7, s16
	v_add_f32_e32 v0, v0, v6
	s_mov_b32 s23, 0x20000
	v_div_scale_f32 v6, s[0:1], v7, v7, v0
	v_rcp_f32_e32 v8, v6
	v_div_scale_f32 v9, vcc, v0, v7, v0
	s_mov_b32 s0, 0x800000
	v_fma_f32 v18, -v6, v8, 1.0
	v_fmac_f32_e32 v8, v18, v8
	v_mul_f32_e32 v18, v9, v8
	v_fma_f32 v19, -v6, v18, v9
	v_fmac_f32_e32 v18, v19, v8
	v_fma_f32 v6, -v6, v18, v9
	v_div_fmas_f32 v6, v6, v8, v18
	v_div_fixup_f32 v0, v6, v7, v0
	v_add_f32_e32 v0, s13, v0
	v_mul_f32_e32 v6, 0x4b800000, v0
	v_cmp_gt_f32_e32 vcc, s0, v0
	v_cndmask_b32_e32 v0, v0, v6, vcc
	v_rsq_f32_e32 v0, v0
	s_waitcnt vmcnt(0)
	v_cvt_f32_f16_sdwa v19, v5 dst_sel:DWORD dst_unused:UNUSED_PAD src0_sel:WORD_1
	v_cvt_f32_f16_e32 v18, v5
	s_mul_hi_i32 s1, s10, s6
	v_mul_f32_e32 v6, 0x45800000, v0
	v_cndmask_b32_e32 v6, v0, v6, vcc
	v_mov_b32_e32 v7, v6
	;;#ASMSTART
	v_pk_mul_f32 v[8:9], v[10:11], v[6:7]
	;;#ASMEND
	;;#ASMSTART
	v_pk_mul_f32 v[10:11], v[16:17], v[6:7]
	;;#ASMEND
	;;#ASMSTART
	v_pk_mul_f32 v[14:15], v[14:15], v[6:7]
	;;#ASMEND
	;;#ASMSTART
	v_pk_mul_f32 v[6:7], v[12:13], v[6:7]
	;;#ASMEND
	v_cvt_f32_f16_sdwa v13, v2 dst_sel:DWORD dst_unused:UNUSED_PAD src0_sel:WORD_1
	v_cvt_f32_f16_e32 v12, v2
	v_cvt_f32_f16_sdwa v17, v3 dst_sel:DWORD dst_unused:UNUSED_PAD src0_sel:WORD_1
	v_cvt_f32_f16_e32 v16, v3
	;; [unrolled: 2-line block ×3, first 2 shown]
	;;#ASMSTART
	v_pk_mul_f32 v[4:5], v[8:9], v[12:13]
	;;#ASMEND
	;;#ASMSTART
	v_pk_mul_f32 v[8:9], v[10:11], v[16:17]
	;;#ASMEND
	;; [unrolled: 3-line block ×4, first 2 shown]
	s_mul_i32 s0, s10, s6
	v_cvt_f16_f32_e32 v0, v4
	v_cvt_f16_f32_e32 v4, v5
	;; [unrolled: 1-line block ×8, first 2 shown]
	s_lshl_b64 s[0:1], s[0:1], 1
	s_add_u32 s20, s36, s0
	s_addc_u32 s0, s37, s1
	s_and_b32 s21, s0, 0xffff
	v_pack_b32_f16 v2, v0, v4
	v_pack_b32_f16 v3, v5, v8
	;; [unrolled: 1-line block ×4, first 2 shown]
	buffer_store_dwordx4 v[2:5], v1, s[20:23], 0 offen
	;;#ASMSTART
	s_nop 0
	;;#ASMEND
	s_endpgm
	.section	.rodata,"a",@progbits
	.p2align	6, 0x0
	.amdhsa_kernel _ZN5aiter35fused_qk_rmsnorm_group_quant_kernelIDF16_N4opus5fp4_tELi256ELi8ELi4ELb1ELb0ELb0ELb0ELb0ELb0EEEvPT0_PvPT_S7_S7_PKS6_S9_S9_S9_S9_ffiiiiiiiiiiiii
		.amdhsa_group_segment_fixed_size 32
		.amdhsa_private_segment_fixed_size 0
		.amdhsa_kernarg_size 400
		.amdhsa_user_sgpr_count 6
		.amdhsa_user_sgpr_private_segment_buffer 1
		.amdhsa_user_sgpr_dispatch_ptr 0
		.amdhsa_user_sgpr_queue_ptr 0
		.amdhsa_user_sgpr_kernarg_segment_ptr 1
		.amdhsa_user_sgpr_dispatch_id 0
		.amdhsa_user_sgpr_flat_scratch_init 0
		.amdhsa_user_sgpr_kernarg_preload_length 0
		.amdhsa_user_sgpr_kernarg_preload_offset 0
		.amdhsa_user_sgpr_private_segment_size 0
		.amdhsa_uses_dynamic_stack 0
		.amdhsa_system_sgpr_private_segment_wavefront_offset 0
		.amdhsa_system_sgpr_workgroup_id_x 1
		.amdhsa_system_sgpr_workgroup_id_y 1
		.amdhsa_system_sgpr_workgroup_id_z 0
		.amdhsa_system_sgpr_workgroup_info 0
		.amdhsa_system_vgpr_workitem_id 0
		.amdhsa_next_free_vgpr 27
		.amdhsa_next_free_sgpr 40
		.amdhsa_accum_offset 28
		.amdhsa_reserve_vcc 1
		.amdhsa_reserve_flat_scratch 0
		.amdhsa_float_round_mode_32 0
		.amdhsa_float_round_mode_16_64 0
		.amdhsa_float_denorm_mode_32 3
		.amdhsa_float_denorm_mode_16_64 3
		.amdhsa_dx10_clamp 1
		.amdhsa_ieee_mode 1
		.amdhsa_fp16_overflow 0
		.amdhsa_tg_split 0
		.amdhsa_exception_fp_ieee_invalid_op 0
		.amdhsa_exception_fp_denorm_src 0
		.amdhsa_exception_fp_ieee_div_zero 0
		.amdhsa_exception_fp_ieee_overflow 0
		.amdhsa_exception_fp_ieee_underflow 0
		.amdhsa_exception_fp_ieee_inexact 0
		.amdhsa_exception_int_div_zero 0
	.end_amdhsa_kernel
	.section	.text._ZN5aiter35fused_qk_rmsnorm_group_quant_kernelIDF16_N4opus5fp4_tELi256ELi8ELi4ELb1ELb0ELb0ELb0ELb0ELb0EEEvPT0_PvPT_S7_S7_PKS6_S9_S9_S9_S9_ffiiiiiiiiiiiii,"axG",@progbits,_ZN5aiter35fused_qk_rmsnorm_group_quant_kernelIDF16_N4opus5fp4_tELi256ELi8ELi4ELb1ELb0ELb0ELb0ELb0ELb0EEEvPT0_PvPT_S7_S7_PKS6_S9_S9_S9_S9_ffiiiiiiiiiiiii,comdat
.Lfunc_end583:
	.size	_ZN5aiter35fused_qk_rmsnorm_group_quant_kernelIDF16_N4opus5fp4_tELi256ELi8ELi4ELb1ELb0ELb0ELb0ELb0ELb0EEEvPT0_PvPT_S7_S7_PKS6_S9_S9_S9_S9_ffiiiiiiiiiiiii, .Lfunc_end583-_ZN5aiter35fused_qk_rmsnorm_group_quant_kernelIDF16_N4opus5fp4_tELi256ELi8ELi4ELb1ELb0ELb0ELb0ELb0ELb0EEEvPT0_PvPT_S7_S7_PKS6_S9_S9_S9_S9_ffiiiiiiiiiiiii
                                        ; -- End function
	.section	.AMDGPU.csdata,"",@progbits
; Kernel info:
; codeLenInByte = 2664
; NumSgprs: 44
; NumVgprs: 27
; NumAgprs: 0
; TotalNumVgprs: 27
; ScratchSize: 0
; MemoryBound: 0
; FloatMode: 240
; IeeeMode: 1
; LDSByteSize: 32 bytes/workgroup (compile time only)
; SGPRBlocks: 5
; VGPRBlocks: 3
; NumSGPRsForWavesPerEU: 44
; NumVGPRsForWavesPerEU: 27
; AccumOffset: 28
; Occupancy: 8
; WaveLimiterHint : 0
; COMPUTE_PGM_RSRC2:SCRATCH_EN: 0
; COMPUTE_PGM_RSRC2:USER_SGPR: 6
; COMPUTE_PGM_RSRC2:TRAP_HANDLER: 0
; COMPUTE_PGM_RSRC2:TGID_X_EN: 1
; COMPUTE_PGM_RSRC2:TGID_Y_EN: 1
; COMPUTE_PGM_RSRC2:TGID_Z_EN: 0
; COMPUTE_PGM_RSRC2:TIDIG_COMP_CNT: 0
; COMPUTE_PGM_RSRC3_GFX90A:ACCUM_OFFSET: 6
; COMPUTE_PGM_RSRC3_GFX90A:TG_SPLIT: 0
	.section	.text._ZN5aiter35fused_qk_rmsnorm_group_quant_kernelItN4opus5fp4_tELi256ELi8ELi4ELb1ELb0ELb0ELb0ELb0ELb0EEEvPT0_PvPT_S7_S7_PKS6_S9_S9_S9_S9_ffiiiiiiiiiiiii,"axG",@progbits,_ZN5aiter35fused_qk_rmsnorm_group_quant_kernelItN4opus5fp4_tELi256ELi8ELi4ELb1ELb0ELb0ELb0ELb0ELb0EEEvPT0_PvPT_S7_S7_PKS6_S9_S9_S9_S9_ffiiiiiiiiiiiii,comdat
	.protected	_ZN5aiter35fused_qk_rmsnorm_group_quant_kernelItN4opus5fp4_tELi256ELi8ELi4ELb1ELb0ELb0ELb0ELb0ELb0EEEvPT0_PvPT_S7_S7_PKS6_S9_S9_S9_S9_ffiiiiiiiiiiiii ; -- Begin function _ZN5aiter35fused_qk_rmsnorm_group_quant_kernelItN4opus5fp4_tELi256ELi8ELi4ELb1ELb0ELb0ELb0ELb0ELb0EEEvPT0_PvPT_S7_S7_PKS6_S9_S9_S9_S9_ffiiiiiiiiiiiii
	.globl	_ZN5aiter35fused_qk_rmsnorm_group_quant_kernelItN4opus5fp4_tELi256ELi8ELi4ELb1ELb0ELb0ELb0ELb0ELb0EEEvPT0_PvPT_S7_S7_PKS6_S9_S9_S9_S9_ffiiiiiiiiiiiii
	.p2align	8
	.type	_ZN5aiter35fused_qk_rmsnorm_group_quant_kernelItN4opus5fp4_tELi256ELi8ELi4ELb1ELb0ELb0ELb0ELb0ELb0EEEvPT0_PvPT_S7_S7_PKS6_S9_S9_S9_S9_ffiiiiiiiiiiiii,@function
_ZN5aiter35fused_qk_rmsnorm_group_quant_kernelItN4opus5fp4_tELi256ELi8ELi4ELb1ELb0ELb0ELb0ELb0ELb0EEEvPT0_PvPT_S7_S7_PKS6_S9_S9_S9_S9_ffiiiiiiiiiiiii: ; @_ZN5aiter35fused_qk_rmsnorm_group_quant_kernelItN4opus5fp4_tELi256ELi8ELi4ELb1ELb0ELb0ELb0ELb0ELb0EEEvPT0_PvPT_S7_S7_PKS6_S9_S9_S9_S9_ffiiiiiiiiiiiii
; %bb.0:
	s_load_dwordx8 s[12:19], s[4:5], 0x50
	s_waitcnt lgkmcnt(0)
	s_cmp_ge_i32 s6, s14
	s_cbranch_scc1 .LBB584_17
; %bb.1:
	s_cmp_lg_u32 s7, 0
	s_cselect_b64 s[22:23], -1, 0
	s_cmp_eq_u32 s7, 0
	s_cselect_b64 s[8:9], -1, 0
	s_and_b64 s[0:1], s[8:9], exec
	s_load_dwordx2 s[20:21], s[4:5], 0x48
	s_load_dwordx2 s[34:35], s[4:5], 0x30
	s_load_dwordx4 s[24:27], s[4:5], 0x70
	s_cselect_b32 s7, s15, s16
	s_add_i32 s0, s7, 1
	s_lshr_b32 s1, s0, 31
	s_add_i32 s0, s0, s1
	s_lshl_b32 s0, s0, 1
	v_lshlrev_b32_e32 v1, 3, v0
	s_and_b32 s30, s0, -4
	v_cmp_gt_i32_e64 s[0:1], s7, v1
	v_mov_b32_e32 v10, 0
	v_mov_b32_e32 v11, 0
	;; [unrolled: 1-line block ×8, first 2 shown]
	s_and_saveexec_b64 s[2:3], s[0:1]
	s_cbranch_execz .LBB584_3
; %bb.2:
	s_load_dwordx2 s[10:11], s[4:5], 0x28
	s_load_dwordx2 s[28:29], s[4:5], 0x40
	s_and_b64 s[36:37], s[8:9], exec
	s_cselect_b32 s14, s17, s18
	s_mov_b32 s31, 0x20000
	s_waitcnt lgkmcnt(0)
	s_cselect_b32 s17, s11, s35
	s_cselect_b32 s27, s10, s34
	s_mul_hi_i32 s11, s14, s6
	s_mul_i32 s10, s14, s6
	s_lshl_b64 s[10:11], s[10:11], 1
	s_add_u32 s36, s27, s10
	s_addc_u32 s14, s17, s11
	s_and_b64 s[10:11], s[8:9], exec
	s_cselect_b32 s28, s28, s20
	s_cselect_b32 s10, s29, s21
	v_lshlrev_b32_e32 v2, 4, v0
	s_and_b32 s37, s14, 0xffff
	s_mov_b32 s38, s30
	s_mov_b32 s39, s31
	s_and_b32 s29, s10, 0xffff
	buffer_load_dwordx4 v[14:17], v2, s[36:39], 0 offen glc slc
	buffer_load_dwordx4 v[10:13], v2, s[28:31], 0 offen
.LBB584_3:
	s_or_b64 exec, exec, s[2:3]
	s_load_dwordx2 s[10:11], s[4:5], 0x80
	s_and_b64 vcc, exec, s[22:23]
	s_cbranch_vccz .LBB584_7
; %bb.4:
	s_mov_b32 s36, 0
	s_mov_b32 s37, s36
	;; [unrolled: 1-line block ×8, first 2 shown]
	v_pk_mov_b32 v[2:3], s[36:37], s[36:37] op_sel:[0,1]
	v_pk_mov_b32 v[4:5], s[38:39], s[38:39] op_sel:[0,1]
	;; [unrolled: 1-line block ×4, first 2 shown]
	s_and_saveexec_b64 s[2:3], s[0:1]
	s_cbranch_execz .LBB584_6
; %bb.5:
	s_waitcnt vmcnt(1)
	v_cvt_f32_u32_sdwa v3, v14 dst_sel:DWORD dst_unused:UNUSED_PAD src0_sel:WORD_1
	v_cvt_f32_u32_sdwa v2, v14 dst_sel:DWORD dst_unused:UNUSED_PAD src0_sel:WORD_0
	v_cvt_f32_u32_sdwa v5, v15 dst_sel:DWORD dst_unused:UNUSED_PAD src0_sel:WORD_1
	v_cvt_f32_u32_sdwa v4, v15 dst_sel:DWORD dst_unused:UNUSED_PAD src0_sel:WORD_0
	;; [unrolled: 2-line block ×4, first 2 shown]
.LBB584_6:
	s_or_b64 exec, exec, s[2:3]
	s_cbranch_execz .LBB584_8
	s_branch .LBB584_11
.LBB584_7:
                                        ; implicit-def: $vgpr2_vgpr3_vgpr4_vgpr5_vgpr6_vgpr7_vgpr8_vgpr9
.LBB584_8:
	s_mov_b32 s36, 0
	s_mov_b32 s37, s36
	s_mov_b32 s38, s36
	s_mov_b32 s39, s36
	s_mov_b32 s40, s36
	s_mov_b32 s41, s36
	s_mov_b32 s42, s36
	s_mov_b32 s43, s36
	v_pk_mov_b32 v[2:3], s[36:37], s[36:37] op_sel:[0,1]
	v_pk_mov_b32 v[4:5], s[38:39], s[38:39] op_sel:[0,1]
	;; [unrolled: 1-line block ×4, first 2 shown]
	s_and_saveexec_b64 s[2:3], s[0:1]
	s_cbranch_execz .LBB584_10
; %bb.9:
	s_load_dwordx2 s[28:29], s[4:5], 0x38
	s_mul_hi_i32 s37, s19, s6
	s_mul_i32 s36, s19, s6
	s_lshl_b64 s[36:37], s[36:37], 1
	s_mov_b32 s31, 0x20000
	s_waitcnt lgkmcnt(0)
	s_add_u32 s28, s28, s36
	s_addc_u32 s14, s29, s37
	s_and_b32 s29, s14, 0xffff
	v_lshlrev_b32_e32 v26, 4, v0
	buffer_load_dwordx4 v[2:5], v26, s[28:31], 0 offen glc slc
	s_load_dwordx2 s[28:29], s[4:5], 0x20
	s_waitcnt vmcnt(2)
	v_cvt_f32_u32_sdwa v7, v14 dst_sel:DWORD dst_unused:UNUSED_PAD src0_sel:WORD_1
	v_cvt_f32_u32_sdwa v6, v14 dst_sel:DWORD dst_unused:UNUSED_PAD src0_sel:WORD_0
	v_cvt_f32_u32_sdwa v9, v15 dst_sel:DWORD dst_unused:UNUSED_PAD src0_sel:WORD_1
	v_cvt_f32_u32_sdwa v8, v15 dst_sel:DWORD dst_unused:UNUSED_PAD src0_sel:WORD_0
	;; [unrolled: 2-line block ×4, first 2 shown]
	s_mul_hi_i32 s37, s11, s6
	s_mul_i32 s36, s11, s6
	s_lshl_b64 s[36:37], s[36:37], 1
	s_waitcnt lgkmcnt(0)
	s_add_u32 s28, s28, s36
	s_mov_b32 s11, 0x7060302
	s_addc_u32 s14, s29, s37
	s_and_b32 s29, s14, 0xffff
	s_waitcnt vmcnt(0)
	v_cvt_f32_u32_sdwa v17, v2 dst_sel:DWORD dst_unused:UNUSED_PAD src0_sel:WORD_1
	v_cvt_f32_u32_sdwa v16, v2 dst_sel:DWORD dst_unused:UNUSED_PAD src0_sel:WORD_0
	v_cvt_f32_u32_sdwa v21, v3 dst_sel:DWORD dst_unused:UNUSED_PAD src0_sel:WORD_1
	v_cvt_f32_u32_sdwa v20, v3 dst_sel:DWORD dst_unused:UNUSED_PAD src0_sel:WORD_0
	;; [unrolled: 2-line block ×4, first 2 shown]
	v_pk_add_f32 v[2:3], v[6:7], v[16:17]
	v_pk_add_f32 v[4:5], v[8:9], v[20:21]
	;; [unrolled: 1-line block ×4, first 2 shown]
	v_perm_b32 v17, v9, v8, s11
	v_perm_b32 v16, v7, v6, s11
	;; [unrolled: 1-line block ×4, first 2 shown]
	buffer_store_dwordx4 v[14:17], v26, s[28:31], 0 offen glc slc
	;;#ASMSTART
	s_nop 0
	;;#ASMEND
.LBB584_10:
	s_or_b64 exec, exec, s[2:3]
.LBB584_11:
	s_waitcnt vmcnt(1)
	v_mul_f32_e32 v14, v3, v3
	v_fmac_f32_e32 v14, v2, v2
	v_fmac_f32_e32 v14, v4, v4
	;; [unrolled: 1-line block ×7, first 2 shown]
	v_and_b32_e32 v16, 63, v0
	v_cmp_eq_u32_e64 s[2:3], 63, v16
	v_mov_b32_dpp v15, v14 quad_perm:[1,0,3,2] row_mask:0xf bank_mask:0xf
	v_add_f32_e32 v14, v14, v15
	s_nop 1
	v_mov_b32_dpp v15, v14 quad_perm:[2,3,0,1] row_mask:0xf bank_mask:0xf
	v_add_f32_e32 v14, v14, v15
	s_nop 1
	v_mov_b32_dpp v15, v14 row_half_mirror row_mask:0xf bank_mask:0xf
	v_add_f32_e32 v14, v14, v15
	s_nop 1
	v_mov_b32_dpp v15, v14 row_mirror row_mask:0xf bank_mask:0xf
	v_add_f32_e32 v14, v14, v15
	s_nop 1
	v_mov_b32_dpp v15, v14 row_bcast:15 row_mask:0xf bank_mask:0xf
	v_add_f32_e32 v14, v14, v15
	s_nop 1
	v_mov_b32_dpp v15, v14 row_bcast:31 row_mask:0xf bank_mask:0xf
	s_and_saveexec_b64 s[28:29], s[2:3]
	s_cbranch_execz .LBB584_13
; %bb.12:
	v_add_f32_e32 v14, v14, v15
	v_lshrrev_b32_e32 v15, 4, v0
	v_and_b32_e32 v15, 60, v15
	ds_write_b32 v15, v14 offset:16
.LBB584_13:
	s_or_b64 exec, exec, s[28:29]
	v_and_b32_e32 v15, 3, v0
	v_lshlrev_b32_e32 v14, 2, v15
	s_waitcnt lgkmcnt(0)
	s_barrier
	ds_read_b32 v16, v14 offset:16
	s_load_dwordx2 s[36:37], s[4:5], 0x18
	s_waitcnt lgkmcnt(0)
	v_mov_b32_dpp v17, v16 quad_perm:[1,0,3,2] row_mask:0xf bank_mask:0xf
	v_add_f32_e32 v16, v16, v17
	s_nop 1
	v_mov_b32_dpp v17, v16 quad_perm:[2,3,0,1] row_mask:0xf bank_mask:0xf
	s_and_saveexec_b64 s[28:29], s[0:1]
	s_cbranch_execnz .LBB584_18
; %bb.14:
	s_or_b64 exec, exec, s[28:29]
	s_mov_b64 s[8:9], -1
	s_and_b64 vcc, exec, s[22:23]
	s_cbranch_vccnz .LBB584_19
.LBB584_15:
	s_andn2_b64 vcc, exec, s[8:9]
	s_cbranch_vccz .LBB584_22
.LBB584_16:
	s_cmp_lt_i32 s16, 1
	s_cbranch_scc0 .LBB584_29
.LBB584_17:
	s_endpgm
.LBB584_18:
	v_cvt_f32_u32_e32 v18, s7
	v_add_f32_e32 v16, v16, v17
	v_mov_b32_e32 v20, s13
	v_mov_b32_e32 v21, s12
	v_div_scale_f32 v17, s[38:39], v18, v18, v16
	v_rcp_f32_e32 v19, v17
	v_cndmask_b32_e64 v20, v20, v21, s[8:9]
	s_mov_b32 s7, 0x800000
	v_fma_f32 v21, -v17, v19, 1.0
	v_fmac_f32_e32 v19, v21, v19
	v_div_scale_f32 v21, vcc, v16, v18, v16
	v_mul_f32_e32 v22, v21, v19
	v_fma_f32 v23, -v17, v22, v21
	v_fmac_f32_e32 v22, v23, v19
	v_fma_f32 v17, -v17, v22, v21
	v_div_fmas_f32 v17, v17, v19, v22
	v_div_fixup_f32 v16, v17, v18, v16
	v_add_f32_e32 v16, v20, v16
	v_mul_f32_e32 v17, 0x4b800000, v16
	v_cmp_gt_f32_e32 vcc, s7, v16
	v_cndmask_b32_e32 v16, v16, v17, vcc
	v_rsq_f32_e32 v16, v16
	s_waitcnt vmcnt(0)
	v_cvt_f32_u32_sdwa v19, v11 dst_sel:DWORD dst_unused:UNUSED_PAD src0_sel:WORD_1
	v_cvt_f32_u32_sdwa v18, v11 dst_sel:DWORD dst_unused:UNUSED_PAD src0_sel:WORD_0
	v_cvt_f32_u32_sdwa v11, v12 dst_sel:DWORD dst_unused:UNUSED_PAD src0_sel:WORD_1
	v_mul_f32_e32 v17, 0x45800000, v16
	v_cndmask_b32_e32 v16, v16, v17, vcc
	v_mov_b32_e32 v17, v16
	;;#ASMSTART
	v_pk_mul_f32 v[2:3], v[2:3], v[16:17]
	;;#ASMEND
	;;#ASMSTART
	v_pk_mul_f32 v[4:5], v[4:5], v[16:17]
	;;#ASMEND
	;; [unrolled: 3-line block ×4, first 2 shown]
	v_cvt_f32_u32_sdwa v17, v10 dst_sel:DWORD dst_unused:UNUSED_PAD src0_sel:WORD_1
	v_cvt_f32_u32_sdwa v16, v10 dst_sel:DWORD dst_unused:UNUSED_PAD src0_sel:WORD_0
	v_cvt_f32_u32_sdwa v10, v12 dst_sel:DWORD dst_unused:UNUSED_PAD src0_sel:WORD_0
	v_cvt_f32_u32_sdwa v21, v13 dst_sel:DWORD dst_unused:UNUSED_PAD src0_sel:WORD_1
	v_cvt_f32_u32_sdwa v20, v13 dst_sel:DWORD dst_unused:UNUSED_PAD src0_sel:WORD_0
	;;#ASMSTART
	v_pk_mul_f32 v[2:3], v[2:3], v[16:17]
	;;#ASMEND
	;;#ASMSTART
	v_pk_mul_f32 v[4:5], v[4:5], v[18:19]
	;;#ASMEND
	;;#ASMSTART
	v_pk_mul_f32 v[6:7], v[6:7], v[10:11]
	;;#ASMEND
	;;#ASMSTART
	v_pk_mul_f32 v[8:9], v[8:9], v[20:21]
	;;#ASMEND
	s_or_b64 exec, exec, s[28:29]
	s_mov_b64 s[8:9], -1
	s_and_b64 vcc, exec, s[22:23]
	s_cbranch_vccz .LBB584_15
.LBB584_19:
	s_and_saveexec_b64 s[8:9], s[0:1]
	s_cbranch_execz .LBB584_21
; %bb.20:
	s_mul_hi_i32 s23, s10, s6
	s_mul_i32 s22, s10, s6
	s_lshl_b64 s[22:23], s[22:23], 1
	s_add_u32 s28, s36, s22
	s_addc_u32 s7, s37, s23
	s_and_b32 s29, s7, 0xffff
	s_mov_b32 s7, 0x7060302
	s_mov_b32 s31, 0x20000
	s_waitcnt vmcnt(0)
	v_perm_b32 v10, v3, v2, s7
	v_perm_b32 v11, v5, v4, s7
	v_perm_b32 v12, v7, v6, s7
	v_perm_b32 v13, v9, v8, s7
	v_lshlrev_b32_e32 v16, 4, v0
	buffer_store_dwordx4 v[10:13], v16, s[28:31], 0 offen
	;;#ASMSTART
	s_nop 0
	;;#ASMEND
.LBB584_21:
	s_or_b64 exec, exec, s[8:9]
	s_cbranch_execnz .LBB584_16
.LBB584_22:
	s_waitcnt vmcnt(0)
	v_mov_b32_e32 v10, 0
	s_and_saveexec_b64 s[8:9], s[0:1]
	s_cbranch_execz .LBB584_24
; %bb.23:
	v_and_b32_e32 v2, 0x7fffffff, v2
	v_and_b32_e32 v3, 0x7fffffff, v3
	v_mov_b32_e32 v10, 0x2edbe6ff
	;;#ASMSTART
	v_max3_f32 v2, v10, v2, v3

	;;#ASMEND
	v_and_b32_e32 v3, 0x7fffffff, v4
	v_and_b32_e32 v4, 0x7fffffff, v5
	;;#ASMSTART
	v_max3_f32 v2, v2, v3, v4

	;;#ASMEND
	v_and_b32_e32 v3, 0x7fffffff, v6
	v_and_b32_e32 v4, 0x7fffffff, v7
	;; [unrolled: 6-line block ×3, first 2 shown]
	;;#ASMSTART
	v_max3_f32 v10, v2, v3, v4

	;;#ASMEND
.LBB584_24:
	s_or_b64 exec, exec, s[8:9]
	v_cmp_eq_u32_e32 vcc, 0, v15
	v_cmp_gt_i32_e64 s[8:9], s15, v1
	s_and_b64 s[22:23], vcc, s[8:9]
	;;#ASMSTART
	v_max_f32 v3, v10, v10 quad_perm:[1,0,3,2] row_mask:0xf bank_mask:0xf bound_ctrl:1
	;;#ASMEND
	;;#ASMSTART
	v_max_f32 v2, v3, v3 quad_perm:[2,3,0,1] row_mask:0xf bank_mask:0xf bound_ctrl:1
	;;#ASMEND
	s_and_saveexec_b64 s[8:9], s[22:23]
	s_cbranch_execz .LBB584_26
; %bb.25:
	s_load_dwordx2 s[22:23], s[4:5], 0x8
	v_mul_f32_e32 v2, 0x3e2aaaab, v2
	v_lshrrev_b32_e32 v3, 23, v2
	v_and_b32_e32 v4, 0x7f800000, v2
	v_and_b32_e32 v2, 0x7fffff, v2
	v_cmp_ne_u32_e32 vcc, 0, v2
	s_mul_i32 s12, s25, s6
	s_mov_b32 s7, 0x7f800000
	v_addc_co_u32_e32 v2, vcc, 0, v3, vcc
	s_mul_hi_i32 s11, s25, s6
	s_waitcnt lgkmcnt(0)
	s_add_u32 s22, s22, s12
	v_cmp_ne_u32_e32 vcc, s7, v4
	s_addc_u32 s23, s23, s11
	v_lshrrev_b32_e32 v5, 2, v0
	v_cndmask_b32_e32 v4, -1, v2, vcc
	v_pk_mov_b32 v[2:3], s[22:23], s[22:23] op_sel:[0,1]
	v_mad_i64_i32 v[2:3], s[22:23], s26, v5, v[2:3]
	global_store_byte v[2:3], v4, off
.LBB584_26:
	s_or_b64 exec, exec, s[8:9]
	s_and_saveexec_b64 s[8:9], s[0:1]
	s_cbranch_execz .LBB584_28
; %bb.27:
	s_load_dwordx2 s[0:1], s[4:5], 0x0
	s_mul_i32 s11, s24, s6
	s_mul_hi_i32 s7, s24, s6
	v_lshlrev_b32_e32 v2, 2, v0
	s_mov_b32 s27, 0x20000
	s_waitcnt lgkmcnt(0)
	s_add_u32 s24, s0, s11
	s_addc_u32 s0, s1, s7
	s_lshr_b32 s1, s15, 31
	s_add_i32 s1, s15, s1
	s_ashr_i32 s1, s1, 1
	s_add_i32 s1, s1, 3
	s_ashr_i32 s7, s1, 31
	s_lshr_b32 s7, s7, 30
	s_add_i32 s1, s1, s7
	s_and_b32 s26, s1, -4
	s_and_b32 s25, s0, 0xffff
	v_mov_b32_e32 v3, 0
	buffer_store_dword v3, v2, s[24:27], 0 offen
	;;#ASMSTART
	s_nop 0
	;;#ASMEND
.LBB584_28:
	s_or_b64 exec, exec, s[8:9]
	s_cmp_lt_i32 s16, 1
	s_cbranch_scc1 .LBB584_17
.LBB584_29:
	s_load_dword s0, s[4:5], 0x94
	s_waitcnt lgkmcnt(0)
	s_cmp_lg_u32 s0, 1
	s_cbranch_scc1 .LBB584_17
; %bb.30:
	s_lshl_b32 s0, s16, 1
	s_add_i32 s0, s0, 2
	v_cmp_gt_u32_e32 vcc, s16, v1
	s_and_b32 s22, s0, -4
	v_mov_b32_e32 v6, 0
	v_lshlrev_b32_e32 v1, 4, v0
	v_mov_b32_e32 v7, 0
	v_mov_b32_e32 v8, 0
	;; [unrolled: 1-line block ×7, first 2 shown]
	s_barrier
	s_and_saveexec_b64 s[0:1], vcc
	s_cbranch_execz .LBB584_32
; %bb.31:
	s_mul_hi_i32 s5, s18, s6
	s_mul_i32 s4, s18, s6
	s_and_b32 s21, s21, 0xffff
	s_lshl_b64 s[4:5], s[4:5], 1
	s_add_u32 s24, s34, s4
	s_mov_b32 s23, 0x20000
	s_addc_u32 s4, s35, s5
	s_and_b32 s25, s4, 0xffff
	s_mov_b32 s26, s22
	s_mov_b32 s27, s23
	buffer_load_dwordx4 v[6:9], v1, s[24:27], 0 offen glc slc
	buffer_load_dwordx4 v[2:5], v1, s[20:23], 0 offen
.LBB584_32:
	s_or_b64 exec, exec, s[0:1]
	s_waitcnt vmcnt(0)
	v_cvt_f32_u32_sdwa v13, v6 dst_sel:DWORD dst_unused:UNUSED_PAD src0_sel:WORD_1
	v_cvt_f32_u32_sdwa v12, v6 dst_sel:DWORD dst_unused:UNUSED_PAD src0_sel:WORD_0
	v_cvt_f32_u32_sdwa v6, v9 dst_sel:DWORD dst_unused:UNUSED_PAD src0_sel:WORD_1
	v_cvt_f32_u32_sdwa v9, v9 dst_sel:DWORD dst_unused:UNUSED_PAD src0_sel:WORD_0
	;; [unrolled: 2-line block ×4, first 2 shown]
	v_cndmask_b32_e32 v13, 0, v13, vcc
	v_cndmask_b32_e32 v7, 0, v6, vcc
	;; [unrolled: 1-line block ×5, first 2 shown]
	v_mul_f32_e32 v15, v13, v13
	v_cndmask_b32_e32 v10, 0, v10, vcc
	v_fmac_f32_e32 v15, v12, v12
	v_cndmask_b32_e32 v11, 0, v11, vcc
	v_fmac_f32_e32 v15, v10, v10
	;; [unrolled: 2-line block ×3, first 2 shown]
	v_fmac_f32_e32 v15, v8, v8
	v_fmac_f32_e32 v15, v9, v9
	;; [unrolled: 1-line block ×4, first 2 shown]
	s_nop 1
	v_mov_b32_dpp v16, v15 quad_perm:[1,0,3,2] row_mask:0xf bank_mask:0xf
	v_add_f32_e32 v15, v15, v16
	s_nop 1
	v_mov_b32_dpp v16, v15 quad_perm:[2,3,0,1] row_mask:0xf bank_mask:0xf
	v_add_f32_e32 v15, v15, v16
	s_nop 1
	v_mov_b32_dpp v16, v15 row_half_mirror row_mask:0xf bank_mask:0xf
	v_add_f32_e32 v15, v15, v16
	s_nop 1
	v_mov_b32_dpp v16, v15 row_mirror row_mask:0xf bank_mask:0xf
	v_add_f32_e32 v15, v15, v16
	s_nop 1
	v_mov_b32_dpp v16, v15 row_bcast:15 row_mask:0xf bank_mask:0xf
	v_add_f32_e32 v15, v15, v16
	s_nop 1
	v_mov_b32_dpp v16, v15 row_bcast:31 row_mask:0xf bank_mask:0xf
	s_and_saveexec_b64 s[0:1], s[2:3]
	s_cbranch_execz .LBB584_34
; %bb.33:
	v_lshrrev_b32_e32 v0, 4, v0
	v_add_f32_e32 v15, v15, v16
	v_and_b32_e32 v0, 60, v0
	ds_write_b32 v0, v15
.LBB584_34:
	s_or_b64 exec, exec, s[0:1]
	s_waitcnt lgkmcnt(0)
	s_barrier
	ds_read_b32 v0, v14
	s_waitcnt lgkmcnt(0)
	s_nop 0
	v_mov_b32_dpp v14, v0 quad_perm:[1,0,3,2] row_mask:0xf bank_mask:0xf
	v_add_f32_e32 v0, v0, v14
	s_nop 1
	v_mov_b32_dpp v14, v0 quad_perm:[2,3,0,1] row_mask:0xf bank_mask:0xf
	s_and_saveexec_b64 s[0:1], vcc
	s_cbranch_execz .LBB584_17
; %bb.35:
	v_cvt_f32_u32_e32 v15, s16
	v_add_f32_e32 v0, v0, v14
	s_mov_b32 s23, 0x20000
	v_div_scale_f32 v14, s[0:1], v15, v15, v0
	v_rcp_f32_e32 v16, v14
	v_div_scale_f32 v17, vcc, v0, v15, v0
	s_mov_b32 s0, 0x800000
	v_fma_f32 v18, -v14, v16, 1.0
	v_fmac_f32_e32 v16, v18, v16
	v_mul_f32_e32 v18, v17, v16
	v_fma_f32 v19, -v14, v18, v17
	v_fmac_f32_e32 v18, v19, v16
	v_fma_f32 v14, -v14, v18, v17
	v_div_fmas_f32 v14, v14, v16, v18
	v_div_fixup_f32 v0, v14, v15, v0
	v_add_f32_e32 v0, s13, v0
	v_mul_f32_e32 v14, 0x4b800000, v0
	v_cmp_gt_f32_e32 vcc, s0, v0
	v_cndmask_b32_e32 v0, v0, v14, vcc
	v_rsq_f32_e32 v0, v0
	s_mul_hi_i32 s1, s10, s6
	s_mul_i32 s0, s10, s6
	s_lshl_b64 s[0:1], s[0:1], 1
	v_mul_f32_e32 v14, 0x45800000, v0
	v_cndmask_b32_e32 v14, v0, v14, vcc
	s_add_u32 s20, s36, s0
	v_mov_b32_e32 v15, v14
	s_addc_u32 s0, s37, s1
	;;#ASMSTART
	v_pk_mul_f32 v[12:13], v[12:13], v[14:15]
	;;#ASMEND
	;;#ASMSTART
	v_pk_mul_f32 v[10:11], v[10:11], v[14:15]
	;;#ASMEND
	;;#ASMSTART
	v_pk_mul_f32 v[8:9], v[8:9], v[14:15]
	;;#ASMEND
	;;#ASMSTART
	v_pk_mul_f32 v[6:7], v[6:7], v[14:15]
	;;#ASMEND
	v_cvt_f32_u32_sdwa v15, v2 dst_sel:DWORD dst_unused:UNUSED_PAD src0_sel:WORD_1
	v_cvt_f32_u32_sdwa v14, v2 dst_sel:DWORD dst_unused:UNUSED_PAD src0_sel:WORD_0
	v_cvt_f32_u32_sdwa v17, v3 dst_sel:DWORD dst_unused:UNUSED_PAD src0_sel:WORD_1
	v_cvt_f32_u32_sdwa v16, v3 dst_sel:DWORD dst_unused:UNUSED_PAD src0_sel:WORD_0
	;; [unrolled: 2-line block ×4, first 2 shown]
	;;#ASMSTART
	v_pk_mul_f32 v[4:5], v[12:13], v[14:15]
	;;#ASMEND
	s_and_b32 s21, s0, 0xffff
	s_mov_b32 s0, 0x7060302
	;;#ASMSTART
	v_pk_mul_f32 v[10:11], v[10:11], v[16:17]
	;;#ASMEND
	;;#ASMSTART
	v_pk_mul_f32 v[8:9], v[8:9], v[2:3]
	;;#ASMEND
	;; [unrolled: 3-line block ×3, first 2 shown]
	v_perm_b32 v2, v5, v4, s0
	v_perm_b32 v3, v11, v10, s0
	;; [unrolled: 1-line block ×4, first 2 shown]
	buffer_store_dwordx4 v[2:5], v1, s[20:23], 0 offen
	;;#ASMSTART
	s_nop 0
	;;#ASMEND
	s_endpgm
	.section	.rodata,"a",@progbits
	.p2align	6, 0x0
	.amdhsa_kernel _ZN5aiter35fused_qk_rmsnorm_group_quant_kernelItN4opus5fp4_tELi256ELi8ELi4ELb1ELb0ELb0ELb0ELb0ELb0EEEvPT0_PvPT_S7_S7_PKS6_S9_S9_S9_S9_ffiiiiiiiiiiiii
		.amdhsa_group_segment_fixed_size 32
		.amdhsa_private_segment_fixed_size 0
		.amdhsa_kernarg_size 400
		.amdhsa_user_sgpr_count 6
		.amdhsa_user_sgpr_private_segment_buffer 1
		.amdhsa_user_sgpr_dispatch_ptr 0
		.amdhsa_user_sgpr_queue_ptr 0
		.amdhsa_user_sgpr_kernarg_segment_ptr 1
		.amdhsa_user_sgpr_dispatch_id 0
		.amdhsa_user_sgpr_flat_scratch_init 0
		.amdhsa_user_sgpr_kernarg_preload_length 0
		.amdhsa_user_sgpr_kernarg_preload_offset 0
		.amdhsa_user_sgpr_private_segment_size 0
		.amdhsa_uses_dynamic_stack 0
		.amdhsa_system_sgpr_private_segment_wavefront_offset 0
		.amdhsa_system_sgpr_workgroup_id_x 1
		.amdhsa_system_sgpr_workgroup_id_y 1
		.amdhsa_system_sgpr_workgroup_id_z 0
		.amdhsa_system_sgpr_workgroup_info 0
		.amdhsa_system_vgpr_workitem_id 0
		.amdhsa_next_free_vgpr 27
		.amdhsa_next_free_sgpr 44
		.amdhsa_accum_offset 28
		.amdhsa_reserve_vcc 1
		.amdhsa_reserve_flat_scratch 0
		.amdhsa_float_round_mode_32 0
		.amdhsa_float_round_mode_16_64 0
		.amdhsa_float_denorm_mode_32 3
		.amdhsa_float_denorm_mode_16_64 3
		.amdhsa_dx10_clamp 1
		.amdhsa_ieee_mode 1
		.amdhsa_fp16_overflow 0
		.amdhsa_tg_split 0
		.amdhsa_exception_fp_ieee_invalid_op 0
		.amdhsa_exception_fp_denorm_src 0
		.amdhsa_exception_fp_ieee_div_zero 0
		.amdhsa_exception_fp_ieee_overflow 0
		.amdhsa_exception_fp_ieee_underflow 0
		.amdhsa_exception_fp_ieee_inexact 0
		.amdhsa_exception_int_div_zero 0
	.end_amdhsa_kernel
	.section	.text._ZN5aiter35fused_qk_rmsnorm_group_quant_kernelItN4opus5fp4_tELi256ELi8ELi4ELb1ELb0ELb0ELb0ELb0ELb0EEEvPT0_PvPT_S7_S7_PKS6_S9_S9_S9_S9_ffiiiiiiiiiiiii,"axG",@progbits,_ZN5aiter35fused_qk_rmsnorm_group_quant_kernelItN4opus5fp4_tELi256ELi8ELi4ELb1ELb0ELb0ELb0ELb0ELb0EEEvPT0_PvPT_S7_S7_PKS6_S9_S9_S9_S9_ffiiiiiiiiiiiii,comdat
.Lfunc_end584:
	.size	_ZN5aiter35fused_qk_rmsnorm_group_quant_kernelItN4opus5fp4_tELi256ELi8ELi4ELb1ELb0ELb0ELb0ELb0ELb0EEEvPT0_PvPT_S7_S7_PKS6_S9_S9_S9_S9_ffiiiiiiiiiiiii, .Lfunc_end584-_ZN5aiter35fused_qk_rmsnorm_group_quant_kernelItN4opus5fp4_tELi256ELi8ELi4ELb1ELb0ELb0ELb0ELb0ELb0EEEvPT0_PvPT_S7_S7_PKS6_S9_S9_S9_S9_ffiiiiiiiiiiiii
                                        ; -- End function
	.section	.AMDGPU.csdata,"",@progbits
; Kernel info:
; codeLenInByte = 2728
; NumSgprs: 48
; NumVgprs: 27
; NumAgprs: 0
; TotalNumVgprs: 27
; ScratchSize: 0
; MemoryBound: 0
; FloatMode: 240
; IeeeMode: 1
; LDSByteSize: 32 bytes/workgroup (compile time only)
; SGPRBlocks: 5
; VGPRBlocks: 3
; NumSGPRsForWavesPerEU: 48
; NumVGPRsForWavesPerEU: 27
; AccumOffset: 28
; Occupancy: 8
; WaveLimiterHint : 0
; COMPUTE_PGM_RSRC2:SCRATCH_EN: 0
; COMPUTE_PGM_RSRC2:USER_SGPR: 6
; COMPUTE_PGM_RSRC2:TRAP_HANDLER: 0
; COMPUTE_PGM_RSRC2:TGID_X_EN: 1
; COMPUTE_PGM_RSRC2:TGID_Y_EN: 1
; COMPUTE_PGM_RSRC2:TGID_Z_EN: 0
; COMPUTE_PGM_RSRC2:TIDIG_COMP_CNT: 0
; COMPUTE_PGM_RSRC3_GFX90A:ACCUM_OFFSET: 6
; COMPUTE_PGM_RSRC3_GFX90A:TG_SPLIT: 0
	.section	.text._ZN5aiter35fused_qk_rmsnorm_group_quant_kernelIDF16_DB8_Li256ELi8ELi4ELb0ELb1ELb1ELb0ELb0ELb0EEEvPT0_PvPT_S6_S6_PKS5_S8_S8_S8_S8_ffiiiiiiiiiiiii,"axG",@progbits,_ZN5aiter35fused_qk_rmsnorm_group_quant_kernelIDF16_DB8_Li256ELi8ELi4ELb0ELb1ELb1ELb0ELb0ELb0EEEvPT0_PvPT_S6_S6_PKS5_S8_S8_S8_S8_ffiiiiiiiiiiiii,comdat
	.protected	_ZN5aiter35fused_qk_rmsnorm_group_quant_kernelIDF16_DB8_Li256ELi8ELi4ELb0ELb1ELb1ELb0ELb0ELb0EEEvPT0_PvPT_S6_S6_PKS5_S8_S8_S8_S8_ffiiiiiiiiiiiii ; -- Begin function _ZN5aiter35fused_qk_rmsnorm_group_quant_kernelIDF16_DB8_Li256ELi8ELi4ELb0ELb1ELb1ELb0ELb0ELb0EEEvPT0_PvPT_S6_S6_PKS5_S8_S8_S8_S8_ffiiiiiiiiiiiii
	.globl	_ZN5aiter35fused_qk_rmsnorm_group_quant_kernelIDF16_DB8_Li256ELi8ELi4ELb0ELb1ELb1ELb0ELb0ELb0EEEvPT0_PvPT_S6_S6_PKS5_S8_S8_S8_S8_ffiiiiiiiiiiiii
	.p2align	8
	.type	_ZN5aiter35fused_qk_rmsnorm_group_quant_kernelIDF16_DB8_Li256ELi8ELi4ELb0ELb1ELb1ELb0ELb0ELb0EEEvPT0_PvPT_S6_S6_PKS5_S8_S8_S8_S8_ffiiiiiiiiiiiii,@function
_ZN5aiter35fused_qk_rmsnorm_group_quant_kernelIDF16_DB8_Li256ELi8ELi4ELb0ELb1ELb1ELb0ELb0ELb0EEEvPT0_PvPT_S6_S6_PKS5_S8_S8_S8_S8_ffiiiiiiiiiiiii: ; @_ZN5aiter35fused_qk_rmsnorm_group_quant_kernelIDF16_DB8_Li256ELi8ELi4ELb0ELb1ELb1ELb0ELb0ELb0EEEvPT0_PvPT_S6_S6_PKS5_S8_S8_S8_S8_ffiiiiiiiiiiiii
; %bb.0:
	s_load_dwordx4 s[16:19], s[4:5], 0x50
	s_waitcnt lgkmcnt(0)
	s_cmp_ge_i32 s6, s18
	s_cbranch_scc1 .LBB585_12
; %bb.1:
	s_load_dwordx2 s[12:13], s[4:5], 0x48
	s_load_dwordx2 s[30:31], s[4:5], 0x30
	s_load_dwordx4 s[20:23], s[4:5], 0x60
	s_cmp_lg_u32 s7, 0
	s_cselect_b64 s[14:15], -1, 0
	s_cmp_eq_u32 s7, 0
	s_cselect_b64 vcc, -1, 0
	s_and_b64 s[0:1], vcc, exec
	s_waitcnt lgkmcnt(0)
	s_cselect_b32 s7, s19, s20
	s_add_i32 s0, s7, 1
	s_lshr_b32 s1, s0, 31
	s_add_i32 s0, s0, s1
	s_lshl_b32 s0, s0, 1
	v_lshlrev_b32_e32 v1, 3, v0
	s_and_b32 s10, s0, -4
	v_cmp_gt_i32_e64 s[2:3], s7, v1
	v_mov_b32_e32 v10, 0
	v_mov_b32_e32 v2, 0
	;; [unrolled: 1-line block ×9, first 2 shown]
	s_and_saveexec_b64 s[0:1], s[2:3]
	s_cbranch_execz .LBB585_3
; %bb.2:
	s_load_dwordx2 s[8:9], s[4:5], 0x28
	s_load_dwordx2 s[26:27], s[4:5], 0x40
	s_and_b64 s[24:25], vcc, exec
	s_cselect_b32 s11, s21, s22
	v_lshlrev_b32_e32 v11, 4, v0
	s_waitcnt lgkmcnt(0)
	s_cselect_b32 s18, s9, s31
	s_cselect_b32 s21, s8, s30
	s_mul_hi_i32 s9, s11, s6
	s_mul_i32 s8, s11, s6
	s_lshl_b64 s[8:9], s[8:9], 1
	s_add_u32 s24, s21, s8
	s_addc_u32 s18, s18, s9
	s_and_b64 s[8:9], vcc, exec
	s_mov_b32 s11, 0x20000
	s_cselect_b32 s8, s26, s12
	s_cselect_b32 s9, s27, s13
	s_and_b32 s25, s18, 0xffff
	s_mov_b32 s26, s10
	s_mov_b32 s27, s11
	s_and_b32 s9, s9, 0xffff
	buffer_load_dwordx4 v[6:9], v11, s[24:27], 0 offen glc slc
	buffer_load_dwordx4 v[2:5], v11, s[8:11], 0 offen
.LBB585_3:
	s_or_b64 exec, exec, s[0:1]
	v_mov_b32_e32 v11, 0
	v_mov_b32_e32 v16, 0
	;; [unrolled: 1-line block ×7, first 2 shown]
	s_and_saveexec_b64 s[0:1], s[2:3]
	s_cbranch_execz .LBB585_5
; %bb.4:
	s_waitcnt vmcnt(1)
	v_cvt_f32_f16_sdwa v11, v6 dst_sel:DWORD dst_unused:UNUSED_PAD src0_sel:WORD_1
	v_cvt_f32_f16_e32 v10, v6
	v_cvt_f32_f16_sdwa v17, v7 dst_sel:DWORD dst_unused:UNUSED_PAD src0_sel:WORD_1
	v_cvt_f32_f16_e32 v16, v7
	;; [unrolled: 2-line block ×4, first 2 shown]
.LBB585_5:
	s_or_b64 exec, exec, s[0:1]
	s_waitcnt vmcnt(1)
	v_mul_f32_e32 v6, v11, v11
	v_fmac_f32_e32 v6, v10, v10
	v_fmac_f32_e32 v6, v16, v16
	v_fmac_f32_e32 v6, v17, v17
	v_fmac_f32_e32 v6, v14, v14
	v_fmac_f32_e32 v6, v15, v15
	v_fmac_f32_e32 v6, v12, v12
	v_fmac_f32_e32 v6, v13, v13
	v_and_b32_e32 v8, 63, v0
	v_cmp_eq_u32_e64 s[0:1], 63, v8
	v_mov_b32_dpp v7, v6 quad_perm:[1,0,3,2] row_mask:0xf bank_mask:0xf
	v_add_f32_e32 v6, v6, v7
	s_nop 1
	v_mov_b32_dpp v7, v6 quad_perm:[2,3,0,1] row_mask:0xf bank_mask:0xf
	v_add_f32_e32 v6, v6, v7
	s_nop 1
	v_mov_b32_dpp v7, v6 row_half_mirror row_mask:0xf bank_mask:0xf
	v_add_f32_e32 v6, v6, v7
	s_nop 1
	v_mov_b32_dpp v7, v6 row_mirror row_mask:0xf bank_mask:0xf
	v_add_f32_e32 v6, v6, v7
	s_nop 1
	v_mov_b32_dpp v7, v6 row_bcast:15 row_mask:0xf bank_mask:0xf
	v_add_f32_e32 v6, v6, v7
	s_nop 1
	v_mov_b32_dpp v7, v6 row_bcast:31 row_mask:0xf bank_mask:0xf
	s_and_saveexec_b64 s[8:9], s[0:1]
	s_cbranch_execz .LBB585_7
; %bb.6:
	v_add_f32_e32 v6, v6, v7
	v_lshrrev_b32_e32 v7, 4, v0
	v_and_b32_e32 v7, 60, v7
	ds_write_b32 v7, v6 offset:16
.LBB585_7:
	s_or_b64 exec, exec, s[8:9]
	v_and_b32_e32 v6, 3, v0
	v_lshlrev_b32_e32 v18, 2, v6
	s_waitcnt lgkmcnt(0)
	s_barrier
	ds_read_b32 v7, v18 offset:16
	s_load_dwordx2 s[28:29], s[4:5], 0x18
	s_waitcnt lgkmcnt(0)
	v_mov_b32_dpp v8, v7 quad_perm:[1,0,3,2] row_mask:0xf bank_mask:0xf
	v_add_f32_e32 v7, v7, v8
	s_nop 1
	v_mov_b32_dpp v8, v7 quad_perm:[2,3,0,1] row_mask:0xf bank_mask:0xf
	s_and_saveexec_b64 s[8:9], s[2:3]
	s_cbranch_execz .LBB585_9
; %bb.8:
	v_cvt_f32_u32_e32 v9, s7
	v_add_f32_e32 v7, v7, v8
	v_mov_b32_e32 v20, s17
	v_mov_b32_e32 v21, s16
	v_div_scale_f32 v8, s[24:25], v9, v9, v7
	v_rcp_f32_e32 v19, v8
	v_cndmask_b32_e32 v20, v20, v21, vcc
	s_mov_b32 s7, 0x800000
	v_fma_f32 v21, -v8, v19, 1.0
	v_fmac_f32_e32 v19, v21, v19
	v_div_scale_f32 v21, vcc, v7, v9, v7
	v_mul_f32_e32 v22, v21, v19
	v_fma_f32 v23, -v8, v22, v21
	v_fmac_f32_e32 v22, v23, v19
	v_fma_f32 v8, -v8, v22, v21
	v_div_fmas_f32 v8, v8, v19, v22
	v_div_fixup_f32 v7, v8, v9, v7
	v_add_f32_e32 v7, v20, v7
	v_mul_f32_e32 v8, 0x4b800000, v7
	v_cmp_gt_f32_e32 vcc, s7, v7
	v_cndmask_b32_e32 v7, v7, v8, vcc
	v_rsq_f32_e32 v7, v7
	s_waitcnt vmcnt(0)
	v_cvt_f32_f16_sdwa v21, v2 dst_sel:DWORD dst_unused:UNUSED_PAD src0_sel:WORD_1
	v_cvt_f32_f16_e32 v20, v2
	v_cvt_f32_f16_sdwa v23, v3 dst_sel:DWORD dst_unused:UNUSED_PAD src0_sel:WORD_1
	v_mul_f32_e32 v8, 0x45800000, v7
	v_cndmask_b32_e32 v8, v7, v8, vcc
	v_mov_b32_e32 v9, v8
	;;#ASMSTART
	v_pk_mul_f32 v[10:11], v[10:11], v[8:9]
	;;#ASMEND
	;;#ASMSTART
	v_pk_mul_f32 v[16:17], v[16:17], v[8:9]
	;;#ASMEND
	;; [unrolled: 3-line block ×3, first 2 shown]
	v_cvt_f32_f16_e32 v22, v3
	;;#ASMSTART
	v_pk_mul_f32 v[2:3], v[12:13], v[8:9]
	;;#ASMEND
	v_cvt_f32_f16_sdwa v13, v4 dst_sel:DWORD dst_unused:UNUSED_PAD src0_sel:WORD_1
	v_cvt_f32_f16_e32 v12, v4
	v_pk_add_f32 v[8:9], v[20:21], 1.0 op_sel_hi:[1,0]
	v_cvt_f32_f16_sdwa v21, v5 dst_sel:DWORD dst_unused:UNUSED_PAD src0_sel:WORD_1
	v_cvt_f32_f16_e32 v20, v5
	v_pk_add_f32 v[4:5], v[12:13], 1.0 op_sel_hi:[1,0]
	;;#ASMSTART
	v_pk_mul_f32 v[10:11], v[10:11], v[8:9]
	;;#ASMEND
	v_pk_add_f32 v[8:9], v[22:23], 1.0 op_sel_hi:[1,0]
	;;#ASMSTART
	v_pk_mul_f32 v[16:17], v[16:17], v[8:9]
	;;#ASMEND
	;;#ASMSTART
	v_pk_mul_f32 v[14:15], v[14:15], v[4:5]
	;;#ASMEND
	v_pk_add_f32 v[4:5], v[20:21], 1.0 op_sel_hi:[1,0]
	;;#ASMSTART
	v_pk_mul_f32 v[12:13], v[2:3], v[4:5]
	;;#ASMEND
.LBB585_9:
	s_or_b64 exec, exec, s[8:9]
	s_load_dword s7, s[4:5], 0x80
	s_mov_b64 s[8:9], -1
	s_and_b64 vcc, exec, s[14:15]
	s_cbranch_vccnz .LBB585_13
; %bb.10:
	s_andn2_b64 vcc, exec, s[8:9]
	s_cbranch_vccz .LBB585_16
.LBB585_11:
	s_cmp_lt_i32 s20, 1
	s_cbranch_scc0 .LBB585_25
.LBB585_12:
	s_endpgm
.LBB585_13:
	s_and_saveexec_b64 s[14:15], s[2:3]
	s_cbranch_execz .LBB585_15
; %bb.14:
	s_waitcnt lgkmcnt(0)
	s_mul_hi_i32 s9, s7, s6
	s_mul_i32 s8, s7, s6
	s_waitcnt vmcnt(0)
	v_cvt_f16_f32_e32 v2, v10
	v_cvt_f16_f32_e32 v3, v16
	v_cvt_f16_f32_e32 v4, v14
	v_cvt_f16_f32_e32 v5, v12
	v_cvt_f16_f32_e32 v7, v13
	v_cvt_f16_f32_e32 v8, v15
	v_cvt_f16_f32_e32 v9, v17
	v_cvt_f16_f32_e32 v19, v11
	s_lshl_b64 s[8:9], s[8:9], 1
	s_add_u32 s8, s28, s8
	s_addc_u32 s9, s29, s9
	s_and_b32 s9, s9, 0xffff
	s_mov_b32 s11, 0x20000
	v_pack_b32_f16 v5, v5, v7
	v_pack_b32_f16 v4, v4, v8
	;; [unrolled: 1-line block ×4, first 2 shown]
	v_lshlrev_b32_e32 v7, 4, v0
	buffer_store_dwordx4 v[2:5], v7, s[8:11], 0 offen
	;;#ASMSTART
	s_nop 0
	;;#ASMEND
.LBB585_15:
	s_or_b64 exec, exec, s[14:15]
	s_cbranch_execnz .LBB585_11
.LBB585_16:
	s_load_dwordx4 s[24:27], s[4:5], 0x70
	s_waitcnt vmcnt(0)
	v_mov_b32_e32 v2, 0
	s_and_saveexec_b64 s[14:15], s[2:3]
	s_cbranch_execz .LBB585_18
; %bb.17:
	s_load_dwordx2 s[8:9], s[4:5], 0x10
	s_waitcnt lgkmcnt(0)
	s_mul_hi_i32 s35, s27, s6
	s_mul_i32 s34, s27, s6
	v_cvt_f16_f32_e32 v2, v10
	v_cvt_f16_f32_e32 v3, v16
	;; [unrolled: 1-line block ×8, first 2 shown]
	s_lshl_b64 s[34:35], s[34:35], 1
	s_add_u32 s8, s8, s34
	s_addc_u32 s9, s9, s35
	s_mov_b32 s11, 0x20000
	s_and_b32 s9, s9, 0xffff
	v_pack_b32_f16 v5, v5, v7
	v_pack_b32_f16 v4, v4, v8
	;; [unrolled: 1-line block ×4, first 2 shown]
	v_lshlrev_b32_e32 v7, 4, v0
	buffer_store_dwordx4 v[2:5], v7, s[8:11], 0 offen
	;;#ASMSTART
	s_nop 0
	;;#ASMEND
	s_nop 0
	v_mov_b32_e32 v2, 0x2edbe6ff
.LBB585_18:
	s_or_b64 exec, exec, s[14:15]
	s_and_saveexec_b64 s[8:9], s[2:3]
	s_cbranch_execz .LBB585_20
; %bb.19:
	v_and_b32_e32 v3, 0x7fffffff, v10
	v_and_b32_e32 v4, 0x7fffffff, v11
	;;#ASMSTART
	v_max3_f32 v2, v2, v3, v4

	;;#ASMEND
	v_and_b32_e32 v3, 0x7fffffff, v16
	v_and_b32_e32 v4, 0x7fffffff, v17
	;;#ASMSTART
	v_max3_f32 v2, v2, v3, v4

	;;#ASMEND
	v_and_b32_e32 v3, 0x7fffffff, v14
	v_and_b32_e32 v4, 0x7fffffff, v15
	;;#ASMSTART
	v_max3_f32 v2, v2, v3, v4

	;;#ASMEND
	v_and_b32_e32 v3, 0x7fffffff, v12
	v_and_b32_e32 v4, 0x7fffffff, v13
	;;#ASMSTART
	v_max3_f32 v2, v2, v3, v4

	;;#ASMEND
.LBB585_20:
	s_or_b64 exec, exec, s[8:9]
	;;#ASMSTART
	v_max_f32 v3, v2, v2 quad_perm:[1,0,3,2] row_mask:0xf bank_mask:0xf bound_ctrl:1
	;;#ASMEND
	;;#ASMSTART
	v_max_f32 v2, v3, v3 quad_perm:[2,3,0,1] row_mask:0xf bank_mask:0xf bound_ctrl:1
	;;#ASMEND
	v_cmp_eq_u32_e32 vcc, 0, v6
	v_cmp_gt_i32_e64 s[8:9], s19, v1
	v_mul_f32_e32 v2, 0x3b124925, v2
	s_and_b64 s[10:11], vcc, s[8:9]
	s_and_saveexec_b64 s[8:9], s[10:11]
	s_cbranch_execz .LBB585_22
; %bb.21:
	s_load_dwordx2 s[10:11], s[4:5], 0x8
	s_waitcnt lgkmcnt(0)
	s_mul_hi_i32 s15, s25, s6
	s_mul_i32 s14, s25, s6
	v_lshrrev_b32_e32 v3, 2, v0
	s_lshl_b64 s[14:15], s[14:15], 2
	v_mad_i64_i32 v[4:5], s[26:27], s26, v3, 0
	s_add_u32 s10, s10, s14
	s_addc_u32 s11, s11, s15
	v_lshlrev_b64 v[4:5], 2, v[4:5]
	v_mov_b32_e32 v3, s11
	v_add_co_u32_e32 v4, vcc, s10, v4
	v_addc_co_u32_e32 v5, vcc, v3, v5, vcc
	global_store_dword v[4:5], v2, off
.LBB585_22:
	s_or_b64 exec, exec, s[8:9]
	;;#ASMSTART
	v_rcp_f32 v2, v2
	;;#ASMEND
	s_and_saveexec_b64 s[14:15], s[2:3]
	s_cbranch_execz .LBB585_24
; %bb.23:
	s_load_dwordx2 s[2:3], s[4:5], 0x0
	s_waitcnt lgkmcnt(0)
	s_mul_i32 s8, s24, s6
	s_mul_hi_i32 s9, s24, s6
	v_mov_b32_e32 v3, v2
	;;#ASMSTART
	v_pk_mul_f32 v[4:5], v[10:11], v[2:3]
	;;#ASMEND
	s_add_u32 s8, s2, s8
	s_addc_u32 s2, s3, s9
	s_add_i32 s3, s19, 3
	s_ashr_i32 s9, s3, 31
	v_mov_b32_e32 v8, 0xc3e00000
	v_mov_b32_e32 v9, 0x43e00000
	;;#ASMSTART
	v_med3_f32 v4, v4, v8, v9
v_med3_f32 v5, v5, v8, v9
v_cvt_pk_fp8_f32 v6, v4, v5
	;;#ASMEND
	s_lshr_b32 s9, s9, 30
	;;#ASMSTART
	v_pk_mul_f32 v[4:5], v[16:17], v[2:3]
	;;#ASMEND
	s_add_i32 s3, s3, s9
	s_and_b32 s9, s2, 0xffff
	;;#ASMSTART
	v_med3_f32 v4, v4, v8, v9
v_med3_f32 v5, v5, v8, v9
v_cvt_pk_fp8_f32 v7, v4, v5
	;;#ASMEND
	s_mov_b32 s2, 0x5040100
	v_perm_b32 v5, v7, v6, s2
	s_movk_i32 s2, 0xff
	v_and_b32_e32 v4, 0xffffff00, v7
	v_and_b32_sdwa v6, v5, s2 dst_sel:DWORD dst_unused:UNUSED_PAD src0_sel:WORD_1 src1_sel:DWORD
	s_mov_b32 s16, 0xffff
	v_or_b32_sdwa v4, v6, v4 dst_sel:WORD_1 dst_unused:UNUSED_PAD src0_sel:DWORD src1_sel:DWORD
	v_and_or_b32 v4, v5, s16, v4
	;;#ASMSTART
	v_pk_mul_f32 v[6:7], v[14:15], v[2:3]
	;;#ASMEND
	v_mov_b32_e32 v5, v7
	;;#ASMSTART
	v_med3_f32 v6, v6, v8, v9
v_med3_f32 v5, v5, v8, v9
v_cvt_pk_fp8_f32 v7, v6, v5
	;;#ASMEND
	;;#ASMSTART
	v_pk_mul_f32 v[2:3], v[12:13], v[2:3]
	;;#ASMEND
	;;#ASMSTART
	v_med3_f32 v2, v2, v8, v9
v_med3_f32 v3, v3, v8, v9
v_cvt_pk_fp8_f32 v5, v2, v3
	;;#ASMEND
	v_lshlrev_b32_e32 v2, 16, v5
	s_and_b32 s10, s3, -4
	s_mov_b32 s11, 0x20000
	v_and_or_b32 v5, v7, s16, v2
	buffer_store_dwordx2 v[4:5], v1, s[8:11], 0 offen
	;;#ASMSTART
	s_nop 0
	;;#ASMEND
.LBB585_24:
	s_or_b64 exec, exec, s[14:15]
	s_cmp_lt_i32 s20, 1
	s_cbranch_scc1 .LBB585_12
.LBB585_25:
	s_load_dword s2, s[4:5], 0x94
	s_waitcnt lgkmcnt(0)
	s_cmp_lg_u32 s2, 1
	s_cbranch_scc1 .LBB585_12
; %bb.26:
	s_lshl_b32 s2, s20, 1
	s_add_i32 s2, s2, 2
	v_cmp_gt_u32_e32 vcc, s20, v1
	s_and_b32 s14, s2, -4
	v_mov_b32_e32 v10, 0
	v_lshlrev_b32_e32 v1, 4, v0
	v_mov_b32_e32 v6, 0
	v_mov_b32_e32 v7, 0
	;; [unrolled: 1-line block ×4, first 2 shown]
	s_waitcnt vmcnt(0)
	v_mov_b32_e32 v2, 0
	v_mov_b32_e32 v3, 0
	;; [unrolled: 1-line block ×4, first 2 shown]
	s_barrier
	s_and_saveexec_b64 s[2:3], vcc
	s_cbranch_execz .LBB585_28
; %bb.27:
	s_mul_hi_i32 s5, s22, s6
	s_mul_i32 s4, s22, s6
	s_and_b32 s13, s13, 0xffff
	s_lshl_b64 s[4:5], s[4:5], 1
	s_add_u32 s8, s30, s4
	s_mov_b32 s15, 0x20000
	s_addc_u32 s4, s31, s5
	s_and_b32 s9, s4, 0xffff
	s_mov_b32 s10, s14
	s_mov_b32 s11, s15
	buffer_load_dwordx4 v[6:9], v1, s[8:11], 0 offen glc slc
	buffer_load_dwordx4 v[2:5], v1, s[12:15], 0 offen
.LBB585_28:
	s_or_b64 exec, exec, s[2:3]
	v_mov_b32_e32 v11, 0
	v_mov_b32_e32 v16, 0
	;; [unrolled: 1-line block ×7, first 2 shown]
	s_and_saveexec_b64 s[2:3], vcc
	s_cbranch_execz .LBB585_30
; %bb.29:
	s_waitcnt vmcnt(1)
	v_cvt_f32_f16_sdwa v11, v6 dst_sel:DWORD dst_unused:UNUSED_PAD src0_sel:WORD_1
	v_cvt_f32_f16_e32 v10, v6
	v_cvt_f32_f16_sdwa v17, v7 dst_sel:DWORD dst_unused:UNUSED_PAD src0_sel:WORD_1
	v_cvt_f32_f16_e32 v16, v7
	;; [unrolled: 2-line block ×4, first 2 shown]
.LBB585_30:
	s_or_b64 exec, exec, s[2:3]
	s_waitcnt vmcnt(1)
	v_mul_f32_e32 v6, v11, v11
	v_fmac_f32_e32 v6, v10, v10
	v_fmac_f32_e32 v6, v16, v16
	;; [unrolled: 1-line block ×7, first 2 shown]
	s_nop 1
	v_mov_b32_dpp v7, v6 quad_perm:[1,0,3,2] row_mask:0xf bank_mask:0xf
	v_add_f32_e32 v6, v6, v7
	s_nop 1
	v_mov_b32_dpp v7, v6 quad_perm:[2,3,0,1] row_mask:0xf bank_mask:0xf
	v_add_f32_e32 v6, v6, v7
	s_nop 1
	v_mov_b32_dpp v7, v6 row_half_mirror row_mask:0xf bank_mask:0xf
	v_add_f32_e32 v6, v6, v7
	s_nop 1
	v_mov_b32_dpp v7, v6 row_mirror row_mask:0xf bank_mask:0xf
	v_add_f32_e32 v6, v6, v7
	s_nop 1
	v_mov_b32_dpp v7, v6 row_bcast:15 row_mask:0xf bank_mask:0xf
	v_add_f32_e32 v6, v6, v7
	s_nop 1
	v_mov_b32_dpp v7, v6 row_bcast:31 row_mask:0xf bank_mask:0xf
	s_and_saveexec_b64 s[2:3], s[0:1]
	s_cbranch_execz .LBB585_32
; %bb.31:
	v_lshrrev_b32_e32 v0, 4, v0
	v_add_f32_e32 v6, v6, v7
	v_and_b32_e32 v0, 60, v0
	ds_write_b32 v0, v6
.LBB585_32:
	s_or_b64 exec, exec, s[2:3]
	s_waitcnt lgkmcnt(0)
	s_barrier
	ds_read_b32 v0, v18
	s_waitcnt lgkmcnt(0)
	s_nop 0
	v_mov_b32_dpp v6, v0 quad_perm:[1,0,3,2] row_mask:0xf bank_mask:0xf
	v_add_f32_e32 v0, v0, v6
	s_nop 1
	v_mov_b32_dpp v6, v0 quad_perm:[2,3,0,1] row_mask:0xf bank_mask:0xf
	s_and_saveexec_b64 s[0:1], vcc
	s_cbranch_execz .LBB585_12
; %bb.33:
	v_cvt_f32_u32_e32 v7, s20
	v_add_f32_e32 v0, v0, v6
	s_mov_b32 s15, 0x20000
	v_div_scale_f32 v6, s[0:1], v7, v7, v0
	v_rcp_f32_e32 v8, v6
	v_div_scale_f32 v9, vcc, v0, v7, v0
	s_mov_b32 s0, 0x800000
	v_fma_f32 v18, -v6, v8, 1.0
	v_fmac_f32_e32 v8, v18, v8
	v_mul_f32_e32 v18, v9, v8
	v_fma_f32 v19, -v6, v18, v9
	v_fmac_f32_e32 v18, v19, v8
	v_fma_f32 v6, -v6, v18, v9
	v_div_fmas_f32 v6, v6, v8, v18
	v_div_fixup_f32 v0, v6, v7, v0
	v_add_f32_e32 v0, s17, v0
	v_mul_f32_e32 v6, 0x4b800000, v0
	v_cmp_gt_f32_e32 vcc, s0, v0
	v_cndmask_b32_e32 v0, v0, v6, vcc
	v_rsq_f32_e32 v0, v0
	s_waitcnt vmcnt(0)
	v_cvt_f32_f16_sdwa v19, v3 dst_sel:DWORD dst_unused:UNUSED_PAD src0_sel:WORD_1
	v_cvt_f32_f16_e32 v18, v3
	s_mul_hi_i32 s1, s7, s6
	v_mul_f32_e32 v6, 0x45800000, v0
	v_cndmask_b32_e32 v6, v0, v6, vcc
	v_mov_b32_e32 v7, v6
	;;#ASMSTART
	v_pk_mul_f32 v[8:9], v[10:11], v[6:7]
	;;#ASMEND
	;;#ASMSTART
	v_pk_mul_f32 v[10:11], v[16:17], v[6:7]
	;;#ASMEND
	v_cvt_f32_f16_sdwa v17, v2 dst_sel:DWORD dst_unused:UNUSED_PAD src0_sel:WORD_1
	v_cvt_f32_f16_e32 v16, v2
	;;#ASMSTART
	v_pk_mul_f32 v[14:15], v[14:15], v[6:7]
	;;#ASMEND
	;;#ASMSTART
	v_pk_mul_f32 v[2:3], v[12:13], v[6:7]
	;;#ASMEND
	v_cvt_f32_f16_sdwa v13, v4 dst_sel:DWORD dst_unused:UNUSED_PAD src0_sel:WORD_1
	v_cvt_f32_f16_e32 v12, v4
	v_pk_add_f32 v[6:7], v[16:17], 1.0 op_sel_hi:[1,0]
	v_cvt_f32_f16_sdwa v17, v5 dst_sel:DWORD dst_unused:UNUSED_PAD src0_sel:WORD_1
	v_cvt_f32_f16_e32 v16, v5
	;;#ASMSTART
	v_pk_mul_f32 v[6:7], v[8:9], v[6:7]
	;;#ASMEND
	v_pk_add_f32 v[8:9], v[18:19], 1.0 op_sel_hi:[1,0]
	;;#ASMSTART
	v_pk_mul_f32 v[4:5], v[10:11], v[8:9]
	;;#ASMEND
	v_pk_add_f32 v[8:9], v[12:13], 1.0 op_sel_hi:[1,0]
	;;#ASMSTART
	v_pk_mul_f32 v[8:9], v[14:15], v[8:9]
	;;#ASMEND
	v_pk_add_f32 v[10:11], v[16:17], 1.0 op_sel_hi:[1,0]
	;;#ASMSTART
	v_pk_mul_f32 v[2:3], v[2:3], v[10:11]
	;;#ASMEND
	s_mul_i32 s0, s7, s6
	v_cvt_f16_f32_e32 v0, v6
	v_cvt_f16_f32_e32 v6, v7
	;; [unrolled: 1-line block ×8, first 2 shown]
	s_lshl_b64 s[0:1], s[0:1], 1
	s_add_u32 s12, s28, s0
	s_addc_u32 s0, s29, s1
	s_and_b32 s13, s0, 0xffff
	v_pack_b32_f16 v2, v0, v6
	v_pack_b32_f16 v3, v4, v5
	;; [unrolled: 1-line block ×4, first 2 shown]
	buffer_store_dwordx4 v[2:5], v1, s[12:15], 0 offen
	;;#ASMSTART
	s_nop 0
	;;#ASMEND
	s_endpgm
	.section	.rodata,"a",@progbits
	.p2align	6, 0x0
	.amdhsa_kernel _ZN5aiter35fused_qk_rmsnorm_group_quant_kernelIDF16_DB8_Li256ELi8ELi4ELb0ELb1ELb1ELb0ELb0ELb0EEEvPT0_PvPT_S6_S6_PKS5_S8_S8_S8_S8_ffiiiiiiiiiiiii
		.amdhsa_group_segment_fixed_size 32
		.amdhsa_private_segment_fixed_size 0
		.amdhsa_kernarg_size 400
		.amdhsa_user_sgpr_count 6
		.amdhsa_user_sgpr_private_segment_buffer 1
		.amdhsa_user_sgpr_dispatch_ptr 0
		.amdhsa_user_sgpr_queue_ptr 0
		.amdhsa_user_sgpr_kernarg_segment_ptr 1
		.amdhsa_user_sgpr_dispatch_id 0
		.amdhsa_user_sgpr_flat_scratch_init 0
		.amdhsa_user_sgpr_kernarg_preload_length 0
		.amdhsa_user_sgpr_kernarg_preload_offset 0
		.amdhsa_user_sgpr_private_segment_size 0
		.amdhsa_uses_dynamic_stack 0
		.amdhsa_system_sgpr_private_segment_wavefront_offset 0
		.amdhsa_system_sgpr_workgroup_id_x 1
		.amdhsa_system_sgpr_workgroup_id_y 1
		.amdhsa_system_sgpr_workgroup_id_z 0
		.amdhsa_system_sgpr_workgroup_info 0
		.amdhsa_system_vgpr_workitem_id 0
		.amdhsa_next_free_vgpr 24
		.amdhsa_next_free_sgpr 36
		.amdhsa_accum_offset 24
		.amdhsa_reserve_vcc 1
		.amdhsa_reserve_flat_scratch 0
		.amdhsa_float_round_mode_32 0
		.amdhsa_float_round_mode_16_64 0
		.amdhsa_float_denorm_mode_32 3
		.amdhsa_float_denorm_mode_16_64 3
		.amdhsa_dx10_clamp 1
		.amdhsa_ieee_mode 1
		.amdhsa_fp16_overflow 0
		.amdhsa_tg_split 0
		.amdhsa_exception_fp_ieee_invalid_op 0
		.amdhsa_exception_fp_denorm_src 0
		.amdhsa_exception_fp_ieee_div_zero 0
		.amdhsa_exception_fp_ieee_overflow 0
		.amdhsa_exception_fp_ieee_underflow 0
		.amdhsa_exception_fp_ieee_inexact 0
		.amdhsa_exception_int_div_zero 0
	.end_amdhsa_kernel
	.section	.text._ZN5aiter35fused_qk_rmsnorm_group_quant_kernelIDF16_DB8_Li256ELi8ELi4ELb0ELb1ELb1ELb0ELb0ELb0EEEvPT0_PvPT_S6_S6_PKS5_S8_S8_S8_S8_ffiiiiiiiiiiiii,"axG",@progbits,_ZN5aiter35fused_qk_rmsnorm_group_quant_kernelIDF16_DB8_Li256ELi8ELi4ELb0ELb1ELb1ELb0ELb0ELb0EEEvPT0_PvPT_S6_S6_PKS5_S8_S8_S8_S8_ffiiiiiiiiiiiii,comdat
.Lfunc_end585:
	.size	_ZN5aiter35fused_qk_rmsnorm_group_quant_kernelIDF16_DB8_Li256ELi8ELi4ELb0ELb1ELb1ELb0ELb0ELb0EEEvPT0_PvPT_S6_S6_PKS5_S8_S8_S8_S8_ffiiiiiiiiiiiii, .Lfunc_end585-_ZN5aiter35fused_qk_rmsnorm_group_quant_kernelIDF16_DB8_Li256ELi8ELi4ELb0ELb1ELb1ELb0ELb0ELb0EEEvPT0_PvPT_S6_S6_PKS5_S8_S8_S8_S8_ffiiiiiiiiiiiii
                                        ; -- End function
	.section	.AMDGPU.csdata,"",@progbits
; Kernel info:
; codeLenInByte = 2680
; NumSgprs: 40
; NumVgprs: 24
; NumAgprs: 0
; TotalNumVgprs: 24
; ScratchSize: 0
; MemoryBound: 0
; FloatMode: 240
; IeeeMode: 1
; LDSByteSize: 32 bytes/workgroup (compile time only)
; SGPRBlocks: 4
; VGPRBlocks: 2
; NumSGPRsForWavesPerEU: 40
; NumVGPRsForWavesPerEU: 24
; AccumOffset: 24
; Occupancy: 8
; WaveLimiterHint : 0
; COMPUTE_PGM_RSRC2:SCRATCH_EN: 0
; COMPUTE_PGM_RSRC2:USER_SGPR: 6
; COMPUTE_PGM_RSRC2:TRAP_HANDLER: 0
; COMPUTE_PGM_RSRC2:TGID_X_EN: 1
; COMPUTE_PGM_RSRC2:TGID_Y_EN: 1
; COMPUTE_PGM_RSRC2:TGID_Z_EN: 0
; COMPUTE_PGM_RSRC2:TIDIG_COMP_CNT: 0
; COMPUTE_PGM_RSRC3_GFX90A:ACCUM_OFFSET: 5
; COMPUTE_PGM_RSRC3_GFX90A:TG_SPLIT: 0
	.section	.text._ZN5aiter35fused_qk_rmsnorm_group_quant_kernelItDB8_Li256ELi8ELi4ELb0ELb1ELb1ELb0ELb0ELb0EEEvPT0_PvPT_S6_S6_PKS5_S8_S8_S8_S8_ffiiiiiiiiiiiii,"axG",@progbits,_ZN5aiter35fused_qk_rmsnorm_group_quant_kernelItDB8_Li256ELi8ELi4ELb0ELb1ELb1ELb0ELb0ELb0EEEvPT0_PvPT_S6_S6_PKS5_S8_S8_S8_S8_ffiiiiiiiiiiiii,comdat
	.protected	_ZN5aiter35fused_qk_rmsnorm_group_quant_kernelItDB8_Li256ELi8ELi4ELb0ELb1ELb1ELb0ELb0ELb0EEEvPT0_PvPT_S6_S6_PKS5_S8_S8_S8_S8_ffiiiiiiiiiiiii ; -- Begin function _ZN5aiter35fused_qk_rmsnorm_group_quant_kernelItDB8_Li256ELi8ELi4ELb0ELb1ELb1ELb0ELb0ELb0EEEvPT0_PvPT_S6_S6_PKS5_S8_S8_S8_S8_ffiiiiiiiiiiiii
	.globl	_ZN5aiter35fused_qk_rmsnorm_group_quant_kernelItDB8_Li256ELi8ELi4ELb0ELb1ELb1ELb0ELb0ELb0EEEvPT0_PvPT_S6_S6_PKS5_S8_S8_S8_S8_ffiiiiiiiiiiiii
	.p2align	8
	.type	_ZN5aiter35fused_qk_rmsnorm_group_quant_kernelItDB8_Li256ELi8ELi4ELb0ELb1ELb1ELb0ELb0ELb0EEEvPT0_PvPT_S6_S6_PKS5_S8_S8_S8_S8_ffiiiiiiiiiiiii,@function
_ZN5aiter35fused_qk_rmsnorm_group_quant_kernelItDB8_Li256ELi8ELi4ELb0ELb1ELb1ELb0ELb0ELb0EEEvPT0_PvPT_S6_S6_PKS5_S8_S8_S8_S8_ffiiiiiiiiiiiii: ; @_ZN5aiter35fused_qk_rmsnorm_group_quant_kernelItDB8_Li256ELi8ELi4ELb0ELb1ELb1ELb0ELb0ELb0EEEvPT0_PvPT_S6_S6_PKS5_S8_S8_S8_S8_ffiiiiiiiiiiiii
; %bb.0:
	s_load_dwordx4 s[16:19], s[4:5], 0x50
	s_waitcnt lgkmcnt(0)
	s_cmp_ge_i32 s6, s18
	s_cbranch_scc1 .LBB586_10
; %bb.1:
	s_load_dwordx2 s[12:13], s[4:5], 0x48
	s_load_dwordx2 s[30:31], s[4:5], 0x30
	s_load_dwordx4 s[20:23], s[4:5], 0x60
	s_cmp_lg_u32 s7, 0
	s_cselect_b64 s[14:15], -1, 0
	s_cmp_eq_u32 s7, 0
	s_cselect_b64 vcc, -1, 0
	s_and_b64 s[0:1], vcc, exec
	s_waitcnt lgkmcnt(0)
	s_cselect_b32 s7, s19, s20
	s_add_i32 s0, s7, 1
	s_lshr_b32 s1, s0, 31
	s_add_i32 s0, s0, s1
	s_lshl_b32 s0, s0, 1
	v_lshlrev_b32_e32 v1, 3, v0
	s_and_b32 s10, s0, -4
	v_cmp_gt_i32_e64 s[2:3], s7, v1
	v_mov_b32_e32 v2, 0
	v_mov_b32_e32 v3, 0
	;; [unrolled: 1-line block ×8, first 2 shown]
	s_and_saveexec_b64 s[0:1], s[2:3]
	s_cbranch_execz .LBB586_3
; %bb.2:
	s_load_dwordx2 s[8:9], s[4:5], 0x28
	s_load_dwordx2 s[26:27], s[4:5], 0x40
	s_and_b64 s[24:25], vcc, exec
	s_cselect_b32 s11, s21, s22
	v_lshlrev_b32_e32 v10, 4, v0
	s_waitcnt lgkmcnt(0)
	s_cselect_b32 s18, s9, s31
	s_cselect_b32 s21, s8, s30
	s_mul_hi_i32 s9, s11, s6
	s_mul_i32 s8, s11, s6
	s_lshl_b64 s[8:9], s[8:9], 1
	s_add_u32 s24, s21, s8
	s_addc_u32 s18, s18, s9
	s_and_b64 s[8:9], vcc, exec
	s_mov_b32 s11, 0x20000
	s_cselect_b32 s8, s26, s12
	s_cselect_b32 s9, s27, s13
	s_and_b32 s25, s18, 0xffff
	s_mov_b32 s26, s10
	s_mov_b32 s27, s11
	s_and_b32 s9, s9, 0xffff
	buffer_load_dwordx4 v[6:9], v10, s[24:27], 0 offen glc slc
	buffer_load_dwordx4 v[2:5], v10, s[8:11], 0 offen
.LBB586_3:
	s_or_b64 exec, exec, s[0:1]
	s_waitcnt vmcnt(1)
	v_cvt_f32_u32_sdwa v13, v6 dst_sel:DWORD dst_unused:UNUSED_PAD src0_sel:WORD_1
	v_cvt_f32_u32_sdwa v12, v6 dst_sel:DWORD dst_unused:UNUSED_PAD src0_sel:WORD_0
	v_cvt_f32_u32_sdwa v6, v9 dst_sel:DWORD dst_unused:UNUSED_PAD src0_sel:WORD_1
	v_cvt_f32_u32_sdwa v9, v9 dst_sel:DWORD dst_unused:UNUSED_PAD src0_sel:WORD_0
	;; [unrolled: 2-line block ×4, first 2 shown]
	v_cndmask_b32_e64 v13, 0, v13, s[2:3]
	v_cndmask_b32_e64 v7, 0, v6, s[2:3]
	;; [unrolled: 1-line block ×5, first 2 shown]
	v_mul_f32_e32 v14, v13, v13
	v_cndmask_b32_e64 v10, 0, v10, s[2:3]
	v_fmac_f32_e32 v14, v12, v12
	v_cndmask_b32_e64 v11, 0, v11, s[2:3]
	v_fmac_f32_e32 v14, v10, v10
	;; [unrolled: 2-line block ×3, first 2 shown]
	v_fmac_f32_e32 v14, v8, v8
	v_fmac_f32_e32 v14, v9, v9
	;; [unrolled: 1-line block ×4, first 2 shown]
	v_and_b32_e32 v16, 63, v0
	v_cmp_eq_u32_e64 s[0:1], 63, v16
	v_mov_b32_dpp v15, v14 quad_perm:[1,0,3,2] row_mask:0xf bank_mask:0xf
	v_add_f32_e32 v14, v14, v15
	s_nop 1
	v_mov_b32_dpp v15, v14 quad_perm:[2,3,0,1] row_mask:0xf bank_mask:0xf
	v_add_f32_e32 v14, v14, v15
	s_nop 1
	v_mov_b32_dpp v15, v14 row_half_mirror row_mask:0xf bank_mask:0xf
	v_add_f32_e32 v14, v14, v15
	s_nop 1
	v_mov_b32_dpp v15, v14 row_mirror row_mask:0xf bank_mask:0xf
	v_add_f32_e32 v14, v14, v15
	s_nop 1
	v_mov_b32_dpp v15, v14 row_bcast:15 row_mask:0xf bank_mask:0xf
	v_add_f32_e32 v14, v14, v15
	s_nop 1
	v_mov_b32_dpp v15, v14 row_bcast:31 row_mask:0xf bank_mask:0xf
	s_and_saveexec_b64 s[8:9], s[0:1]
	s_cbranch_execz .LBB586_5
; %bb.4:
	v_add_f32_e32 v14, v14, v15
	v_lshrrev_b32_e32 v15, 4, v0
	v_and_b32_e32 v15, 60, v15
	ds_write_b32 v15, v14 offset:16
.LBB586_5:
	s_or_b64 exec, exec, s[8:9]
	v_and_b32_e32 v15, 3, v0
	v_lshlrev_b32_e32 v14, 2, v15
	s_waitcnt lgkmcnt(0)
	s_barrier
	ds_read_b32 v16, v14 offset:16
	s_load_dwordx2 s[28:29], s[4:5], 0x18
	s_waitcnt lgkmcnt(0)
	v_mov_b32_dpp v17, v16 quad_perm:[1,0,3,2] row_mask:0xf bank_mask:0xf
	v_add_f32_e32 v16, v16, v17
	s_nop 1
	v_mov_b32_dpp v17, v16 quad_perm:[2,3,0,1] row_mask:0xf bank_mask:0xf
	s_and_saveexec_b64 s[8:9], s[2:3]
	s_cbranch_execz .LBB586_7
; %bb.6:
	v_cvt_f32_u32_e32 v18, s7
	v_add_f32_e32 v16, v16, v17
	v_mov_b32_e32 v20, s17
	v_mov_b32_e32 v21, s16
	v_div_scale_f32 v17, s[24:25], v18, v18, v16
	v_rcp_f32_e32 v19, v17
	v_cndmask_b32_e32 v20, v20, v21, vcc
	s_mov_b32 s7, 0x800000
	v_fma_f32 v21, -v17, v19, 1.0
	v_fmac_f32_e32 v19, v21, v19
	v_div_scale_f32 v21, vcc, v16, v18, v16
	v_mul_f32_e32 v22, v21, v19
	v_fma_f32 v23, -v17, v22, v21
	v_fmac_f32_e32 v22, v23, v19
	v_fma_f32 v17, -v17, v22, v21
	v_div_fmas_f32 v17, v17, v19, v22
	v_div_fixup_f32 v16, v17, v18, v16
	v_add_f32_e32 v16, v20, v16
	v_mul_f32_e32 v17, 0x4b800000, v16
	v_cmp_gt_f32_e32 vcc, s7, v16
	v_cndmask_b32_e32 v16, v16, v17, vcc
	v_rsq_f32_e32 v16, v16
	s_waitcnt vmcnt(0)
	v_cvt_f32_u32_sdwa v19, v2 dst_sel:DWORD dst_unused:UNUSED_PAD src0_sel:WORD_1
	v_cvt_f32_u32_sdwa v18, v2 dst_sel:DWORD dst_unused:UNUSED_PAD src0_sel:WORD_0
	v_cvt_f32_u32_sdwa v21, v3 dst_sel:DWORD dst_unused:UNUSED_PAD src0_sel:WORD_1
	v_mul_f32_e32 v17, 0x45800000, v16
	v_cndmask_b32_e32 v16, v16, v17, vcc
	v_mov_b32_e32 v17, v16
	;;#ASMSTART
	v_pk_mul_f32 v[12:13], v[12:13], v[16:17]
	;;#ASMEND
	;;#ASMSTART
	v_pk_mul_f32 v[10:11], v[10:11], v[16:17]
	;;#ASMEND
	;; [unrolled: 3-line block ×3, first 2 shown]
	v_cvt_f32_u32_sdwa v20, v3 dst_sel:DWORD dst_unused:UNUSED_PAD src0_sel:WORD_0
	;;#ASMSTART
	v_pk_mul_f32 v[2:3], v[6:7], v[16:17]
	;;#ASMEND
	v_cvt_f32_u32_sdwa v17, v4 dst_sel:DWORD dst_unused:UNUSED_PAD src0_sel:WORD_1
	v_cvt_f32_u32_sdwa v16, v4 dst_sel:DWORD dst_unused:UNUSED_PAD src0_sel:WORD_0
	v_pk_add_f32 v[6:7], v[18:19], 1.0 op_sel_hi:[1,0]
	v_cvt_f32_u32_sdwa v19, v5 dst_sel:DWORD dst_unused:UNUSED_PAD src0_sel:WORD_1
	v_cvt_f32_u32_sdwa v18, v5 dst_sel:DWORD dst_unused:UNUSED_PAD src0_sel:WORD_0
	;;#ASMSTART
	v_pk_mul_f32 v[12:13], v[12:13], v[6:7]
	;;#ASMEND
	v_pk_add_f32 v[6:7], v[20:21], 1.0 op_sel_hi:[1,0]
	v_pk_add_f32 v[4:5], v[16:17], 1.0 op_sel_hi:[1,0]
	;;#ASMSTART
	v_pk_mul_f32 v[10:11], v[10:11], v[6:7]
	;;#ASMEND
	;;#ASMSTART
	v_pk_mul_f32 v[8:9], v[8:9], v[4:5]
	;;#ASMEND
	v_pk_add_f32 v[4:5], v[18:19], 1.0 op_sel_hi:[1,0]
	;;#ASMSTART
	v_pk_mul_f32 v[6:7], v[2:3], v[4:5]
	;;#ASMEND
.LBB586_7:
	s_or_b64 exec, exec, s[8:9]
	s_load_dword s7, s[4:5], 0x80
	s_mov_b64 s[8:9], -1
	s_and_b64 vcc, exec, s[14:15]
	s_cbranch_vccnz .LBB586_11
; %bb.8:
	s_andn2_b64 vcc, exec, s[8:9]
	s_cbranch_vccz .LBB586_14
.LBB586_9:
	s_cmp_lt_i32 s20, 1
	s_cbranch_scc0 .LBB586_23
.LBB586_10:
	s_endpgm
.LBB586_11:
	s_and_saveexec_b64 s[14:15], s[2:3]
	s_cbranch_execz .LBB586_13
; %bb.12:
	s_waitcnt lgkmcnt(0)
	s_mul_hi_i32 s9, s7, s6
	s_mul_i32 s8, s7, s6
	s_lshl_b64 s[8:9], s[8:9], 1
	s_add_u32 s8, s28, s8
	s_addc_u32 s9, s29, s9
	s_mov_b32 s16, 0x7060302
	s_and_b32 s9, s9, 0xffff
	s_mov_b32 s11, 0x20000
	s_waitcnt vmcnt(0)
	v_perm_b32 v2, v13, v12, s16
	v_perm_b32 v3, v11, v10, s16
	;; [unrolled: 1-line block ×4, first 2 shown]
	v_lshlrev_b32_e32 v16, 4, v0
	buffer_store_dwordx4 v[2:5], v16, s[8:11], 0 offen
	;;#ASMSTART
	s_nop 0
	;;#ASMEND
.LBB586_13:
	s_or_b64 exec, exec, s[14:15]
	s_cbranch_execnz .LBB586_9
.LBB586_14:
	s_load_dwordx4 s[24:27], s[4:5], 0x70
	s_waitcnt vmcnt(0)
	v_mov_b32_e32 v2, 0
	s_and_saveexec_b64 s[14:15], s[2:3]
	s_cbranch_execz .LBB586_16
; %bb.15:
	s_load_dwordx2 s[8:9], s[4:5], 0x10
	s_waitcnt lgkmcnt(0)
	s_mul_hi_i32 s35, s27, s6
	s_mul_i32 s34, s27, s6
	s_lshl_b64 s[34:35], s[34:35], 1
	s_mov_b32 s16, 0x7060302
	s_add_u32 s8, s8, s34
	s_addc_u32 s9, s9, s35
	s_mov_b32 s11, 0x20000
	s_and_b32 s9, s9, 0xffff
	v_perm_b32 v2, v13, v12, s16
	v_perm_b32 v3, v11, v10, s16
	;; [unrolled: 1-line block ×4, first 2 shown]
	v_lshlrev_b32_e32 v16, 4, v0
	buffer_store_dwordx4 v[2:5], v16, s[8:11], 0 offen
	;;#ASMSTART
	s_nop 0
	;;#ASMEND
	s_nop 0
	v_mov_b32_e32 v2, 0x2edbe6ff
.LBB586_16:
	s_or_b64 exec, exec, s[14:15]
	s_and_saveexec_b64 s[8:9], s[2:3]
	s_cbranch_execz .LBB586_18
; %bb.17:
	v_and_b32_e32 v3, 0x7fffffff, v12
	v_and_b32_e32 v4, 0x7fffffff, v13
	;;#ASMSTART
	v_max3_f32 v2, v2, v3, v4

	;;#ASMEND
	v_and_b32_e32 v3, 0x7fffffff, v10
	v_and_b32_e32 v4, 0x7fffffff, v11
	;;#ASMSTART
	v_max3_f32 v2, v2, v3, v4

	;;#ASMEND
	;; [unrolled: 6-line block ×4, first 2 shown]
.LBB586_18:
	s_or_b64 exec, exec, s[8:9]
	;;#ASMSTART
	v_max_f32 v3, v2, v2 quad_perm:[1,0,3,2] row_mask:0xf bank_mask:0xf bound_ctrl:1
	;;#ASMEND
	;;#ASMSTART
	v_max_f32 v2, v3, v3 quad_perm:[2,3,0,1] row_mask:0xf bank_mask:0xf bound_ctrl:1
	;;#ASMEND
	v_cmp_eq_u32_e32 vcc, 0, v15
	v_cmp_gt_i32_e64 s[8:9], s19, v1
	v_mul_f32_e32 v2, 0x3b124925, v2
	s_and_b64 s[10:11], vcc, s[8:9]
	s_and_saveexec_b64 s[8:9], s[10:11]
	s_cbranch_execz .LBB586_20
; %bb.19:
	s_load_dwordx2 s[10:11], s[4:5], 0x8
	s_waitcnt lgkmcnt(0)
	s_mul_hi_i32 s15, s25, s6
	s_mul_i32 s14, s25, s6
	v_lshrrev_b32_e32 v3, 2, v0
	s_lshl_b64 s[14:15], s[14:15], 2
	v_mad_i64_i32 v[4:5], s[26:27], s26, v3, 0
	s_add_u32 s10, s10, s14
	s_addc_u32 s11, s11, s15
	v_lshlrev_b64 v[4:5], 2, v[4:5]
	v_mov_b32_e32 v3, s11
	v_add_co_u32_e32 v4, vcc, s10, v4
	v_addc_co_u32_e32 v5, vcc, v3, v5, vcc
	global_store_dword v[4:5], v2, off
.LBB586_20:
	s_or_b64 exec, exec, s[8:9]
	;;#ASMSTART
	v_rcp_f32 v2, v2
	;;#ASMEND
	s_and_saveexec_b64 s[14:15], s[2:3]
	s_cbranch_execz .LBB586_22
; %bb.21:
	s_load_dwordx2 s[2:3], s[4:5], 0x0
	s_waitcnt lgkmcnt(0)
	s_mul_i32 s8, s24, s6
	s_mul_hi_i32 s9, s24, s6
	v_mov_b32_e32 v3, v2
	;;#ASMSTART
	v_pk_mul_f32 v[4:5], v[12:13], v[2:3]
	;;#ASMEND
	s_add_u32 s8, s2, s8
	s_addc_u32 s2, s3, s9
	s_add_i32 s3, s19, 3
	s_ashr_i32 s9, s3, 31
	v_mov_b32_e32 v12, 0xc3e00000
	v_mov_b32_e32 v13, 0x43e00000
	;;#ASMSTART
	v_med3_f32 v4, v4, v12, v13
v_med3_f32 v5, v5, v12, v13
v_cvt_pk_fp8_f32 v15, v4, v5
	;;#ASMEND
	s_lshr_b32 s9, s9, 30
	;;#ASMSTART
	v_pk_mul_f32 v[4:5], v[10:11], v[2:3]
	;;#ASMEND
	s_add_i32 s3, s3, s9
	s_and_b32 s9, s2, 0xffff
	;;#ASMSTART
	v_med3_f32 v4, v4, v12, v13
v_med3_f32 v5, v5, v12, v13
v_cvt_pk_fp8_f32 v10, v4, v5
	;;#ASMEND
	s_mov_b32 s2, 0x5040100
	v_perm_b32 v5, v10, v15, s2
	s_movk_i32 s2, 0xff
	v_and_b32_e32 v4, 0xffffff00, v10
	v_and_b32_sdwa v10, v5, s2 dst_sel:DWORD dst_unused:UNUSED_PAD src0_sel:WORD_1 src1_sel:DWORD
	s_mov_b32 s16, 0xffff
	v_or_b32_sdwa v4, v10, v4 dst_sel:WORD_1 dst_unused:UNUSED_PAD src0_sel:DWORD src1_sel:DWORD
	v_and_or_b32 v4, v5, s16, v4
	;;#ASMSTART
	v_pk_mul_f32 v[8:9], v[8:9], v[2:3]
	;;#ASMEND
	v_mov_b32_e32 v5, v9
	;;#ASMSTART
	v_med3_f32 v8, v8, v12, v13
v_med3_f32 v5, v5, v12, v13
v_cvt_pk_fp8_f32 v9, v8, v5
	;;#ASMEND
	;;#ASMSTART
	v_pk_mul_f32 v[2:3], v[6:7], v[2:3]
	;;#ASMEND
	;;#ASMSTART
	v_med3_f32 v2, v2, v12, v13
v_med3_f32 v3, v3, v12, v13
v_cvt_pk_fp8_f32 v5, v2, v3
	;;#ASMEND
	v_lshlrev_b32_e32 v2, 16, v5
	s_and_b32 s10, s3, -4
	s_mov_b32 s11, 0x20000
	v_and_or_b32 v5, v9, s16, v2
	buffer_store_dwordx2 v[4:5], v1, s[8:11], 0 offen
	;;#ASMSTART
	s_nop 0
	;;#ASMEND
.LBB586_22:
	s_or_b64 exec, exec, s[14:15]
	s_cmp_lt_i32 s20, 1
	s_cbranch_scc1 .LBB586_10
.LBB586_23:
	s_load_dword s2, s[4:5], 0x94
	s_waitcnt lgkmcnt(0)
	s_cmp_lg_u32 s2, 1
	s_cbranch_scc1 .LBB586_10
; %bb.24:
	s_lshl_b32 s2, s20, 1
	s_add_i32 s2, s2, 2
	v_cmp_gt_u32_e32 vcc, s20, v1
	s_and_b32 s14, s2, -4
	v_mov_b32_e32 v6, 0
	v_lshlrev_b32_e32 v1, 4, v0
	v_mov_b32_e32 v7, 0
	v_mov_b32_e32 v8, 0
	;; [unrolled: 1-line block ×3, first 2 shown]
	s_waitcnt vmcnt(0)
	v_mov_b32_e32 v2, 0
	v_mov_b32_e32 v3, 0
	;; [unrolled: 1-line block ×4, first 2 shown]
	s_barrier
	s_and_saveexec_b64 s[2:3], vcc
	s_cbranch_execz .LBB586_26
; %bb.25:
	s_mul_hi_i32 s5, s22, s6
	s_mul_i32 s4, s22, s6
	s_and_b32 s13, s13, 0xffff
	s_lshl_b64 s[4:5], s[4:5], 1
	s_add_u32 s8, s30, s4
	s_mov_b32 s15, 0x20000
	s_addc_u32 s4, s31, s5
	s_and_b32 s9, s4, 0xffff
	s_mov_b32 s10, s14
	s_mov_b32 s11, s15
	buffer_load_dwordx4 v[6:9], v1, s[8:11], 0 offen glc slc
	buffer_load_dwordx4 v[2:5], v1, s[12:15], 0 offen
.LBB586_26:
	s_or_b64 exec, exec, s[2:3]
	s_waitcnt vmcnt(1)
	v_cvt_f32_u32_sdwa v13, v6 dst_sel:DWORD dst_unused:UNUSED_PAD src0_sel:WORD_1
	v_cvt_f32_u32_sdwa v12, v6 dst_sel:DWORD dst_unused:UNUSED_PAD src0_sel:WORD_0
	v_cvt_f32_u32_sdwa v6, v9 dst_sel:DWORD dst_unused:UNUSED_PAD src0_sel:WORD_1
	v_cvt_f32_u32_sdwa v9, v9 dst_sel:DWORD dst_unused:UNUSED_PAD src0_sel:WORD_0
	;; [unrolled: 2-line block ×4, first 2 shown]
	v_cndmask_b32_e32 v13, 0, v13, vcc
	v_cndmask_b32_e32 v7, 0, v6, vcc
	;; [unrolled: 1-line block ×5, first 2 shown]
	v_mul_f32_e32 v15, v13, v13
	v_cndmask_b32_e32 v10, 0, v10, vcc
	v_fmac_f32_e32 v15, v12, v12
	v_cndmask_b32_e32 v11, 0, v11, vcc
	v_fmac_f32_e32 v15, v10, v10
	;; [unrolled: 2-line block ×3, first 2 shown]
	v_fmac_f32_e32 v15, v8, v8
	v_fmac_f32_e32 v15, v9, v9
	;; [unrolled: 1-line block ×4, first 2 shown]
	s_nop 1
	v_mov_b32_dpp v16, v15 quad_perm:[1,0,3,2] row_mask:0xf bank_mask:0xf
	v_add_f32_e32 v15, v15, v16
	s_nop 1
	v_mov_b32_dpp v16, v15 quad_perm:[2,3,0,1] row_mask:0xf bank_mask:0xf
	v_add_f32_e32 v15, v15, v16
	s_nop 1
	v_mov_b32_dpp v16, v15 row_half_mirror row_mask:0xf bank_mask:0xf
	v_add_f32_e32 v15, v15, v16
	s_nop 1
	v_mov_b32_dpp v16, v15 row_mirror row_mask:0xf bank_mask:0xf
	v_add_f32_e32 v15, v15, v16
	s_nop 1
	v_mov_b32_dpp v16, v15 row_bcast:15 row_mask:0xf bank_mask:0xf
	v_add_f32_e32 v15, v15, v16
	s_nop 1
	v_mov_b32_dpp v16, v15 row_bcast:31 row_mask:0xf bank_mask:0xf
	s_and_saveexec_b64 s[2:3], s[0:1]
	s_cbranch_execz .LBB586_28
; %bb.27:
	v_lshrrev_b32_e32 v0, 4, v0
	v_add_f32_e32 v15, v15, v16
	v_and_b32_e32 v0, 60, v0
	ds_write_b32 v0, v15
.LBB586_28:
	s_or_b64 exec, exec, s[2:3]
	s_waitcnt lgkmcnt(0)
	s_barrier
	ds_read_b32 v0, v14
	s_waitcnt lgkmcnt(0)
	s_nop 0
	v_mov_b32_dpp v14, v0 quad_perm:[1,0,3,2] row_mask:0xf bank_mask:0xf
	v_add_f32_e32 v0, v0, v14
	s_nop 1
	v_mov_b32_dpp v14, v0 quad_perm:[2,3,0,1] row_mask:0xf bank_mask:0xf
	s_and_saveexec_b64 s[0:1], vcc
	s_cbranch_execz .LBB586_10
; %bb.29:
	v_cvt_f32_u32_e32 v15, s20
	v_add_f32_e32 v0, v0, v14
	s_mov_b32 s15, 0x20000
	v_div_scale_f32 v14, s[0:1], v15, v15, v0
	v_rcp_f32_e32 v16, v14
	v_div_scale_f32 v17, vcc, v0, v15, v0
	s_mov_b32 s0, 0x800000
	v_fma_f32 v18, -v14, v16, 1.0
	v_fmac_f32_e32 v16, v18, v16
	v_mul_f32_e32 v18, v17, v16
	v_fma_f32 v19, -v14, v18, v17
	v_fmac_f32_e32 v18, v19, v16
	v_fma_f32 v14, -v14, v18, v17
	v_div_fmas_f32 v14, v14, v16, v18
	v_div_fixup_f32 v0, v14, v15, v0
	v_add_f32_e32 v0, s17, v0
	v_mul_f32_e32 v14, 0x4b800000, v0
	v_cmp_gt_f32_e32 vcc, s0, v0
	v_cndmask_b32_e32 v0, v0, v14, vcc
	v_rsq_f32_e32 v0, v0
	s_waitcnt vmcnt(0)
	v_cvt_f32_u32_sdwa v17, v2 dst_sel:DWORD dst_unused:UNUSED_PAD src0_sel:WORD_1
	v_cvt_f32_u32_sdwa v16, v2 dst_sel:DWORD dst_unused:UNUSED_PAD src0_sel:WORD_0
	v_cvt_f32_u32_sdwa v19, v3 dst_sel:DWORD dst_unused:UNUSED_PAD src0_sel:WORD_1
	v_mul_f32_e32 v14, 0x45800000, v0
	v_cndmask_b32_e32 v14, v0, v14, vcc
	v_mov_b32_e32 v15, v14
	;;#ASMSTART
	v_pk_mul_f32 v[12:13], v[12:13], v[14:15]
	;;#ASMEND
	;;#ASMSTART
	v_pk_mul_f32 v[10:11], v[10:11], v[14:15]
	;;#ASMEND
	;; [unrolled: 3-line block ×3, first 2 shown]
	v_cvt_f32_u32_sdwa v18, v3 dst_sel:DWORD dst_unused:UNUSED_PAD src0_sel:WORD_0
	;;#ASMSTART
	v_pk_mul_f32 v[2:3], v[6:7], v[14:15]
	;;#ASMEND
	v_cvt_f32_u32_sdwa v15, v4 dst_sel:DWORD dst_unused:UNUSED_PAD src0_sel:WORD_1
	v_cvt_f32_u32_sdwa v14, v4 dst_sel:DWORD dst_unused:UNUSED_PAD src0_sel:WORD_0
	v_pk_add_f32 v[6:7], v[16:17], 1.0 op_sel_hi:[1,0]
	v_cvt_f32_u32_sdwa v17, v5 dst_sel:DWORD dst_unused:UNUSED_PAD src0_sel:WORD_1
	v_cvt_f32_u32_sdwa v16, v5 dst_sel:DWORD dst_unused:UNUSED_PAD src0_sel:WORD_0
	s_mul_hi_i32 s1, s7, s6
	s_mul_i32 s0, s7, s6
	s_lshl_b64 s[0:1], s[0:1], 1
	s_add_u32 s12, s28, s0
	;;#ASMSTART
	v_pk_mul_f32 v[6:7], v[12:13], v[6:7]
	;;#ASMEND
	v_pk_add_f32 v[12:13], v[18:19], 1.0 op_sel_hi:[1,0]
	;;#ASMSTART
	v_pk_mul_f32 v[4:5], v[10:11], v[12:13]
	;;#ASMEND
	v_pk_add_f32 v[10:11], v[14:15], 1.0 op_sel_hi:[1,0]
	s_addc_u32 s0, s29, s1
	;;#ASMSTART
	v_pk_mul_f32 v[8:9], v[8:9], v[10:11]
	;;#ASMEND
	v_pk_add_f32 v[10:11], v[16:17], 1.0 op_sel_hi:[1,0]
	s_and_b32 s13, s0, 0xffff
	s_mov_b32 s0, 0x7060302
	;;#ASMSTART
	v_pk_mul_f32 v[10:11], v[2:3], v[10:11]
	;;#ASMEND
	v_perm_b32 v2, v7, v6, s0
	v_perm_b32 v3, v5, v4, s0
	;; [unrolled: 1-line block ×4, first 2 shown]
	buffer_store_dwordx4 v[2:5], v1, s[12:15], 0 offen
	;;#ASMSTART
	s_nop 0
	;;#ASMEND
	s_endpgm
	.section	.rodata,"a",@progbits
	.p2align	6, 0x0
	.amdhsa_kernel _ZN5aiter35fused_qk_rmsnorm_group_quant_kernelItDB8_Li256ELi8ELi4ELb0ELb1ELb1ELb0ELb0ELb0EEEvPT0_PvPT_S6_S6_PKS5_S8_S8_S8_S8_ffiiiiiiiiiiiii
		.amdhsa_group_segment_fixed_size 32
		.amdhsa_private_segment_fixed_size 0
		.amdhsa_kernarg_size 400
		.amdhsa_user_sgpr_count 6
		.amdhsa_user_sgpr_private_segment_buffer 1
		.amdhsa_user_sgpr_dispatch_ptr 0
		.amdhsa_user_sgpr_queue_ptr 0
		.amdhsa_user_sgpr_kernarg_segment_ptr 1
		.amdhsa_user_sgpr_dispatch_id 0
		.amdhsa_user_sgpr_flat_scratch_init 0
		.amdhsa_user_sgpr_kernarg_preload_length 0
		.amdhsa_user_sgpr_kernarg_preload_offset 0
		.amdhsa_user_sgpr_private_segment_size 0
		.amdhsa_uses_dynamic_stack 0
		.amdhsa_system_sgpr_private_segment_wavefront_offset 0
		.amdhsa_system_sgpr_workgroup_id_x 1
		.amdhsa_system_sgpr_workgroup_id_y 1
		.amdhsa_system_sgpr_workgroup_id_z 0
		.amdhsa_system_sgpr_workgroup_info 0
		.amdhsa_system_vgpr_workitem_id 0
		.amdhsa_next_free_vgpr 24
		.amdhsa_next_free_sgpr 36
		.amdhsa_accum_offset 24
		.amdhsa_reserve_vcc 1
		.amdhsa_reserve_flat_scratch 0
		.amdhsa_float_round_mode_32 0
		.amdhsa_float_round_mode_16_64 0
		.amdhsa_float_denorm_mode_32 3
		.amdhsa_float_denorm_mode_16_64 3
		.amdhsa_dx10_clamp 1
		.amdhsa_ieee_mode 1
		.amdhsa_fp16_overflow 0
		.amdhsa_tg_split 0
		.amdhsa_exception_fp_ieee_invalid_op 0
		.amdhsa_exception_fp_denorm_src 0
		.amdhsa_exception_fp_ieee_div_zero 0
		.amdhsa_exception_fp_ieee_overflow 0
		.amdhsa_exception_fp_ieee_underflow 0
		.amdhsa_exception_fp_ieee_inexact 0
		.amdhsa_exception_int_div_zero 0
	.end_amdhsa_kernel
	.section	.text._ZN5aiter35fused_qk_rmsnorm_group_quant_kernelItDB8_Li256ELi8ELi4ELb0ELb1ELb1ELb0ELb0ELb0EEEvPT0_PvPT_S6_S6_PKS5_S8_S8_S8_S8_ffiiiiiiiiiiiii,"axG",@progbits,_ZN5aiter35fused_qk_rmsnorm_group_quant_kernelItDB8_Li256ELi8ELi4ELb0ELb1ELb1ELb0ELb0ELb0EEEvPT0_PvPT_S6_S6_PKS5_S8_S8_S8_S8_ffiiiiiiiiiiiii,comdat
.Lfunc_end586:
	.size	_ZN5aiter35fused_qk_rmsnorm_group_quant_kernelItDB8_Li256ELi8ELi4ELb0ELb1ELb1ELb0ELb0ELb0EEEvPT0_PvPT_S6_S6_PKS5_S8_S8_S8_S8_ffiiiiiiiiiiiii, .Lfunc_end586-_ZN5aiter35fused_qk_rmsnorm_group_quant_kernelItDB8_Li256ELi8ELi4ELb0ELb1ELb1ELb0ELb0ELb0EEEvPT0_PvPT_S6_S6_PKS5_S8_S8_S8_S8_ffiiiiiiiiiiiii
                                        ; -- End function
	.section	.AMDGPU.csdata,"",@progbits
; Kernel info:
; codeLenInByte = 2672
; NumSgprs: 40
; NumVgprs: 24
; NumAgprs: 0
; TotalNumVgprs: 24
; ScratchSize: 0
; MemoryBound: 0
; FloatMode: 240
; IeeeMode: 1
; LDSByteSize: 32 bytes/workgroup (compile time only)
; SGPRBlocks: 4
; VGPRBlocks: 2
; NumSGPRsForWavesPerEU: 40
; NumVGPRsForWavesPerEU: 24
; AccumOffset: 24
; Occupancy: 8
; WaveLimiterHint : 0
; COMPUTE_PGM_RSRC2:SCRATCH_EN: 0
; COMPUTE_PGM_RSRC2:USER_SGPR: 6
; COMPUTE_PGM_RSRC2:TRAP_HANDLER: 0
; COMPUTE_PGM_RSRC2:TGID_X_EN: 1
; COMPUTE_PGM_RSRC2:TGID_Y_EN: 1
; COMPUTE_PGM_RSRC2:TGID_Z_EN: 0
; COMPUTE_PGM_RSRC2:TIDIG_COMP_CNT: 0
; COMPUTE_PGM_RSRC3_GFX90A:ACCUM_OFFSET: 5
; COMPUTE_PGM_RSRC3_GFX90A:TG_SPLIT: 0
	.section	.text._ZN5aiter35fused_qk_rmsnorm_group_quant_kernelIDF16_N4opus5fp4_tELi256ELi8ELi4ELb0ELb1ELb1ELb0ELb0ELb0EEEvPT0_PvPT_S7_S7_PKS6_S9_S9_S9_S9_ffiiiiiiiiiiiii,"axG",@progbits,_ZN5aiter35fused_qk_rmsnorm_group_quant_kernelIDF16_N4opus5fp4_tELi256ELi8ELi4ELb0ELb1ELb1ELb0ELb0ELb0EEEvPT0_PvPT_S7_S7_PKS6_S9_S9_S9_S9_ffiiiiiiiiiiiii,comdat
	.protected	_ZN5aiter35fused_qk_rmsnorm_group_quant_kernelIDF16_N4opus5fp4_tELi256ELi8ELi4ELb0ELb1ELb1ELb0ELb0ELb0EEEvPT0_PvPT_S7_S7_PKS6_S9_S9_S9_S9_ffiiiiiiiiiiiii ; -- Begin function _ZN5aiter35fused_qk_rmsnorm_group_quant_kernelIDF16_N4opus5fp4_tELi256ELi8ELi4ELb0ELb1ELb1ELb0ELb0ELb0EEEvPT0_PvPT_S7_S7_PKS6_S9_S9_S9_S9_ffiiiiiiiiiiiii
	.globl	_ZN5aiter35fused_qk_rmsnorm_group_quant_kernelIDF16_N4opus5fp4_tELi256ELi8ELi4ELb0ELb1ELb1ELb0ELb0ELb0EEEvPT0_PvPT_S7_S7_PKS6_S9_S9_S9_S9_ffiiiiiiiiiiiii
	.p2align	8
	.type	_ZN5aiter35fused_qk_rmsnorm_group_quant_kernelIDF16_N4opus5fp4_tELi256ELi8ELi4ELb0ELb1ELb1ELb0ELb0ELb0EEEvPT0_PvPT_S7_S7_PKS6_S9_S9_S9_S9_ffiiiiiiiiiiiii,@function
_ZN5aiter35fused_qk_rmsnorm_group_quant_kernelIDF16_N4opus5fp4_tELi256ELi8ELi4ELb0ELb1ELb1ELb0ELb0ELb0EEEvPT0_PvPT_S7_S7_PKS6_S9_S9_S9_S9_ffiiiiiiiiiiiii: ; @_ZN5aiter35fused_qk_rmsnorm_group_quant_kernelIDF16_N4opus5fp4_tELi256ELi8ELi4ELb0ELb1ELb1ELb0ELb0ELb0EEEvPT0_PvPT_S7_S7_PKS6_S9_S9_S9_S9_ffiiiiiiiiiiiii
; %bb.0:
	s_load_dwordx4 s[16:19], s[4:5], 0x50
	s_waitcnt lgkmcnt(0)
	s_cmp_ge_i32 s6, s18
	s_cbranch_scc1 .LBB587_12
; %bb.1:
	s_load_dwordx2 s[12:13], s[4:5], 0x48
	s_load_dwordx2 s[30:31], s[4:5], 0x30
	s_load_dwordx4 s[20:23], s[4:5], 0x60
	s_cmp_lg_u32 s7, 0
	s_cselect_b64 s[14:15], -1, 0
	s_cmp_eq_u32 s7, 0
	s_cselect_b64 vcc, -1, 0
	s_and_b64 s[0:1], vcc, exec
	s_waitcnt lgkmcnt(0)
	s_cselect_b32 s7, s19, s20
	s_add_i32 s0, s7, 1
	s_lshr_b32 s1, s0, 31
	s_add_i32 s0, s0, s1
	s_lshl_b32 s0, s0, 1
	v_lshlrev_b32_e32 v1, 3, v0
	s_and_b32 s10, s0, -4
	v_cmp_gt_i32_e64 s[2:3], s7, v1
	v_mov_b32_e32 v10, 0
	v_mov_b32_e32 v2, 0
	;; [unrolled: 1-line block ×9, first 2 shown]
	s_and_saveexec_b64 s[0:1], s[2:3]
	s_cbranch_execz .LBB587_3
; %bb.2:
	s_load_dwordx2 s[8:9], s[4:5], 0x28
	s_load_dwordx2 s[26:27], s[4:5], 0x40
	s_and_b64 s[24:25], vcc, exec
	s_cselect_b32 s11, s21, s22
	v_lshlrev_b32_e32 v11, 4, v0
	s_waitcnt lgkmcnt(0)
	s_cselect_b32 s18, s9, s31
	s_cselect_b32 s21, s8, s30
	s_mul_hi_i32 s9, s11, s6
	s_mul_i32 s8, s11, s6
	s_lshl_b64 s[8:9], s[8:9], 1
	s_add_u32 s24, s21, s8
	s_addc_u32 s18, s18, s9
	s_and_b64 s[8:9], vcc, exec
	s_mov_b32 s11, 0x20000
	s_cselect_b32 s8, s26, s12
	s_cselect_b32 s9, s27, s13
	s_and_b32 s25, s18, 0xffff
	s_mov_b32 s26, s10
	s_mov_b32 s27, s11
	s_and_b32 s9, s9, 0xffff
	buffer_load_dwordx4 v[6:9], v11, s[24:27], 0 offen glc slc
	buffer_load_dwordx4 v[2:5], v11, s[8:11], 0 offen
.LBB587_3:
	s_or_b64 exec, exec, s[0:1]
	v_mov_b32_e32 v11, 0
	v_mov_b32_e32 v16, 0
	;; [unrolled: 1-line block ×7, first 2 shown]
	s_and_saveexec_b64 s[0:1], s[2:3]
	s_cbranch_execz .LBB587_5
; %bb.4:
	s_waitcnt vmcnt(1)
	v_cvt_f32_f16_sdwa v11, v6 dst_sel:DWORD dst_unused:UNUSED_PAD src0_sel:WORD_1
	v_cvt_f32_f16_e32 v10, v6
	v_cvt_f32_f16_sdwa v17, v7 dst_sel:DWORD dst_unused:UNUSED_PAD src0_sel:WORD_1
	v_cvt_f32_f16_e32 v16, v7
	;; [unrolled: 2-line block ×4, first 2 shown]
.LBB587_5:
	s_or_b64 exec, exec, s[0:1]
	s_waitcnt vmcnt(1)
	v_mul_f32_e32 v6, v11, v11
	v_fmac_f32_e32 v6, v10, v10
	v_fmac_f32_e32 v6, v16, v16
	;; [unrolled: 1-line block ×7, first 2 shown]
	v_and_b32_e32 v8, 63, v0
	v_cmp_eq_u32_e64 s[0:1], 63, v8
	v_mov_b32_dpp v7, v6 quad_perm:[1,0,3,2] row_mask:0xf bank_mask:0xf
	v_add_f32_e32 v6, v6, v7
	s_nop 1
	v_mov_b32_dpp v7, v6 quad_perm:[2,3,0,1] row_mask:0xf bank_mask:0xf
	v_add_f32_e32 v6, v6, v7
	s_nop 1
	v_mov_b32_dpp v7, v6 row_half_mirror row_mask:0xf bank_mask:0xf
	v_add_f32_e32 v6, v6, v7
	s_nop 1
	v_mov_b32_dpp v7, v6 row_mirror row_mask:0xf bank_mask:0xf
	v_add_f32_e32 v6, v6, v7
	s_nop 1
	v_mov_b32_dpp v7, v6 row_bcast:15 row_mask:0xf bank_mask:0xf
	v_add_f32_e32 v6, v6, v7
	s_nop 1
	v_mov_b32_dpp v7, v6 row_bcast:31 row_mask:0xf bank_mask:0xf
	s_and_saveexec_b64 s[8:9], s[0:1]
	s_cbranch_execz .LBB587_7
; %bb.6:
	v_add_f32_e32 v6, v6, v7
	v_lshrrev_b32_e32 v7, 4, v0
	v_and_b32_e32 v7, 60, v7
	ds_write_b32 v7, v6 offset:16
.LBB587_7:
	s_or_b64 exec, exec, s[8:9]
	v_and_b32_e32 v6, 3, v0
	v_lshlrev_b32_e32 v18, 2, v6
	s_waitcnt lgkmcnt(0)
	s_barrier
	ds_read_b32 v7, v18 offset:16
	s_load_dwordx2 s[28:29], s[4:5], 0x18
	s_waitcnt lgkmcnt(0)
	v_mov_b32_dpp v8, v7 quad_perm:[1,0,3,2] row_mask:0xf bank_mask:0xf
	v_add_f32_e32 v7, v7, v8
	s_nop 1
	v_mov_b32_dpp v8, v7 quad_perm:[2,3,0,1] row_mask:0xf bank_mask:0xf
	s_and_saveexec_b64 s[8:9], s[2:3]
	s_cbranch_execz .LBB587_9
; %bb.8:
	v_cvt_f32_u32_e32 v9, s7
	v_add_f32_e32 v7, v7, v8
	v_mov_b32_e32 v20, s17
	v_mov_b32_e32 v21, s16
	v_div_scale_f32 v8, s[24:25], v9, v9, v7
	v_rcp_f32_e32 v19, v8
	v_cndmask_b32_e32 v20, v20, v21, vcc
	s_mov_b32 s7, 0x800000
	v_fma_f32 v21, -v8, v19, 1.0
	v_fmac_f32_e32 v19, v21, v19
	v_div_scale_f32 v21, vcc, v7, v9, v7
	v_mul_f32_e32 v22, v21, v19
	v_fma_f32 v23, -v8, v22, v21
	v_fmac_f32_e32 v22, v23, v19
	v_fma_f32 v8, -v8, v22, v21
	v_div_fmas_f32 v8, v8, v19, v22
	v_div_fixup_f32 v7, v8, v9, v7
	v_add_f32_e32 v7, v20, v7
	v_mul_f32_e32 v8, 0x4b800000, v7
	v_cmp_gt_f32_e32 vcc, s7, v7
	v_cndmask_b32_e32 v7, v7, v8, vcc
	v_rsq_f32_e32 v7, v7
	s_waitcnt vmcnt(0)
	v_cvt_f32_f16_sdwa v21, v2 dst_sel:DWORD dst_unused:UNUSED_PAD src0_sel:WORD_1
	v_cvt_f32_f16_e32 v20, v2
	v_cvt_f32_f16_sdwa v23, v3 dst_sel:DWORD dst_unused:UNUSED_PAD src0_sel:WORD_1
	v_mul_f32_e32 v8, 0x45800000, v7
	v_cndmask_b32_e32 v8, v7, v8, vcc
	v_mov_b32_e32 v9, v8
	;;#ASMSTART
	v_pk_mul_f32 v[10:11], v[10:11], v[8:9]
	;;#ASMEND
	;;#ASMSTART
	v_pk_mul_f32 v[16:17], v[16:17], v[8:9]
	;;#ASMEND
	;; [unrolled: 3-line block ×3, first 2 shown]
	v_cvt_f32_f16_e32 v22, v3
	;;#ASMSTART
	v_pk_mul_f32 v[2:3], v[12:13], v[8:9]
	;;#ASMEND
	v_cvt_f32_f16_sdwa v13, v4 dst_sel:DWORD dst_unused:UNUSED_PAD src0_sel:WORD_1
	v_cvt_f32_f16_e32 v12, v4
	v_pk_add_f32 v[8:9], v[20:21], 1.0 op_sel_hi:[1,0]
	v_cvt_f32_f16_sdwa v21, v5 dst_sel:DWORD dst_unused:UNUSED_PAD src0_sel:WORD_1
	v_cvt_f32_f16_e32 v20, v5
	v_pk_add_f32 v[4:5], v[12:13], 1.0 op_sel_hi:[1,0]
	;;#ASMSTART
	v_pk_mul_f32 v[10:11], v[10:11], v[8:9]
	;;#ASMEND
	v_pk_add_f32 v[8:9], v[22:23], 1.0 op_sel_hi:[1,0]
	;;#ASMSTART
	v_pk_mul_f32 v[16:17], v[16:17], v[8:9]
	;;#ASMEND
	;;#ASMSTART
	v_pk_mul_f32 v[14:15], v[14:15], v[4:5]
	;;#ASMEND
	v_pk_add_f32 v[4:5], v[20:21], 1.0 op_sel_hi:[1,0]
	;;#ASMSTART
	v_pk_mul_f32 v[12:13], v[2:3], v[4:5]
	;;#ASMEND
.LBB587_9:
	s_or_b64 exec, exec, s[8:9]
	s_load_dword s7, s[4:5], 0x80
	s_mov_b64 s[8:9], -1
	s_and_b64 vcc, exec, s[14:15]
	s_cbranch_vccnz .LBB587_13
; %bb.10:
	s_andn2_b64 vcc, exec, s[8:9]
	s_cbranch_vccz .LBB587_16
.LBB587_11:
	s_cmp_lt_i32 s20, 1
	s_cbranch_scc0 .LBB587_25
.LBB587_12:
	s_endpgm
.LBB587_13:
	s_and_saveexec_b64 s[14:15], s[2:3]
	s_cbranch_execz .LBB587_15
; %bb.14:
	s_waitcnt lgkmcnt(0)
	s_mul_hi_i32 s9, s7, s6
	s_mul_i32 s8, s7, s6
	s_waitcnt vmcnt(0)
	v_cvt_f16_f32_e32 v2, v10
	v_cvt_f16_f32_e32 v3, v16
	v_cvt_f16_f32_e32 v4, v14
	v_cvt_f16_f32_e32 v5, v12
	v_cvt_f16_f32_e32 v7, v13
	v_cvt_f16_f32_e32 v8, v15
	v_cvt_f16_f32_e32 v9, v17
	v_cvt_f16_f32_e32 v19, v11
	s_lshl_b64 s[8:9], s[8:9], 1
	s_add_u32 s8, s28, s8
	s_addc_u32 s9, s29, s9
	s_and_b32 s9, s9, 0xffff
	s_mov_b32 s11, 0x20000
	v_pack_b32_f16 v5, v5, v7
	v_pack_b32_f16 v4, v4, v8
	;; [unrolled: 1-line block ×4, first 2 shown]
	v_lshlrev_b32_e32 v7, 4, v0
	buffer_store_dwordx4 v[2:5], v7, s[8:11], 0 offen
	;;#ASMSTART
	s_nop 0
	;;#ASMEND
.LBB587_15:
	s_or_b64 exec, exec, s[14:15]
	s_cbranch_execnz .LBB587_11
.LBB587_16:
	s_load_dwordx4 s[24:27], s[4:5], 0x70
	s_waitcnt vmcnt(0)
	v_mov_b32_e32 v2, 0
	s_and_saveexec_b64 s[14:15], s[2:3]
	s_cbranch_execz .LBB587_18
; %bb.17:
	s_load_dwordx2 s[8:9], s[4:5], 0x10
	s_waitcnt lgkmcnt(0)
	s_mul_hi_i32 s35, s27, s6
	s_mul_i32 s34, s27, s6
	v_cvt_f16_f32_e32 v2, v10
	v_cvt_f16_f32_e32 v3, v16
	v_cvt_f16_f32_e32 v4, v14
	v_cvt_f16_f32_e32 v5, v12
	v_cvt_f16_f32_e32 v7, v13
	v_cvt_f16_f32_e32 v8, v15
	v_cvt_f16_f32_e32 v9, v17
	v_cvt_f16_f32_e32 v19, v11
	s_lshl_b64 s[34:35], s[34:35], 1
	s_add_u32 s8, s8, s34
	s_addc_u32 s9, s9, s35
	s_mov_b32 s11, 0x20000
	s_and_b32 s9, s9, 0xffff
	v_pack_b32_f16 v5, v5, v7
	v_pack_b32_f16 v4, v4, v8
	;; [unrolled: 1-line block ×4, first 2 shown]
	v_lshlrev_b32_e32 v7, 4, v0
	buffer_store_dwordx4 v[2:5], v7, s[8:11], 0 offen
	;;#ASMSTART
	s_nop 0
	;;#ASMEND
	s_nop 0
	v_mov_b32_e32 v2, 0x2edbe6ff
.LBB587_18:
	s_or_b64 exec, exec, s[14:15]
	s_and_saveexec_b64 s[8:9], s[2:3]
	s_cbranch_execz .LBB587_20
; %bb.19:
	v_and_b32_e32 v3, 0x7fffffff, v10
	v_and_b32_e32 v4, 0x7fffffff, v11
	;;#ASMSTART
	v_max3_f32 v2, v2, v3, v4

	;;#ASMEND
	v_and_b32_e32 v3, 0x7fffffff, v16
	v_and_b32_e32 v4, 0x7fffffff, v17
	;;#ASMSTART
	v_max3_f32 v2, v2, v3, v4

	;;#ASMEND
	;; [unrolled: 6-line block ×4, first 2 shown]
.LBB587_20:
	s_or_b64 exec, exec, s[8:9]
	v_cmp_eq_u32_e32 vcc, 0, v6
	v_cmp_gt_i32_e64 s[8:9], s19, v1
	s_and_b64 s[10:11], vcc, s[8:9]
	;;#ASMSTART
	v_max_f32 v3, v2, v2 quad_perm:[1,0,3,2] row_mask:0xf bank_mask:0xf bound_ctrl:1
	;;#ASMEND
	;;#ASMSTART
	v_max_f32 v2, v3, v3 quad_perm:[2,3,0,1] row_mask:0xf bank_mask:0xf bound_ctrl:1
	;;#ASMEND
	s_and_saveexec_b64 s[8:9], s[10:11]
	s_cbranch_execz .LBB587_22
; %bb.21:
	s_load_dwordx2 s[10:11], s[4:5], 0x8
	v_mul_f32_e32 v2, 0x3e2aaaab, v2
	v_lshrrev_b32_e32 v3, 23, v2
	v_and_b32_e32 v4, 0x7f800000, v2
	v_and_b32_e32 v2, 0x7fffff, v2
	v_cmp_ne_u32_e32 vcc, 0, v2
	s_waitcnt lgkmcnt(0)
	s_mul_i32 s16, s25, s6
	s_mov_b32 s14, 0x7f800000
	v_addc_co_u32_e32 v2, vcc, 0, v3, vcc
	s_mul_hi_i32 s15, s25, s6
	s_add_u32 s10, s10, s16
	v_cmp_ne_u32_e32 vcc, s14, v4
	s_addc_u32 s11, s11, s15
	v_lshrrev_b32_e32 v5, 2, v0
	v_cndmask_b32_e32 v4, -1, v2, vcc
	v_pk_mov_b32 v[2:3], s[10:11], s[10:11] op_sel:[0,1]
	v_mad_i64_i32 v[2:3], s[10:11], s26, v5, v[2:3]
	global_store_byte v[2:3], v4, off
.LBB587_22:
	s_or_b64 exec, exec, s[8:9]
	s_and_saveexec_b64 s[8:9], s[2:3]
	s_cbranch_execz .LBB587_24
; %bb.23:
	s_load_dwordx2 s[2:3], s[4:5], 0x0
	s_waitcnt lgkmcnt(0)
	s_mul_i32 s11, s24, s6
	s_mul_hi_i32 s10, s24, s6
	v_lshlrev_b32_e32 v2, 2, v0
	s_mov_b32 s27, 0x20000
	s_add_u32 s24, s2, s11
	s_addc_u32 s2, s3, s10
	s_lshr_b32 s3, s19, 31
	s_add_i32 s3, s19, s3
	s_ashr_i32 s3, s3, 1
	s_add_i32 s3, s3, 3
	s_ashr_i32 s10, s3, 31
	s_lshr_b32 s10, s10, 30
	s_add_i32 s3, s3, s10
	s_and_b32 s26, s3, -4
	s_and_b32 s25, s2, 0xffff
	v_mov_b32_e32 v3, 0
	buffer_store_dword v3, v2, s[24:27], 0 offen
	;;#ASMSTART
	s_nop 0
	;;#ASMEND
.LBB587_24:
	s_or_b64 exec, exec, s[8:9]
	s_cmp_lt_i32 s20, 1
	s_cbranch_scc1 .LBB587_12
.LBB587_25:
	s_load_dword s2, s[4:5], 0x94
	s_waitcnt lgkmcnt(0)
	s_cmp_lg_u32 s2, 1
	s_cbranch_scc1 .LBB587_12
; %bb.26:
	s_lshl_b32 s2, s20, 1
	s_add_i32 s2, s2, 2
	v_cmp_gt_u32_e32 vcc, s20, v1
	s_and_b32 s14, s2, -4
	v_mov_b32_e32 v10, 0
	v_lshlrev_b32_e32 v1, 4, v0
	v_mov_b32_e32 v6, 0
	v_mov_b32_e32 v7, 0
	;; [unrolled: 1-line block ×4, first 2 shown]
	s_waitcnt vmcnt(0)
	v_mov_b32_e32 v2, 0
	v_mov_b32_e32 v3, 0
	;; [unrolled: 1-line block ×4, first 2 shown]
	s_barrier
	s_and_saveexec_b64 s[2:3], vcc
	s_cbranch_execz .LBB587_28
; %bb.27:
	s_mul_hi_i32 s5, s22, s6
	s_mul_i32 s4, s22, s6
	s_and_b32 s13, s13, 0xffff
	s_lshl_b64 s[4:5], s[4:5], 1
	s_add_u32 s8, s30, s4
	s_mov_b32 s15, 0x20000
	s_addc_u32 s4, s31, s5
	s_and_b32 s9, s4, 0xffff
	s_mov_b32 s10, s14
	s_mov_b32 s11, s15
	buffer_load_dwordx4 v[6:9], v1, s[8:11], 0 offen glc slc
	buffer_load_dwordx4 v[2:5], v1, s[12:15], 0 offen
.LBB587_28:
	s_or_b64 exec, exec, s[2:3]
	v_mov_b32_e32 v11, 0
	v_mov_b32_e32 v16, 0
	;; [unrolled: 1-line block ×7, first 2 shown]
	s_and_saveexec_b64 s[2:3], vcc
	s_cbranch_execz .LBB587_30
; %bb.29:
	s_waitcnt vmcnt(1)
	v_cvt_f32_f16_sdwa v11, v6 dst_sel:DWORD dst_unused:UNUSED_PAD src0_sel:WORD_1
	v_cvt_f32_f16_e32 v10, v6
	v_cvt_f32_f16_sdwa v17, v7 dst_sel:DWORD dst_unused:UNUSED_PAD src0_sel:WORD_1
	v_cvt_f32_f16_e32 v16, v7
	;; [unrolled: 2-line block ×4, first 2 shown]
.LBB587_30:
	s_or_b64 exec, exec, s[2:3]
	s_waitcnt vmcnt(1)
	v_mul_f32_e32 v6, v11, v11
	v_fmac_f32_e32 v6, v10, v10
	v_fmac_f32_e32 v6, v16, v16
	;; [unrolled: 1-line block ×7, first 2 shown]
	s_nop 1
	v_mov_b32_dpp v7, v6 quad_perm:[1,0,3,2] row_mask:0xf bank_mask:0xf
	v_add_f32_e32 v6, v6, v7
	s_nop 1
	v_mov_b32_dpp v7, v6 quad_perm:[2,3,0,1] row_mask:0xf bank_mask:0xf
	v_add_f32_e32 v6, v6, v7
	s_nop 1
	v_mov_b32_dpp v7, v6 row_half_mirror row_mask:0xf bank_mask:0xf
	v_add_f32_e32 v6, v6, v7
	s_nop 1
	v_mov_b32_dpp v7, v6 row_mirror row_mask:0xf bank_mask:0xf
	v_add_f32_e32 v6, v6, v7
	s_nop 1
	v_mov_b32_dpp v7, v6 row_bcast:15 row_mask:0xf bank_mask:0xf
	v_add_f32_e32 v6, v6, v7
	s_nop 1
	v_mov_b32_dpp v7, v6 row_bcast:31 row_mask:0xf bank_mask:0xf
	s_and_saveexec_b64 s[2:3], s[0:1]
	s_cbranch_execz .LBB587_32
; %bb.31:
	v_lshrrev_b32_e32 v0, 4, v0
	v_add_f32_e32 v6, v6, v7
	v_and_b32_e32 v0, 60, v0
	ds_write_b32 v0, v6
.LBB587_32:
	s_or_b64 exec, exec, s[2:3]
	s_waitcnt lgkmcnt(0)
	s_barrier
	ds_read_b32 v0, v18
	s_waitcnt lgkmcnt(0)
	s_nop 0
	v_mov_b32_dpp v6, v0 quad_perm:[1,0,3,2] row_mask:0xf bank_mask:0xf
	v_add_f32_e32 v0, v0, v6
	s_nop 1
	v_mov_b32_dpp v6, v0 quad_perm:[2,3,0,1] row_mask:0xf bank_mask:0xf
	s_and_saveexec_b64 s[0:1], vcc
	s_cbranch_execz .LBB587_12
; %bb.33:
	v_cvt_f32_u32_e32 v7, s20
	v_add_f32_e32 v0, v0, v6
	s_mov_b32 s15, 0x20000
	v_div_scale_f32 v6, s[0:1], v7, v7, v0
	v_rcp_f32_e32 v8, v6
	v_div_scale_f32 v9, vcc, v0, v7, v0
	s_mov_b32 s0, 0x800000
	v_fma_f32 v18, -v6, v8, 1.0
	v_fmac_f32_e32 v8, v18, v8
	v_mul_f32_e32 v18, v9, v8
	v_fma_f32 v19, -v6, v18, v9
	v_fmac_f32_e32 v18, v19, v8
	v_fma_f32 v6, -v6, v18, v9
	v_div_fmas_f32 v6, v6, v8, v18
	v_div_fixup_f32 v0, v6, v7, v0
	v_add_f32_e32 v0, s17, v0
	v_mul_f32_e32 v6, 0x4b800000, v0
	v_cmp_gt_f32_e32 vcc, s0, v0
	v_cndmask_b32_e32 v0, v0, v6, vcc
	v_rsq_f32_e32 v0, v0
	s_waitcnt vmcnt(0)
	v_cvt_f32_f16_sdwa v19, v3 dst_sel:DWORD dst_unused:UNUSED_PAD src0_sel:WORD_1
	v_cvt_f32_f16_e32 v18, v3
	s_mul_hi_i32 s1, s7, s6
	v_mul_f32_e32 v6, 0x45800000, v0
	v_cndmask_b32_e32 v6, v0, v6, vcc
	v_mov_b32_e32 v7, v6
	;;#ASMSTART
	v_pk_mul_f32 v[8:9], v[10:11], v[6:7]
	;;#ASMEND
	;;#ASMSTART
	v_pk_mul_f32 v[10:11], v[16:17], v[6:7]
	;;#ASMEND
	v_cvt_f32_f16_sdwa v17, v2 dst_sel:DWORD dst_unused:UNUSED_PAD src0_sel:WORD_1
	v_cvt_f32_f16_e32 v16, v2
	;;#ASMSTART
	v_pk_mul_f32 v[14:15], v[14:15], v[6:7]
	;;#ASMEND
	;;#ASMSTART
	v_pk_mul_f32 v[2:3], v[12:13], v[6:7]
	;;#ASMEND
	v_cvt_f32_f16_sdwa v13, v4 dst_sel:DWORD dst_unused:UNUSED_PAD src0_sel:WORD_1
	v_cvt_f32_f16_e32 v12, v4
	v_pk_add_f32 v[6:7], v[16:17], 1.0 op_sel_hi:[1,0]
	v_cvt_f32_f16_sdwa v17, v5 dst_sel:DWORD dst_unused:UNUSED_PAD src0_sel:WORD_1
	v_cvt_f32_f16_e32 v16, v5
	;;#ASMSTART
	v_pk_mul_f32 v[6:7], v[8:9], v[6:7]
	;;#ASMEND
	v_pk_add_f32 v[8:9], v[18:19], 1.0 op_sel_hi:[1,0]
	;;#ASMSTART
	v_pk_mul_f32 v[4:5], v[10:11], v[8:9]
	;;#ASMEND
	v_pk_add_f32 v[8:9], v[12:13], 1.0 op_sel_hi:[1,0]
	;; [unrolled: 4-line block ×3, first 2 shown]
	;;#ASMSTART
	v_pk_mul_f32 v[2:3], v[2:3], v[10:11]
	;;#ASMEND
	s_mul_i32 s0, s7, s6
	v_cvt_f16_f32_e32 v0, v6
	v_cvt_f16_f32_e32 v6, v7
	;; [unrolled: 1-line block ×8, first 2 shown]
	s_lshl_b64 s[0:1], s[0:1], 1
	s_add_u32 s12, s28, s0
	s_addc_u32 s0, s29, s1
	s_and_b32 s13, s0, 0xffff
	v_pack_b32_f16 v2, v0, v6
	v_pack_b32_f16 v3, v4, v5
	;; [unrolled: 1-line block ×4, first 2 shown]
	buffer_store_dwordx4 v[2:5], v1, s[12:15], 0 offen
	;;#ASMSTART
	s_nop 0
	;;#ASMEND
	s_endpgm
	.section	.rodata,"a",@progbits
	.p2align	6, 0x0
	.amdhsa_kernel _ZN5aiter35fused_qk_rmsnorm_group_quant_kernelIDF16_N4opus5fp4_tELi256ELi8ELi4ELb0ELb1ELb1ELb0ELb0ELb0EEEvPT0_PvPT_S7_S7_PKS6_S9_S9_S9_S9_ffiiiiiiiiiiiii
		.amdhsa_group_segment_fixed_size 32
		.amdhsa_private_segment_fixed_size 0
		.amdhsa_kernarg_size 400
		.amdhsa_user_sgpr_count 6
		.amdhsa_user_sgpr_private_segment_buffer 1
		.amdhsa_user_sgpr_dispatch_ptr 0
		.amdhsa_user_sgpr_queue_ptr 0
		.amdhsa_user_sgpr_kernarg_segment_ptr 1
		.amdhsa_user_sgpr_dispatch_id 0
		.amdhsa_user_sgpr_flat_scratch_init 0
		.amdhsa_user_sgpr_kernarg_preload_length 0
		.amdhsa_user_sgpr_kernarg_preload_offset 0
		.amdhsa_user_sgpr_private_segment_size 0
		.amdhsa_uses_dynamic_stack 0
		.amdhsa_system_sgpr_private_segment_wavefront_offset 0
		.amdhsa_system_sgpr_workgroup_id_x 1
		.amdhsa_system_sgpr_workgroup_id_y 1
		.amdhsa_system_sgpr_workgroup_id_z 0
		.amdhsa_system_sgpr_workgroup_info 0
		.amdhsa_system_vgpr_workitem_id 0
		.amdhsa_next_free_vgpr 24
		.amdhsa_next_free_sgpr 36
		.amdhsa_accum_offset 24
		.amdhsa_reserve_vcc 1
		.amdhsa_reserve_flat_scratch 0
		.amdhsa_float_round_mode_32 0
		.amdhsa_float_round_mode_16_64 0
		.amdhsa_float_denorm_mode_32 3
		.amdhsa_float_denorm_mode_16_64 3
		.amdhsa_dx10_clamp 1
		.amdhsa_ieee_mode 1
		.amdhsa_fp16_overflow 0
		.amdhsa_tg_split 0
		.amdhsa_exception_fp_ieee_invalid_op 0
		.amdhsa_exception_fp_denorm_src 0
		.amdhsa_exception_fp_ieee_div_zero 0
		.amdhsa_exception_fp_ieee_overflow 0
		.amdhsa_exception_fp_ieee_underflow 0
		.amdhsa_exception_fp_ieee_inexact 0
		.amdhsa_exception_int_div_zero 0
	.end_amdhsa_kernel
	.section	.text._ZN5aiter35fused_qk_rmsnorm_group_quant_kernelIDF16_N4opus5fp4_tELi256ELi8ELi4ELb0ELb1ELb1ELb0ELb0ELb0EEEvPT0_PvPT_S7_S7_PKS6_S9_S9_S9_S9_ffiiiiiiiiiiiii,"axG",@progbits,_ZN5aiter35fused_qk_rmsnorm_group_quant_kernelIDF16_N4opus5fp4_tELi256ELi8ELi4ELb0ELb1ELb1ELb0ELb0ELb0EEEvPT0_PvPT_S7_S7_PKS6_S9_S9_S9_S9_ffiiiiiiiiiiiii,comdat
.Lfunc_end587:
	.size	_ZN5aiter35fused_qk_rmsnorm_group_quant_kernelIDF16_N4opus5fp4_tELi256ELi8ELi4ELb0ELb1ELb1ELb0ELb0ELb0EEEvPT0_PvPT_S7_S7_PKS6_S9_S9_S9_S9_ffiiiiiiiiiiiii, .Lfunc_end587-_ZN5aiter35fused_qk_rmsnorm_group_quant_kernelIDF16_N4opus5fp4_tELi256ELi8ELi4ELb0ELb1ELb1ELb0ELb0ELb0EEEvPT0_PvPT_S7_S7_PKS6_S9_S9_S9_S9_ffiiiiiiiiiiiii
                                        ; -- End function
	.section	.AMDGPU.csdata,"",@progbits
; Kernel info:
; codeLenInByte = 2496
; NumSgprs: 40
; NumVgprs: 24
; NumAgprs: 0
; TotalNumVgprs: 24
; ScratchSize: 0
; MemoryBound: 0
; FloatMode: 240
; IeeeMode: 1
; LDSByteSize: 32 bytes/workgroup (compile time only)
; SGPRBlocks: 4
; VGPRBlocks: 2
; NumSGPRsForWavesPerEU: 40
; NumVGPRsForWavesPerEU: 24
; AccumOffset: 24
; Occupancy: 8
; WaveLimiterHint : 0
; COMPUTE_PGM_RSRC2:SCRATCH_EN: 0
; COMPUTE_PGM_RSRC2:USER_SGPR: 6
; COMPUTE_PGM_RSRC2:TRAP_HANDLER: 0
; COMPUTE_PGM_RSRC2:TGID_X_EN: 1
; COMPUTE_PGM_RSRC2:TGID_Y_EN: 1
; COMPUTE_PGM_RSRC2:TGID_Z_EN: 0
; COMPUTE_PGM_RSRC2:TIDIG_COMP_CNT: 0
; COMPUTE_PGM_RSRC3_GFX90A:ACCUM_OFFSET: 5
; COMPUTE_PGM_RSRC3_GFX90A:TG_SPLIT: 0
	.section	.text._ZN5aiter35fused_qk_rmsnorm_group_quant_kernelItN4opus5fp4_tELi256ELi8ELi4ELb0ELb1ELb1ELb0ELb0ELb0EEEvPT0_PvPT_S7_S7_PKS6_S9_S9_S9_S9_ffiiiiiiiiiiiii,"axG",@progbits,_ZN5aiter35fused_qk_rmsnorm_group_quant_kernelItN4opus5fp4_tELi256ELi8ELi4ELb0ELb1ELb1ELb0ELb0ELb0EEEvPT0_PvPT_S7_S7_PKS6_S9_S9_S9_S9_ffiiiiiiiiiiiii,comdat
	.protected	_ZN5aiter35fused_qk_rmsnorm_group_quant_kernelItN4opus5fp4_tELi256ELi8ELi4ELb0ELb1ELb1ELb0ELb0ELb0EEEvPT0_PvPT_S7_S7_PKS6_S9_S9_S9_S9_ffiiiiiiiiiiiii ; -- Begin function _ZN5aiter35fused_qk_rmsnorm_group_quant_kernelItN4opus5fp4_tELi256ELi8ELi4ELb0ELb1ELb1ELb0ELb0ELb0EEEvPT0_PvPT_S7_S7_PKS6_S9_S9_S9_S9_ffiiiiiiiiiiiii
	.globl	_ZN5aiter35fused_qk_rmsnorm_group_quant_kernelItN4opus5fp4_tELi256ELi8ELi4ELb0ELb1ELb1ELb0ELb0ELb0EEEvPT0_PvPT_S7_S7_PKS6_S9_S9_S9_S9_ffiiiiiiiiiiiii
	.p2align	8
	.type	_ZN5aiter35fused_qk_rmsnorm_group_quant_kernelItN4opus5fp4_tELi256ELi8ELi4ELb0ELb1ELb1ELb0ELb0ELb0EEEvPT0_PvPT_S7_S7_PKS6_S9_S9_S9_S9_ffiiiiiiiiiiiii,@function
_ZN5aiter35fused_qk_rmsnorm_group_quant_kernelItN4opus5fp4_tELi256ELi8ELi4ELb0ELb1ELb1ELb0ELb0ELb0EEEvPT0_PvPT_S7_S7_PKS6_S9_S9_S9_S9_ffiiiiiiiiiiiii: ; @_ZN5aiter35fused_qk_rmsnorm_group_quant_kernelItN4opus5fp4_tELi256ELi8ELi4ELb0ELb1ELb1ELb0ELb0ELb0EEEvPT0_PvPT_S7_S7_PKS6_S9_S9_S9_S9_ffiiiiiiiiiiiii
; %bb.0:
	s_load_dwordx4 s[16:19], s[4:5], 0x50
	s_waitcnt lgkmcnt(0)
	s_cmp_ge_i32 s6, s18
	s_cbranch_scc1 .LBB588_10
; %bb.1:
	s_load_dwordx2 s[12:13], s[4:5], 0x48
	s_load_dwordx2 s[30:31], s[4:5], 0x30
	s_load_dwordx4 s[20:23], s[4:5], 0x60
	s_cmp_lg_u32 s7, 0
	s_cselect_b64 s[14:15], -1, 0
	s_cmp_eq_u32 s7, 0
	s_cselect_b64 vcc, -1, 0
	s_and_b64 s[0:1], vcc, exec
	s_waitcnt lgkmcnt(0)
	s_cselect_b32 s7, s19, s20
	s_add_i32 s0, s7, 1
	s_lshr_b32 s1, s0, 31
	s_add_i32 s0, s0, s1
	s_lshl_b32 s0, s0, 1
	v_lshlrev_b32_e32 v1, 3, v0
	s_and_b32 s10, s0, -4
	v_cmp_gt_i32_e64 s[2:3], s7, v1
	v_mov_b32_e32 v2, 0
	v_mov_b32_e32 v3, 0
	;; [unrolled: 1-line block ×8, first 2 shown]
	s_and_saveexec_b64 s[0:1], s[2:3]
	s_cbranch_execz .LBB588_3
; %bb.2:
	s_load_dwordx2 s[8:9], s[4:5], 0x28
	s_load_dwordx2 s[26:27], s[4:5], 0x40
	s_and_b64 s[24:25], vcc, exec
	s_cselect_b32 s11, s21, s22
	v_lshlrev_b32_e32 v10, 4, v0
	s_waitcnt lgkmcnt(0)
	s_cselect_b32 s18, s9, s31
	s_cselect_b32 s21, s8, s30
	s_mul_hi_i32 s9, s11, s6
	s_mul_i32 s8, s11, s6
	s_lshl_b64 s[8:9], s[8:9], 1
	s_add_u32 s24, s21, s8
	s_addc_u32 s18, s18, s9
	s_and_b64 s[8:9], vcc, exec
	s_mov_b32 s11, 0x20000
	s_cselect_b32 s8, s26, s12
	s_cselect_b32 s9, s27, s13
	s_and_b32 s25, s18, 0xffff
	s_mov_b32 s26, s10
	s_mov_b32 s27, s11
	s_and_b32 s9, s9, 0xffff
	buffer_load_dwordx4 v[6:9], v10, s[24:27], 0 offen glc slc
	buffer_load_dwordx4 v[2:5], v10, s[8:11], 0 offen
.LBB588_3:
	s_or_b64 exec, exec, s[0:1]
	s_waitcnt vmcnt(1)
	v_cvt_f32_u32_sdwa v11, v6 dst_sel:DWORD dst_unused:UNUSED_PAD src0_sel:WORD_1
	v_cvt_f32_u32_sdwa v10, v6 dst_sel:DWORD dst_unused:UNUSED_PAD src0_sel:WORD_0
	v_cvt_f32_u32_sdwa v6, v9 dst_sel:DWORD dst_unused:UNUSED_PAD src0_sel:WORD_1
	v_cvt_f32_u32_sdwa v9, v9 dst_sel:DWORD dst_unused:UNUSED_PAD src0_sel:WORD_0
	v_cvt_f32_u32_sdwa v14, v8 dst_sel:DWORD dst_unused:UNUSED_PAD src0_sel:WORD_1
	v_cvt_f32_u32_sdwa v12, v7 dst_sel:DWORD dst_unused:UNUSED_PAD src0_sel:WORD_0
	v_cvt_f32_u32_sdwa v13, v7 dst_sel:DWORD dst_unused:UNUSED_PAD src0_sel:WORD_1
	v_cvt_f32_u32_sdwa v8, v8 dst_sel:DWORD dst_unused:UNUSED_PAD src0_sel:WORD_0
	v_cndmask_b32_e64 v11, 0, v11, s[2:3]
	v_cndmask_b32_e64 v7, 0, v6, s[2:3]
	;; [unrolled: 1-line block ×5, first 2 shown]
	v_mul_f32_e32 v14, v11, v11
	v_cndmask_b32_e64 v12, 0, v12, s[2:3]
	v_fmac_f32_e32 v14, v10, v10
	v_cndmask_b32_e64 v13, 0, v13, s[2:3]
	v_fmac_f32_e32 v14, v12, v12
	;; [unrolled: 2-line block ×3, first 2 shown]
	v_fmac_f32_e32 v14, v8, v8
	v_fmac_f32_e32 v14, v9, v9
	;; [unrolled: 1-line block ×4, first 2 shown]
	v_and_b32_e32 v16, 63, v0
	v_cmp_eq_u32_e64 s[0:1], 63, v16
	v_mov_b32_dpp v15, v14 quad_perm:[1,0,3,2] row_mask:0xf bank_mask:0xf
	v_add_f32_e32 v14, v14, v15
	s_nop 1
	v_mov_b32_dpp v15, v14 quad_perm:[2,3,0,1] row_mask:0xf bank_mask:0xf
	v_add_f32_e32 v14, v14, v15
	s_nop 1
	v_mov_b32_dpp v15, v14 row_half_mirror row_mask:0xf bank_mask:0xf
	v_add_f32_e32 v14, v14, v15
	s_nop 1
	v_mov_b32_dpp v15, v14 row_mirror row_mask:0xf bank_mask:0xf
	v_add_f32_e32 v14, v14, v15
	s_nop 1
	v_mov_b32_dpp v15, v14 row_bcast:15 row_mask:0xf bank_mask:0xf
	v_add_f32_e32 v14, v14, v15
	s_nop 1
	v_mov_b32_dpp v15, v14 row_bcast:31 row_mask:0xf bank_mask:0xf
	s_and_saveexec_b64 s[8:9], s[0:1]
	s_cbranch_execz .LBB588_5
; %bb.4:
	v_add_f32_e32 v14, v14, v15
	v_lshrrev_b32_e32 v15, 4, v0
	v_and_b32_e32 v15, 60, v15
	ds_write_b32 v15, v14 offset:16
.LBB588_5:
	s_or_b64 exec, exec, s[8:9]
	v_and_b32_e32 v15, 3, v0
	v_lshlrev_b32_e32 v14, 2, v15
	s_waitcnt lgkmcnt(0)
	s_barrier
	ds_read_b32 v16, v14 offset:16
	s_load_dwordx2 s[28:29], s[4:5], 0x18
	s_waitcnt lgkmcnt(0)
	v_mov_b32_dpp v17, v16 quad_perm:[1,0,3,2] row_mask:0xf bank_mask:0xf
	v_add_f32_e32 v16, v16, v17
	s_nop 1
	v_mov_b32_dpp v17, v16 quad_perm:[2,3,0,1] row_mask:0xf bank_mask:0xf
	s_and_saveexec_b64 s[8:9], s[2:3]
	s_cbranch_execz .LBB588_7
; %bb.6:
	v_cvt_f32_u32_e32 v18, s7
	v_add_f32_e32 v16, v16, v17
	v_mov_b32_e32 v20, s17
	v_mov_b32_e32 v21, s16
	v_div_scale_f32 v17, s[24:25], v18, v18, v16
	v_rcp_f32_e32 v19, v17
	v_cndmask_b32_e32 v20, v20, v21, vcc
	s_mov_b32 s7, 0x800000
	v_fma_f32 v21, -v17, v19, 1.0
	v_fmac_f32_e32 v19, v21, v19
	v_div_scale_f32 v21, vcc, v16, v18, v16
	v_mul_f32_e32 v22, v21, v19
	v_fma_f32 v23, -v17, v22, v21
	v_fmac_f32_e32 v22, v23, v19
	v_fma_f32 v17, -v17, v22, v21
	v_div_fmas_f32 v17, v17, v19, v22
	v_div_fixup_f32 v16, v17, v18, v16
	v_add_f32_e32 v16, v20, v16
	v_mul_f32_e32 v17, 0x4b800000, v16
	v_cmp_gt_f32_e32 vcc, s7, v16
	v_cndmask_b32_e32 v16, v16, v17, vcc
	v_rsq_f32_e32 v16, v16
	s_waitcnt vmcnt(0)
	v_cvt_f32_u32_sdwa v19, v2 dst_sel:DWORD dst_unused:UNUSED_PAD src0_sel:WORD_1
	v_cvt_f32_u32_sdwa v18, v2 dst_sel:DWORD dst_unused:UNUSED_PAD src0_sel:WORD_0
	v_cvt_f32_u32_sdwa v21, v3 dst_sel:DWORD dst_unused:UNUSED_PAD src0_sel:WORD_1
	v_mul_f32_e32 v17, 0x45800000, v16
	v_cndmask_b32_e32 v16, v16, v17, vcc
	v_mov_b32_e32 v17, v16
	;;#ASMSTART
	v_pk_mul_f32 v[10:11], v[10:11], v[16:17]
	;;#ASMEND
	;;#ASMSTART
	v_pk_mul_f32 v[12:13], v[12:13], v[16:17]
	;;#ASMEND
	;; [unrolled: 3-line block ×3, first 2 shown]
	v_cvt_f32_u32_sdwa v20, v3 dst_sel:DWORD dst_unused:UNUSED_PAD src0_sel:WORD_0
	;;#ASMSTART
	v_pk_mul_f32 v[2:3], v[6:7], v[16:17]
	;;#ASMEND
	v_cvt_f32_u32_sdwa v17, v4 dst_sel:DWORD dst_unused:UNUSED_PAD src0_sel:WORD_1
	v_cvt_f32_u32_sdwa v16, v4 dst_sel:DWORD dst_unused:UNUSED_PAD src0_sel:WORD_0
	v_pk_add_f32 v[6:7], v[18:19], 1.0 op_sel_hi:[1,0]
	v_cvt_f32_u32_sdwa v19, v5 dst_sel:DWORD dst_unused:UNUSED_PAD src0_sel:WORD_1
	v_cvt_f32_u32_sdwa v18, v5 dst_sel:DWORD dst_unused:UNUSED_PAD src0_sel:WORD_0
	;;#ASMSTART
	v_pk_mul_f32 v[10:11], v[10:11], v[6:7]
	;;#ASMEND
	v_pk_add_f32 v[6:7], v[20:21], 1.0 op_sel_hi:[1,0]
	v_pk_add_f32 v[4:5], v[16:17], 1.0 op_sel_hi:[1,0]
	;;#ASMSTART
	v_pk_mul_f32 v[12:13], v[12:13], v[6:7]
	;;#ASMEND
	;;#ASMSTART
	v_pk_mul_f32 v[8:9], v[8:9], v[4:5]
	;;#ASMEND
	v_pk_add_f32 v[4:5], v[18:19], 1.0 op_sel_hi:[1,0]
	;;#ASMSTART
	v_pk_mul_f32 v[6:7], v[2:3], v[4:5]
	;;#ASMEND
.LBB588_7:
	s_or_b64 exec, exec, s[8:9]
	s_load_dword s7, s[4:5], 0x80
	s_mov_b64 s[8:9], -1
	s_and_b64 vcc, exec, s[14:15]
	s_cbranch_vccnz .LBB588_11
; %bb.8:
	s_andn2_b64 vcc, exec, s[8:9]
	s_cbranch_vccz .LBB588_14
.LBB588_9:
	s_cmp_lt_i32 s20, 1
	s_cbranch_scc0 .LBB588_23
.LBB588_10:
	s_endpgm
.LBB588_11:
	s_and_saveexec_b64 s[14:15], s[2:3]
	s_cbranch_execz .LBB588_13
; %bb.12:
	s_waitcnt lgkmcnt(0)
	s_mul_hi_i32 s9, s7, s6
	s_mul_i32 s8, s7, s6
	s_lshl_b64 s[8:9], s[8:9], 1
	s_add_u32 s8, s28, s8
	s_addc_u32 s9, s29, s9
	s_mov_b32 s16, 0x7060302
	s_and_b32 s9, s9, 0xffff
	s_mov_b32 s11, 0x20000
	s_waitcnt vmcnt(0)
	v_perm_b32 v2, v11, v10, s16
	v_perm_b32 v3, v13, v12, s16
	;; [unrolled: 1-line block ×4, first 2 shown]
	v_lshlrev_b32_e32 v16, 4, v0
	buffer_store_dwordx4 v[2:5], v16, s[8:11], 0 offen
	;;#ASMSTART
	s_nop 0
	;;#ASMEND
.LBB588_13:
	s_or_b64 exec, exec, s[14:15]
	s_cbranch_execnz .LBB588_9
.LBB588_14:
	s_load_dwordx4 s[24:27], s[4:5], 0x70
	s_waitcnt vmcnt(0)
	v_mov_b32_e32 v2, 0
	s_and_saveexec_b64 s[14:15], s[2:3]
	s_cbranch_execz .LBB588_16
; %bb.15:
	s_load_dwordx2 s[8:9], s[4:5], 0x10
	s_waitcnt lgkmcnt(0)
	s_mul_hi_i32 s35, s27, s6
	s_mul_i32 s34, s27, s6
	s_lshl_b64 s[34:35], s[34:35], 1
	s_mov_b32 s16, 0x7060302
	s_add_u32 s8, s8, s34
	s_addc_u32 s9, s9, s35
	s_mov_b32 s11, 0x20000
	s_and_b32 s9, s9, 0xffff
	v_perm_b32 v2, v11, v10, s16
	v_perm_b32 v3, v13, v12, s16
	v_perm_b32 v4, v9, v8, s16
	v_perm_b32 v5, v7, v6, s16
	v_lshlrev_b32_e32 v16, 4, v0
	buffer_store_dwordx4 v[2:5], v16, s[8:11], 0 offen
	;;#ASMSTART
	s_nop 0
	;;#ASMEND
	s_nop 0
	v_mov_b32_e32 v2, 0x2edbe6ff
.LBB588_16:
	s_or_b64 exec, exec, s[14:15]
	s_and_saveexec_b64 s[8:9], s[2:3]
	s_cbranch_execz .LBB588_18
; %bb.17:
	v_and_b32_e32 v3, 0x7fffffff, v10
	v_and_b32_e32 v4, 0x7fffffff, v11
	;;#ASMSTART
	v_max3_f32 v2, v2, v3, v4

	;;#ASMEND
	v_and_b32_e32 v3, 0x7fffffff, v12
	v_and_b32_e32 v4, 0x7fffffff, v13
	;;#ASMSTART
	v_max3_f32 v2, v2, v3, v4

	;;#ASMEND
	v_and_b32_e32 v3, 0x7fffffff, v8
	v_and_b32_e32 v4, 0x7fffffff, v9
	;;#ASMSTART
	v_max3_f32 v2, v2, v3, v4

	;;#ASMEND
	v_and_b32_e32 v3, 0x7fffffff, v6
	v_and_b32_e32 v4, 0x7fffffff, v7
	;;#ASMSTART
	v_max3_f32 v2, v2, v3, v4

	;;#ASMEND
.LBB588_18:
	s_or_b64 exec, exec, s[8:9]
	v_cmp_eq_u32_e32 vcc, 0, v15
	v_cmp_gt_i32_e64 s[8:9], s19, v1
	s_and_b64 s[10:11], vcc, s[8:9]
	;;#ASMSTART
	v_max_f32 v3, v2, v2 quad_perm:[1,0,3,2] row_mask:0xf bank_mask:0xf bound_ctrl:1
	;;#ASMEND
	;;#ASMSTART
	v_max_f32 v2, v3, v3 quad_perm:[2,3,0,1] row_mask:0xf bank_mask:0xf bound_ctrl:1
	;;#ASMEND
	s_and_saveexec_b64 s[8:9], s[10:11]
	s_cbranch_execz .LBB588_20
; %bb.19:
	s_load_dwordx2 s[10:11], s[4:5], 0x8
	v_mul_f32_e32 v2, 0x3e2aaaab, v2
	v_lshrrev_b32_e32 v3, 23, v2
	v_and_b32_e32 v4, 0x7f800000, v2
	v_and_b32_e32 v2, 0x7fffff, v2
	v_cmp_ne_u32_e32 vcc, 0, v2
	s_waitcnt lgkmcnt(0)
	s_mul_i32 s16, s25, s6
	s_mov_b32 s14, 0x7f800000
	v_addc_co_u32_e32 v2, vcc, 0, v3, vcc
	s_mul_hi_i32 s15, s25, s6
	s_add_u32 s10, s10, s16
	v_cmp_ne_u32_e32 vcc, s14, v4
	s_addc_u32 s11, s11, s15
	v_lshrrev_b32_e32 v5, 2, v0
	v_cndmask_b32_e32 v4, -1, v2, vcc
	v_pk_mov_b32 v[2:3], s[10:11], s[10:11] op_sel:[0,1]
	v_mad_i64_i32 v[2:3], s[10:11], s26, v5, v[2:3]
	global_store_byte v[2:3], v4, off
.LBB588_20:
	s_or_b64 exec, exec, s[8:9]
	s_and_saveexec_b64 s[8:9], s[2:3]
	s_cbranch_execz .LBB588_22
; %bb.21:
	s_load_dwordx2 s[2:3], s[4:5], 0x0
	s_waitcnt lgkmcnt(0)
	s_mul_i32 s11, s24, s6
	s_mul_hi_i32 s10, s24, s6
	v_lshlrev_b32_e32 v2, 2, v0
	s_mov_b32 s27, 0x20000
	s_add_u32 s24, s2, s11
	s_addc_u32 s2, s3, s10
	s_lshr_b32 s3, s19, 31
	s_add_i32 s3, s19, s3
	s_ashr_i32 s3, s3, 1
	s_add_i32 s3, s3, 3
	s_ashr_i32 s10, s3, 31
	s_lshr_b32 s10, s10, 30
	s_add_i32 s3, s3, s10
	s_and_b32 s26, s3, -4
	s_and_b32 s25, s2, 0xffff
	v_mov_b32_e32 v3, 0
	buffer_store_dword v3, v2, s[24:27], 0 offen
	;;#ASMSTART
	s_nop 0
	;;#ASMEND
.LBB588_22:
	s_or_b64 exec, exec, s[8:9]
	s_cmp_lt_i32 s20, 1
	s_cbranch_scc1 .LBB588_10
.LBB588_23:
	s_load_dword s2, s[4:5], 0x94
	s_waitcnt lgkmcnt(0)
	s_cmp_lg_u32 s2, 1
	s_cbranch_scc1 .LBB588_10
; %bb.24:
	s_lshl_b32 s2, s20, 1
	s_add_i32 s2, s2, 2
	v_cmp_gt_u32_e32 vcc, s20, v1
	s_and_b32 s14, s2, -4
	v_mov_b32_e32 v6, 0
	v_lshlrev_b32_e32 v1, 4, v0
	v_mov_b32_e32 v7, 0
	v_mov_b32_e32 v8, 0
	;; [unrolled: 1-line block ×3, first 2 shown]
	s_waitcnt vmcnt(0)
	v_mov_b32_e32 v2, 0
	v_mov_b32_e32 v3, 0
	;; [unrolled: 1-line block ×4, first 2 shown]
	s_barrier
	s_and_saveexec_b64 s[2:3], vcc
	s_cbranch_execz .LBB588_26
; %bb.25:
	s_mul_hi_i32 s5, s22, s6
	s_mul_i32 s4, s22, s6
	s_and_b32 s13, s13, 0xffff
	s_lshl_b64 s[4:5], s[4:5], 1
	s_add_u32 s8, s30, s4
	s_mov_b32 s15, 0x20000
	s_addc_u32 s4, s31, s5
	s_and_b32 s9, s4, 0xffff
	s_mov_b32 s10, s14
	s_mov_b32 s11, s15
	buffer_load_dwordx4 v[6:9], v1, s[8:11], 0 offen glc slc
	buffer_load_dwordx4 v[2:5], v1, s[12:15], 0 offen
.LBB588_26:
	s_or_b64 exec, exec, s[2:3]
	s_waitcnt vmcnt(1)
	v_cvt_f32_u32_sdwa v13, v6 dst_sel:DWORD dst_unused:UNUSED_PAD src0_sel:WORD_1
	v_cvt_f32_u32_sdwa v12, v6 dst_sel:DWORD dst_unused:UNUSED_PAD src0_sel:WORD_0
	v_cvt_f32_u32_sdwa v6, v9 dst_sel:DWORD dst_unused:UNUSED_PAD src0_sel:WORD_1
	v_cvt_f32_u32_sdwa v9, v9 dst_sel:DWORD dst_unused:UNUSED_PAD src0_sel:WORD_0
	;; [unrolled: 2-line block ×4, first 2 shown]
	v_cndmask_b32_e32 v13, 0, v13, vcc
	v_cndmask_b32_e32 v7, 0, v6, vcc
	;; [unrolled: 1-line block ×5, first 2 shown]
	v_mul_f32_e32 v15, v13, v13
	v_cndmask_b32_e32 v10, 0, v10, vcc
	v_fmac_f32_e32 v15, v12, v12
	v_cndmask_b32_e32 v11, 0, v11, vcc
	v_fmac_f32_e32 v15, v10, v10
	;; [unrolled: 2-line block ×3, first 2 shown]
	v_fmac_f32_e32 v15, v8, v8
	v_fmac_f32_e32 v15, v9, v9
	;; [unrolled: 1-line block ×4, first 2 shown]
	s_nop 1
	v_mov_b32_dpp v16, v15 quad_perm:[1,0,3,2] row_mask:0xf bank_mask:0xf
	v_add_f32_e32 v15, v15, v16
	s_nop 1
	v_mov_b32_dpp v16, v15 quad_perm:[2,3,0,1] row_mask:0xf bank_mask:0xf
	v_add_f32_e32 v15, v15, v16
	s_nop 1
	v_mov_b32_dpp v16, v15 row_half_mirror row_mask:0xf bank_mask:0xf
	v_add_f32_e32 v15, v15, v16
	s_nop 1
	v_mov_b32_dpp v16, v15 row_mirror row_mask:0xf bank_mask:0xf
	v_add_f32_e32 v15, v15, v16
	s_nop 1
	v_mov_b32_dpp v16, v15 row_bcast:15 row_mask:0xf bank_mask:0xf
	v_add_f32_e32 v15, v15, v16
	s_nop 1
	v_mov_b32_dpp v16, v15 row_bcast:31 row_mask:0xf bank_mask:0xf
	s_and_saveexec_b64 s[2:3], s[0:1]
	s_cbranch_execz .LBB588_28
; %bb.27:
	v_lshrrev_b32_e32 v0, 4, v0
	v_add_f32_e32 v15, v15, v16
	v_and_b32_e32 v0, 60, v0
	ds_write_b32 v0, v15
.LBB588_28:
	s_or_b64 exec, exec, s[2:3]
	s_waitcnt lgkmcnt(0)
	s_barrier
	ds_read_b32 v0, v14
	s_waitcnt lgkmcnt(0)
	s_nop 0
	v_mov_b32_dpp v14, v0 quad_perm:[1,0,3,2] row_mask:0xf bank_mask:0xf
	v_add_f32_e32 v0, v0, v14
	s_nop 1
	v_mov_b32_dpp v14, v0 quad_perm:[2,3,0,1] row_mask:0xf bank_mask:0xf
	s_and_saveexec_b64 s[0:1], vcc
	s_cbranch_execz .LBB588_10
; %bb.29:
	v_cvt_f32_u32_e32 v15, s20
	v_add_f32_e32 v0, v0, v14
	s_mov_b32 s15, 0x20000
	v_div_scale_f32 v14, s[0:1], v15, v15, v0
	v_rcp_f32_e32 v16, v14
	v_div_scale_f32 v17, vcc, v0, v15, v0
	s_mov_b32 s0, 0x800000
	v_fma_f32 v18, -v14, v16, 1.0
	v_fmac_f32_e32 v16, v18, v16
	v_mul_f32_e32 v18, v17, v16
	v_fma_f32 v19, -v14, v18, v17
	v_fmac_f32_e32 v18, v19, v16
	v_fma_f32 v14, -v14, v18, v17
	v_div_fmas_f32 v14, v14, v16, v18
	v_div_fixup_f32 v0, v14, v15, v0
	v_add_f32_e32 v0, s17, v0
	v_mul_f32_e32 v14, 0x4b800000, v0
	v_cmp_gt_f32_e32 vcc, s0, v0
	v_cndmask_b32_e32 v0, v0, v14, vcc
	v_rsq_f32_e32 v0, v0
	s_waitcnt vmcnt(0)
	v_cvt_f32_u32_sdwa v17, v2 dst_sel:DWORD dst_unused:UNUSED_PAD src0_sel:WORD_1
	v_cvt_f32_u32_sdwa v16, v2 dst_sel:DWORD dst_unused:UNUSED_PAD src0_sel:WORD_0
	v_cvt_f32_u32_sdwa v19, v3 dst_sel:DWORD dst_unused:UNUSED_PAD src0_sel:WORD_1
	v_mul_f32_e32 v14, 0x45800000, v0
	v_cndmask_b32_e32 v14, v0, v14, vcc
	v_mov_b32_e32 v15, v14
	;;#ASMSTART
	v_pk_mul_f32 v[12:13], v[12:13], v[14:15]
	;;#ASMEND
	;;#ASMSTART
	v_pk_mul_f32 v[10:11], v[10:11], v[14:15]
	;;#ASMEND
	;; [unrolled: 3-line block ×3, first 2 shown]
	v_cvt_f32_u32_sdwa v18, v3 dst_sel:DWORD dst_unused:UNUSED_PAD src0_sel:WORD_0
	;;#ASMSTART
	v_pk_mul_f32 v[2:3], v[6:7], v[14:15]
	;;#ASMEND
	v_cvt_f32_u32_sdwa v15, v4 dst_sel:DWORD dst_unused:UNUSED_PAD src0_sel:WORD_1
	v_cvt_f32_u32_sdwa v14, v4 dst_sel:DWORD dst_unused:UNUSED_PAD src0_sel:WORD_0
	v_pk_add_f32 v[6:7], v[16:17], 1.0 op_sel_hi:[1,0]
	v_cvt_f32_u32_sdwa v17, v5 dst_sel:DWORD dst_unused:UNUSED_PAD src0_sel:WORD_1
	v_cvt_f32_u32_sdwa v16, v5 dst_sel:DWORD dst_unused:UNUSED_PAD src0_sel:WORD_0
	s_mul_hi_i32 s1, s7, s6
	s_mul_i32 s0, s7, s6
	s_lshl_b64 s[0:1], s[0:1], 1
	s_add_u32 s12, s28, s0
	;;#ASMSTART
	v_pk_mul_f32 v[6:7], v[12:13], v[6:7]
	;;#ASMEND
	v_pk_add_f32 v[12:13], v[18:19], 1.0 op_sel_hi:[1,0]
	;;#ASMSTART
	v_pk_mul_f32 v[4:5], v[10:11], v[12:13]
	;;#ASMEND
	v_pk_add_f32 v[10:11], v[14:15], 1.0 op_sel_hi:[1,0]
	s_addc_u32 s0, s29, s1
	;;#ASMSTART
	v_pk_mul_f32 v[8:9], v[8:9], v[10:11]
	;;#ASMEND
	v_pk_add_f32 v[10:11], v[16:17], 1.0 op_sel_hi:[1,0]
	s_and_b32 s13, s0, 0xffff
	s_mov_b32 s0, 0x7060302
	;;#ASMSTART
	v_pk_mul_f32 v[10:11], v[2:3], v[10:11]
	;;#ASMEND
	v_perm_b32 v2, v7, v6, s0
	v_perm_b32 v3, v5, v4, s0
	;; [unrolled: 1-line block ×4, first 2 shown]
	buffer_store_dwordx4 v[2:5], v1, s[12:15], 0 offen
	;;#ASMSTART
	s_nop 0
	;;#ASMEND
	s_endpgm
	.section	.rodata,"a",@progbits
	.p2align	6, 0x0
	.amdhsa_kernel _ZN5aiter35fused_qk_rmsnorm_group_quant_kernelItN4opus5fp4_tELi256ELi8ELi4ELb0ELb1ELb1ELb0ELb0ELb0EEEvPT0_PvPT_S7_S7_PKS6_S9_S9_S9_S9_ffiiiiiiiiiiiii
		.amdhsa_group_segment_fixed_size 32
		.amdhsa_private_segment_fixed_size 0
		.amdhsa_kernarg_size 400
		.amdhsa_user_sgpr_count 6
		.amdhsa_user_sgpr_private_segment_buffer 1
		.amdhsa_user_sgpr_dispatch_ptr 0
		.amdhsa_user_sgpr_queue_ptr 0
		.amdhsa_user_sgpr_kernarg_segment_ptr 1
		.amdhsa_user_sgpr_dispatch_id 0
		.amdhsa_user_sgpr_flat_scratch_init 0
		.amdhsa_user_sgpr_kernarg_preload_length 0
		.amdhsa_user_sgpr_kernarg_preload_offset 0
		.amdhsa_user_sgpr_private_segment_size 0
		.amdhsa_uses_dynamic_stack 0
		.amdhsa_system_sgpr_private_segment_wavefront_offset 0
		.amdhsa_system_sgpr_workgroup_id_x 1
		.amdhsa_system_sgpr_workgroup_id_y 1
		.amdhsa_system_sgpr_workgroup_id_z 0
		.amdhsa_system_sgpr_workgroup_info 0
		.amdhsa_system_vgpr_workitem_id 0
		.amdhsa_next_free_vgpr 24
		.amdhsa_next_free_sgpr 36
		.amdhsa_accum_offset 24
		.amdhsa_reserve_vcc 1
		.amdhsa_reserve_flat_scratch 0
		.amdhsa_float_round_mode_32 0
		.amdhsa_float_round_mode_16_64 0
		.amdhsa_float_denorm_mode_32 3
		.amdhsa_float_denorm_mode_16_64 3
		.amdhsa_dx10_clamp 1
		.amdhsa_ieee_mode 1
		.amdhsa_fp16_overflow 0
		.amdhsa_tg_split 0
		.amdhsa_exception_fp_ieee_invalid_op 0
		.amdhsa_exception_fp_denorm_src 0
		.amdhsa_exception_fp_ieee_div_zero 0
		.amdhsa_exception_fp_ieee_overflow 0
		.amdhsa_exception_fp_ieee_underflow 0
		.amdhsa_exception_fp_ieee_inexact 0
		.amdhsa_exception_int_div_zero 0
	.end_amdhsa_kernel
	.section	.text._ZN5aiter35fused_qk_rmsnorm_group_quant_kernelItN4opus5fp4_tELi256ELi8ELi4ELb0ELb1ELb1ELb0ELb0ELb0EEEvPT0_PvPT_S7_S7_PKS6_S9_S9_S9_S9_ffiiiiiiiiiiiii,"axG",@progbits,_ZN5aiter35fused_qk_rmsnorm_group_quant_kernelItN4opus5fp4_tELi256ELi8ELi4ELb0ELb1ELb1ELb0ELb0ELb0EEEvPT0_PvPT_S7_S7_PKS6_S9_S9_S9_S9_ffiiiiiiiiiiiii,comdat
.Lfunc_end588:
	.size	_ZN5aiter35fused_qk_rmsnorm_group_quant_kernelItN4opus5fp4_tELi256ELi8ELi4ELb0ELb1ELb1ELb0ELb0ELb0EEEvPT0_PvPT_S7_S7_PKS6_S9_S9_S9_S9_ffiiiiiiiiiiiii, .Lfunc_end588-_ZN5aiter35fused_qk_rmsnorm_group_quant_kernelItN4opus5fp4_tELi256ELi8ELi4ELb0ELb1ELb1ELb0ELb0ELb0EEEvPT0_PvPT_S7_S7_PKS6_S9_S9_S9_S9_ffiiiiiiiiiiiii
                                        ; -- End function
	.section	.AMDGPU.csdata,"",@progbits
; Kernel info:
; codeLenInByte = 2488
; NumSgprs: 40
; NumVgprs: 24
; NumAgprs: 0
; TotalNumVgprs: 24
; ScratchSize: 0
; MemoryBound: 0
; FloatMode: 240
; IeeeMode: 1
; LDSByteSize: 32 bytes/workgroup (compile time only)
; SGPRBlocks: 4
; VGPRBlocks: 2
; NumSGPRsForWavesPerEU: 40
; NumVGPRsForWavesPerEU: 24
; AccumOffset: 24
; Occupancy: 8
; WaveLimiterHint : 0
; COMPUTE_PGM_RSRC2:SCRATCH_EN: 0
; COMPUTE_PGM_RSRC2:USER_SGPR: 6
; COMPUTE_PGM_RSRC2:TRAP_HANDLER: 0
; COMPUTE_PGM_RSRC2:TGID_X_EN: 1
; COMPUTE_PGM_RSRC2:TGID_Y_EN: 1
; COMPUTE_PGM_RSRC2:TGID_Z_EN: 0
; COMPUTE_PGM_RSRC2:TIDIG_COMP_CNT: 0
; COMPUTE_PGM_RSRC3_GFX90A:ACCUM_OFFSET: 5
; COMPUTE_PGM_RSRC3_GFX90A:TG_SPLIT: 0
	.section	.text._ZN5aiter35fused_qk_rmsnorm_group_quant_kernelIDF16_DB8_Li256ELi8ELi4ELb0ELb1ELb0ELb0ELb0ELb0EEEvPT0_PvPT_S6_S6_PKS5_S8_S8_S8_S8_ffiiiiiiiiiiiii,"axG",@progbits,_ZN5aiter35fused_qk_rmsnorm_group_quant_kernelIDF16_DB8_Li256ELi8ELi4ELb0ELb1ELb0ELb0ELb0ELb0EEEvPT0_PvPT_S6_S6_PKS5_S8_S8_S8_S8_ffiiiiiiiiiiiii,comdat
	.protected	_ZN5aiter35fused_qk_rmsnorm_group_quant_kernelIDF16_DB8_Li256ELi8ELi4ELb0ELb1ELb0ELb0ELb0ELb0EEEvPT0_PvPT_S6_S6_PKS5_S8_S8_S8_S8_ffiiiiiiiiiiiii ; -- Begin function _ZN5aiter35fused_qk_rmsnorm_group_quant_kernelIDF16_DB8_Li256ELi8ELi4ELb0ELb1ELb0ELb0ELb0ELb0EEEvPT0_PvPT_S6_S6_PKS5_S8_S8_S8_S8_ffiiiiiiiiiiiii
	.globl	_ZN5aiter35fused_qk_rmsnorm_group_quant_kernelIDF16_DB8_Li256ELi8ELi4ELb0ELb1ELb0ELb0ELb0ELb0EEEvPT0_PvPT_S6_S6_PKS5_S8_S8_S8_S8_ffiiiiiiiiiiiii
	.p2align	8
	.type	_ZN5aiter35fused_qk_rmsnorm_group_quant_kernelIDF16_DB8_Li256ELi8ELi4ELb0ELb1ELb0ELb0ELb0ELb0EEEvPT0_PvPT_S6_S6_PKS5_S8_S8_S8_S8_ffiiiiiiiiiiiii,@function
_ZN5aiter35fused_qk_rmsnorm_group_quant_kernelIDF16_DB8_Li256ELi8ELi4ELb0ELb1ELb0ELb0ELb0ELb0EEEvPT0_PvPT_S6_S6_PKS5_S8_S8_S8_S8_ffiiiiiiiiiiiii: ; @_ZN5aiter35fused_qk_rmsnorm_group_quant_kernelIDF16_DB8_Li256ELi8ELi4ELb0ELb1ELb0ELb0ELb0ELb0EEEvPT0_PvPT_S6_S6_PKS5_S8_S8_S8_S8_ffiiiiiiiiiiiii
; %bb.0:
	s_load_dwordx4 s[16:19], s[4:5], 0x50
	s_waitcnt lgkmcnt(0)
	s_cmp_ge_i32 s6, s18
	s_cbranch_scc1 .LBB589_12
; %bb.1:
	s_load_dwordx2 s[12:13], s[4:5], 0x48
	s_load_dwordx2 s[30:31], s[4:5], 0x30
	s_load_dwordx4 s[20:23], s[4:5], 0x60
	s_cmp_lg_u32 s7, 0
	s_cselect_b64 s[14:15], -1, 0
	s_cmp_eq_u32 s7, 0
	s_cselect_b64 vcc, -1, 0
	s_and_b64 s[0:1], vcc, exec
	s_waitcnt lgkmcnt(0)
	s_cselect_b32 s7, s19, s20
	s_add_i32 s0, s7, 1
	s_lshr_b32 s1, s0, 31
	s_add_i32 s0, s0, s1
	s_lshl_b32 s0, s0, 1
	v_lshlrev_b32_e32 v1, 3, v0
	s_and_b32 s10, s0, -4
	v_cmp_gt_i32_e64 s[2:3], s7, v1
	v_mov_b32_e32 v10, 0
	v_mov_b32_e32 v2, 0
	;; [unrolled: 1-line block ×9, first 2 shown]
	s_and_saveexec_b64 s[0:1], s[2:3]
	s_cbranch_execz .LBB589_3
; %bb.2:
	s_load_dwordx2 s[8:9], s[4:5], 0x28
	s_load_dwordx2 s[26:27], s[4:5], 0x40
	s_and_b64 s[24:25], vcc, exec
	s_cselect_b32 s11, s21, s22
	v_lshlrev_b32_e32 v11, 4, v0
	s_waitcnt lgkmcnt(0)
	s_cselect_b32 s18, s9, s31
	s_cselect_b32 s21, s8, s30
	s_mul_hi_i32 s9, s11, s6
	s_mul_i32 s8, s11, s6
	s_lshl_b64 s[8:9], s[8:9], 1
	s_add_u32 s24, s21, s8
	s_addc_u32 s18, s18, s9
	s_and_b64 s[8:9], vcc, exec
	s_mov_b32 s11, 0x20000
	s_cselect_b32 s8, s26, s12
	s_cselect_b32 s9, s27, s13
	s_and_b32 s25, s18, 0xffff
	s_mov_b32 s26, s10
	s_mov_b32 s27, s11
	s_and_b32 s9, s9, 0xffff
	buffer_load_dwordx4 v[6:9], v11, s[24:27], 0 offen glc slc
	buffer_load_dwordx4 v[2:5], v11, s[8:11], 0 offen
.LBB589_3:
	s_or_b64 exec, exec, s[0:1]
	v_mov_b32_e32 v11, 0
	v_mov_b32_e32 v16, 0
	;; [unrolled: 1-line block ×7, first 2 shown]
	s_and_saveexec_b64 s[0:1], s[2:3]
	s_cbranch_execz .LBB589_5
; %bb.4:
	s_waitcnt vmcnt(1)
	v_cvt_f32_f16_sdwa v11, v6 dst_sel:DWORD dst_unused:UNUSED_PAD src0_sel:WORD_1
	v_cvt_f32_f16_e32 v10, v6
	v_cvt_f32_f16_sdwa v17, v7 dst_sel:DWORD dst_unused:UNUSED_PAD src0_sel:WORD_1
	v_cvt_f32_f16_e32 v16, v7
	v_cvt_f32_f16_sdwa v15, v8 dst_sel:DWORD dst_unused:UNUSED_PAD src0_sel:WORD_1
	v_cvt_f32_f16_e32 v14, v8
	v_cvt_f32_f16_sdwa v13, v9 dst_sel:DWORD dst_unused:UNUSED_PAD src0_sel:WORD_1
	v_cvt_f32_f16_e32 v12, v9
.LBB589_5:
	s_or_b64 exec, exec, s[0:1]
	s_waitcnt vmcnt(1)
	v_mul_f32_e32 v6, v11, v11
	v_fmac_f32_e32 v6, v10, v10
	v_fmac_f32_e32 v6, v16, v16
	;; [unrolled: 1-line block ×7, first 2 shown]
	v_and_b32_e32 v8, 63, v0
	v_cmp_eq_u32_e64 s[0:1], 63, v8
	v_mov_b32_dpp v7, v6 quad_perm:[1,0,3,2] row_mask:0xf bank_mask:0xf
	v_add_f32_e32 v6, v6, v7
	s_nop 1
	v_mov_b32_dpp v7, v6 quad_perm:[2,3,0,1] row_mask:0xf bank_mask:0xf
	v_add_f32_e32 v6, v6, v7
	s_nop 1
	v_mov_b32_dpp v7, v6 row_half_mirror row_mask:0xf bank_mask:0xf
	v_add_f32_e32 v6, v6, v7
	s_nop 1
	v_mov_b32_dpp v7, v6 row_mirror row_mask:0xf bank_mask:0xf
	v_add_f32_e32 v6, v6, v7
	s_nop 1
	v_mov_b32_dpp v7, v6 row_bcast:15 row_mask:0xf bank_mask:0xf
	v_add_f32_e32 v6, v6, v7
	s_nop 1
	v_mov_b32_dpp v7, v6 row_bcast:31 row_mask:0xf bank_mask:0xf
	s_and_saveexec_b64 s[8:9], s[0:1]
	s_cbranch_execz .LBB589_7
; %bb.6:
	v_add_f32_e32 v6, v6, v7
	v_lshrrev_b32_e32 v7, 4, v0
	v_and_b32_e32 v7, 60, v7
	ds_write_b32 v7, v6 offset:16
.LBB589_7:
	s_or_b64 exec, exec, s[8:9]
	v_and_b32_e32 v6, 3, v0
	v_lshlrev_b32_e32 v18, 2, v6
	s_waitcnt lgkmcnt(0)
	s_barrier
	ds_read_b32 v7, v18 offset:16
	s_load_dwordx2 s[28:29], s[4:5], 0x18
	s_waitcnt lgkmcnt(0)
	v_mov_b32_dpp v8, v7 quad_perm:[1,0,3,2] row_mask:0xf bank_mask:0xf
	v_add_f32_e32 v7, v7, v8
	s_nop 1
	v_mov_b32_dpp v8, v7 quad_perm:[2,3,0,1] row_mask:0xf bank_mask:0xf
	s_and_saveexec_b64 s[8:9], s[2:3]
	s_cbranch_execz .LBB589_9
; %bb.8:
	v_cvt_f32_u32_e32 v9, s7
	v_add_f32_e32 v7, v7, v8
	v_mov_b32_e32 v20, s17
	v_mov_b32_e32 v21, s16
	v_div_scale_f32 v8, s[24:25], v9, v9, v7
	v_rcp_f32_e32 v19, v8
	v_cndmask_b32_e32 v20, v20, v21, vcc
	s_mov_b32 s7, 0x800000
	v_fma_f32 v21, -v8, v19, 1.0
	v_fmac_f32_e32 v19, v21, v19
	v_div_scale_f32 v21, vcc, v7, v9, v7
	v_mul_f32_e32 v22, v21, v19
	v_fma_f32 v23, -v8, v22, v21
	v_fmac_f32_e32 v22, v23, v19
	v_fma_f32 v8, -v8, v22, v21
	v_div_fmas_f32 v8, v8, v19, v22
	v_div_fixup_f32 v7, v8, v9, v7
	v_add_f32_e32 v7, v20, v7
	v_mul_f32_e32 v8, 0x4b800000, v7
	v_cmp_gt_f32_e32 vcc, s7, v7
	v_cndmask_b32_e32 v7, v7, v8, vcc
	v_rsq_f32_e32 v7, v7
	s_waitcnt vmcnt(0)
	v_cvt_f32_f16_sdwa v21, v3 dst_sel:DWORD dst_unused:UNUSED_PAD src0_sel:WORD_1
	v_cvt_f32_f16_e32 v20, v3
	v_cvt_f32_f16_sdwa v3, v4 dst_sel:DWORD dst_unused:UNUSED_PAD src0_sel:WORD_1
	v_mul_f32_e32 v8, 0x45800000, v7
	v_cndmask_b32_e32 v8, v7, v8, vcc
	v_mov_b32_e32 v9, v8
	;;#ASMSTART
	v_pk_mul_f32 v[10:11], v[10:11], v[8:9]
	;;#ASMEND
	;;#ASMSTART
	v_pk_mul_f32 v[16:17], v[16:17], v[8:9]
	;;#ASMEND
	;; [unrolled: 3-line block ×4, first 2 shown]
	v_cvt_f32_f16_sdwa v13, v2 dst_sel:DWORD dst_unused:UNUSED_PAD src0_sel:WORD_1
	v_cvt_f32_f16_e32 v12, v2
	v_cvt_f32_f16_e32 v2, v4
	v_cvt_f32_f16_sdwa v23, v5 dst_sel:DWORD dst_unused:UNUSED_PAD src0_sel:WORD_1
	v_cvt_f32_f16_e32 v22, v5
	;;#ASMSTART
	v_pk_mul_f32 v[10:11], v[10:11], v[12:13]
	;;#ASMEND
	;;#ASMSTART
	v_pk_mul_f32 v[16:17], v[16:17], v[20:21]
	;;#ASMEND
	;; [unrolled: 3-line block ×4, first 2 shown]
.LBB589_9:
	s_or_b64 exec, exec, s[8:9]
	s_load_dword s7, s[4:5], 0x80
	s_mov_b64 s[8:9], -1
	s_and_b64 vcc, exec, s[14:15]
	s_cbranch_vccnz .LBB589_13
; %bb.10:
	s_andn2_b64 vcc, exec, s[8:9]
	s_cbranch_vccz .LBB589_16
.LBB589_11:
	s_cmp_lt_i32 s20, 1
	s_cbranch_scc0 .LBB589_25
.LBB589_12:
	s_endpgm
.LBB589_13:
	s_and_saveexec_b64 s[14:15], s[2:3]
	s_cbranch_execz .LBB589_15
; %bb.14:
	s_waitcnt lgkmcnt(0)
	s_mul_hi_i32 s9, s7, s6
	s_mul_i32 s8, s7, s6
	s_waitcnt vmcnt(0)
	v_cvt_f16_f32_e32 v2, v10
	v_cvt_f16_f32_e32 v3, v16
	;; [unrolled: 1-line block ×8, first 2 shown]
	s_lshl_b64 s[8:9], s[8:9], 1
	s_add_u32 s8, s28, s8
	s_addc_u32 s9, s29, s9
	s_and_b32 s9, s9, 0xffff
	s_mov_b32 s11, 0x20000
	v_pack_b32_f16 v5, v5, v7
	v_pack_b32_f16 v4, v4, v8
	;; [unrolled: 1-line block ×4, first 2 shown]
	v_lshlrev_b32_e32 v7, 4, v0
	buffer_store_dwordx4 v[2:5], v7, s[8:11], 0 offen
	;;#ASMSTART
	s_nop 0
	;;#ASMEND
.LBB589_15:
	s_or_b64 exec, exec, s[14:15]
	s_cbranch_execnz .LBB589_11
.LBB589_16:
	s_load_dwordx4 s[24:27], s[4:5], 0x70
	s_waitcnt vmcnt(0)
	v_mov_b32_e32 v2, 0
	s_and_saveexec_b64 s[14:15], s[2:3]
	s_cbranch_execz .LBB589_18
; %bb.17:
	s_load_dwordx2 s[8:9], s[4:5], 0x10
	s_waitcnt lgkmcnt(0)
	s_mul_hi_i32 s35, s27, s6
	s_mul_i32 s34, s27, s6
	v_cvt_f16_f32_e32 v2, v10
	v_cvt_f16_f32_e32 v3, v16
	;; [unrolled: 1-line block ×8, first 2 shown]
	s_lshl_b64 s[34:35], s[34:35], 1
	s_add_u32 s8, s8, s34
	s_addc_u32 s9, s9, s35
	s_mov_b32 s11, 0x20000
	s_and_b32 s9, s9, 0xffff
	v_pack_b32_f16 v5, v5, v7
	v_pack_b32_f16 v4, v4, v8
	;; [unrolled: 1-line block ×4, first 2 shown]
	v_lshlrev_b32_e32 v7, 4, v0
	buffer_store_dwordx4 v[2:5], v7, s[8:11], 0 offen
	;;#ASMSTART
	s_nop 0
	;;#ASMEND
	s_nop 0
	v_mov_b32_e32 v2, 0x2edbe6ff
.LBB589_18:
	s_or_b64 exec, exec, s[14:15]
	s_and_saveexec_b64 s[8:9], s[2:3]
	s_cbranch_execz .LBB589_20
; %bb.19:
	v_and_b32_e32 v3, 0x7fffffff, v10
	v_and_b32_e32 v4, 0x7fffffff, v11
	;;#ASMSTART
	v_max3_f32 v2, v2, v3, v4

	;;#ASMEND
	v_and_b32_e32 v3, 0x7fffffff, v16
	v_and_b32_e32 v4, 0x7fffffff, v17
	;;#ASMSTART
	v_max3_f32 v2, v2, v3, v4

	;;#ASMEND
	;; [unrolled: 6-line block ×4, first 2 shown]
.LBB589_20:
	s_or_b64 exec, exec, s[8:9]
	;;#ASMSTART
	v_max_f32 v3, v2, v2 quad_perm:[1,0,3,2] row_mask:0xf bank_mask:0xf bound_ctrl:1
	;;#ASMEND
	;;#ASMSTART
	v_max_f32 v2, v3, v3 quad_perm:[2,3,0,1] row_mask:0xf bank_mask:0xf bound_ctrl:1
	;;#ASMEND
	v_cmp_eq_u32_e32 vcc, 0, v6
	v_cmp_gt_i32_e64 s[8:9], s19, v1
	v_mul_f32_e32 v2, 0x3b124925, v2
	s_and_b64 s[10:11], vcc, s[8:9]
	s_and_saveexec_b64 s[8:9], s[10:11]
	s_cbranch_execz .LBB589_22
; %bb.21:
	s_load_dwordx2 s[10:11], s[4:5], 0x8
	s_waitcnt lgkmcnt(0)
	s_mul_hi_i32 s15, s25, s6
	s_mul_i32 s14, s25, s6
	v_lshrrev_b32_e32 v3, 2, v0
	s_lshl_b64 s[14:15], s[14:15], 2
	v_mad_i64_i32 v[4:5], s[26:27], s26, v3, 0
	s_add_u32 s10, s10, s14
	s_addc_u32 s11, s11, s15
	v_lshlrev_b64 v[4:5], 2, v[4:5]
	v_mov_b32_e32 v3, s11
	v_add_co_u32_e32 v4, vcc, s10, v4
	v_addc_co_u32_e32 v5, vcc, v3, v5, vcc
	global_store_dword v[4:5], v2, off
.LBB589_22:
	s_or_b64 exec, exec, s[8:9]
	;;#ASMSTART
	v_rcp_f32 v2, v2
	;;#ASMEND
	s_and_saveexec_b64 s[14:15], s[2:3]
	s_cbranch_execz .LBB589_24
; %bb.23:
	s_load_dwordx2 s[2:3], s[4:5], 0x0
	s_waitcnt lgkmcnt(0)
	s_mul_i32 s8, s24, s6
	s_mul_hi_i32 s9, s24, s6
	v_mov_b32_e32 v3, v2
	;;#ASMSTART
	v_pk_mul_f32 v[4:5], v[10:11], v[2:3]
	;;#ASMEND
	s_add_u32 s8, s2, s8
	s_addc_u32 s2, s3, s9
	s_add_i32 s3, s19, 3
	s_ashr_i32 s9, s3, 31
	v_mov_b32_e32 v8, 0xc3e00000
	v_mov_b32_e32 v9, 0x43e00000
	;;#ASMSTART
	v_med3_f32 v4, v4, v8, v9
v_med3_f32 v5, v5, v8, v9
v_cvt_pk_fp8_f32 v6, v4, v5
	;;#ASMEND
	s_lshr_b32 s9, s9, 30
	;;#ASMSTART
	v_pk_mul_f32 v[4:5], v[16:17], v[2:3]
	;;#ASMEND
	s_add_i32 s3, s3, s9
	s_and_b32 s9, s2, 0xffff
	;;#ASMSTART
	v_med3_f32 v4, v4, v8, v9
v_med3_f32 v5, v5, v8, v9
v_cvt_pk_fp8_f32 v7, v4, v5
	;;#ASMEND
	s_mov_b32 s2, 0x5040100
	v_perm_b32 v5, v7, v6, s2
	s_movk_i32 s2, 0xff
	v_and_b32_e32 v4, 0xffffff00, v7
	v_and_b32_sdwa v6, v5, s2 dst_sel:DWORD dst_unused:UNUSED_PAD src0_sel:WORD_1 src1_sel:DWORD
	s_mov_b32 s16, 0xffff
	v_or_b32_sdwa v4, v6, v4 dst_sel:WORD_1 dst_unused:UNUSED_PAD src0_sel:DWORD src1_sel:DWORD
	v_and_or_b32 v4, v5, s16, v4
	;;#ASMSTART
	v_pk_mul_f32 v[6:7], v[14:15], v[2:3]
	;;#ASMEND
	v_mov_b32_e32 v5, v7
	;;#ASMSTART
	v_med3_f32 v6, v6, v8, v9
v_med3_f32 v5, v5, v8, v9
v_cvt_pk_fp8_f32 v7, v6, v5
	;;#ASMEND
	;;#ASMSTART
	v_pk_mul_f32 v[2:3], v[12:13], v[2:3]
	;;#ASMEND
	;;#ASMSTART
	v_med3_f32 v2, v2, v8, v9
v_med3_f32 v3, v3, v8, v9
v_cvt_pk_fp8_f32 v5, v2, v3
	;;#ASMEND
	v_lshlrev_b32_e32 v2, 16, v5
	s_and_b32 s10, s3, -4
	s_mov_b32 s11, 0x20000
	v_and_or_b32 v5, v7, s16, v2
	buffer_store_dwordx2 v[4:5], v1, s[8:11], 0 offen
	;;#ASMSTART
	s_nop 0
	;;#ASMEND
.LBB589_24:
	s_or_b64 exec, exec, s[14:15]
	s_cmp_lt_i32 s20, 1
	s_cbranch_scc1 .LBB589_12
.LBB589_25:
	s_load_dword s2, s[4:5], 0x94
	s_waitcnt lgkmcnt(0)
	s_cmp_lg_u32 s2, 1
	s_cbranch_scc1 .LBB589_12
; %bb.26:
	s_lshl_b32 s2, s20, 1
	s_add_i32 s2, s2, 2
	v_cmp_gt_u32_e32 vcc, s20, v1
	s_and_b32 s14, s2, -4
	v_mov_b32_e32 v10, 0
	v_lshlrev_b32_e32 v1, 4, v0
	v_mov_b32_e32 v6, 0
	v_mov_b32_e32 v7, 0
	;; [unrolled: 1-line block ×4, first 2 shown]
	s_waitcnt vmcnt(0)
	v_mov_b32_e32 v2, 0
	v_mov_b32_e32 v3, 0
	;; [unrolled: 1-line block ×4, first 2 shown]
	s_barrier
	s_and_saveexec_b64 s[2:3], vcc
	s_cbranch_execz .LBB589_28
; %bb.27:
	s_mul_hi_i32 s5, s22, s6
	s_mul_i32 s4, s22, s6
	s_and_b32 s13, s13, 0xffff
	s_lshl_b64 s[4:5], s[4:5], 1
	s_add_u32 s8, s30, s4
	s_mov_b32 s15, 0x20000
	s_addc_u32 s4, s31, s5
	s_and_b32 s9, s4, 0xffff
	s_mov_b32 s10, s14
	s_mov_b32 s11, s15
	buffer_load_dwordx4 v[6:9], v1, s[8:11], 0 offen glc slc
	buffer_load_dwordx4 v[2:5], v1, s[12:15], 0 offen
.LBB589_28:
	s_or_b64 exec, exec, s[2:3]
	v_mov_b32_e32 v11, 0
	v_mov_b32_e32 v16, 0
	;; [unrolled: 1-line block ×7, first 2 shown]
	s_and_saveexec_b64 s[2:3], vcc
	s_cbranch_execz .LBB589_30
; %bb.29:
	s_waitcnt vmcnt(1)
	v_cvt_f32_f16_sdwa v11, v6 dst_sel:DWORD dst_unused:UNUSED_PAD src0_sel:WORD_1
	v_cvt_f32_f16_e32 v10, v6
	v_cvt_f32_f16_sdwa v17, v7 dst_sel:DWORD dst_unused:UNUSED_PAD src0_sel:WORD_1
	v_cvt_f32_f16_e32 v16, v7
	;; [unrolled: 2-line block ×4, first 2 shown]
.LBB589_30:
	s_or_b64 exec, exec, s[2:3]
	s_waitcnt vmcnt(1)
	v_mul_f32_e32 v6, v11, v11
	v_fmac_f32_e32 v6, v10, v10
	v_fmac_f32_e32 v6, v16, v16
	;; [unrolled: 1-line block ×7, first 2 shown]
	s_nop 1
	v_mov_b32_dpp v7, v6 quad_perm:[1,0,3,2] row_mask:0xf bank_mask:0xf
	v_add_f32_e32 v6, v6, v7
	s_nop 1
	v_mov_b32_dpp v7, v6 quad_perm:[2,3,0,1] row_mask:0xf bank_mask:0xf
	v_add_f32_e32 v6, v6, v7
	s_nop 1
	v_mov_b32_dpp v7, v6 row_half_mirror row_mask:0xf bank_mask:0xf
	v_add_f32_e32 v6, v6, v7
	s_nop 1
	v_mov_b32_dpp v7, v6 row_mirror row_mask:0xf bank_mask:0xf
	v_add_f32_e32 v6, v6, v7
	s_nop 1
	v_mov_b32_dpp v7, v6 row_bcast:15 row_mask:0xf bank_mask:0xf
	v_add_f32_e32 v6, v6, v7
	s_nop 1
	v_mov_b32_dpp v7, v6 row_bcast:31 row_mask:0xf bank_mask:0xf
	s_and_saveexec_b64 s[2:3], s[0:1]
	s_cbranch_execz .LBB589_32
; %bb.31:
	v_lshrrev_b32_e32 v0, 4, v0
	v_add_f32_e32 v6, v6, v7
	v_and_b32_e32 v0, 60, v0
	ds_write_b32 v0, v6
.LBB589_32:
	s_or_b64 exec, exec, s[2:3]
	s_waitcnt lgkmcnt(0)
	s_barrier
	ds_read_b32 v0, v18
	s_waitcnt lgkmcnt(0)
	s_nop 0
	v_mov_b32_dpp v6, v0 quad_perm:[1,0,3,2] row_mask:0xf bank_mask:0xf
	v_add_f32_e32 v0, v0, v6
	s_nop 1
	v_mov_b32_dpp v6, v0 quad_perm:[2,3,0,1] row_mask:0xf bank_mask:0xf
	s_and_saveexec_b64 s[0:1], vcc
	s_cbranch_execz .LBB589_12
; %bb.33:
	v_cvt_f32_u32_e32 v7, s20
	v_add_f32_e32 v0, v0, v6
	s_mov_b32 s15, 0x20000
	v_div_scale_f32 v6, s[0:1], v7, v7, v0
	v_rcp_f32_e32 v8, v6
	v_div_scale_f32 v9, vcc, v0, v7, v0
	s_mov_b32 s0, 0x800000
	v_fma_f32 v18, -v6, v8, 1.0
	v_fmac_f32_e32 v8, v18, v8
	v_mul_f32_e32 v18, v9, v8
	v_fma_f32 v19, -v6, v18, v9
	v_fmac_f32_e32 v18, v19, v8
	v_fma_f32 v6, -v6, v18, v9
	v_div_fmas_f32 v6, v6, v8, v18
	v_div_fixup_f32 v0, v6, v7, v0
	v_add_f32_e32 v0, s17, v0
	v_mul_f32_e32 v6, 0x4b800000, v0
	v_cmp_gt_f32_e32 vcc, s0, v0
	v_cndmask_b32_e32 v0, v0, v6, vcc
	v_rsq_f32_e32 v0, v0
	s_waitcnt vmcnt(0)
	v_cvt_f32_f16_sdwa v19, v5 dst_sel:DWORD dst_unused:UNUSED_PAD src0_sel:WORD_1
	v_cvt_f32_f16_e32 v18, v5
	s_mul_hi_i32 s1, s7, s6
	v_mul_f32_e32 v6, 0x45800000, v0
	v_cndmask_b32_e32 v6, v0, v6, vcc
	v_mov_b32_e32 v7, v6
	;;#ASMSTART
	v_pk_mul_f32 v[8:9], v[10:11], v[6:7]
	;;#ASMEND
	;;#ASMSTART
	v_pk_mul_f32 v[10:11], v[16:17], v[6:7]
	;;#ASMEND
	;; [unrolled: 3-line block ×4, first 2 shown]
	v_cvt_f32_f16_sdwa v13, v2 dst_sel:DWORD dst_unused:UNUSED_PAD src0_sel:WORD_1
	v_cvt_f32_f16_e32 v12, v2
	v_cvt_f32_f16_sdwa v17, v3 dst_sel:DWORD dst_unused:UNUSED_PAD src0_sel:WORD_1
	v_cvt_f32_f16_e32 v16, v3
	;; [unrolled: 2-line block ×3, first 2 shown]
	;;#ASMSTART
	v_pk_mul_f32 v[4:5], v[8:9], v[12:13]
	;;#ASMEND
	;;#ASMSTART
	v_pk_mul_f32 v[8:9], v[10:11], v[16:17]
	;;#ASMEND
	;; [unrolled: 3-line block ×4, first 2 shown]
	s_mul_i32 s0, s7, s6
	v_cvt_f16_f32_e32 v0, v4
	v_cvt_f16_f32_e32 v4, v5
	v_cvt_f16_f32_e32 v5, v8
	v_cvt_f16_f32_e32 v8, v9
	v_cvt_f16_f32_e32 v9, v2
	v_cvt_f16_f32_e32 v10, v3
	v_cvt_f16_f32_e32 v6, v6
	v_cvt_f16_f32_e32 v7, v7
	s_lshl_b64 s[0:1], s[0:1], 1
	s_add_u32 s12, s28, s0
	s_addc_u32 s0, s29, s1
	s_and_b32 s13, s0, 0xffff
	v_pack_b32_f16 v2, v0, v4
	v_pack_b32_f16 v3, v5, v8
	;; [unrolled: 1-line block ×4, first 2 shown]
	buffer_store_dwordx4 v[2:5], v1, s[12:15], 0 offen
	;;#ASMSTART
	s_nop 0
	;;#ASMEND
	s_endpgm
	.section	.rodata,"a",@progbits
	.p2align	6, 0x0
	.amdhsa_kernel _ZN5aiter35fused_qk_rmsnorm_group_quant_kernelIDF16_DB8_Li256ELi8ELi4ELb0ELb1ELb0ELb0ELb0ELb0EEEvPT0_PvPT_S6_S6_PKS5_S8_S8_S8_S8_ffiiiiiiiiiiiii
		.amdhsa_group_segment_fixed_size 32
		.amdhsa_private_segment_fixed_size 0
		.amdhsa_kernarg_size 400
		.amdhsa_user_sgpr_count 6
		.amdhsa_user_sgpr_private_segment_buffer 1
		.amdhsa_user_sgpr_dispatch_ptr 0
		.amdhsa_user_sgpr_queue_ptr 0
		.amdhsa_user_sgpr_kernarg_segment_ptr 1
		.amdhsa_user_sgpr_dispatch_id 0
		.amdhsa_user_sgpr_flat_scratch_init 0
		.amdhsa_user_sgpr_kernarg_preload_length 0
		.amdhsa_user_sgpr_kernarg_preload_offset 0
		.amdhsa_user_sgpr_private_segment_size 0
		.amdhsa_uses_dynamic_stack 0
		.amdhsa_system_sgpr_private_segment_wavefront_offset 0
		.amdhsa_system_sgpr_workgroup_id_x 1
		.amdhsa_system_sgpr_workgroup_id_y 1
		.amdhsa_system_sgpr_workgroup_id_z 0
		.amdhsa_system_sgpr_workgroup_info 0
		.amdhsa_system_vgpr_workitem_id 0
		.amdhsa_next_free_vgpr 24
		.amdhsa_next_free_sgpr 36
		.amdhsa_accum_offset 24
		.amdhsa_reserve_vcc 1
		.amdhsa_reserve_flat_scratch 0
		.amdhsa_float_round_mode_32 0
		.amdhsa_float_round_mode_16_64 0
		.amdhsa_float_denorm_mode_32 3
		.amdhsa_float_denorm_mode_16_64 3
		.amdhsa_dx10_clamp 1
		.amdhsa_ieee_mode 1
		.amdhsa_fp16_overflow 0
		.amdhsa_tg_split 0
		.amdhsa_exception_fp_ieee_invalid_op 0
		.amdhsa_exception_fp_denorm_src 0
		.amdhsa_exception_fp_ieee_div_zero 0
		.amdhsa_exception_fp_ieee_overflow 0
		.amdhsa_exception_fp_ieee_underflow 0
		.amdhsa_exception_fp_ieee_inexact 0
		.amdhsa_exception_int_div_zero 0
	.end_amdhsa_kernel
	.section	.text._ZN5aiter35fused_qk_rmsnorm_group_quant_kernelIDF16_DB8_Li256ELi8ELi4ELb0ELb1ELb0ELb0ELb0ELb0EEEvPT0_PvPT_S6_S6_PKS5_S8_S8_S8_S8_ffiiiiiiiiiiiii,"axG",@progbits,_ZN5aiter35fused_qk_rmsnorm_group_quant_kernelIDF16_DB8_Li256ELi8ELi4ELb0ELb1ELb0ELb0ELb0ELb0EEEvPT0_PvPT_S6_S6_PKS5_S8_S8_S8_S8_ffiiiiiiiiiiiii,comdat
.Lfunc_end589:
	.size	_ZN5aiter35fused_qk_rmsnorm_group_quant_kernelIDF16_DB8_Li256ELi8ELi4ELb0ELb1ELb0ELb0ELb0ELb0EEEvPT0_PvPT_S6_S6_PKS5_S8_S8_S8_S8_ffiiiiiiiiiiiii, .Lfunc_end589-_ZN5aiter35fused_qk_rmsnorm_group_quant_kernelIDF16_DB8_Li256ELi8ELi4ELb0ELb1ELb0ELb0ELb0ELb0EEEvPT0_PvPT_S6_S6_PKS5_S8_S8_S8_S8_ffiiiiiiiiiiiii
                                        ; -- End function
	.section	.AMDGPU.csdata,"",@progbits
; Kernel info:
; codeLenInByte = 2616
; NumSgprs: 40
; NumVgprs: 24
; NumAgprs: 0
; TotalNumVgprs: 24
; ScratchSize: 0
; MemoryBound: 0
; FloatMode: 240
; IeeeMode: 1
; LDSByteSize: 32 bytes/workgroup (compile time only)
; SGPRBlocks: 4
; VGPRBlocks: 2
; NumSGPRsForWavesPerEU: 40
; NumVGPRsForWavesPerEU: 24
; AccumOffset: 24
; Occupancy: 8
; WaveLimiterHint : 0
; COMPUTE_PGM_RSRC2:SCRATCH_EN: 0
; COMPUTE_PGM_RSRC2:USER_SGPR: 6
; COMPUTE_PGM_RSRC2:TRAP_HANDLER: 0
; COMPUTE_PGM_RSRC2:TGID_X_EN: 1
; COMPUTE_PGM_RSRC2:TGID_Y_EN: 1
; COMPUTE_PGM_RSRC2:TGID_Z_EN: 0
; COMPUTE_PGM_RSRC2:TIDIG_COMP_CNT: 0
; COMPUTE_PGM_RSRC3_GFX90A:ACCUM_OFFSET: 5
; COMPUTE_PGM_RSRC3_GFX90A:TG_SPLIT: 0
	.section	.text._ZN5aiter35fused_qk_rmsnorm_group_quant_kernelItDB8_Li256ELi8ELi4ELb0ELb1ELb0ELb0ELb0ELb0EEEvPT0_PvPT_S6_S6_PKS5_S8_S8_S8_S8_ffiiiiiiiiiiiii,"axG",@progbits,_ZN5aiter35fused_qk_rmsnorm_group_quant_kernelItDB8_Li256ELi8ELi4ELb0ELb1ELb0ELb0ELb0ELb0EEEvPT0_PvPT_S6_S6_PKS5_S8_S8_S8_S8_ffiiiiiiiiiiiii,comdat
	.protected	_ZN5aiter35fused_qk_rmsnorm_group_quant_kernelItDB8_Li256ELi8ELi4ELb0ELb1ELb0ELb0ELb0ELb0EEEvPT0_PvPT_S6_S6_PKS5_S8_S8_S8_S8_ffiiiiiiiiiiiii ; -- Begin function _ZN5aiter35fused_qk_rmsnorm_group_quant_kernelItDB8_Li256ELi8ELi4ELb0ELb1ELb0ELb0ELb0ELb0EEEvPT0_PvPT_S6_S6_PKS5_S8_S8_S8_S8_ffiiiiiiiiiiiii
	.globl	_ZN5aiter35fused_qk_rmsnorm_group_quant_kernelItDB8_Li256ELi8ELi4ELb0ELb1ELb0ELb0ELb0ELb0EEEvPT0_PvPT_S6_S6_PKS5_S8_S8_S8_S8_ffiiiiiiiiiiiii
	.p2align	8
	.type	_ZN5aiter35fused_qk_rmsnorm_group_quant_kernelItDB8_Li256ELi8ELi4ELb0ELb1ELb0ELb0ELb0ELb0EEEvPT0_PvPT_S6_S6_PKS5_S8_S8_S8_S8_ffiiiiiiiiiiiii,@function
_ZN5aiter35fused_qk_rmsnorm_group_quant_kernelItDB8_Li256ELi8ELi4ELb0ELb1ELb0ELb0ELb0ELb0EEEvPT0_PvPT_S6_S6_PKS5_S8_S8_S8_S8_ffiiiiiiiiiiiii: ; @_ZN5aiter35fused_qk_rmsnorm_group_quant_kernelItDB8_Li256ELi8ELi4ELb0ELb1ELb0ELb0ELb0ELb0EEEvPT0_PvPT_S6_S6_PKS5_S8_S8_S8_S8_ffiiiiiiiiiiiii
; %bb.0:
	s_load_dwordx4 s[16:19], s[4:5], 0x50
	s_waitcnt lgkmcnt(0)
	s_cmp_ge_i32 s6, s18
	s_cbranch_scc1 .LBB590_10
; %bb.1:
	s_load_dwordx2 s[12:13], s[4:5], 0x48
	s_load_dwordx2 s[30:31], s[4:5], 0x30
	s_load_dwordx4 s[20:23], s[4:5], 0x60
	s_cmp_lg_u32 s7, 0
	s_cselect_b64 s[14:15], -1, 0
	s_cmp_eq_u32 s7, 0
	s_cselect_b64 vcc, -1, 0
	s_and_b64 s[0:1], vcc, exec
	s_waitcnt lgkmcnt(0)
	s_cselect_b32 s7, s19, s20
	s_add_i32 s0, s7, 1
	s_lshr_b32 s1, s0, 31
	s_add_i32 s0, s0, s1
	s_lshl_b32 s0, s0, 1
	v_lshlrev_b32_e32 v1, 3, v0
	s_and_b32 s10, s0, -4
	v_cmp_gt_i32_e64 s[2:3], s7, v1
	v_mov_b32_e32 v2, 0
	v_mov_b32_e32 v3, 0
	v_mov_b32_e32 v4, 0
	v_mov_b32_e32 v5, 0
	v_mov_b32_e32 v6, 0
	v_mov_b32_e32 v7, 0
	v_mov_b32_e32 v8, 0
	v_mov_b32_e32 v9, 0
	s_and_saveexec_b64 s[0:1], s[2:3]
	s_cbranch_execz .LBB590_3
; %bb.2:
	s_load_dwordx2 s[8:9], s[4:5], 0x28
	s_load_dwordx2 s[26:27], s[4:5], 0x40
	s_and_b64 s[24:25], vcc, exec
	s_cselect_b32 s11, s21, s22
	v_lshlrev_b32_e32 v10, 4, v0
	s_waitcnt lgkmcnt(0)
	s_cselect_b32 s18, s9, s31
	s_cselect_b32 s21, s8, s30
	s_mul_hi_i32 s9, s11, s6
	s_mul_i32 s8, s11, s6
	s_lshl_b64 s[8:9], s[8:9], 1
	s_add_u32 s24, s21, s8
	s_addc_u32 s18, s18, s9
	s_and_b64 s[8:9], vcc, exec
	s_mov_b32 s11, 0x20000
	s_cselect_b32 s8, s26, s12
	s_cselect_b32 s9, s27, s13
	s_and_b32 s25, s18, 0xffff
	s_mov_b32 s26, s10
	s_mov_b32 s27, s11
	s_and_b32 s9, s9, 0xffff
	buffer_load_dwordx4 v[6:9], v10, s[24:27], 0 offen glc slc
	buffer_load_dwordx4 v[2:5], v10, s[8:11], 0 offen
.LBB590_3:
	s_or_b64 exec, exec, s[0:1]
	s_waitcnt vmcnt(1)
	v_cvt_f32_u32_sdwa v13, v6 dst_sel:DWORD dst_unused:UNUSED_PAD src0_sel:WORD_1
	v_cvt_f32_u32_sdwa v12, v6 dst_sel:DWORD dst_unused:UNUSED_PAD src0_sel:WORD_0
	v_cvt_f32_u32_sdwa v6, v9 dst_sel:DWORD dst_unused:UNUSED_PAD src0_sel:WORD_1
	v_cvt_f32_u32_sdwa v9, v9 dst_sel:DWORD dst_unused:UNUSED_PAD src0_sel:WORD_0
	;; [unrolled: 2-line block ×4, first 2 shown]
	v_cndmask_b32_e64 v13, 0, v13, s[2:3]
	v_cndmask_b32_e64 v7, 0, v6, s[2:3]
	;; [unrolled: 1-line block ×5, first 2 shown]
	v_mul_f32_e32 v14, v13, v13
	v_cndmask_b32_e64 v10, 0, v10, s[2:3]
	v_fmac_f32_e32 v14, v12, v12
	v_cndmask_b32_e64 v11, 0, v11, s[2:3]
	v_fmac_f32_e32 v14, v10, v10
	;; [unrolled: 2-line block ×3, first 2 shown]
	v_fmac_f32_e32 v14, v8, v8
	v_fmac_f32_e32 v14, v9, v9
	;; [unrolled: 1-line block ×4, first 2 shown]
	v_and_b32_e32 v16, 63, v0
	v_cmp_eq_u32_e64 s[0:1], 63, v16
	v_mov_b32_dpp v15, v14 quad_perm:[1,0,3,2] row_mask:0xf bank_mask:0xf
	v_add_f32_e32 v14, v14, v15
	s_nop 1
	v_mov_b32_dpp v15, v14 quad_perm:[2,3,0,1] row_mask:0xf bank_mask:0xf
	v_add_f32_e32 v14, v14, v15
	s_nop 1
	v_mov_b32_dpp v15, v14 row_half_mirror row_mask:0xf bank_mask:0xf
	v_add_f32_e32 v14, v14, v15
	s_nop 1
	v_mov_b32_dpp v15, v14 row_mirror row_mask:0xf bank_mask:0xf
	v_add_f32_e32 v14, v14, v15
	s_nop 1
	v_mov_b32_dpp v15, v14 row_bcast:15 row_mask:0xf bank_mask:0xf
	v_add_f32_e32 v14, v14, v15
	s_nop 1
	v_mov_b32_dpp v15, v14 row_bcast:31 row_mask:0xf bank_mask:0xf
	s_and_saveexec_b64 s[8:9], s[0:1]
	s_cbranch_execz .LBB590_5
; %bb.4:
	v_add_f32_e32 v14, v14, v15
	v_lshrrev_b32_e32 v15, 4, v0
	v_and_b32_e32 v15, 60, v15
	ds_write_b32 v15, v14 offset:16
.LBB590_5:
	s_or_b64 exec, exec, s[8:9]
	v_and_b32_e32 v15, 3, v0
	v_lshlrev_b32_e32 v14, 2, v15
	s_waitcnt lgkmcnt(0)
	s_barrier
	ds_read_b32 v16, v14 offset:16
	s_load_dwordx2 s[28:29], s[4:5], 0x18
	s_waitcnt lgkmcnt(0)
	v_mov_b32_dpp v17, v16 quad_perm:[1,0,3,2] row_mask:0xf bank_mask:0xf
	v_add_f32_e32 v16, v16, v17
	s_nop 1
	v_mov_b32_dpp v17, v16 quad_perm:[2,3,0,1] row_mask:0xf bank_mask:0xf
	s_and_saveexec_b64 s[8:9], s[2:3]
	s_cbranch_execz .LBB590_7
; %bb.6:
	v_cvt_f32_u32_e32 v18, s7
	v_add_f32_e32 v16, v16, v17
	v_mov_b32_e32 v20, s17
	v_mov_b32_e32 v21, s16
	v_div_scale_f32 v17, s[24:25], v18, v18, v16
	v_rcp_f32_e32 v19, v17
	v_cndmask_b32_e32 v20, v20, v21, vcc
	s_mov_b32 s7, 0x800000
	v_fma_f32 v21, -v17, v19, 1.0
	v_fmac_f32_e32 v19, v21, v19
	v_div_scale_f32 v21, vcc, v16, v18, v16
	v_mul_f32_e32 v22, v21, v19
	v_fma_f32 v23, -v17, v22, v21
	v_fmac_f32_e32 v22, v23, v19
	v_fma_f32 v17, -v17, v22, v21
	v_div_fmas_f32 v17, v17, v19, v22
	v_div_fixup_f32 v16, v17, v18, v16
	v_add_f32_e32 v16, v20, v16
	v_mul_f32_e32 v17, 0x4b800000, v16
	v_cmp_gt_f32_e32 vcc, s7, v16
	v_cndmask_b32_e32 v16, v16, v17, vcc
	v_rsq_f32_e32 v16, v16
	s_waitcnt vmcnt(0)
	v_cvt_f32_u32_sdwa v19, v3 dst_sel:DWORD dst_unused:UNUSED_PAD src0_sel:WORD_1
	v_cvt_f32_u32_sdwa v18, v3 dst_sel:DWORD dst_unused:UNUSED_PAD src0_sel:WORD_0
	v_cvt_f32_u32_sdwa v3, v4 dst_sel:DWORD dst_unused:UNUSED_PAD src0_sel:WORD_1
	v_mul_f32_e32 v17, 0x45800000, v16
	v_cndmask_b32_e32 v16, v16, v17, vcc
	v_mov_b32_e32 v17, v16
	;;#ASMSTART
	v_pk_mul_f32 v[12:13], v[12:13], v[16:17]
	;;#ASMEND
	;;#ASMSTART
	v_pk_mul_f32 v[10:11], v[10:11], v[16:17]
	;;#ASMEND
	;; [unrolled: 3-line block ×4, first 2 shown]
	v_cvt_f32_u32_sdwa v17, v2 dst_sel:DWORD dst_unused:UNUSED_PAD src0_sel:WORD_1
	v_cvt_f32_u32_sdwa v16, v2 dst_sel:DWORD dst_unused:UNUSED_PAD src0_sel:WORD_0
	v_cvt_f32_u32_sdwa v2, v4 dst_sel:DWORD dst_unused:UNUSED_PAD src0_sel:WORD_0
	v_cvt_f32_u32_sdwa v21, v5 dst_sel:DWORD dst_unused:UNUSED_PAD src0_sel:WORD_1
	v_cvt_f32_u32_sdwa v20, v5 dst_sel:DWORD dst_unused:UNUSED_PAD src0_sel:WORD_0
	;;#ASMSTART
	v_pk_mul_f32 v[12:13], v[12:13], v[16:17]
	;;#ASMEND
	;;#ASMSTART
	v_pk_mul_f32 v[10:11], v[10:11], v[18:19]
	;;#ASMEND
	;; [unrolled: 3-line block ×4, first 2 shown]
.LBB590_7:
	s_or_b64 exec, exec, s[8:9]
	s_load_dword s7, s[4:5], 0x80
	s_mov_b64 s[8:9], -1
	s_and_b64 vcc, exec, s[14:15]
	s_cbranch_vccnz .LBB590_11
; %bb.8:
	s_andn2_b64 vcc, exec, s[8:9]
	s_cbranch_vccz .LBB590_14
.LBB590_9:
	s_cmp_lt_i32 s20, 1
	s_cbranch_scc0 .LBB590_23
.LBB590_10:
	s_endpgm
.LBB590_11:
	s_and_saveexec_b64 s[14:15], s[2:3]
	s_cbranch_execz .LBB590_13
; %bb.12:
	s_waitcnt lgkmcnt(0)
	s_mul_hi_i32 s9, s7, s6
	s_mul_i32 s8, s7, s6
	s_lshl_b64 s[8:9], s[8:9], 1
	s_add_u32 s8, s28, s8
	s_addc_u32 s9, s29, s9
	s_mov_b32 s16, 0x7060302
	s_and_b32 s9, s9, 0xffff
	s_mov_b32 s11, 0x20000
	s_waitcnt vmcnt(0)
	v_perm_b32 v2, v13, v12, s16
	v_perm_b32 v3, v11, v10, s16
	;; [unrolled: 1-line block ×4, first 2 shown]
	v_lshlrev_b32_e32 v16, 4, v0
	buffer_store_dwordx4 v[2:5], v16, s[8:11], 0 offen
	;;#ASMSTART
	s_nop 0
	;;#ASMEND
.LBB590_13:
	s_or_b64 exec, exec, s[14:15]
	s_cbranch_execnz .LBB590_9
.LBB590_14:
	s_load_dwordx4 s[24:27], s[4:5], 0x70
	s_waitcnt vmcnt(0)
	v_mov_b32_e32 v2, 0
	s_and_saveexec_b64 s[14:15], s[2:3]
	s_cbranch_execz .LBB590_16
; %bb.15:
	s_load_dwordx2 s[8:9], s[4:5], 0x10
	s_waitcnt lgkmcnt(0)
	s_mul_hi_i32 s35, s27, s6
	s_mul_i32 s34, s27, s6
	s_lshl_b64 s[34:35], s[34:35], 1
	s_mov_b32 s16, 0x7060302
	s_add_u32 s8, s8, s34
	s_addc_u32 s9, s9, s35
	s_mov_b32 s11, 0x20000
	s_and_b32 s9, s9, 0xffff
	v_perm_b32 v2, v13, v12, s16
	v_perm_b32 v3, v11, v10, s16
	;; [unrolled: 1-line block ×4, first 2 shown]
	v_lshlrev_b32_e32 v16, 4, v0
	buffer_store_dwordx4 v[2:5], v16, s[8:11], 0 offen
	;;#ASMSTART
	s_nop 0
	;;#ASMEND
	s_nop 0
	v_mov_b32_e32 v2, 0x2edbe6ff
.LBB590_16:
	s_or_b64 exec, exec, s[14:15]
	s_and_saveexec_b64 s[8:9], s[2:3]
	s_cbranch_execz .LBB590_18
; %bb.17:
	v_and_b32_e32 v3, 0x7fffffff, v12
	v_and_b32_e32 v4, 0x7fffffff, v13
	;;#ASMSTART
	v_max3_f32 v2, v2, v3, v4

	;;#ASMEND
	v_and_b32_e32 v3, 0x7fffffff, v10
	v_and_b32_e32 v4, 0x7fffffff, v11
	;;#ASMSTART
	v_max3_f32 v2, v2, v3, v4

	;;#ASMEND
	;; [unrolled: 6-line block ×4, first 2 shown]
.LBB590_18:
	s_or_b64 exec, exec, s[8:9]
	;;#ASMSTART
	v_max_f32 v3, v2, v2 quad_perm:[1,0,3,2] row_mask:0xf bank_mask:0xf bound_ctrl:1
	;;#ASMEND
	;;#ASMSTART
	v_max_f32 v2, v3, v3 quad_perm:[2,3,0,1] row_mask:0xf bank_mask:0xf bound_ctrl:1
	;;#ASMEND
	v_cmp_eq_u32_e32 vcc, 0, v15
	v_cmp_gt_i32_e64 s[8:9], s19, v1
	v_mul_f32_e32 v2, 0x3b124925, v2
	s_and_b64 s[10:11], vcc, s[8:9]
	s_and_saveexec_b64 s[8:9], s[10:11]
	s_cbranch_execz .LBB590_20
; %bb.19:
	s_load_dwordx2 s[10:11], s[4:5], 0x8
	s_waitcnt lgkmcnt(0)
	s_mul_hi_i32 s15, s25, s6
	s_mul_i32 s14, s25, s6
	v_lshrrev_b32_e32 v3, 2, v0
	s_lshl_b64 s[14:15], s[14:15], 2
	v_mad_i64_i32 v[4:5], s[26:27], s26, v3, 0
	s_add_u32 s10, s10, s14
	s_addc_u32 s11, s11, s15
	v_lshlrev_b64 v[4:5], 2, v[4:5]
	v_mov_b32_e32 v3, s11
	v_add_co_u32_e32 v4, vcc, s10, v4
	v_addc_co_u32_e32 v5, vcc, v3, v5, vcc
	global_store_dword v[4:5], v2, off
.LBB590_20:
	s_or_b64 exec, exec, s[8:9]
	;;#ASMSTART
	v_rcp_f32 v2, v2
	;;#ASMEND
	s_and_saveexec_b64 s[14:15], s[2:3]
	s_cbranch_execz .LBB590_22
; %bb.21:
	s_load_dwordx2 s[2:3], s[4:5], 0x0
	s_waitcnt lgkmcnt(0)
	s_mul_i32 s8, s24, s6
	s_mul_hi_i32 s9, s24, s6
	v_mov_b32_e32 v3, v2
	;;#ASMSTART
	v_pk_mul_f32 v[4:5], v[12:13], v[2:3]
	;;#ASMEND
	s_add_u32 s8, s2, s8
	s_addc_u32 s2, s3, s9
	s_add_i32 s3, s19, 3
	s_ashr_i32 s9, s3, 31
	v_mov_b32_e32 v12, 0xc3e00000
	v_mov_b32_e32 v13, 0x43e00000
	;;#ASMSTART
	v_med3_f32 v4, v4, v12, v13
v_med3_f32 v5, v5, v12, v13
v_cvt_pk_fp8_f32 v15, v4, v5
	;;#ASMEND
	s_lshr_b32 s9, s9, 30
	;;#ASMSTART
	v_pk_mul_f32 v[4:5], v[10:11], v[2:3]
	;;#ASMEND
	s_add_i32 s3, s3, s9
	s_and_b32 s9, s2, 0xffff
	;;#ASMSTART
	v_med3_f32 v4, v4, v12, v13
v_med3_f32 v5, v5, v12, v13
v_cvt_pk_fp8_f32 v10, v4, v5
	;;#ASMEND
	s_mov_b32 s2, 0x5040100
	v_perm_b32 v5, v10, v15, s2
	s_movk_i32 s2, 0xff
	v_and_b32_e32 v4, 0xffffff00, v10
	v_and_b32_sdwa v10, v5, s2 dst_sel:DWORD dst_unused:UNUSED_PAD src0_sel:WORD_1 src1_sel:DWORD
	s_mov_b32 s16, 0xffff
	v_or_b32_sdwa v4, v10, v4 dst_sel:WORD_1 dst_unused:UNUSED_PAD src0_sel:DWORD src1_sel:DWORD
	v_and_or_b32 v4, v5, s16, v4
	;;#ASMSTART
	v_pk_mul_f32 v[8:9], v[8:9], v[2:3]
	;;#ASMEND
	v_mov_b32_e32 v5, v9
	;;#ASMSTART
	v_med3_f32 v8, v8, v12, v13
v_med3_f32 v5, v5, v12, v13
v_cvt_pk_fp8_f32 v9, v8, v5
	;;#ASMEND
	;;#ASMSTART
	v_pk_mul_f32 v[2:3], v[6:7], v[2:3]
	;;#ASMEND
	;;#ASMSTART
	v_med3_f32 v2, v2, v12, v13
v_med3_f32 v3, v3, v12, v13
v_cvt_pk_fp8_f32 v5, v2, v3
	;;#ASMEND
	v_lshlrev_b32_e32 v2, 16, v5
	s_and_b32 s10, s3, -4
	s_mov_b32 s11, 0x20000
	v_and_or_b32 v5, v9, s16, v2
	buffer_store_dwordx2 v[4:5], v1, s[8:11], 0 offen
	;;#ASMSTART
	s_nop 0
	;;#ASMEND
.LBB590_22:
	s_or_b64 exec, exec, s[14:15]
	s_cmp_lt_i32 s20, 1
	s_cbranch_scc1 .LBB590_10
.LBB590_23:
	s_load_dword s2, s[4:5], 0x94
	s_waitcnt lgkmcnt(0)
	s_cmp_lg_u32 s2, 1
	s_cbranch_scc1 .LBB590_10
; %bb.24:
	s_lshl_b32 s2, s20, 1
	s_add_i32 s2, s2, 2
	v_cmp_gt_u32_e32 vcc, s20, v1
	s_and_b32 s14, s2, -4
	v_mov_b32_e32 v6, 0
	v_lshlrev_b32_e32 v1, 4, v0
	v_mov_b32_e32 v7, 0
	v_mov_b32_e32 v8, 0
	;; [unrolled: 1-line block ×3, first 2 shown]
	s_waitcnt vmcnt(0)
	v_mov_b32_e32 v2, 0
	v_mov_b32_e32 v3, 0
	;; [unrolled: 1-line block ×4, first 2 shown]
	s_barrier
	s_and_saveexec_b64 s[2:3], vcc
	s_cbranch_execz .LBB590_26
; %bb.25:
	s_mul_hi_i32 s5, s22, s6
	s_mul_i32 s4, s22, s6
	s_and_b32 s13, s13, 0xffff
	s_lshl_b64 s[4:5], s[4:5], 1
	s_add_u32 s8, s30, s4
	s_mov_b32 s15, 0x20000
	s_addc_u32 s4, s31, s5
	s_and_b32 s9, s4, 0xffff
	s_mov_b32 s10, s14
	s_mov_b32 s11, s15
	buffer_load_dwordx4 v[6:9], v1, s[8:11], 0 offen glc slc
	buffer_load_dwordx4 v[2:5], v1, s[12:15], 0 offen
.LBB590_26:
	s_or_b64 exec, exec, s[2:3]
	s_waitcnt vmcnt(1)
	v_cvt_f32_u32_sdwa v13, v6 dst_sel:DWORD dst_unused:UNUSED_PAD src0_sel:WORD_1
	v_cvt_f32_u32_sdwa v12, v6 dst_sel:DWORD dst_unused:UNUSED_PAD src0_sel:WORD_0
	v_cvt_f32_u32_sdwa v6, v9 dst_sel:DWORD dst_unused:UNUSED_PAD src0_sel:WORD_1
	v_cvt_f32_u32_sdwa v9, v9 dst_sel:DWORD dst_unused:UNUSED_PAD src0_sel:WORD_0
	;; [unrolled: 2-line block ×4, first 2 shown]
	v_cndmask_b32_e32 v13, 0, v13, vcc
	v_cndmask_b32_e32 v7, 0, v6, vcc
	v_cndmask_b32_e32 v6, 0, v9, vcc
	v_cndmask_b32_e32 v9, 0, v15, vcc
	v_cndmask_b32_e32 v12, 0, v12, vcc
	v_mul_f32_e32 v15, v13, v13
	v_cndmask_b32_e32 v10, 0, v10, vcc
	v_fmac_f32_e32 v15, v12, v12
	v_cndmask_b32_e32 v11, 0, v11, vcc
	v_fmac_f32_e32 v15, v10, v10
	;; [unrolled: 2-line block ×3, first 2 shown]
	v_fmac_f32_e32 v15, v8, v8
	v_fmac_f32_e32 v15, v9, v9
	;; [unrolled: 1-line block ×4, first 2 shown]
	s_nop 1
	v_mov_b32_dpp v16, v15 quad_perm:[1,0,3,2] row_mask:0xf bank_mask:0xf
	v_add_f32_e32 v15, v15, v16
	s_nop 1
	v_mov_b32_dpp v16, v15 quad_perm:[2,3,0,1] row_mask:0xf bank_mask:0xf
	v_add_f32_e32 v15, v15, v16
	s_nop 1
	v_mov_b32_dpp v16, v15 row_half_mirror row_mask:0xf bank_mask:0xf
	v_add_f32_e32 v15, v15, v16
	s_nop 1
	v_mov_b32_dpp v16, v15 row_mirror row_mask:0xf bank_mask:0xf
	v_add_f32_e32 v15, v15, v16
	s_nop 1
	v_mov_b32_dpp v16, v15 row_bcast:15 row_mask:0xf bank_mask:0xf
	v_add_f32_e32 v15, v15, v16
	s_nop 1
	v_mov_b32_dpp v16, v15 row_bcast:31 row_mask:0xf bank_mask:0xf
	s_and_saveexec_b64 s[2:3], s[0:1]
	s_cbranch_execz .LBB590_28
; %bb.27:
	v_lshrrev_b32_e32 v0, 4, v0
	v_add_f32_e32 v15, v15, v16
	v_and_b32_e32 v0, 60, v0
	ds_write_b32 v0, v15
.LBB590_28:
	s_or_b64 exec, exec, s[2:3]
	s_waitcnt lgkmcnt(0)
	s_barrier
	ds_read_b32 v0, v14
	s_waitcnt lgkmcnt(0)
	s_nop 0
	v_mov_b32_dpp v14, v0 quad_perm:[1,0,3,2] row_mask:0xf bank_mask:0xf
	v_add_f32_e32 v0, v0, v14
	s_nop 1
	v_mov_b32_dpp v14, v0 quad_perm:[2,3,0,1] row_mask:0xf bank_mask:0xf
	s_and_saveexec_b64 s[0:1], vcc
	s_cbranch_execz .LBB590_10
; %bb.29:
	v_cvt_f32_u32_e32 v15, s20
	v_add_f32_e32 v0, v0, v14
	s_mov_b32 s15, 0x20000
	v_div_scale_f32 v14, s[0:1], v15, v15, v0
	v_rcp_f32_e32 v16, v14
	v_div_scale_f32 v17, vcc, v0, v15, v0
	s_mov_b32 s0, 0x800000
	v_fma_f32 v18, -v14, v16, 1.0
	v_fmac_f32_e32 v16, v18, v16
	v_mul_f32_e32 v18, v17, v16
	v_fma_f32 v19, -v14, v18, v17
	v_fmac_f32_e32 v18, v19, v16
	v_fma_f32 v14, -v14, v18, v17
	v_div_fmas_f32 v14, v14, v16, v18
	v_div_fixup_f32 v0, v14, v15, v0
	v_add_f32_e32 v0, s17, v0
	v_mul_f32_e32 v14, 0x4b800000, v0
	v_cmp_gt_f32_e32 vcc, s0, v0
	v_cndmask_b32_e32 v0, v0, v14, vcc
	v_rsq_f32_e32 v0, v0
	s_mul_hi_i32 s1, s7, s6
	s_mul_i32 s0, s7, s6
	s_lshl_b64 s[0:1], s[0:1], 1
	v_mul_f32_e32 v14, 0x45800000, v0
	v_cndmask_b32_e32 v14, v0, v14, vcc
	s_add_u32 s12, s28, s0
	v_mov_b32_e32 v15, v14
	s_addc_u32 s0, s29, s1
	;;#ASMSTART
	v_pk_mul_f32 v[12:13], v[12:13], v[14:15]
	;;#ASMEND
	;;#ASMSTART
	v_pk_mul_f32 v[10:11], v[10:11], v[14:15]
	;;#ASMEND
	;; [unrolled: 3-line block ×4, first 2 shown]
	s_waitcnt vmcnt(0)
	v_cvt_f32_u32_sdwa v15, v2 dst_sel:DWORD dst_unused:UNUSED_PAD src0_sel:WORD_1
	v_cvt_f32_u32_sdwa v14, v2 dst_sel:DWORD dst_unused:UNUSED_PAD src0_sel:WORD_0
	v_cvt_f32_u32_sdwa v17, v3 dst_sel:DWORD dst_unused:UNUSED_PAD src0_sel:WORD_1
	v_cvt_f32_u32_sdwa v16, v3 dst_sel:DWORD dst_unused:UNUSED_PAD src0_sel:WORD_0
	;; [unrolled: 2-line block ×4, first 2 shown]
	;;#ASMSTART
	v_pk_mul_f32 v[4:5], v[12:13], v[14:15]
	;;#ASMEND
	s_and_b32 s13, s0, 0xffff
	s_mov_b32 s0, 0x7060302
	;;#ASMSTART
	v_pk_mul_f32 v[10:11], v[10:11], v[16:17]
	;;#ASMEND
	;;#ASMSTART
	v_pk_mul_f32 v[8:9], v[8:9], v[2:3]
	;;#ASMEND
	;; [unrolled: 3-line block ×3, first 2 shown]
	v_perm_b32 v2, v5, v4, s0
	v_perm_b32 v3, v11, v10, s0
	;; [unrolled: 1-line block ×4, first 2 shown]
	buffer_store_dwordx4 v[2:5], v1, s[12:15], 0 offen
	;;#ASMSTART
	s_nop 0
	;;#ASMEND
	s_endpgm
	.section	.rodata,"a",@progbits
	.p2align	6, 0x0
	.amdhsa_kernel _ZN5aiter35fused_qk_rmsnorm_group_quant_kernelItDB8_Li256ELi8ELi4ELb0ELb1ELb0ELb0ELb0ELb0EEEvPT0_PvPT_S6_S6_PKS5_S8_S8_S8_S8_ffiiiiiiiiiiiii
		.amdhsa_group_segment_fixed_size 32
		.amdhsa_private_segment_fixed_size 0
		.amdhsa_kernarg_size 400
		.amdhsa_user_sgpr_count 6
		.amdhsa_user_sgpr_private_segment_buffer 1
		.amdhsa_user_sgpr_dispatch_ptr 0
		.amdhsa_user_sgpr_queue_ptr 0
		.amdhsa_user_sgpr_kernarg_segment_ptr 1
		.amdhsa_user_sgpr_dispatch_id 0
		.amdhsa_user_sgpr_flat_scratch_init 0
		.amdhsa_user_sgpr_kernarg_preload_length 0
		.amdhsa_user_sgpr_kernarg_preload_offset 0
		.amdhsa_user_sgpr_private_segment_size 0
		.amdhsa_uses_dynamic_stack 0
		.amdhsa_system_sgpr_private_segment_wavefront_offset 0
		.amdhsa_system_sgpr_workgroup_id_x 1
		.amdhsa_system_sgpr_workgroup_id_y 1
		.amdhsa_system_sgpr_workgroup_id_z 0
		.amdhsa_system_sgpr_workgroup_info 0
		.amdhsa_system_vgpr_workitem_id 0
		.amdhsa_next_free_vgpr 24
		.amdhsa_next_free_sgpr 36
		.amdhsa_accum_offset 24
		.amdhsa_reserve_vcc 1
		.amdhsa_reserve_flat_scratch 0
		.amdhsa_float_round_mode_32 0
		.amdhsa_float_round_mode_16_64 0
		.amdhsa_float_denorm_mode_32 3
		.amdhsa_float_denorm_mode_16_64 3
		.amdhsa_dx10_clamp 1
		.amdhsa_ieee_mode 1
		.amdhsa_fp16_overflow 0
		.amdhsa_tg_split 0
		.amdhsa_exception_fp_ieee_invalid_op 0
		.amdhsa_exception_fp_denorm_src 0
		.amdhsa_exception_fp_ieee_div_zero 0
		.amdhsa_exception_fp_ieee_overflow 0
		.amdhsa_exception_fp_ieee_underflow 0
		.amdhsa_exception_fp_ieee_inexact 0
		.amdhsa_exception_int_div_zero 0
	.end_amdhsa_kernel
	.section	.text._ZN5aiter35fused_qk_rmsnorm_group_quant_kernelItDB8_Li256ELi8ELi4ELb0ELb1ELb0ELb0ELb0ELb0EEEvPT0_PvPT_S6_S6_PKS5_S8_S8_S8_S8_ffiiiiiiiiiiiii,"axG",@progbits,_ZN5aiter35fused_qk_rmsnorm_group_quant_kernelItDB8_Li256ELi8ELi4ELb0ELb1ELb0ELb0ELb0ELb0EEEvPT0_PvPT_S6_S6_PKS5_S8_S8_S8_S8_ffiiiiiiiiiiiii,comdat
.Lfunc_end590:
	.size	_ZN5aiter35fused_qk_rmsnorm_group_quant_kernelItDB8_Li256ELi8ELi4ELb0ELb1ELb0ELb0ELb0ELb0EEEvPT0_PvPT_S6_S6_PKS5_S8_S8_S8_S8_ffiiiiiiiiiiiii, .Lfunc_end590-_ZN5aiter35fused_qk_rmsnorm_group_quant_kernelItDB8_Li256ELi8ELi4ELb0ELb1ELb0ELb0ELb0ELb0EEEvPT0_PvPT_S6_S6_PKS5_S8_S8_S8_S8_ffiiiiiiiiiiiii
                                        ; -- End function
	.section	.AMDGPU.csdata,"",@progbits
; Kernel info:
; codeLenInByte = 2608
; NumSgprs: 40
; NumVgprs: 24
; NumAgprs: 0
; TotalNumVgprs: 24
; ScratchSize: 0
; MemoryBound: 0
; FloatMode: 240
; IeeeMode: 1
; LDSByteSize: 32 bytes/workgroup (compile time only)
; SGPRBlocks: 4
; VGPRBlocks: 2
; NumSGPRsForWavesPerEU: 40
; NumVGPRsForWavesPerEU: 24
; AccumOffset: 24
; Occupancy: 8
; WaveLimiterHint : 0
; COMPUTE_PGM_RSRC2:SCRATCH_EN: 0
; COMPUTE_PGM_RSRC2:USER_SGPR: 6
; COMPUTE_PGM_RSRC2:TRAP_HANDLER: 0
; COMPUTE_PGM_RSRC2:TGID_X_EN: 1
; COMPUTE_PGM_RSRC2:TGID_Y_EN: 1
; COMPUTE_PGM_RSRC2:TGID_Z_EN: 0
; COMPUTE_PGM_RSRC2:TIDIG_COMP_CNT: 0
; COMPUTE_PGM_RSRC3_GFX90A:ACCUM_OFFSET: 5
; COMPUTE_PGM_RSRC3_GFX90A:TG_SPLIT: 0
	.section	.text._ZN5aiter35fused_qk_rmsnorm_group_quant_kernelIDF16_N4opus5fp4_tELi256ELi8ELi4ELb0ELb1ELb0ELb0ELb0ELb0EEEvPT0_PvPT_S7_S7_PKS6_S9_S9_S9_S9_ffiiiiiiiiiiiii,"axG",@progbits,_ZN5aiter35fused_qk_rmsnorm_group_quant_kernelIDF16_N4opus5fp4_tELi256ELi8ELi4ELb0ELb1ELb0ELb0ELb0ELb0EEEvPT0_PvPT_S7_S7_PKS6_S9_S9_S9_S9_ffiiiiiiiiiiiii,comdat
	.protected	_ZN5aiter35fused_qk_rmsnorm_group_quant_kernelIDF16_N4opus5fp4_tELi256ELi8ELi4ELb0ELb1ELb0ELb0ELb0ELb0EEEvPT0_PvPT_S7_S7_PKS6_S9_S9_S9_S9_ffiiiiiiiiiiiii ; -- Begin function _ZN5aiter35fused_qk_rmsnorm_group_quant_kernelIDF16_N4opus5fp4_tELi256ELi8ELi4ELb0ELb1ELb0ELb0ELb0ELb0EEEvPT0_PvPT_S7_S7_PKS6_S9_S9_S9_S9_ffiiiiiiiiiiiii
	.globl	_ZN5aiter35fused_qk_rmsnorm_group_quant_kernelIDF16_N4opus5fp4_tELi256ELi8ELi4ELb0ELb1ELb0ELb0ELb0ELb0EEEvPT0_PvPT_S7_S7_PKS6_S9_S9_S9_S9_ffiiiiiiiiiiiii
	.p2align	8
	.type	_ZN5aiter35fused_qk_rmsnorm_group_quant_kernelIDF16_N4opus5fp4_tELi256ELi8ELi4ELb0ELb1ELb0ELb0ELb0ELb0EEEvPT0_PvPT_S7_S7_PKS6_S9_S9_S9_S9_ffiiiiiiiiiiiii,@function
_ZN5aiter35fused_qk_rmsnorm_group_quant_kernelIDF16_N4opus5fp4_tELi256ELi8ELi4ELb0ELb1ELb0ELb0ELb0ELb0EEEvPT0_PvPT_S7_S7_PKS6_S9_S9_S9_S9_ffiiiiiiiiiiiii: ; @_ZN5aiter35fused_qk_rmsnorm_group_quant_kernelIDF16_N4opus5fp4_tELi256ELi8ELi4ELb0ELb1ELb0ELb0ELb0ELb0EEEvPT0_PvPT_S7_S7_PKS6_S9_S9_S9_S9_ffiiiiiiiiiiiii
; %bb.0:
	s_load_dwordx4 s[16:19], s[4:5], 0x50
	s_waitcnt lgkmcnt(0)
	s_cmp_ge_i32 s6, s18
	s_cbranch_scc1 .LBB591_12
; %bb.1:
	s_load_dwordx2 s[12:13], s[4:5], 0x48
	s_load_dwordx2 s[30:31], s[4:5], 0x30
	s_load_dwordx4 s[20:23], s[4:5], 0x60
	s_cmp_lg_u32 s7, 0
	s_cselect_b64 s[14:15], -1, 0
	s_cmp_eq_u32 s7, 0
	s_cselect_b64 vcc, -1, 0
	s_and_b64 s[0:1], vcc, exec
	s_waitcnt lgkmcnt(0)
	s_cselect_b32 s7, s19, s20
	s_add_i32 s0, s7, 1
	s_lshr_b32 s1, s0, 31
	s_add_i32 s0, s0, s1
	s_lshl_b32 s0, s0, 1
	v_lshlrev_b32_e32 v1, 3, v0
	s_and_b32 s10, s0, -4
	v_cmp_gt_i32_e64 s[2:3], s7, v1
	v_mov_b32_e32 v10, 0
	v_mov_b32_e32 v2, 0
	;; [unrolled: 1-line block ×9, first 2 shown]
	s_and_saveexec_b64 s[0:1], s[2:3]
	s_cbranch_execz .LBB591_3
; %bb.2:
	s_load_dwordx2 s[8:9], s[4:5], 0x28
	s_load_dwordx2 s[26:27], s[4:5], 0x40
	s_and_b64 s[24:25], vcc, exec
	s_cselect_b32 s11, s21, s22
	v_lshlrev_b32_e32 v11, 4, v0
	s_waitcnt lgkmcnt(0)
	s_cselect_b32 s18, s9, s31
	s_cselect_b32 s21, s8, s30
	s_mul_hi_i32 s9, s11, s6
	s_mul_i32 s8, s11, s6
	s_lshl_b64 s[8:9], s[8:9], 1
	s_add_u32 s24, s21, s8
	s_addc_u32 s18, s18, s9
	s_and_b64 s[8:9], vcc, exec
	s_mov_b32 s11, 0x20000
	s_cselect_b32 s8, s26, s12
	s_cselect_b32 s9, s27, s13
	s_and_b32 s25, s18, 0xffff
	s_mov_b32 s26, s10
	s_mov_b32 s27, s11
	s_and_b32 s9, s9, 0xffff
	buffer_load_dwordx4 v[6:9], v11, s[24:27], 0 offen glc slc
	buffer_load_dwordx4 v[2:5], v11, s[8:11], 0 offen
.LBB591_3:
	s_or_b64 exec, exec, s[0:1]
	v_mov_b32_e32 v11, 0
	v_mov_b32_e32 v16, 0
	;; [unrolled: 1-line block ×7, first 2 shown]
	s_and_saveexec_b64 s[0:1], s[2:3]
	s_cbranch_execz .LBB591_5
; %bb.4:
	s_waitcnt vmcnt(1)
	v_cvt_f32_f16_sdwa v11, v6 dst_sel:DWORD dst_unused:UNUSED_PAD src0_sel:WORD_1
	v_cvt_f32_f16_e32 v10, v6
	v_cvt_f32_f16_sdwa v17, v7 dst_sel:DWORD dst_unused:UNUSED_PAD src0_sel:WORD_1
	v_cvt_f32_f16_e32 v16, v7
	;; [unrolled: 2-line block ×4, first 2 shown]
.LBB591_5:
	s_or_b64 exec, exec, s[0:1]
	s_waitcnt vmcnt(1)
	v_mul_f32_e32 v6, v11, v11
	v_fmac_f32_e32 v6, v10, v10
	v_fmac_f32_e32 v6, v16, v16
	;; [unrolled: 1-line block ×7, first 2 shown]
	v_and_b32_e32 v8, 63, v0
	v_cmp_eq_u32_e64 s[0:1], 63, v8
	v_mov_b32_dpp v7, v6 quad_perm:[1,0,3,2] row_mask:0xf bank_mask:0xf
	v_add_f32_e32 v6, v6, v7
	s_nop 1
	v_mov_b32_dpp v7, v6 quad_perm:[2,3,0,1] row_mask:0xf bank_mask:0xf
	v_add_f32_e32 v6, v6, v7
	s_nop 1
	v_mov_b32_dpp v7, v6 row_half_mirror row_mask:0xf bank_mask:0xf
	v_add_f32_e32 v6, v6, v7
	s_nop 1
	v_mov_b32_dpp v7, v6 row_mirror row_mask:0xf bank_mask:0xf
	v_add_f32_e32 v6, v6, v7
	s_nop 1
	v_mov_b32_dpp v7, v6 row_bcast:15 row_mask:0xf bank_mask:0xf
	v_add_f32_e32 v6, v6, v7
	s_nop 1
	v_mov_b32_dpp v7, v6 row_bcast:31 row_mask:0xf bank_mask:0xf
	s_and_saveexec_b64 s[8:9], s[0:1]
	s_cbranch_execz .LBB591_7
; %bb.6:
	v_add_f32_e32 v6, v6, v7
	v_lshrrev_b32_e32 v7, 4, v0
	v_and_b32_e32 v7, 60, v7
	ds_write_b32 v7, v6 offset:16
.LBB591_7:
	s_or_b64 exec, exec, s[8:9]
	v_and_b32_e32 v6, 3, v0
	v_lshlrev_b32_e32 v18, 2, v6
	s_waitcnt lgkmcnt(0)
	s_barrier
	ds_read_b32 v7, v18 offset:16
	s_load_dwordx2 s[28:29], s[4:5], 0x18
	s_waitcnt lgkmcnt(0)
	v_mov_b32_dpp v8, v7 quad_perm:[1,0,3,2] row_mask:0xf bank_mask:0xf
	v_add_f32_e32 v7, v7, v8
	s_nop 1
	v_mov_b32_dpp v8, v7 quad_perm:[2,3,0,1] row_mask:0xf bank_mask:0xf
	s_and_saveexec_b64 s[8:9], s[2:3]
	s_cbranch_execz .LBB591_9
; %bb.8:
	v_cvt_f32_u32_e32 v9, s7
	v_add_f32_e32 v7, v7, v8
	v_mov_b32_e32 v20, s17
	v_mov_b32_e32 v21, s16
	v_div_scale_f32 v8, s[24:25], v9, v9, v7
	v_rcp_f32_e32 v19, v8
	v_cndmask_b32_e32 v20, v20, v21, vcc
	s_mov_b32 s7, 0x800000
	v_fma_f32 v21, -v8, v19, 1.0
	v_fmac_f32_e32 v19, v21, v19
	v_div_scale_f32 v21, vcc, v7, v9, v7
	v_mul_f32_e32 v22, v21, v19
	v_fma_f32 v23, -v8, v22, v21
	v_fmac_f32_e32 v22, v23, v19
	v_fma_f32 v8, -v8, v22, v21
	v_div_fmas_f32 v8, v8, v19, v22
	v_div_fixup_f32 v7, v8, v9, v7
	v_add_f32_e32 v7, v20, v7
	v_mul_f32_e32 v8, 0x4b800000, v7
	v_cmp_gt_f32_e32 vcc, s7, v7
	v_cndmask_b32_e32 v7, v7, v8, vcc
	v_rsq_f32_e32 v7, v7
	s_waitcnt vmcnt(0)
	v_cvt_f32_f16_sdwa v21, v3 dst_sel:DWORD dst_unused:UNUSED_PAD src0_sel:WORD_1
	v_cvt_f32_f16_e32 v20, v3
	v_cvt_f32_f16_sdwa v3, v4 dst_sel:DWORD dst_unused:UNUSED_PAD src0_sel:WORD_1
	v_mul_f32_e32 v8, 0x45800000, v7
	v_cndmask_b32_e32 v8, v7, v8, vcc
	v_mov_b32_e32 v9, v8
	;;#ASMSTART
	v_pk_mul_f32 v[10:11], v[10:11], v[8:9]
	;;#ASMEND
	;;#ASMSTART
	v_pk_mul_f32 v[16:17], v[16:17], v[8:9]
	;;#ASMEND
	;; [unrolled: 3-line block ×4, first 2 shown]
	v_cvt_f32_f16_sdwa v15, v2 dst_sel:DWORD dst_unused:UNUSED_PAD src0_sel:WORD_1
	v_cvt_f32_f16_e32 v14, v2
	v_cvt_f32_f16_e32 v2, v4
	v_cvt_f32_f16_sdwa v23, v5 dst_sel:DWORD dst_unused:UNUSED_PAD src0_sel:WORD_1
	v_cvt_f32_f16_e32 v22, v5
	;;#ASMSTART
	v_pk_mul_f32 v[10:11], v[10:11], v[14:15]
	;;#ASMEND
	;;#ASMSTART
	v_pk_mul_f32 v[16:17], v[16:17], v[20:21]
	;;#ASMEND
	;; [unrolled: 3-line block ×4, first 2 shown]
.LBB591_9:
	s_or_b64 exec, exec, s[8:9]
	s_load_dword s7, s[4:5], 0x80
	s_mov_b64 s[8:9], -1
	s_and_b64 vcc, exec, s[14:15]
	s_cbranch_vccnz .LBB591_13
; %bb.10:
	s_andn2_b64 vcc, exec, s[8:9]
	s_cbranch_vccz .LBB591_16
.LBB591_11:
	s_cmp_lt_i32 s20, 1
	s_cbranch_scc0 .LBB591_25
.LBB591_12:
	s_endpgm
.LBB591_13:
	s_and_saveexec_b64 s[14:15], s[2:3]
	s_cbranch_execz .LBB591_15
; %bb.14:
	s_waitcnt lgkmcnt(0)
	s_mul_hi_i32 s9, s7, s6
	s_mul_i32 s8, s7, s6
	s_waitcnt vmcnt(0)
	v_cvt_f16_f32_e32 v2, v10
	v_cvt_f16_f32_e32 v3, v16
	;; [unrolled: 1-line block ×8, first 2 shown]
	s_lshl_b64 s[8:9], s[8:9], 1
	s_add_u32 s8, s28, s8
	s_addc_u32 s9, s29, s9
	s_and_b32 s9, s9, 0xffff
	s_mov_b32 s11, 0x20000
	v_pack_b32_f16 v5, v5, v7
	v_pack_b32_f16 v4, v4, v8
	;; [unrolled: 1-line block ×4, first 2 shown]
	v_lshlrev_b32_e32 v7, 4, v0
	buffer_store_dwordx4 v[2:5], v7, s[8:11], 0 offen
	;;#ASMSTART
	s_nop 0
	;;#ASMEND
.LBB591_15:
	s_or_b64 exec, exec, s[14:15]
	s_cbranch_execnz .LBB591_11
.LBB591_16:
	s_load_dwordx4 s[24:27], s[4:5], 0x70
	s_waitcnt vmcnt(0)
	v_mov_b32_e32 v2, 0
	s_and_saveexec_b64 s[14:15], s[2:3]
	s_cbranch_execz .LBB591_18
; %bb.17:
	s_load_dwordx2 s[8:9], s[4:5], 0x10
	s_waitcnt lgkmcnt(0)
	s_mul_hi_i32 s35, s27, s6
	s_mul_i32 s34, s27, s6
	v_cvt_f16_f32_e32 v2, v10
	v_cvt_f16_f32_e32 v3, v16
	;; [unrolled: 1-line block ×8, first 2 shown]
	s_lshl_b64 s[34:35], s[34:35], 1
	s_add_u32 s8, s8, s34
	s_addc_u32 s9, s9, s35
	s_mov_b32 s11, 0x20000
	s_and_b32 s9, s9, 0xffff
	v_pack_b32_f16 v5, v5, v7
	v_pack_b32_f16 v4, v4, v8
	;; [unrolled: 1-line block ×4, first 2 shown]
	v_lshlrev_b32_e32 v7, 4, v0
	buffer_store_dwordx4 v[2:5], v7, s[8:11], 0 offen
	;;#ASMSTART
	s_nop 0
	;;#ASMEND
	s_nop 0
	v_mov_b32_e32 v2, 0x2edbe6ff
.LBB591_18:
	s_or_b64 exec, exec, s[14:15]
	s_and_saveexec_b64 s[8:9], s[2:3]
	s_cbranch_execz .LBB591_20
; %bb.19:
	v_and_b32_e32 v3, 0x7fffffff, v10
	v_and_b32_e32 v4, 0x7fffffff, v11
	;;#ASMSTART
	v_max3_f32 v2, v2, v3, v4

	;;#ASMEND
	v_and_b32_e32 v3, 0x7fffffff, v16
	v_and_b32_e32 v4, 0x7fffffff, v17
	;;#ASMSTART
	v_max3_f32 v2, v2, v3, v4

	;;#ASMEND
	;; [unrolled: 6-line block ×4, first 2 shown]
.LBB591_20:
	s_or_b64 exec, exec, s[8:9]
	v_cmp_eq_u32_e32 vcc, 0, v6
	v_cmp_gt_i32_e64 s[8:9], s19, v1
	s_and_b64 s[10:11], vcc, s[8:9]
	;;#ASMSTART
	v_max_f32 v3, v2, v2 quad_perm:[1,0,3,2] row_mask:0xf bank_mask:0xf bound_ctrl:1
	;;#ASMEND
	;;#ASMSTART
	v_max_f32 v2, v3, v3 quad_perm:[2,3,0,1] row_mask:0xf bank_mask:0xf bound_ctrl:1
	;;#ASMEND
	s_and_saveexec_b64 s[8:9], s[10:11]
	s_cbranch_execz .LBB591_22
; %bb.21:
	s_load_dwordx2 s[10:11], s[4:5], 0x8
	v_mul_f32_e32 v2, 0x3e2aaaab, v2
	v_lshrrev_b32_e32 v3, 23, v2
	v_and_b32_e32 v4, 0x7f800000, v2
	v_and_b32_e32 v2, 0x7fffff, v2
	v_cmp_ne_u32_e32 vcc, 0, v2
	s_waitcnt lgkmcnt(0)
	s_mul_i32 s16, s25, s6
	s_mov_b32 s14, 0x7f800000
	v_addc_co_u32_e32 v2, vcc, 0, v3, vcc
	s_mul_hi_i32 s15, s25, s6
	s_add_u32 s10, s10, s16
	v_cmp_ne_u32_e32 vcc, s14, v4
	s_addc_u32 s11, s11, s15
	v_lshrrev_b32_e32 v5, 2, v0
	v_cndmask_b32_e32 v4, -1, v2, vcc
	v_pk_mov_b32 v[2:3], s[10:11], s[10:11] op_sel:[0,1]
	v_mad_i64_i32 v[2:3], s[10:11], s26, v5, v[2:3]
	global_store_byte v[2:3], v4, off
.LBB591_22:
	s_or_b64 exec, exec, s[8:9]
	s_and_saveexec_b64 s[8:9], s[2:3]
	s_cbranch_execz .LBB591_24
; %bb.23:
	s_load_dwordx2 s[2:3], s[4:5], 0x0
	s_waitcnt lgkmcnt(0)
	s_mul_i32 s11, s24, s6
	s_mul_hi_i32 s10, s24, s6
	v_lshlrev_b32_e32 v2, 2, v0
	s_mov_b32 s27, 0x20000
	s_add_u32 s24, s2, s11
	s_addc_u32 s2, s3, s10
	s_lshr_b32 s3, s19, 31
	s_add_i32 s3, s19, s3
	s_ashr_i32 s3, s3, 1
	s_add_i32 s3, s3, 3
	s_ashr_i32 s10, s3, 31
	s_lshr_b32 s10, s10, 30
	s_add_i32 s3, s3, s10
	s_and_b32 s26, s3, -4
	s_and_b32 s25, s2, 0xffff
	v_mov_b32_e32 v3, 0
	buffer_store_dword v3, v2, s[24:27], 0 offen
	;;#ASMSTART
	s_nop 0
	;;#ASMEND
.LBB591_24:
	s_or_b64 exec, exec, s[8:9]
	s_cmp_lt_i32 s20, 1
	s_cbranch_scc1 .LBB591_12
.LBB591_25:
	s_load_dword s2, s[4:5], 0x94
	s_waitcnt lgkmcnt(0)
	s_cmp_lg_u32 s2, 1
	s_cbranch_scc1 .LBB591_12
; %bb.26:
	s_lshl_b32 s2, s20, 1
	s_add_i32 s2, s2, 2
	v_cmp_gt_u32_e32 vcc, s20, v1
	s_and_b32 s14, s2, -4
	v_mov_b32_e32 v10, 0
	v_lshlrev_b32_e32 v1, 4, v0
	v_mov_b32_e32 v6, 0
	v_mov_b32_e32 v7, 0
	;; [unrolled: 1-line block ×4, first 2 shown]
	s_waitcnt vmcnt(0)
	v_mov_b32_e32 v2, 0
	v_mov_b32_e32 v3, 0
	v_mov_b32_e32 v4, 0
	v_mov_b32_e32 v5, 0
	s_barrier
	s_and_saveexec_b64 s[2:3], vcc
	s_cbranch_execz .LBB591_28
; %bb.27:
	s_mul_hi_i32 s5, s22, s6
	s_mul_i32 s4, s22, s6
	s_and_b32 s13, s13, 0xffff
	s_lshl_b64 s[4:5], s[4:5], 1
	s_add_u32 s8, s30, s4
	s_mov_b32 s15, 0x20000
	s_addc_u32 s4, s31, s5
	s_and_b32 s9, s4, 0xffff
	s_mov_b32 s10, s14
	s_mov_b32 s11, s15
	buffer_load_dwordx4 v[6:9], v1, s[8:11], 0 offen glc slc
	buffer_load_dwordx4 v[2:5], v1, s[12:15], 0 offen
.LBB591_28:
	s_or_b64 exec, exec, s[2:3]
	v_mov_b32_e32 v11, 0
	v_mov_b32_e32 v16, 0
	v_mov_b32_e32 v17, 0
	v_mov_b32_e32 v14, 0
	v_mov_b32_e32 v15, 0
	v_mov_b32_e32 v12, 0
	v_mov_b32_e32 v13, 0
	s_and_saveexec_b64 s[2:3], vcc
	s_cbranch_execz .LBB591_30
; %bb.29:
	s_waitcnt vmcnt(1)
	v_cvt_f32_f16_sdwa v11, v6 dst_sel:DWORD dst_unused:UNUSED_PAD src0_sel:WORD_1
	v_cvt_f32_f16_e32 v10, v6
	v_cvt_f32_f16_sdwa v17, v7 dst_sel:DWORD dst_unused:UNUSED_PAD src0_sel:WORD_1
	v_cvt_f32_f16_e32 v16, v7
	;; [unrolled: 2-line block ×4, first 2 shown]
.LBB591_30:
	s_or_b64 exec, exec, s[2:3]
	s_waitcnt vmcnt(1)
	v_mul_f32_e32 v6, v11, v11
	v_fmac_f32_e32 v6, v10, v10
	v_fmac_f32_e32 v6, v16, v16
	v_fmac_f32_e32 v6, v17, v17
	v_fmac_f32_e32 v6, v14, v14
	v_fmac_f32_e32 v6, v15, v15
	v_fmac_f32_e32 v6, v12, v12
	v_fmac_f32_e32 v6, v13, v13
	s_nop 1
	v_mov_b32_dpp v7, v6 quad_perm:[1,0,3,2] row_mask:0xf bank_mask:0xf
	v_add_f32_e32 v6, v6, v7
	s_nop 1
	v_mov_b32_dpp v7, v6 quad_perm:[2,3,0,1] row_mask:0xf bank_mask:0xf
	v_add_f32_e32 v6, v6, v7
	s_nop 1
	v_mov_b32_dpp v7, v6 row_half_mirror row_mask:0xf bank_mask:0xf
	v_add_f32_e32 v6, v6, v7
	s_nop 1
	v_mov_b32_dpp v7, v6 row_mirror row_mask:0xf bank_mask:0xf
	v_add_f32_e32 v6, v6, v7
	s_nop 1
	v_mov_b32_dpp v7, v6 row_bcast:15 row_mask:0xf bank_mask:0xf
	v_add_f32_e32 v6, v6, v7
	s_nop 1
	v_mov_b32_dpp v7, v6 row_bcast:31 row_mask:0xf bank_mask:0xf
	s_and_saveexec_b64 s[2:3], s[0:1]
	s_cbranch_execz .LBB591_32
; %bb.31:
	v_lshrrev_b32_e32 v0, 4, v0
	v_add_f32_e32 v6, v6, v7
	v_and_b32_e32 v0, 60, v0
	ds_write_b32 v0, v6
.LBB591_32:
	s_or_b64 exec, exec, s[2:3]
	s_waitcnt lgkmcnt(0)
	s_barrier
	ds_read_b32 v0, v18
	s_waitcnt lgkmcnt(0)
	s_nop 0
	v_mov_b32_dpp v6, v0 quad_perm:[1,0,3,2] row_mask:0xf bank_mask:0xf
	v_add_f32_e32 v0, v0, v6
	s_nop 1
	v_mov_b32_dpp v6, v0 quad_perm:[2,3,0,1] row_mask:0xf bank_mask:0xf
	s_and_saveexec_b64 s[0:1], vcc
	s_cbranch_execz .LBB591_12
; %bb.33:
	v_cvt_f32_u32_e32 v7, s20
	v_add_f32_e32 v0, v0, v6
	s_mov_b32 s15, 0x20000
	v_div_scale_f32 v6, s[0:1], v7, v7, v0
	v_rcp_f32_e32 v8, v6
	v_div_scale_f32 v9, vcc, v0, v7, v0
	s_mov_b32 s0, 0x800000
	v_fma_f32 v18, -v6, v8, 1.0
	v_fmac_f32_e32 v8, v18, v8
	v_mul_f32_e32 v18, v9, v8
	v_fma_f32 v19, -v6, v18, v9
	v_fmac_f32_e32 v18, v19, v8
	v_fma_f32 v6, -v6, v18, v9
	v_div_fmas_f32 v6, v6, v8, v18
	v_div_fixup_f32 v0, v6, v7, v0
	v_add_f32_e32 v0, s17, v0
	v_mul_f32_e32 v6, 0x4b800000, v0
	v_cmp_gt_f32_e32 vcc, s0, v0
	v_cndmask_b32_e32 v0, v0, v6, vcc
	v_rsq_f32_e32 v0, v0
	s_waitcnt vmcnt(0)
	v_cvt_f32_f16_sdwa v19, v5 dst_sel:DWORD dst_unused:UNUSED_PAD src0_sel:WORD_1
	v_cvt_f32_f16_e32 v18, v5
	s_mul_hi_i32 s1, s7, s6
	v_mul_f32_e32 v6, 0x45800000, v0
	v_cndmask_b32_e32 v6, v0, v6, vcc
	v_mov_b32_e32 v7, v6
	;;#ASMSTART
	v_pk_mul_f32 v[8:9], v[10:11], v[6:7]
	;;#ASMEND
	;;#ASMSTART
	v_pk_mul_f32 v[10:11], v[16:17], v[6:7]
	;;#ASMEND
	;; [unrolled: 3-line block ×4, first 2 shown]
	v_cvt_f32_f16_sdwa v13, v2 dst_sel:DWORD dst_unused:UNUSED_PAD src0_sel:WORD_1
	v_cvt_f32_f16_e32 v12, v2
	v_cvt_f32_f16_sdwa v17, v3 dst_sel:DWORD dst_unused:UNUSED_PAD src0_sel:WORD_1
	v_cvt_f32_f16_e32 v16, v3
	;; [unrolled: 2-line block ×3, first 2 shown]
	;;#ASMSTART
	v_pk_mul_f32 v[4:5], v[8:9], v[12:13]
	;;#ASMEND
	;;#ASMSTART
	v_pk_mul_f32 v[8:9], v[10:11], v[16:17]
	;;#ASMEND
	;; [unrolled: 3-line block ×4, first 2 shown]
	s_mul_i32 s0, s7, s6
	v_cvt_f16_f32_e32 v0, v4
	v_cvt_f16_f32_e32 v4, v5
	;; [unrolled: 1-line block ×8, first 2 shown]
	s_lshl_b64 s[0:1], s[0:1], 1
	s_add_u32 s12, s28, s0
	s_addc_u32 s0, s29, s1
	s_and_b32 s13, s0, 0xffff
	v_pack_b32_f16 v2, v0, v4
	v_pack_b32_f16 v3, v5, v8
	v_pack_b32_f16 v4, v9, v10
	v_pack_b32_f16 v5, v6, v7
	buffer_store_dwordx4 v[2:5], v1, s[12:15], 0 offen
	;;#ASMSTART
	s_nop 0
	;;#ASMEND
	s_endpgm
	.section	.rodata,"a",@progbits
	.p2align	6, 0x0
	.amdhsa_kernel _ZN5aiter35fused_qk_rmsnorm_group_quant_kernelIDF16_N4opus5fp4_tELi256ELi8ELi4ELb0ELb1ELb0ELb0ELb0ELb0EEEvPT0_PvPT_S7_S7_PKS6_S9_S9_S9_S9_ffiiiiiiiiiiiii
		.amdhsa_group_segment_fixed_size 32
		.amdhsa_private_segment_fixed_size 0
		.amdhsa_kernarg_size 400
		.amdhsa_user_sgpr_count 6
		.amdhsa_user_sgpr_private_segment_buffer 1
		.amdhsa_user_sgpr_dispatch_ptr 0
		.amdhsa_user_sgpr_queue_ptr 0
		.amdhsa_user_sgpr_kernarg_segment_ptr 1
		.amdhsa_user_sgpr_dispatch_id 0
		.amdhsa_user_sgpr_flat_scratch_init 0
		.amdhsa_user_sgpr_kernarg_preload_length 0
		.amdhsa_user_sgpr_kernarg_preload_offset 0
		.amdhsa_user_sgpr_private_segment_size 0
		.amdhsa_uses_dynamic_stack 0
		.amdhsa_system_sgpr_private_segment_wavefront_offset 0
		.amdhsa_system_sgpr_workgroup_id_x 1
		.amdhsa_system_sgpr_workgroup_id_y 1
		.amdhsa_system_sgpr_workgroup_id_z 0
		.amdhsa_system_sgpr_workgroup_info 0
		.amdhsa_system_vgpr_workitem_id 0
		.amdhsa_next_free_vgpr 24
		.amdhsa_next_free_sgpr 36
		.amdhsa_accum_offset 24
		.amdhsa_reserve_vcc 1
		.amdhsa_reserve_flat_scratch 0
		.amdhsa_float_round_mode_32 0
		.amdhsa_float_round_mode_16_64 0
		.amdhsa_float_denorm_mode_32 3
		.amdhsa_float_denorm_mode_16_64 3
		.amdhsa_dx10_clamp 1
		.amdhsa_ieee_mode 1
		.amdhsa_fp16_overflow 0
		.amdhsa_tg_split 0
		.amdhsa_exception_fp_ieee_invalid_op 0
		.amdhsa_exception_fp_denorm_src 0
		.amdhsa_exception_fp_ieee_div_zero 0
		.amdhsa_exception_fp_ieee_overflow 0
		.amdhsa_exception_fp_ieee_underflow 0
		.amdhsa_exception_fp_ieee_inexact 0
		.amdhsa_exception_int_div_zero 0
	.end_amdhsa_kernel
	.section	.text._ZN5aiter35fused_qk_rmsnorm_group_quant_kernelIDF16_N4opus5fp4_tELi256ELi8ELi4ELb0ELb1ELb0ELb0ELb0ELb0EEEvPT0_PvPT_S7_S7_PKS6_S9_S9_S9_S9_ffiiiiiiiiiiiii,"axG",@progbits,_ZN5aiter35fused_qk_rmsnorm_group_quant_kernelIDF16_N4opus5fp4_tELi256ELi8ELi4ELb0ELb1ELb0ELb0ELb0ELb0EEEvPT0_PvPT_S7_S7_PKS6_S9_S9_S9_S9_ffiiiiiiiiiiiii,comdat
.Lfunc_end591:
	.size	_ZN5aiter35fused_qk_rmsnorm_group_quant_kernelIDF16_N4opus5fp4_tELi256ELi8ELi4ELb0ELb1ELb0ELb0ELb0ELb0EEEvPT0_PvPT_S7_S7_PKS6_S9_S9_S9_S9_ffiiiiiiiiiiiii, .Lfunc_end591-_ZN5aiter35fused_qk_rmsnorm_group_quant_kernelIDF16_N4opus5fp4_tELi256ELi8ELi4ELb0ELb1ELb0ELb0ELb0ELb0EEEvPT0_PvPT_S7_S7_PKS6_S9_S9_S9_S9_ffiiiiiiiiiiiii
                                        ; -- End function
	.section	.AMDGPU.csdata,"",@progbits
; Kernel info:
; codeLenInByte = 2432
; NumSgprs: 40
; NumVgprs: 24
; NumAgprs: 0
; TotalNumVgprs: 24
; ScratchSize: 0
; MemoryBound: 0
; FloatMode: 240
; IeeeMode: 1
; LDSByteSize: 32 bytes/workgroup (compile time only)
; SGPRBlocks: 4
; VGPRBlocks: 2
; NumSGPRsForWavesPerEU: 40
; NumVGPRsForWavesPerEU: 24
; AccumOffset: 24
; Occupancy: 8
; WaveLimiterHint : 0
; COMPUTE_PGM_RSRC2:SCRATCH_EN: 0
; COMPUTE_PGM_RSRC2:USER_SGPR: 6
; COMPUTE_PGM_RSRC2:TRAP_HANDLER: 0
; COMPUTE_PGM_RSRC2:TGID_X_EN: 1
; COMPUTE_PGM_RSRC2:TGID_Y_EN: 1
; COMPUTE_PGM_RSRC2:TGID_Z_EN: 0
; COMPUTE_PGM_RSRC2:TIDIG_COMP_CNT: 0
; COMPUTE_PGM_RSRC3_GFX90A:ACCUM_OFFSET: 5
; COMPUTE_PGM_RSRC3_GFX90A:TG_SPLIT: 0
	.section	.text._ZN5aiter35fused_qk_rmsnorm_group_quant_kernelItN4opus5fp4_tELi256ELi8ELi4ELb0ELb1ELb0ELb0ELb0ELb0EEEvPT0_PvPT_S7_S7_PKS6_S9_S9_S9_S9_ffiiiiiiiiiiiii,"axG",@progbits,_ZN5aiter35fused_qk_rmsnorm_group_quant_kernelItN4opus5fp4_tELi256ELi8ELi4ELb0ELb1ELb0ELb0ELb0ELb0EEEvPT0_PvPT_S7_S7_PKS6_S9_S9_S9_S9_ffiiiiiiiiiiiii,comdat
	.protected	_ZN5aiter35fused_qk_rmsnorm_group_quant_kernelItN4opus5fp4_tELi256ELi8ELi4ELb0ELb1ELb0ELb0ELb0ELb0EEEvPT0_PvPT_S7_S7_PKS6_S9_S9_S9_S9_ffiiiiiiiiiiiii ; -- Begin function _ZN5aiter35fused_qk_rmsnorm_group_quant_kernelItN4opus5fp4_tELi256ELi8ELi4ELb0ELb1ELb0ELb0ELb0ELb0EEEvPT0_PvPT_S7_S7_PKS6_S9_S9_S9_S9_ffiiiiiiiiiiiii
	.globl	_ZN5aiter35fused_qk_rmsnorm_group_quant_kernelItN4opus5fp4_tELi256ELi8ELi4ELb0ELb1ELb0ELb0ELb0ELb0EEEvPT0_PvPT_S7_S7_PKS6_S9_S9_S9_S9_ffiiiiiiiiiiiii
	.p2align	8
	.type	_ZN5aiter35fused_qk_rmsnorm_group_quant_kernelItN4opus5fp4_tELi256ELi8ELi4ELb0ELb1ELb0ELb0ELb0ELb0EEEvPT0_PvPT_S7_S7_PKS6_S9_S9_S9_S9_ffiiiiiiiiiiiii,@function
_ZN5aiter35fused_qk_rmsnorm_group_quant_kernelItN4opus5fp4_tELi256ELi8ELi4ELb0ELb1ELb0ELb0ELb0ELb0EEEvPT0_PvPT_S7_S7_PKS6_S9_S9_S9_S9_ffiiiiiiiiiiiii: ; @_ZN5aiter35fused_qk_rmsnorm_group_quant_kernelItN4opus5fp4_tELi256ELi8ELi4ELb0ELb1ELb0ELb0ELb0ELb0EEEvPT0_PvPT_S7_S7_PKS6_S9_S9_S9_S9_ffiiiiiiiiiiiii
; %bb.0:
	s_load_dwordx4 s[16:19], s[4:5], 0x50
	s_waitcnt lgkmcnt(0)
	s_cmp_ge_i32 s6, s18
	s_cbranch_scc1 .LBB592_10
; %bb.1:
	s_load_dwordx2 s[12:13], s[4:5], 0x48
	s_load_dwordx2 s[30:31], s[4:5], 0x30
	s_load_dwordx4 s[20:23], s[4:5], 0x60
	s_cmp_lg_u32 s7, 0
	s_cselect_b64 s[14:15], -1, 0
	s_cmp_eq_u32 s7, 0
	s_cselect_b64 vcc, -1, 0
	s_and_b64 s[0:1], vcc, exec
	s_waitcnt lgkmcnt(0)
	s_cselect_b32 s7, s19, s20
	s_add_i32 s0, s7, 1
	s_lshr_b32 s1, s0, 31
	s_add_i32 s0, s0, s1
	s_lshl_b32 s0, s0, 1
	v_lshlrev_b32_e32 v1, 3, v0
	s_and_b32 s10, s0, -4
	v_cmp_gt_i32_e64 s[2:3], s7, v1
	v_mov_b32_e32 v2, 0
	v_mov_b32_e32 v3, 0
	;; [unrolled: 1-line block ×8, first 2 shown]
	s_and_saveexec_b64 s[0:1], s[2:3]
	s_cbranch_execz .LBB592_3
; %bb.2:
	s_load_dwordx2 s[8:9], s[4:5], 0x28
	s_load_dwordx2 s[26:27], s[4:5], 0x40
	s_and_b64 s[24:25], vcc, exec
	s_cselect_b32 s11, s21, s22
	v_lshlrev_b32_e32 v10, 4, v0
	s_waitcnt lgkmcnt(0)
	s_cselect_b32 s18, s9, s31
	s_cselect_b32 s21, s8, s30
	s_mul_hi_i32 s9, s11, s6
	s_mul_i32 s8, s11, s6
	s_lshl_b64 s[8:9], s[8:9], 1
	s_add_u32 s24, s21, s8
	s_addc_u32 s18, s18, s9
	s_and_b64 s[8:9], vcc, exec
	s_mov_b32 s11, 0x20000
	s_cselect_b32 s8, s26, s12
	s_cselect_b32 s9, s27, s13
	s_and_b32 s25, s18, 0xffff
	s_mov_b32 s26, s10
	s_mov_b32 s27, s11
	s_and_b32 s9, s9, 0xffff
	buffer_load_dwordx4 v[6:9], v10, s[24:27], 0 offen glc slc
	buffer_load_dwordx4 v[2:5], v10, s[8:11], 0 offen
.LBB592_3:
	s_or_b64 exec, exec, s[0:1]
	s_waitcnt vmcnt(1)
	v_cvt_f32_u32_sdwa v13, v6 dst_sel:DWORD dst_unused:UNUSED_PAD src0_sel:WORD_1
	v_cvt_f32_u32_sdwa v12, v6 dst_sel:DWORD dst_unused:UNUSED_PAD src0_sel:WORD_0
	v_cvt_f32_u32_sdwa v6, v9 dst_sel:DWORD dst_unused:UNUSED_PAD src0_sel:WORD_1
	v_cvt_f32_u32_sdwa v9, v9 dst_sel:DWORD dst_unused:UNUSED_PAD src0_sel:WORD_0
	v_cvt_f32_u32_sdwa v14, v8 dst_sel:DWORD dst_unused:UNUSED_PAD src0_sel:WORD_1
	v_cvt_f32_u32_sdwa v10, v7 dst_sel:DWORD dst_unused:UNUSED_PAD src0_sel:WORD_0
	v_cvt_f32_u32_sdwa v11, v7 dst_sel:DWORD dst_unused:UNUSED_PAD src0_sel:WORD_1
	v_cvt_f32_u32_sdwa v8, v8 dst_sel:DWORD dst_unused:UNUSED_PAD src0_sel:WORD_0
	v_cndmask_b32_e64 v13, 0, v13, s[2:3]
	v_cndmask_b32_e64 v7, 0, v6, s[2:3]
	;; [unrolled: 1-line block ×5, first 2 shown]
	v_mul_f32_e32 v14, v13, v13
	v_cndmask_b32_e64 v10, 0, v10, s[2:3]
	v_fmac_f32_e32 v14, v12, v12
	v_cndmask_b32_e64 v11, 0, v11, s[2:3]
	v_fmac_f32_e32 v14, v10, v10
	;; [unrolled: 2-line block ×3, first 2 shown]
	v_fmac_f32_e32 v14, v8, v8
	v_fmac_f32_e32 v14, v9, v9
	;; [unrolled: 1-line block ×4, first 2 shown]
	v_and_b32_e32 v16, 63, v0
	v_cmp_eq_u32_e64 s[0:1], 63, v16
	v_mov_b32_dpp v15, v14 quad_perm:[1,0,3,2] row_mask:0xf bank_mask:0xf
	v_add_f32_e32 v14, v14, v15
	s_nop 1
	v_mov_b32_dpp v15, v14 quad_perm:[2,3,0,1] row_mask:0xf bank_mask:0xf
	v_add_f32_e32 v14, v14, v15
	s_nop 1
	v_mov_b32_dpp v15, v14 row_half_mirror row_mask:0xf bank_mask:0xf
	v_add_f32_e32 v14, v14, v15
	s_nop 1
	v_mov_b32_dpp v15, v14 row_mirror row_mask:0xf bank_mask:0xf
	v_add_f32_e32 v14, v14, v15
	s_nop 1
	v_mov_b32_dpp v15, v14 row_bcast:15 row_mask:0xf bank_mask:0xf
	v_add_f32_e32 v14, v14, v15
	s_nop 1
	v_mov_b32_dpp v15, v14 row_bcast:31 row_mask:0xf bank_mask:0xf
	s_and_saveexec_b64 s[8:9], s[0:1]
	s_cbranch_execz .LBB592_5
; %bb.4:
	v_add_f32_e32 v14, v14, v15
	v_lshrrev_b32_e32 v15, 4, v0
	v_and_b32_e32 v15, 60, v15
	ds_write_b32 v15, v14 offset:16
.LBB592_5:
	s_or_b64 exec, exec, s[8:9]
	v_and_b32_e32 v15, 3, v0
	v_lshlrev_b32_e32 v14, 2, v15
	s_waitcnt lgkmcnt(0)
	s_barrier
	ds_read_b32 v16, v14 offset:16
	s_load_dwordx2 s[28:29], s[4:5], 0x18
	s_waitcnt lgkmcnt(0)
	v_mov_b32_dpp v17, v16 quad_perm:[1,0,3,2] row_mask:0xf bank_mask:0xf
	v_add_f32_e32 v16, v16, v17
	s_nop 1
	v_mov_b32_dpp v17, v16 quad_perm:[2,3,0,1] row_mask:0xf bank_mask:0xf
	s_and_saveexec_b64 s[8:9], s[2:3]
	s_cbranch_execz .LBB592_7
; %bb.6:
	v_cvt_f32_u32_e32 v18, s7
	v_add_f32_e32 v16, v16, v17
	v_mov_b32_e32 v20, s17
	v_mov_b32_e32 v21, s16
	v_div_scale_f32 v17, s[24:25], v18, v18, v16
	v_rcp_f32_e32 v19, v17
	v_cndmask_b32_e32 v20, v20, v21, vcc
	s_mov_b32 s7, 0x800000
	v_fma_f32 v21, -v17, v19, 1.0
	v_fmac_f32_e32 v19, v21, v19
	v_div_scale_f32 v21, vcc, v16, v18, v16
	v_mul_f32_e32 v22, v21, v19
	v_fma_f32 v23, -v17, v22, v21
	v_fmac_f32_e32 v22, v23, v19
	v_fma_f32 v17, -v17, v22, v21
	v_div_fmas_f32 v17, v17, v19, v22
	v_div_fixup_f32 v16, v17, v18, v16
	v_add_f32_e32 v16, v20, v16
	v_mul_f32_e32 v17, 0x4b800000, v16
	v_cmp_gt_f32_e32 vcc, s7, v16
	v_cndmask_b32_e32 v16, v16, v17, vcc
	v_rsq_f32_e32 v16, v16
	s_waitcnt vmcnt(0)
	v_cvt_f32_u32_sdwa v19, v3 dst_sel:DWORD dst_unused:UNUSED_PAD src0_sel:WORD_1
	v_cvt_f32_u32_sdwa v18, v3 dst_sel:DWORD dst_unused:UNUSED_PAD src0_sel:WORD_0
	v_cvt_f32_u32_sdwa v3, v4 dst_sel:DWORD dst_unused:UNUSED_PAD src0_sel:WORD_1
	v_mul_f32_e32 v17, 0x45800000, v16
	v_cndmask_b32_e32 v16, v16, v17, vcc
	v_mov_b32_e32 v17, v16
	;;#ASMSTART
	v_pk_mul_f32 v[12:13], v[12:13], v[16:17]
	;;#ASMEND
	;;#ASMSTART
	v_pk_mul_f32 v[10:11], v[10:11], v[16:17]
	;;#ASMEND
	;; [unrolled: 3-line block ×4, first 2 shown]
	v_cvt_f32_u32_sdwa v17, v2 dst_sel:DWORD dst_unused:UNUSED_PAD src0_sel:WORD_1
	v_cvt_f32_u32_sdwa v16, v2 dst_sel:DWORD dst_unused:UNUSED_PAD src0_sel:WORD_0
	v_cvt_f32_u32_sdwa v2, v4 dst_sel:DWORD dst_unused:UNUSED_PAD src0_sel:WORD_0
	v_cvt_f32_u32_sdwa v21, v5 dst_sel:DWORD dst_unused:UNUSED_PAD src0_sel:WORD_1
	v_cvt_f32_u32_sdwa v20, v5 dst_sel:DWORD dst_unused:UNUSED_PAD src0_sel:WORD_0
	;;#ASMSTART
	v_pk_mul_f32 v[12:13], v[12:13], v[16:17]
	;;#ASMEND
	;;#ASMSTART
	v_pk_mul_f32 v[10:11], v[10:11], v[18:19]
	;;#ASMEND
	;; [unrolled: 3-line block ×4, first 2 shown]
.LBB592_7:
	s_or_b64 exec, exec, s[8:9]
	s_load_dword s7, s[4:5], 0x80
	s_mov_b64 s[8:9], -1
	s_and_b64 vcc, exec, s[14:15]
	s_cbranch_vccnz .LBB592_11
; %bb.8:
	s_andn2_b64 vcc, exec, s[8:9]
	s_cbranch_vccz .LBB592_14
.LBB592_9:
	s_cmp_lt_i32 s20, 1
	s_cbranch_scc0 .LBB592_23
.LBB592_10:
	s_endpgm
.LBB592_11:
	s_and_saveexec_b64 s[14:15], s[2:3]
	s_cbranch_execz .LBB592_13
; %bb.12:
	s_waitcnt lgkmcnt(0)
	s_mul_hi_i32 s9, s7, s6
	s_mul_i32 s8, s7, s6
	s_lshl_b64 s[8:9], s[8:9], 1
	s_add_u32 s8, s28, s8
	s_addc_u32 s9, s29, s9
	s_mov_b32 s16, 0x7060302
	s_and_b32 s9, s9, 0xffff
	s_mov_b32 s11, 0x20000
	s_waitcnt vmcnt(0)
	v_perm_b32 v2, v13, v12, s16
	v_perm_b32 v3, v11, v10, s16
	;; [unrolled: 1-line block ×4, first 2 shown]
	v_lshlrev_b32_e32 v16, 4, v0
	buffer_store_dwordx4 v[2:5], v16, s[8:11], 0 offen
	;;#ASMSTART
	s_nop 0
	;;#ASMEND
.LBB592_13:
	s_or_b64 exec, exec, s[14:15]
	s_cbranch_execnz .LBB592_9
.LBB592_14:
	s_load_dwordx4 s[24:27], s[4:5], 0x70
	s_waitcnt vmcnt(0)
	v_mov_b32_e32 v2, 0
	s_and_saveexec_b64 s[14:15], s[2:3]
	s_cbranch_execz .LBB592_16
; %bb.15:
	s_load_dwordx2 s[8:9], s[4:5], 0x10
	s_waitcnt lgkmcnt(0)
	s_mul_hi_i32 s35, s27, s6
	s_mul_i32 s34, s27, s6
	s_lshl_b64 s[34:35], s[34:35], 1
	s_mov_b32 s16, 0x7060302
	s_add_u32 s8, s8, s34
	s_addc_u32 s9, s9, s35
	s_mov_b32 s11, 0x20000
	s_and_b32 s9, s9, 0xffff
	v_perm_b32 v2, v13, v12, s16
	v_perm_b32 v3, v11, v10, s16
	;; [unrolled: 1-line block ×4, first 2 shown]
	v_lshlrev_b32_e32 v16, 4, v0
	buffer_store_dwordx4 v[2:5], v16, s[8:11], 0 offen
	;;#ASMSTART
	s_nop 0
	;;#ASMEND
	s_nop 0
	v_mov_b32_e32 v2, 0x2edbe6ff
.LBB592_16:
	s_or_b64 exec, exec, s[14:15]
	s_and_saveexec_b64 s[8:9], s[2:3]
	s_cbranch_execz .LBB592_18
; %bb.17:
	v_and_b32_e32 v3, 0x7fffffff, v12
	v_and_b32_e32 v4, 0x7fffffff, v13
	;;#ASMSTART
	v_max3_f32 v2, v2, v3, v4

	;;#ASMEND
	v_and_b32_e32 v3, 0x7fffffff, v10
	v_and_b32_e32 v4, 0x7fffffff, v11
	;;#ASMSTART
	v_max3_f32 v2, v2, v3, v4

	;;#ASMEND
	;; [unrolled: 6-line block ×4, first 2 shown]
.LBB592_18:
	s_or_b64 exec, exec, s[8:9]
	v_cmp_eq_u32_e32 vcc, 0, v15
	v_cmp_gt_i32_e64 s[8:9], s19, v1
	s_and_b64 s[10:11], vcc, s[8:9]
	;;#ASMSTART
	v_max_f32 v3, v2, v2 quad_perm:[1,0,3,2] row_mask:0xf bank_mask:0xf bound_ctrl:1
	;;#ASMEND
	;;#ASMSTART
	v_max_f32 v2, v3, v3 quad_perm:[2,3,0,1] row_mask:0xf bank_mask:0xf bound_ctrl:1
	;;#ASMEND
	s_and_saveexec_b64 s[8:9], s[10:11]
	s_cbranch_execz .LBB592_20
; %bb.19:
	s_load_dwordx2 s[10:11], s[4:5], 0x8
	v_mul_f32_e32 v2, 0x3e2aaaab, v2
	v_lshrrev_b32_e32 v3, 23, v2
	v_and_b32_e32 v4, 0x7f800000, v2
	v_and_b32_e32 v2, 0x7fffff, v2
	v_cmp_ne_u32_e32 vcc, 0, v2
	s_waitcnt lgkmcnt(0)
	s_mul_i32 s16, s25, s6
	s_mov_b32 s14, 0x7f800000
	v_addc_co_u32_e32 v2, vcc, 0, v3, vcc
	s_mul_hi_i32 s15, s25, s6
	s_add_u32 s10, s10, s16
	v_cmp_ne_u32_e32 vcc, s14, v4
	s_addc_u32 s11, s11, s15
	v_lshrrev_b32_e32 v5, 2, v0
	v_cndmask_b32_e32 v4, -1, v2, vcc
	v_pk_mov_b32 v[2:3], s[10:11], s[10:11] op_sel:[0,1]
	v_mad_i64_i32 v[2:3], s[10:11], s26, v5, v[2:3]
	global_store_byte v[2:3], v4, off
.LBB592_20:
	s_or_b64 exec, exec, s[8:9]
	s_and_saveexec_b64 s[8:9], s[2:3]
	s_cbranch_execz .LBB592_22
; %bb.21:
	s_load_dwordx2 s[2:3], s[4:5], 0x0
	s_waitcnt lgkmcnt(0)
	s_mul_i32 s11, s24, s6
	s_mul_hi_i32 s10, s24, s6
	v_lshlrev_b32_e32 v2, 2, v0
	s_mov_b32 s27, 0x20000
	s_add_u32 s24, s2, s11
	s_addc_u32 s2, s3, s10
	s_lshr_b32 s3, s19, 31
	s_add_i32 s3, s19, s3
	s_ashr_i32 s3, s3, 1
	s_add_i32 s3, s3, 3
	s_ashr_i32 s10, s3, 31
	s_lshr_b32 s10, s10, 30
	s_add_i32 s3, s3, s10
	s_and_b32 s26, s3, -4
	s_and_b32 s25, s2, 0xffff
	v_mov_b32_e32 v3, 0
	buffer_store_dword v3, v2, s[24:27], 0 offen
	;;#ASMSTART
	s_nop 0
	;;#ASMEND
.LBB592_22:
	s_or_b64 exec, exec, s[8:9]
	s_cmp_lt_i32 s20, 1
	s_cbranch_scc1 .LBB592_10
.LBB592_23:
	s_load_dword s2, s[4:5], 0x94
	s_waitcnt lgkmcnt(0)
	s_cmp_lg_u32 s2, 1
	s_cbranch_scc1 .LBB592_10
; %bb.24:
	s_lshl_b32 s2, s20, 1
	s_add_i32 s2, s2, 2
	v_cmp_gt_u32_e32 vcc, s20, v1
	s_and_b32 s14, s2, -4
	v_mov_b32_e32 v6, 0
	v_lshlrev_b32_e32 v1, 4, v0
	v_mov_b32_e32 v7, 0
	v_mov_b32_e32 v8, 0
	;; [unrolled: 1-line block ×3, first 2 shown]
	s_waitcnt vmcnt(0)
	v_mov_b32_e32 v2, 0
	v_mov_b32_e32 v3, 0
	;; [unrolled: 1-line block ×4, first 2 shown]
	s_barrier
	s_and_saveexec_b64 s[2:3], vcc
	s_cbranch_execz .LBB592_26
; %bb.25:
	s_mul_hi_i32 s5, s22, s6
	s_mul_i32 s4, s22, s6
	s_and_b32 s13, s13, 0xffff
	s_lshl_b64 s[4:5], s[4:5], 1
	s_add_u32 s8, s30, s4
	s_mov_b32 s15, 0x20000
	s_addc_u32 s4, s31, s5
	s_and_b32 s9, s4, 0xffff
	s_mov_b32 s10, s14
	s_mov_b32 s11, s15
	buffer_load_dwordx4 v[6:9], v1, s[8:11], 0 offen glc slc
	buffer_load_dwordx4 v[2:5], v1, s[12:15], 0 offen
.LBB592_26:
	s_or_b64 exec, exec, s[2:3]
	s_waitcnt vmcnt(1)
	v_cvt_f32_u32_sdwa v13, v6 dst_sel:DWORD dst_unused:UNUSED_PAD src0_sel:WORD_1
	v_cvt_f32_u32_sdwa v12, v6 dst_sel:DWORD dst_unused:UNUSED_PAD src0_sel:WORD_0
	v_cvt_f32_u32_sdwa v6, v9 dst_sel:DWORD dst_unused:UNUSED_PAD src0_sel:WORD_1
	v_cvt_f32_u32_sdwa v9, v9 dst_sel:DWORD dst_unused:UNUSED_PAD src0_sel:WORD_0
	;; [unrolled: 2-line block ×4, first 2 shown]
	v_cndmask_b32_e32 v13, 0, v13, vcc
	v_cndmask_b32_e32 v7, 0, v6, vcc
	;; [unrolled: 1-line block ×5, first 2 shown]
	v_mul_f32_e32 v15, v13, v13
	v_cndmask_b32_e32 v10, 0, v10, vcc
	v_fmac_f32_e32 v15, v12, v12
	v_cndmask_b32_e32 v11, 0, v11, vcc
	v_fmac_f32_e32 v15, v10, v10
	v_cndmask_b32_e32 v8, 0, v8, vcc
	v_fmac_f32_e32 v15, v11, v11
	v_fmac_f32_e32 v15, v8, v8
	v_fmac_f32_e32 v15, v9, v9
	;; [unrolled: 1-line block ×4, first 2 shown]
	s_nop 1
	v_mov_b32_dpp v16, v15 quad_perm:[1,0,3,2] row_mask:0xf bank_mask:0xf
	v_add_f32_e32 v15, v15, v16
	s_nop 1
	v_mov_b32_dpp v16, v15 quad_perm:[2,3,0,1] row_mask:0xf bank_mask:0xf
	v_add_f32_e32 v15, v15, v16
	s_nop 1
	v_mov_b32_dpp v16, v15 row_half_mirror row_mask:0xf bank_mask:0xf
	v_add_f32_e32 v15, v15, v16
	s_nop 1
	v_mov_b32_dpp v16, v15 row_mirror row_mask:0xf bank_mask:0xf
	v_add_f32_e32 v15, v15, v16
	s_nop 1
	v_mov_b32_dpp v16, v15 row_bcast:15 row_mask:0xf bank_mask:0xf
	v_add_f32_e32 v15, v15, v16
	s_nop 1
	v_mov_b32_dpp v16, v15 row_bcast:31 row_mask:0xf bank_mask:0xf
	s_and_saveexec_b64 s[2:3], s[0:1]
	s_cbranch_execz .LBB592_28
; %bb.27:
	v_lshrrev_b32_e32 v0, 4, v0
	v_add_f32_e32 v15, v15, v16
	v_and_b32_e32 v0, 60, v0
	ds_write_b32 v0, v15
.LBB592_28:
	s_or_b64 exec, exec, s[2:3]
	s_waitcnt lgkmcnt(0)
	s_barrier
	ds_read_b32 v0, v14
	s_waitcnt lgkmcnt(0)
	s_nop 0
	v_mov_b32_dpp v14, v0 quad_perm:[1,0,3,2] row_mask:0xf bank_mask:0xf
	v_add_f32_e32 v0, v0, v14
	s_nop 1
	v_mov_b32_dpp v14, v0 quad_perm:[2,3,0,1] row_mask:0xf bank_mask:0xf
	s_and_saveexec_b64 s[0:1], vcc
	s_cbranch_execz .LBB592_10
; %bb.29:
	v_cvt_f32_u32_e32 v15, s20
	v_add_f32_e32 v0, v0, v14
	s_mov_b32 s15, 0x20000
	v_div_scale_f32 v14, s[0:1], v15, v15, v0
	v_rcp_f32_e32 v16, v14
	v_div_scale_f32 v17, vcc, v0, v15, v0
	s_mov_b32 s0, 0x800000
	v_fma_f32 v18, -v14, v16, 1.0
	v_fmac_f32_e32 v16, v18, v16
	v_mul_f32_e32 v18, v17, v16
	v_fma_f32 v19, -v14, v18, v17
	v_fmac_f32_e32 v18, v19, v16
	v_fma_f32 v14, -v14, v18, v17
	v_div_fmas_f32 v14, v14, v16, v18
	v_div_fixup_f32 v0, v14, v15, v0
	v_add_f32_e32 v0, s17, v0
	v_mul_f32_e32 v14, 0x4b800000, v0
	v_cmp_gt_f32_e32 vcc, s0, v0
	v_cndmask_b32_e32 v0, v0, v14, vcc
	v_rsq_f32_e32 v0, v0
	s_mul_hi_i32 s1, s7, s6
	s_mul_i32 s0, s7, s6
	s_lshl_b64 s[0:1], s[0:1], 1
	v_mul_f32_e32 v14, 0x45800000, v0
	v_cndmask_b32_e32 v14, v0, v14, vcc
	s_add_u32 s12, s28, s0
	v_mov_b32_e32 v15, v14
	s_addc_u32 s0, s29, s1
	;;#ASMSTART
	v_pk_mul_f32 v[12:13], v[12:13], v[14:15]
	;;#ASMEND
	;;#ASMSTART
	v_pk_mul_f32 v[10:11], v[10:11], v[14:15]
	;;#ASMEND
	;; [unrolled: 3-line block ×4, first 2 shown]
	s_waitcnt vmcnt(0)
	v_cvt_f32_u32_sdwa v15, v2 dst_sel:DWORD dst_unused:UNUSED_PAD src0_sel:WORD_1
	v_cvt_f32_u32_sdwa v14, v2 dst_sel:DWORD dst_unused:UNUSED_PAD src0_sel:WORD_0
	v_cvt_f32_u32_sdwa v17, v3 dst_sel:DWORD dst_unused:UNUSED_PAD src0_sel:WORD_1
	v_cvt_f32_u32_sdwa v16, v3 dst_sel:DWORD dst_unused:UNUSED_PAD src0_sel:WORD_0
	;; [unrolled: 2-line block ×4, first 2 shown]
	;;#ASMSTART
	v_pk_mul_f32 v[4:5], v[12:13], v[14:15]
	;;#ASMEND
	s_and_b32 s13, s0, 0xffff
	s_mov_b32 s0, 0x7060302
	;;#ASMSTART
	v_pk_mul_f32 v[10:11], v[10:11], v[16:17]
	;;#ASMEND
	;;#ASMSTART
	v_pk_mul_f32 v[8:9], v[8:9], v[2:3]
	;;#ASMEND
	;;#ASMSTART
	v_pk_mul_f32 v[6:7], v[6:7], v[18:19]
	;;#ASMEND
	v_perm_b32 v2, v5, v4, s0
	v_perm_b32 v3, v11, v10, s0
	;; [unrolled: 1-line block ×4, first 2 shown]
	buffer_store_dwordx4 v[2:5], v1, s[12:15], 0 offen
	;;#ASMSTART
	s_nop 0
	;;#ASMEND
	s_endpgm
	.section	.rodata,"a",@progbits
	.p2align	6, 0x0
	.amdhsa_kernel _ZN5aiter35fused_qk_rmsnorm_group_quant_kernelItN4opus5fp4_tELi256ELi8ELi4ELb0ELb1ELb0ELb0ELb0ELb0EEEvPT0_PvPT_S7_S7_PKS6_S9_S9_S9_S9_ffiiiiiiiiiiiii
		.amdhsa_group_segment_fixed_size 32
		.amdhsa_private_segment_fixed_size 0
		.amdhsa_kernarg_size 400
		.amdhsa_user_sgpr_count 6
		.amdhsa_user_sgpr_private_segment_buffer 1
		.amdhsa_user_sgpr_dispatch_ptr 0
		.amdhsa_user_sgpr_queue_ptr 0
		.amdhsa_user_sgpr_kernarg_segment_ptr 1
		.amdhsa_user_sgpr_dispatch_id 0
		.amdhsa_user_sgpr_flat_scratch_init 0
		.amdhsa_user_sgpr_kernarg_preload_length 0
		.amdhsa_user_sgpr_kernarg_preload_offset 0
		.amdhsa_user_sgpr_private_segment_size 0
		.amdhsa_uses_dynamic_stack 0
		.amdhsa_system_sgpr_private_segment_wavefront_offset 0
		.amdhsa_system_sgpr_workgroup_id_x 1
		.amdhsa_system_sgpr_workgroup_id_y 1
		.amdhsa_system_sgpr_workgroup_id_z 0
		.amdhsa_system_sgpr_workgroup_info 0
		.amdhsa_system_vgpr_workitem_id 0
		.amdhsa_next_free_vgpr 24
		.amdhsa_next_free_sgpr 36
		.amdhsa_accum_offset 24
		.amdhsa_reserve_vcc 1
		.amdhsa_reserve_flat_scratch 0
		.amdhsa_float_round_mode_32 0
		.amdhsa_float_round_mode_16_64 0
		.amdhsa_float_denorm_mode_32 3
		.amdhsa_float_denorm_mode_16_64 3
		.amdhsa_dx10_clamp 1
		.amdhsa_ieee_mode 1
		.amdhsa_fp16_overflow 0
		.amdhsa_tg_split 0
		.amdhsa_exception_fp_ieee_invalid_op 0
		.amdhsa_exception_fp_denorm_src 0
		.amdhsa_exception_fp_ieee_div_zero 0
		.amdhsa_exception_fp_ieee_overflow 0
		.amdhsa_exception_fp_ieee_underflow 0
		.amdhsa_exception_fp_ieee_inexact 0
		.amdhsa_exception_int_div_zero 0
	.end_amdhsa_kernel
	.section	.text._ZN5aiter35fused_qk_rmsnorm_group_quant_kernelItN4opus5fp4_tELi256ELi8ELi4ELb0ELb1ELb0ELb0ELb0ELb0EEEvPT0_PvPT_S7_S7_PKS6_S9_S9_S9_S9_ffiiiiiiiiiiiii,"axG",@progbits,_ZN5aiter35fused_qk_rmsnorm_group_quant_kernelItN4opus5fp4_tELi256ELi8ELi4ELb0ELb1ELb0ELb0ELb0ELb0EEEvPT0_PvPT_S7_S7_PKS6_S9_S9_S9_S9_ffiiiiiiiiiiiii,comdat
.Lfunc_end592:
	.size	_ZN5aiter35fused_qk_rmsnorm_group_quant_kernelItN4opus5fp4_tELi256ELi8ELi4ELb0ELb1ELb0ELb0ELb0ELb0EEEvPT0_PvPT_S7_S7_PKS6_S9_S9_S9_S9_ffiiiiiiiiiiiii, .Lfunc_end592-_ZN5aiter35fused_qk_rmsnorm_group_quant_kernelItN4opus5fp4_tELi256ELi8ELi4ELb0ELb1ELb0ELb0ELb0ELb0EEEvPT0_PvPT_S7_S7_PKS6_S9_S9_S9_S9_ffiiiiiiiiiiiii
                                        ; -- End function
	.section	.AMDGPU.csdata,"",@progbits
; Kernel info:
; codeLenInByte = 2424
; NumSgprs: 40
; NumVgprs: 24
; NumAgprs: 0
; TotalNumVgprs: 24
; ScratchSize: 0
; MemoryBound: 0
; FloatMode: 240
; IeeeMode: 1
; LDSByteSize: 32 bytes/workgroup (compile time only)
; SGPRBlocks: 4
; VGPRBlocks: 2
; NumSGPRsForWavesPerEU: 40
; NumVGPRsForWavesPerEU: 24
; AccumOffset: 24
; Occupancy: 8
; WaveLimiterHint : 0
; COMPUTE_PGM_RSRC2:SCRATCH_EN: 0
; COMPUTE_PGM_RSRC2:USER_SGPR: 6
; COMPUTE_PGM_RSRC2:TRAP_HANDLER: 0
; COMPUTE_PGM_RSRC2:TGID_X_EN: 1
; COMPUTE_PGM_RSRC2:TGID_Y_EN: 1
; COMPUTE_PGM_RSRC2:TGID_Z_EN: 0
; COMPUTE_PGM_RSRC2:TIDIG_COMP_CNT: 0
; COMPUTE_PGM_RSRC3_GFX90A:ACCUM_OFFSET: 5
; COMPUTE_PGM_RSRC3_GFX90A:TG_SPLIT: 0
	.section	.text._ZN5aiter35fused_qk_rmsnorm_group_quant_kernelIDF16_DB8_Li256ELi8ELi4ELb0ELb0ELb1ELb0ELb0ELb0EEEvPT0_PvPT_S6_S6_PKS5_S8_S8_S8_S8_ffiiiiiiiiiiiii,"axG",@progbits,_ZN5aiter35fused_qk_rmsnorm_group_quant_kernelIDF16_DB8_Li256ELi8ELi4ELb0ELb0ELb1ELb0ELb0ELb0EEEvPT0_PvPT_S6_S6_PKS5_S8_S8_S8_S8_ffiiiiiiiiiiiii,comdat
	.protected	_ZN5aiter35fused_qk_rmsnorm_group_quant_kernelIDF16_DB8_Li256ELi8ELi4ELb0ELb0ELb1ELb0ELb0ELb0EEEvPT0_PvPT_S6_S6_PKS5_S8_S8_S8_S8_ffiiiiiiiiiiiii ; -- Begin function _ZN5aiter35fused_qk_rmsnorm_group_quant_kernelIDF16_DB8_Li256ELi8ELi4ELb0ELb0ELb1ELb0ELb0ELb0EEEvPT0_PvPT_S6_S6_PKS5_S8_S8_S8_S8_ffiiiiiiiiiiiii
	.globl	_ZN5aiter35fused_qk_rmsnorm_group_quant_kernelIDF16_DB8_Li256ELi8ELi4ELb0ELb0ELb1ELb0ELb0ELb0EEEvPT0_PvPT_S6_S6_PKS5_S8_S8_S8_S8_ffiiiiiiiiiiiii
	.p2align	8
	.type	_ZN5aiter35fused_qk_rmsnorm_group_quant_kernelIDF16_DB8_Li256ELi8ELi4ELb0ELb0ELb1ELb0ELb0ELb0EEEvPT0_PvPT_S6_S6_PKS5_S8_S8_S8_S8_ffiiiiiiiiiiiii,@function
_ZN5aiter35fused_qk_rmsnorm_group_quant_kernelIDF16_DB8_Li256ELi8ELi4ELb0ELb0ELb1ELb0ELb0ELb0EEEvPT0_PvPT_S6_S6_PKS5_S8_S8_S8_S8_ffiiiiiiiiiiiii: ; @_ZN5aiter35fused_qk_rmsnorm_group_quant_kernelIDF16_DB8_Li256ELi8ELi4ELb0ELb0ELb1ELb0ELb0ELb0EEEvPT0_PvPT_S6_S6_PKS5_S8_S8_S8_S8_ffiiiiiiiiiiiii
; %bb.0:
	s_load_dwordx4 s[16:19], s[4:5], 0x50
	s_waitcnt lgkmcnt(0)
	s_cmp_ge_i32 s6, s18
	s_cbranch_scc1 .LBB593_12
; %bb.1:
	s_load_dwordx2 s[12:13], s[4:5], 0x48
	s_load_dwordx2 s[30:31], s[4:5], 0x30
	s_load_dwordx4 s[20:23], s[4:5], 0x60
	s_cmp_lg_u32 s7, 0
	s_cselect_b64 s[14:15], -1, 0
	s_cmp_eq_u32 s7, 0
	s_cselect_b64 vcc, -1, 0
	s_and_b64 s[0:1], vcc, exec
	s_waitcnt lgkmcnt(0)
	s_cselect_b32 s7, s19, s20
	s_add_i32 s0, s7, 1
	s_lshr_b32 s1, s0, 31
	s_add_i32 s0, s0, s1
	s_lshl_b32 s0, s0, 1
	v_lshlrev_b32_e32 v1, 3, v0
	s_and_b32 s10, s0, -4
	v_cmp_gt_i32_e64 s[2:3], s7, v1
	v_mov_b32_e32 v10, 0
	v_mov_b32_e32 v2, 0
	;; [unrolled: 1-line block ×9, first 2 shown]
	s_and_saveexec_b64 s[0:1], s[2:3]
	s_cbranch_execz .LBB593_3
; %bb.2:
	s_load_dwordx2 s[8:9], s[4:5], 0x28
	s_load_dwordx2 s[26:27], s[4:5], 0x40
	s_and_b64 s[24:25], vcc, exec
	s_cselect_b32 s11, s21, s22
	v_lshlrev_b32_e32 v11, 4, v0
	s_waitcnt lgkmcnt(0)
	s_cselect_b32 s18, s9, s31
	s_cselect_b32 s21, s8, s30
	s_mul_hi_i32 s9, s11, s6
	s_mul_i32 s8, s11, s6
	s_lshl_b64 s[8:9], s[8:9], 1
	s_add_u32 s24, s21, s8
	s_addc_u32 s18, s18, s9
	s_and_b64 s[8:9], vcc, exec
	s_mov_b32 s11, 0x20000
	s_cselect_b32 s8, s26, s12
	s_cselect_b32 s9, s27, s13
	s_and_b32 s25, s18, 0xffff
	s_mov_b32 s26, s10
	s_mov_b32 s27, s11
	s_and_b32 s9, s9, 0xffff
	buffer_load_dwordx4 v[6:9], v11, s[24:27], 0 offen glc slc
	buffer_load_dwordx4 v[2:5], v11, s[8:11], 0 offen
.LBB593_3:
	s_or_b64 exec, exec, s[0:1]
	v_mov_b32_e32 v11, 0
	v_mov_b32_e32 v16, 0
	;; [unrolled: 1-line block ×7, first 2 shown]
	s_and_saveexec_b64 s[0:1], s[2:3]
	s_cbranch_execz .LBB593_5
; %bb.4:
	s_waitcnt vmcnt(1)
	v_cvt_f32_f16_sdwa v11, v6 dst_sel:DWORD dst_unused:UNUSED_PAD src0_sel:WORD_1
	v_cvt_f32_f16_e32 v10, v6
	v_cvt_f32_f16_sdwa v17, v7 dst_sel:DWORD dst_unused:UNUSED_PAD src0_sel:WORD_1
	v_cvt_f32_f16_e32 v16, v7
	;; [unrolled: 2-line block ×4, first 2 shown]
.LBB593_5:
	s_or_b64 exec, exec, s[0:1]
	s_waitcnt vmcnt(1)
	v_mul_f32_e32 v6, v11, v11
	v_fmac_f32_e32 v6, v10, v10
	v_fmac_f32_e32 v6, v16, v16
	;; [unrolled: 1-line block ×7, first 2 shown]
	v_and_b32_e32 v8, 63, v0
	v_cmp_eq_u32_e64 s[0:1], 63, v8
	v_mov_b32_dpp v7, v6 quad_perm:[1,0,3,2] row_mask:0xf bank_mask:0xf
	v_add_f32_e32 v6, v6, v7
	s_nop 1
	v_mov_b32_dpp v7, v6 quad_perm:[2,3,0,1] row_mask:0xf bank_mask:0xf
	v_add_f32_e32 v6, v6, v7
	s_nop 1
	v_mov_b32_dpp v7, v6 row_half_mirror row_mask:0xf bank_mask:0xf
	v_add_f32_e32 v6, v6, v7
	s_nop 1
	v_mov_b32_dpp v7, v6 row_mirror row_mask:0xf bank_mask:0xf
	v_add_f32_e32 v6, v6, v7
	s_nop 1
	v_mov_b32_dpp v7, v6 row_bcast:15 row_mask:0xf bank_mask:0xf
	v_add_f32_e32 v6, v6, v7
	s_nop 1
	v_mov_b32_dpp v7, v6 row_bcast:31 row_mask:0xf bank_mask:0xf
	s_and_saveexec_b64 s[8:9], s[0:1]
	s_cbranch_execz .LBB593_7
; %bb.6:
	v_add_f32_e32 v6, v6, v7
	v_lshrrev_b32_e32 v7, 4, v0
	v_and_b32_e32 v7, 60, v7
	ds_write_b32 v7, v6 offset:16
.LBB593_7:
	s_or_b64 exec, exec, s[8:9]
	v_and_b32_e32 v6, 3, v0
	v_lshlrev_b32_e32 v18, 2, v6
	s_waitcnt lgkmcnt(0)
	s_barrier
	ds_read_b32 v7, v18 offset:16
	s_load_dwordx2 s[28:29], s[4:5], 0x18
	s_waitcnt lgkmcnt(0)
	v_mov_b32_dpp v8, v7 quad_perm:[1,0,3,2] row_mask:0xf bank_mask:0xf
	v_add_f32_e32 v7, v7, v8
	s_nop 1
	v_mov_b32_dpp v8, v7 quad_perm:[2,3,0,1] row_mask:0xf bank_mask:0xf
	s_and_saveexec_b64 s[8:9], s[2:3]
	s_cbranch_execz .LBB593_9
; %bb.8:
	v_cvt_f32_u32_e32 v9, s7
	v_add_f32_e32 v7, v7, v8
	v_mov_b32_e32 v20, s17
	v_mov_b32_e32 v21, s16
	v_div_scale_f32 v8, s[24:25], v9, v9, v7
	v_rcp_f32_e32 v19, v8
	v_cndmask_b32_e32 v20, v20, v21, vcc
	s_mov_b32 s7, 0x800000
	v_fma_f32 v21, -v8, v19, 1.0
	v_fmac_f32_e32 v19, v21, v19
	v_div_scale_f32 v21, vcc, v7, v9, v7
	v_mul_f32_e32 v22, v21, v19
	v_fma_f32 v23, -v8, v22, v21
	v_fmac_f32_e32 v22, v23, v19
	v_fma_f32 v8, -v8, v22, v21
	v_div_fmas_f32 v8, v8, v19, v22
	v_div_fixup_f32 v7, v8, v9, v7
	v_add_f32_e32 v7, v20, v7
	v_mul_f32_e32 v8, 0x4b800000, v7
	v_cmp_gt_f32_e32 vcc, s7, v7
	v_cndmask_b32_e32 v7, v7, v8, vcc
	v_rsq_f32_e32 v7, v7
	s_waitcnt vmcnt(0)
	v_cvt_f32_f16_sdwa v21, v2 dst_sel:DWORD dst_unused:UNUSED_PAD src0_sel:WORD_1
	v_cvt_f32_f16_e32 v20, v2
	v_cvt_f32_f16_sdwa v23, v3 dst_sel:DWORD dst_unused:UNUSED_PAD src0_sel:WORD_1
	v_mul_f32_e32 v8, 0x45800000, v7
	v_cndmask_b32_e32 v8, v7, v8, vcc
	v_mov_b32_e32 v9, v8
	;;#ASMSTART
	v_pk_mul_f32 v[10:11], v[10:11], v[8:9]
	;;#ASMEND
	;;#ASMSTART
	v_pk_mul_f32 v[16:17], v[16:17], v[8:9]
	;;#ASMEND
	;; [unrolled: 3-line block ×3, first 2 shown]
	v_cvt_f32_f16_e32 v22, v3
	;;#ASMSTART
	v_pk_mul_f32 v[2:3], v[12:13], v[8:9]
	;;#ASMEND
	v_cvt_f32_f16_sdwa v13, v4 dst_sel:DWORD dst_unused:UNUSED_PAD src0_sel:WORD_1
	v_cvt_f32_f16_e32 v12, v4
	v_pk_add_f32 v[8:9], v[20:21], 1.0 op_sel_hi:[1,0]
	v_cvt_f32_f16_sdwa v21, v5 dst_sel:DWORD dst_unused:UNUSED_PAD src0_sel:WORD_1
	v_cvt_f32_f16_e32 v20, v5
	v_pk_add_f32 v[4:5], v[12:13], 1.0 op_sel_hi:[1,0]
	;;#ASMSTART
	v_pk_mul_f32 v[10:11], v[10:11], v[8:9]
	;;#ASMEND
	v_pk_add_f32 v[8:9], v[22:23], 1.0 op_sel_hi:[1,0]
	;;#ASMSTART
	v_pk_mul_f32 v[16:17], v[16:17], v[8:9]
	;;#ASMEND
	;;#ASMSTART
	v_pk_mul_f32 v[14:15], v[14:15], v[4:5]
	;;#ASMEND
	v_pk_add_f32 v[4:5], v[20:21], 1.0 op_sel_hi:[1,0]
	;;#ASMSTART
	v_pk_mul_f32 v[12:13], v[2:3], v[4:5]
	;;#ASMEND
.LBB593_9:
	s_or_b64 exec, exec, s[8:9]
	s_load_dword s7, s[4:5], 0x80
	s_mov_b64 s[8:9], -1
	s_and_b64 vcc, exec, s[14:15]
	s_cbranch_vccnz .LBB593_13
; %bb.10:
	s_andn2_b64 vcc, exec, s[8:9]
	s_cbranch_vccz .LBB593_16
.LBB593_11:
	s_cmp_lt_i32 s20, 1
	s_cbranch_scc0 .LBB593_23
.LBB593_12:
	s_endpgm
.LBB593_13:
	s_and_saveexec_b64 s[14:15], s[2:3]
	s_cbranch_execz .LBB593_15
; %bb.14:
	s_waitcnt lgkmcnt(0)
	s_mul_hi_i32 s9, s7, s6
	s_mul_i32 s8, s7, s6
	s_waitcnt vmcnt(0)
	v_cvt_f16_f32_e32 v2, v10
	v_cvt_f16_f32_e32 v3, v16
	;; [unrolled: 1-line block ×8, first 2 shown]
	s_lshl_b64 s[8:9], s[8:9], 1
	s_add_u32 s8, s28, s8
	s_addc_u32 s9, s29, s9
	s_and_b32 s9, s9, 0xffff
	s_mov_b32 s11, 0x20000
	v_pack_b32_f16 v5, v5, v7
	v_pack_b32_f16 v4, v4, v8
	;; [unrolled: 1-line block ×4, first 2 shown]
	v_lshlrev_b32_e32 v7, 4, v0
	buffer_store_dwordx4 v[2:5], v7, s[8:11], 0 offen
	;;#ASMSTART
	s_nop 0
	;;#ASMEND
.LBB593_15:
	s_or_b64 exec, exec, s[14:15]
	s_cbranch_execnz .LBB593_11
.LBB593_16:
	s_waitcnt vmcnt(0)
	v_mov_b32_e32 v2, 0
	s_and_saveexec_b64 s[8:9], s[2:3]
	s_cbranch_execz .LBB593_18
; %bb.17:
	v_and_b32_e32 v2, 0x7fffffff, v10
	v_and_b32_e32 v3, 0x7fffffff, v11
	v_mov_b32_e32 v4, 0x2edbe6ff
	;;#ASMSTART
	v_max3_f32 v2, v4, v2, v3

	;;#ASMEND
	v_and_b32_e32 v3, 0x7fffffff, v16
	v_and_b32_e32 v4, 0x7fffffff, v17
	;;#ASMSTART
	v_max3_f32 v2, v2, v3, v4

	;;#ASMEND
	v_and_b32_e32 v3, 0x7fffffff, v14
	v_and_b32_e32 v4, 0x7fffffff, v15
	;; [unrolled: 6-line block ×3, first 2 shown]
	;;#ASMSTART
	v_max3_f32 v2, v2, v3, v4

	;;#ASMEND
.LBB593_18:
	s_or_b64 exec, exec, s[8:9]
	s_load_dwordx4 s[24:27], s[4:5], 0x70
	;;#ASMSTART
	v_max_f32 v3, v2, v2 quad_perm:[1,0,3,2] row_mask:0xf bank_mask:0xf bound_ctrl:1
	;;#ASMEND
	;;#ASMSTART
	v_max_f32 v2, v3, v3 quad_perm:[2,3,0,1] row_mask:0xf bank_mask:0xf bound_ctrl:1
	;;#ASMEND
	v_cmp_eq_u32_e32 vcc, 0, v6
	v_cmp_gt_i32_e64 s[8:9], s19, v1
	v_mul_f32_e32 v2, 0x3b124925, v2
	s_and_b64 s[10:11], vcc, s[8:9]
	s_and_saveexec_b64 s[8:9], s[10:11]
	s_cbranch_execz .LBB593_20
; %bb.19:
	s_load_dwordx2 s[10:11], s[4:5], 0x8
	s_waitcnt lgkmcnt(0)
	s_mul_hi_i32 s15, s25, s6
	s_mul_i32 s14, s25, s6
	v_lshrrev_b32_e32 v3, 2, v0
	s_lshl_b64 s[14:15], s[14:15], 2
	v_mad_i64_i32 v[4:5], s[26:27], s26, v3, 0
	s_add_u32 s10, s10, s14
	s_addc_u32 s11, s11, s15
	v_lshlrev_b64 v[4:5], 2, v[4:5]
	v_mov_b32_e32 v3, s11
	v_add_co_u32_e32 v4, vcc, s10, v4
	v_addc_co_u32_e32 v5, vcc, v3, v5, vcc
	global_store_dword v[4:5], v2, off
.LBB593_20:
	s_or_b64 exec, exec, s[8:9]
	;;#ASMSTART
	v_rcp_f32 v2, v2
	;;#ASMEND
	s_and_saveexec_b64 s[14:15], s[2:3]
	s_cbranch_execz .LBB593_22
; %bb.21:
	s_load_dwordx2 s[2:3], s[4:5], 0x0
	s_waitcnt lgkmcnt(0)
	s_mul_i32 s8, s24, s6
	s_mul_hi_i32 s9, s24, s6
	v_mov_b32_e32 v3, v2
	;;#ASMSTART
	v_pk_mul_f32 v[4:5], v[10:11], v[2:3]
	;;#ASMEND
	s_add_u32 s8, s2, s8
	s_addc_u32 s2, s3, s9
	s_add_i32 s3, s19, 3
	s_ashr_i32 s9, s3, 31
	v_mov_b32_e32 v8, 0xc3e00000
	v_mov_b32_e32 v9, 0x43e00000
	;;#ASMSTART
	v_med3_f32 v4, v4, v8, v9
v_med3_f32 v5, v5, v8, v9
v_cvt_pk_fp8_f32 v6, v4, v5
	;;#ASMEND
	s_lshr_b32 s9, s9, 30
	;;#ASMSTART
	v_pk_mul_f32 v[4:5], v[16:17], v[2:3]
	;;#ASMEND
	s_add_i32 s3, s3, s9
	s_and_b32 s9, s2, 0xffff
	;;#ASMSTART
	v_med3_f32 v4, v4, v8, v9
v_med3_f32 v5, v5, v8, v9
v_cvt_pk_fp8_f32 v7, v4, v5
	;;#ASMEND
	s_mov_b32 s2, 0x5040100
	v_perm_b32 v5, v7, v6, s2
	s_movk_i32 s2, 0xff
	v_and_b32_e32 v4, 0xffffff00, v7
	v_and_b32_sdwa v6, v5, s2 dst_sel:DWORD dst_unused:UNUSED_PAD src0_sel:WORD_1 src1_sel:DWORD
	s_mov_b32 s16, 0xffff
	v_or_b32_sdwa v4, v6, v4 dst_sel:WORD_1 dst_unused:UNUSED_PAD src0_sel:DWORD src1_sel:DWORD
	v_and_or_b32 v4, v5, s16, v4
	;;#ASMSTART
	v_pk_mul_f32 v[6:7], v[14:15], v[2:3]
	;;#ASMEND
	v_mov_b32_e32 v5, v7
	;;#ASMSTART
	v_med3_f32 v6, v6, v8, v9
v_med3_f32 v5, v5, v8, v9
v_cvt_pk_fp8_f32 v7, v6, v5
	;;#ASMEND
	;;#ASMSTART
	v_pk_mul_f32 v[2:3], v[12:13], v[2:3]
	;;#ASMEND
	;;#ASMSTART
	v_med3_f32 v2, v2, v8, v9
v_med3_f32 v3, v3, v8, v9
v_cvt_pk_fp8_f32 v5, v2, v3
	;;#ASMEND
	v_lshlrev_b32_e32 v2, 16, v5
	s_and_b32 s10, s3, -4
	s_mov_b32 s11, 0x20000
	v_and_or_b32 v5, v7, s16, v2
	buffer_store_dwordx2 v[4:5], v1, s[8:11], 0 offen
	;;#ASMSTART
	s_nop 0
	;;#ASMEND
.LBB593_22:
	s_or_b64 exec, exec, s[14:15]
	s_cmp_lt_i32 s20, 1
	s_cbranch_scc1 .LBB593_12
.LBB593_23:
	s_load_dword s2, s[4:5], 0x94
	s_waitcnt lgkmcnt(0)
	s_cmp_lg_u32 s2, 1
	s_cbranch_scc1 .LBB593_12
; %bb.24:
	s_lshl_b32 s2, s20, 1
	s_add_i32 s2, s2, 2
	v_cmp_gt_u32_e32 vcc, s20, v1
	s_and_b32 s14, s2, -4
	v_mov_b32_e32 v10, 0
	v_lshlrev_b32_e32 v1, 4, v0
	v_mov_b32_e32 v6, 0
	v_mov_b32_e32 v7, 0
	;; [unrolled: 1-line block ×4, first 2 shown]
	s_waitcnt vmcnt(0)
	v_mov_b32_e32 v2, 0
	v_mov_b32_e32 v3, 0
	;; [unrolled: 1-line block ×4, first 2 shown]
	s_barrier
	s_and_saveexec_b64 s[2:3], vcc
	s_cbranch_execz .LBB593_26
; %bb.25:
	s_mul_hi_i32 s5, s22, s6
	s_mul_i32 s4, s22, s6
	s_and_b32 s13, s13, 0xffff
	s_lshl_b64 s[4:5], s[4:5], 1
	s_add_u32 s8, s30, s4
	s_mov_b32 s15, 0x20000
	s_addc_u32 s4, s31, s5
	s_and_b32 s9, s4, 0xffff
	s_mov_b32 s10, s14
	s_mov_b32 s11, s15
	buffer_load_dwordx4 v[6:9], v1, s[8:11], 0 offen glc slc
	buffer_load_dwordx4 v[2:5], v1, s[12:15], 0 offen
.LBB593_26:
	s_or_b64 exec, exec, s[2:3]
	v_mov_b32_e32 v11, 0
	v_mov_b32_e32 v16, 0
	;; [unrolled: 1-line block ×7, first 2 shown]
	s_and_saveexec_b64 s[2:3], vcc
	s_cbranch_execz .LBB593_28
; %bb.27:
	s_waitcnt vmcnt(1)
	v_cvt_f32_f16_sdwa v11, v6 dst_sel:DWORD dst_unused:UNUSED_PAD src0_sel:WORD_1
	v_cvt_f32_f16_e32 v10, v6
	v_cvt_f32_f16_sdwa v17, v7 dst_sel:DWORD dst_unused:UNUSED_PAD src0_sel:WORD_1
	v_cvt_f32_f16_e32 v16, v7
	;; [unrolled: 2-line block ×4, first 2 shown]
.LBB593_28:
	s_or_b64 exec, exec, s[2:3]
	s_waitcnt vmcnt(1)
	v_mul_f32_e32 v6, v11, v11
	v_fmac_f32_e32 v6, v10, v10
	v_fmac_f32_e32 v6, v16, v16
	;; [unrolled: 1-line block ×7, first 2 shown]
	s_nop 1
	v_mov_b32_dpp v7, v6 quad_perm:[1,0,3,2] row_mask:0xf bank_mask:0xf
	v_add_f32_e32 v6, v6, v7
	s_nop 1
	v_mov_b32_dpp v7, v6 quad_perm:[2,3,0,1] row_mask:0xf bank_mask:0xf
	v_add_f32_e32 v6, v6, v7
	s_nop 1
	v_mov_b32_dpp v7, v6 row_half_mirror row_mask:0xf bank_mask:0xf
	v_add_f32_e32 v6, v6, v7
	s_nop 1
	v_mov_b32_dpp v7, v6 row_mirror row_mask:0xf bank_mask:0xf
	v_add_f32_e32 v6, v6, v7
	s_nop 1
	v_mov_b32_dpp v7, v6 row_bcast:15 row_mask:0xf bank_mask:0xf
	v_add_f32_e32 v6, v6, v7
	s_nop 1
	v_mov_b32_dpp v7, v6 row_bcast:31 row_mask:0xf bank_mask:0xf
	s_and_saveexec_b64 s[2:3], s[0:1]
	s_cbranch_execz .LBB593_30
; %bb.29:
	v_lshrrev_b32_e32 v0, 4, v0
	v_add_f32_e32 v6, v6, v7
	v_and_b32_e32 v0, 60, v0
	ds_write_b32 v0, v6
.LBB593_30:
	s_or_b64 exec, exec, s[2:3]
	s_waitcnt lgkmcnt(0)
	s_barrier
	ds_read_b32 v0, v18
	s_waitcnt lgkmcnt(0)
	s_nop 0
	v_mov_b32_dpp v6, v0 quad_perm:[1,0,3,2] row_mask:0xf bank_mask:0xf
	v_add_f32_e32 v0, v0, v6
	s_nop 1
	v_mov_b32_dpp v6, v0 quad_perm:[2,3,0,1] row_mask:0xf bank_mask:0xf
	s_and_saveexec_b64 s[0:1], vcc
	s_cbranch_execz .LBB593_12
; %bb.31:
	v_cvt_f32_u32_e32 v7, s20
	v_add_f32_e32 v0, v0, v6
	s_mov_b32 s15, 0x20000
	v_div_scale_f32 v6, s[0:1], v7, v7, v0
	v_rcp_f32_e32 v8, v6
	v_div_scale_f32 v9, vcc, v0, v7, v0
	s_mov_b32 s0, 0x800000
	v_fma_f32 v18, -v6, v8, 1.0
	v_fmac_f32_e32 v8, v18, v8
	v_mul_f32_e32 v18, v9, v8
	v_fma_f32 v19, -v6, v18, v9
	v_fmac_f32_e32 v18, v19, v8
	v_fma_f32 v6, -v6, v18, v9
	v_div_fmas_f32 v6, v6, v8, v18
	v_div_fixup_f32 v0, v6, v7, v0
	v_add_f32_e32 v0, s17, v0
	v_mul_f32_e32 v6, 0x4b800000, v0
	v_cmp_gt_f32_e32 vcc, s0, v0
	v_cndmask_b32_e32 v0, v0, v6, vcc
	v_rsq_f32_e32 v0, v0
	s_waitcnt vmcnt(0)
	v_cvt_f32_f16_sdwa v19, v3 dst_sel:DWORD dst_unused:UNUSED_PAD src0_sel:WORD_1
	v_cvt_f32_f16_e32 v18, v3
	s_mul_hi_i32 s1, s7, s6
	v_mul_f32_e32 v6, 0x45800000, v0
	v_cndmask_b32_e32 v6, v0, v6, vcc
	v_mov_b32_e32 v7, v6
	;;#ASMSTART
	v_pk_mul_f32 v[8:9], v[10:11], v[6:7]
	;;#ASMEND
	;;#ASMSTART
	v_pk_mul_f32 v[10:11], v[16:17], v[6:7]
	;;#ASMEND
	v_cvt_f32_f16_sdwa v17, v2 dst_sel:DWORD dst_unused:UNUSED_PAD src0_sel:WORD_1
	v_cvt_f32_f16_e32 v16, v2
	;;#ASMSTART
	v_pk_mul_f32 v[14:15], v[14:15], v[6:7]
	;;#ASMEND
	;;#ASMSTART
	v_pk_mul_f32 v[2:3], v[12:13], v[6:7]
	;;#ASMEND
	v_cvt_f32_f16_sdwa v13, v4 dst_sel:DWORD dst_unused:UNUSED_PAD src0_sel:WORD_1
	v_cvt_f32_f16_e32 v12, v4
	v_pk_add_f32 v[6:7], v[16:17], 1.0 op_sel_hi:[1,0]
	v_cvt_f32_f16_sdwa v17, v5 dst_sel:DWORD dst_unused:UNUSED_PAD src0_sel:WORD_1
	v_cvt_f32_f16_e32 v16, v5
	;;#ASMSTART
	v_pk_mul_f32 v[6:7], v[8:9], v[6:7]
	;;#ASMEND
	v_pk_add_f32 v[8:9], v[18:19], 1.0 op_sel_hi:[1,0]
	;;#ASMSTART
	v_pk_mul_f32 v[4:5], v[10:11], v[8:9]
	;;#ASMEND
	v_pk_add_f32 v[8:9], v[12:13], 1.0 op_sel_hi:[1,0]
	;; [unrolled: 4-line block ×3, first 2 shown]
	;;#ASMSTART
	v_pk_mul_f32 v[2:3], v[2:3], v[10:11]
	;;#ASMEND
	s_mul_i32 s0, s7, s6
	v_cvt_f16_f32_e32 v0, v6
	v_cvt_f16_f32_e32 v6, v7
	;; [unrolled: 1-line block ×8, first 2 shown]
	s_lshl_b64 s[0:1], s[0:1], 1
	s_add_u32 s12, s28, s0
	s_addc_u32 s0, s29, s1
	s_and_b32 s13, s0, 0xffff
	v_pack_b32_f16 v2, v0, v6
	v_pack_b32_f16 v3, v4, v5
	v_pack_b32_f16 v4, v7, v8
	v_pack_b32_f16 v5, v9, v10
	buffer_store_dwordx4 v[2:5], v1, s[12:15], 0 offen
	;;#ASMSTART
	s_nop 0
	;;#ASMEND
	s_endpgm
	.section	.rodata,"a",@progbits
	.p2align	6, 0x0
	.amdhsa_kernel _ZN5aiter35fused_qk_rmsnorm_group_quant_kernelIDF16_DB8_Li256ELi8ELi4ELb0ELb0ELb1ELb0ELb0ELb0EEEvPT0_PvPT_S6_S6_PKS5_S8_S8_S8_S8_ffiiiiiiiiiiiii
		.amdhsa_group_segment_fixed_size 32
		.amdhsa_private_segment_fixed_size 0
		.amdhsa_kernarg_size 400
		.amdhsa_user_sgpr_count 6
		.amdhsa_user_sgpr_private_segment_buffer 1
		.amdhsa_user_sgpr_dispatch_ptr 0
		.amdhsa_user_sgpr_queue_ptr 0
		.amdhsa_user_sgpr_kernarg_segment_ptr 1
		.amdhsa_user_sgpr_dispatch_id 0
		.amdhsa_user_sgpr_flat_scratch_init 0
		.amdhsa_user_sgpr_kernarg_preload_length 0
		.amdhsa_user_sgpr_kernarg_preload_offset 0
		.amdhsa_user_sgpr_private_segment_size 0
		.amdhsa_uses_dynamic_stack 0
		.amdhsa_system_sgpr_private_segment_wavefront_offset 0
		.amdhsa_system_sgpr_workgroup_id_x 1
		.amdhsa_system_sgpr_workgroup_id_y 1
		.amdhsa_system_sgpr_workgroup_id_z 0
		.amdhsa_system_sgpr_workgroup_info 0
		.amdhsa_system_vgpr_workitem_id 0
		.amdhsa_next_free_vgpr 24
		.amdhsa_next_free_sgpr 32
		.amdhsa_accum_offset 24
		.amdhsa_reserve_vcc 1
		.amdhsa_reserve_flat_scratch 0
		.amdhsa_float_round_mode_32 0
		.amdhsa_float_round_mode_16_64 0
		.amdhsa_float_denorm_mode_32 3
		.amdhsa_float_denorm_mode_16_64 3
		.amdhsa_dx10_clamp 1
		.amdhsa_ieee_mode 1
		.amdhsa_fp16_overflow 0
		.amdhsa_tg_split 0
		.amdhsa_exception_fp_ieee_invalid_op 0
		.amdhsa_exception_fp_denorm_src 0
		.amdhsa_exception_fp_ieee_div_zero 0
		.amdhsa_exception_fp_ieee_overflow 0
		.amdhsa_exception_fp_ieee_underflow 0
		.amdhsa_exception_fp_ieee_inexact 0
		.amdhsa_exception_int_div_zero 0
	.end_amdhsa_kernel
	.section	.text._ZN5aiter35fused_qk_rmsnorm_group_quant_kernelIDF16_DB8_Li256ELi8ELi4ELb0ELb0ELb1ELb0ELb0ELb0EEEvPT0_PvPT_S6_S6_PKS5_S8_S8_S8_S8_ffiiiiiiiiiiiii,"axG",@progbits,_ZN5aiter35fused_qk_rmsnorm_group_quant_kernelIDF16_DB8_Li256ELi8ELi4ELb0ELb0ELb1ELb0ELb0ELb0EEEvPT0_PvPT_S6_S6_PKS5_S8_S8_S8_S8_ffiiiiiiiiiiiii,comdat
.Lfunc_end593:
	.size	_ZN5aiter35fused_qk_rmsnorm_group_quant_kernelIDF16_DB8_Li256ELi8ELi4ELb0ELb0ELb1ELb0ELb0ELb0EEEvPT0_PvPT_S6_S6_PKS5_S8_S8_S8_S8_ffiiiiiiiiiiiii, .Lfunc_end593-_ZN5aiter35fused_qk_rmsnorm_group_quant_kernelIDF16_DB8_Li256ELi8ELi4ELb0ELb0ELb1ELb0ELb0ELb0EEEvPT0_PvPT_S6_S6_PKS5_S8_S8_S8_S8_ffiiiiiiiiiiiii
                                        ; -- End function
	.section	.AMDGPU.csdata,"",@progbits
; Kernel info:
; codeLenInByte = 2532
; NumSgprs: 36
; NumVgprs: 24
; NumAgprs: 0
; TotalNumVgprs: 24
; ScratchSize: 0
; MemoryBound: 0
; FloatMode: 240
; IeeeMode: 1
; LDSByteSize: 32 bytes/workgroup (compile time only)
; SGPRBlocks: 4
; VGPRBlocks: 2
; NumSGPRsForWavesPerEU: 36
; NumVGPRsForWavesPerEU: 24
; AccumOffset: 24
; Occupancy: 8
; WaveLimiterHint : 0
; COMPUTE_PGM_RSRC2:SCRATCH_EN: 0
; COMPUTE_PGM_RSRC2:USER_SGPR: 6
; COMPUTE_PGM_RSRC2:TRAP_HANDLER: 0
; COMPUTE_PGM_RSRC2:TGID_X_EN: 1
; COMPUTE_PGM_RSRC2:TGID_Y_EN: 1
; COMPUTE_PGM_RSRC2:TGID_Z_EN: 0
; COMPUTE_PGM_RSRC2:TIDIG_COMP_CNT: 0
; COMPUTE_PGM_RSRC3_GFX90A:ACCUM_OFFSET: 5
; COMPUTE_PGM_RSRC3_GFX90A:TG_SPLIT: 0
	.section	.text._ZN5aiter35fused_qk_rmsnorm_group_quant_kernelItDB8_Li256ELi8ELi4ELb0ELb0ELb1ELb0ELb0ELb0EEEvPT0_PvPT_S6_S6_PKS5_S8_S8_S8_S8_ffiiiiiiiiiiiii,"axG",@progbits,_ZN5aiter35fused_qk_rmsnorm_group_quant_kernelItDB8_Li256ELi8ELi4ELb0ELb0ELb1ELb0ELb0ELb0EEEvPT0_PvPT_S6_S6_PKS5_S8_S8_S8_S8_ffiiiiiiiiiiiii,comdat
	.protected	_ZN5aiter35fused_qk_rmsnorm_group_quant_kernelItDB8_Li256ELi8ELi4ELb0ELb0ELb1ELb0ELb0ELb0EEEvPT0_PvPT_S6_S6_PKS5_S8_S8_S8_S8_ffiiiiiiiiiiiii ; -- Begin function _ZN5aiter35fused_qk_rmsnorm_group_quant_kernelItDB8_Li256ELi8ELi4ELb0ELb0ELb1ELb0ELb0ELb0EEEvPT0_PvPT_S6_S6_PKS5_S8_S8_S8_S8_ffiiiiiiiiiiiii
	.globl	_ZN5aiter35fused_qk_rmsnorm_group_quant_kernelItDB8_Li256ELi8ELi4ELb0ELb0ELb1ELb0ELb0ELb0EEEvPT0_PvPT_S6_S6_PKS5_S8_S8_S8_S8_ffiiiiiiiiiiiii
	.p2align	8
	.type	_ZN5aiter35fused_qk_rmsnorm_group_quant_kernelItDB8_Li256ELi8ELi4ELb0ELb0ELb1ELb0ELb0ELb0EEEvPT0_PvPT_S6_S6_PKS5_S8_S8_S8_S8_ffiiiiiiiiiiiii,@function
_ZN5aiter35fused_qk_rmsnorm_group_quant_kernelItDB8_Li256ELi8ELi4ELb0ELb0ELb1ELb0ELb0ELb0EEEvPT0_PvPT_S6_S6_PKS5_S8_S8_S8_S8_ffiiiiiiiiiiiii: ; @_ZN5aiter35fused_qk_rmsnorm_group_quant_kernelItDB8_Li256ELi8ELi4ELb0ELb0ELb1ELb0ELb0ELb0EEEvPT0_PvPT_S6_S6_PKS5_S8_S8_S8_S8_ffiiiiiiiiiiiii
; %bb.0:
	s_load_dwordx4 s[16:19], s[4:5], 0x50
	s_waitcnt lgkmcnt(0)
	s_cmp_ge_i32 s6, s18
	s_cbranch_scc1 .LBB594_10
; %bb.1:
	s_load_dwordx2 s[12:13], s[4:5], 0x48
	s_load_dwordx2 s[30:31], s[4:5], 0x30
	s_load_dwordx4 s[20:23], s[4:5], 0x60
	s_cmp_lg_u32 s7, 0
	s_cselect_b64 s[14:15], -1, 0
	s_cmp_eq_u32 s7, 0
	s_cselect_b64 vcc, -1, 0
	s_and_b64 s[0:1], vcc, exec
	s_waitcnt lgkmcnt(0)
	s_cselect_b32 s7, s19, s20
	s_add_i32 s0, s7, 1
	s_lshr_b32 s1, s0, 31
	s_add_i32 s0, s0, s1
	s_lshl_b32 s0, s0, 1
	v_lshlrev_b32_e32 v1, 3, v0
	s_and_b32 s10, s0, -4
	v_cmp_gt_i32_e64 s[2:3], s7, v1
	v_mov_b32_e32 v2, 0
	v_mov_b32_e32 v3, 0
	;; [unrolled: 1-line block ×8, first 2 shown]
	s_and_saveexec_b64 s[0:1], s[2:3]
	s_cbranch_execz .LBB594_3
; %bb.2:
	s_load_dwordx2 s[8:9], s[4:5], 0x28
	s_load_dwordx2 s[26:27], s[4:5], 0x40
	s_and_b64 s[24:25], vcc, exec
	s_cselect_b32 s11, s21, s22
	v_lshlrev_b32_e32 v10, 4, v0
	s_waitcnt lgkmcnt(0)
	s_cselect_b32 s18, s9, s31
	s_cselect_b32 s21, s8, s30
	s_mul_hi_i32 s9, s11, s6
	s_mul_i32 s8, s11, s6
	s_lshl_b64 s[8:9], s[8:9], 1
	s_add_u32 s24, s21, s8
	s_addc_u32 s18, s18, s9
	s_and_b64 s[8:9], vcc, exec
	s_mov_b32 s11, 0x20000
	s_cselect_b32 s8, s26, s12
	s_cselect_b32 s9, s27, s13
	s_and_b32 s25, s18, 0xffff
	s_mov_b32 s26, s10
	s_mov_b32 s27, s11
	s_and_b32 s9, s9, 0xffff
	buffer_load_dwordx4 v[6:9], v10, s[24:27], 0 offen glc slc
	buffer_load_dwordx4 v[2:5], v10, s[8:11], 0 offen
.LBB594_3:
	s_or_b64 exec, exec, s[0:1]
	s_waitcnt vmcnt(1)
	v_cvt_f32_u32_sdwa v13, v6 dst_sel:DWORD dst_unused:UNUSED_PAD src0_sel:WORD_1
	v_cvt_f32_u32_sdwa v12, v6 dst_sel:DWORD dst_unused:UNUSED_PAD src0_sel:WORD_0
	v_cvt_f32_u32_sdwa v6, v9 dst_sel:DWORD dst_unused:UNUSED_PAD src0_sel:WORD_1
	v_cvt_f32_u32_sdwa v9, v9 dst_sel:DWORD dst_unused:UNUSED_PAD src0_sel:WORD_0
	;; [unrolled: 2-line block ×4, first 2 shown]
	v_cndmask_b32_e64 v13, 0, v13, s[2:3]
	v_cndmask_b32_e64 v7, 0, v6, s[2:3]
	;; [unrolled: 1-line block ×5, first 2 shown]
	v_mul_f32_e32 v14, v13, v13
	v_cndmask_b32_e64 v10, 0, v10, s[2:3]
	v_fmac_f32_e32 v14, v12, v12
	v_cndmask_b32_e64 v11, 0, v11, s[2:3]
	v_fmac_f32_e32 v14, v10, v10
	;; [unrolled: 2-line block ×3, first 2 shown]
	v_fmac_f32_e32 v14, v8, v8
	v_fmac_f32_e32 v14, v9, v9
	;; [unrolled: 1-line block ×4, first 2 shown]
	v_and_b32_e32 v16, 63, v0
	v_cmp_eq_u32_e64 s[0:1], 63, v16
	v_mov_b32_dpp v15, v14 quad_perm:[1,0,3,2] row_mask:0xf bank_mask:0xf
	v_add_f32_e32 v14, v14, v15
	s_nop 1
	v_mov_b32_dpp v15, v14 quad_perm:[2,3,0,1] row_mask:0xf bank_mask:0xf
	v_add_f32_e32 v14, v14, v15
	s_nop 1
	v_mov_b32_dpp v15, v14 row_half_mirror row_mask:0xf bank_mask:0xf
	v_add_f32_e32 v14, v14, v15
	s_nop 1
	v_mov_b32_dpp v15, v14 row_mirror row_mask:0xf bank_mask:0xf
	v_add_f32_e32 v14, v14, v15
	s_nop 1
	v_mov_b32_dpp v15, v14 row_bcast:15 row_mask:0xf bank_mask:0xf
	v_add_f32_e32 v14, v14, v15
	s_nop 1
	v_mov_b32_dpp v15, v14 row_bcast:31 row_mask:0xf bank_mask:0xf
	s_and_saveexec_b64 s[8:9], s[0:1]
	s_cbranch_execz .LBB594_5
; %bb.4:
	v_add_f32_e32 v14, v14, v15
	v_lshrrev_b32_e32 v15, 4, v0
	v_and_b32_e32 v15, 60, v15
	ds_write_b32 v15, v14 offset:16
.LBB594_5:
	s_or_b64 exec, exec, s[8:9]
	v_and_b32_e32 v15, 3, v0
	v_lshlrev_b32_e32 v14, 2, v15
	s_waitcnt lgkmcnt(0)
	s_barrier
	ds_read_b32 v16, v14 offset:16
	s_load_dwordx2 s[28:29], s[4:5], 0x18
	s_waitcnt lgkmcnt(0)
	v_mov_b32_dpp v17, v16 quad_perm:[1,0,3,2] row_mask:0xf bank_mask:0xf
	v_add_f32_e32 v16, v16, v17
	s_nop 1
	v_mov_b32_dpp v17, v16 quad_perm:[2,3,0,1] row_mask:0xf bank_mask:0xf
	s_and_saveexec_b64 s[8:9], s[2:3]
	s_cbranch_execz .LBB594_7
; %bb.6:
	v_cvt_f32_u32_e32 v18, s7
	v_add_f32_e32 v16, v16, v17
	v_mov_b32_e32 v20, s17
	v_mov_b32_e32 v21, s16
	v_div_scale_f32 v17, s[24:25], v18, v18, v16
	v_rcp_f32_e32 v19, v17
	v_cndmask_b32_e32 v20, v20, v21, vcc
	s_mov_b32 s7, 0x800000
	v_fma_f32 v21, -v17, v19, 1.0
	v_fmac_f32_e32 v19, v21, v19
	v_div_scale_f32 v21, vcc, v16, v18, v16
	v_mul_f32_e32 v22, v21, v19
	v_fma_f32 v23, -v17, v22, v21
	v_fmac_f32_e32 v22, v23, v19
	v_fma_f32 v17, -v17, v22, v21
	v_div_fmas_f32 v17, v17, v19, v22
	v_div_fixup_f32 v16, v17, v18, v16
	v_add_f32_e32 v16, v20, v16
	v_mul_f32_e32 v17, 0x4b800000, v16
	v_cmp_gt_f32_e32 vcc, s7, v16
	v_cndmask_b32_e32 v16, v16, v17, vcc
	v_rsq_f32_e32 v16, v16
	s_waitcnt vmcnt(0)
	v_cvt_f32_u32_sdwa v19, v2 dst_sel:DWORD dst_unused:UNUSED_PAD src0_sel:WORD_1
	v_cvt_f32_u32_sdwa v18, v2 dst_sel:DWORD dst_unused:UNUSED_PAD src0_sel:WORD_0
	v_cvt_f32_u32_sdwa v21, v3 dst_sel:DWORD dst_unused:UNUSED_PAD src0_sel:WORD_1
	v_mul_f32_e32 v17, 0x45800000, v16
	v_cndmask_b32_e32 v16, v16, v17, vcc
	v_mov_b32_e32 v17, v16
	;;#ASMSTART
	v_pk_mul_f32 v[12:13], v[12:13], v[16:17]
	;;#ASMEND
	;;#ASMSTART
	v_pk_mul_f32 v[10:11], v[10:11], v[16:17]
	;;#ASMEND
	;; [unrolled: 3-line block ×3, first 2 shown]
	v_cvt_f32_u32_sdwa v20, v3 dst_sel:DWORD dst_unused:UNUSED_PAD src0_sel:WORD_0
	;;#ASMSTART
	v_pk_mul_f32 v[2:3], v[6:7], v[16:17]
	;;#ASMEND
	v_cvt_f32_u32_sdwa v17, v4 dst_sel:DWORD dst_unused:UNUSED_PAD src0_sel:WORD_1
	v_cvt_f32_u32_sdwa v16, v4 dst_sel:DWORD dst_unused:UNUSED_PAD src0_sel:WORD_0
	v_pk_add_f32 v[6:7], v[18:19], 1.0 op_sel_hi:[1,0]
	v_cvt_f32_u32_sdwa v19, v5 dst_sel:DWORD dst_unused:UNUSED_PAD src0_sel:WORD_1
	v_cvt_f32_u32_sdwa v18, v5 dst_sel:DWORD dst_unused:UNUSED_PAD src0_sel:WORD_0
	;;#ASMSTART
	v_pk_mul_f32 v[12:13], v[12:13], v[6:7]
	;;#ASMEND
	v_pk_add_f32 v[6:7], v[20:21], 1.0 op_sel_hi:[1,0]
	v_pk_add_f32 v[4:5], v[16:17], 1.0 op_sel_hi:[1,0]
	;;#ASMSTART
	v_pk_mul_f32 v[10:11], v[10:11], v[6:7]
	;;#ASMEND
	;;#ASMSTART
	v_pk_mul_f32 v[8:9], v[8:9], v[4:5]
	;;#ASMEND
	v_pk_add_f32 v[4:5], v[18:19], 1.0 op_sel_hi:[1,0]
	;;#ASMSTART
	v_pk_mul_f32 v[6:7], v[2:3], v[4:5]
	;;#ASMEND
.LBB594_7:
	s_or_b64 exec, exec, s[8:9]
	s_load_dword s7, s[4:5], 0x80
	s_mov_b64 s[8:9], -1
	s_and_b64 vcc, exec, s[14:15]
	s_cbranch_vccnz .LBB594_11
; %bb.8:
	s_andn2_b64 vcc, exec, s[8:9]
	s_cbranch_vccz .LBB594_14
.LBB594_9:
	s_cmp_lt_i32 s20, 1
	s_cbranch_scc0 .LBB594_21
.LBB594_10:
	s_endpgm
.LBB594_11:
	s_and_saveexec_b64 s[14:15], s[2:3]
	s_cbranch_execz .LBB594_13
; %bb.12:
	s_waitcnt lgkmcnt(0)
	s_mul_hi_i32 s9, s7, s6
	s_mul_i32 s8, s7, s6
	s_lshl_b64 s[8:9], s[8:9], 1
	s_add_u32 s8, s28, s8
	s_addc_u32 s9, s29, s9
	s_mov_b32 s16, 0x7060302
	s_and_b32 s9, s9, 0xffff
	s_mov_b32 s11, 0x20000
	s_waitcnt vmcnt(0)
	v_perm_b32 v2, v13, v12, s16
	v_perm_b32 v3, v11, v10, s16
	;; [unrolled: 1-line block ×4, first 2 shown]
	v_lshlrev_b32_e32 v16, 4, v0
	buffer_store_dwordx4 v[2:5], v16, s[8:11], 0 offen
	;;#ASMSTART
	s_nop 0
	;;#ASMEND
.LBB594_13:
	s_or_b64 exec, exec, s[14:15]
	s_cbranch_execnz .LBB594_9
.LBB594_14:
	s_waitcnt vmcnt(0)
	v_mov_b32_e32 v2, 0
	s_and_saveexec_b64 s[8:9], s[2:3]
	s_cbranch_execz .LBB594_16
; %bb.15:
	v_and_b32_e32 v2, 0x7fffffff, v12
	v_and_b32_e32 v3, 0x7fffffff, v13
	v_mov_b32_e32 v4, 0x2edbe6ff
	;;#ASMSTART
	v_max3_f32 v2, v4, v2, v3

	;;#ASMEND
	v_and_b32_e32 v3, 0x7fffffff, v10
	v_and_b32_e32 v4, 0x7fffffff, v11
	;;#ASMSTART
	v_max3_f32 v2, v2, v3, v4

	;;#ASMEND
	v_and_b32_e32 v3, 0x7fffffff, v8
	v_and_b32_e32 v4, 0x7fffffff, v9
	;; [unrolled: 6-line block ×3, first 2 shown]
	;;#ASMSTART
	v_max3_f32 v2, v2, v3, v4

	;;#ASMEND
.LBB594_16:
	s_or_b64 exec, exec, s[8:9]
	s_load_dwordx4 s[24:27], s[4:5], 0x70
	;;#ASMSTART
	v_max_f32 v3, v2, v2 quad_perm:[1,0,3,2] row_mask:0xf bank_mask:0xf bound_ctrl:1
	;;#ASMEND
	;;#ASMSTART
	v_max_f32 v2, v3, v3 quad_perm:[2,3,0,1] row_mask:0xf bank_mask:0xf bound_ctrl:1
	;;#ASMEND
	v_cmp_eq_u32_e32 vcc, 0, v15
	v_cmp_gt_i32_e64 s[8:9], s19, v1
	v_mul_f32_e32 v2, 0x3b124925, v2
	s_and_b64 s[10:11], vcc, s[8:9]
	s_and_saveexec_b64 s[8:9], s[10:11]
	s_cbranch_execz .LBB594_18
; %bb.17:
	s_load_dwordx2 s[10:11], s[4:5], 0x8
	s_waitcnt lgkmcnt(0)
	s_mul_hi_i32 s15, s25, s6
	s_mul_i32 s14, s25, s6
	v_lshrrev_b32_e32 v3, 2, v0
	s_lshl_b64 s[14:15], s[14:15], 2
	v_mad_i64_i32 v[4:5], s[26:27], s26, v3, 0
	s_add_u32 s10, s10, s14
	s_addc_u32 s11, s11, s15
	v_lshlrev_b64 v[4:5], 2, v[4:5]
	v_mov_b32_e32 v3, s11
	v_add_co_u32_e32 v4, vcc, s10, v4
	v_addc_co_u32_e32 v5, vcc, v3, v5, vcc
	global_store_dword v[4:5], v2, off
.LBB594_18:
	s_or_b64 exec, exec, s[8:9]
	;;#ASMSTART
	v_rcp_f32 v2, v2
	;;#ASMEND
	s_and_saveexec_b64 s[14:15], s[2:3]
	s_cbranch_execz .LBB594_20
; %bb.19:
	s_load_dwordx2 s[2:3], s[4:5], 0x0
	s_waitcnt lgkmcnt(0)
	s_mul_i32 s8, s24, s6
	s_mul_hi_i32 s9, s24, s6
	v_mov_b32_e32 v3, v2
	;;#ASMSTART
	v_pk_mul_f32 v[4:5], v[12:13], v[2:3]
	;;#ASMEND
	s_add_u32 s8, s2, s8
	s_addc_u32 s2, s3, s9
	s_add_i32 s3, s19, 3
	s_ashr_i32 s9, s3, 31
	v_mov_b32_e32 v12, 0xc3e00000
	v_mov_b32_e32 v13, 0x43e00000
	;;#ASMSTART
	v_med3_f32 v4, v4, v12, v13
v_med3_f32 v5, v5, v12, v13
v_cvt_pk_fp8_f32 v15, v4, v5
	;;#ASMEND
	s_lshr_b32 s9, s9, 30
	;;#ASMSTART
	v_pk_mul_f32 v[4:5], v[10:11], v[2:3]
	;;#ASMEND
	s_add_i32 s3, s3, s9
	s_and_b32 s9, s2, 0xffff
	;;#ASMSTART
	v_med3_f32 v4, v4, v12, v13
v_med3_f32 v5, v5, v12, v13
v_cvt_pk_fp8_f32 v10, v4, v5
	;;#ASMEND
	s_mov_b32 s2, 0x5040100
	v_perm_b32 v5, v10, v15, s2
	s_movk_i32 s2, 0xff
	v_and_b32_e32 v4, 0xffffff00, v10
	v_and_b32_sdwa v10, v5, s2 dst_sel:DWORD dst_unused:UNUSED_PAD src0_sel:WORD_1 src1_sel:DWORD
	s_mov_b32 s16, 0xffff
	v_or_b32_sdwa v4, v10, v4 dst_sel:WORD_1 dst_unused:UNUSED_PAD src0_sel:DWORD src1_sel:DWORD
	v_and_or_b32 v4, v5, s16, v4
	;;#ASMSTART
	v_pk_mul_f32 v[8:9], v[8:9], v[2:3]
	;;#ASMEND
	v_mov_b32_e32 v5, v9
	;;#ASMSTART
	v_med3_f32 v8, v8, v12, v13
v_med3_f32 v5, v5, v12, v13
v_cvt_pk_fp8_f32 v9, v8, v5
	;;#ASMEND
	;;#ASMSTART
	v_pk_mul_f32 v[2:3], v[6:7], v[2:3]
	;;#ASMEND
	;;#ASMSTART
	v_med3_f32 v2, v2, v12, v13
v_med3_f32 v3, v3, v12, v13
v_cvt_pk_fp8_f32 v5, v2, v3
	;;#ASMEND
	v_lshlrev_b32_e32 v2, 16, v5
	s_and_b32 s10, s3, -4
	s_mov_b32 s11, 0x20000
	v_and_or_b32 v5, v9, s16, v2
	buffer_store_dwordx2 v[4:5], v1, s[8:11], 0 offen
	;;#ASMSTART
	s_nop 0
	;;#ASMEND
.LBB594_20:
	s_or_b64 exec, exec, s[14:15]
	s_cmp_lt_i32 s20, 1
	s_cbranch_scc1 .LBB594_10
.LBB594_21:
	s_load_dword s2, s[4:5], 0x94
	s_waitcnt lgkmcnt(0)
	s_cmp_lg_u32 s2, 1
	s_cbranch_scc1 .LBB594_10
; %bb.22:
	s_lshl_b32 s2, s20, 1
	s_add_i32 s2, s2, 2
	v_cmp_gt_u32_e32 vcc, s20, v1
	s_and_b32 s14, s2, -4
	v_mov_b32_e32 v6, 0
	v_lshlrev_b32_e32 v1, 4, v0
	v_mov_b32_e32 v7, 0
	v_mov_b32_e32 v8, 0
	;; [unrolled: 1-line block ×3, first 2 shown]
	s_waitcnt vmcnt(0)
	v_mov_b32_e32 v2, 0
	v_mov_b32_e32 v3, 0
	;; [unrolled: 1-line block ×4, first 2 shown]
	s_barrier
	s_and_saveexec_b64 s[2:3], vcc
	s_cbranch_execz .LBB594_24
; %bb.23:
	s_mul_hi_i32 s5, s22, s6
	s_mul_i32 s4, s22, s6
	s_and_b32 s13, s13, 0xffff
	s_lshl_b64 s[4:5], s[4:5], 1
	s_add_u32 s8, s30, s4
	s_mov_b32 s15, 0x20000
	s_addc_u32 s4, s31, s5
	s_and_b32 s9, s4, 0xffff
	s_mov_b32 s10, s14
	s_mov_b32 s11, s15
	buffer_load_dwordx4 v[6:9], v1, s[8:11], 0 offen glc slc
	buffer_load_dwordx4 v[2:5], v1, s[12:15], 0 offen
.LBB594_24:
	s_or_b64 exec, exec, s[2:3]
	s_waitcnt vmcnt(1)
	v_cvt_f32_u32_sdwa v13, v6 dst_sel:DWORD dst_unused:UNUSED_PAD src0_sel:WORD_1
	v_cvt_f32_u32_sdwa v12, v6 dst_sel:DWORD dst_unused:UNUSED_PAD src0_sel:WORD_0
	v_cvt_f32_u32_sdwa v6, v9 dst_sel:DWORD dst_unused:UNUSED_PAD src0_sel:WORD_1
	v_cvt_f32_u32_sdwa v9, v9 dst_sel:DWORD dst_unused:UNUSED_PAD src0_sel:WORD_0
	;; [unrolled: 2-line block ×4, first 2 shown]
	v_cndmask_b32_e32 v13, 0, v13, vcc
	v_cndmask_b32_e32 v7, 0, v6, vcc
	v_cndmask_b32_e32 v6, 0, v9, vcc
	v_cndmask_b32_e32 v9, 0, v15, vcc
	v_cndmask_b32_e32 v12, 0, v12, vcc
	v_mul_f32_e32 v15, v13, v13
	v_cndmask_b32_e32 v10, 0, v10, vcc
	v_fmac_f32_e32 v15, v12, v12
	v_cndmask_b32_e32 v11, 0, v11, vcc
	v_fmac_f32_e32 v15, v10, v10
	;; [unrolled: 2-line block ×3, first 2 shown]
	v_fmac_f32_e32 v15, v8, v8
	v_fmac_f32_e32 v15, v9, v9
	;; [unrolled: 1-line block ×4, first 2 shown]
	s_nop 1
	v_mov_b32_dpp v16, v15 quad_perm:[1,0,3,2] row_mask:0xf bank_mask:0xf
	v_add_f32_e32 v15, v15, v16
	s_nop 1
	v_mov_b32_dpp v16, v15 quad_perm:[2,3,0,1] row_mask:0xf bank_mask:0xf
	v_add_f32_e32 v15, v15, v16
	s_nop 1
	v_mov_b32_dpp v16, v15 row_half_mirror row_mask:0xf bank_mask:0xf
	v_add_f32_e32 v15, v15, v16
	s_nop 1
	v_mov_b32_dpp v16, v15 row_mirror row_mask:0xf bank_mask:0xf
	v_add_f32_e32 v15, v15, v16
	s_nop 1
	v_mov_b32_dpp v16, v15 row_bcast:15 row_mask:0xf bank_mask:0xf
	v_add_f32_e32 v15, v15, v16
	s_nop 1
	v_mov_b32_dpp v16, v15 row_bcast:31 row_mask:0xf bank_mask:0xf
	s_and_saveexec_b64 s[2:3], s[0:1]
	s_cbranch_execz .LBB594_26
; %bb.25:
	v_lshrrev_b32_e32 v0, 4, v0
	v_add_f32_e32 v15, v15, v16
	v_and_b32_e32 v0, 60, v0
	ds_write_b32 v0, v15
.LBB594_26:
	s_or_b64 exec, exec, s[2:3]
	s_waitcnt lgkmcnt(0)
	s_barrier
	ds_read_b32 v0, v14
	s_waitcnt lgkmcnt(0)
	s_nop 0
	v_mov_b32_dpp v14, v0 quad_perm:[1,0,3,2] row_mask:0xf bank_mask:0xf
	v_add_f32_e32 v0, v0, v14
	s_nop 1
	v_mov_b32_dpp v14, v0 quad_perm:[2,3,0,1] row_mask:0xf bank_mask:0xf
	s_and_saveexec_b64 s[0:1], vcc
	s_cbranch_execz .LBB594_10
; %bb.27:
	v_cvt_f32_u32_e32 v15, s20
	v_add_f32_e32 v0, v0, v14
	s_mov_b32 s15, 0x20000
	v_div_scale_f32 v14, s[0:1], v15, v15, v0
	v_rcp_f32_e32 v16, v14
	v_div_scale_f32 v17, vcc, v0, v15, v0
	s_mov_b32 s0, 0x800000
	v_fma_f32 v18, -v14, v16, 1.0
	v_fmac_f32_e32 v16, v18, v16
	v_mul_f32_e32 v18, v17, v16
	v_fma_f32 v19, -v14, v18, v17
	v_fmac_f32_e32 v18, v19, v16
	v_fma_f32 v14, -v14, v18, v17
	v_div_fmas_f32 v14, v14, v16, v18
	v_div_fixup_f32 v0, v14, v15, v0
	v_add_f32_e32 v0, s17, v0
	v_mul_f32_e32 v14, 0x4b800000, v0
	v_cmp_gt_f32_e32 vcc, s0, v0
	v_cndmask_b32_e32 v0, v0, v14, vcc
	v_rsq_f32_e32 v0, v0
	s_waitcnt vmcnt(0)
	v_cvt_f32_u32_sdwa v17, v2 dst_sel:DWORD dst_unused:UNUSED_PAD src0_sel:WORD_1
	v_cvt_f32_u32_sdwa v16, v2 dst_sel:DWORD dst_unused:UNUSED_PAD src0_sel:WORD_0
	v_cvt_f32_u32_sdwa v19, v3 dst_sel:DWORD dst_unused:UNUSED_PAD src0_sel:WORD_1
	v_mul_f32_e32 v14, 0x45800000, v0
	v_cndmask_b32_e32 v14, v0, v14, vcc
	v_mov_b32_e32 v15, v14
	;;#ASMSTART
	v_pk_mul_f32 v[12:13], v[12:13], v[14:15]
	;;#ASMEND
	;;#ASMSTART
	v_pk_mul_f32 v[10:11], v[10:11], v[14:15]
	;;#ASMEND
	;; [unrolled: 3-line block ×3, first 2 shown]
	v_cvt_f32_u32_sdwa v18, v3 dst_sel:DWORD dst_unused:UNUSED_PAD src0_sel:WORD_0
	;;#ASMSTART
	v_pk_mul_f32 v[2:3], v[6:7], v[14:15]
	;;#ASMEND
	v_cvt_f32_u32_sdwa v15, v4 dst_sel:DWORD dst_unused:UNUSED_PAD src0_sel:WORD_1
	v_cvt_f32_u32_sdwa v14, v4 dst_sel:DWORD dst_unused:UNUSED_PAD src0_sel:WORD_0
	v_pk_add_f32 v[6:7], v[16:17], 1.0 op_sel_hi:[1,0]
	v_cvt_f32_u32_sdwa v17, v5 dst_sel:DWORD dst_unused:UNUSED_PAD src0_sel:WORD_1
	v_cvt_f32_u32_sdwa v16, v5 dst_sel:DWORD dst_unused:UNUSED_PAD src0_sel:WORD_0
	s_mul_hi_i32 s1, s7, s6
	s_mul_i32 s0, s7, s6
	s_lshl_b64 s[0:1], s[0:1], 1
	s_add_u32 s12, s28, s0
	;;#ASMSTART
	v_pk_mul_f32 v[6:7], v[12:13], v[6:7]
	;;#ASMEND
	v_pk_add_f32 v[12:13], v[18:19], 1.0 op_sel_hi:[1,0]
	;;#ASMSTART
	v_pk_mul_f32 v[4:5], v[10:11], v[12:13]
	;;#ASMEND
	v_pk_add_f32 v[10:11], v[14:15], 1.0 op_sel_hi:[1,0]
	s_addc_u32 s0, s29, s1
	;;#ASMSTART
	v_pk_mul_f32 v[8:9], v[8:9], v[10:11]
	;;#ASMEND
	v_pk_add_f32 v[10:11], v[16:17], 1.0 op_sel_hi:[1,0]
	s_and_b32 s13, s0, 0xffff
	s_mov_b32 s0, 0x7060302
	;;#ASMSTART
	v_pk_mul_f32 v[10:11], v[2:3], v[10:11]
	;;#ASMEND
	v_perm_b32 v2, v7, v6, s0
	v_perm_b32 v3, v5, v4, s0
	;; [unrolled: 1-line block ×4, first 2 shown]
	buffer_store_dwordx4 v[2:5], v1, s[12:15], 0 offen
	;;#ASMSTART
	s_nop 0
	;;#ASMEND
	s_endpgm
	.section	.rodata,"a",@progbits
	.p2align	6, 0x0
	.amdhsa_kernel _ZN5aiter35fused_qk_rmsnorm_group_quant_kernelItDB8_Li256ELi8ELi4ELb0ELb0ELb1ELb0ELb0ELb0EEEvPT0_PvPT_S6_S6_PKS5_S8_S8_S8_S8_ffiiiiiiiiiiiii
		.amdhsa_group_segment_fixed_size 32
		.amdhsa_private_segment_fixed_size 0
		.amdhsa_kernarg_size 400
		.amdhsa_user_sgpr_count 6
		.amdhsa_user_sgpr_private_segment_buffer 1
		.amdhsa_user_sgpr_dispatch_ptr 0
		.amdhsa_user_sgpr_queue_ptr 0
		.amdhsa_user_sgpr_kernarg_segment_ptr 1
		.amdhsa_user_sgpr_dispatch_id 0
		.amdhsa_user_sgpr_flat_scratch_init 0
		.amdhsa_user_sgpr_kernarg_preload_length 0
		.amdhsa_user_sgpr_kernarg_preload_offset 0
		.amdhsa_user_sgpr_private_segment_size 0
		.amdhsa_uses_dynamic_stack 0
		.amdhsa_system_sgpr_private_segment_wavefront_offset 0
		.amdhsa_system_sgpr_workgroup_id_x 1
		.amdhsa_system_sgpr_workgroup_id_y 1
		.amdhsa_system_sgpr_workgroup_id_z 0
		.amdhsa_system_sgpr_workgroup_info 0
		.amdhsa_system_vgpr_workitem_id 0
		.amdhsa_next_free_vgpr 24
		.amdhsa_next_free_sgpr 32
		.amdhsa_accum_offset 24
		.amdhsa_reserve_vcc 1
		.amdhsa_reserve_flat_scratch 0
		.amdhsa_float_round_mode_32 0
		.amdhsa_float_round_mode_16_64 0
		.amdhsa_float_denorm_mode_32 3
		.amdhsa_float_denorm_mode_16_64 3
		.amdhsa_dx10_clamp 1
		.amdhsa_ieee_mode 1
		.amdhsa_fp16_overflow 0
		.amdhsa_tg_split 0
		.amdhsa_exception_fp_ieee_invalid_op 0
		.amdhsa_exception_fp_denorm_src 0
		.amdhsa_exception_fp_ieee_div_zero 0
		.amdhsa_exception_fp_ieee_overflow 0
		.amdhsa_exception_fp_ieee_underflow 0
		.amdhsa_exception_fp_ieee_inexact 0
		.amdhsa_exception_int_div_zero 0
	.end_amdhsa_kernel
	.section	.text._ZN5aiter35fused_qk_rmsnorm_group_quant_kernelItDB8_Li256ELi8ELi4ELb0ELb0ELb1ELb0ELb0ELb0EEEvPT0_PvPT_S6_S6_PKS5_S8_S8_S8_S8_ffiiiiiiiiiiiii,"axG",@progbits,_ZN5aiter35fused_qk_rmsnorm_group_quant_kernelItDB8_Li256ELi8ELi4ELb0ELb0ELb1ELb0ELb0ELb0EEEvPT0_PvPT_S6_S6_PKS5_S8_S8_S8_S8_ffiiiiiiiiiiiii,comdat
.Lfunc_end594:
	.size	_ZN5aiter35fused_qk_rmsnorm_group_quant_kernelItDB8_Li256ELi8ELi4ELb0ELb0ELb1ELb0ELb0ELb0EEEvPT0_PvPT_S6_S6_PKS5_S8_S8_S8_S8_ffiiiiiiiiiiiii, .Lfunc_end594-_ZN5aiter35fused_qk_rmsnorm_group_quant_kernelItDB8_Li256ELi8ELi4ELb0ELb0ELb1ELb0ELb0ELb0EEEvPT0_PvPT_S6_S6_PKS5_S8_S8_S8_S8_ffiiiiiiiiiiiii
                                        ; -- End function
	.section	.AMDGPU.csdata,"",@progbits
; Kernel info:
; codeLenInByte = 2548
; NumSgprs: 36
; NumVgprs: 24
; NumAgprs: 0
; TotalNumVgprs: 24
; ScratchSize: 0
; MemoryBound: 0
; FloatMode: 240
; IeeeMode: 1
; LDSByteSize: 32 bytes/workgroup (compile time only)
; SGPRBlocks: 4
; VGPRBlocks: 2
; NumSGPRsForWavesPerEU: 36
; NumVGPRsForWavesPerEU: 24
; AccumOffset: 24
; Occupancy: 8
; WaveLimiterHint : 0
; COMPUTE_PGM_RSRC2:SCRATCH_EN: 0
; COMPUTE_PGM_RSRC2:USER_SGPR: 6
; COMPUTE_PGM_RSRC2:TRAP_HANDLER: 0
; COMPUTE_PGM_RSRC2:TGID_X_EN: 1
; COMPUTE_PGM_RSRC2:TGID_Y_EN: 1
; COMPUTE_PGM_RSRC2:TGID_Z_EN: 0
; COMPUTE_PGM_RSRC2:TIDIG_COMP_CNT: 0
; COMPUTE_PGM_RSRC3_GFX90A:ACCUM_OFFSET: 5
; COMPUTE_PGM_RSRC3_GFX90A:TG_SPLIT: 0
	.section	.text._ZN5aiter35fused_qk_rmsnorm_group_quant_kernelIDF16_N4opus5fp4_tELi256ELi8ELi4ELb0ELb0ELb1ELb0ELb0ELb0EEEvPT0_PvPT_S7_S7_PKS6_S9_S9_S9_S9_ffiiiiiiiiiiiii,"axG",@progbits,_ZN5aiter35fused_qk_rmsnorm_group_quant_kernelIDF16_N4opus5fp4_tELi256ELi8ELi4ELb0ELb0ELb1ELb0ELb0ELb0EEEvPT0_PvPT_S7_S7_PKS6_S9_S9_S9_S9_ffiiiiiiiiiiiii,comdat
	.protected	_ZN5aiter35fused_qk_rmsnorm_group_quant_kernelIDF16_N4opus5fp4_tELi256ELi8ELi4ELb0ELb0ELb1ELb0ELb0ELb0EEEvPT0_PvPT_S7_S7_PKS6_S9_S9_S9_S9_ffiiiiiiiiiiiii ; -- Begin function _ZN5aiter35fused_qk_rmsnorm_group_quant_kernelIDF16_N4opus5fp4_tELi256ELi8ELi4ELb0ELb0ELb1ELb0ELb0ELb0EEEvPT0_PvPT_S7_S7_PKS6_S9_S9_S9_S9_ffiiiiiiiiiiiii
	.globl	_ZN5aiter35fused_qk_rmsnorm_group_quant_kernelIDF16_N4opus5fp4_tELi256ELi8ELi4ELb0ELb0ELb1ELb0ELb0ELb0EEEvPT0_PvPT_S7_S7_PKS6_S9_S9_S9_S9_ffiiiiiiiiiiiii
	.p2align	8
	.type	_ZN5aiter35fused_qk_rmsnorm_group_quant_kernelIDF16_N4opus5fp4_tELi256ELi8ELi4ELb0ELb0ELb1ELb0ELb0ELb0EEEvPT0_PvPT_S7_S7_PKS6_S9_S9_S9_S9_ffiiiiiiiiiiiii,@function
_ZN5aiter35fused_qk_rmsnorm_group_quant_kernelIDF16_N4opus5fp4_tELi256ELi8ELi4ELb0ELb0ELb1ELb0ELb0ELb0EEEvPT0_PvPT_S7_S7_PKS6_S9_S9_S9_S9_ffiiiiiiiiiiiii: ; @_ZN5aiter35fused_qk_rmsnorm_group_quant_kernelIDF16_N4opus5fp4_tELi256ELi8ELi4ELb0ELb0ELb1ELb0ELb0ELb0EEEvPT0_PvPT_S7_S7_PKS6_S9_S9_S9_S9_ffiiiiiiiiiiiii
; %bb.0:
	s_load_dwordx4 s[16:19], s[4:5], 0x50
	s_waitcnt lgkmcnt(0)
	s_cmp_ge_i32 s6, s18
	s_cbranch_scc1 .LBB595_12
; %bb.1:
	s_load_dwordx2 s[12:13], s[4:5], 0x48
	s_load_dwordx2 s[30:31], s[4:5], 0x30
	s_load_dwordx4 s[20:23], s[4:5], 0x60
	s_cmp_lg_u32 s7, 0
	s_cselect_b64 s[14:15], -1, 0
	s_cmp_eq_u32 s7, 0
	s_cselect_b64 vcc, -1, 0
	s_and_b64 s[0:1], vcc, exec
	s_waitcnt lgkmcnt(0)
	s_cselect_b32 s7, s19, s20
	s_add_i32 s0, s7, 1
	s_lshr_b32 s1, s0, 31
	s_add_i32 s0, s0, s1
	s_lshl_b32 s0, s0, 1
	v_lshlrev_b32_e32 v1, 3, v0
	s_and_b32 s10, s0, -4
	v_cmp_gt_i32_e64 s[2:3], s7, v1
	v_mov_b32_e32 v10, 0
	v_mov_b32_e32 v2, 0
	v_mov_b32_e32 v3, 0
	v_mov_b32_e32 v4, 0
	v_mov_b32_e32 v5, 0
	v_mov_b32_e32 v6, 0
	v_mov_b32_e32 v7, 0
	v_mov_b32_e32 v8, 0
	v_mov_b32_e32 v9, 0
	s_and_saveexec_b64 s[0:1], s[2:3]
	s_cbranch_execz .LBB595_3
; %bb.2:
	s_load_dwordx2 s[8:9], s[4:5], 0x28
	s_load_dwordx2 s[26:27], s[4:5], 0x40
	s_and_b64 s[24:25], vcc, exec
	s_cselect_b32 s11, s21, s22
	v_lshlrev_b32_e32 v11, 4, v0
	s_waitcnt lgkmcnt(0)
	s_cselect_b32 s18, s9, s31
	s_cselect_b32 s21, s8, s30
	s_mul_hi_i32 s9, s11, s6
	s_mul_i32 s8, s11, s6
	s_lshl_b64 s[8:9], s[8:9], 1
	s_add_u32 s24, s21, s8
	s_addc_u32 s18, s18, s9
	s_and_b64 s[8:9], vcc, exec
	s_mov_b32 s11, 0x20000
	s_cselect_b32 s8, s26, s12
	s_cselect_b32 s9, s27, s13
	s_and_b32 s25, s18, 0xffff
	s_mov_b32 s26, s10
	s_mov_b32 s27, s11
	s_and_b32 s9, s9, 0xffff
	buffer_load_dwordx4 v[6:9], v11, s[24:27], 0 offen glc slc
	buffer_load_dwordx4 v[2:5], v11, s[8:11], 0 offen
.LBB595_3:
	s_or_b64 exec, exec, s[0:1]
	v_mov_b32_e32 v11, 0
	v_mov_b32_e32 v16, 0
	;; [unrolled: 1-line block ×7, first 2 shown]
	s_and_saveexec_b64 s[0:1], s[2:3]
	s_cbranch_execz .LBB595_5
; %bb.4:
	s_waitcnt vmcnt(1)
	v_cvt_f32_f16_sdwa v11, v6 dst_sel:DWORD dst_unused:UNUSED_PAD src0_sel:WORD_1
	v_cvt_f32_f16_e32 v10, v6
	v_cvt_f32_f16_sdwa v17, v7 dst_sel:DWORD dst_unused:UNUSED_PAD src0_sel:WORD_1
	v_cvt_f32_f16_e32 v16, v7
	;; [unrolled: 2-line block ×4, first 2 shown]
.LBB595_5:
	s_or_b64 exec, exec, s[0:1]
	s_waitcnt vmcnt(1)
	v_mul_f32_e32 v6, v11, v11
	v_fmac_f32_e32 v6, v10, v10
	v_fmac_f32_e32 v6, v16, v16
	;; [unrolled: 1-line block ×7, first 2 shown]
	v_and_b32_e32 v8, 63, v0
	v_cmp_eq_u32_e64 s[0:1], 63, v8
	v_mov_b32_dpp v7, v6 quad_perm:[1,0,3,2] row_mask:0xf bank_mask:0xf
	v_add_f32_e32 v6, v6, v7
	s_nop 1
	v_mov_b32_dpp v7, v6 quad_perm:[2,3,0,1] row_mask:0xf bank_mask:0xf
	v_add_f32_e32 v6, v6, v7
	s_nop 1
	v_mov_b32_dpp v7, v6 row_half_mirror row_mask:0xf bank_mask:0xf
	v_add_f32_e32 v6, v6, v7
	s_nop 1
	v_mov_b32_dpp v7, v6 row_mirror row_mask:0xf bank_mask:0xf
	v_add_f32_e32 v6, v6, v7
	s_nop 1
	v_mov_b32_dpp v7, v6 row_bcast:15 row_mask:0xf bank_mask:0xf
	v_add_f32_e32 v6, v6, v7
	s_nop 1
	v_mov_b32_dpp v7, v6 row_bcast:31 row_mask:0xf bank_mask:0xf
	s_and_saveexec_b64 s[8:9], s[0:1]
	s_cbranch_execz .LBB595_7
; %bb.6:
	v_add_f32_e32 v6, v6, v7
	v_lshrrev_b32_e32 v7, 4, v0
	v_and_b32_e32 v7, 60, v7
	ds_write_b32 v7, v6 offset:16
.LBB595_7:
	s_or_b64 exec, exec, s[8:9]
	v_and_b32_e32 v6, 3, v0
	v_lshlrev_b32_e32 v18, 2, v6
	s_waitcnt lgkmcnt(0)
	s_barrier
	ds_read_b32 v7, v18 offset:16
	s_load_dwordx2 s[28:29], s[4:5], 0x18
	s_waitcnt lgkmcnt(0)
	v_mov_b32_dpp v8, v7 quad_perm:[1,0,3,2] row_mask:0xf bank_mask:0xf
	v_add_f32_e32 v7, v7, v8
	s_nop 1
	v_mov_b32_dpp v8, v7 quad_perm:[2,3,0,1] row_mask:0xf bank_mask:0xf
	s_and_saveexec_b64 s[8:9], s[2:3]
	s_cbranch_execz .LBB595_9
; %bb.8:
	v_cvt_f32_u32_e32 v9, s7
	v_add_f32_e32 v7, v7, v8
	v_mov_b32_e32 v20, s17
	v_mov_b32_e32 v21, s16
	v_div_scale_f32 v8, s[24:25], v9, v9, v7
	v_rcp_f32_e32 v19, v8
	v_cndmask_b32_e32 v20, v20, v21, vcc
	s_mov_b32 s7, 0x800000
	v_fma_f32 v21, -v8, v19, 1.0
	v_fmac_f32_e32 v19, v21, v19
	v_div_scale_f32 v21, vcc, v7, v9, v7
	v_mul_f32_e32 v22, v21, v19
	v_fma_f32 v23, -v8, v22, v21
	v_fmac_f32_e32 v22, v23, v19
	v_fma_f32 v8, -v8, v22, v21
	v_div_fmas_f32 v8, v8, v19, v22
	v_div_fixup_f32 v7, v8, v9, v7
	v_add_f32_e32 v7, v20, v7
	v_mul_f32_e32 v8, 0x4b800000, v7
	v_cmp_gt_f32_e32 vcc, s7, v7
	v_cndmask_b32_e32 v7, v7, v8, vcc
	v_rsq_f32_e32 v7, v7
	s_waitcnt vmcnt(0)
	v_cvt_f32_f16_sdwa v21, v2 dst_sel:DWORD dst_unused:UNUSED_PAD src0_sel:WORD_1
	v_cvt_f32_f16_e32 v20, v2
	v_cvt_f32_f16_sdwa v23, v3 dst_sel:DWORD dst_unused:UNUSED_PAD src0_sel:WORD_1
	v_mul_f32_e32 v8, 0x45800000, v7
	v_cndmask_b32_e32 v8, v7, v8, vcc
	v_mov_b32_e32 v9, v8
	;;#ASMSTART
	v_pk_mul_f32 v[10:11], v[10:11], v[8:9]
	;;#ASMEND
	;;#ASMSTART
	v_pk_mul_f32 v[16:17], v[16:17], v[8:9]
	;;#ASMEND
	;; [unrolled: 3-line block ×3, first 2 shown]
	v_cvt_f32_f16_e32 v22, v3
	;;#ASMSTART
	v_pk_mul_f32 v[2:3], v[12:13], v[8:9]
	;;#ASMEND
	v_cvt_f32_f16_sdwa v13, v4 dst_sel:DWORD dst_unused:UNUSED_PAD src0_sel:WORD_1
	v_cvt_f32_f16_e32 v12, v4
	v_pk_add_f32 v[8:9], v[20:21], 1.0 op_sel_hi:[1,0]
	v_cvt_f32_f16_sdwa v21, v5 dst_sel:DWORD dst_unused:UNUSED_PAD src0_sel:WORD_1
	v_cvt_f32_f16_e32 v20, v5
	v_pk_add_f32 v[4:5], v[12:13], 1.0 op_sel_hi:[1,0]
	;;#ASMSTART
	v_pk_mul_f32 v[10:11], v[10:11], v[8:9]
	;;#ASMEND
	v_pk_add_f32 v[8:9], v[22:23], 1.0 op_sel_hi:[1,0]
	;;#ASMSTART
	v_pk_mul_f32 v[16:17], v[16:17], v[8:9]
	;;#ASMEND
	;;#ASMSTART
	v_pk_mul_f32 v[14:15], v[14:15], v[4:5]
	;;#ASMEND
	v_pk_add_f32 v[4:5], v[20:21], 1.0 op_sel_hi:[1,0]
	;;#ASMSTART
	v_pk_mul_f32 v[12:13], v[2:3], v[4:5]
	;;#ASMEND
.LBB595_9:
	s_or_b64 exec, exec, s[8:9]
	s_load_dword s7, s[4:5], 0x80
	s_mov_b64 s[8:9], -1
	s_and_b64 vcc, exec, s[14:15]
	s_cbranch_vccnz .LBB595_13
; %bb.10:
	s_andn2_b64 vcc, exec, s[8:9]
	s_cbranch_vccz .LBB595_16
.LBB595_11:
	s_cmp_lt_i32 s20, 1
	s_cbranch_scc0 .LBB595_23
.LBB595_12:
	s_endpgm
.LBB595_13:
	s_and_saveexec_b64 s[14:15], s[2:3]
	s_cbranch_execz .LBB595_15
; %bb.14:
	s_waitcnt lgkmcnt(0)
	s_mul_hi_i32 s9, s7, s6
	s_mul_i32 s8, s7, s6
	s_waitcnt vmcnt(0)
	v_cvt_f16_f32_e32 v2, v10
	v_cvt_f16_f32_e32 v3, v16
	;; [unrolled: 1-line block ×8, first 2 shown]
	s_lshl_b64 s[8:9], s[8:9], 1
	s_add_u32 s8, s28, s8
	s_addc_u32 s9, s29, s9
	s_and_b32 s9, s9, 0xffff
	s_mov_b32 s11, 0x20000
	v_pack_b32_f16 v5, v5, v7
	v_pack_b32_f16 v4, v4, v8
	;; [unrolled: 1-line block ×4, first 2 shown]
	v_lshlrev_b32_e32 v7, 4, v0
	buffer_store_dwordx4 v[2:5], v7, s[8:11], 0 offen
	;;#ASMSTART
	s_nop 0
	;;#ASMEND
.LBB595_15:
	s_or_b64 exec, exec, s[14:15]
	s_cbranch_execnz .LBB595_11
.LBB595_16:
	s_waitcnt vmcnt(0)
	v_mov_b32_e32 v2, 0
	s_and_saveexec_b64 s[8:9], s[2:3]
	s_cbranch_execz .LBB595_18
; %bb.17:
	v_and_b32_e32 v2, 0x7fffffff, v10
	v_and_b32_e32 v3, 0x7fffffff, v11
	v_mov_b32_e32 v4, 0x2edbe6ff
	;;#ASMSTART
	v_max3_f32 v2, v4, v2, v3

	;;#ASMEND
	v_and_b32_e32 v3, 0x7fffffff, v16
	v_and_b32_e32 v4, 0x7fffffff, v17
	;;#ASMSTART
	v_max3_f32 v2, v2, v3, v4

	;;#ASMEND
	v_and_b32_e32 v3, 0x7fffffff, v14
	v_and_b32_e32 v4, 0x7fffffff, v15
	;; [unrolled: 6-line block ×3, first 2 shown]
	;;#ASMSTART
	v_max3_f32 v2, v2, v3, v4

	;;#ASMEND
.LBB595_18:
	s_or_b64 exec, exec, s[8:9]
	s_load_dwordx4 s[24:27], s[4:5], 0x70
	v_cmp_eq_u32_e32 vcc, 0, v6
	v_cmp_gt_i32_e64 s[8:9], s19, v1
	s_and_b64 s[10:11], vcc, s[8:9]
	;;#ASMSTART
	v_max_f32 v3, v2, v2 quad_perm:[1,0,3,2] row_mask:0xf bank_mask:0xf bound_ctrl:1
	;;#ASMEND
	;;#ASMSTART
	v_max_f32 v2, v3, v3 quad_perm:[2,3,0,1] row_mask:0xf bank_mask:0xf bound_ctrl:1
	;;#ASMEND
	s_and_saveexec_b64 s[8:9], s[10:11]
	s_cbranch_execz .LBB595_20
; %bb.19:
	s_load_dwordx2 s[10:11], s[4:5], 0x8
	v_mul_f32_e32 v2, 0x3e2aaaab, v2
	v_lshrrev_b32_e32 v3, 23, v2
	v_and_b32_e32 v4, 0x7f800000, v2
	v_and_b32_e32 v2, 0x7fffff, v2
	v_cmp_ne_u32_e32 vcc, 0, v2
	s_waitcnt lgkmcnt(0)
	s_mul_i32 s16, s25, s6
	s_mov_b32 s14, 0x7f800000
	v_addc_co_u32_e32 v2, vcc, 0, v3, vcc
	s_mul_hi_i32 s15, s25, s6
	s_add_u32 s10, s10, s16
	v_cmp_ne_u32_e32 vcc, s14, v4
	s_addc_u32 s11, s11, s15
	v_lshrrev_b32_e32 v5, 2, v0
	v_cndmask_b32_e32 v4, -1, v2, vcc
	v_pk_mov_b32 v[2:3], s[10:11], s[10:11] op_sel:[0,1]
	v_mad_i64_i32 v[2:3], s[10:11], s26, v5, v[2:3]
	global_store_byte v[2:3], v4, off
.LBB595_20:
	s_or_b64 exec, exec, s[8:9]
	s_and_saveexec_b64 s[8:9], s[2:3]
	s_cbranch_execz .LBB595_22
; %bb.21:
	s_load_dwordx2 s[2:3], s[4:5], 0x0
	s_waitcnt lgkmcnt(0)
	s_mul_i32 s11, s24, s6
	s_mul_hi_i32 s10, s24, s6
	v_lshlrev_b32_e32 v2, 2, v0
	s_mov_b32 s27, 0x20000
	s_add_u32 s24, s2, s11
	s_addc_u32 s2, s3, s10
	s_lshr_b32 s3, s19, 31
	s_add_i32 s3, s19, s3
	s_ashr_i32 s3, s3, 1
	s_add_i32 s3, s3, 3
	s_ashr_i32 s10, s3, 31
	s_lshr_b32 s10, s10, 30
	s_add_i32 s3, s3, s10
	s_and_b32 s26, s3, -4
	s_and_b32 s25, s2, 0xffff
	v_mov_b32_e32 v3, 0
	buffer_store_dword v3, v2, s[24:27], 0 offen
	;;#ASMSTART
	s_nop 0
	;;#ASMEND
.LBB595_22:
	s_or_b64 exec, exec, s[8:9]
	s_cmp_lt_i32 s20, 1
	s_cbranch_scc1 .LBB595_12
.LBB595_23:
	s_load_dword s2, s[4:5], 0x94
	s_waitcnt lgkmcnt(0)
	s_cmp_lg_u32 s2, 1
	s_cbranch_scc1 .LBB595_12
; %bb.24:
	s_lshl_b32 s2, s20, 1
	s_add_i32 s2, s2, 2
	v_cmp_gt_u32_e32 vcc, s20, v1
	s_and_b32 s14, s2, -4
	v_mov_b32_e32 v10, 0
	v_lshlrev_b32_e32 v1, 4, v0
	v_mov_b32_e32 v6, 0
	v_mov_b32_e32 v7, 0
	;; [unrolled: 1-line block ×4, first 2 shown]
	s_waitcnt vmcnt(0)
	v_mov_b32_e32 v2, 0
	v_mov_b32_e32 v3, 0
	;; [unrolled: 1-line block ×4, first 2 shown]
	s_barrier
	s_and_saveexec_b64 s[2:3], vcc
	s_cbranch_execz .LBB595_26
; %bb.25:
	s_mul_hi_i32 s5, s22, s6
	s_mul_i32 s4, s22, s6
	s_and_b32 s13, s13, 0xffff
	s_lshl_b64 s[4:5], s[4:5], 1
	s_add_u32 s8, s30, s4
	s_mov_b32 s15, 0x20000
	s_addc_u32 s4, s31, s5
	s_and_b32 s9, s4, 0xffff
	s_mov_b32 s10, s14
	s_mov_b32 s11, s15
	buffer_load_dwordx4 v[6:9], v1, s[8:11], 0 offen glc slc
	buffer_load_dwordx4 v[2:5], v1, s[12:15], 0 offen
.LBB595_26:
	s_or_b64 exec, exec, s[2:3]
	v_mov_b32_e32 v11, 0
	v_mov_b32_e32 v16, 0
	;; [unrolled: 1-line block ×7, first 2 shown]
	s_and_saveexec_b64 s[2:3], vcc
	s_cbranch_execz .LBB595_28
; %bb.27:
	s_waitcnt vmcnt(1)
	v_cvt_f32_f16_sdwa v11, v6 dst_sel:DWORD dst_unused:UNUSED_PAD src0_sel:WORD_1
	v_cvt_f32_f16_e32 v10, v6
	v_cvt_f32_f16_sdwa v17, v7 dst_sel:DWORD dst_unused:UNUSED_PAD src0_sel:WORD_1
	v_cvt_f32_f16_e32 v16, v7
	;; [unrolled: 2-line block ×4, first 2 shown]
.LBB595_28:
	s_or_b64 exec, exec, s[2:3]
	s_waitcnt vmcnt(1)
	v_mul_f32_e32 v6, v11, v11
	v_fmac_f32_e32 v6, v10, v10
	v_fmac_f32_e32 v6, v16, v16
	;; [unrolled: 1-line block ×7, first 2 shown]
	s_nop 1
	v_mov_b32_dpp v7, v6 quad_perm:[1,0,3,2] row_mask:0xf bank_mask:0xf
	v_add_f32_e32 v6, v6, v7
	s_nop 1
	v_mov_b32_dpp v7, v6 quad_perm:[2,3,0,1] row_mask:0xf bank_mask:0xf
	v_add_f32_e32 v6, v6, v7
	s_nop 1
	v_mov_b32_dpp v7, v6 row_half_mirror row_mask:0xf bank_mask:0xf
	v_add_f32_e32 v6, v6, v7
	s_nop 1
	v_mov_b32_dpp v7, v6 row_mirror row_mask:0xf bank_mask:0xf
	v_add_f32_e32 v6, v6, v7
	s_nop 1
	v_mov_b32_dpp v7, v6 row_bcast:15 row_mask:0xf bank_mask:0xf
	v_add_f32_e32 v6, v6, v7
	s_nop 1
	v_mov_b32_dpp v7, v6 row_bcast:31 row_mask:0xf bank_mask:0xf
	s_and_saveexec_b64 s[2:3], s[0:1]
	s_cbranch_execz .LBB595_30
; %bb.29:
	v_lshrrev_b32_e32 v0, 4, v0
	v_add_f32_e32 v6, v6, v7
	v_and_b32_e32 v0, 60, v0
	ds_write_b32 v0, v6
.LBB595_30:
	s_or_b64 exec, exec, s[2:3]
	s_waitcnt lgkmcnt(0)
	s_barrier
	ds_read_b32 v0, v18
	s_waitcnt lgkmcnt(0)
	s_nop 0
	v_mov_b32_dpp v6, v0 quad_perm:[1,0,3,2] row_mask:0xf bank_mask:0xf
	v_add_f32_e32 v0, v0, v6
	s_nop 1
	v_mov_b32_dpp v6, v0 quad_perm:[2,3,0,1] row_mask:0xf bank_mask:0xf
	s_and_saveexec_b64 s[0:1], vcc
	s_cbranch_execz .LBB595_12
; %bb.31:
	v_cvt_f32_u32_e32 v7, s20
	v_add_f32_e32 v0, v0, v6
	s_mov_b32 s15, 0x20000
	v_div_scale_f32 v6, s[0:1], v7, v7, v0
	v_rcp_f32_e32 v8, v6
	v_div_scale_f32 v9, vcc, v0, v7, v0
	s_mov_b32 s0, 0x800000
	v_fma_f32 v18, -v6, v8, 1.0
	v_fmac_f32_e32 v8, v18, v8
	v_mul_f32_e32 v18, v9, v8
	v_fma_f32 v19, -v6, v18, v9
	v_fmac_f32_e32 v18, v19, v8
	v_fma_f32 v6, -v6, v18, v9
	v_div_fmas_f32 v6, v6, v8, v18
	v_div_fixup_f32 v0, v6, v7, v0
	v_add_f32_e32 v0, s17, v0
	v_mul_f32_e32 v6, 0x4b800000, v0
	v_cmp_gt_f32_e32 vcc, s0, v0
	v_cndmask_b32_e32 v0, v0, v6, vcc
	v_rsq_f32_e32 v0, v0
	s_waitcnt vmcnt(0)
	v_cvt_f32_f16_sdwa v19, v3 dst_sel:DWORD dst_unused:UNUSED_PAD src0_sel:WORD_1
	v_cvt_f32_f16_e32 v18, v3
	s_mul_hi_i32 s1, s7, s6
	v_mul_f32_e32 v6, 0x45800000, v0
	v_cndmask_b32_e32 v6, v0, v6, vcc
	v_mov_b32_e32 v7, v6
	;;#ASMSTART
	v_pk_mul_f32 v[8:9], v[10:11], v[6:7]
	;;#ASMEND
	;;#ASMSTART
	v_pk_mul_f32 v[10:11], v[16:17], v[6:7]
	;;#ASMEND
	v_cvt_f32_f16_sdwa v17, v2 dst_sel:DWORD dst_unused:UNUSED_PAD src0_sel:WORD_1
	v_cvt_f32_f16_e32 v16, v2
	;;#ASMSTART
	v_pk_mul_f32 v[14:15], v[14:15], v[6:7]
	;;#ASMEND
	;;#ASMSTART
	v_pk_mul_f32 v[2:3], v[12:13], v[6:7]
	;;#ASMEND
	v_cvt_f32_f16_sdwa v13, v4 dst_sel:DWORD dst_unused:UNUSED_PAD src0_sel:WORD_1
	v_cvt_f32_f16_e32 v12, v4
	v_pk_add_f32 v[6:7], v[16:17], 1.0 op_sel_hi:[1,0]
	v_cvt_f32_f16_sdwa v17, v5 dst_sel:DWORD dst_unused:UNUSED_PAD src0_sel:WORD_1
	v_cvt_f32_f16_e32 v16, v5
	;;#ASMSTART
	v_pk_mul_f32 v[6:7], v[8:9], v[6:7]
	;;#ASMEND
	v_pk_add_f32 v[8:9], v[18:19], 1.0 op_sel_hi:[1,0]
	;;#ASMSTART
	v_pk_mul_f32 v[4:5], v[10:11], v[8:9]
	;;#ASMEND
	v_pk_add_f32 v[8:9], v[12:13], 1.0 op_sel_hi:[1,0]
	;; [unrolled: 4-line block ×3, first 2 shown]
	;;#ASMSTART
	v_pk_mul_f32 v[2:3], v[2:3], v[10:11]
	;;#ASMEND
	s_mul_i32 s0, s7, s6
	v_cvt_f16_f32_e32 v0, v6
	v_cvt_f16_f32_e32 v6, v7
	;; [unrolled: 1-line block ×8, first 2 shown]
	s_lshl_b64 s[0:1], s[0:1], 1
	s_add_u32 s12, s28, s0
	s_addc_u32 s0, s29, s1
	s_and_b32 s13, s0, 0xffff
	v_pack_b32_f16 v2, v0, v6
	v_pack_b32_f16 v3, v4, v5
	;; [unrolled: 1-line block ×4, first 2 shown]
	buffer_store_dwordx4 v[2:5], v1, s[12:15], 0 offen
	;;#ASMSTART
	s_nop 0
	;;#ASMEND
	s_endpgm
	.section	.rodata,"a",@progbits
	.p2align	6, 0x0
	.amdhsa_kernel _ZN5aiter35fused_qk_rmsnorm_group_quant_kernelIDF16_N4opus5fp4_tELi256ELi8ELi4ELb0ELb0ELb1ELb0ELb0ELb0EEEvPT0_PvPT_S7_S7_PKS6_S9_S9_S9_S9_ffiiiiiiiiiiiii
		.amdhsa_group_segment_fixed_size 32
		.amdhsa_private_segment_fixed_size 0
		.amdhsa_kernarg_size 400
		.amdhsa_user_sgpr_count 6
		.amdhsa_user_sgpr_private_segment_buffer 1
		.amdhsa_user_sgpr_dispatch_ptr 0
		.amdhsa_user_sgpr_queue_ptr 0
		.amdhsa_user_sgpr_kernarg_segment_ptr 1
		.amdhsa_user_sgpr_dispatch_id 0
		.amdhsa_user_sgpr_flat_scratch_init 0
		.amdhsa_user_sgpr_kernarg_preload_length 0
		.amdhsa_user_sgpr_kernarg_preload_offset 0
		.amdhsa_user_sgpr_private_segment_size 0
		.amdhsa_uses_dynamic_stack 0
		.amdhsa_system_sgpr_private_segment_wavefront_offset 0
		.amdhsa_system_sgpr_workgroup_id_x 1
		.amdhsa_system_sgpr_workgroup_id_y 1
		.amdhsa_system_sgpr_workgroup_id_z 0
		.amdhsa_system_sgpr_workgroup_info 0
		.amdhsa_system_vgpr_workitem_id 0
		.amdhsa_next_free_vgpr 24
		.amdhsa_next_free_sgpr 32
		.amdhsa_accum_offset 24
		.amdhsa_reserve_vcc 1
		.amdhsa_reserve_flat_scratch 0
		.amdhsa_float_round_mode_32 0
		.amdhsa_float_round_mode_16_64 0
		.amdhsa_float_denorm_mode_32 3
		.amdhsa_float_denorm_mode_16_64 3
		.amdhsa_dx10_clamp 1
		.amdhsa_ieee_mode 1
		.amdhsa_fp16_overflow 0
		.amdhsa_tg_split 0
		.amdhsa_exception_fp_ieee_invalid_op 0
		.amdhsa_exception_fp_denorm_src 0
		.amdhsa_exception_fp_ieee_div_zero 0
		.amdhsa_exception_fp_ieee_overflow 0
		.amdhsa_exception_fp_ieee_underflow 0
		.amdhsa_exception_fp_ieee_inexact 0
		.amdhsa_exception_int_div_zero 0
	.end_amdhsa_kernel
	.section	.text._ZN5aiter35fused_qk_rmsnorm_group_quant_kernelIDF16_N4opus5fp4_tELi256ELi8ELi4ELb0ELb0ELb1ELb0ELb0ELb0EEEvPT0_PvPT_S7_S7_PKS6_S9_S9_S9_S9_ffiiiiiiiiiiiii,"axG",@progbits,_ZN5aiter35fused_qk_rmsnorm_group_quant_kernelIDF16_N4opus5fp4_tELi256ELi8ELi4ELb0ELb0ELb1ELb0ELb0ELb0EEEvPT0_PvPT_S7_S7_PKS6_S9_S9_S9_S9_ffiiiiiiiiiiiii,comdat
.Lfunc_end595:
	.size	_ZN5aiter35fused_qk_rmsnorm_group_quant_kernelIDF16_N4opus5fp4_tELi256ELi8ELi4ELb0ELb0ELb1ELb0ELb0ELb0EEEvPT0_PvPT_S7_S7_PKS6_S9_S9_S9_S9_ffiiiiiiiiiiiii, .Lfunc_end595-_ZN5aiter35fused_qk_rmsnorm_group_quant_kernelIDF16_N4opus5fp4_tELi256ELi8ELi4ELb0ELb0ELb1ELb0ELb0ELb0EEEvPT0_PvPT_S7_S7_PKS6_S9_S9_S9_S9_ffiiiiiiiiiiiii
                                        ; -- End function
	.section	.AMDGPU.csdata,"",@progbits
; Kernel info:
; codeLenInByte = 2348
; NumSgprs: 36
; NumVgprs: 24
; NumAgprs: 0
; TotalNumVgprs: 24
; ScratchSize: 0
; MemoryBound: 0
; FloatMode: 240
; IeeeMode: 1
; LDSByteSize: 32 bytes/workgroup (compile time only)
; SGPRBlocks: 4
; VGPRBlocks: 2
; NumSGPRsForWavesPerEU: 36
; NumVGPRsForWavesPerEU: 24
; AccumOffset: 24
; Occupancy: 8
; WaveLimiterHint : 0
; COMPUTE_PGM_RSRC2:SCRATCH_EN: 0
; COMPUTE_PGM_RSRC2:USER_SGPR: 6
; COMPUTE_PGM_RSRC2:TRAP_HANDLER: 0
; COMPUTE_PGM_RSRC2:TGID_X_EN: 1
; COMPUTE_PGM_RSRC2:TGID_Y_EN: 1
; COMPUTE_PGM_RSRC2:TGID_Z_EN: 0
; COMPUTE_PGM_RSRC2:TIDIG_COMP_CNT: 0
; COMPUTE_PGM_RSRC3_GFX90A:ACCUM_OFFSET: 5
; COMPUTE_PGM_RSRC3_GFX90A:TG_SPLIT: 0
	.section	.text._ZN5aiter35fused_qk_rmsnorm_group_quant_kernelItN4opus5fp4_tELi256ELi8ELi4ELb0ELb0ELb1ELb0ELb0ELb0EEEvPT0_PvPT_S7_S7_PKS6_S9_S9_S9_S9_ffiiiiiiiiiiiii,"axG",@progbits,_ZN5aiter35fused_qk_rmsnorm_group_quant_kernelItN4opus5fp4_tELi256ELi8ELi4ELb0ELb0ELb1ELb0ELb0ELb0EEEvPT0_PvPT_S7_S7_PKS6_S9_S9_S9_S9_ffiiiiiiiiiiiii,comdat
	.protected	_ZN5aiter35fused_qk_rmsnorm_group_quant_kernelItN4opus5fp4_tELi256ELi8ELi4ELb0ELb0ELb1ELb0ELb0ELb0EEEvPT0_PvPT_S7_S7_PKS6_S9_S9_S9_S9_ffiiiiiiiiiiiii ; -- Begin function _ZN5aiter35fused_qk_rmsnorm_group_quant_kernelItN4opus5fp4_tELi256ELi8ELi4ELb0ELb0ELb1ELb0ELb0ELb0EEEvPT0_PvPT_S7_S7_PKS6_S9_S9_S9_S9_ffiiiiiiiiiiiii
	.globl	_ZN5aiter35fused_qk_rmsnorm_group_quant_kernelItN4opus5fp4_tELi256ELi8ELi4ELb0ELb0ELb1ELb0ELb0ELb0EEEvPT0_PvPT_S7_S7_PKS6_S9_S9_S9_S9_ffiiiiiiiiiiiii
	.p2align	8
	.type	_ZN5aiter35fused_qk_rmsnorm_group_quant_kernelItN4opus5fp4_tELi256ELi8ELi4ELb0ELb0ELb1ELb0ELb0ELb0EEEvPT0_PvPT_S7_S7_PKS6_S9_S9_S9_S9_ffiiiiiiiiiiiii,@function
_ZN5aiter35fused_qk_rmsnorm_group_quant_kernelItN4opus5fp4_tELi256ELi8ELi4ELb0ELb0ELb1ELb0ELb0ELb0EEEvPT0_PvPT_S7_S7_PKS6_S9_S9_S9_S9_ffiiiiiiiiiiiii: ; @_ZN5aiter35fused_qk_rmsnorm_group_quant_kernelItN4opus5fp4_tELi256ELi8ELi4ELb0ELb0ELb1ELb0ELb0ELb0EEEvPT0_PvPT_S7_S7_PKS6_S9_S9_S9_S9_ffiiiiiiiiiiiii
; %bb.0:
	s_load_dwordx4 s[16:19], s[4:5], 0x50
	s_waitcnt lgkmcnt(0)
	s_cmp_ge_i32 s6, s18
	s_cbranch_scc1 .LBB596_10
; %bb.1:
	s_load_dwordx2 s[12:13], s[4:5], 0x48
	s_load_dwordx2 s[30:31], s[4:5], 0x30
	s_load_dwordx4 s[20:23], s[4:5], 0x60
	s_cmp_lg_u32 s7, 0
	s_cselect_b64 s[14:15], -1, 0
	s_cmp_eq_u32 s7, 0
	s_cselect_b64 vcc, -1, 0
	s_and_b64 s[0:1], vcc, exec
	s_waitcnt lgkmcnt(0)
	s_cselect_b32 s7, s19, s20
	s_add_i32 s0, s7, 1
	s_lshr_b32 s1, s0, 31
	s_add_i32 s0, s0, s1
	s_lshl_b32 s0, s0, 1
	v_lshlrev_b32_e32 v1, 3, v0
	s_and_b32 s10, s0, -4
	v_cmp_gt_i32_e64 s[2:3], s7, v1
	v_mov_b32_e32 v2, 0
	v_mov_b32_e32 v3, 0
	;; [unrolled: 1-line block ×8, first 2 shown]
	s_and_saveexec_b64 s[0:1], s[2:3]
	s_cbranch_execz .LBB596_3
; %bb.2:
	s_load_dwordx2 s[8:9], s[4:5], 0x28
	s_load_dwordx2 s[26:27], s[4:5], 0x40
	s_and_b64 s[24:25], vcc, exec
	s_cselect_b32 s11, s21, s22
	v_lshlrev_b32_e32 v10, 4, v0
	s_waitcnt lgkmcnt(0)
	s_cselect_b32 s18, s9, s31
	s_cselect_b32 s21, s8, s30
	s_mul_hi_i32 s9, s11, s6
	s_mul_i32 s8, s11, s6
	s_lshl_b64 s[8:9], s[8:9], 1
	s_add_u32 s24, s21, s8
	s_addc_u32 s18, s18, s9
	s_and_b64 s[8:9], vcc, exec
	s_mov_b32 s11, 0x20000
	s_cselect_b32 s8, s26, s12
	s_cselect_b32 s9, s27, s13
	s_and_b32 s25, s18, 0xffff
	s_mov_b32 s26, s10
	s_mov_b32 s27, s11
	s_and_b32 s9, s9, 0xffff
	buffer_load_dwordx4 v[6:9], v10, s[24:27], 0 offen glc slc
	buffer_load_dwordx4 v[2:5], v10, s[8:11], 0 offen
.LBB596_3:
	s_or_b64 exec, exec, s[0:1]
	s_waitcnt vmcnt(1)
	v_cvt_f32_u32_sdwa v11, v6 dst_sel:DWORD dst_unused:UNUSED_PAD src0_sel:WORD_1
	v_cvt_f32_u32_sdwa v10, v6 dst_sel:DWORD dst_unused:UNUSED_PAD src0_sel:WORD_0
	v_cvt_f32_u32_sdwa v6, v9 dst_sel:DWORD dst_unused:UNUSED_PAD src0_sel:WORD_1
	v_cvt_f32_u32_sdwa v9, v9 dst_sel:DWORD dst_unused:UNUSED_PAD src0_sel:WORD_0
	v_cvt_f32_u32_sdwa v14, v8 dst_sel:DWORD dst_unused:UNUSED_PAD src0_sel:WORD_1
	v_cvt_f32_u32_sdwa v12, v7 dst_sel:DWORD dst_unused:UNUSED_PAD src0_sel:WORD_0
	v_cvt_f32_u32_sdwa v13, v7 dst_sel:DWORD dst_unused:UNUSED_PAD src0_sel:WORD_1
	v_cvt_f32_u32_sdwa v8, v8 dst_sel:DWORD dst_unused:UNUSED_PAD src0_sel:WORD_0
	v_cndmask_b32_e64 v11, 0, v11, s[2:3]
	v_cndmask_b32_e64 v7, 0, v6, s[2:3]
	;; [unrolled: 1-line block ×5, first 2 shown]
	v_mul_f32_e32 v14, v11, v11
	v_cndmask_b32_e64 v12, 0, v12, s[2:3]
	v_fmac_f32_e32 v14, v10, v10
	v_cndmask_b32_e64 v13, 0, v13, s[2:3]
	v_fmac_f32_e32 v14, v12, v12
	;; [unrolled: 2-line block ×3, first 2 shown]
	v_fmac_f32_e32 v14, v8, v8
	v_fmac_f32_e32 v14, v9, v9
	;; [unrolled: 1-line block ×4, first 2 shown]
	v_and_b32_e32 v16, 63, v0
	v_cmp_eq_u32_e64 s[0:1], 63, v16
	v_mov_b32_dpp v15, v14 quad_perm:[1,0,3,2] row_mask:0xf bank_mask:0xf
	v_add_f32_e32 v14, v14, v15
	s_nop 1
	v_mov_b32_dpp v15, v14 quad_perm:[2,3,0,1] row_mask:0xf bank_mask:0xf
	v_add_f32_e32 v14, v14, v15
	s_nop 1
	v_mov_b32_dpp v15, v14 row_half_mirror row_mask:0xf bank_mask:0xf
	v_add_f32_e32 v14, v14, v15
	s_nop 1
	v_mov_b32_dpp v15, v14 row_mirror row_mask:0xf bank_mask:0xf
	v_add_f32_e32 v14, v14, v15
	s_nop 1
	v_mov_b32_dpp v15, v14 row_bcast:15 row_mask:0xf bank_mask:0xf
	v_add_f32_e32 v14, v14, v15
	s_nop 1
	v_mov_b32_dpp v15, v14 row_bcast:31 row_mask:0xf bank_mask:0xf
	s_and_saveexec_b64 s[8:9], s[0:1]
	s_cbranch_execz .LBB596_5
; %bb.4:
	v_add_f32_e32 v14, v14, v15
	v_lshrrev_b32_e32 v15, 4, v0
	v_and_b32_e32 v15, 60, v15
	ds_write_b32 v15, v14 offset:16
.LBB596_5:
	s_or_b64 exec, exec, s[8:9]
	v_and_b32_e32 v15, 3, v0
	v_lshlrev_b32_e32 v14, 2, v15
	s_waitcnt lgkmcnt(0)
	s_barrier
	ds_read_b32 v16, v14 offset:16
	s_load_dwordx2 s[28:29], s[4:5], 0x18
	s_waitcnt lgkmcnt(0)
	v_mov_b32_dpp v17, v16 quad_perm:[1,0,3,2] row_mask:0xf bank_mask:0xf
	v_add_f32_e32 v16, v16, v17
	s_nop 1
	v_mov_b32_dpp v17, v16 quad_perm:[2,3,0,1] row_mask:0xf bank_mask:0xf
	s_and_saveexec_b64 s[8:9], s[2:3]
	s_cbranch_execz .LBB596_7
; %bb.6:
	v_cvt_f32_u32_e32 v18, s7
	v_add_f32_e32 v16, v16, v17
	v_mov_b32_e32 v20, s17
	v_mov_b32_e32 v21, s16
	v_div_scale_f32 v17, s[24:25], v18, v18, v16
	v_rcp_f32_e32 v19, v17
	v_cndmask_b32_e32 v20, v20, v21, vcc
	s_mov_b32 s7, 0x800000
	v_fma_f32 v21, -v17, v19, 1.0
	v_fmac_f32_e32 v19, v21, v19
	v_div_scale_f32 v21, vcc, v16, v18, v16
	v_mul_f32_e32 v22, v21, v19
	v_fma_f32 v23, -v17, v22, v21
	v_fmac_f32_e32 v22, v23, v19
	v_fma_f32 v17, -v17, v22, v21
	v_div_fmas_f32 v17, v17, v19, v22
	v_div_fixup_f32 v16, v17, v18, v16
	v_add_f32_e32 v16, v20, v16
	v_mul_f32_e32 v17, 0x4b800000, v16
	v_cmp_gt_f32_e32 vcc, s7, v16
	v_cndmask_b32_e32 v16, v16, v17, vcc
	v_rsq_f32_e32 v16, v16
	s_waitcnt vmcnt(0)
	v_cvt_f32_u32_sdwa v19, v2 dst_sel:DWORD dst_unused:UNUSED_PAD src0_sel:WORD_1
	v_cvt_f32_u32_sdwa v18, v2 dst_sel:DWORD dst_unused:UNUSED_PAD src0_sel:WORD_0
	v_cvt_f32_u32_sdwa v21, v3 dst_sel:DWORD dst_unused:UNUSED_PAD src0_sel:WORD_1
	v_mul_f32_e32 v17, 0x45800000, v16
	v_cndmask_b32_e32 v16, v16, v17, vcc
	v_mov_b32_e32 v17, v16
	;;#ASMSTART
	v_pk_mul_f32 v[10:11], v[10:11], v[16:17]
	;;#ASMEND
	;;#ASMSTART
	v_pk_mul_f32 v[12:13], v[12:13], v[16:17]
	;;#ASMEND
	;; [unrolled: 3-line block ×3, first 2 shown]
	v_cvt_f32_u32_sdwa v20, v3 dst_sel:DWORD dst_unused:UNUSED_PAD src0_sel:WORD_0
	;;#ASMSTART
	v_pk_mul_f32 v[2:3], v[6:7], v[16:17]
	;;#ASMEND
	v_cvt_f32_u32_sdwa v17, v4 dst_sel:DWORD dst_unused:UNUSED_PAD src0_sel:WORD_1
	v_cvt_f32_u32_sdwa v16, v4 dst_sel:DWORD dst_unused:UNUSED_PAD src0_sel:WORD_0
	v_pk_add_f32 v[6:7], v[18:19], 1.0 op_sel_hi:[1,0]
	v_cvt_f32_u32_sdwa v19, v5 dst_sel:DWORD dst_unused:UNUSED_PAD src0_sel:WORD_1
	v_cvt_f32_u32_sdwa v18, v5 dst_sel:DWORD dst_unused:UNUSED_PAD src0_sel:WORD_0
	;;#ASMSTART
	v_pk_mul_f32 v[10:11], v[10:11], v[6:7]
	;;#ASMEND
	v_pk_add_f32 v[6:7], v[20:21], 1.0 op_sel_hi:[1,0]
	v_pk_add_f32 v[4:5], v[16:17], 1.0 op_sel_hi:[1,0]
	;;#ASMSTART
	v_pk_mul_f32 v[12:13], v[12:13], v[6:7]
	;;#ASMEND
	;;#ASMSTART
	v_pk_mul_f32 v[8:9], v[8:9], v[4:5]
	;;#ASMEND
	v_pk_add_f32 v[4:5], v[18:19], 1.0 op_sel_hi:[1,0]
	;;#ASMSTART
	v_pk_mul_f32 v[6:7], v[2:3], v[4:5]
	;;#ASMEND
.LBB596_7:
	s_or_b64 exec, exec, s[8:9]
	s_load_dword s7, s[4:5], 0x80
	s_mov_b64 s[8:9], -1
	s_and_b64 vcc, exec, s[14:15]
	s_cbranch_vccnz .LBB596_11
; %bb.8:
	s_andn2_b64 vcc, exec, s[8:9]
	s_cbranch_vccz .LBB596_14
.LBB596_9:
	s_cmp_lt_i32 s20, 1
	s_cbranch_scc0 .LBB596_21
.LBB596_10:
	s_endpgm
.LBB596_11:
	s_and_saveexec_b64 s[14:15], s[2:3]
	s_cbranch_execz .LBB596_13
; %bb.12:
	s_waitcnt lgkmcnt(0)
	s_mul_hi_i32 s9, s7, s6
	s_mul_i32 s8, s7, s6
	s_lshl_b64 s[8:9], s[8:9], 1
	s_add_u32 s8, s28, s8
	s_addc_u32 s9, s29, s9
	s_mov_b32 s16, 0x7060302
	s_and_b32 s9, s9, 0xffff
	s_mov_b32 s11, 0x20000
	s_waitcnt vmcnt(0)
	v_perm_b32 v2, v11, v10, s16
	v_perm_b32 v3, v13, v12, s16
	v_perm_b32 v4, v9, v8, s16
	v_perm_b32 v5, v7, v6, s16
	v_lshlrev_b32_e32 v16, 4, v0
	buffer_store_dwordx4 v[2:5], v16, s[8:11], 0 offen
	;;#ASMSTART
	s_nop 0
	;;#ASMEND
.LBB596_13:
	s_or_b64 exec, exec, s[14:15]
	s_cbranch_execnz .LBB596_9
.LBB596_14:
	s_waitcnt vmcnt(0)
	v_mov_b32_e32 v2, 0
	s_and_saveexec_b64 s[8:9], s[2:3]
	s_cbranch_execz .LBB596_16
; %bb.15:
	v_and_b32_e32 v2, 0x7fffffff, v10
	v_and_b32_e32 v3, 0x7fffffff, v11
	v_mov_b32_e32 v4, 0x2edbe6ff
	;;#ASMSTART
	v_max3_f32 v2, v4, v2, v3

	;;#ASMEND
	v_and_b32_e32 v3, 0x7fffffff, v12
	v_and_b32_e32 v4, 0x7fffffff, v13
	;;#ASMSTART
	v_max3_f32 v2, v2, v3, v4

	;;#ASMEND
	v_and_b32_e32 v3, 0x7fffffff, v8
	v_and_b32_e32 v4, 0x7fffffff, v9
	;; [unrolled: 6-line block ×3, first 2 shown]
	;;#ASMSTART
	v_max3_f32 v2, v2, v3, v4

	;;#ASMEND
.LBB596_16:
	s_or_b64 exec, exec, s[8:9]
	s_load_dwordx4 s[24:27], s[4:5], 0x70
	v_cmp_eq_u32_e32 vcc, 0, v15
	v_cmp_gt_i32_e64 s[8:9], s19, v1
	s_and_b64 s[10:11], vcc, s[8:9]
	;;#ASMSTART
	v_max_f32 v3, v2, v2 quad_perm:[1,0,3,2] row_mask:0xf bank_mask:0xf bound_ctrl:1
	;;#ASMEND
	;;#ASMSTART
	v_max_f32 v2, v3, v3 quad_perm:[2,3,0,1] row_mask:0xf bank_mask:0xf bound_ctrl:1
	;;#ASMEND
	s_and_saveexec_b64 s[8:9], s[10:11]
	s_cbranch_execz .LBB596_18
; %bb.17:
	s_load_dwordx2 s[10:11], s[4:5], 0x8
	v_mul_f32_e32 v2, 0x3e2aaaab, v2
	v_lshrrev_b32_e32 v3, 23, v2
	v_and_b32_e32 v4, 0x7f800000, v2
	v_and_b32_e32 v2, 0x7fffff, v2
	v_cmp_ne_u32_e32 vcc, 0, v2
	s_waitcnt lgkmcnt(0)
	s_mul_i32 s16, s25, s6
	s_mov_b32 s14, 0x7f800000
	v_addc_co_u32_e32 v2, vcc, 0, v3, vcc
	s_mul_hi_i32 s15, s25, s6
	s_add_u32 s10, s10, s16
	v_cmp_ne_u32_e32 vcc, s14, v4
	s_addc_u32 s11, s11, s15
	v_lshrrev_b32_e32 v5, 2, v0
	v_cndmask_b32_e32 v4, -1, v2, vcc
	v_pk_mov_b32 v[2:3], s[10:11], s[10:11] op_sel:[0,1]
	v_mad_i64_i32 v[2:3], s[10:11], s26, v5, v[2:3]
	global_store_byte v[2:3], v4, off
.LBB596_18:
	s_or_b64 exec, exec, s[8:9]
	s_and_saveexec_b64 s[8:9], s[2:3]
	s_cbranch_execz .LBB596_20
; %bb.19:
	s_load_dwordx2 s[2:3], s[4:5], 0x0
	s_waitcnt lgkmcnt(0)
	s_mul_i32 s11, s24, s6
	s_mul_hi_i32 s10, s24, s6
	v_lshlrev_b32_e32 v2, 2, v0
	s_mov_b32 s27, 0x20000
	s_add_u32 s24, s2, s11
	s_addc_u32 s2, s3, s10
	s_lshr_b32 s3, s19, 31
	s_add_i32 s3, s19, s3
	s_ashr_i32 s3, s3, 1
	s_add_i32 s3, s3, 3
	s_ashr_i32 s10, s3, 31
	s_lshr_b32 s10, s10, 30
	s_add_i32 s3, s3, s10
	s_and_b32 s26, s3, -4
	s_and_b32 s25, s2, 0xffff
	v_mov_b32_e32 v3, 0
	buffer_store_dword v3, v2, s[24:27], 0 offen
	;;#ASMSTART
	s_nop 0
	;;#ASMEND
.LBB596_20:
	s_or_b64 exec, exec, s[8:9]
	s_cmp_lt_i32 s20, 1
	s_cbranch_scc1 .LBB596_10
.LBB596_21:
	s_load_dword s2, s[4:5], 0x94
	s_waitcnt lgkmcnt(0)
	s_cmp_lg_u32 s2, 1
	s_cbranch_scc1 .LBB596_10
; %bb.22:
	s_lshl_b32 s2, s20, 1
	s_add_i32 s2, s2, 2
	v_cmp_gt_u32_e32 vcc, s20, v1
	s_and_b32 s14, s2, -4
	v_mov_b32_e32 v6, 0
	v_lshlrev_b32_e32 v1, 4, v0
	v_mov_b32_e32 v7, 0
	v_mov_b32_e32 v8, 0
	v_mov_b32_e32 v9, 0
	s_waitcnt vmcnt(0)
	v_mov_b32_e32 v2, 0
	v_mov_b32_e32 v3, 0
	;; [unrolled: 1-line block ×4, first 2 shown]
	s_barrier
	s_and_saveexec_b64 s[2:3], vcc
	s_cbranch_execz .LBB596_24
; %bb.23:
	s_mul_hi_i32 s5, s22, s6
	s_mul_i32 s4, s22, s6
	s_and_b32 s13, s13, 0xffff
	s_lshl_b64 s[4:5], s[4:5], 1
	s_add_u32 s8, s30, s4
	s_mov_b32 s15, 0x20000
	s_addc_u32 s4, s31, s5
	s_and_b32 s9, s4, 0xffff
	s_mov_b32 s10, s14
	s_mov_b32 s11, s15
	buffer_load_dwordx4 v[6:9], v1, s[8:11], 0 offen glc slc
	buffer_load_dwordx4 v[2:5], v1, s[12:15], 0 offen
.LBB596_24:
	s_or_b64 exec, exec, s[2:3]
	s_waitcnt vmcnt(1)
	v_cvt_f32_u32_sdwa v13, v6 dst_sel:DWORD dst_unused:UNUSED_PAD src0_sel:WORD_1
	v_cvt_f32_u32_sdwa v12, v6 dst_sel:DWORD dst_unused:UNUSED_PAD src0_sel:WORD_0
	v_cvt_f32_u32_sdwa v6, v9 dst_sel:DWORD dst_unused:UNUSED_PAD src0_sel:WORD_1
	v_cvt_f32_u32_sdwa v9, v9 dst_sel:DWORD dst_unused:UNUSED_PAD src0_sel:WORD_0
	;; [unrolled: 2-line block ×4, first 2 shown]
	v_cndmask_b32_e32 v13, 0, v13, vcc
	v_cndmask_b32_e32 v7, 0, v6, vcc
	;; [unrolled: 1-line block ×5, first 2 shown]
	v_mul_f32_e32 v15, v13, v13
	v_cndmask_b32_e32 v10, 0, v10, vcc
	v_fmac_f32_e32 v15, v12, v12
	v_cndmask_b32_e32 v11, 0, v11, vcc
	v_fmac_f32_e32 v15, v10, v10
	;; [unrolled: 2-line block ×3, first 2 shown]
	v_fmac_f32_e32 v15, v8, v8
	v_fmac_f32_e32 v15, v9, v9
	;; [unrolled: 1-line block ×4, first 2 shown]
	s_nop 1
	v_mov_b32_dpp v16, v15 quad_perm:[1,0,3,2] row_mask:0xf bank_mask:0xf
	v_add_f32_e32 v15, v15, v16
	s_nop 1
	v_mov_b32_dpp v16, v15 quad_perm:[2,3,0,1] row_mask:0xf bank_mask:0xf
	v_add_f32_e32 v15, v15, v16
	s_nop 1
	v_mov_b32_dpp v16, v15 row_half_mirror row_mask:0xf bank_mask:0xf
	v_add_f32_e32 v15, v15, v16
	s_nop 1
	v_mov_b32_dpp v16, v15 row_mirror row_mask:0xf bank_mask:0xf
	v_add_f32_e32 v15, v15, v16
	s_nop 1
	v_mov_b32_dpp v16, v15 row_bcast:15 row_mask:0xf bank_mask:0xf
	v_add_f32_e32 v15, v15, v16
	s_nop 1
	v_mov_b32_dpp v16, v15 row_bcast:31 row_mask:0xf bank_mask:0xf
	s_and_saveexec_b64 s[2:3], s[0:1]
	s_cbranch_execz .LBB596_26
; %bb.25:
	v_lshrrev_b32_e32 v0, 4, v0
	v_add_f32_e32 v15, v15, v16
	v_and_b32_e32 v0, 60, v0
	ds_write_b32 v0, v15
.LBB596_26:
	s_or_b64 exec, exec, s[2:3]
	s_waitcnt lgkmcnt(0)
	s_barrier
	ds_read_b32 v0, v14
	s_waitcnt lgkmcnt(0)
	s_nop 0
	v_mov_b32_dpp v14, v0 quad_perm:[1,0,3,2] row_mask:0xf bank_mask:0xf
	v_add_f32_e32 v0, v0, v14
	s_nop 1
	v_mov_b32_dpp v14, v0 quad_perm:[2,3,0,1] row_mask:0xf bank_mask:0xf
	s_and_saveexec_b64 s[0:1], vcc
	s_cbranch_execz .LBB596_10
; %bb.27:
	v_cvt_f32_u32_e32 v15, s20
	v_add_f32_e32 v0, v0, v14
	s_mov_b32 s15, 0x20000
	v_div_scale_f32 v14, s[0:1], v15, v15, v0
	v_rcp_f32_e32 v16, v14
	v_div_scale_f32 v17, vcc, v0, v15, v0
	s_mov_b32 s0, 0x800000
	v_fma_f32 v18, -v14, v16, 1.0
	v_fmac_f32_e32 v16, v18, v16
	v_mul_f32_e32 v18, v17, v16
	v_fma_f32 v19, -v14, v18, v17
	v_fmac_f32_e32 v18, v19, v16
	v_fma_f32 v14, -v14, v18, v17
	v_div_fmas_f32 v14, v14, v16, v18
	v_div_fixup_f32 v0, v14, v15, v0
	v_add_f32_e32 v0, s17, v0
	v_mul_f32_e32 v14, 0x4b800000, v0
	v_cmp_gt_f32_e32 vcc, s0, v0
	v_cndmask_b32_e32 v0, v0, v14, vcc
	v_rsq_f32_e32 v0, v0
	s_waitcnt vmcnt(0)
	v_cvt_f32_u32_sdwa v17, v2 dst_sel:DWORD dst_unused:UNUSED_PAD src0_sel:WORD_1
	v_cvt_f32_u32_sdwa v16, v2 dst_sel:DWORD dst_unused:UNUSED_PAD src0_sel:WORD_0
	v_cvt_f32_u32_sdwa v19, v3 dst_sel:DWORD dst_unused:UNUSED_PAD src0_sel:WORD_1
	v_mul_f32_e32 v14, 0x45800000, v0
	v_cndmask_b32_e32 v14, v0, v14, vcc
	v_mov_b32_e32 v15, v14
	;;#ASMSTART
	v_pk_mul_f32 v[12:13], v[12:13], v[14:15]
	;;#ASMEND
	;;#ASMSTART
	v_pk_mul_f32 v[10:11], v[10:11], v[14:15]
	;;#ASMEND
	;;#ASMSTART
	v_pk_mul_f32 v[8:9], v[8:9], v[14:15]
	;;#ASMEND
	v_cvt_f32_u32_sdwa v18, v3 dst_sel:DWORD dst_unused:UNUSED_PAD src0_sel:WORD_0
	;;#ASMSTART
	v_pk_mul_f32 v[2:3], v[6:7], v[14:15]
	;;#ASMEND
	v_cvt_f32_u32_sdwa v15, v4 dst_sel:DWORD dst_unused:UNUSED_PAD src0_sel:WORD_1
	v_cvt_f32_u32_sdwa v14, v4 dst_sel:DWORD dst_unused:UNUSED_PAD src0_sel:WORD_0
	v_pk_add_f32 v[6:7], v[16:17], 1.0 op_sel_hi:[1,0]
	v_cvt_f32_u32_sdwa v17, v5 dst_sel:DWORD dst_unused:UNUSED_PAD src0_sel:WORD_1
	v_cvt_f32_u32_sdwa v16, v5 dst_sel:DWORD dst_unused:UNUSED_PAD src0_sel:WORD_0
	s_mul_hi_i32 s1, s7, s6
	s_mul_i32 s0, s7, s6
	s_lshl_b64 s[0:1], s[0:1], 1
	s_add_u32 s12, s28, s0
	;;#ASMSTART
	v_pk_mul_f32 v[6:7], v[12:13], v[6:7]
	;;#ASMEND
	v_pk_add_f32 v[12:13], v[18:19], 1.0 op_sel_hi:[1,0]
	;;#ASMSTART
	v_pk_mul_f32 v[4:5], v[10:11], v[12:13]
	;;#ASMEND
	v_pk_add_f32 v[10:11], v[14:15], 1.0 op_sel_hi:[1,0]
	s_addc_u32 s0, s29, s1
	;;#ASMSTART
	v_pk_mul_f32 v[8:9], v[8:9], v[10:11]
	;;#ASMEND
	v_pk_add_f32 v[10:11], v[16:17], 1.0 op_sel_hi:[1,0]
	s_and_b32 s13, s0, 0xffff
	s_mov_b32 s0, 0x7060302
	;;#ASMSTART
	v_pk_mul_f32 v[10:11], v[2:3], v[10:11]
	;;#ASMEND
	v_perm_b32 v2, v7, v6, s0
	v_perm_b32 v3, v5, v4, s0
	;; [unrolled: 1-line block ×4, first 2 shown]
	buffer_store_dwordx4 v[2:5], v1, s[12:15], 0 offen
	;;#ASMSTART
	s_nop 0
	;;#ASMEND
	s_endpgm
	.section	.rodata,"a",@progbits
	.p2align	6, 0x0
	.amdhsa_kernel _ZN5aiter35fused_qk_rmsnorm_group_quant_kernelItN4opus5fp4_tELi256ELi8ELi4ELb0ELb0ELb1ELb0ELb0ELb0EEEvPT0_PvPT_S7_S7_PKS6_S9_S9_S9_S9_ffiiiiiiiiiiiii
		.amdhsa_group_segment_fixed_size 32
		.amdhsa_private_segment_fixed_size 0
		.amdhsa_kernarg_size 400
		.amdhsa_user_sgpr_count 6
		.amdhsa_user_sgpr_private_segment_buffer 1
		.amdhsa_user_sgpr_dispatch_ptr 0
		.amdhsa_user_sgpr_queue_ptr 0
		.amdhsa_user_sgpr_kernarg_segment_ptr 1
		.amdhsa_user_sgpr_dispatch_id 0
		.amdhsa_user_sgpr_flat_scratch_init 0
		.amdhsa_user_sgpr_kernarg_preload_length 0
		.amdhsa_user_sgpr_kernarg_preload_offset 0
		.amdhsa_user_sgpr_private_segment_size 0
		.amdhsa_uses_dynamic_stack 0
		.amdhsa_system_sgpr_private_segment_wavefront_offset 0
		.amdhsa_system_sgpr_workgroup_id_x 1
		.amdhsa_system_sgpr_workgroup_id_y 1
		.amdhsa_system_sgpr_workgroup_id_z 0
		.amdhsa_system_sgpr_workgroup_info 0
		.amdhsa_system_vgpr_workitem_id 0
		.amdhsa_next_free_vgpr 24
		.amdhsa_next_free_sgpr 32
		.amdhsa_accum_offset 24
		.amdhsa_reserve_vcc 1
		.amdhsa_reserve_flat_scratch 0
		.amdhsa_float_round_mode_32 0
		.amdhsa_float_round_mode_16_64 0
		.amdhsa_float_denorm_mode_32 3
		.amdhsa_float_denorm_mode_16_64 3
		.amdhsa_dx10_clamp 1
		.amdhsa_ieee_mode 1
		.amdhsa_fp16_overflow 0
		.amdhsa_tg_split 0
		.amdhsa_exception_fp_ieee_invalid_op 0
		.amdhsa_exception_fp_denorm_src 0
		.amdhsa_exception_fp_ieee_div_zero 0
		.amdhsa_exception_fp_ieee_overflow 0
		.amdhsa_exception_fp_ieee_underflow 0
		.amdhsa_exception_fp_ieee_inexact 0
		.amdhsa_exception_int_div_zero 0
	.end_amdhsa_kernel
	.section	.text._ZN5aiter35fused_qk_rmsnorm_group_quant_kernelItN4opus5fp4_tELi256ELi8ELi4ELb0ELb0ELb1ELb0ELb0ELb0EEEvPT0_PvPT_S7_S7_PKS6_S9_S9_S9_S9_ffiiiiiiiiiiiii,"axG",@progbits,_ZN5aiter35fused_qk_rmsnorm_group_quant_kernelItN4opus5fp4_tELi256ELi8ELi4ELb0ELb0ELb1ELb0ELb0ELb0EEEvPT0_PvPT_S7_S7_PKS6_S9_S9_S9_S9_ffiiiiiiiiiiiii,comdat
.Lfunc_end596:
	.size	_ZN5aiter35fused_qk_rmsnorm_group_quant_kernelItN4opus5fp4_tELi256ELi8ELi4ELb0ELb0ELb1ELb0ELb0ELb0EEEvPT0_PvPT_S7_S7_PKS6_S9_S9_S9_S9_ffiiiiiiiiiiiii, .Lfunc_end596-_ZN5aiter35fused_qk_rmsnorm_group_quant_kernelItN4opus5fp4_tELi256ELi8ELi4ELb0ELb0ELb1ELb0ELb0ELb0EEEvPT0_PvPT_S7_S7_PKS6_S9_S9_S9_S9_ffiiiiiiiiiiiii
                                        ; -- End function
	.section	.AMDGPU.csdata,"",@progbits
; Kernel info:
; codeLenInByte = 2364
; NumSgprs: 36
; NumVgprs: 24
; NumAgprs: 0
; TotalNumVgprs: 24
; ScratchSize: 0
; MemoryBound: 0
; FloatMode: 240
; IeeeMode: 1
; LDSByteSize: 32 bytes/workgroup (compile time only)
; SGPRBlocks: 4
; VGPRBlocks: 2
; NumSGPRsForWavesPerEU: 36
; NumVGPRsForWavesPerEU: 24
; AccumOffset: 24
; Occupancy: 8
; WaveLimiterHint : 0
; COMPUTE_PGM_RSRC2:SCRATCH_EN: 0
; COMPUTE_PGM_RSRC2:USER_SGPR: 6
; COMPUTE_PGM_RSRC2:TRAP_HANDLER: 0
; COMPUTE_PGM_RSRC2:TGID_X_EN: 1
; COMPUTE_PGM_RSRC2:TGID_Y_EN: 1
; COMPUTE_PGM_RSRC2:TGID_Z_EN: 0
; COMPUTE_PGM_RSRC2:TIDIG_COMP_CNT: 0
; COMPUTE_PGM_RSRC3_GFX90A:ACCUM_OFFSET: 5
; COMPUTE_PGM_RSRC3_GFX90A:TG_SPLIT: 0
	.section	.text._ZN5aiter35fused_qk_rmsnorm_group_quant_kernelIDF16_DB8_Li256ELi8ELi4ELb0ELb0ELb0ELb0ELb0ELb0EEEvPT0_PvPT_S6_S6_PKS5_S8_S8_S8_S8_ffiiiiiiiiiiiii,"axG",@progbits,_ZN5aiter35fused_qk_rmsnorm_group_quant_kernelIDF16_DB8_Li256ELi8ELi4ELb0ELb0ELb0ELb0ELb0ELb0EEEvPT0_PvPT_S6_S6_PKS5_S8_S8_S8_S8_ffiiiiiiiiiiiii,comdat
	.protected	_ZN5aiter35fused_qk_rmsnorm_group_quant_kernelIDF16_DB8_Li256ELi8ELi4ELb0ELb0ELb0ELb0ELb0ELb0EEEvPT0_PvPT_S6_S6_PKS5_S8_S8_S8_S8_ffiiiiiiiiiiiii ; -- Begin function _ZN5aiter35fused_qk_rmsnorm_group_quant_kernelIDF16_DB8_Li256ELi8ELi4ELb0ELb0ELb0ELb0ELb0ELb0EEEvPT0_PvPT_S6_S6_PKS5_S8_S8_S8_S8_ffiiiiiiiiiiiii
	.globl	_ZN5aiter35fused_qk_rmsnorm_group_quant_kernelIDF16_DB8_Li256ELi8ELi4ELb0ELb0ELb0ELb0ELb0ELb0EEEvPT0_PvPT_S6_S6_PKS5_S8_S8_S8_S8_ffiiiiiiiiiiiii
	.p2align	8
	.type	_ZN5aiter35fused_qk_rmsnorm_group_quant_kernelIDF16_DB8_Li256ELi8ELi4ELb0ELb0ELb0ELb0ELb0ELb0EEEvPT0_PvPT_S6_S6_PKS5_S8_S8_S8_S8_ffiiiiiiiiiiiii,@function
_ZN5aiter35fused_qk_rmsnorm_group_quant_kernelIDF16_DB8_Li256ELi8ELi4ELb0ELb0ELb0ELb0ELb0ELb0EEEvPT0_PvPT_S6_S6_PKS5_S8_S8_S8_S8_ffiiiiiiiiiiiii: ; @_ZN5aiter35fused_qk_rmsnorm_group_quant_kernelIDF16_DB8_Li256ELi8ELi4ELb0ELb0ELb0ELb0ELb0ELb0EEEvPT0_PvPT_S6_S6_PKS5_S8_S8_S8_S8_ffiiiiiiiiiiiii
; %bb.0:
	s_load_dwordx4 s[16:19], s[4:5], 0x50
	s_waitcnt lgkmcnt(0)
	s_cmp_ge_i32 s6, s18
	s_cbranch_scc1 .LBB597_12
; %bb.1:
	s_load_dwordx2 s[12:13], s[4:5], 0x48
	s_load_dwordx2 s[30:31], s[4:5], 0x30
	s_load_dwordx4 s[20:23], s[4:5], 0x60
	s_cmp_lg_u32 s7, 0
	s_cselect_b64 s[14:15], -1, 0
	s_cmp_eq_u32 s7, 0
	s_cselect_b64 vcc, -1, 0
	s_and_b64 s[0:1], vcc, exec
	s_waitcnt lgkmcnt(0)
	s_cselect_b32 s7, s19, s20
	s_add_i32 s0, s7, 1
	s_lshr_b32 s1, s0, 31
	s_add_i32 s0, s0, s1
	s_lshl_b32 s0, s0, 1
	v_lshlrev_b32_e32 v1, 3, v0
	s_and_b32 s10, s0, -4
	v_cmp_gt_i32_e64 s[2:3], s7, v1
	v_mov_b32_e32 v10, 0
	v_mov_b32_e32 v2, 0
	;; [unrolled: 1-line block ×9, first 2 shown]
	s_and_saveexec_b64 s[0:1], s[2:3]
	s_cbranch_execz .LBB597_3
; %bb.2:
	s_load_dwordx2 s[8:9], s[4:5], 0x28
	s_load_dwordx2 s[26:27], s[4:5], 0x40
	s_and_b64 s[24:25], vcc, exec
	s_cselect_b32 s11, s21, s22
	v_lshlrev_b32_e32 v11, 4, v0
	s_waitcnt lgkmcnt(0)
	s_cselect_b32 s18, s9, s31
	s_cselect_b32 s21, s8, s30
	s_mul_hi_i32 s9, s11, s6
	s_mul_i32 s8, s11, s6
	s_lshl_b64 s[8:9], s[8:9], 1
	s_add_u32 s24, s21, s8
	s_addc_u32 s18, s18, s9
	s_and_b64 s[8:9], vcc, exec
	s_mov_b32 s11, 0x20000
	s_cselect_b32 s8, s26, s12
	s_cselect_b32 s9, s27, s13
	s_and_b32 s25, s18, 0xffff
	s_mov_b32 s26, s10
	s_mov_b32 s27, s11
	s_and_b32 s9, s9, 0xffff
	buffer_load_dwordx4 v[6:9], v11, s[24:27], 0 offen glc slc
	buffer_load_dwordx4 v[2:5], v11, s[8:11], 0 offen
.LBB597_3:
	s_or_b64 exec, exec, s[0:1]
	v_mov_b32_e32 v11, 0
	v_mov_b32_e32 v16, 0
	v_mov_b32_e32 v17, 0
	v_mov_b32_e32 v14, 0
	v_mov_b32_e32 v15, 0
	v_mov_b32_e32 v12, 0
	v_mov_b32_e32 v13, 0
	s_and_saveexec_b64 s[0:1], s[2:3]
	s_cbranch_execz .LBB597_5
; %bb.4:
	s_waitcnt vmcnt(1)
	v_cvt_f32_f16_sdwa v11, v6 dst_sel:DWORD dst_unused:UNUSED_PAD src0_sel:WORD_1
	v_cvt_f32_f16_e32 v10, v6
	v_cvt_f32_f16_sdwa v17, v7 dst_sel:DWORD dst_unused:UNUSED_PAD src0_sel:WORD_1
	v_cvt_f32_f16_e32 v16, v7
	;; [unrolled: 2-line block ×4, first 2 shown]
.LBB597_5:
	s_or_b64 exec, exec, s[0:1]
	s_waitcnt vmcnt(1)
	v_mul_f32_e32 v6, v11, v11
	v_fmac_f32_e32 v6, v10, v10
	v_fmac_f32_e32 v6, v16, v16
	;; [unrolled: 1-line block ×7, first 2 shown]
	v_and_b32_e32 v8, 63, v0
	v_cmp_eq_u32_e64 s[0:1], 63, v8
	v_mov_b32_dpp v7, v6 quad_perm:[1,0,3,2] row_mask:0xf bank_mask:0xf
	v_add_f32_e32 v6, v6, v7
	s_nop 1
	v_mov_b32_dpp v7, v6 quad_perm:[2,3,0,1] row_mask:0xf bank_mask:0xf
	v_add_f32_e32 v6, v6, v7
	s_nop 1
	v_mov_b32_dpp v7, v6 row_half_mirror row_mask:0xf bank_mask:0xf
	v_add_f32_e32 v6, v6, v7
	s_nop 1
	v_mov_b32_dpp v7, v6 row_mirror row_mask:0xf bank_mask:0xf
	v_add_f32_e32 v6, v6, v7
	s_nop 1
	v_mov_b32_dpp v7, v6 row_bcast:15 row_mask:0xf bank_mask:0xf
	v_add_f32_e32 v6, v6, v7
	s_nop 1
	v_mov_b32_dpp v7, v6 row_bcast:31 row_mask:0xf bank_mask:0xf
	s_and_saveexec_b64 s[8:9], s[0:1]
	s_cbranch_execz .LBB597_7
; %bb.6:
	v_add_f32_e32 v6, v6, v7
	v_lshrrev_b32_e32 v7, 4, v0
	v_and_b32_e32 v7, 60, v7
	ds_write_b32 v7, v6 offset:16
.LBB597_7:
	s_or_b64 exec, exec, s[8:9]
	v_and_b32_e32 v6, 3, v0
	v_lshlrev_b32_e32 v18, 2, v6
	s_waitcnt lgkmcnt(0)
	s_barrier
	ds_read_b32 v7, v18 offset:16
	s_load_dwordx2 s[28:29], s[4:5], 0x18
	s_waitcnt lgkmcnt(0)
	v_mov_b32_dpp v8, v7 quad_perm:[1,0,3,2] row_mask:0xf bank_mask:0xf
	v_add_f32_e32 v7, v7, v8
	s_nop 1
	v_mov_b32_dpp v8, v7 quad_perm:[2,3,0,1] row_mask:0xf bank_mask:0xf
	s_and_saveexec_b64 s[8:9], s[2:3]
	s_cbranch_execz .LBB597_9
; %bb.8:
	v_cvt_f32_u32_e32 v9, s7
	v_add_f32_e32 v7, v7, v8
	v_mov_b32_e32 v20, s17
	v_mov_b32_e32 v21, s16
	v_div_scale_f32 v8, s[24:25], v9, v9, v7
	v_rcp_f32_e32 v19, v8
	v_cndmask_b32_e32 v20, v20, v21, vcc
	s_mov_b32 s7, 0x800000
	v_fma_f32 v21, -v8, v19, 1.0
	v_fmac_f32_e32 v19, v21, v19
	v_div_scale_f32 v21, vcc, v7, v9, v7
	v_mul_f32_e32 v22, v21, v19
	v_fma_f32 v23, -v8, v22, v21
	v_fmac_f32_e32 v22, v23, v19
	v_fma_f32 v8, -v8, v22, v21
	v_div_fmas_f32 v8, v8, v19, v22
	v_div_fixup_f32 v7, v8, v9, v7
	v_add_f32_e32 v7, v20, v7
	v_mul_f32_e32 v8, 0x4b800000, v7
	v_cmp_gt_f32_e32 vcc, s7, v7
	v_cndmask_b32_e32 v7, v7, v8, vcc
	v_rsq_f32_e32 v7, v7
	s_waitcnt vmcnt(0)
	v_cvt_f32_f16_sdwa v21, v3 dst_sel:DWORD dst_unused:UNUSED_PAD src0_sel:WORD_1
	v_cvt_f32_f16_e32 v20, v3
	v_cvt_f32_f16_sdwa v3, v4 dst_sel:DWORD dst_unused:UNUSED_PAD src0_sel:WORD_1
	v_mul_f32_e32 v8, 0x45800000, v7
	v_cndmask_b32_e32 v8, v7, v8, vcc
	v_mov_b32_e32 v9, v8
	;;#ASMSTART
	v_pk_mul_f32 v[10:11], v[10:11], v[8:9]
	;;#ASMEND
	;;#ASMSTART
	v_pk_mul_f32 v[16:17], v[16:17], v[8:9]
	;;#ASMEND
	;; [unrolled: 3-line block ×4, first 2 shown]
	v_cvt_f32_f16_sdwa v13, v2 dst_sel:DWORD dst_unused:UNUSED_PAD src0_sel:WORD_1
	v_cvt_f32_f16_e32 v12, v2
	v_cvt_f32_f16_e32 v2, v4
	v_cvt_f32_f16_sdwa v23, v5 dst_sel:DWORD dst_unused:UNUSED_PAD src0_sel:WORD_1
	v_cvt_f32_f16_e32 v22, v5
	;;#ASMSTART
	v_pk_mul_f32 v[10:11], v[10:11], v[12:13]
	;;#ASMEND
	;;#ASMSTART
	v_pk_mul_f32 v[16:17], v[16:17], v[20:21]
	;;#ASMEND
	;;#ASMSTART
	v_pk_mul_f32 v[14:15], v[14:15], v[2:3]
	;;#ASMEND
	;;#ASMSTART
	v_pk_mul_f32 v[12:13], v[8:9], v[22:23]
	;;#ASMEND
.LBB597_9:
	s_or_b64 exec, exec, s[8:9]
	s_load_dword s7, s[4:5], 0x80
	s_mov_b64 s[8:9], -1
	s_and_b64 vcc, exec, s[14:15]
	s_cbranch_vccnz .LBB597_13
; %bb.10:
	s_andn2_b64 vcc, exec, s[8:9]
	s_cbranch_vccz .LBB597_16
.LBB597_11:
	s_cmp_lt_i32 s20, 1
	s_cbranch_scc0 .LBB597_23
.LBB597_12:
	s_endpgm
.LBB597_13:
	s_and_saveexec_b64 s[14:15], s[2:3]
	s_cbranch_execz .LBB597_15
; %bb.14:
	s_waitcnt lgkmcnt(0)
	s_mul_hi_i32 s9, s7, s6
	s_mul_i32 s8, s7, s6
	s_waitcnt vmcnt(0)
	v_cvt_f16_f32_e32 v2, v10
	v_cvt_f16_f32_e32 v3, v16
	;; [unrolled: 1-line block ×8, first 2 shown]
	s_lshl_b64 s[8:9], s[8:9], 1
	s_add_u32 s8, s28, s8
	s_addc_u32 s9, s29, s9
	s_and_b32 s9, s9, 0xffff
	s_mov_b32 s11, 0x20000
	v_pack_b32_f16 v5, v5, v7
	v_pack_b32_f16 v4, v4, v8
	;; [unrolled: 1-line block ×4, first 2 shown]
	v_lshlrev_b32_e32 v7, 4, v0
	buffer_store_dwordx4 v[2:5], v7, s[8:11], 0 offen
	;;#ASMSTART
	s_nop 0
	;;#ASMEND
.LBB597_15:
	s_or_b64 exec, exec, s[14:15]
	s_cbranch_execnz .LBB597_11
.LBB597_16:
	s_waitcnt vmcnt(0)
	v_mov_b32_e32 v2, 0
	s_and_saveexec_b64 s[8:9], s[2:3]
	s_cbranch_execz .LBB597_18
; %bb.17:
	v_and_b32_e32 v2, 0x7fffffff, v10
	v_and_b32_e32 v3, 0x7fffffff, v11
	v_mov_b32_e32 v4, 0x2edbe6ff
	;;#ASMSTART
	v_max3_f32 v2, v4, v2, v3

	;;#ASMEND
	v_and_b32_e32 v3, 0x7fffffff, v16
	v_and_b32_e32 v4, 0x7fffffff, v17
	;;#ASMSTART
	v_max3_f32 v2, v2, v3, v4

	;;#ASMEND
	v_and_b32_e32 v3, 0x7fffffff, v14
	v_and_b32_e32 v4, 0x7fffffff, v15
	;; [unrolled: 6-line block ×3, first 2 shown]
	;;#ASMSTART
	v_max3_f32 v2, v2, v3, v4

	;;#ASMEND
.LBB597_18:
	s_or_b64 exec, exec, s[8:9]
	s_load_dwordx4 s[24:27], s[4:5], 0x70
	;;#ASMSTART
	v_max_f32 v3, v2, v2 quad_perm:[1,0,3,2] row_mask:0xf bank_mask:0xf bound_ctrl:1
	;;#ASMEND
	;;#ASMSTART
	v_max_f32 v2, v3, v3 quad_perm:[2,3,0,1] row_mask:0xf bank_mask:0xf bound_ctrl:1
	;;#ASMEND
	v_cmp_eq_u32_e32 vcc, 0, v6
	v_cmp_gt_i32_e64 s[8:9], s19, v1
	v_mul_f32_e32 v2, 0x3b124925, v2
	s_and_b64 s[10:11], vcc, s[8:9]
	s_and_saveexec_b64 s[8:9], s[10:11]
	s_cbranch_execz .LBB597_20
; %bb.19:
	s_load_dwordx2 s[10:11], s[4:5], 0x8
	s_waitcnt lgkmcnt(0)
	s_mul_hi_i32 s15, s25, s6
	s_mul_i32 s14, s25, s6
	v_lshrrev_b32_e32 v3, 2, v0
	s_lshl_b64 s[14:15], s[14:15], 2
	v_mad_i64_i32 v[4:5], s[26:27], s26, v3, 0
	s_add_u32 s10, s10, s14
	s_addc_u32 s11, s11, s15
	v_lshlrev_b64 v[4:5], 2, v[4:5]
	v_mov_b32_e32 v3, s11
	v_add_co_u32_e32 v4, vcc, s10, v4
	v_addc_co_u32_e32 v5, vcc, v3, v5, vcc
	global_store_dword v[4:5], v2, off
.LBB597_20:
	s_or_b64 exec, exec, s[8:9]
	;;#ASMSTART
	v_rcp_f32 v2, v2
	;;#ASMEND
	s_and_saveexec_b64 s[14:15], s[2:3]
	s_cbranch_execz .LBB597_22
; %bb.21:
	s_load_dwordx2 s[2:3], s[4:5], 0x0
	s_waitcnt lgkmcnt(0)
	s_mul_i32 s8, s24, s6
	s_mul_hi_i32 s9, s24, s6
	v_mov_b32_e32 v3, v2
	;;#ASMSTART
	v_pk_mul_f32 v[4:5], v[10:11], v[2:3]
	;;#ASMEND
	s_add_u32 s8, s2, s8
	s_addc_u32 s2, s3, s9
	s_add_i32 s3, s19, 3
	s_ashr_i32 s9, s3, 31
	v_mov_b32_e32 v8, 0xc3e00000
	v_mov_b32_e32 v9, 0x43e00000
	;;#ASMSTART
	v_med3_f32 v4, v4, v8, v9
v_med3_f32 v5, v5, v8, v9
v_cvt_pk_fp8_f32 v6, v4, v5
	;;#ASMEND
	s_lshr_b32 s9, s9, 30
	;;#ASMSTART
	v_pk_mul_f32 v[4:5], v[16:17], v[2:3]
	;;#ASMEND
	s_add_i32 s3, s3, s9
	s_and_b32 s9, s2, 0xffff
	;;#ASMSTART
	v_med3_f32 v4, v4, v8, v9
v_med3_f32 v5, v5, v8, v9
v_cvt_pk_fp8_f32 v7, v4, v5
	;;#ASMEND
	s_mov_b32 s2, 0x5040100
	v_perm_b32 v5, v7, v6, s2
	s_movk_i32 s2, 0xff
	v_and_b32_e32 v4, 0xffffff00, v7
	v_and_b32_sdwa v6, v5, s2 dst_sel:DWORD dst_unused:UNUSED_PAD src0_sel:WORD_1 src1_sel:DWORD
	s_mov_b32 s16, 0xffff
	v_or_b32_sdwa v4, v6, v4 dst_sel:WORD_1 dst_unused:UNUSED_PAD src0_sel:DWORD src1_sel:DWORD
	v_and_or_b32 v4, v5, s16, v4
	;;#ASMSTART
	v_pk_mul_f32 v[6:7], v[14:15], v[2:3]
	;;#ASMEND
	v_mov_b32_e32 v5, v7
	;;#ASMSTART
	v_med3_f32 v6, v6, v8, v9
v_med3_f32 v5, v5, v8, v9
v_cvt_pk_fp8_f32 v7, v6, v5
	;;#ASMEND
	;;#ASMSTART
	v_pk_mul_f32 v[2:3], v[12:13], v[2:3]
	;;#ASMEND
	;;#ASMSTART
	v_med3_f32 v2, v2, v8, v9
v_med3_f32 v3, v3, v8, v9
v_cvt_pk_fp8_f32 v5, v2, v3
	;;#ASMEND
	v_lshlrev_b32_e32 v2, 16, v5
	s_and_b32 s10, s3, -4
	s_mov_b32 s11, 0x20000
	v_and_or_b32 v5, v7, s16, v2
	buffer_store_dwordx2 v[4:5], v1, s[8:11], 0 offen
	;;#ASMSTART
	s_nop 0
	;;#ASMEND
.LBB597_22:
	s_or_b64 exec, exec, s[14:15]
	s_cmp_lt_i32 s20, 1
	s_cbranch_scc1 .LBB597_12
.LBB597_23:
	s_load_dword s2, s[4:5], 0x94
	s_waitcnt lgkmcnt(0)
	s_cmp_lg_u32 s2, 1
	s_cbranch_scc1 .LBB597_12
; %bb.24:
	s_lshl_b32 s2, s20, 1
	s_add_i32 s2, s2, 2
	v_cmp_gt_u32_e32 vcc, s20, v1
	s_and_b32 s14, s2, -4
	v_mov_b32_e32 v10, 0
	v_lshlrev_b32_e32 v1, 4, v0
	v_mov_b32_e32 v6, 0
	v_mov_b32_e32 v7, 0
	;; [unrolled: 1-line block ×4, first 2 shown]
	s_waitcnt vmcnt(0)
	v_mov_b32_e32 v2, 0
	v_mov_b32_e32 v3, 0
	;; [unrolled: 1-line block ×4, first 2 shown]
	s_barrier
	s_and_saveexec_b64 s[2:3], vcc
	s_cbranch_execz .LBB597_26
; %bb.25:
	s_mul_hi_i32 s5, s22, s6
	s_mul_i32 s4, s22, s6
	s_and_b32 s13, s13, 0xffff
	s_lshl_b64 s[4:5], s[4:5], 1
	s_add_u32 s8, s30, s4
	s_mov_b32 s15, 0x20000
	s_addc_u32 s4, s31, s5
	s_and_b32 s9, s4, 0xffff
	s_mov_b32 s10, s14
	s_mov_b32 s11, s15
	buffer_load_dwordx4 v[6:9], v1, s[8:11], 0 offen glc slc
	buffer_load_dwordx4 v[2:5], v1, s[12:15], 0 offen
.LBB597_26:
	s_or_b64 exec, exec, s[2:3]
	v_mov_b32_e32 v11, 0
	v_mov_b32_e32 v16, 0
	;; [unrolled: 1-line block ×7, first 2 shown]
	s_and_saveexec_b64 s[2:3], vcc
	s_cbranch_execz .LBB597_28
; %bb.27:
	s_waitcnt vmcnt(1)
	v_cvt_f32_f16_sdwa v11, v6 dst_sel:DWORD dst_unused:UNUSED_PAD src0_sel:WORD_1
	v_cvt_f32_f16_e32 v10, v6
	v_cvt_f32_f16_sdwa v17, v7 dst_sel:DWORD dst_unused:UNUSED_PAD src0_sel:WORD_1
	v_cvt_f32_f16_e32 v16, v7
	;; [unrolled: 2-line block ×4, first 2 shown]
.LBB597_28:
	s_or_b64 exec, exec, s[2:3]
	s_waitcnt vmcnt(1)
	v_mul_f32_e32 v6, v11, v11
	v_fmac_f32_e32 v6, v10, v10
	v_fmac_f32_e32 v6, v16, v16
	;; [unrolled: 1-line block ×7, first 2 shown]
	s_nop 1
	v_mov_b32_dpp v7, v6 quad_perm:[1,0,3,2] row_mask:0xf bank_mask:0xf
	v_add_f32_e32 v6, v6, v7
	s_nop 1
	v_mov_b32_dpp v7, v6 quad_perm:[2,3,0,1] row_mask:0xf bank_mask:0xf
	v_add_f32_e32 v6, v6, v7
	s_nop 1
	v_mov_b32_dpp v7, v6 row_half_mirror row_mask:0xf bank_mask:0xf
	v_add_f32_e32 v6, v6, v7
	s_nop 1
	v_mov_b32_dpp v7, v6 row_mirror row_mask:0xf bank_mask:0xf
	v_add_f32_e32 v6, v6, v7
	s_nop 1
	v_mov_b32_dpp v7, v6 row_bcast:15 row_mask:0xf bank_mask:0xf
	v_add_f32_e32 v6, v6, v7
	s_nop 1
	v_mov_b32_dpp v7, v6 row_bcast:31 row_mask:0xf bank_mask:0xf
	s_and_saveexec_b64 s[2:3], s[0:1]
	s_cbranch_execz .LBB597_30
; %bb.29:
	v_lshrrev_b32_e32 v0, 4, v0
	v_add_f32_e32 v6, v6, v7
	v_and_b32_e32 v0, 60, v0
	ds_write_b32 v0, v6
.LBB597_30:
	s_or_b64 exec, exec, s[2:3]
	s_waitcnt lgkmcnt(0)
	s_barrier
	ds_read_b32 v0, v18
	s_waitcnt lgkmcnt(0)
	s_nop 0
	v_mov_b32_dpp v6, v0 quad_perm:[1,0,3,2] row_mask:0xf bank_mask:0xf
	v_add_f32_e32 v0, v0, v6
	s_nop 1
	v_mov_b32_dpp v6, v0 quad_perm:[2,3,0,1] row_mask:0xf bank_mask:0xf
	s_and_saveexec_b64 s[0:1], vcc
	s_cbranch_execz .LBB597_12
; %bb.31:
	v_cvt_f32_u32_e32 v7, s20
	v_add_f32_e32 v0, v0, v6
	s_mov_b32 s15, 0x20000
	v_div_scale_f32 v6, s[0:1], v7, v7, v0
	v_rcp_f32_e32 v8, v6
	v_div_scale_f32 v9, vcc, v0, v7, v0
	s_mov_b32 s0, 0x800000
	v_fma_f32 v18, -v6, v8, 1.0
	v_fmac_f32_e32 v8, v18, v8
	v_mul_f32_e32 v18, v9, v8
	v_fma_f32 v19, -v6, v18, v9
	v_fmac_f32_e32 v18, v19, v8
	v_fma_f32 v6, -v6, v18, v9
	v_div_fmas_f32 v6, v6, v8, v18
	v_div_fixup_f32 v0, v6, v7, v0
	v_add_f32_e32 v0, s17, v0
	v_mul_f32_e32 v6, 0x4b800000, v0
	v_cmp_gt_f32_e32 vcc, s0, v0
	v_cndmask_b32_e32 v0, v0, v6, vcc
	v_rsq_f32_e32 v0, v0
	s_waitcnt vmcnt(0)
	v_cvt_f32_f16_sdwa v19, v5 dst_sel:DWORD dst_unused:UNUSED_PAD src0_sel:WORD_1
	v_cvt_f32_f16_e32 v18, v5
	s_mul_hi_i32 s1, s7, s6
	v_mul_f32_e32 v6, 0x45800000, v0
	v_cndmask_b32_e32 v6, v0, v6, vcc
	v_mov_b32_e32 v7, v6
	;;#ASMSTART
	v_pk_mul_f32 v[8:9], v[10:11], v[6:7]
	;;#ASMEND
	;;#ASMSTART
	v_pk_mul_f32 v[10:11], v[16:17], v[6:7]
	;;#ASMEND
	;; [unrolled: 3-line block ×4, first 2 shown]
	v_cvt_f32_f16_sdwa v13, v2 dst_sel:DWORD dst_unused:UNUSED_PAD src0_sel:WORD_1
	v_cvt_f32_f16_e32 v12, v2
	v_cvt_f32_f16_sdwa v17, v3 dst_sel:DWORD dst_unused:UNUSED_PAD src0_sel:WORD_1
	v_cvt_f32_f16_e32 v16, v3
	;; [unrolled: 2-line block ×3, first 2 shown]
	;;#ASMSTART
	v_pk_mul_f32 v[4:5], v[8:9], v[12:13]
	;;#ASMEND
	;;#ASMSTART
	v_pk_mul_f32 v[8:9], v[10:11], v[16:17]
	;;#ASMEND
	;; [unrolled: 3-line block ×4, first 2 shown]
	s_mul_i32 s0, s7, s6
	v_cvt_f16_f32_e32 v0, v4
	v_cvt_f16_f32_e32 v4, v5
	;; [unrolled: 1-line block ×8, first 2 shown]
	s_lshl_b64 s[0:1], s[0:1], 1
	s_add_u32 s12, s28, s0
	s_addc_u32 s0, s29, s1
	s_and_b32 s13, s0, 0xffff
	v_pack_b32_f16 v2, v0, v4
	v_pack_b32_f16 v3, v5, v8
	;; [unrolled: 1-line block ×4, first 2 shown]
	buffer_store_dwordx4 v[2:5], v1, s[12:15], 0 offen
	;;#ASMSTART
	s_nop 0
	;;#ASMEND
	s_endpgm
	.section	.rodata,"a",@progbits
	.p2align	6, 0x0
	.amdhsa_kernel _ZN5aiter35fused_qk_rmsnorm_group_quant_kernelIDF16_DB8_Li256ELi8ELi4ELb0ELb0ELb0ELb0ELb0ELb0EEEvPT0_PvPT_S6_S6_PKS5_S8_S8_S8_S8_ffiiiiiiiiiiiii
		.amdhsa_group_segment_fixed_size 32
		.amdhsa_private_segment_fixed_size 0
		.amdhsa_kernarg_size 400
		.amdhsa_user_sgpr_count 6
		.amdhsa_user_sgpr_private_segment_buffer 1
		.amdhsa_user_sgpr_dispatch_ptr 0
		.amdhsa_user_sgpr_queue_ptr 0
		.amdhsa_user_sgpr_kernarg_segment_ptr 1
		.amdhsa_user_sgpr_dispatch_id 0
		.amdhsa_user_sgpr_flat_scratch_init 0
		.amdhsa_user_sgpr_kernarg_preload_length 0
		.amdhsa_user_sgpr_kernarg_preload_offset 0
		.amdhsa_user_sgpr_private_segment_size 0
		.amdhsa_uses_dynamic_stack 0
		.amdhsa_system_sgpr_private_segment_wavefront_offset 0
		.amdhsa_system_sgpr_workgroup_id_x 1
		.amdhsa_system_sgpr_workgroup_id_y 1
		.amdhsa_system_sgpr_workgroup_id_z 0
		.amdhsa_system_sgpr_workgroup_info 0
		.amdhsa_system_vgpr_workitem_id 0
		.amdhsa_next_free_vgpr 24
		.amdhsa_next_free_sgpr 32
		.amdhsa_accum_offset 24
		.amdhsa_reserve_vcc 1
		.amdhsa_reserve_flat_scratch 0
		.amdhsa_float_round_mode_32 0
		.amdhsa_float_round_mode_16_64 0
		.amdhsa_float_denorm_mode_32 3
		.amdhsa_float_denorm_mode_16_64 3
		.amdhsa_dx10_clamp 1
		.amdhsa_ieee_mode 1
		.amdhsa_fp16_overflow 0
		.amdhsa_tg_split 0
		.amdhsa_exception_fp_ieee_invalid_op 0
		.amdhsa_exception_fp_denorm_src 0
		.amdhsa_exception_fp_ieee_div_zero 0
		.amdhsa_exception_fp_ieee_overflow 0
		.amdhsa_exception_fp_ieee_underflow 0
		.amdhsa_exception_fp_ieee_inexact 0
		.amdhsa_exception_int_div_zero 0
	.end_amdhsa_kernel
	.section	.text._ZN5aiter35fused_qk_rmsnorm_group_quant_kernelIDF16_DB8_Li256ELi8ELi4ELb0ELb0ELb0ELb0ELb0ELb0EEEvPT0_PvPT_S6_S6_PKS5_S8_S8_S8_S8_ffiiiiiiiiiiiii,"axG",@progbits,_ZN5aiter35fused_qk_rmsnorm_group_quant_kernelIDF16_DB8_Li256ELi8ELi4ELb0ELb0ELb0ELb0ELb0ELb0EEEvPT0_PvPT_S6_S6_PKS5_S8_S8_S8_S8_ffiiiiiiiiiiiii,comdat
.Lfunc_end597:
	.size	_ZN5aiter35fused_qk_rmsnorm_group_quant_kernelIDF16_DB8_Li256ELi8ELi4ELb0ELb0ELb0ELb0ELb0ELb0EEEvPT0_PvPT_S6_S6_PKS5_S8_S8_S8_S8_ffiiiiiiiiiiiii, .Lfunc_end597-_ZN5aiter35fused_qk_rmsnorm_group_quant_kernelIDF16_DB8_Li256ELi8ELi4ELb0ELb0ELb0ELb0ELb0ELb0EEEvPT0_PvPT_S6_S6_PKS5_S8_S8_S8_S8_ffiiiiiiiiiiiii
                                        ; -- End function
	.section	.AMDGPU.csdata,"",@progbits
; Kernel info:
; codeLenInByte = 2468
; NumSgprs: 36
; NumVgprs: 24
; NumAgprs: 0
; TotalNumVgprs: 24
; ScratchSize: 0
; MemoryBound: 0
; FloatMode: 240
; IeeeMode: 1
; LDSByteSize: 32 bytes/workgroup (compile time only)
; SGPRBlocks: 4
; VGPRBlocks: 2
; NumSGPRsForWavesPerEU: 36
; NumVGPRsForWavesPerEU: 24
; AccumOffset: 24
; Occupancy: 8
; WaveLimiterHint : 0
; COMPUTE_PGM_RSRC2:SCRATCH_EN: 0
; COMPUTE_PGM_RSRC2:USER_SGPR: 6
; COMPUTE_PGM_RSRC2:TRAP_HANDLER: 0
; COMPUTE_PGM_RSRC2:TGID_X_EN: 1
; COMPUTE_PGM_RSRC2:TGID_Y_EN: 1
; COMPUTE_PGM_RSRC2:TGID_Z_EN: 0
; COMPUTE_PGM_RSRC2:TIDIG_COMP_CNT: 0
; COMPUTE_PGM_RSRC3_GFX90A:ACCUM_OFFSET: 5
; COMPUTE_PGM_RSRC3_GFX90A:TG_SPLIT: 0
	.section	.text._ZN5aiter35fused_qk_rmsnorm_group_quant_kernelItDB8_Li256ELi8ELi4ELb0ELb0ELb0ELb0ELb0ELb0EEEvPT0_PvPT_S6_S6_PKS5_S8_S8_S8_S8_ffiiiiiiiiiiiii,"axG",@progbits,_ZN5aiter35fused_qk_rmsnorm_group_quant_kernelItDB8_Li256ELi8ELi4ELb0ELb0ELb0ELb0ELb0ELb0EEEvPT0_PvPT_S6_S6_PKS5_S8_S8_S8_S8_ffiiiiiiiiiiiii,comdat
	.protected	_ZN5aiter35fused_qk_rmsnorm_group_quant_kernelItDB8_Li256ELi8ELi4ELb0ELb0ELb0ELb0ELb0ELb0EEEvPT0_PvPT_S6_S6_PKS5_S8_S8_S8_S8_ffiiiiiiiiiiiii ; -- Begin function _ZN5aiter35fused_qk_rmsnorm_group_quant_kernelItDB8_Li256ELi8ELi4ELb0ELb0ELb0ELb0ELb0ELb0EEEvPT0_PvPT_S6_S6_PKS5_S8_S8_S8_S8_ffiiiiiiiiiiiii
	.globl	_ZN5aiter35fused_qk_rmsnorm_group_quant_kernelItDB8_Li256ELi8ELi4ELb0ELb0ELb0ELb0ELb0ELb0EEEvPT0_PvPT_S6_S6_PKS5_S8_S8_S8_S8_ffiiiiiiiiiiiii
	.p2align	8
	.type	_ZN5aiter35fused_qk_rmsnorm_group_quant_kernelItDB8_Li256ELi8ELi4ELb0ELb0ELb0ELb0ELb0ELb0EEEvPT0_PvPT_S6_S6_PKS5_S8_S8_S8_S8_ffiiiiiiiiiiiii,@function
_ZN5aiter35fused_qk_rmsnorm_group_quant_kernelItDB8_Li256ELi8ELi4ELb0ELb0ELb0ELb0ELb0ELb0EEEvPT0_PvPT_S6_S6_PKS5_S8_S8_S8_S8_ffiiiiiiiiiiiii: ; @_ZN5aiter35fused_qk_rmsnorm_group_quant_kernelItDB8_Li256ELi8ELi4ELb0ELb0ELb0ELb0ELb0ELb0EEEvPT0_PvPT_S6_S6_PKS5_S8_S8_S8_S8_ffiiiiiiiiiiiii
; %bb.0:
	s_load_dwordx4 s[16:19], s[4:5], 0x50
	s_waitcnt lgkmcnt(0)
	s_cmp_ge_i32 s6, s18
	s_cbranch_scc1 .LBB598_10
; %bb.1:
	s_load_dwordx2 s[12:13], s[4:5], 0x48
	s_load_dwordx2 s[30:31], s[4:5], 0x30
	s_load_dwordx4 s[20:23], s[4:5], 0x60
	s_cmp_lg_u32 s7, 0
	s_cselect_b64 s[14:15], -1, 0
	s_cmp_eq_u32 s7, 0
	s_cselect_b64 vcc, -1, 0
	s_and_b64 s[0:1], vcc, exec
	s_waitcnt lgkmcnt(0)
	s_cselect_b32 s7, s19, s20
	s_add_i32 s0, s7, 1
	s_lshr_b32 s1, s0, 31
	s_add_i32 s0, s0, s1
	s_lshl_b32 s0, s0, 1
	v_lshlrev_b32_e32 v1, 3, v0
	s_and_b32 s10, s0, -4
	v_cmp_gt_i32_e64 s[2:3], s7, v1
	v_mov_b32_e32 v2, 0
	v_mov_b32_e32 v3, 0
	;; [unrolled: 1-line block ×8, first 2 shown]
	s_and_saveexec_b64 s[0:1], s[2:3]
	s_cbranch_execz .LBB598_3
; %bb.2:
	s_load_dwordx2 s[8:9], s[4:5], 0x28
	s_load_dwordx2 s[26:27], s[4:5], 0x40
	s_and_b64 s[24:25], vcc, exec
	s_cselect_b32 s11, s21, s22
	v_lshlrev_b32_e32 v10, 4, v0
	s_waitcnt lgkmcnt(0)
	s_cselect_b32 s18, s9, s31
	s_cselect_b32 s21, s8, s30
	s_mul_hi_i32 s9, s11, s6
	s_mul_i32 s8, s11, s6
	s_lshl_b64 s[8:9], s[8:9], 1
	s_add_u32 s24, s21, s8
	s_addc_u32 s18, s18, s9
	s_and_b64 s[8:9], vcc, exec
	s_mov_b32 s11, 0x20000
	s_cselect_b32 s8, s26, s12
	s_cselect_b32 s9, s27, s13
	s_and_b32 s25, s18, 0xffff
	s_mov_b32 s26, s10
	s_mov_b32 s27, s11
	s_and_b32 s9, s9, 0xffff
	buffer_load_dwordx4 v[6:9], v10, s[24:27], 0 offen glc slc
	buffer_load_dwordx4 v[2:5], v10, s[8:11], 0 offen
.LBB598_3:
	s_or_b64 exec, exec, s[0:1]
	s_waitcnt vmcnt(1)
	v_cvt_f32_u32_sdwa v13, v6 dst_sel:DWORD dst_unused:UNUSED_PAD src0_sel:WORD_1
	v_cvt_f32_u32_sdwa v12, v6 dst_sel:DWORD dst_unused:UNUSED_PAD src0_sel:WORD_0
	v_cvt_f32_u32_sdwa v6, v9 dst_sel:DWORD dst_unused:UNUSED_PAD src0_sel:WORD_1
	v_cvt_f32_u32_sdwa v9, v9 dst_sel:DWORD dst_unused:UNUSED_PAD src0_sel:WORD_0
	;; [unrolled: 2-line block ×4, first 2 shown]
	v_cndmask_b32_e64 v13, 0, v13, s[2:3]
	v_cndmask_b32_e64 v7, 0, v6, s[2:3]
	;; [unrolled: 1-line block ×5, first 2 shown]
	v_mul_f32_e32 v14, v13, v13
	v_cndmask_b32_e64 v10, 0, v10, s[2:3]
	v_fmac_f32_e32 v14, v12, v12
	v_cndmask_b32_e64 v11, 0, v11, s[2:3]
	v_fmac_f32_e32 v14, v10, v10
	;; [unrolled: 2-line block ×3, first 2 shown]
	v_fmac_f32_e32 v14, v8, v8
	v_fmac_f32_e32 v14, v9, v9
	v_fmac_f32_e32 v14, v6, v6
	v_fmac_f32_e32 v14, v7, v7
	v_and_b32_e32 v16, 63, v0
	v_cmp_eq_u32_e64 s[0:1], 63, v16
	v_mov_b32_dpp v15, v14 quad_perm:[1,0,3,2] row_mask:0xf bank_mask:0xf
	v_add_f32_e32 v14, v14, v15
	s_nop 1
	v_mov_b32_dpp v15, v14 quad_perm:[2,3,0,1] row_mask:0xf bank_mask:0xf
	v_add_f32_e32 v14, v14, v15
	s_nop 1
	v_mov_b32_dpp v15, v14 row_half_mirror row_mask:0xf bank_mask:0xf
	v_add_f32_e32 v14, v14, v15
	s_nop 1
	v_mov_b32_dpp v15, v14 row_mirror row_mask:0xf bank_mask:0xf
	v_add_f32_e32 v14, v14, v15
	s_nop 1
	v_mov_b32_dpp v15, v14 row_bcast:15 row_mask:0xf bank_mask:0xf
	v_add_f32_e32 v14, v14, v15
	s_nop 1
	v_mov_b32_dpp v15, v14 row_bcast:31 row_mask:0xf bank_mask:0xf
	s_and_saveexec_b64 s[8:9], s[0:1]
	s_cbranch_execz .LBB598_5
; %bb.4:
	v_add_f32_e32 v14, v14, v15
	v_lshrrev_b32_e32 v15, 4, v0
	v_and_b32_e32 v15, 60, v15
	ds_write_b32 v15, v14 offset:16
.LBB598_5:
	s_or_b64 exec, exec, s[8:9]
	v_and_b32_e32 v15, 3, v0
	v_lshlrev_b32_e32 v14, 2, v15
	s_waitcnt lgkmcnt(0)
	s_barrier
	ds_read_b32 v16, v14 offset:16
	s_load_dwordx2 s[28:29], s[4:5], 0x18
	s_waitcnt lgkmcnt(0)
	v_mov_b32_dpp v17, v16 quad_perm:[1,0,3,2] row_mask:0xf bank_mask:0xf
	v_add_f32_e32 v16, v16, v17
	s_nop 1
	v_mov_b32_dpp v17, v16 quad_perm:[2,3,0,1] row_mask:0xf bank_mask:0xf
	s_and_saveexec_b64 s[8:9], s[2:3]
	s_cbranch_execz .LBB598_7
; %bb.6:
	v_cvt_f32_u32_e32 v18, s7
	v_add_f32_e32 v16, v16, v17
	v_mov_b32_e32 v20, s17
	v_mov_b32_e32 v21, s16
	v_div_scale_f32 v17, s[24:25], v18, v18, v16
	v_rcp_f32_e32 v19, v17
	v_cndmask_b32_e32 v20, v20, v21, vcc
	s_mov_b32 s7, 0x800000
	v_fma_f32 v21, -v17, v19, 1.0
	v_fmac_f32_e32 v19, v21, v19
	v_div_scale_f32 v21, vcc, v16, v18, v16
	v_mul_f32_e32 v22, v21, v19
	v_fma_f32 v23, -v17, v22, v21
	v_fmac_f32_e32 v22, v23, v19
	v_fma_f32 v17, -v17, v22, v21
	v_div_fmas_f32 v17, v17, v19, v22
	v_div_fixup_f32 v16, v17, v18, v16
	v_add_f32_e32 v16, v20, v16
	v_mul_f32_e32 v17, 0x4b800000, v16
	v_cmp_gt_f32_e32 vcc, s7, v16
	v_cndmask_b32_e32 v16, v16, v17, vcc
	v_rsq_f32_e32 v16, v16
	s_waitcnt vmcnt(0)
	v_cvt_f32_u32_sdwa v19, v3 dst_sel:DWORD dst_unused:UNUSED_PAD src0_sel:WORD_1
	v_cvt_f32_u32_sdwa v18, v3 dst_sel:DWORD dst_unused:UNUSED_PAD src0_sel:WORD_0
	v_cvt_f32_u32_sdwa v3, v4 dst_sel:DWORD dst_unused:UNUSED_PAD src0_sel:WORD_1
	v_mul_f32_e32 v17, 0x45800000, v16
	v_cndmask_b32_e32 v16, v16, v17, vcc
	v_mov_b32_e32 v17, v16
	;;#ASMSTART
	v_pk_mul_f32 v[12:13], v[12:13], v[16:17]
	;;#ASMEND
	;;#ASMSTART
	v_pk_mul_f32 v[10:11], v[10:11], v[16:17]
	;;#ASMEND
	;; [unrolled: 3-line block ×4, first 2 shown]
	v_cvt_f32_u32_sdwa v17, v2 dst_sel:DWORD dst_unused:UNUSED_PAD src0_sel:WORD_1
	v_cvt_f32_u32_sdwa v16, v2 dst_sel:DWORD dst_unused:UNUSED_PAD src0_sel:WORD_0
	v_cvt_f32_u32_sdwa v2, v4 dst_sel:DWORD dst_unused:UNUSED_PAD src0_sel:WORD_0
	v_cvt_f32_u32_sdwa v21, v5 dst_sel:DWORD dst_unused:UNUSED_PAD src0_sel:WORD_1
	v_cvt_f32_u32_sdwa v20, v5 dst_sel:DWORD dst_unused:UNUSED_PAD src0_sel:WORD_0
	;;#ASMSTART
	v_pk_mul_f32 v[12:13], v[12:13], v[16:17]
	;;#ASMEND
	;;#ASMSTART
	v_pk_mul_f32 v[10:11], v[10:11], v[18:19]
	;;#ASMEND
	;; [unrolled: 3-line block ×4, first 2 shown]
.LBB598_7:
	s_or_b64 exec, exec, s[8:9]
	s_load_dword s7, s[4:5], 0x80
	s_mov_b64 s[8:9], -1
	s_and_b64 vcc, exec, s[14:15]
	s_cbranch_vccnz .LBB598_11
; %bb.8:
	s_andn2_b64 vcc, exec, s[8:9]
	s_cbranch_vccz .LBB598_14
.LBB598_9:
	s_cmp_lt_i32 s20, 1
	s_cbranch_scc0 .LBB598_21
.LBB598_10:
	s_endpgm
.LBB598_11:
	s_and_saveexec_b64 s[14:15], s[2:3]
	s_cbranch_execz .LBB598_13
; %bb.12:
	s_waitcnt lgkmcnt(0)
	s_mul_hi_i32 s9, s7, s6
	s_mul_i32 s8, s7, s6
	s_lshl_b64 s[8:9], s[8:9], 1
	s_add_u32 s8, s28, s8
	s_addc_u32 s9, s29, s9
	s_mov_b32 s16, 0x7060302
	s_and_b32 s9, s9, 0xffff
	s_mov_b32 s11, 0x20000
	s_waitcnt vmcnt(0)
	v_perm_b32 v2, v13, v12, s16
	v_perm_b32 v3, v11, v10, s16
	;; [unrolled: 1-line block ×4, first 2 shown]
	v_lshlrev_b32_e32 v16, 4, v0
	buffer_store_dwordx4 v[2:5], v16, s[8:11], 0 offen
	;;#ASMSTART
	s_nop 0
	;;#ASMEND
.LBB598_13:
	s_or_b64 exec, exec, s[14:15]
	s_cbranch_execnz .LBB598_9
.LBB598_14:
	s_waitcnt vmcnt(0)
	v_mov_b32_e32 v2, 0
	s_and_saveexec_b64 s[8:9], s[2:3]
	s_cbranch_execz .LBB598_16
; %bb.15:
	v_and_b32_e32 v2, 0x7fffffff, v12
	v_and_b32_e32 v3, 0x7fffffff, v13
	v_mov_b32_e32 v4, 0x2edbe6ff
	;;#ASMSTART
	v_max3_f32 v2, v4, v2, v3

	;;#ASMEND
	v_and_b32_e32 v3, 0x7fffffff, v10
	v_and_b32_e32 v4, 0x7fffffff, v11
	;;#ASMSTART
	v_max3_f32 v2, v2, v3, v4

	;;#ASMEND
	v_and_b32_e32 v3, 0x7fffffff, v8
	v_and_b32_e32 v4, 0x7fffffff, v9
	;; [unrolled: 6-line block ×3, first 2 shown]
	;;#ASMSTART
	v_max3_f32 v2, v2, v3, v4

	;;#ASMEND
.LBB598_16:
	s_or_b64 exec, exec, s[8:9]
	s_load_dwordx4 s[24:27], s[4:5], 0x70
	;;#ASMSTART
	v_max_f32 v3, v2, v2 quad_perm:[1,0,3,2] row_mask:0xf bank_mask:0xf bound_ctrl:1
	;;#ASMEND
	;;#ASMSTART
	v_max_f32 v2, v3, v3 quad_perm:[2,3,0,1] row_mask:0xf bank_mask:0xf bound_ctrl:1
	;;#ASMEND
	v_cmp_eq_u32_e32 vcc, 0, v15
	v_cmp_gt_i32_e64 s[8:9], s19, v1
	v_mul_f32_e32 v2, 0x3b124925, v2
	s_and_b64 s[10:11], vcc, s[8:9]
	s_and_saveexec_b64 s[8:9], s[10:11]
	s_cbranch_execz .LBB598_18
; %bb.17:
	s_load_dwordx2 s[10:11], s[4:5], 0x8
	s_waitcnt lgkmcnt(0)
	s_mul_hi_i32 s15, s25, s6
	s_mul_i32 s14, s25, s6
	v_lshrrev_b32_e32 v3, 2, v0
	s_lshl_b64 s[14:15], s[14:15], 2
	v_mad_i64_i32 v[4:5], s[26:27], s26, v3, 0
	s_add_u32 s10, s10, s14
	s_addc_u32 s11, s11, s15
	v_lshlrev_b64 v[4:5], 2, v[4:5]
	v_mov_b32_e32 v3, s11
	v_add_co_u32_e32 v4, vcc, s10, v4
	v_addc_co_u32_e32 v5, vcc, v3, v5, vcc
	global_store_dword v[4:5], v2, off
.LBB598_18:
	s_or_b64 exec, exec, s[8:9]
	;;#ASMSTART
	v_rcp_f32 v2, v2
	;;#ASMEND
	s_and_saveexec_b64 s[14:15], s[2:3]
	s_cbranch_execz .LBB598_20
; %bb.19:
	s_load_dwordx2 s[2:3], s[4:5], 0x0
	s_waitcnt lgkmcnt(0)
	s_mul_i32 s8, s24, s6
	s_mul_hi_i32 s9, s24, s6
	v_mov_b32_e32 v3, v2
	;;#ASMSTART
	v_pk_mul_f32 v[4:5], v[12:13], v[2:3]
	;;#ASMEND
	s_add_u32 s8, s2, s8
	s_addc_u32 s2, s3, s9
	s_add_i32 s3, s19, 3
	s_ashr_i32 s9, s3, 31
	v_mov_b32_e32 v12, 0xc3e00000
	v_mov_b32_e32 v13, 0x43e00000
	;;#ASMSTART
	v_med3_f32 v4, v4, v12, v13
v_med3_f32 v5, v5, v12, v13
v_cvt_pk_fp8_f32 v15, v4, v5
	;;#ASMEND
	s_lshr_b32 s9, s9, 30
	;;#ASMSTART
	v_pk_mul_f32 v[4:5], v[10:11], v[2:3]
	;;#ASMEND
	s_add_i32 s3, s3, s9
	s_and_b32 s9, s2, 0xffff
	;;#ASMSTART
	v_med3_f32 v4, v4, v12, v13
v_med3_f32 v5, v5, v12, v13
v_cvt_pk_fp8_f32 v10, v4, v5
	;;#ASMEND
	s_mov_b32 s2, 0x5040100
	v_perm_b32 v5, v10, v15, s2
	s_movk_i32 s2, 0xff
	v_and_b32_e32 v4, 0xffffff00, v10
	v_and_b32_sdwa v10, v5, s2 dst_sel:DWORD dst_unused:UNUSED_PAD src0_sel:WORD_1 src1_sel:DWORD
	s_mov_b32 s16, 0xffff
	v_or_b32_sdwa v4, v10, v4 dst_sel:WORD_1 dst_unused:UNUSED_PAD src0_sel:DWORD src1_sel:DWORD
	v_and_or_b32 v4, v5, s16, v4
	;;#ASMSTART
	v_pk_mul_f32 v[8:9], v[8:9], v[2:3]
	;;#ASMEND
	v_mov_b32_e32 v5, v9
	;;#ASMSTART
	v_med3_f32 v8, v8, v12, v13
v_med3_f32 v5, v5, v12, v13
v_cvt_pk_fp8_f32 v9, v8, v5
	;;#ASMEND
	;;#ASMSTART
	v_pk_mul_f32 v[2:3], v[6:7], v[2:3]
	;;#ASMEND
	;;#ASMSTART
	v_med3_f32 v2, v2, v12, v13
v_med3_f32 v3, v3, v12, v13
v_cvt_pk_fp8_f32 v5, v2, v3
	;;#ASMEND
	v_lshlrev_b32_e32 v2, 16, v5
	s_and_b32 s10, s3, -4
	s_mov_b32 s11, 0x20000
	v_and_or_b32 v5, v9, s16, v2
	buffer_store_dwordx2 v[4:5], v1, s[8:11], 0 offen
	;;#ASMSTART
	s_nop 0
	;;#ASMEND
.LBB598_20:
	s_or_b64 exec, exec, s[14:15]
	s_cmp_lt_i32 s20, 1
	s_cbranch_scc1 .LBB598_10
.LBB598_21:
	s_load_dword s2, s[4:5], 0x94
	s_waitcnt lgkmcnt(0)
	s_cmp_lg_u32 s2, 1
	s_cbranch_scc1 .LBB598_10
; %bb.22:
	s_lshl_b32 s2, s20, 1
	s_add_i32 s2, s2, 2
	v_cmp_gt_u32_e32 vcc, s20, v1
	s_and_b32 s14, s2, -4
	v_mov_b32_e32 v6, 0
	v_lshlrev_b32_e32 v1, 4, v0
	v_mov_b32_e32 v7, 0
	v_mov_b32_e32 v8, 0
	;; [unrolled: 1-line block ×3, first 2 shown]
	s_waitcnt vmcnt(0)
	v_mov_b32_e32 v2, 0
	v_mov_b32_e32 v3, 0
	;; [unrolled: 1-line block ×4, first 2 shown]
	s_barrier
	s_and_saveexec_b64 s[2:3], vcc
	s_cbranch_execz .LBB598_24
; %bb.23:
	s_mul_hi_i32 s5, s22, s6
	s_mul_i32 s4, s22, s6
	s_and_b32 s13, s13, 0xffff
	s_lshl_b64 s[4:5], s[4:5], 1
	s_add_u32 s8, s30, s4
	s_mov_b32 s15, 0x20000
	s_addc_u32 s4, s31, s5
	s_and_b32 s9, s4, 0xffff
	s_mov_b32 s10, s14
	s_mov_b32 s11, s15
	buffer_load_dwordx4 v[6:9], v1, s[8:11], 0 offen glc slc
	buffer_load_dwordx4 v[2:5], v1, s[12:15], 0 offen
.LBB598_24:
	s_or_b64 exec, exec, s[2:3]
	s_waitcnt vmcnt(1)
	v_cvt_f32_u32_sdwa v13, v6 dst_sel:DWORD dst_unused:UNUSED_PAD src0_sel:WORD_1
	v_cvt_f32_u32_sdwa v12, v6 dst_sel:DWORD dst_unused:UNUSED_PAD src0_sel:WORD_0
	v_cvt_f32_u32_sdwa v6, v9 dst_sel:DWORD dst_unused:UNUSED_PAD src0_sel:WORD_1
	v_cvt_f32_u32_sdwa v9, v9 dst_sel:DWORD dst_unused:UNUSED_PAD src0_sel:WORD_0
	;; [unrolled: 2-line block ×4, first 2 shown]
	v_cndmask_b32_e32 v13, 0, v13, vcc
	v_cndmask_b32_e32 v7, 0, v6, vcc
	;; [unrolled: 1-line block ×5, first 2 shown]
	v_mul_f32_e32 v15, v13, v13
	v_cndmask_b32_e32 v10, 0, v10, vcc
	v_fmac_f32_e32 v15, v12, v12
	v_cndmask_b32_e32 v11, 0, v11, vcc
	v_fmac_f32_e32 v15, v10, v10
	v_cndmask_b32_e32 v8, 0, v8, vcc
	v_fmac_f32_e32 v15, v11, v11
	v_fmac_f32_e32 v15, v8, v8
	v_fmac_f32_e32 v15, v9, v9
	;; [unrolled: 1-line block ×4, first 2 shown]
	s_nop 1
	v_mov_b32_dpp v16, v15 quad_perm:[1,0,3,2] row_mask:0xf bank_mask:0xf
	v_add_f32_e32 v15, v15, v16
	s_nop 1
	v_mov_b32_dpp v16, v15 quad_perm:[2,3,0,1] row_mask:0xf bank_mask:0xf
	v_add_f32_e32 v15, v15, v16
	s_nop 1
	v_mov_b32_dpp v16, v15 row_half_mirror row_mask:0xf bank_mask:0xf
	v_add_f32_e32 v15, v15, v16
	s_nop 1
	v_mov_b32_dpp v16, v15 row_mirror row_mask:0xf bank_mask:0xf
	v_add_f32_e32 v15, v15, v16
	s_nop 1
	v_mov_b32_dpp v16, v15 row_bcast:15 row_mask:0xf bank_mask:0xf
	v_add_f32_e32 v15, v15, v16
	s_nop 1
	v_mov_b32_dpp v16, v15 row_bcast:31 row_mask:0xf bank_mask:0xf
	s_and_saveexec_b64 s[2:3], s[0:1]
	s_cbranch_execz .LBB598_26
; %bb.25:
	v_lshrrev_b32_e32 v0, 4, v0
	v_add_f32_e32 v15, v15, v16
	v_and_b32_e32 v0, 60, v0
	ds_write_b32 v0, v15
.LBB598_26:
	s_or_b64 exec, exec, s[2:3]
	s_waitcnt lgkmcnt(0)
	s_barrier
	ds_read_b32 v0, v14
	s_waitcnt lgkmcnt(0)
	s_nop 0
	v_mov_b32_dpp v14, v0 quad_perm:[1,0,3,2] row_mask:0xf bank_mask:0xf
	v_add_f32_e32 v0, v0, v14
	s_nop 1
	v_mov_b32_dpp v14, v0 quad_perm:[2,3,0,1] row_mask:0xf bank_mask:0xf
	s_and_saveexec_b64 s[0:1], vcc
	s_cbranch_execz .LBB598_10
; %bb.27:
	v_cvt_f32_u32_e32 v15, s20
	v_add_f32_e32 v0, v0, v14
	s_mov_b32 s15, 0x20000
	v_div_scale_f32 v14, s[0:1], v15, v15, v0
	v_rcp_f32_e32 v16, v14
	v_div_scale_f32 v17, vcc, v0, v15, v0
	s_mov_b32 s0, 0x800000
	v_fma_f32 v18, -v14, v16, 1.0
	v_fmac_f32_e32 v16, v18, v16
	v_mul_f32_e32 v18, v17, v16
	v_fma_f32 v19, -v14, v18, v17
	v_fmac_f32_e32 v18, v19, v16
	v_fma_f32 v14, -v14, v18, v17
	v_div_fmas_f32 v14, v14, v16, v18
	v_div_fixup_f32 v0, v14, v15, v0
	v_add_f32_e32 v0, s17, v0
	v_mul_f32_e32 v14, 0x4b800000, v0
	v_cmp_gt_f32_e32 vcc, s0, v0
	v_cndmask_b32_e32 v0, v0, v14, vcc
	v_rsq_f32_e32 v0, v0
	s_mul_hi_i32 s1, s7, s6
	s_mul_i32 s0, s7, s6
	s_lshl_b64 s[0:1], s[0:1], 1
	v_mul_f32_e32 v14, 0x45800000, v0
	v_cndmask_b32_e32 v14, v0, v14, vcc
	s_add_u32 s12, s28, s0
	v_mov_b32_e32 v15, v14
	s_addc_u32 s0, s29, s1
	;;#ASMSTART
	v_pk_mul_f32 v[12:13], v[12:13], v[14:15]
	;;#ASMEND
	;;#ASMSTART
	v_pk_mul_f32 v[10:11], v[10:11], v[14:15]
	;;#ASMEND
	;; [unrolled: 3-line block ×4, first 2 shown]
	s_waitcnt vmcnt(0)
	v_cvt_f32_u32_sdwa v15, v2 dst_sel:DWORD dst_unused:UNUSED_PAD src0_sel:WORD_1
	v_cvt_f32_u32_sdwa v14, v2 dst_sel:DWORD dst_unused:UNUSED_PAD src0_sel:WORD_0
	v_cvt_f32_u32_sdwa v17, v3 dst_sel:DWORD dst_unused:UNUSED_PAD src0_sel:WORD_1
	v_cvt_f32_u32_sdwa v16, v3 dst_sel:DWORD dst_unused:UNUSED_PAD src0_sel:WORD_0
	;; [unrolled: 2-line block ×4, first 2 shown]
	;;#ASMSTART
	v_pk_mul_f32 v[4:5], v[12:13], v[14:15]
	;;#ASMEND
	s_and_b32 s13, s0, 0xffff
	s_mov_b32 s0, 0x7060302
	;;#ASMSTART
	v_pk_mul_f32 v[10:11], v[10:11], v[16:17]
	;;#ASMEND
	;;#ASMSTART
	v_pk_mul_f32 v[8:9], v[8:9], v[2:3]
	;;#ASMEND
	;; [unrolled: 3-line block ×3, first 2 shown]
	v_perm_b32 v2, v5, v4, s0
	v_perm_b32 v3, v11, v10, s0
	;; [unrolled: 1-line block ×4, first 2 shown]
	buffer_store_dwordx4 v[2:5], v1, s[12:15], 0 offen
	;;#ASMSTART
	s_nop 0
	;;#ASMEND
	s_endpgm
	.section	.rodata,"a",@progbits
	.p2align	6, 0x0
	.amdhsa_kernel _ZN5aiter35fused_qk_rmsnorm_group_quant_kernelItDB8_Li256ELi8ELi4ELb0ELb0ELb0ELb0ELb0ELb0EEEvPT0_PvPT_S6_S6_PKS5_S8_S8_S8_S8_ffiiiiiiiiiiiii
		.amdhsa_group_segment_fixed_size 32
		.amdhsa_private_segment_fixed_size 0
		.amdhsa_kernarg_size 400
		.amdhsa_user_sgpr_count 6
		.amdhsa_user_sgpr_private_segment_buffer 1
		.amdhsa_user_sgpr_dispatch_ptr 0
		.amdhsa_user_sgpr_queue_ptr 0
		.amdhsa_user_sgpr_kernarg_segment_ptr 1
		.amdhsa_user_sgpr_dispatch_id 0
		.amdhsa_user_sgpr_flat_scratch_init 0
		.amdhsa_user_sgpr_kernarg_preload_length 0
		.amdhsa_user_sgpr_kernarg_preload_offset 0
		.amdhsa_user_sgpr_private_segment_size 0
		.amdhsa_uses_dynamic_stack 0
		.amdhsa_system_sgpr_private_segment_wavefront_offset 0
		.amdhsa_system_sgpr_workgroup_id_x 1
		.amdhsa_system_sgpr_workgroup_id_y 1
		.amdhsa_system_sgpr_workgroup_id_z 0
		.amdhsa_system_sgpr_workgroup_info 0
		.amdhsa_system_vgpr_workitem_id 0
		.amdhsa_next_free_vgpr 24
		.amdhsa_next_free_sgpr 32
		.amdhsa_accum_offset 24
		.amdhsa_reserve_vcc 1
		.amdhsa_reserve_flat_scratch 0
		.amdhsa_float_round_mode_32 0
		.amdhsa_float_round_mode_16_64 0
		.amdhsa_float_denorm_mode_32 3
		.amdhsa_float_denorm_mode_16_64 3
		.amdhsa_dx10_clamp 1
		.amdhsa_ieee_mode 1
		.amdhsa_fp16_overflow 0
		.amdhsa_tg_split 0
		.amdhsa_exception_fp_ieee_invalid_op 0
		.amdhsa_exception_fp_denorm_src 0
		.amdhsa_exception_fp_ieee_div_zero 0
		.amdhsa_exception_fp_ieee_overflow 0
		.amdhsa_exception_fp_ieee_underflow 0
		.amdhsa_exception_fp_ieee_inexact 0
		.amdhsa_exception_int_div_zero 0
	.end_amdhsa_kernel
	.section	.text._ZN5aiter35fused_qk_rmsnorm_group_quant_kernelItDB8_Li256ELi8ELi4ELb0ELb0ELb0ELb0ELb0ELb0EEEvPT0_PvPT_S6_S6_PKS5_S8_S8_S8_S8_ffiiiiiiiiiiiii,"axG",@progbits,_ZN5aiter35fused_qk_rmsnorm_group_quant_kernelItDB8_Li256ELi8ELi4ELb0ELb0ELb0ELb0ELb0ELb0EEEvPT0_PvPT_S6_S6_PKS5_S8_S8_S8_S8_ffiiiiiiiiiiiii,comdat
.Lfunc_end598:
	.size	_ZN5aiter35fused_qk_rmsnorm_group_quant_kernelItDB8_Li256ELi8ELi4ELb0ELb0ELb0ELb0ELb0ELb0EEEvPT0_PvPT_S6_S6_PKS5_S8_S8_S8_S8_ffiiiiiiiiiiiii, .Lfunc_end598-_ZN5aiter35fused_qk_rmsnorm_group_quant_kernelItDB8_Li256ELi8ELi4ELb0ELb0ELb0ELb0ELb0ELb0EEEvPT0_PvPT_S6_S6_PKS5_S8_S8_S8_S8_ffiiiiiiiiiiiii
                                        ; -- End function
	.section	.AMDGPU.csdata,"",@progbits
; Kernel info:
; codeLenInByte = 2484
; NumSgprs: 36
; NumVgprs: 24
; NumAgprs: 0
; TotalNumVgprs: 24
; ScratchSize: 0
; MemoryBound: 0
; FloatMode: 240
; IeeeMode: 1
; LDSByteSize: 32 bytes/workgroup (compile time only)
; SGPRBlocks: 4
; VGPRBlocks: 2
; NumSGPRsForWavesPerEU: 36
; NumVGPRsForWavesPerEU: 24
; AccumOffset: 24
; Occupancy: 8
; WaveLimiterHint : 0
; COMPUTE_PGM_RSRC2:SCRATCH_EN: 0
; COMPUTE_PGM_RSRC2:USER_SGPR: 6
; COMPUTE_PGM_RSRC2:TRAP_HANDLER: 0
; COMPUTE_PGM_RSRC2:TGID_X_EN: 1
; COMPUTE_PGM_RSRC2:TGID_Y_EN: 1
; COMPUTE_PGM_RSRC2:TGID_Z_EN: 0
; COMPUTE_PGM_RSRC2:TIDIG_COMP_CNT: 0
; COMPUTE_PGM_RSRC3_GFX90A:ACCUM_OFFSET: 5
; COMPUTE_PGM_RSRC3_GFX90A:TG_SPLIT: 0
	.section	.text._ZN5aiter35fused_qk_rmsnorm_group_quant_kernelIDF16_N4opus5fp4_tELi256ELi8ELi4ELb0ELb0ELb0ELb0ELb0ELb0EEEvPT0_PvPT_S7_S7_PKS6_S9_S9_S9_S9_ffiiiiiiiiiiiii,"axG",@progbits,_ZN5aiter35fused_qk_rmsnorm_group_quant_kernelIDF16_N4opus5fp4_tELi256ELi8ELi4ELb0ELb0ELb0ELb0ELb0ELb0EEEvPT0_PvPT_S7_S7_PKS6_S9_S9_S9_S9_ffiiiiiiiiiiiii,comdat
	.protected	_ZN5aiter35fused_qk_rmsnorm_group_quant_kernelIDF16_N4opus5fp4_tELi256ELi8ELi4ELb0ELb0ELb0ELb0ELb0ELb0EEEvPT0_PvPT_S7_S7_PKS6_S9_S9_S9_S9_ffiiiiiiiiiiiii ; -- Begin function _ZN5aiter35fused_qk_rmsnorm_group_quant_kernelIDF16_N4opus5fp4_tELi256ELi8ELi4ELb0ELb0ELb0ELb0ELb0ELb0EEEvPT0_PvPT_S7_S7_PKS6_S9_S9_S9_S9_ffiiiiiiiiiiiii
	.globl	_ZN5aiter35fused_qk_rmsnorm_group_quant_kernelIDF16_N4opus5fp4_tELi256ELi8ELi4ELb0ELb0ELb0ELb0ELb0ELb0EEEvPT0_PvPT_S7_S7_PKS6_S9_S9_S9_S9_ffiiiiiiiiiiiii
	.p2align	8
	.type	_ZN5aiter35fused_qk_rmsnorm_group_quant_kernelIDF16_N4opus5fp4_tELi256ELi8ELi4ELb0ELb0ELb0ELb0ELb0ELb0EEEvPT0_PvPT_S7_S7_PKS6_S9_S9_S9_S9_ffiiiiiiiiiiiii,@function
_ZN5aiter35fused_qk_rmsnorm_group_quant_kernelIDF16_N4opus5fp4_tELi256ELi8ELi4ELb0ELb0ELb0ELb0ELb0ELb0EEEvPT0_PvPT_S7_S7_PKS6_S9_S9_S9_S9_ffiiiiiiiiiiiii: ; @_ZN5aiter35fused_qk_rmsnorm_group_quant_kernelIDF16_N4opus5fp4_tELi256ELi8ELi4ELb0ELb0ELb0ELb0ELb0ELb0EEEvPT0_PvPT_S7_S7_PKS6_S9_S9_S9_S9_ffiiiiiiiiiiiii
; %bb.0:
	s_load_dwordx4 s[16:19], s[4:5], 0x50
	s_waitcnt lgkmcnt(0)
	s_cmp_ge_i32 s6, s18
	s_cbranch_scc1 .LBB599_12
; %bb.1:
	s_load_dwordx2 s[12:13], s[4:5], 0x48
	s_load_dwordx2 s[30:31], s[4:5], 0x30
	s_load_dwordx4 s[20:23], s[4:5], 0x60
	s_cmp_lg_u32 s7, 0
	s_cselect_b64 s[14:15], -1, 0
	s_cmp_eq_u32 s7, 0
	s_cselect_b64 vcc, -1, 0
	s_and_b64 s[0:1], vcc, exec
	s_waitcnt lgkmcnt(0)
	s_cselect_b32 s7, s19, s20
	s_add_i32 s0, s7, 1
	s_lshr_b32 s1, s0, 31
	s_add_i32 s0, s0, s1
	s_lshl_b32 s0, s0, 1
	v_lshlrev_b32_e32 v1, 3, v0
	s_and_b32 s10, s0, -4
	v_cmp_gt_i32_e64 s[2:3], s7, v1
	v_mov_b32_e32 v10, 0
	v_mov_b32_e32 v2, 0
	;; [unrolled: 1-line block ×9, first 2 shown]
	s_and_saveexec_b64 s[0:1], s[2:3]
	s_cbranch_execz .LBB599_3
; %bb.2:
	s_load_dwordx2 s[8:9], s[4:5], 0x28
	s_load_dwordx2 s[26:27], s[4:5], 0x40
	s_and_b64 s[24:25], vcc, exec
	s_cselect_b32 s11, s21, s22
	v_lshlrev_b32_e32 v11, 4, v0
	s_waitcnt lgkmcnt(0)
	s_cselect_b32 s18, s9, s31
	s_cselect_b32 s21, s8, s30
	s_mul_hi_i32 s9, s11, s6
	s_mul_i32 s8, s11, s6
	s_lshl_b64 s[8:9], s[8:9], 1
	s_add_u32 s24, s21, s8
	s_addc_u32 s18, s18, s9
	s_and_b64 s[8:9], vcc, exec
	s_mov_b32 s11, 0x20000
	s_cselect_b32 s8, s26, s12
	s_cselect_b32 s9, s27, s13
	s_and_b32 s25, s18, 0xffff
	s_mov_b32 s26, s10
	s_mov_b32 s27, s11
	s_and_b32 s9, s9, 0xffff
	buffer_load_dwordx4 v[6:9], v11, s[24:27], 0 offen glc slc
	buffer_load_dwordx4 v[2:5], v11, s[8:11], 0 offen
.LBB599_3:
	s_or_b64 exec, exec, s[0:1]
	v_mov_b32_e32 v11, 0
	v_mov_b32_e32 v16, 0
	;; [unrolled: 1-line block ×7, first 2 shown]
	s_and_saveexec_b64 s[0:1], s[2:3]
	s_cbranch_execz .LBB599_5
; %bb.4:
	s_waitcnt vmcnt(1)
	v_cvt_f32_f16_sdwa v11, v6 dst_sel:DWORD dst_unused:UNUSED_PAD src0_sel:WORD_1
	v_cvt_f32_f16_e32 v10, v6
	v_cvt_f32_f16_sdwa v17, v7 dst_sel:DWORD dst_unused:UNUSED_PAD src0_sel:WORD_1
	v_cvt_f32_f16_e32 v16, v7
	;; [unrolled: 2-line block ×4, first 2 shown]
.LBB599_5:
	s_or_b64 exec, exec, s[0:1]
	s_waitcnt vmcnt(1)
	v_mul_f32_e32 v6, v11, v11
	v_fmac_f32_e32 v6, v10, v10
	v_fmac_f32_e32 v6, v16, v16
	;; [unrolled: 1-line block ×7, first 2 shown]
	v_and_b32_e32 v8, 63, v0
	v_cmp_eq_u32_e64 s[0:1], 63, v8
	v_mov_b32_dpp v7, v6 quad_perm:[1,0,3,2] row_mask:0xf bank_mask:0xf
	v_add_f32_e32 v6, v6, v7
	s_nop 1
	v_mov_b32_dpp v7, v6 quad_perm:[2,3,0,1] row_mask:0xf bank_mask:0xf
	v_add_f32_e32 v6, v6, v7
	s_nop 1
	v_mov_b32_dpp v7, v6 row_half_mirror row_mask:0xf bank_mask:0xf
	v_add_f32_e32 v6, v6, v7
	s_nop 1
	v_mov_b32_dpp v7, v6 row_mirror row_mask:0xf bank_mask:0xf
	v_add_f32_e32 v6, v6, v7
	s_nop 1
	v_mov_b32_dpp v7, v6 row_bcast:15 row_mask:0xf bank_mask:0xf
	v_add_f32_e32 v6, v6, v7
	s_nop 1
	v_mov_b32_dpp v7, v6 row_bcast:31 row_mask:0xf bank_mask:0xf
	s_and_saveexec_b64 s[8:9], s[0:1]
	s_cbranch_execz .LBB599_7
; %bb.6:
	v_add_f32_e32 v6, v6, v7
	v_lshrrev_b32_e32 v7, 4, v0
	v_and_b32_e32 v7, 60, v7
	ds_write_b32 v7, v6 offset:16
.LBB599_7:
	s_or_b64 exec, exec, s[8:9]
	v_and_b32_e32 v6, 3, v0
	v_lshlrev_b32_e32 v18, 2, v6
	s_waitcnt lgkmcnt(0)
	s_barrier
	ds_read_b32 v7, v18 offset:16
	s_load_dwordx2 s[28:29], s[4:5], 0x18
	s_waitcnt lgkmcnt(0)
	v_mov_b32_dpp v8, v7 quad_perm:[1,0,3,2] row_mask:0xf bank_mask:0xf
	v_add_f32_e32 v7, v7, v8
	s_nop 1
	v_mov_b32_dpp v8, v7 quad_perm:[2,3,0,1] row_mask:0xf bank_mask:0xf
	s_and_saveexec_b64 s[8:9], s[2:3]
	s_cbranch_execz .LBB599_9
; %bb.8:
	v_cvt_f32_u32_e32 v9, s7
	v_add_f32_e32 v7, v7, v8
	v_mov_b32_e32 v20, s17
	v_mov_b32_e32 v21, s16
	v_div_scale_f32 v8, s[24:25], v9, v9, v7
	v_rcp_f32_e32 v19, v8
	v_cndmask_b32_e32 v20, v20, v21, vcc
	s_mov_b32 s7, 0x800000
	v_fma_f32 v21, -v8, v19, 1.0
	v_fmac_f32_e32 v19, v21, v19
	v_div_scale_f32 v21, vcc, v7, v9, v7
	v_mul_f32_e32 v22, v21, v19
	v_fma_f32 v23, -v8, v22, v21
	v_fmac_f32_e32 v22, v23, v19
	v_fma_f32 v8, -v8, v22, v21
	v_div_fmas_f32 v8, v8, v19, v22
	v_div_fixup_f32 v7, v8, v9, v7
	v_add_f32_e32 v7, v20, v7
	v_mul_f32_e32 v8, 0x4b800000, v7
	v_cmp_gt_f32_e32 vcc, s7, v7
	v_cndmask_b32_e32 v7, v7, v8, vcc
	v_rsq_f32_e32 v7, v7
	s_waitcnt vmcnt(0)
	v_cvt_f32_f16_sdwa v21, v3 dst_sel:DWORD dst_unused:UNUSED_PAD src0_sel:WORD_1
	v_cvt_f32_f16_e32 v20, v3
	v_cvt_f32_f16_sdwa v3, v4 dst_sel:DWORD dst_unused:UNUSED_PAD src0_sel:WORD_1
	v_mul_f32_e32 v8, 0x45800000, v7
	v_cndmask_b32_e32 v8, v7, v8, vcc
	v_mov_b32_e32 v9, v8
	;;#ASMSTART
	v_pk_mul_f32 v[10:11], v[10:11], v[8:9]
	;;#ASMEND
	;;#ASMSTART
	v_pk_mul_f32 v[16:17], v[16:17], v[8:9]
	;;#ASMEND
	;; [unrolled: 3-line block ×4, first 2 shown]
	v_cvt_f32_f16_sdwa v15, v2 dst_sel:DWORD dst_unused:UNUSED_PAD src0_sel:WORD_1
	v_cvt_f32_f16_e32 v14, v2
	v_cvt_f32_f16_e32 v2, v4
	v_cvt_f32_f16_sdwa v23, v5 dst_sel:DWORD dst_unused:UNUSED_PAD src0_sel:WORD_1
	v_cvt_f32_f16_e32 v22, v5
	;;#ASMSTART
	v_pk_mul_f32 v[10:11], v[10:11], v[14:15]
	;;#ASMEND
	;;#ASMSTART
	v_pk_mul_f32 v[16:17], v[16:17], v[20:21]
	;;#ASMEND
	;; [unrolled: 3-line block ×4, first 2 shown]
.LBB599_9:
	s_or_b64 exec, exec, s[8:9]
	s_load_dword s7, s[4:5], 0x80
	s_mov_b64 s[8:9], -1
	s_and_b64 vcc, exec, s[14:15]
	s_cbranch_vccnz .LBB599_13
; %bb.10:
	s_andn2_b64 vcc, exec, s[8:9]
	s_cbranch_vccz .LBB599_16
.LBB599_11:
	s_cmp_lt_i32 s20, 1
	s_cbranch_scc0 .LBB599_23
.LBB599_12:
	s_endpgm
.LBB599_13:
	s_and_saveexec_b64 s[14:15], s[2:3]
	s_cbranch_execz .LBB599_15
; %bb.14:
	s_waitcnt lgkmcnt(0)
	s_mul_hi_i32 s9, s7, s6
	s_mul_i32 s8, s7, s6
	s_waitcnt vmcnt(0)
	v_cvt_f16_f32_e32 v2, v10
	v_cvt_f16_f32_e32 v3, v16
	;; [unrolled: 1-line block ×8, first 2 shown]
	s_lshl_b64 s[8:9], s[8:9], 1
	s_add_u32 s8, s28, s8
	s_addc_u32 s9, s29, s9
	s_and_b32 s9, s9, 0xffff
	s_mov_b32 s11, 0x20000
	v_pack_b32_f16 v5, v5, v7
	v_pack_b32_f16 v4, v4, v8
	;; [unrolled: 1-line block ×4, first 2 shown]
	v_lshlrev_b32_e32 v7, 4, v0
	buffer_store_dwordx4 v[2:5], v7, s[8:11], 0 offen
	;;#ASMSTART
	s_nop 0
	;;#ASMEND
.LBB599_15:
	s_or_b64 exec, exec, s[14:15]
	s_cbranch_execnz .LBB599_11
.LBB599_16:
	s_waitcnt vmcnt(0)
	v_mov_b32_e32 v2, 0
	s_and_saveexec_b64 s[8:9], s[2:3]
	s_cbranch_execz .LBB599_18
; %bb.17:
	v_and_b32_e32 v2, 0x7fffffff, v10
	v_and_b32_e32 v3, 0x7fffffff, v11
	v_mov_b32_e32 v4, 0x2edbe6ff
	;;#ASMSTART
	v_max3_f32 v2, v4, v2, v3

	;;#ASMEND
	v_and_b32_e32 v3, 0x7fffffff, v16
	v_and_b32_e32 v4, 0x7fffffff, v17
	;;#ASMSTART
	v_max3_f32 v2, v2, v3, v4

	;;#ASMEND
	v_and_b32_e32 v3, 0x7fffffff, v12
	v_and_b32_e32 v4, 0x7fffffff, v13
	;; [unrolled: 6-line block ×3, first 2 shown]
	;;#ASMSTART
	v_max3_f32 v2, v2, v3, v4

	;;#ASMEND
.LBB599_18:
	s_or_b64 exec, exec, s[8:9]
	s_load_dwordx4 s[24:27], s[4:5], 0x70
	v_cmp_eq_u32_e32 vcc, 0, v6
	v_cmp_gt_i32_e64 s[8:9], s19, v1
	s_and_b64 s[10:11], vcc, s[8:9]
	;;#ASMSTART
	v_max_f32 v3, v2, v2 quad_perm:[1,0,3,2] row_mask:0xf bank_mask:0xf bound_ctrl:1
	;;#ASMEND
	;;#ASMSTART
	v_max_f32 v2, v3, v3 quad_perm:[2,3,0,1] row_mask:0xf bank_mask:0xf bound_ctrl:1
	;;#ASMEND
	s_and_saveexec_b64 s[8:9], s[10:11]
	s_cbranch_execz .LBB599_20
; %bb.19:
	s_load_dwordx2 s[10:11], s[4:5], 0x8
	v_mul_f32_e32 v2, 0x3e2aaaab, v2
	v_lshrrev_b32_e32 v3, 23, v2
	v_and_b32_e32 v4, 0x7f800000, v2
	v_and_b32_e32 v2, 0x7fffff, v2
	v_cmp_ne_u32_e32 vcc, 0, v2
	s_waitcnt lgkmcnt(0)
	s_mul_i32 s16, s25, s6
	s_mov_b32 s14, 0x7f800000
	v_addc_co_u32_e32 v2, vcc, 0, v3, vcc
	s_mul_hi_i32 s15, s25, s6
	s_add_u32 s10, s10, s16
	v_cmp_ne_u32_e32 vcc, s14, v4
	s_addc_u32 s11, s11, s15
	v_lshrrev_b32_e32 v5, 2, v0
	v_cndmask_b32_e32 v4, -1, v2, vcc
	v_pk_mov_b32 v[2:3], s[10:11], s[10:11] op_sel:[0,1]
	v_mad_i64_i32 v[2:3], s[10:11], s26, v5, v[2:3]
	global_store_byte v[2:3], v4, off
.LBB599_20:
	s_or_b64 exec, exec, s[8:9]
	s_and_saveexec_b64 s[8:9], s[2:3]
	s_cbranch_execz .LBB599_22
; %bb.21:
	s_load_dwordx2 s[2:3], s[4:5], 0x0
	s_waitcnt lgkmcnt(0)
	s_mul_i32 s11, s24, s6
	s_mul_hi_i32 s10, s24, s6
	v_lshlrev_b32_e32 v2, 2, v0
	s_mov_b32 s27, 0x20000
	s_add_u32 s24, s2, s11
	s_addc_u32 s2, s3, s10
	s_lshr_b32 s3, s19, 31
	s_add_i32 s3, s19, s3
	s_ashr_i32 s3, s3, 1
	s_add_i32 s3, s3, 3
	s_ashr_i32 s10, s3, 31
	s_lshr_b32 s10, s10, 30
	s_add_i32 s3, s3, s10
	s_and_b32 s26, s3, -4
	s_and_b32 s25, s2, 0xffff
	v_mov_b32_e32 v3, 0
	buffer_store_dword v3, v2, s[24:27], 0 offen
	;;#ASMSTART
	s_nop 0
	;;#ASMEND
.LBB599_22:
	s_or_b64 exec, exec, s[8:9]
	s_cmp_lt_i32 s20, 1
	s_cbranch_scc1 .LBB599_12
.LBB599_23:
	s_load_dword s2, s[4:5], 0x94
	s_waitcnt lgkmcnt(0)
	s_cmp_lg_u32 s2, 1
	s_cbranch_scc1 .LBB599_12
; %bb.24:
	s_lshl_b32 s2, s20, 1
	s_add_i32 s2, s2, 2
	v_cmp_gt_u32_e32 vcc, s20, v1
	s_and_b32 s14, s2, -4
	v_mov_b32_e32 v10, 0
	v_lshlrev_b32_e32 v1, 4, v0
	v_mov_b32_e32 v6, 0
	v_mov_b32_e32 v7, 0
	;; [unrolled: 1-line block ×4, first 2 shown]
	s_waitcnt vmcnt(0)
	v_mov_b32_e32 v2, 0
	v_mov_b32_e32 v3, 0
	;; [unrolled: 1-line block ×4, first 2 shown]
	s_barrier
	s_and_saveexec_b64 s[2:3], vcc
	s_cbranch_execz .LBB599_26
; %bb.25:
	s_mul_hi_i32 s5, s22, s6
	s_mul_i32 s4, s22, s6
	s_and_b32 s13, s13, 0xffff
	s_lshl_b64 s[4:5], s[4:5], 1
	s_add_u32 s8, s30, s4
	s_mov_b32 s15, 0x20000
	s_addc_u32 s4, s31, s5
	s_and_b32 s9, s4, 0xffff
	s_mov_b32 s10, s14
	s_mov_b32 s11, s15
	buffer_load_dwordx4 v[6:9], v1, s[8:11], 0 offen glc slc
	buffer_load_dwordx4 v[2:5], v1, s[12:15], 0 offen
.LBB599_26:
	s_or_b64 exec, exec, s[2:3]
	v_mov_b32_e32 v11, 0
	v_mov_b32_e32 v16, 0
	;; [unrolled: 1-line block ×7, first 2 shown]
	s_and_saveexec_b64 s[2:3], vcc
	s_cbranch_execz .LBB599_28
; %bb.27:
	s_waitcnt vmcnt(1)
	v_cvt_f32_f16_sdwa v11, v6 dst_sel:DWORD dst_unused:UNUSED_PAD src0_sel:WORD_1
	v_cvt_f32_f16_e32 v10, v6
	v_cvt_f32_f16_sdwa v17, v7 dst_sel:DWORD dst_unused:UNUSED_PAD src0_sel:WORD_1
	v_cvt_f32_f16_e32 v16, v7
	v_cvt_f32_f16_sdwa v15, v8 dst_sel:DWORD dst_unused:UNUSED_PAD src0_sel:WORD_1
	v_cvt_f32_f16_e32 v14, v8
	v_cvt_f32_f16_sdwa v13, v9 dst_sel:DWORD dst_unused:UNUSED_PAD src0_sel:WORD_1
	v_cvt_f32_f16_e32 v12, v9
.LBB599_28:
	s_or_b64 exec, exec, s[2:3]
	s_waitcnt vmcnt(1)
	v_mul_f32_e32 v6, v11, v11
	v_fmac_f32_e32 v6, v10, v10
	v_fmac_f32_e32 v6, v16, v16
	;; [unrolled: 1-line block ×7, first 2 shown]
	s_nop 1
	v_mov_b32_dpp v7, v6 quad_perm:[1,0,3,2] row_mask:0xf bank_mask:0xf
	v_add_f32_e32 v6, v6, v7
	s_nop 1
	v_mov_b32_dpp v7, v6 quad_perm:[2,3,0,1] row_mask:0xf bank_mask:0xf
	v_add_f32_e32 v6, v6, v7
	s_nop 1
	v_mov_b32_dpp v7, v6 row_half_mirror row_mask:0xf bank_mask:0xf
	v_add_f32_e32 v6, v6, v7
	s_nop 1
	v_mov_b32_dpp v7, v6 row_mirror row_mask:0xf bank_mask:0xf
	v_add_f32_e32 v6, v6, v7
	s_nop 1
	v_mov_b32_dpp v7, v6 row_bcast:15 row_mask:0xf bank_mask:0xf
	v_add_f32_e32 v6, v6, v7
	s_nop 1
	v_mov_b32_dpp v7, v6 row_bcast:31 row_mask:0xf bank_mask:0xf
	s_and_saveexec_b64 s[2:3], s[0:1]
	s_cbranch_execz .LBB599_30
; %bb.29:
	v_lshrrev_b32_e32 v0, 4, v0
	v_add_f32_e32 v6, v6, v7
	v_and_b32_e32 v0, 60, v0
	ds_write_b32 v0, v6
.LBB599_30:
	s_or_b64 exec, exec, s[2:3]
	s_waitcnt lgkmcnt(0)
	s_barrier
	ds_read_b32 v0, v18
	s_waitcnt lgkmcnt(0)
	s_nop 0
	v_mov_b32_dpp v6, v0 quad_perm:[1,0,3,2] row_mask:0xf bank_mask:0xf
	v_add_f32_e32 v0, v0, v6
	s_nop 1
	v_mov_b32_dpp v6, v0 quad_perm:[2,3,0,1] row_mask:0xf bank_mask:0xf
	s_and_saveexec_b64 s[0:1], vcc
	s_cbranch_execz .LBB599_12
; %bb.31:
	v_cvt_f32_u32_e32 v7, s20
	v_add_f32_e32 v0, v0, v6
	s_mov_b32 s15, 0x20000
	v_div_scale_f32 v6, s[0:1], v7, v7, v0
	v_rcp_f32_e32 v8, v6
	v_div_scale_f32 v9, vcc, v0, v7, v0
	s_mov_b32 s0, 0x800000
	v_fma_f32 v18, -v6, v8, 1.0
	v_fmac_f32_e32 v8, v18, v8
	v_mul_f32_e32 v18, v9, v8
	v_fma_f32 v19, -v6, v18, v9
	v_fmac_f32_e32 v18, v19, v8
	v_fma_f32 v6, -v6, v18, v9
	v_div_fmas_f32 v6, v6, v8, v18
	v_div_fixup_f32 v0, v6, v7, v0
	v_add_f32_e32 v0, s17, v0
	v_mul_f32_e32 v6, 0x4b800000, v0
	v_cmp_gt_f32_e32 vcc, s0, v0
	v_cndmask_b32_e32 v0, v0, v6, vcc
	v_rsq_f32_e32 v0, v0
	s_waitcnt vmcnt(0)
	v_cvt_f32_f16_sdwa v19, v5 dst_sel:DWORD dst_unused:UNUSED_PAD src0_sel:WORD_1
	v_cvt_f32_f16_e32 v18, v5
	s_mul_hi_i32 s1, s7, s6
	v_mul_f32_e32 v6, 0x45800000, v0
	v_cndmask_b32_e32 v6, v0, v6, vcc
	v_mov_b32_e32 v7, v6
	;;#ASMSTART
	v_pk_mul_f32 v[8:9], v[10:11], v[6:7]
	;;#ASMEND
	;;#ASMSTART
	v_pk_mul_f32 v[10:11], v[16:17], v[6:7]
	;;#ASMEND
	;; [unrolled: 3-line block ×4, first 2 shown]
	v_cvt_f32_f16_sdwa v13, v2 dst_sel:DWORD dst_unused:UNUSED_PAD src0_sel:WORD_1
	v_cvt_f32_f16_e32 v12, v2
	v_cvt_f32_f16_sdwa v17, v3 dst_sel:DWORD dst_unused:UNUSED_PAD src0_sel:WORD_1
	v_cvt_f32_f16_e32 v16, v3
	;; [unrolled: 2-line block ×3, first 2 shown]
	;;#ASMSTART
	v_pk_mul_f32 v[4:5], v[8:9], v[12:13]
	;;#ASMEND
	;;#ASMSTART
	v_pk_mul_f32 v[8:9], v[10:11], v[16:17]
	;;#ASMEND
	;; [unrolled: 3-line block ×4, first 2 shown]
	s_mul_i32 s0, s7, s6
	v_cvt_f16_f32_e32 v0, v4
	v_cvt_f16_f32_e32 v4, v5
	;; [unrolled: 1-line block ×8, first 2 shown]
	s_lshl_b64 s[0:1], s[0:1], 1
	s_add_u32 s12, s28, s0
	s_addc_u32 s0, s29, s1
	s_and_b32 s13, s0, 0xffff
	v_pack_b32_f16 v2, v0, v4
	v_pack_b32_f16 v3, v5, v8
	;; [unrolled: 1-line block ×4, first 2 shown]
	buffer_store_dwordx4 v[2:5], v1, s[12:15], 0 offen
	;;#ASMSTART
	s_nop 0
	;;#ASMEND
	s_endpgm
	.section	.rodata,"a",@progbits
	.p2align	6, 0x0
	.amdhsa_kernel _ZN5aiter35fused_qk_rmsnorm_group_quant_kernelIDF16_N4opus5fp4_tELi256ELi8ELi4ELb0ELb0ELb0ELb0ELb0ELb0EEEvPT0_PvPT_S7_S7_PKS6_S9_S9_S9_S9_ffiiiiiiiiiiiii
		.amdhsa_group_segment_fixed_size 32
		.amdhsa_private_segment_fixed_size 0
		.amdhsa_kernarg_size 400
		.amdhsa_user_sgpr_count 6
		.amdhsa_user_sgpr_private_segment_buffer 1
		.amdhsa_user_sgpr_dispatch_ptr 0
		.amdhsa_user_sgpr_queue_ptr 0
		.amdhsa_user_sgpr_kernarg_segment_ptr 1
		.amdhsa_user_sgpr_dispatch_id 0
		.amdhsa_user_sgpr_flat_scratch_init 0
		.amdhsa_user_sgpr_kernarg_preload_length 0
		.amdhsa_user_sgpr_kernarg_preload_offset 0
		.amdhsa_user_sgpr_private_segment_size 0
		.amdhsa_uses_dynamic_stack 0
		.amdhsa_system_sgpr_private_segment_wavefront_offset 0
		.amdhsa_system_sgpr_workgroup_id_x 1
		.amdhsa_system_sgpr_workgroup_id_y 1
		.amdhsa_system_sgpr_workgroup_id_z 0
		.amdhsa_system_sgpr_workgroup_info 0
		.amdhsa_system_vgpr_workitem_id 0
		.amdhsa_next_free_vgpr 24
		.amdhsa_next_free_sgpr 32
		.amdhsa_accum_offset 24
		.amdhsa_reserve_vcc 1
		.amdhsa_reserve_flat_scratch 0
		.amdhsa_float_round_mode_32 0
		.amdhsa_float_round_mode_16_64 0
		.amdhsa_float_denorm_mode_32 3
		.amdhsa_float_denorm_mode_16_64 3
		.amdhsa_dx10_clamp 1
		.amdhsa_ieee_mode 1
		.amdhsa_fp16_overflow 0
		.amdhsa_tg_split 0
		.amdhsa_exception_fp_ieee_invalid_op 0
		.amdhsa_exception_fp_denorm_src 0
		.amdhsa_exception_fp_ieee_div_zero 0
		.amdhsa_exception_fp_ieee_overflow 0
		.amdhsa_exception_fp_ieee_underflow 0
		.amdhsa_exception_fp_ieee_inexact 0
		.amdhsa_exception_int_div_zero 0
	.end_amdhsa_kernel
	.section	.text._ZN5aiter35fused_qk_rmsnorm_group_quant_kernelIDF16_N4opus5fp4_tELi256ELi8ELi4ELb0ELb0ELb0ELb0ELb0ELb0EEEvPT0_PvPT_S7_S7_PKS6_S9_S9_S9_S9_ffiiiiiiiiiiiii,"axG",@progbits,_ZN5aiter35fused_qk_rmsnorm_group_quant_kernelIDF16_N4opus5fp4_tELi256ELi8ELi4ELb0ELb0ELb0ELb0ELb0ELb0EEEvPT0_PvPT_S7_S7_PKS6_S9_S9_S9_S9_ffiiiiiiiiiiiii,comdat
.Lfunc_end599:
	.size	_ZN5aiter35fused_qk_rmsnorm_group_quant_kernelIDF16_N4opus5fp4_tELi256ELi8ELi4ELb0ELb0ELb0ELb0ELb0ELb0EEEvPT0_PvPT_S7_S7_PKS6_S9_S9_S9_S9_ffiiiiiiiiiiiii, .Lfunc_end599-_ZN5aiter35fused_qk_rmsnorm_group_quant_kernelIDF16_N4opus5fp4_tELi256ELi8ELi4ELb0ELb0ELb0ELb0ELb0ELb0EEEvPT0_PvPT_S7_S7_PKS6_S9_S9_S9_S9_ffiiiiiiiiiiiii
                                        ; -- End function
	.section	.AMDGPU.csdata,"",@progbits
; Kernel info:
; codeLenInByte = 2284
; NumSgprs: 36
; NumVgprs: 24
; NumAgprs: 0
; TotalNumVgprs: 24
; ScratchSize: 0
; MemoryBound: 0
; FloatMode: 240
; IeeeMode: 1
; LDSByteSize: 32 bytes/workgroup (compile time only)
; SGPRBlocks: 4
; VGPRBlocks: 2
; NumSGPRsForWavesPerEU: 36
; NumVGPRsForWavesPerEU: 24
; AccumOffset: 24
; Occupancy: 8
; WaveLimiterHint : 0
; COMPUTE_PGM_RSRC2:SCRATCH_EN: 0
; COMPUTE_PGM_RSRC2:USER_SGPR: 6
; COMPUTE_PGM_RSRC2:TRAP_HANDLER: 0
; COMPUTE_PGM_RSRC2:TGID_X_EN: 1
; COMPUTE_PGM_RSRC2:TGID_Y_EN: 1
; COMPUTE_PGM_RSRC2:TGID_Z_EN: 0
; COMPUTE_PGM_RSRC2:TIDIG_COMP_CNT: 0
; COMPUTE_PGM_RSRC3_GFX90A:ACCUM_OFFSET: 5
; COMPUTE_PGM_RSRC3_GFX90A:TG_SPLIT: 0
	.section	.text._ZN5aiter35fused_qk_rmsnorm_group_quant_kernelItN4opus5fp4_tELi256ELi8ELi4ELb0ELb0ELb0ELb0ELb0ELb0EEEvPT0_PvPT_S7_S7_PKS6_S9_S9_S9_S9_ffiiiiiiiiiiiii,"axG",@progbits,_ZN5aiter35fused_qk_rmsnorm_group_quant_kernelItN4opus5fp4_tELi256ELi8ELi4ELb0ELb0ELb0ELb0ELb0ELb0EEEvPT0_PvPT_S7_S7_PKS6_S9_S9_S9_S9_ffiiiiiiiiiiiii,comdat
	.protected	_ZN5aiter35fused_qk_rmsnorm_group_quant_kernelItN4opus5fp4_tELi256ELi8ELi4ELb0ELb0ELb0ELb0ELb0ELb0EEEvPT0_PvPT_S7_S7_PKS6_S9_S9_S9_S9_ffiiiiiiiiiiiii ; -- Begin function _ZN5aiter35fused_qk_rmsnorm_group_quant_kernelItN4opus5fp4_tELi256ELi8ELi4ELb0ELb0ELb0ELb0ELb0ELb0EEEvPT0_PvPT_S7_S7_PKS6_S9_S9_S9_S9_ffiiiiiiiiiiiii
	.globl	_ZN5aiter35fused_qk_rmsnorm_group_quant_kernelItN4opus5fp4_tELi256ELi8ELi4ELb0ELb0ELb0ELb0ELb0ELb0EEEvPT0_PvPT_S7_S7_PKS6_S9_S9_S9_S9_ffiiiiiiiiiiiii
	.p2align	8
	.type	_ZN5aiter35fused_qk_rmsnorm_group_quant_kernelItN4opus5fp4_tELi256ELi8ELi4ELb0ELb0ELb0ELb0ELb0ELb0EEEvPT0_PvPT_S7_S7_PKS6_S9_S9_S9_S9_ffiiiiiiiiiiiii,@function
_ZN5aiter35fused_qk_rmsnorm_group_quant_kernelItN4opus5fp4_tELi256ELi8ELi4ELb0ELb0ELb0ELb0ELb0ELb0EEEvPT0_PvPT_S7_S7_PKS6_S9_S9_S9_S9_ffiiiiiiiiiiiii: ; @_ZN5aiter35fused_qk_rmsnorm_group_quant_kernelItN4opus5fp4_tELi256ELi8ELi4ELb0ELb0ELb0ELb0ELb0ELb0EEEvPT0_PvPT_S7_S7_PKS6_S9_S9_S9_S9_ffiiiiiiiiiiiii
; %bb.0:
	s_load_dwordx4 s[16:19], s[4:5], 0x50
	s_waitcnt lgkmcnt(0)
	s_cmp_ge_i32 s6, s18
	s_cbranch_scc1 .LBB600_10
; %bb.1:
	s_load_dwordx2 s[12:13], s[4:5], 0x48
	s_load_dwordx2 s[30:31], s[4:5], 0x30
	s_load_dwordx4 s[20:23], s[4:5], 0x60
	s_cmp_lg_u32 s7, 0
	s_cselect_b64 s[14:15], -1, 0
	s_cmp_eq_u32 s7, 0
	s_cselect_b64 vcc, -1, 0
	s_and_b64 s[0:1], vcc, exec
	s_waitcnt lgkmcnt(0)
	s_cselect_b32 s7, s19, s20
	s_add_i32 s0, s7, 1
	s_lshr_b32 s1, s0, 31
	s_add_i32 s0, s0, s1
	s_lshl_b32 s0, s0, 1
	v_lshlrev_b32_e32 v1, 3, v0
	s_and_b32 s10, s0, -4
	v_cmp_gt_i32_e64 s[2:3], s7, v1
	v_mov_b32_e32 v2, 0
	v_mov_b32_e32 v3, 0
	;; [unrolled: 1-line block ×8, first 2 shown]
	s_and_saveexec_b64 s[0:1], s[2:3]
	s_cbranch_execz .LBB600_3
; %bb.2:
	s_load_dwordx2 s[8:9], s[4:5], 0x28
	s_load_dwordx2 s[26:27], s[4:5], 0x40
	s_and_b64 s[24:25], vcc, exec
	s_cselect_b32 s11, s21, s22
	v_lshlrev_b32_e32 v10, 4, v0
	s_waitcnt lgkmcnt(0)
	s_cselect_b32 s18, s9, s31
	s_cselect_b32 s21, s8, s30
	s_mul_hi_i32 s9, s11, s6
	s_mul_i32 s8, s11, s6
	s_lshl_b64 s[8:9], s[8:9], 1
	s_add_u32 s24, s21, s8
	s_addc_u32 s18, s18, s9
	s_and_b64 s[8:9], vcc, exec
	s_mov_b32 s11, 0x20000
	s_cselect_b32 s8, s26, s12
	s_cselect_b32 s9, s27, s13
	s_and_b32 s25, s18, 0xffff
	s_mov_b32 s26, s10
	s_mov_b32 s27, s11
	s_and_b32 s9, s9, 0xffff
	buffer_load_dwordx4 v[6:9], v10, s[24:27], 0 offen glc slc
	buffer_load_dwordx4 v[2:5], v10, s[8:11], 0 offen
.LBB600_3:
	s_or_b64 exec, exec, s[0:1]
	s_waitcnt vmcnt(1)
	v_cvt_f32_u32_sdwa v13, v6 dst_sel:DWORD dst_unused:UNUSED_PAD src0_sel:WORD_1
	v_cvt_f32_u32_sdwa v12, v6 dst_sel:DWORD dst_unused:UNUSED_PAD src0_sel:WORD_0
	v_cvt_f32_u32_sdwa v6, v9 dst_sel:DWORD dst_unused:UNUSED_PAD src0_sel:WORD_1
	v_cvt_f32_u32_sdwa v9, v9 dst_sel:DWORD dst_unused:UNUSED_PAD src0_sel:WORD_0
	;; [unrolled: 2-line block ×4, first 2 shown]
	v_cndmask_b32_e64 v13, 0, v13, s[2:3]
	v_cndmask_b32_e64 v7, 0, v6, s[2:3]
	;; [unrolled: 1-line block ×5, first 2 shown]
	v_mul_f32_e32 v14, v13, v13
	v_cndmask_b32_e64 v10, 0, v10, s[2:3]
	v_fmac_f32_e32 v14, v12, v12
	v_cndmask_b32_e64 v11, 0, v11, s[2:3]
	v_fmac_f32_e32 v14, v10, v10
	;; [unrolled: 2-line block ×3, first 2 shown]
	v_fmac_f32_e32 v14, v8, v8
	v_fmac_f32_e32 v14, v9, v9
	;; [unrolled: 1-line block ×4, first 2 shown]
	v_and_b32_e32 v16, 63, v0
	v_cmp_eq_u32_e64 s[0:1], 63, v16
	v_mov_b32_dpp v15, v14 quad_perm:[1,0,3,2] row_mask:0xf bank_mask:0xf
	v_add_f32_e32 v14, v14, v15
	s_nop 1
	v_mov_b32_dpp v15, v14 quad_perm:[2,3,0,1] row_mask:0xf bank_mask:0xf
	v_add_f32_e32 v14, v14, v15
	s_nop 1
	v_mov_b32_dpp v15, v14 row_half_mirror row_mask:0xf bank_mask:0xf
	v_add_f32_e32 v14, v14, v15
	s_nop 1
	v_mov_b32_dpp v15, v14 row_mirror row_mask:0xf bank_mask:0xf
	v_add_f32_e32 v14, v14, v15
	s_nop 1
	v_mov_b32_dpp v15, v14 row_bcast:15 row_mask:0xf bank_mask:0xf
	v_add_f32_e32 v14, v14, v15
	s_nop 1
	v_mov_b32_dpp v15, v14 row_bcast:31 row_mask:0xf bank_mask:0xf
	s_and_saveexec_b64 s[8:9], s[0:1]
	s_cbranch_execz .LBB600_5
; %bb.4:
	v_add_f32_e32 v14, v14, v15
	v_lshrrev_b32_e32 v15, 4, v0
	v_and_b32_e32 v15, 60, v15
	ds_write_b32 v15, v14 offset:16
.LBB600_5:
	s_or_b64 exec, exec, s[8:9]
	v_and_b32_e32 v15, 3, v0
	v_lshlrev_b32_e32 v14, 2, v15
	s_waitcnt lgkmcnt(0)
	s_barrier
	ds_read_b32 v16, v14 offset:16
	s_load_dwordx2 s[28:29], s[4:5], 0x18
	s_waitcnt lgkmcnt(0)
	v_mov_b32_dpp v17, v16 quad_perm:[1,0,3,2] row_mask:0xf bank_mask:0xf
	v_add_f32_e32 v16, v16, v17
	s_nop 1
	v_mov_b32_dpp v17, v16 quad_perm:[2,3,0,1] row_mask:0xf bank_mask:0xf
	s_and_saveexec_b64 s[8:9], s[2:3]
	s_cbranch_execz .LBB600_7
; %bb.6:
	v_cvt_f32_u32_e32 v18, s7
	v_add_f32_e32 v16, v16, v17
	v_mov_b32_e32 v20, s17
	v_mov_b32_e32 v21, s16
	v_div_scale_f32 v17, s[24:25], v18, v18, v16
	v_rcp_f32_e32 v19, v17
	v_cndmask_b32_e32 v20, v20, v21, vcc
	s_mov_b32 s7, 0x800000
	v_fma_f32 v21, -v17, v19, 1.0
	v_fmac_f32_e32 v19, v21, v19
	v_div_scale_f32 v21, vcc, v16, v18, v16
	v_mul_f32_e32 v22, v21, v19
	v_fma_f32 v23, -v17, v22, v21
	v_fmac_f32_e32 v22, v23, v19
	v_fma_f32 v17, -v17, v22, v21
	v_div_fmas_f32 v17, v17, v19, v22
	v_div_fixup_f32 v16, v17, v18, v16
	v_add_f32_e32 v16, v20, v16
	v_mul_f32_e32 v17, 0x4b800000, v16
	v_cmp_gt_f32_e32 vcc, s7, v16
	v_cndmask_b32_e32 v16, v16, v17, vcc
	v_rsq_f32_e32 v16, v16
	s_waitcnt vmcnt(0)
	v_cvt_f32_u32_sdwa v19, v3 dst_sel:DWORD dst_unused:UNUSED_PAD src0_sel:WORD_1
	v_cvt_f32_u32_sdwa v18, v3 dst_sel:DWORD dst_unused:UNUSED_PAD src0_sel:WORD_0
	v_cvt_f32_u32_sdwa v3, v4 dst_sel:DWORD dst_unused:UNUSED_PAD src0_sel:WORD_1
	v_mul_f32_e32 v17, 0x45800000, v16
	v_cndmask_b32_e32 v16, v16, v17, vcc
	v_mov_b32_e32 v17, v16
	;;#ASMSTART
	v_pk_mul_f32 v[12:13], v[12:13], v[16:17]
	;;#ASMEND
	;;#ASMSTART
	v_pk_mul_f32 v[10:11], v[10:11], v[16:17]
	;;#ASMEND
	;; [unrolled: 3-line block ×4, first 2 shown]
	v_cvt_f32_u32_sdwa v17, v2 dst_sel:DWORD dst_unused:UNUSED_PAD src0_sel:WORD_1
	v_cvt_f32_u32_sdwa v16, v2 dst_sel:DWORD dst_unused:UNUSED_PAD src0_sel:WORD_0
	v_cvt_f32_u32_sdwa v2, v4 dst_sel:DWORD dst_unused:UNUSED_PAD src0_sel:WORD_0
	v_cvt_f32_u32_sdwa v21, v5 dst_sel:DWORD dst_unused:UNUSED_PAD src0_sel:WORD_1
	v_cvt_f32_u32_sdwa v20, v5 dst_sel:DWORD dst_unused:UNUSED_PAD src0_sel:WORD_0
	;;#ASMSTART
	v_pk_mul_f32 v[12:13], v[12:13], v[16:17]
	;;#ASMEND
	;;#ASMSTART
	v_pk_mul_f32 v[10:11], v[10:11], v[18:19]
	;;#ASMEND
	;;#ASMSTART
	v_pk_mul_f32 v[8:9], v[8:9], v[2:3]
	;;#ASMEND
	;;#ASMSTART
	v_pk_mul_f32 v[6:7], v[6:7], v[20:21]
	;;#ASMEND
.LBB600_7:
	s_or_b64 exec, exec, s[8:9]
	s_load_dword s7, s[4:5], 0x80
	s_mov_b64 s[8:9], -1
	s_and_b64 vcc, exec, s[14:15]
	s_cbranch_vccnz .LBB600_11
; %bb.8:
	s_andn2_b64 vcc, exec, s[8:9]
	s_cbranch_vccz .LBB600_14
.LBB600_9:
	s_cmp_lt_i32 s20, 1
	s_cbranch_scc0 .LBB600_21
.LBB600_10:
	s_endpgm
.LBB600_11:
	s_and_saveexec_b64 s[14:15], s[2:3]
	s_cbranch_execz .LBB600_13
; %bb.12:
	s_waitcnt lgkmcnt(0)
	s_mul_hi_i32 s9, s7, s6
	s_mul_i32 s8, s7, s6
	s_lshl_b64 s[8:9], s[8:9], 1
	s_add_u32 s8, s28, s8
	s_addc_u32 s9, s29, s9
	s_mov_b32 s16, 0x7060302
	s_and_b32 s9, s9, 0xffff
	s_mov_b32 s11, 0x20000
	s_waitcnt vmcnt(0)
	v_perm_b32 v2, v13, v12, s16
	v_perm_b32 v3, v11, v10, s16
	;; [unrolled: 1-line block ×4, first 2 shown]
	v_lshlrev_b32_e32 v16, 4, v0
	buffer_store_dwordx4 v[2:5], v16, s[8:11], 0 offen
	;;#ASMSTART
	s_nop 0
	;;#ASMEND
.LBB600_13:
	s_or_b64 exec, exec, s[14:15]
	s_cbranch_execnz .LBB600_9
.LBB600_14:
	s_waitcnt vmcnt(0)
	v_mov_b32_e32 v2, 0
	s_and_saveexec_b64 s[8:9], s[2:3]
	s_cbranch_execz .LBB600_16
; %bb.15:
	v_and_b32_e32 v2, 0x7fffffff, v12
	v_and_b32_e32 v3, 0x7fffffff, v13
	v_mov_b32_e32 v4, 0x2edbe6ff
	;;#ASMSTART
	v_max3_f32 v2, v4, v2, v3

	;;#ASMEND
	v_and_b32_e32 v3, 0x7fffffff, v10
	v_and_b32_e32 v4, 0x7fffffff, v11
	;;#ASMSTART
	v_max3_f32 v2, v2, v3, v4

	;;#ASMEND
	v_and_b32_e32 v3, 0x7fffffff, v8
	v_and_b32_e32 v4, 0x7fffffff, v9
	;; [unrolled: 6-line block ×3, first 2 shown]
	;;#ASMSTART
	v_max3_f32 v2, v2, v3, v4

	;;#ASMEND
.LBB600_16:
	s_or_b64 exec, exec, s[8:9]
	s_load_dwordx4 s[24:27], s[4:5], 0x70
	v_cmp_eq_u32_e32 vcc, 0, v15
	v_cmp_gt_i32_e64 s[8:9], s19, v1
	s_and_b64 s[10:11], vcc, s[8:9]
	;;#ASMSTART
	v_max_f32 v3, v2, v2 quad_perm:[1,0,3,2] row_mask:0xf bank_mask:0xf bound_ctrl:1
	;;#ASMEND
	;;#ASMSTART
	v_max_f32 v2, v3, v3 quad_perm:[2,3,0,1] row_mask:0xf bank_mask:0xf bound_ctrl:1
	;;#ASMEND
	s_and_saveexec_b64 s[8:9], s[10:11]
	s_cbranch_execz .LBB600_18
; %bb.17:
	s_load_dwordx2 s[10:11], s[4:5], 0x8
	v_mul_f32_e32 v2, 0x3e2aaaab, v2
	v_lshrrev_b32_e32 v3, 23, v2
	v_and_b32_e32 v4, 0x7f800000, v2
	v_and_b32_e32 v2, 0x7fffff, v2
	v_cmp_ne_u32_e32 vcc, 0, v2
	s_waitcnt lgkmcnt(0)
	s_mul_i32 s16, s25, s6
	s_mov_b32 s14, 0x7f800000
	v_addc_co_u32_e32 v2, vcc, 0, v3, vcc
	s_mul_hi_i32 s15, s25, s6
	s_add_u32 s10, s10, s16
	v_cmp_ne_u32_e32 vcc, s14, v4
	s_addc_u32 s11, s11, s15
	v_lshrrev_b32_e32 v5, 2, v0
	v_cndmask_b32_e32 v4, -1, v2, vcc
	v_pk_mov_b32 v[2:3], s[10:11], s[10:11] op_sel:[0,1]
	v_mad_i64_i32 v[2:3], s[10:11], s26, v5, v[2:3]
	global_store_byte v[2:3], v4, off
.LBB600_18:
	s_or_b64 exec, exec, s[8:9]
	s_and_saveexec_b64 s[8:9], s[2:3]
	s_cbranch_execz .LBB600_20
; %bb.19:
	s_load_dwordx2 s[2:3], s[4:5], 0x0
	s_waitcnt lgkmcnt(0)
	s_mul_i32 s11, s24, s6
	s_mul_hi_i32 s10, s24, s6
	v_lshlrev_b32_e32 v2, 2, v0
	s_mov_b32 s27, 0x20000
	s_add_u32 s24, s2, s11
	s_addc_u32 s2, s3, s10
	s_lshr_b32 s3, s19, 31
	s_add_i32 s3, s19, s3
	s_ashr_i32 s3, s3, 1
	s_add_i32 s3, s3, 3
	s_ashr_i32 s10, s3, 31
	s_lshr_b32 s10, s10, 30
	s_add_i32 s3, s3, s10
	s_and_b32 s26, s3, -4
	s_and_b32 s25, s2, 0xffff
	v_mov_b32_e32 v3, 0
	buffer_store_dword v3, v2, s[24:27], 0 offen
	;;#ASMSTART
	s_nop 0
	;;#ASMEND
.LBB600_20:
	s_or_b64 exec, exec, s[8:9]
	s_cmp_lt_i32 s20, 1
	s_cbranch_scc1 .LBB600_10
.LBB600_21:
	s_load_dword s2, s[4:5], 0x94
	s_waitcnt lgkmcnt(0)
	s_cmp_lg_u32 s2, 1
	s_cbranch_scc1 .LBB600_10
; %bb.22:
	s_lshl_b32 s2, s20, 1
	s_add_i32 s2, s2, 2
	v_cmp_gt_u32_e32 vcc, s20, v1
	s_and_b32 s14, s2, -4
	v_mov_b32_e32 v6, 0
	v_lshlrev_b32_e32 v1, 4, v0
	v_mov_b32_e32 v7, 0
	v_mov_b32_e32 v8, 0
	;; [unrolled: 1-line block ×3, first 2 shown]
	s_waitcnt vmcnt(0)
	v_mov_b32_e32 v2, 0
	v_mov_b32_e32 v3, 0
	;; [unrolled: 1-line block ×4, first 2 shown]
	s_barrier
	s_and_saveexec_b64 s[2:3], vcc
	s_cbranch_execz .LBB600_24
; %bb.23:
	s_mul_hi_i32 s5, s22, s6
	s_mul_i32 s4, s22, s6
	s_and_b32 s13, s13, 0xffff
	s_lshl_b64 s[4:5], s[4:5], 1
	s_add_u32 s8, s30, s4
	s_mov_b32 s15, 0x20000
	s_addc_u32 s4, s31, s5
	s_and_b32 s9, s4, 0xffff
	s_mov_b32 s10, s14
	s_mov_b32 s11, s15
	buffer_load_dwordx4 v[6:9], v1, s[8:11], 0 offen glc slc
	buffer_load_dwordx4 v[2:5], v1, s[12:15], 0 offen
.LBB600_24:
	s_or_b64 exec, exec, s[2:3]
	s_waitcnt vmcnt(1)
	v_cvt_f32_u32_sdwa v13, v6 dst_sel:DWORD dst_unused:UNUSED_PAD src0_sel:WORD_1
	v_cvt_f32_u32_sdwa v12, v6 dst_sel:DWORD dst_unused:UNUSED_PAD src0_sel:WORD_0
	v_cvt_f32_u32_sdwa v6, v9 dst_sel:DWORD dst_unused:UNUSED_PAD src0_sel:WORD_1
	v_cvt_f32_u32_sdwa v9, v9 dst_sel:DWORD dst_unused:UNUSED_PAD src0_sel:WORD_0
	;; [unrolled: 2-line block ×4, first 2 shown]
	v_cndmask_b32_e32 v13, 0, v13, vcc
	v_cndmask_b32_e32 v7, 0, v6, vcc
	;; [unrolled: 1-line block ×5, first 2 shown]
	v_mul_f32_e32 v15, v13, v13
	v_cndmask_b32_e32 v10, 0, v10, vcc
	v_fmac_f32_e32 v15, v12, v12
	v_cndmask_b32_e32 v11, 0, v11, vcc
	v_fmac_f32_e32 v15, v10, v10
	;; [unrolled: 2-line block ×3, first 2 shown]
	v_fmac_f32_e32 v15, v8, v8
	v_fmac_f32_e32 v15, v9, v9
	v_fmac_f32_e32 v15, v6, v6
	v_fmac_f32_e32 v15, v7, v7
	s_nop 1
	v_mov_b32_dpp v16, v15 quad_perm:[1,0,3,2] row_mask:0xf bank_mask:0xf
	v_add_f32_e32 v15, v15, v16
	s_nop 1
	v_mov_b32_dpp v16, v15 quad_perm:[2,3,0,1] row_mask:0xf bank_mask:0xf
	v_add_f32_e32 v15, v15, v16
	s_nop 1
	v_mov_b32_dpp v16, v15 row_half_mirror row_mask:0xf bank_mask:0xf
	v_add_f32_e32 v15, v15, v16
	s_nop 1
	v_mov_b32_dpp v16, v15 row_mirror row_mask:0xf bank_mask:0xf
	v_add_f32_e32 v15, v15, v16
	s_nop 1
	v_mov_b32_dpp v16, v15 row_bcast:15 row_mask:0xf bank_mask:0xf
	v_add_f32_e32 v15, v15, v16
	s_nop 1
	v_mov_b32_dpp v16, v15 row_bcast:31 row_mask:0xf bank_mask:0xf
	s_and_saveexec_b64 s[2:3], s[0:1]
	s_cbranch_execz .LBB600_26
; %bb.25:
	v_lshrrev_b32_e32 v0, 4, v0
	v_add_f32_e32 v15, v15, v16
	v_and_b32_e32 v0, 60, v0
	ds_write_b32 v0, v15
.LBB600_26:
	s_or_b64 exec, exec, s[2:3]
	s_waitcnt lgkmcnt(0)
	s_barrier
	ds_read_b32 v0, v14
	s_waitcnt lgkmcnt(0)
	s_nop 0
	v_mov_b32_dpp v14, v0 quad_perm:[1,0,3,2] row_mask:0xf bank_mask:0xf
	v_add_f32_e32 v0, v0, v14
	s_nop 1
	v_mov_b32_dpp v14, v0 quad_perm:[2,3,0,1] row_mask:0xf bank_mask:0xf
	s_and_saveexec_b64 s[0:1], vcc
	s_cbranch_execz .LBB600_10
; %bb.27:
	v_cvt_f32_u32_e32 v15, s20
	v_add_f32_e32 v0, v0, v14
	s_mov_b32 s15, 0x20000
	v_div_scale_f32 v14, s[0:1], v15, v15, v0
	v_rcp_f32_e32 v16, v14
	v_div_scale_f32 v17, vcc, v0, v15, v0
	s_mov_b32 s0, 0x800000
	v_fma_f32 v18, -v14, v16, 1.0
	v_fmac_f32_e32 v16, v18, v16
	v_mul_f32_e32 v18, v17, v16
	v_fma_f32 v19, -v14, v18, v17
	v_fmac_f32_e32 v18, v19, v16
	v_fma_f32 v14, -v14, v18, v17
	v_div_fmas_f32 v14, v14, v16, v18
	v_div_fixup_f32 v0, v14, v15, v0
	v_add_f32_e32 v0, s17, v0
	v_mul_f32_e32 v14, 0x4b800000, v0
	v_cmp_gt_f32_e32 vcc, s0, v0
	v_cndmask_b32_e32 v0, v0, v14, vcc
	v_rsq_f32_e32 v0, v0
	s_mul_hi_i32 s1, s7, s6
	s_mul_i32 s0, s7, s6
	s_lshl_b64 s[0:1], s[0:1], 1
	v_mul_f32_e32 v14, 0x45800000, v0
	v_cndmask_b32_e32 v14, v0, v14, vcc
	s_add_u32 s12, s28, s0
	v_mov_b32_e32 v15, v14
	s_addc_u32 s0, s29, s1
	;;#ASMSTART
	v_pk_mul_f32 v[12:13], v[12:13], v[14:15]
	;;#ASMEND
	;;#ASMSTART
	v_pk_mul_f32 v[10:11], v[10:11], v[14:15]
	;;#ASMEND
	;; [unrolled: 3-line block ×4, first 2 shown]
	s_waitcnt vmcnt(0)
	v_cvt_f32_u32_sdwa v15, v2 dst_sel:DWORD dst_unused:UNUSED_PAD src0_sel:WORD_1
	v_cvt_f32_u32_sdwa v14, v2 dst_sel:DWORD dst_unused:UNUSED_PAD src0_sel:WORD_0
	v_cvt_f32_u32_sdwa v17, v3 dst_sel:DWORD dst_unused:UNUSED_PAD src0_sel:WORD_1
	v_cvt_f32_u32_sdwa v16, v3 dst_sel:DWORD dst_unused:UNUSED_PAD src0_sel:WORD_0
	;; [unrolled: 2-line block ×4, first 2 shown]
	;;#ASMSTART
	v_pk_mul_f32 v[4:5], v[12:13], v[14:15]
	;;#ASMEND
	s_and_b32 s13, s0, 0xffff
	s_mov_b32 s0, 0x7060302
	;;#ASMSTART
	v_pk_mul_f32 v[10:11], v[10:11], v[16:17]
	;;#ASMEND
	;;#ASMSTART
	v_pk_mul_f32 v[8:9], v[8:9], v[2:3]
	;;#ASMEND
	;; [unrolled: 3-line block ×3, first 2 shown]
	v_perm_b32 v2, v5, v4, s0
	v_perm_b32 v3, v11, v10, s0
	;; [unrolled: 1-line block ×4, first 2 shown]
	buffer_store_dwordx4 v[2:5], v1, s[12:15], 0 offen
	;;#ASMSTART
	s_nop 0
	;;#ASMEND
	s_endpgm
	.section	.rodata,"a",@progbits
	.p2align	6, 0x0
	.amdhsa_kernel _ZN5aiter35fused_qk_rmsnorm_group_quant_kernelItN4opus5fp4_tELi256ELi8ELi4ELb0ELb0ELb0ELb0ELb0ELb0EEEvPT0_PvPT_S7_S7_PKS6_S9_S9_S9_S9_ffiiiiiiiiiiiii
		.amdhsa_group_segment_fixed_size 32
		.amdhsa_private_segment_fixed_size 0
		.amdhsa_kernarg_size 400
		.amdhsa_user_sgpr_count 6
		.amdhsa_user_sgpr_private_segment_buffer 1
		.amdhsa_user_sgpr_dispatch_ptr 0
		.amdhsa_user_sgpr_queue_ptr 0
		.amdhsa_user_sgpr_kernarg_segment_ptr 1
		.amdhsa_user_sgpr_dispatch_id 0
		.amdhsa_user_sgpr_flat_scratch_init 0
		.amdhsa_user_sgpr_kernarg_preload_length 0
		.amdhsa_user_sgpr_kernarg_preload_offset 0
		.amdhsa_user_sgpr_private_segment_size 0
		.amdhsa_uses_dynamic_stack 0
		.amdhsa_system_sgpr_private_segment_wavefront_offset 0
		.amdhsa_system_sgpr_workgroup_id_x 1
		.amdhsa_system_sgpr_workgroup_id_y 1
		.amdhsa_system_sgpr_workgroup_id_z 0
		.amdhsa_system_sgpr_workgroup_info 0
		.amdhsa_system_vgpr_workitem_id 0
		.amdhsa_next_free_vgpr 24
		.amdhsa_next_free_sgpr 32
		.amdhsa_accum_offset 24
		.amdhsa_reserve_vcc 1
		.amdhsa_reserve_flat_scratch 0
		.amdhsa_float_round_mode_32 0
		.amdhsa_float_round_mode_16_64 0
		.amdhsa_float_denorm_mode_32 3
		.amdhsa_float_denorm_mode_16_64 3
		.amdhsa_dx10_clamp 1
		.amdhsa_ieee_mode 1
		.amdhsa_fp16_overflow 0
		.amdhsa_tg_split 0
		.amdhsa_exception_fp_ieee_invalid_op 0
		.amdhsa_exception_fp_denorm_src 0
		.amdhsa_exception_fp_ieee_div_zero 0
		.amdhsa_exception_fp_ieee_overflow 0
		.amdhsa_exception_fp_ieee_underflow 0
		.amdhsa_exception_fp_ieee_inexact 0
		.amdhsa_exception_int_div_zero 0
	.end_amdhsa_kernel
	.section	.text._ZN5aiter35fused_qk_rmsnorm_group_quant_kernelItN4opus5fp4_tELi256ELi8ELi4ELb0ELb0ELb0ELb0ELb0ELb0EEEvPT0_PvPT_S7_S7_PKS6_S9_S9_S9_S9_ffiiiiiiiiiiiii,"axG",@progbits,_ZN5aiter35fused_qk_rmsnorm_group_quant_kernelItN4opus5fp4_tELi256ELi8ELi4ELb0ELb0ELb0ELb0ELb0ELb0EEEvPT0_PvPT_S7_S7_PKS6_S9_S9_S9_S9_ffiiiiiiiiiiiii,comdat
.Lfunc_end600:
	.size	_ZN5aiter35fused_qk_rmsnorm_group_quant_kernelItN4opus5fp4_tELi256ELi8ELi4ELb0ELb0ELb0ELb0ELb0ELb0EEEvPT0_PvPT_S7_S7_PKS6_S9_S9_S9_S9_ffiiiiiiiiiiiii, .Lfunc_end600-_ZN5aiter35fused_qk_rmsnorm_group_quant_kernelItN4opus5fp4_tELi256ELi8ELi4ELb0ELb0ELb0ELb0ELb0ELb0EEEvPT0_PvPT_S7_S7_PKS6_S9_S9_S9_S9_ffiiiiiiiiiiiii
                                        ; -- End function
	.section	.AMDGPU.csdata,"",@progbits
; Kernel info:
; codeLenInByte = 2300
; NumSgprs: 36
; NumVgprs: 24
; NumAgprs: 0
; TotalNumVgprs: 24
; ScratchSize: 0
; MemoryBound: 0
; FloatMode: 240
; IeeeMode: 1
; LDSByteSize: 32 bytes/workgroup (compile time only)
; SGPRBlocks: 4
; VGPRBlocks: 2
; NumSGPRsForWavesPerEU: 36
; NumVGPRsForWavesPerEU: 24
; AccumOffset: 24
; Occupancy: 8
; WaveLimiterHint : 0
; COMPUTE_PGM_RSRC2:SCRATCH_EN: 0
; COMPUTE_PGM_RSRC2:USER_SGPR: 6
; COMPUTE_PGM_RSRC2:TRAP_HANDLER: 0
; COMPUTE_PGM_RSRC2:TGID_X_EN: 1
; COMPUTE_PGM_RSRC2:TGID_Y_EN: 1
; COMPUTE_PGM_RSRC2:TGID_Z_EN: 0
; COMPUTE_PGM_RSRC2:TIDIG_COMP_CNT: 0
; COMPUTE_PGM_RSRC3_GFX90A:ACCUM_OFFSET: 5
; COMPUTE_PGM_RSRC3_GFX90A:TG_SPLIT: 0
	.section	.text._ZN5aiter35fused_qk_rmsnorm_group_quant_kernelIDF16_DB8_Li128ELi16ELi8ELb1ELb1ELb1ELb1ELb0ELb0EEEvPT0_PvPT_S6_S6_PKS5_S8_S8_S8_S8_ffiiiiiiiiiiiii,"axG",@progbits,_ZN5aiter35fused_qk_rmsnorm_group_quant_kernelIDF16_DB8_Li128ELi16ELi8ELb1ELb1ELb1ELb1ELb0ELb0EEEvPT0_PvPT_S6_S6_PKS5_S8_S8_S8_S8_ffiiiiiiiiiiiii,comdat
	.protected	_ZN5aiter35fused_qk_rmsnorm_group_quant_kernelIDF16_DB8_Li128ELi16ELi8ELb1ELb1ELb1ELb1ELb0ELb0EEEvPT0_PvPT_S6_S6_PKS5_S8_S8_S8_S8_ffiiiiiiiiiiiii ; -- Begin function _ZN5aiter35fused_qk_rmsnorm_group_quant_kernelIDF16_DB8_Li128ELi16ELi8ELb1ELb1ELb1ELb1ELb0ELb0EEEvPT0_PvPT_S6_S6_PKS5_S8_S8_S8_S8_ffiiiiiiiiiiiii
	.globl	_ZN5aiter35fused_qk_rmsnorm_group_quant_kernelIDF16_DB8_Li128ELi16ELi8ELb1ELb1ELb1ELb1ELb0ELb0EEEvPT0_PvPT_S6_S6_PKS5_S8_S8_S8_S8_ffiiiiiiiiiiiii
	.p2align	8
	.type	_ZN5aiter35fused_qk_rmsnorm_group_quant_kernelIDF16_DB8_Li128ELi16ELi8ELb1ELb1ELb1ELb1ELb0ELb0EEEvPT0_PvPT_S6_S6_PKS5_S8_S8_S8_S8_ffiiiiiiiiiiiii,@function
_ZN5aiter35fused_qk_rmsnorm_group_quant_kernelIDF16_DB8_Li128ELi16ELi8ELb1ELb1ELb1ELb1ELb0ELb0EEEvPT0_PvPT_S6_S6_PKS5_S8_S8_S8_S8_ffiiiiiiiiiiiii: ; @_ZN5aiter35fused_qk_rmsnorm_group_quant_kernelIDF16_DB8_Li128ELi16ELi8ELb1ELb1ELb1ELb1ELb0ELb0EEEvPT0_PvPT_S6_S6_PKS5_S8_S8_S8_S8_ffiiiiiiiiiiiii
; %bb.0:
	s_load_dwordx8 s[12:19], s[4:5], 0x50
	s_waitcnt lgkmcnt(0)
	s_cmp_ge_i32 s6, s14
	s_cbranch_scc1 .LBB601_17
; %bb.1:
	s_cmp_lg_u32 s7, 0
	s_cselect_b64 s[22:23], -1, 0
	s_cmp_eq_u32 s7, 0
	s_cselect_b64 s[2:3], -1, 0
	s_and_b64 s[0:1], s[2:3], exec
	s_cselect_b32 s7, s15, s16
	s_load_dwordx2 s[10:11], s[4:5], 0x30
	s_load_dwordx2 s[20:21], s[4:5], 0x48
	s_add_i32 s0, s7, 1
	s_lshr_b32 s1, s0, 31
	s_add_i32 s0, s0, s1
	s_lshl_b32 s0, s0, 1
	v_lshlrev_b32_e32 v1, 4, v0
	s_and_b32 s30, s0, -4
	v_cmp_gt_i32_e64 s[0:1], s7, v1
	v_mov_b32_e32 v6, 0
	v_mov_b32_e32 v7, 0
	v_mov_b32_e32 v8, 0
	v_mov_b32_e32 v9, 0
	v_mov_b32_e32 v2, 0
	v_mov_b32_e32 v3, 0
	v_mov_b32_e32 v4, 0
	v_mov_b32_e32 v5, 0
	v_mov_b32_e32 v10, 0
	v_mov_b32_e32 v11, 0
	v_mov_b32_e32 v12, 0
	v_mov_b32_e32 v13, 0
	v_mov_b32_e32 v14, 0
	v_mov_b32_e32 v15, 0
	v_mov_b32_e32 v16, 0
	v_mov_b32_e32 v17, 0
	s_and_saveexec_b64 s[8:9], s[0:1]
	s_cbranch_execz .LBB601_3
; %bb.2:
	s_load_dwordx2 s[14:15], s[4:5], 0x28
	s_load_dwordx2 s[26:27], s[4:5], 0x40
	s_and_b64 s[24:25], s[2:3], exec
	s_cselect_b32 s17, s17, s18
	s_mov_b32 s31, 0x20000
	s_waitcnt lgkmcnt(0)
	s_cselect_b32 s25, s15, s11
	s_cselect_b32 s24, s14, s10
	s_mul_hi_i32 s15, s17, s6
	s_mul_i32 s14, s17, s6
	s_lshl_b64 s[14:15], s[14:15], 1
	s_add_u32 s24, s24, s14
	s_addc_u32 s17, s25, s15
	s_and_b64 s[14:15], s[2:3], exec
	s_cselect_b32 s28, s26, s20
	s_cselect_b32 s14, s27, s21
	s_and_b32 s25, s17, 0xffff
	s_mov_b32 s26, s30
	s_mov_b32 s27, s31
	v_lshlrev_b32_e32 v18, 5, v0
	s_and_b32 s29, s14, 0xffff
	buffer_load_dwordx4 v[10:13], v18, s[24:27], 0 offen
	buffer_load_dwordx4 v[14:17], v18, s[24:27], 16 offen
	;; [unrolled: 1-line block ×4, first 2 shown]
.LBB601_3:
	s_or_b64 exec, exec, s[8:9]
	s_load_dwordx4 s[24:27], s[4:5], 0x7c
	s_and_b64 vcc, exec, s[22:23]
	s_cbranch_vccz .LBB601_7
; %bb.4:
	v_mov_b32_e32 v19, 0
	v_mov_b32_e32 v18, 0
	;; [unrolled: 1-line block ×16, first 2 shown]
	s_and_saveexec_b64 s[8:9], s[0:1]
	s_cbranch_execz .LBB601_6
; %bb.5:
	s_waitcnt vmcnt(3)
	v_cvt_f32_f16_sdwa v27, v10 dst_sel:DWORD dst_unused:UNUSED_PAD src0_sel:WORD_1
	v_cvt_f32_f16_e32 v26, v10
	v_cvt_f32_f16_sdwa v31, v11 dst_sel:DWORD dst_unused:UNUSED_PAD src0_sel:WORD_1
	v_cvt_f32_f16_e32 v30, v11
	;; [unrolled: 2-line block ×4, first 2 shown]
	s_waitcnt vmcnt(2)
	v_cvt_f32_f16_sdwa v21, v14 dst_sel:DWORD dst_unused:UNUSED_PAD src0_sel:WORD_1
	v_cvt_f32_f16_e32 v20, v14
	v_cvt_f32_f16_sdwa v25, v15 dst_sel:DWORD dst_unused:UNUSED_PAD src0_sel:WORD_1
	v_cvt_f32_f16_e32 v24, v15
	;; [unrolled: 2-line block ×4, first 2 shown]
.LBB601_6:
	s_or_b64 exec, exec, s[8:9]
	s_cbranch_execz .LBB601_8
	s_branch .LBB601_11
.LBB601_7:
                                        ; implicit-def: $vgpr19
                                        ; implicit-def: $vgpr23
                                        ; implicit-def: $vgpr25
                                        ; implicit-def: $vgpr21
                                        ; implicit-def: $vgpr33
                                        ; implicit-def: $vgpr29
                                        ; implicit-def: $vgpr31
                                        ; implicit-def: $vgpr27
.LBB601_8:
	v_mov_b32_e32 v19, 0
	v_mov_b32_e32 v18, 0
	;; [unrolled: 1-line block ×16, first 2 shown]
	s_and_saveexec_b64 s[8:9], s[0:1]
	s_cbranch_execz .LBB601_10
; %bb.9:
	s_load_dwordx2 s[14:15], s[4:5], 0x38
	s_mul_hi_i32 s29, s19, s6
	s_mul_i32 s28, s19, s6
	s_lshl_b64 s[28:29], s[28:29], 1
	s_mov_b32 s31, 0x20000
	s_waitcnt lgkmcnt(0)
	s_add_u32 s28, s14, s28
	s_addc_u32 s14, s15, s29
	s_and_b32 s29, s14, 0xffff
	v_lshlrev_b32_e32 v48, 5, v0
	buffer_load_dwordx4 v[18:21], v48, s[28:31], 16 offen
	buffer_load_dwordx4 v[22:25], v48, s[28:31], 0 offen
	s_waitcnt vmcnt(4)
	v_cvt_f32_f16_sdwa v27, v14 dst_sel:DWORD dst_unused:UNUSED_PAD src0_sel:WORD_1
	v_cvt_f32_f16_e32 v26, v14
	v_cvt_f32_f16_sdwa v29, v15 dst_sel:DWORD dst_unused:UNUSED_PAD src0_sel:WORD_1
	v_cvt_f32_f16_e32 v28, v15
	;; [unrolled: 2-line block ×8, first 2 shown]
	s_load_dwordx2 s[14:15], s[4:5], 0x20
	s_mul_hi_i32 s27, s26, s6
	s_mul_i32 s26, s26, s6
	s_lshl_b64 s[26:27], s[26:27], 1
	s_waitcnt lgkmcnt(0)
	s_add_u32 s28, s14, s26
	s_addc_u32 s14, s15, s27
	s_and_b32 s29, s14, 0xffff
	s_waitcnt vmcnt(1)
	v_cvt_f32_f16_e32 v12, v18
	v_cvt_f32_f16_sdwa v13, v18 dst_sel:DWORD dst_unused:UNUSED_PAD src0_sel:WORD_1
	v_cvt_f32_f16_e32 v18, v19
	v_cvt_f32_f16_sdwa v19, v19 dst_sel:DWORD dst_unused:UNUSED_PAD src0_sel:WORD_1
	;; [unrolled: 2-line block ×4, first 2 shown]
	s_waitcnt vmcnt(0)
	v_cvt_f32_f16_e32 v40, v22
	v_cvt_f32_f16_sdwa v41, v22 dst_sel:DWORD dst_unused:UNUSED_PAD src0_sel:WORD_1
	v_cvt_f32_f16_e32 v42, v23
	v_cvt_f32_f16_sdwa v43, v23 dst_sel:DWORD dst_unused:UNUSED_PAD src0_sel:WORD_1
	;; [unrolled: 2-line block ×4, first 2 shown]
	v_pk_add_f32 v[20:21], v[26:27], v[12:13]
	v_pk_add_f32 v[24:25], v[28:29], v[18:19]
	;; [unrolled: 1-line block ×8, first 2 shown]
	v_cvt_f16_f32_e32 v10, v27
	v_cvt_f16_f32_e32 v14, v26
	v_cvt_f16_f32_e32 v11, v31
	v_cvt_f16_f32_e32 v15, v30
	v_cvt_f16_f32_e32 v12, v29
	v_cvt_f16_f32_e32 v16, v28
	v_cvt_f16_f32_e32 v13, v33
	v_cvt_f16_f32_e32 v17, v32
	v_cvt_f16_f32_e32 v34, v20
	v_cvt_f16_f32_e32 v35, v21
	v_cvt_f16_f32_e32 v36, v24
	v_cvt_f16_f32_e32 v37, v25
	v_cvt_f16_f32_e32 v38, v22
	v_cvt_f16_f32_e32 v39, v23
	v_cvt_f16_f32_e32 v40, v18
	v_cvt_f16_f32_e32 v41, v19
	v_pack_b32_f16 v13, v17, v13
	v_pack_b32_f16 v12, v16, v12
	;; [unrolled: 1-line block ×8, first 2 shown]
	buffer_store_dwordx4 v[10:13], v48, s[28:31], 0 offen
	;;#ASMSTART
	s_nop 0
	;;#ASMEND
	buffer_store_dwordx4 v[14:17], v48, s[28:31], 16 offen
	;;#ASMSTART
	s_nop 0
	;;#ASMEND
.LBB601_10:
	s_or_b64 exec, exec, s[8:9]
.LBB601_11:
	s_waitcnt vmcnt(3)
	v_mul_f32_e32 v10, v27, v27
	v_fmac_f32_e32 v10, v26, v26
	v_fmac_f32_e32 v10, v30, v30
	;; [unrolled: 1-line block ×15, first 2 shown]
	v_and_b32_e32 v12, 63, v0
	v_cmp_eq_u32_e64 s[8:9], 63, v12
	v_mov_b32_dpp v11, v10 quad_perm:[1,0,3,2] row_mask:0xf bank_mask:0xf
	v_add_f32_e32 v10, v10, v11
	s_nop 1
	v_mov_b32_dpp v11, v10 quad_perm:[2,3,0,1] row_mask:0xf bank_mask:0xf
	v_add_f32_e32 v10, v10, v11
	s_nop 1
	v_mov_b32_dpp v11, v10 row_half_mirror row_mask:0xf bank_mask:0xf
	v_add_f32_e32 v10, v10, v11
	s_nop 1
	v_mov_b32_dpp v11, v10 row_mirror row_mask:0xf bank_mask:0xf
	v_add_f32_e32 v10, v10, v11
	s_nop 1
	v_mov_b32_dpp v11, v10 row_bcast:15 row_mask:0xf bank_mask:0xf
	v_add_f32_e32 v10, v10, v11
	s_nop 1
	v_mov_b32_dpp v11, v10 row_bcast:31 row_mask:0xf bank_mask:0xf
	s_and_saveexec_b64 s[14:15], s[8:9]
	s_cbranch_execz .LBB601_13
; %bb.12:
	v_add_f32_e32 v10, v10, v11
	v_lshrrev_b32_e32 v11, 4, v0
	v_and_b32_e32 v11, 60, v11
	ds_write_b32 v11, v10 offset:8
.LBB601_13:
	s_or_b64 exec, exec, s[14:15]
	v_and_b32_e32 v10, 1, v0
	v_lshlrev_b32_e32 v34, 2, v10
	s_waitcnt lgkmcnt(0)
	s_barrier
	ds_read_b32 v10, v34 offset:8
	s_load_dwordx2 s[14:15], s[4:5], 0x18
	s_waitcnt lgkmcnt(0)
	v_mov_b32_dpp v11, v10 quad_perm:[1,0,3,2] row_mask:0xf bank_mask:0xf
	s_and_saveexec_b64 s[26:27], s[0:1]
	s_cbranch_execnz .LBB601_18
; %bb.14:
	s_or_b64 exec, exec, s[26:27]
	s_mov_b64 s[2:3], -1
	s_and_b64 vcc, exec, s[22:23]
	s_cbranch_vccnz .LBB601_19
.LBB601_15:
	s_andn2_b64 vcc, exec, s[2:3]
	s_cbranch_vccz .LBB601_22
.LBB601_16:
	s_cmp_lt_i32 s16, 1
	s_cbranch_scc0 .LBB601_25
.LBB601_17:
	s_endpgm
.LBB601_18:
	v_cvt_f32_u32_e32 v12, s7
	v_add_f32_e32 v10, v10, v11
	s_waitcnt vmcnt(2)
	v_mov_b32_e32 v14, s13
	v_mov_b32_e32 v15, s12
	v_div_scale_f32 v11, s[28:29], v12, v12, v10
	v_rcp_f32_e32 v13, v11
	v_cndmask_b32_e64 v14, v14, v15, s[2:3]
	s_mov_b32 s2, 0x800000
	v_fma_f32 v15, -v11, v13, 1.0
	v_fmac_f32_e32 v13, v15, v13
	v_div_scale_f32 v15, vcc, v10, v12, v10
	v_mul_f32_e32 v16, v15, v13
	v_fma_f32 v17, -v11, v16, v15
	v_fmac_f32_e32 v16, v17, v13
	v_fma_f32 v11, -v11, v16, v15
	v_div_fmas_f32 v11, v11, v13, v16
	v_div_fixup_f32 v10, v11, v12, v10
	v_add_f32_e32 v10, v14, v10
	v_mul_f32_e32 v11, 0x4b800000, v10
	v_cmp_gt_f32_e32 vcc, s2, v10
	v_cndmask_b32_e32 v10, v10, v11, vcc
	v_rsq_f32_e32 v10, v10
	v_mul_f32_e32 v11, 0x45800000, v10
	v_cndmask_b32_e32 v10, v10, v11, vcc
	v_mov_b32_e32 v11, v10
	;;#ASMSTART
	v_pk_mul_f32 v[12:13], v[26:27], v[10:11]
	;;#ASMEND
	s_waitcnt vmcnt(1)
	v_cvt_f32_f16_sdwa v27, v6 dst_sel:DWORD dst_unused:UNUSED_PAD src0_sel:WORD_1
	v_cvt_f32_f16_e32 v26, v6
	;;#ASMSTART
	v_pk_mul_f32 v[14:15], v[30:31], v[10:11]
	;;#ASMEND
	;;#ASMSTART
	v_pk_mul_f32 v[16:17], v[28:29], v[10:11]
	;;#ASMEND
	v_cvt_f32_f16_sdwa v29, v7 dst_sel:DWORD dst_unused:UNUSED_PAD src0_sel:WORD_1
	v_cvt_f32_f16_e32 v28, v7
	;;#ASMSTART
	v_pk_mul_f32 v[32:33], v[32:33], v[10:11]
	;;#ASMEND
	;;#ASMSTART
	v_pk_mul_f32 v[20:21], v[20:21], v[10:11]
	;;#ASMEND
	;; [unrolled: 3-line block ×5, first 2 shown]
	v_pk_add_f32 v[10:11], v[26:27], 1.0 op_sel_hi:[1,0]
	;;#ASMSTART
	v_pk_mul_f32 v[26:27], v[12:13], v[10:11]
	;;#ASMEND
	v_cvt_f32_f16_sdwa v13, v8 dst_sel:DWORD dst_unused:UNUSED_PAD src0_sel:WORD_1
	v_cvt_f32_f16_e32 v12, v8
	v_cvt_f32_f16_sdwa v19, v9 dst_sel:DWORD dst_unused:UNUSED_PAD src0_sel:WORD_1
	v_cvt_f32_f16_e32 v18, v9
	v_pk_add_f32 v[10:11], v[28:29], 1.0 op_sel_hi:[1,0]
	;;#ASMSTART
	v_pk_mul_f32 v[30:31], v[14:15], v[10:11]
	;;#ASMEND
	s_waitcnt vmcnt(0)
	v_cvt_f32_f16_sdwa v11, v2 dst_sel:DWORD dst_unused:UNUSED_PAD src0_sel:WORD_1
	v_cvt_f32_f16_e32 v10, v2
	v_pk_add_f32 v[8:9], v[12:13], 1.0 op_sel_hi:[1,0]
	;;#ASMSTART
	v_pk_mul_f32 v[28:29], v[16:17], v[8:9]
	;;#ASMEND
	v_pk_add_f32 v[8:9], v[18:19], 1.0 op_sel_hi:[1,0]
	v_cvt_f32_f16_sdwa v13, v3 dst_sel:DWORD dst_unused:UNUSED_PAD src0_sel:WORD_1
	v_cvt_f32_f16_e32 v12, v3
	;;#ASMSTART
	v_pk_mul_f32 v[32:33], v[32:33], v[8:9]
	;;#ASMEND
	v_cvt_f32_f16_sdwa v9, v4 dst_sel:DWORD dst_unused:UNUSED_PAD src0_sel:WORD_1
	v_cvt_f32_f16_e32 v8, v4
	v_pk_add_f32 v[2:3], v[10:11], 1.0 op_sel_hi:[1,0]
	v_cvt_f32_f16_sdwa v11, v5 dst_sel:DWORD dst_unused:UNUSED_PAD src0_sel:WORD_1
	v_cvt_f32_f16_e32 v10, v5
	;;#ASMSTART
	v_pk_mul_f32 v[20:21], v[20:21], v[2:3]
	;;#ASMEND
	v_pk_add_f32 v[2:3], v[12:13], 1.0 op_sel_hi:[1,0]
	;;#ASMSTART
	v_pk_mul_f32 v[24:25], v[24:25], v[2:3]
	;;#ASMEND
	v_pk_add_f32 v[2:3], v[8:9], 1.0 op_sel_hi:[1,0]
	;; [unrolled: 4-line block ×3, first 2 shown]
	;;#ASMSTART
	v_pk_mul_f32 v[18:19], v[6:7], v[2:3]
	;;#ASMEND
	s_or_b64 exec, exec, s[26:27]
	s_mov_b64 s[2:3], -1
	s_and_b64 vcc, exec, s[22:23]
	s_cbranch_vccz .LBB601_15
.LBB601_19:
	s_and_saveexec_b64 s[2:3], s[0:1]
	s_cbranch_execz .LBB601_21
; %bb.20:
	s_mul_hi_i32 s23, s25, s6
	s_mul_i32 s22, s25, s6
	s_waitcnt vmcnt(0)
	v_cvt_f16_f32_e32 v2, v26
	v_cvt_f16_f32_e32 v3, v30
	;; [unrolled: 1-line block ×8, first 2 shown]
	s_lshl_b64 s[22:23], s[22:23], 1
	s_add_u32 s28, s14, s22
	s_addc_u32 s7, s15, s23
	s_and_b32 s29, s7, 0xffff
	s_mov_b32 s31, 0x20000
	v_pack_b32_f16 v5, v5, v6
	v_pack_b32_f16 v4, v4, v7
	;; [unrolled: 1-line block ×4, first 2 shown]
	v_lshlrev_b32_e32 v6, 5, v0
	buffer_store_dwordx4 v[2:5], v6, s[28:31], 0 offen
	v_cvt_f16_f32_e32 v7, v19
	v_cvt_f16_f32_e32 v2, v20
	;; [unrolled: 1-line block ×8, first 2 shown]
	v_pack_b32_f16 v5, v5, v7
	v_pack_b32_f16 v4, v4, v8
	;; [unrolled: 1-line block ×4, first 2 shown]
	;;#ASMSTART
	s_nop 0
	;;#ASMEND
	buffer_store_dwordx4 v[2:5], v6, s[28:31], 16 offen
	;;#ASMSTART
	s_nop 0
	;;#ASMEND
.LBB601_21:
	s_or_b64 exec, exec, s[2:3]
	s_cbranch_execnz .LBB601_16
.LBB601_22:
	s_and_saveexec_b64 s[2:3], s[0:1]
	s_cbranch_execz .LBB601_24
; %bb.23:
	s_load_dwordx2 s[0:1], s[4:5], 0x10
	s_mul_hi_i32 s23, s24, s6
	s_mul_i32 s22, s24, s6
	s_waitcnt vmcnt(0)
	v_cvt_f16_f32_e32 v2, v26
	v_cvt_f16_f32_e32 v3, v30
	;; [unrolled: 1-line block ×8, first 2 shown]
	s_lshl_b64 s[22:23], s[22:23], 1
	s_waitcnt lgkmcnt(0)
	s_add_u32 s28, s0, s22
	s_addc_u32 s0, s1, s23
	s_mov_b32 s31, 0x20000
	s_and_b32 s29, s0, 0xffff
	v_pack_b32_f16 v5, v5, v6
	v_pack_b32_f16 v4, v4, v7
	v_pack_b32_f16 v3, v3, v8
	v_pack_b32_f16 v2, v2, v9
	v_lshlrev_b32_e32 v6, 5, v0
	buffer_store_dwordx4 v[2:5], v6, s[28:31], 0 offen
	v_cvt_f16_f32_e32 v7, v19
	v_cvt_f16_f32_e32 v2, v20
	v_cvt_f16_f32_e32 v3, v24
	v_cvt_f16_f32_e32 v4, v22
	v_cvt_f16_f32_e32 v5, v18
	v_cvt_f16_f32_e32 v8, v23
	v_cvt_f16_f32_e32 v9, v25
	v_cvt_f16_f32_e32 v10, v21
	v_pack_b32_f16 v5, v5, v7
	v_pack_b32_f16 v4, v4, v8
	;; [unrolled: 1-line block ×4, first 2 shown]
	;;#ASMSTART
	s_nop 0
	;;#ASMEND
	buffer_store_dwordx4 v[2:5], v6, s[28:31], 16 offen
	;;#ASMSTART
	s_nop 0
	;;#ASMEND
.LBB601_24:
	s_or_b64 exec, exec, s[2:3]
	s_cmp_lt_i32 s16, 1
	s_cbranch_scc1 .LBB601_17
.LBB601_25:
	s_load_dword s0, s[4:5], 0x94
	s_waitcnt lgkmcnt(0)
	s_cmp_lg_u32 s0, 1
	s_cbranch_scc1 .LBB601_17
; %bb.26:
	s_lshl_b32 s0, s16, 1
	s_add_i32 s0, s0, 2
	v_cmp_gt_u32_e32 vcc, s16, v1
	s_and_b32 s22, s0, -4
	v_mov_b32_e32 v18, 0
	v_lshlrev_b32_e32 v1, 5, v0
	s_waitcnt vmcnt(2)
	v_mov_b32_e32 v14, 0
	v_mov_b32_e32 v15, 0
	;; [unrolled: 1-line block ×8, first 2 shown]
	s_waitcnt vmcnt(1)
	v_mov_b32_e32 v6, 0
	v_mov_b32_e32 v7, 0
	;; [unrolled: 1-line block ×4, first 2 shown]
	s_waitcnt vmcnt(0)
	v_mov_b32_e32 v2, 0
	v_mov_b32_e32 v3, 0
	v_mov_b32_e32 v4, 0
	v_mov_b32_e32 v5, 0
	s_barrier
	s_and_saveexec_b64 s[0:1], vcc
	s_cbranch_execz .LBB601_28
; %bb.27:
	s_mul_hi_i32 s3, s18, s6
	s_mul_i32 s2, s18, s6
	s_and_b32 s21, s21, 0xffff
	s_lshl_b64 s[2:3], s[2:3], 1
	s_add_u32 s28, s10, s2
	s_mov_b32 s23, 0x20000
	s_addc_u32 s2, s11, s3
	s_and_b32 s29, s2, 0xffff
	s_mov_b32 s30, s22
	s_mov_b32 s31, s23
	buffer_load_dwordx4 v[14:17], v1, s[28:31], 0 offen
	buffer_load_dwordx4 v[10:13], v1, s[28:31], 16 offen
	;; [unrolled: 1-line block ×4, first 2 shown]
.LBB601_28:
	s_or_b64 exec, exec, s[0:1]
	v_mov_b32_e32 v19, 0
	v_mov_b32_e32 v32, 0
	;; [unrolled: 1-line block ×15, first 2 shown]
	s_and_saveexec_b64 s[0:1], vcc
	s_cbranch_execz .LBB601_30
; %bb.29:
	s_waitcnt vmcnt(3)
	v_cvt_f32_f16_sdwa v19, v14 dst_sel:DWORD dst_unused:UNUSED_PAD src0_sel:WORD_1
	v_cvt_f32_f16_e32 v18, v14
	v_cvt_f32_f16_sdwa v33, v15 dst_sel:DWORD dst_unused:UNUSED_PAD src0_sel:WORD_1
	v_cvt_f32_f16_e32 v32, v15
	;; [unrolled: 2-line block ×4, first 2 shown]
	s_waitcnt vmcnt(2)
	v_cvt_f32_f16_sdwa v27, v10 dst_sel:DWORD dst_unused:UNUSED_PAD src0_sel:WORD_1
	v_cvt_f32_f16_e32 v26, v10
	v_cvt_f32_f16_sdwa v25, v11 dst_sel:DWORD dst_unused:UNUSED_PAD src0_sel:WORD_1
	v_cvt_f32_f16_e32 v24, v11
	;; [unrolled: 2-line block ×4, first 2 shown]
.LBB601_30:
	s_or_b64 exec, exec, s[0:1]
	s_waitcnt vmcnt(2)
	v_mul_f32_e32 v10, v19, v19
	v_fmac_f32_e32 v10, v18, v18
	v_fmac_f32_e32 v10, v32, v32
	;; [unrolled: 1-line block ×15, first 2 shown]
	s_nop 1
	v_mov_b32_dpp v11, v10 quad_perm:[1,0,3,2] row_mask:0xf bank_mask:0xf
	v_add_f32_e32 v10, v10, v11
	s_nop 1
	v_mov_b32_dpp v11, v10 quad_perm:[2,3,0,1] row_mask:0xf bank_mask:0xf
	v_add_f32_e32 v10, v10, v11
	s_nop 1
	v_mov_b32_dpp v11, v10 row_half_mirror row_mask:0xf bank_mask:0xf
	v_add_f32_e32 v10, v10, v11
	s_nop 1
	v_mov_b32_dpp v11, v10 row_mirror row_mask:0xf bank_mask:0xf
	v_add_f32_e32 v10, v10, v11
	s_nop 1
	v_mov_b32_dpp v11, v10 row_bcast:15 row_mask:0xf bank_mask:0xf
	v_add_f32_e32 v10, v10, v11
	s_nop 1
	v_mov_b32_dpp v11, v10 row_bcast:31 row_mask:0xf bank_mask:0xf
	s_and_saveexec_b64 s[0:1], s[8:9]
	s_cbranch_execz .LBB601_32
; %bb.31:
	v_lshrrev_b32_e32 v0, 4, v0
	v_add_f32_e32 v10, v10, v11
	v_and_b32_e32 v0, 60, v0
	ds_write_b32 v0, v10
.LBB601_32:
	s_or_b64 exec, exec, s[0:1]
	s_waitcnt lgkmcnt(0)
	s_barrier
	ds_read_b32 v0, v34
	s_waitcnt lgkmcnt(0)
	s_nop 0
	v_mov_b32_dpp v10, v0 quad_perm:[1,0,3,2] row_mask:0xf bank_mask:0xf
	s_and_saveexec_b64 s[0:1], vcc
	s_cbranch_execz .LBB601_17
; %bb.33:
	v_cvt_f32_u32_e32 v11, s16
	v_add_f32_e32 v0, v0, v10
	s_mov_b32 s23, 0x20000
	v_div_scale_f32 v10, s[0:1], v11, v11, v0
	v_rcp_f32_e32 v12, v10
	v_div_scale_f32 v13, vcc, v0, v11, v0
	s_mov_b32 s0, 0x800000
	v_fma_f32 v14, -v10, v12, 1.0
	v_fmac_f32_e32 v12, v14, v12
	v_mul_f32_e32 v14, v13, v12
	v_fma_f32 v15, -v10, v14, v13
	v_fmac_f32_e32 v14, v15, v12
	v_fma_f32 v10, -v10, v14, v13
	v_div_fmas_f32 v10, v10, v12, v14
	v_div_fixup_f32 v0, v10, v11, v0
	v_add_f32_e32 v0, s13, v0
	v_mul_f32_e32 v10, 0x4b800000, v0
	v_cmp_gt_f32_e32 vcc, s0, v0
	v_cndmask_b32_e32 v0, v0, v10, vcc
	v_rsq_f32_e32 v0, v0
	s_mul_hi_i32 s1, s25, s6
	s_mul_i32 s0, s25, s6
	s_lshl_b64 s[0:1], s[0:1], 1
	v_mul_f32_e32 v10, 0x45800000, v0
	v_cndmask_b32_e32 v10, v0, v10, vcc
	v_mov_b32_e32 v11, v10
	;;#ASMSTART
	v_pk_mul_f32 v[12:13], v[18:19], v[10:11]
	;;#ASMEND
	;;#ASMSTART
	v_pk_mul_f32 v[14:15], v[32:33], v[10:11]
	;;#ASMEND
	;; [unrolled: 3-line block ×4, first 2 shown]
	s_waitcnt vmcnt(1)
	v_cvt_f32_f16_sdwa v29, v6 dst_sel:DWORD dst_unused:UNUSED_PAD src0_sel:WORD_1
	v_cvt_f32_f16_e32 v28, v6
	v_cvt_f32_f16_sdwa v31, v7 dst_sel:DWORD dst_unused:UNUSED_PAD src0_sel:WORD_1
	v_cvt_f32_f16_e32 v30, v7
	;;#ASMSTART
	v_pk_mul_f32 v[26:27], v[26:27], v[10:11]
	;;#ASMEND
	;;#ASMSTART
	v_pk_mul_f32 v[24:25], v[24:25], v[10:11]
	;;#ASMEND
	;; [unrolled: 3-line block ×4, first 2 shown]
	v_cvt_f32_f16_sdwa v21, v8 dst_sel:DWORD dst_unused:UNUSED_PAD src0_sel:WORD_1
	v_cvt_f32_f16_e32 v20, v8
	v_pk_add_f32 v[10:11], v[28:29], 1.0 op_sel_hi:[1,0]
	;;#ASMSTART
	v_pk_mul_f32 v[10:11], v[12:13], v[10:11]
	;;#ASMEND
	v_pk_add_f32 v[12:13], v[30:31], 1.0 op_sel_hi:[1,0]
	v_cvt_f32_f16_sdwa v29, v9 dst_sel:DWORD dst_unused:UNUSED_PAD src0_sel:WORD_1
	v_cvt_f32_f16_e32 v28, v9
	;;#ASMSTART
	v_pk_mul_f32 v[8:9], v[14:15], v[12:13]
	;;#ASMEND
	v_pk_add_f32 v[12:13], v[20:21], 1.0 op_sel_hi:[1,0]
	;;#ASMSTART
	v_pk_mul_f32 v[12:13], v[16:17], v[12:13]
	;;#ASMEND
	s_waitcnt vmcnt(0)
	v_cvt_f32_f16_sdwa v17, v2 dst_sel:DWORD dst_unused:UNUSED_PAD src0_sel:WORD_1
	v_cvt_f32_f16_e32 v16, v2
	v_cvt_f32_f16_sdwa v21, v3 dst_sel:DWORD dst_unused:UNUSED_PAD src0_sel:WORD_1
	v_cvt_f32_f16_e32 v20, v3
	v_pk_add_f32 v[14:15], v[28:29], 1.0 op_sel_hi:[1,0]
	;;#ASMSTART
	v_pk_mul_f32 v[2:3], v[18:19], v[14:15]
	;;#ASMEND
	v_cvt_f32_f16_sdwa v19, v4 dst_sel:DWORD dst_unused:UNUSED_PAD src0_sel:WORD_1
	v_cvt_f32_f16_e32 v18, v4
	v_pk_add_f32 v[14:15], v[16:17], 1.0 op_sel_hi:[1,0]
	v_pk_add_f32 v[16:17], v[20:21], 1.0 op_sel_hi:[1,0]
	v_cvt_f32_f16_sdwa v21, v5 dst_sel:DWORD dst_unused:UNUSED_PAD src0_sel:WORD_1
	v_cvt_f32_f16_e32 v20, v5
	v_pk_add_f32 v[4:5], v[18:19], 1.0 op_sel_hi:[1,0]
	;;#ASMSTART
	v_pk_mul_f32 v[14:15], v[26:27], v[14:15]
	;;#ASMEND
	;;#ASMSTART
	v_pk_mul_f32 v[16:17], v[24:25], v[16:17]
	;;#ASMEND
	;; [unrolled: 3-line block ×3, first 2 shown]
	v_pk_add_f32 v[4:5], v[20:21], 1.0 op_sel_hi:[1,0]
	;;#ASMSTART
	v_pk_mul_f32 v[6:7], v[6:7], v[4:5]
	;;#ASMEND
	v_cvt_f16_f32_e32 v0, v10
	v_cvt_f16_f32_e32 v4, v11
	;; [unrolled: 1-line block ×8, first 2 shown]
	s_add_u32 s20, s14, s0
	s_addc_u32 s0, s15, s1
	s_and_b32 s21, s0, 0xffff
	v_pack_b32_f16 v2, v0, v4
	v_pack_b32_f16 v3, v5, v8
	v_pack_b32_f16 v4, v9, v10
	v_pack_b32_f16 v5, v11, v12
	buffer_store_dwordx4 v[2:5], v1, s[20:23], 0 offen
	v_cvt_f16_f32_e32 v0, v14
	v_cvt_f16_f32_e32 v2, v15
	;; [unrolled: 1-line block ×8, first 2 shown]
	v_pack_b32_f16 v2, v0, v2
	v_pack_b32_f16 v3, v3, v4
	v_pack_b32_f16 v4, v5, v8
	v_pack_b32_f16 v5, v6, v7
	;;#ASMSTART
	s_nop 0
	;;#ASMEND
	buffer_store_dwordx4 v[2:5], v1, s[20:23], 16 offen
	;;#ASMSTART
	s_nop 0
	;;#ASMEND
	s_endpgm
	.section	.rodata,"a",@progbits
	.p2align	6, 0x0
	.amdhsa_kernel _ZN5aiter35fused_qk_rmsnorm_group_quant_kernelIDF16_DB8_Li128ELi16ELi8ELb1ELb1ELb1ELb1ELb0ELb0EEEvPT0_PvPT_S6_S6_PKS5_S8_S8_S8_S8_ffiiiiiiiiiiiii
		.amdhsa_group_segment_fixed_size 16
		.amdhsa_private_segment_fixed_size 0
		.amdhsa_kernarg_size 400
		.amdhsa_user_sgpr_count 6
		.amdhsa_user_sgpr_private_segment_buffer 1
		.amdhsa_user_sgpr_dispatch_ptr 0
		.amdhsa_user_sgpr_queue_ptr 0
		.amdhsa_user_sgpr_kernarg_segment_ptr 1
		.amdhsa_user_sgpr_dispatch_id 0
		.amdhsa_user_sgpr_flat_scratch_init 0
		.amdhsa_user_sgpr_kernarg_preload_length 0
		.amdhsa_user_sgpr_kernarg_preload_offset 0
		.amdhsa_user_sgpr_private_segment_size 0
		.amdhsa_uses_dynamic_stack 0
		.amdhsa_system_sgpr_private_segment_wavefront_offset 0
		.amdhsa_system_sgpr_workgroup_id_x 1
		.amdhsa_system_sgpr_workgroup_id_y 1
		.amdhsa_system_sgpr_workgroup_id_z 0
		.amdhsa_system_sgpr_workgroup_info 0
		.amdhsa_system_vgpr_workitem_id 0
		.amdhsa_next_free_vgpr 49
		.amdhsa_next_free_sgpr 32
		.amdhsa_accum_offset 52
		.amdhsa_reserve_vcc 1
		.amdhsa_reserve_flat_scratch 0
		.amdhsa_float_round_mode_32 0
		.amdhsa_float_round_mode_16_64 0
		.amdhsa_float_denorm_mode_32 3
		.amdhsa_float_denorm_mode_16_64 3
		.amdhsa_dx10_clamp 1
		.amdhsa_ieee_mode 1
		.amdhsa_fp16_overflow 0
		.amdhsa_tg_split 0
		.amdhsa_exception_fp_ieee_invalid_op 0
		.amdhsa_exception_fp_denorm_src 0
		.amdhsa_exception_fp_ieee_div_zero 0
		.amdhsa_exception_fp_ieee_overflow 0
		.amdhsa_exception_fp_ieee_underflow 0
		.amdhsa_exception_fp_ieee_inexact 0
		.amdhsa_exception_int_div_zero 0
	.end_amdhsa_kernel
	.section	.text._ZN5aiter35fused_qk_rmsnorm_group_quant_kernelIDF16_DB8_Li128ELi16ELi8ELb1ELb1ELb1ELb1ELb0ELb0EEEvPT0_PvPT_S6_S6_PKS5_S8_S8_S8_S8_ffiiiiiiiiiiiii,"axG",@progbits,_ZN5aiter35fused_qk_rmsnorm_group_quant_kernelIDF16_DB8_Li128ELi16ELi8ELb1ELb1ELb1ELb1ELb0ELb0EEEvPT0_PvPT_S6_S6_PKS5_S8_S8_S8_S8_ffiiiiiiiiiiiii,comdat
.Lfunc_end601:
	.size	_ZN5aiter35fused_qk_rmsnorm_group_quant_kernelIDF16_DB8_Li128ELi16ELi8ELb1ELb1ELb1ELb1ELb0ELb0EEEvPT0_PvPT_S6_S6_PKS5_S8_S8_S8_S8_ffiiiiiiiiiiiii, .Lfunc_end601-_ZN5aiter35fused_qk_rmsnorm_group_quant_kernelIDF16_DB8_Li128ELi16ELi8ELb1ELb1ELb1ELb1ELb0ELb0EEEvPT0_PvPT_S6_S6_PKS5_S8_S8_S8_S8_ffiiiiiiiiiiiii
                                        ; -- End function
	.section	.AMDGPU.csdata,"",@progbits
; Kernel info:
; codeLenInByte = 3576
; NumSgprs: 36
; NumVgprs: 49
; NumAgprs: 0
; TotalNumVgprs: 49
; ScratchSize: 0
; MemoryBound: 0
; FloatMode: 240
; IeeeMode: 1
; LDSByteSize: 16 bytes/workgroup (compile time only)
; SGPRBlocks: 4
; VGPRBlocks: 6
; NumSGPRsForWavesPerEU: 36
; NumVGPRsForWavesPerEU: 49
; AccumOffset: 52
; Occupancy: 8
; WaveLimiterHint : 0
; COMPUTE_PGM_RSRC2:SCRATCH_EN: 0
; COMPUTE_PGM_RSRC2:USER_SGPR: 6
; COMPUTE_PGM_RSRC2:TRAP_HANDLER: 0
; COMPUTE_PGM_RSRC2:TGID_X_EN: 1
; COMPUTE_PGM_RSRC2:TGID_Y_EN: 1
; COMPUTE_PGM_RSRC2:TGID_Z_EN: 0
; COMPUTE_PGM_RSRC2:TIDIG_COMP_CNT: 0
; COMPUTE_PGM_RSRC3_GFX90A:ACCUM_OFFSET: 12
; COMPUTE_PGM_RSRC3_GFX90A:TG_SPLIT: 0
	.section	.text._ZN5aiter35fused_qk_rmsnorm_group_quant_kernelItDB8_Li128ELi16ELi8ELb1ELb1ELb1ELb1ELb0ELb0EEEvPT0_PvPT_S6_S6_PKS5_S8_S8_S8_S8_ffiiiiiiiiiiiii,"axG",@progbits,_ZN5aiter35fused_qk_rmsnorm_group_quant_kernelItDB8_Li128ELi16ELi8ELb1ELb1ELb1ELb1ELb0ELb0EEEvPT0_PvPT_S6_S6_PKS5_S8_S8_S8_S8_ffiiiiiiiiiiiii,comdat
	.protected	_ZN5aiter35fused_qk_rmsnorm_group_quant_kernelItDB8_Li128ELi16ELi8ELb1ELb1ELb1ELb1ELb0ELb0EEEvPT0_PvPT_S6_S6_PKS5_S8_S8_S8_S8_ffiiiiiiiiiiiii ; -- Begin function _ZN5aiter35fused_qk_rmsnorm_group_quant_kernelItDB8_Li128ELi16ELi8ELb1ELb1ELb1ELb1ELb0ELb0EEEvPT0_PvPT_S6_S6_PKS5_S8_S8_S8_S8_ffiiiiiiiiiiiii
	.globl	_ZN5aiter35fused_qk_rmsnorm_group_quant_kernelItDB8_Li128ELi16ELi8ELb1ELb1ELb1ELb1ELb0ELb0EEEvPT0_PvPT_S6_S6_PKS5_S8_S8_S8_S8_ffiiiiiiiiiiiii
	.p2align	8
	.type	_ZN5aiter35fused_qk_rmsnorm_group_quant_kernelItDB8_Li128ELi16ELi8ELb1ELb1ELb1ELb1ELb0ELb0EEEvPT0_PvPT_S6_S6_PKS5_S8_S8_S8_S8_ffiiiiiiiiiiiii,@function
_ZN5aiter35fused_qk_rmsnorm_group_quant_kernelItDB8_Li128ELi16ELi8ELb1ELb1ELb1ELb1ELb0ELb0EEEvPT0_PvPT_S6_S6_PKS5_S8_S8_S8_S8_ffiiiiiiiiiiiii: ; @_ZN5aiter35fused_qk_rmsnorm_group_quant_kernelItDB8_Li128ELi16ELi8ELb1ELb1ELb1ELb1ELb0ELb0EEEvPT0_PvPT_S6_S6_PKS5_S8_S8_S8_S8_ffiiiiiiiiiiiii
; %bb.0:
	s_load_dwordx8 s[12:19], s[4:5], 0x50
	s_waitcnt lgkmcnt(0)
	s_cmp_ge_i32 s6, s14
	s_cbranch_scc1 .LBB602_17
; %bb.1:
	s_cmp_lg_u32 s7, 0
	s_cselect_b64 s[22:23], -1, 0
	s_cmp_eq_u32 s7, 0
	s_cselect_b64 s[2:3], -1, 0
	s_and_b64 s[0:1], s[2:3], exec
	s_cselect_b32 s7, s15, s16
	s_load_dwordx2 s[10:11], s[4:5], 0x30
	s_load_dwordx2 s[20:21], s[4:5], 0x48
	s_add_i32 s0, s7, 1
	s_lshr_b32 s1, s0, 31
	s_add_i32 s0, s0, s1
	s_lshl_b32 s0, s0, 1
	v_lshlrev_b32_e32 v1, 4, v0
	s_and_b32 s30, s0, -4
	v_cmp_gt_i32_e64 s[0:1], s7, v1
	v_mov_b32_e32 v62, 0
	v_mov_b32_e32 v63, 0
	;; [unrolled: 1-line block ×16, first 2 shown]
	s_and_saveexec_b64 s[8:9], s[0:1]
	s_cbranch_execz .LBB602_3
; %bb.2:
	s_load_dwordx2 s[14:15], s[4:5], 0x28
	s_load_dwordx2 s[26:27], s[4:5], 0x40
	s_and_b64 s[24:25], s[2:3], exec
	s_cselect_b32 s17, s17, s18
	s_mov_b32 s31, 0x20000
	s_waitcnt lgkmcnt(0)
	s_cselect_b32 s25, s15, s11
	s_cselect_b32 s24, s14, s10
	s_mul_hi_i32 s15, s17, s6
	s_mul_i32 s14, s17, s6
	s_lshl_b64 s[14:15], s[14:15], 1
	s_add_u32 s24, s24, s14
	s_addc_u32 s17, s25, s15
	s_and_b64 s[14:15], s[2:3], exec
	s_cselect_b32 s28, s26, s20
	s_cselect_b32 s14, s27, s21
	s_and_b32 s25, s17, 0xffff
	s_mov_b32 s26, s30
	s_mov_b32 s27, s31
	v_lshlrev_b32_e32 v2, 5, v0
	s_and_b32 s29, s14, 0xffff
	buffer_load_dwordx4 v[66:69], v2, s[24:27], 0 offen
	buffer_load_dwordx4 v[70:73], v2, s[24:27], 16 offen
	;; [unrolled: 1-line block ×4, first 2 shown]
.LBB602_3:
	s_or_b64 exec, exec, s[8:9]
	s_load_dwordx4 s[24:27], s[4:5], 0x7c
	s_and_b64 vcc, exec, s[22:23]
	s_cbranch_vccz .LBB602_7
; %bb.4:
	v_mov_b32_e32 v75, 0
	v_mov_b32_e32 v74, 0
	;; [unrolled: 1-line block ×16, first 2 shown]
	s_and_saveexec_b64 s[8:9], s[0:1]
	s_cbranch_execz .LBB602_6
; %bb.5:
	s_waitcnt vmcnt(3)
	v_cvt_f32_u32_sdwa v2, v66 dst_sel:DWORD dst_unused:UNUSED_PAD src0_sel:WORD_0
	v_cvt_f32_u32_sdwa v3, v66 dst_sel:DWORD dst_unused:UNUSED_PAD src0_sel:WORD_1
	v_cvt_f32_u32_sdwa v6, v67 dst_sel:DWORD dst_unused:UNUSED_PAD src0_sel:WORD_0
	v_cvt_f32_u32_sdwa v7, v67 dst_sel:DWORD dst_unused:UNUSED_PAD src0_sel:WORD_1
	;; [unrolled: 2-line block ×4, first 2 shown]
	s_waitcnt vmcnt(2)
	v_cvt_f32_u32_sdwa v50, v70 dst_sel:DWORD dst_unused:UNUSED_PAD src0_sel:WORD_0
	v_cvt_f32_u32_sdwa v51, v70 dst_sel:DWORD dst_unused:UNUSED_PAD src0_sel:WORD_1
	v_cvt_f32_u32_sdwa v24, v71 dst_sel:DWORD dst_unused:UNUSED_PAD src0_sel:WORD_0
	v_cvt_f32_u32_sdwa v25, v71 dst_sel:DWORD dst_unused:UNUSED_PAD src0_sel:WORD_1
	;; [unrolled: 2-line block ×4, first 2 shown]
.LBB602_6:
	s_or_b64 exec, exec, s[8:9]
	s_cbranch_execz .LBB602_8
	s_branch .LBB602_11
.LBB602_7:
                                        ; implicit-def: $vgpr2_vgpr3_vgpr4_vgpr5_vgpr6_vgpr7_vgpr8_vgpr9_vgpr10_vgpr11_vgpr12_vgpr13_vgpr14_vgpr15_vgpr16_vgpr17
                                        ; implicit-def: $vgpr36_vgpr37_vgpr38_vgpr39_vgpr40_vgpr41_vgpr42_vgpr43_vgpr44_vgpr45_vgpr46_vgpr47_vgpr48_vgpr49_vgpr50_vgpr51
                                        ; implicit-def: $vgpr4_vgpr5_vgpr6_vgpr7_vgpr8_vgpr9_vgpr10_vgpr11_vgpr12_vgpr13_vgpr14_vgpr15_vgpr16_vgpr17_vgpr18_vgpr19
                                        ; implicit-def: $vgpr24_vgpr25_vgpr26_vgpr27_vgpr28_vgpr29_vgpr30_vgpr31_vgpr32_vgpr33_vgpr34_vgpr35_vgpr36_vgpr37_vgpr38_vgpr39
                                        ; implicit-def: $vgpr75
                                        ; implicit-def: $vgpr42_vgpr43_vgpr44_vgpr45_vgpr46_vgpr47_vgpr48_vgpr49_vgpr50_vgpr51_vgpr52_vgpr53_vgpr54_vgpr55_vgpr56_vgpr57
                                        ; implicit-def: $vgpr14_vgpr15_vgpr16_vgpr17_vgpr18_vgpr19_vgpr20_vgpr21_vgpr22_vgpr23_vgpr24_vgpr25_vgpr26_vgpr27_vgpr28_vgpr29
                                        ; implicit-def: $vgpr8_vgpr9_vgpr10_vgpr11_vgpr12_vgpr13_vgpr14_vgpr15_vgpr16_vgpr17_vgpr18_vgpr19_vgpr20_vgpr21_vgpr22_vgpr23
.LBB602_8:
	v_mov_b32_e32 v75, 0
	v_mov_b32_e32 v74, 0
	;; [unrolled: 1-line block ×16, first 2 shown]
	s_and_saveexec_b64 s[8:9], s[0:1]
	s_cbranch_execz .LBB602_10
; %bb.9:
	s_load_dwordx2 s[14:15], s[4:5], 0x38
	s_mul_hi_i32 s29, s19, s6
	s_mul_i32 s28, s19, s6
	s_lshl_b64 s[28:29], s[28:29], 1
	s_mov_b32 s31, 0x20000
	s_waitcnt lgkmcnt(0)
	s_add_u32 s28, s14, s28
	s_addc_u32 s14, s15, s29
	s_and_b32 s29, s14, 0xffff
	v_lshlrev_b32_e32 v38, 5, v0
	buffer_load_dwordx4 v[6:9], v38, s[28:31], 16 offen
	buffer_load_dwordx4 v[10:13], v38, s[28:31], 0 offen
	s_load_dwordx2 s[14:15], s[4:5], 0x20
	s_waitcnt vmcnt(5)
	v_cvt_f32_u32_sdwa v3, v66 dst_sel:DWORD dst_unused:UNUSED_PAD src0_sel:WORD_1
	v_cvt_f32_u32_sdwa v2, v66 dst_sel:DWORD dst_unused:UNUSED_PAD src0_sel:WORD_0
	v_cvt_f32_u32_sdwa v21, v67 dst_sel:DWORD dst_unused:UNUSED_PAD src0_sel:WORD_1
	v_cvt_f32_u32_sdwa v20, v67 dst_sel:DWORD dst_unused:UNUSED_PAD src0_sel:WORD_0
	;; [unrolled: 2-line block ×4, first 2 shown]
	s_waitcnt vmcnt(4)
	v_cvt_f32_u32_sdwa v5, v70 dst_sel:DWORD dst_unused:UNUSED_PAD src0_sel:WORD_1
	v_cvt_f32_u32_sdwa v4, v70 dst_sel:DWORD dst_unused:UNUSED_PAD src0_sel:WORD_0
	v_cvt_f32_u32_sdwa v15, v71 dst_sel:DWORD dst_unused:UNUSED_PAD src0_sel:WORD_1
	v_cvt_f32_u32_sdwa v14, v71 dst_sel:DWORD dst_unused:UNUSED_PAD src0_sel:WORD_0
	;; [unrolled: 2-line block ×3, first 2 shown]
	v_cvt_f32_u32_sdwa v18, v73 dst_sel:DWORD dst_unused:UNUSED_PAD src0_sel:WORD_0
	v_cvt_f32_u32_sdwa v19, v73 dst_sel:DWORD dst_unused:UNUSED_PAD src0_sel:WORD_1
	s_mul_hi_i32 s27, s26, s6
	s_mul_i32 s26, s26, s6
	s_lshl_b64 s[26:27], s[26:27], 1
	s_waitcnt lgkmcnt(0)
	s_add_u32 s28, s14, s26
	s_mov_b32 s17, 0x7060302
	s_addc_u32 s14, s15, s27
	s_and_b32 s29, s14, 0xffff
	s_waitcnt vmcnt(1)
	v_cvt_f32_u32_sdwa v27, v6 dst_sel:DWORD dst_unused:UNUSED_PAD src0_sel:WORD_1
	v_cvt_f32_u32_sdwa v26, v6 dst_sel:DWORD dst_unused:UNUSED_PAD src0_sel:WORD_0
	v_cvt_f32_u32_sdwa v29, v7 dst_sel:DWORD dst_unused:UNUSED_PAD src0_sel:WORD_1
	v_cvt_f32_u32_sdwa v28, v7 dst_sel:DWORD dst_unused:UNUSED_PAD src0_sel:WORD_0
	;; [unrolled: 2-line block ×3, first 2 shown]
	v_cvt_f32_u32_sdwa v34, v9 dst_sel:DWORD dst_unused:UNUSED_PAD src0_sel:WORD_0
	v_cvt_f32_u32_sdwa v35, v9 dst_sel:DWORD dst_unused:UNUSED_PAD src0_sel:WORD_1
	s_waitcnt vmcnt(0)
	v_cvt_f32_u32_sdwa v37, v10 dst_sel:DWORD dst_unused:UNUSED_PAD src0_sel:WORD_1
	v_cvt_f32_u32_sdwa v36, v10 dst_sel:DWORD dst_unused:UNUSED_PAD src0_sel:WORD_0
	v_cvt_f32_u32_sdwa v7, v12 dst_sel:DWORD dst_unused:UNUSED_PAD src0_sel:WORD_1
	v_cvt_f32_u32_sdwa v6, v12 dst_sel:DWORD dst_unused:UNUSED_PAD src0_sel:WORD_0
	;; [unrolled: 2-line block ×4, first 2 shown]
	v_pk_add_f32 v[40:41], v[22:23], v[6:7]
	v_pk_add_f32 v[30:31], v[24:25], v[8:9]
	;; [unrolled: 1-line block ×4, first 2 shown]
	v_perm_b32 v11, v31, v30, s17
	v_perm_b32 v10, v41, v40, s17
	v_perm_b32 v9, v7, v6, s17
	v_perm_b32 v8, v3, v2, s17
	v_pk_add_f32 v[74:75], v[18:19], v[34:35]
	v_pk_add_f32 v[20:21], v[16:17], v[32:33]
	;; [unrolled: 1-line block ×4, first 2 shown]
	buffer_store_dwordx4 v[8:11], v38, s[28:31], 0 offen
	;;#ASMSTART
	s_nop 0
	;;#ASMEND
	s_nop 0
	v_perm_b32 v11, v75, v74, s17
	v_perm_b32 v10, v21, v20, s17
	;; [unrolled: 1-line block ×4, first 2 shown]
	buffer_store_dwordx4 v[8:11], v38, s[28:31], 16 offen
	;;#ASMSTART
	s_nop 0
	;;#ASMEND
.LBB602_10:
	s_or_b64 exec, exec, s[8:9]
.LBB602_11:
	v_mul_f32_e32 v4, v3, v3
	v_fmac_f32_e32 v4, v2, v2
	v_fmac_f32_e32 v4, v6, v6
	;; [unrolled: 1-line block ×15, first 2 shown]
	s_nop 1
	v_mov_b32_dpp v5, v4 quad_perm:[1,0,3,2] row_mask:0xf bank_mask:0xf
	v_add_f32_e32 v4, v4, v5
	s_nop 1
	v_mov_b32_dpp v5, v4 quad_perm:[2,3,0,1] row_mask:0xf bank_mask:0xf
	v_add_f32_e32 v4, v4, v5
	s_nop 1
	v_mov_b32_dpp v5, v4 row_half_mirror row_mask:0xf bank_mask:0xf
	v_add_f32_e32 v4, v4, v5
	s_nop 1
	v_mov_b32_dpp v5, v4 row_mirror row_mask:0xf bank_mask:0xf
	v_add_f32_e32 v4, v4, v5
	s_nop 1
	v_mov_b32_dpp v5, v4 row_bcast:15 row_mask:0xf bank_mask:0xf
	v_add_f32_e32 v4, v4, v5
	v_and_b32_e32 v5, 63, v0
	v_cmp_eq_u32_e64 s[8:9], 63, v5
	s_nop 0
	v_mov_b32_dpp v5, v4 row_bcast:31 row_mask:0xf bank_mask:0xf
	s_and_saveexec_b64 s[14:15], s[8:9]
	s_cbranch_execz .LBB602_13
; %bb.12:
	v_add_f32_e32 v4, v4, v5
	v_lshrrev_b32_e32 v5, 4, v0
	v_and_b32_e32 v5, 60, v5
	ds_write_b32 v5, v4 offset:8
.LBB602_13:
	s_or_b64 exec, exec, s[14:15]
	v_and_b32_e32 v4, 1, v0
	v_lshlrev_b32_e32 v34, 2, v4
	s_waitcnt lgkmcnt(0)
	s_barrier
	ds_read_b32 v4, v34 offset:8
	s_load_dwordx2 s[14:15], s[4:5], 0x18
	s_waitcnt lgkmcnt(0)
	v_mov_b32_dpp v5, v4 quad_perm:[1,0,3,2] row_mask:0xf bank_mask:0xf
	s_and_saveexec_b64 s[26:27], s[0:1]
	s_cbranch_execnz .LBB602_18
; %bb.14:
	s_or_b64 exec, exec, s[26:27]
	s_mov_b64 s[2:3], -1
	s_and_b64 vcc, exec, s[22:23]
	s_cbranch_vccnz .LBB602_19
.LBB602_15:
	s_andn2_b64 vcc, exec, s[2:3]
	s_cbranch_vccz .LBB602_22
.LBB602_16:
	s_cmp_lt_i32 s16, 1
	s_cbranch_scc0 .LBB602_25
.LBB602_17:
	s_endpgm
.LBB602_18:
	v_add_f32_e32 v4, v4, v5
	v_cvt_f32_u32_e32 v5, s7
	s_waitcnt vmcnt(1)
	v_cvt_f32_u32_sdwa v15, v62 dst_sel:DWORD dst_unused:UNUSED_PAD src0_sel:WORD_1
	v_cvt_f32_u32_sdwa v14, v62 dst_sel:DWORD dst_unused:UNUSED_PAD src0_sel:WORD_0
	v_cvt_f32_u32_sdwa v23, v65 dst_sel:DWORD dst_unused:UNUSED_PAD src0_sel:WORD_1
	v_div_scale_f32 v8, s[28:29], v5, v5, v4
	v_rcp_f32_e32 v9, v8
	v_pk_add_f32 v[14:15], v[14:15], 1.0 op_sel_hi:[1,0]
	v_cvt_f32_u32_sdwa v22, v65 dst_sel:DWORD dst_unused:UNUSED_PAD src0_sel:WORD_0
	s_waitcnt vmcnt(0)
	v_cvt_f32_u32_sdwa v27, v60 dst_sel:DWORD dst_unused:UNUSED_PAD src0_sel:WORD_1
	v_fma_f32 v10, -v8, v9, 1.0
	v_fmac_f32_e32 v9, v10, v9
	v_div_scale_f32 v10, vcc, v4, v5, v4
	v_mul_f32_e32 v11, v10, v9
	v_fma_f32 v12, -v8, v11, v10
	v_fmac_f32_e32 v11, v12, v9
	v_fma_f32 v8, -v8, v11, v10
	v_div_fmas_f32 v8, v8, v9, v11
	v_div_fixup_f32 v4, v8, v5, v4
	v_mov_b32_e32 v5, s13
	v_mov_b32_e32 v8, s12
	v_cndmask_b32_e64 v5, v5, v8, s[2:3]
	v_add_f32_e32 v4, v5, v4
	s_mov_b32 s2, 0x800000
	v_mul_f32_e32 v5, 0x4b800000, v4
	v_cmp_gt_f32_e32 vcc, s2, v4
	v_cndmask_b32_e32 v4, v4, v5, vcc
	v_rsq_f32_e32 v4, v4
	v_cvt_f32_u32_sdwa v26, v60 dst_sel:DWORD dst_unused:UNUSED_PAD src0_sel:WORD_0
	v_cvt_f32_u32_sdwa v29, v61 dst_sel:DWORD dst_unused:UNUSED_PAD src0_sel:WORD_1
	v_cvt_f32_u32_sdwa v28, v61 dst_sel:DWORD dst_unused:UNUSED_PAD src0_sel:WORD_0
	v_mul_f32_e32 v5, 0x45800000, v4
	v_cndmask_b32_e32 v4, v4, v5, vcc
	v_mov_b32_e32 v5, v4
	;;#ASMSTART
	v_pk_mul_f32 v[2:3], v[2:3], v[4:5]
	;;#ASMEND
	;;#ASMSTART
	v_pk_mul_f32 v[6:7], v[6:7], v[4:5]
	;;#ASMEND
	;; [unrolled: 3-line block ×9, first 2 shown]
	v_cvt_f32_u32_sdwa v15, v63 dst_sel:DWORD dst_unused:UNUSED_PAD src0_sel:WORD_1
	v_cvt_f32_u32_sdwa v14, v63 dst_sel:DWORD dst_unused:UNUSED_PAD src0_sel:WORD_0
	v_cvt_f32_u32_sdwa v21, v64 dst_sel:DWORD dst_unused:UNUSED_PAD src0_sel:WORD_1
	v_cvt_f32_u32_sdwa v20, v64 dst_sel:DWORD dst_unused:UNUSED_PAD src0_sel:WORD_0
	v_cvt_f32_u32_sdwa v25, v59 dst_sel:DWORD dst_unused:UNUSED_PAD src0_sel:WORD_1
	v_pk_add_f32 v[14:15], v[14:15], 1.0 op_sel_hi:[1,0]
	v_cvt_f32_u32_sdwa v24, v59 dst_sel:DWORD dst_unused:UNUSED_PAD src0_sel:WORD_0
	;;#ASMSTART
	v_pk_mul_f32 v[6:7], v[6:7], v[14:15]
	;;#ASMEND
	v_pk_add_f32 v[14:15], v[20:21], 1.0 op_sel_hi:[1,0]
	v_pk_add_f32 v[20:21], v[22:23], 1.0 op_sel_hi:[1,0]
	v_cvt_f32_u32_sdwa v23, v58 dst_sel:DWORD dst_unused:UNUSED_PAD src0_sel:WORD_1
	v_cvt_f32_u32_sdwa v22, v58 dst_sel:DWORD dst_unused:UNUSED_PAD src0_sel:WORD_0
	v_pk_add_f32 v[24:25], v[24:25], 1.0 op_sel_hi:[1,0]
	v_pk_add_f32 v[26:27], v[26:27], 1.0 op_sel_hi:[1,0]
	;; [unrolled: 1-line block ×4, first 2 shown]
	;;#ASMSTART
	v_pk_mul_f32 v[40:41], v[8:9], v[14:15]
	;;#ASMEND
	;;#ASMSTART
	v_pk_mul_f32 v[30:31], v[10:11], v[20:21]
	;;#ASMEND
	;; [unrolled: 3-line block ×6, first 2 shown]
	s_or_b64 exec, exec, s[26:27]
	s_mov_b64 s[2:3], -1
	s_and_b64 vcc, exec, s[22:23]
	s_cbranch_vccz .LBB602_15
.LBB602_19:
	s_and_saveexec_b64 s[2:3], s[0:1]
	s_cbranch_execz .LBB602_21
; %bb.20:
	s_mul_hi_i32 s23, s25, s6
	s_mul_i32 s22, s25, s6
	s_lshl_b64 s[22:23], s[22:23], 1
	s_add_u32 s28, s14, s22
	s_addc_u32 s7, s15, s23
	s_and_b32 s29, s7, 0xffff
	s_mov_b32 s7, 0x7060302
	s_mov_b32 s31, 0x20000
	v_perm_b32 v11, v31, v30, s7
	v_perm_b32 v10, v41, v40, s7
	v_perm_b32 v9, v7, v6, s7
	v_perm_b32 v8, v3, v2, s7
	v_lshlrev_b32_e32 v4, 5, v0
	buffer_store_dwordx4 v[8:11], v4, s[28:31], 0 offen
	;;#ASMSTART
	s_nop 0
	;;#ASMEND
	s_nop 0
	v_perm_b32 v11, v75, v74, s7
	v_perm_b32 v10, v21, v20, s7
	v_perm_b32 v9, v25, v24, s7
	v_perm_b32 v8, v51, v50, s7
	buffer_store_dwordx4 v[8:11], v4, s[28:31], 16 offen
	;;#ASMSTART
	s_nop 0
	;;#ASMEND
.LBB602_21:
	s_or_b64 exec, exec, s[2:3]
	s_cbranch_execnz .LBB602_16
.LBB602_22:
	s_and_saveexec_b64 s[2:3], s[0:1]
	s_cbranch_execz .LBB602_24
; %bb.23:
	s_load_dwordx2 s[0:1], s[4:5], 0x10
	s_mul_hi_i32 s23, s24, s6
	s_mul_i32 s22, s24, s6
	s_lshl_b64 s[22:23], s[22:23], 1
	s_mov_b32 s7, 0x7060302
	s_waitcnt lgkmcnt(0)
	s_add_u32 s28, s0, s22
	s_addc_u32 s0, s1, s23
	v_perm_b32 v9, v31, v30, s7
	v_perm_b32 v8, v41, v40, s7
	;; [unrolled: 1-line block ×4, first 2 shown]
	s_and_b32 s29, s0, 0xffff
	s_mov_b32 s31, 0x20000
	v_lshlrev_b32_e32 v10, 5, v0
	v_perm_b32 v5, v75, v74, s7
	v_perm_b32 v4, v21, v20, s7
	;; [unrolled: 1-line block ×4, first 2 shown]
	buffer_store_dwordx4 v[6:9], v10, s[28:31], 0 offen
	;;#ASMSTART
	s_nop 0
	;;#ASMEND
	buffer_store_dwordx4 v[2:5], v10, s[28:31], 16 offen
	;;#ASMSTART
	s_nop 0
	;;#ASMEND
.LBB602_24:
	s_or_b64 exec, exec, s[2:3]
	s_cmp_lt_i32 s16, 1
	s_cbranch_scc1 .LBB602_17
.LBB602_25:
	s_load_dword s0, s[4:5], 0x94
	s_waitcnt lgkmcnt(0)
	s_cmp_lg_u32 s0, 1
	s_cbranch_scc1 .LBB602_17
; %bb.26:
	s_lshl_b32 s0, s16, 1
	s_add_i32 s0, s0, 2
	v_cmp_gt_u32_e32 vcc, s16, v1
	s_and_b32 s22, s0, -4
	v_mov_b32_e32 v18, 0
	v_lshlrev_b32_e32 v1, 5, v0
	v_mov_b32_e32 v14, 0
	v_mov_b32_e32 v15, 0
	;; [unrolled: 1-line block ×16, first 2 shown]
	s_barrier
	s_and_saveexec_b64 s[0:1], vcc
	s_cbranch_execz .LBB602_28
; %bb.27:
	s_mul_hi_i32 s3, s18, s6
	s_mul_i32 s2, s18, s6
	s_and_b32 s21, s21, 0xffff
	s_lshl_b64 s[2:3], s[2:3], 1
	s_add_u32 s28, s10, s2
	s_mov_b32 s23, 0x20000
	s_addc_u32 s2, s11, s3
	s_and_b32 s29, s2, 0xffff
	s_mov_b32 s30, s22
	s_mov_b32 s31, s23
	buffer_load_dwordx4 v[14:17], v1, s[28:31], 0 offen
	buffer_load_dwordx4 v[10:13], v1, s[28:31], 16 offen
	;; [unrolled: 1-line block ×4, first 2 shown]
.LBB602_28:
	s_or_b64 exec, exec, s[0:1]
	v_mov_b32_e32 v19, 0
	v_mov_b32_e32 v32, 0
	;; [unrolled: 1-line block ×15, first 2 shown]
	s_and_saveexec_b64 s[0:1], vcc
	s_cbranch_execz .LBB602_30
; %bb.29:
	s_waitcnt vmcnt(3)
	v_cvt_f32_u32_sdwa v18, v14 dst_sel:DWORD dst_unused:UNUSED_PAD src0_sel:WORD_0
	v_cvt_f32_u32_sdwa v19, v14 dst_sel:DWORD dst_unused:UNUSED_PAD src0_sel:WORD_1
	v_cvt_f32_u32_sdwa v32, v15 dst_sel:DWORD dst_unused:UNUSED_PAD src0_sel:WORD_0
	v_cvt_f32_u32_sdwa v33, v15 dst_sel:DWORD dst_unused:UNUSED_PAD src0_sel:WORD_1
	;; [unrolled: 2-line block ×4, first 2 shown]
	s_waitcnt vmcnt(2)
	v_cvt_f32_u32_sdwa v26, v10 dst_sel:DWORD dst_unused:UNUSED_PAD src0_sel:WORD_0
	v_cvt_f32_u32_sdwa v27, v10 dst_sel:DWORD dst_unused:UNUSED_PAD src0_sel:WORD_1
	v_cvt_f32_u32_sdwa v24, v11 dst_sel:DWORD dst_unused:UNUSED_PAD src0_sel:WORD_0
	v_cvt_f32_u32_sdwa v25, v11 dst_sel:DWORD dst_unused:UNUSED_PAD src0_sel:WORD_1
	;; [unrolled: 2-line block ×4, first 2 shown]
.LBB602_30:
	s_or_b64 exec, exec, s[0:1]
	s_waitcnt vmcnt(2)
	v_mul_f32_e32 v10, v19, v19
	v_fmac_f32_e32 v10, v18, v18
	v_fmac_f32_e32 v10, v32, v32
	;; [unrolled: 1-line block ×15, first 2 shown]
	s_nop 1
	v_mov_b32_dpp v11, v10 quad_perm:[1,0,3,2] row_mask:0xf bank_mask:0xf
	v_add_f32_e32 v10, v10, v11
	s_nop 1
	v_mov_b32_dpp v11, v10 quad_perm:[2,3,0,1] row_mask:0xf bank_mask:0xf
	v_add_f32_e32 v10, v10, v11
	s_nop 1
	v_mov_b32_dpp v11, v10 row_half_mirror row_mask:0xf bank_mask:0xf
	v_add_f32_e32 v10, v10, v11
	s_nop 1
	v_mov_b32_dpp v11, v10 row_mirror row_mask:0xf bank_mask:0xf
	v_add_f32_e32 v10, v10, v11
	s_nop 1
	v_mov_b32_dpp v11, v10 row_bcast:15 row_mask:0xf bank_mask:0xf
	v_add_f32_e32 v10, v10, v11
	s_nop 1
	v_mov_b32_dpp v11, v10 row_bcast:31 row_mask:0xf bank_mask:0xf
	s_and_saveexec_b64 s[0:1], s[8:9]
	s_cbranch_execz .LBB602_32
; %bb.31:
	v_lshrrev_b32_e32 v0, 4, v0
	v_add_f32_e32 v10, v10, v11
	v_and_b32_e32 v0, 60, v0
	ds_write_b32 v0, v10
.LBB602_32:
	s_or_b64 exec, exec, s[0:1]
	s_waitcnt lgkmcnt(0)
	s_barrier
	ds_read_b32 v0, v34
	s_waitcnt lgkmcnt(0)
	s_nop 0
	v_mov_b32_dpp v10, v0 quad_perm:[1,0,3,2] row_mask:0xf bank_mask:0xf
	s_and_saveexec_b64 s[0:1], vcc
	s_cbranch_execz .LBB602_17
; %bb.33:
	v_cvt_f32_u32_e32 v11, s16
	v_add_f32_e32 v0, v0, v10
	s_mov_b32 s23, 0x20000
	v_div_scale_f32 v10, s[0:1], v11, v11, v0
	v_rcp_f32_e32 v12, v10
	v_div_scale_f32 v13, vcc, v0, v11, v0
	s_mov_b32 s0, 0x800000
	v_fma_f32 v14, -v10, v12, 1.0
	v_fmac_f32_e32 v12, v14, v12
	v_mul_f32_e32 v14, v13, v12
	v_fma_f32 v15, -v10, v14, v13
	v_fmac_f32_e32 v14, v15, v12
	v_fma_f32 v10, -v10, v14, v13
	v_div_fmas_f32 v10, v10, v12, v14
	v_div_fixup_f32 v0, v10, v11, v0
	v_add_f32_e32 v0, s13, v0
	v_mul_f32_e32 v10, 0x4b800000, v0
	v_cmp_gt_f32_e32 vcc, s0, v0
	v_cndmask_b32_e32 v0, v0, v10, vcc
	v_rsq_f32_e32 v0, v0
	s_mul_hi_i32 s1, s25, s6
	s_mul_i32 s0, s25, s6
	s_lshl_b64 s[0:1], s[0:1], 1
	v_mul_f32_e32 v10, 0x45800000, v0
	v_cndmask_b32_e32 v10, v0, v10, vcc
	v_mov_b32_e32 v11, v10
	;;#ASMSTART
	v_pk_mul_f32 v[12:13], v[18:19], v[10:11]
	;;#ASMEND
	;;#ASMSTART
	v_pk_mul_f32 v[14:15], v[32:33], v[10:11]
	;;#ASMEND
	;; [unrolled: 3-line block ×4, first 2 shown]
	s_waitcnt vmcnt(1)
	v_cvt_f32_u32_sdwa v29, v6 dst_sel:DWORD dst_unused:UNUSED_PAD src0_sel:WORD_1
	v_cvt_f32_u32_sdwa v28, v6 dst_sel:DWORD dst_unused:UNUSED_PAD src0_sel:WORD_0
	v_cvt_f32_u32_sdwa v31, v7 dst_sel:DWORD dst_unused:UNUSED_PAD src0_sel:WORD_1
	v_cvt_f32_u32_sdwa v30, v7 dst_sel:DWORD dst_unused:UNUSED_PAD src0_sel:WORD_0
	;;#ASMSTART
	v_pk_mul_f32 v[26:27], v[26:27], v[10:11]
	;;#ASMEND
	;;#ASMSTART
	v_pk_mul_f32 v[24:25], v[24:25], v[10:11]
	;;#ASMEND
	;; [unrolled: 3-line block ×4, first 2 shown]
	v_cvt_f32_u32_sdwa v21, v8 dst_sel:DWORD dst_unused:UNUSED_PAD src0_sel:WORD_1
	v_cvt_f32_u32_sdwa v20, v8 dst_sel:DWORD dst_unused:UNUSED_PAD src0_sel:WORD_0
	v_pk_add_f32 v[10:11], v[28:29], 1.0 op_sel_hi:[1,0]
	;;#ASMSTART
	v_pk_mul_f32 v[10:11], v[12:13], v[10:11]
	;;#ASMEND
	v_pk_add_f32 v[12:13], v[30:31], 1.0 op_sel_hi:[1,0]
	v_cvt_f32_u32_sdwa v29, v9 dst_sel:DWORD dst_unused:UNUSED_PAD src0_sel:WORD_1
	v_cvt_f32_u32_sdwa v28, v9 dst_sel:DWORD dst_unused:UNUSED_PAD src0_sel:WORD_0
	;;#ASMSTART
	v_pk_mul_f32 v[8:9], v[14:15], v[12:13]
	;;#ASMEND
	v_pk_add_f32 v[12:13], v[20:21], 1.0 op_sel_hi:[1,0]
	;;#ASMSTART
	v_pk_mul_f32 v[12:13], v[16:17], v[12:13]
	;;#ASMEND
	s_waitcnt vmcnt(0)
	v_cvt_f32_u32_sdwa v17, v2 dst_sel:DWORD dst_unused:UNUSED_PAD src0_sel:WORD_1
	v_cvt_f32_u32_sdwa v16, v2 dst_sel:DWORD dst_unused:UNUSED_PAD src0_sel:WORD_0
	v_cvt_f32_u32_sdwa v21, v3 dst_sel:DWORD dst_unused:UNUSED_PAD src0_sel:WORD_1
	v_cvt_f32_u32_sdwa v20, v3 dst_sel:DWORD dst_unused:UNUSED_PAD src0_sel:WORD_0
	v_pk_add_f32 v[14:15], v[28:29], 1.0 op_sel_hi:[1,0]
	;;#ASMSTART
	v_pk_mul_f32 v[14:15], v[18:19], v[14:15]
	;;#ASMEND
	v_pk_add_f32 v[2:3], v[16:17], 1.0 op_sel_hi:[1,0]
	v_cvt_f32_u32_sdwa v19, v4 dst_sel:DWORD dst_unused:UNUSED_PAD src0_sel:WORD_1
	v_cvt_f32_u32_sdwa v18, v4 dst_sel:DWORD dst_unused:UNUSED_PAD src0_sel:WORD_0
	;;#ASMSTART
	v_pk_mul_f32 v[16:17], v[26:27], v[2:3]
	;;#ASMEND
	v_pk_add_f32 v[2:3], v[20:21], 1.0 op_sel_hi:[1,0]
	v_cvt_f32_u32_sdwa v21, v5 dst_sel:DWORD dst_unused:UNUSED_PAD src0_sel:WORD_1
	v_cvt_f32_u32_sdwa v20, v5 dst_sel:DWORD dst_unused:UNUSED_PAD src0_sel:WORD_0
	s_add_u32 s20, s14, s0
	;;#ASMSTART
	v_pk_mul_f32 v[24:25], v[24:25], v[2:3]
	;;#ASMEND
	v_pk_add_f32 v[2:3], v[18:19], 1.0 op_sel_hi:[1,0]
	s_addc_u32 s0, s15, s1
	;;#ASMSTART
	v_pk_mul_f32 v[18:19], v[22:23], v[2:3]
	;;#ASMEND
	v_pk_add_f32 v[2:3], v[20:21], 1.0 op_sel_hi:[1,0]
	s_and_b32 s21, s0, 0xffff
	s_mov_b32 s0, 0x7060302
	;;#ASMSTART
	v_pk_mul_f32 v[6:7], v[6:7], v[2:3]
	;;#ASMEND
	v_perm_b32 v2, v11, v10, s0
	v_perm_b32 v3, v9, v8, s0
	;; [unrolled: 1-line block ×4, first 2 shown]
	buffer_store_dwordx4 v[2:5], v1, s[20:23], 0 offen
	;;#ASMSTART
	s_nop 0
	;;#ASMEND
	s_nop 0
	v_perm_b32 v2, v17, v16, s0
	v_perm_b32 v3, v25, v24, s0
	;; [unrolled: 1-line block ×4, first 2 shown]
	buffer_store_dwordx4 v[2:5], v1, s[20:23], 16 offen
	;;#ASMSTART
	s_nop 0
	;;#ASMEND
	s_endpgm
	.section	.rodata,"a",@progbits
	.p2align	6, 0x0
	.amdhsa_kernel _ZN5aiter35fused_qk_rmsnorm_group_quant_kernelItDB8_Li128ELi16ELi8ELb1ELb1ELb1ELb1ELb0ELb0EEEvPT0_PvPT_S6_S6_PKS5_S8_S8_S8_S8_ffiiiiiiiiiiiii
		.amdhsa_group_segment_fixed_size 16
		.amdhsa_private_segment_fixed_size 0
		.amdhsa_kernarg_size 400
		.amdhsa_user_sgpr_count 6
		.amdhsa_user_sgpr_private_segment_buffer 1
		.amdhsa_user_sgpr_dispatch_ptr 0
		.amdhsa_user_sgpr_queue_ptr 0
		.amdhsa_user_sgpr_kernarg_segment_ptr 1
		.amdhsa_user_sgpr_dispatch_id 0
		.amdhsa_user_sgpr_flat_scratch_init 0
		.amdhsa_user_sgpr_kernarg_preload_length 0
		.amdhsa_user_sgpr_kernarg_preload_offset 0
		.amdhsa_user_sgpr_private_segment_size 0
		.amdhsa_uses_dynamic_stack 0
		.amdhsa_system_sgpr_private_segment_wavefront_offset 0
		.amdhsa_system_sgpr_workgroup_id_x 1
		.amdhsa_system_sgpr_workgroup_id_y 1
		.amdhsa_system_sgpr_workgroup_id_z 0
		.amdhsa_system_sgpr_workgroup_info 0
		.amdhsa_system_vgpr_workitem_id 0
		.amdhsa_next_free_vgpr 76
		.amdhsa_next_free_sgpr 32
		.amdhsa_accum_offset 76
		.amdhsa_reserve_vcc 1
		.amdhsa_reserve_flat_scratch 0
		.amdhsa_float_round_mode_32 0
		.amdhsa_float_round_mode_16_64 0
		.amdhsa_float_denorm_mode_32 3
		.amdhsa_float_denorm_mode_16_64 3
		.amdhsa_dx10_clamp 1
		.amdhsa_ieee_mode 1
		.amdhsa_fp16_overflow 0
		.amdhsa_tg_split 0
		.amdhsa_exception_fp_ieee_invalid_op 0
		.amdhsa_exception_fp_denorm_src 0
		.amdhsa_exception_fp_ieee_div_zero 0
		.amdhsa_exception_fp_ieee_overflow 0
		.amdhsa_exception_fp_ieee_underflow 0
		.amdhsa_exception_fp_ieee_inexact 0
		.amdhsa_exception_int_div_zero 0
	.end_amdhsa_kernel
	.section	.text._ZN5aiter35fused_qk_rmsnorm_group_quant_kernelItDB8_Li128ELi16ELi8ELb1ELb1ELb1ELb1ELb0ELb0EEEvPT0_PvPT_S6_S6_PKS5_S8_S8_S8_S8_ffiiiiiiiiiiiii,"axG",@progbits,_ZN5aiter35fused_qk_rmsnorm_group_quant_kernelItDB8_Li128ELi16ELi8ELb1ELb1ELb1ELb1ELb0ELb0EEEvPT0_PvPT_S6_S6_PKS5_S8_S8_S8_S8_ffiiiiiiiiiiiii,comdat
.Lfunc_end602:
	.size	_ZN5aiter35fused_qk_rmsnorm_group_quant_kernelItDB8_Li128ELi16ELi8ELb1ELb1ELb1ELb1ELb0ELb0EEEvPT0_PvPT_S6_S6_PKS5_S8_S8_S8_S8_ffiiiiiiiiiiiii, .Lfunc_end602-_ZN5aiter35fused_qk_rmsnorm_group_quant_kernelItDB8_Li128ELi16ELi8ELb1ELb1ELb1ELb1ELb0ELb0EEEvPT0_PvPT_S6_S6_PKS5_S8_S8_S8_S8_ffiiiiiiiiiiiii
                                        ; -- End function
	.section	.AMDGPU.csdata,"",@progbits
; Kernel info:
; codeLenInByte = 3536
; NumSgprs: 36
; NumVgprs: 76
; NumAgprs: 0
; TotalNumVgprs: 76
; ScratchSize: 0
; MemoryBound: 0
; FloatMode: 240
; IeeeMode: 1
; LDSByteSize: 16 bytes/workgroup (compile time only)
; SGPRBlocks: 4
; VGPRBlocks: 9
; NumSGPRsForWavesPerEU: 36
; NumVGPRsForWavesPerEU: 76
; AccumOffset: 76
; Occupancy: 6
; WaveLimiterHint : 0
; COMPUTE_PGM_RSRC2:SCRATCH_EN: 0
; COMPUTE_PGM_RSRC2:USER_SGPR: 6
; COMPUTE_PGM_RSRC2:TRAP_HANDLER: 0
; COMPUTE_PGM_RSRC2:TGID_X_EN: 1
; COMPUTE_PGM_RSRC2:TGID_Y_EN: 1
; COMPUTE_PGM_RSRC2:TGID_Z_EN: 0
; COMPUTE_PGM_RSRC2:TIDIG_COMP_CNT: 0
; COMPUTE_PGM_RSRC3_GFX90A:ACCUM_OFFSET: 18
; COMPUTE_PGM_RSRC3_GFX90A:TG_SPLIT: 0
	.section	.text._ZN5aiter35fused_qk_rmsnorm_group_quant_kernelIDF16_N4opus5fp4_tELi128ELi16ELi8ELb1ELb1ELb1ELb1ELb0ELb0EEEvPT0_PvPT_S7_S7_PKS6_S9_S9_S9_S9_ffiiiiiiiiiiiii,"axG",@progbits,_ZN5aiter35fused_qk_rmsnorm_group_quant_kernelIDF16_N4opus5fp4_tELi128ELi16ELi8ELb1ELb1ELb1ELb1ELb0ELb0EEEvPT0_PvPT_S7_S7_PKS6_S9_S9_S9_S9_ffiiiiiiiiiiiii,comdat
	.protected	_ZN5aiter35fused_qk_rmsnorm_group_quant_kernelIDF16_N4opus5fp4_tELi128ELi16ELi8ELb1ELb1ELb1ELb1ELb0ELb0EEEvPT0_PvPT_S7_S7_PKS6_S9_S9_S9_S9_ffiiiiiiiiiiiii ; -- Begin function _ZN5aiter35fused_qk_rmsnorm_group_quant_kernelIDF16_N4opus5fp4_tELi128ELi16ELi8ELb1ELb1ELb1ELb1ELb0ELb0EEEvPT0_PvPT_S7_S7_PKS6_S9_S9_S9_S9_ffiiiiiiiiiiiii
	.globl	_ZN5aiter35fused_qk_rmsnorm_group_quant_kernelIDF16_N4opus5fp4_tELi128ELi16ELi8ELb1ELb1ELb1ELb1ELb0ELb0EEEvPT0_PvPT_S7_S7_PKS6_S9_S9_S9_S9_ffiiiiiiiiiiiii
	.p2align	8
	.type	_ZN5aiter35fused_qk_rmsnorm_group_quant_kernelIDF16_N4opus5fp4_tELi128ELi16ELi8ELb1ELb1ELb1ELb1ELb0ELb0EEEvPT0_PvPT_S7_S7_PKS6_S9_S9_S9_S9_ffiiiiiiiiiiiii,@function
_ZN5aiter35fused_qk_rmsnorm_group_quant_kernelIDF16_N4opus5fp4_tELi128ELi16ELi8ELb1ELb1ELb1ELb1ELb0ELb0EEEvPT0_PvPT_S7_S7_PKS6_S9_S9_S9_S9_ffiiiiiiiiiiiii: ; @_ZN5aiter35fused_qk_rmsnorm_group_quant_kernelIDF16_N4opus5fp4_tELi128ELi16ELi8ELb1ELb1ELb1ELb1ELb0ELb0EEEvPT0_PvPT_S7_S7_PKS6_S9_S9_S9_S9_ffiiiiiiiiiiiii
; %bb.0:
	s_load_dwordx8 s[12:19], s[4:5], 0x50
	s_waitcnt lgkmcnt(0)
	s_cmp_ge_i32 s6, s14
	s_cbranch_scc1 .LBB603_17
; %bb.1:
	s_cmp_lg_u32 s7, 0
	s_cselect_b64 s[22:23], -1, 0
	s_cmp_eq_u32 s7, 0
	s_cselect_b64 s[2:3], -1, 0
	s_and_b64 s[0:1], s[2:3], exec
	s_cselect_b32 s7, s15, s16
	s_load_dwordx2 s[10:11], s[4:5], 0x30
	s_load_dwordx2 s[20:21], s[4:5], 0x48
	s_add_i32 s0, s7, 1
	s_lshr_b32 s1, s0, 31
	s_add_i32 s0, s0, s1
	s_lshl_b32 s0, s0, 1
	v_lshlrev_b32_e32 v1, 4, v0
	s_and_b32 s30, s0, -4
	v_cmp_gt_i32_e64 s[0:1], s7, v1
	v_mov_b32_e32 v6, 0
	v_mov_b32_e32 v7, 0
	;; [unrolled: 1-line block ×16, first 2 shown]
	s_and_saveexec_b64 s[8:9], s[0:1]
	s_cbranch_execz .LBB603_3
; %bb.2:
	s_load_dwordx2 s[14:15], s[4:5], 0x28
	s_load_dwordx2 s[26:27], s[4:5], 0x40
	s_and_b64 s[24:25], s[2:3], exec
	s_cselect_b32 s17, s17, s18
	s_mov_b32 s31, 0x20000
	s_waitcnt lgkmcnt(0)
	s_cselect_b32 s25, s15, s11
	s_cselect_b32 s24, s14, s10
	s_mul_hi_i32 s15, s17, s6
	s_mul_i32 s14, s17, s6
	s_lshl_b64 s[14:15], s[14:15], 1
	s_add_u32 s24, s24, s14
	s_addc_u32 s17, s25, s15
	s_and_b64 s[14:15], s[2:3], exec
	s_cselect_b32 s28, s26, s20
	s_cselect_b32 s14, s27, s21
	s_and_b32 s25, s17, 0xffff
	s_mov_b32 s26, s30
	s_mov_b32 s27, s31
	v_lshlrev_b32_e32 v18, 5, v0
	s_and_b32 s29, s14, 0xffff
	buffer_load_dwordx4 v[10:13], v18, s[24:27], 0 offen
	buffer_load_dwordx4 v[14:17], v18, s[24:27], 16 offen
	;; [unrolled: 1-line block ×4, first 2 shown]
.LBB603_3:
	s_or_b64 exec, exec, s[8:9]
	s_load_dwordx4 s[24:27], s[4:5], 0x7c
	s_and_b64 vcc, exec, s[22:23]
	s_cbranch_vccz .LBB603_7
; %bb.4:
	v_mov_b32_e32 v19, 0
	v_mov_b32_e32 v18, 0
	;; [unrolled: 1-line block ×16, first 2 shown]
	s_and_saveexec_b64 s[8:9], s[0:1]
	s_cbranch_execz .LBB603_6
; %bb.5:
	s_waitcnt vmcnt(3)
	v_cvt_f32_f16_sdwa v27, v10 dst_sel:DWORD dst_unused:UNUSED_PAD src0_sel:WORD_1
	v_cvt_f32_f16_e32 v26, v10
	v_cvt_f32_f16_sdwa v31, v11 dst_sel:DWORD dst_unused:UNUSED_PAD src0_sel:WORD_1
	v_cvt_f32_f16_e32 v30, v11
	;; [unrolled: 2-line block ×4, first 2 shown]
	s_waitcnt vmcnt(2)
	v_cvt_f32_f16_sdwa v21, v14 dst_sel:DWORD dst_unused:UNUSED_PAD src0_sel:WORD_1
	v_cvt_f32_f16_e32 v20, v14
	v_cvt_f32_f16_sdwa v25, v15 dst_sel:DWORD dst_unused:UNUSED_PAD src0_sel:WORD_1
	v_cvt_f32_f16_e32 v24, v15
	;; [unrolled: 2-line block ×4, first 2 shown]
.LBB603_6:
	s_or_b64 exec, exec, s[8:9]
	s_cbranch_execz .LBB603_8
	s_branch .LBB603_11
.LBB603_7:
                                        ; implicit-def: $vgpr19
                                        ; implicit-def: $vgpr23
                                        ; implicit-def: $vgpr25
                                        ; implicit-def: $vgpr21
                                        ; implicit-def: $vgpr33
                                        ; implicit-def: $vgpr29
                                        ; implicit-def: $vgpr31
                                        ; implicit-def: $vgpr27
.LBB603_8:
	v_mov_b32_e32 v19, 0
	v_mov_b32_e32 v18, 0
	;; [unrolled: 1-line block ×16, first 2 shown]
	s_and_saveexec_b64 s[8:9], s[0:1]
	s_cbranch_execz .LBB603_10
; %bb.9:
	s_load_dwordx2 s[14:15], s[4:5], 0x38
	s_mul_hi_i32 s29, s19, s6
	s_mul_i32 s28, s19, s6
	s_lshl_b64 s[28:29], s[28:29], 1
	s_mov_b32 s31, 0x20000
	s_waitcnt lgkmcnt(0)
	s_add_u32 s28, s14, s28
	s_addc_u32 s14, s15, s29
	s_and_b32 s29, s14, 0xffff
	v_lshlrev_b32_e32 v48, 5, v0
	buffer_load_dwordx4 v[18:21], v48, s[28:31], 16 offen
	buffer_load_dwordx4 v[22:25], v48, s[28:31], 0 offen
	s_waitcnt vmcnt(4)
	v_cvt_f32_f16_sdwa v27, v14 dst_sel:DWORD dst_unused:UNUSED_PAD src0_sel:WORD_1
	v_cvt_f32_f16_e32 v26, v14
	v_cvt_f32_f16_sdwa v29, v15 dst_sel:DWORD dst_unused:UNUSED_PAD src0_sel:WORD_1
	v_cvt_f32_f16_e32 v28, v15
	;; [unrolled: 2-line block ×8, first 2 shown]
	s_load_dwordx2 s[14:15], s[4:5], 0x20
	s_mul_hi_i32 s27, s26, s6
	s_mul_i32 s26, s26, s6
	s_lshl_b64 s[26:27], s[26:27], 1
	s_waitcnt lgkmcnt(0)
	s_add_u32 s28, s14, s26
	s_addc_u32 s14, s15, s27
	s_and_b32 s29, s14, 0xffff
	s_waitcnt vmcnt(1)
	v_cvt_f32_f16_e32 v12, v18
	v_cvt_f32_f16_sdwa v13, v18 dst_sel:DWORD dst_unused:UNUSED_PAD src0_sel:WORD_1
	v_cvt_f32_f16_e32 v18, v19
	v_cvt_f32_f16_sdwa v19, v19 dst_sel:DWORD dst_unused:UNUSED_PAD src0_sel:WORD_1
	;; [unrolled: 2-line block ×4, first 2 shown]
	s_waitcnt vmcnt(0)
	v_cvt_f32_f16_e32 v40, v22
	v_cvt_f32_f16_sdwa v41, v22 dst_sel:DWORD dst_unused:UNUSED_PAD src0_sel:WORD_1
	v_cvt_f32_f16_e32 v42, v23
	v_cvt_f32_f16_sdwa v43, v23 dst_sel:DWORD dst_unused:UNUSED_PAD src0_sel:WORD_1
	;; [unrolled: 2-line block ×4, first 2 shown]
	v_pk_add_f32 v[20:21], v[26:27], v[12:13]
	v_pk_add_f32 v[24:25], v[28:29], v[18:19]
	;; [unrolled: 1-line block ×8, first 2 shown]
	v_cvt_f16_f32_e32 v10, v27
	v_cvt_f16_f32_e32 v14, v26
	;; [unrolled: 1-line block ×16, first 2 shown]
	v_pack_b32_f16 v13, v17, v13
	v_pack_b32_f16 v12, v16, v12
	;; [unrolled: 1-line block ×8, first 2 shown]
	buffer_store_dwordx4 v[10:13], v48, s[28:31], 0 offen
	;;#ASMSTART
	s_nop 0
	;;#ASMEND
	buffer_store_dwordx4 v[14:17], v48, s[28:31], 16 offen
	;;#ASMSTART
	s_nop 0
	;;#ASMEND
.LBB603_10:
	s_or_b64 exec, exec, s[8:9]
.LBB603_11:
	s_waitcnt vmcnt(3)
	v_mul_f32_e32 v10, v27, v27
	v_fmac_f32_e32 v10, v26, v26
	v_fmac_f32_e32 v10, v30, v30
	v_fmac_f32_e32 v10, v31, v31
	v_fmac_f32_e32 v10, v28, v28
	v_fmac_f32_e32 v10, v29, v29
	v_fmac_f32_e32 v10, v32, v32
	v_fmac_f32_e32 v10, v33, v33
	v_fmac_f32_e32 v10, v20, v20
	v_fmac_f32_e32 v10, v21, v21
	v_fmac_f32_e32 v10, v24, v24
	v_fmac_f32_e32 v10, v25, v25
	v_fmac_f32_e32 v10, v22, v22
	v_fmac_f32_e32 v10, v23, v23
	v_fmac_f32_e32 v10, v18, v18
	v_fmac_f32_e32 v10, v19, v19
	v_and_b32_e32 v12, 63, v0
	v_cmp_eq_u32_e64 s[8:9], 63, v12
	v_mov_b32_dpp v11, v10 quad_perm:[1,0,3,2] row_mask:0xf bank_mask:0xf
	v_add_f32_e32 v10, v10, v11
	s_nop 1
	v_mov_b32_dpp v11, v10 quad_perm:[2,3,0,1] row_mask:0xf bank_mask:0xf
	v_add_f32_e32 v10, v10, v11
	s_nop 1
	v_mov_b32_dpp v11, v10 row_half_mirror row_mask:0xf bank_mask:0xf
	v_add_f32_e32 v10, v10, v11
	s_nop 1
	v_mov_b32_dpp v11, v10 row_mirror row_mask:0xf bank_mask:0xf
	v_add_f32_e32 v10, v10, v11
	s_nop 1
	v_mov_b32_dpp v11, v10 row_bcast:15 row_mask:0xf bank_mask:0xf
	v_add_f32_e32 v10, v10, v11
	s_nop 1
	v_mov_b32_dpp v11, v10 row_bcast:31 row_mask:0xf bank_mask:0xf
	s_and_saveexec_b64 s[14:15], s[8:9]
	s_cbranch_execz .LBB603_13
; %bb.12:
	v_add_f32_e32 v10, v10, v11
	v_lshrrev_b32_e32 v11, 4, v0
	v_and_b32_e32 v11, 60, v11
	ds_write_b32 v11, v10 offset:8
.LBB603_13:
	s_or_b64 exec, exec, s[14:15]
	v_and_b32_e32 v10, 1, v0
	v_lshlrev_b32_e32 v34, 2, v10
	s_waitcnt lgkmcnt(0)
	s_barrier
	ds_read_b32 v10, v34 offset:8
	s_load_dwordx2 s[14:15], s[4:5], 0x18
	s_waitcnt lgkmcnt(0)
	v_mov_b32_dpp v11, v10 quad_perm:[1,0,3,2] row_mask:0xf bank_mask:0xf
	s_and_saveexec_b64 s[26:27], s[0:1]
	s_cbranch_execnz .LBB603_18
; %bb.14:
	s_or_b64 exec, exec, s[26:27]
	s_mov_b64 s[2:3], -1
	s_and_b64 vcc, exec, s[22:23]
	s_cbranch_vccnz .LBB603_19
.LBB603_15:
	s_andn2_b64 vcc, exec, s[2:3]
	s_cbranch_vccz .LBB603_22
.LBB603_16:
	s_cmp_lt_i32 s16, 1
	s_cbranch_scc0 .LBB603_25
.LBB603_17:
	s_endpgm
.LBB603_18:
	v_cvt_f32_u32_e32 v12, s7
	v_add_f32_e32 v10, v10, v11
	s_waitcnt vmcnt(2)
	v_mov_b32_e32 v14, s13
	v_mov_b32_e32 v15, s12
	v_div_scale_f32 v11, s[28:29], v12, v12, v10
	v_rcp_f32_e32 v13, v11
	v_cndmask_b32_e64 v14, v14, v15, s[2:3]
	s_mov_b32 s2, 0x800000
	v_fma_f32 v15, -v11, v13, 1.0
	v_fmac_f32_e32 v13, v15, v13
	v_div_scale_f32 v15, vcc, v10, v12, v10
	v_mul_f32_e32 v16, v15, v13
	v_fma_f32 v17, -v11, v16, v15
	v_fmac_f32_e32 v16, v17, v13
	v_fma_f32 v11, -v11, v16, v15
	v_div_fmas_f32 v11, v11, v13, v16
	v_div_fixup_f32 v10, v11, v12, v10
	v_add_f32_e32 v10, v14, v10
	v_mul_f32_e32 v11, 0x4b800000, v10
	v_cmp_gt_f32_e32 vcc, s2, v10
	v_cndmask_b32_e32 v10, v10, v11, vcc
	v_rsq_f32_e32 v10, v10
	v_mul_f32_e32 v11, 0x45800000, v10
	v_cndmask_b32_e32 v10, v10, v11, vcc
	v_mov_b32_e32 v11, v10
	;;#ASMSTART
	v_pk_mul_f32 v[12:13], v[26:27], v[10:11]
	;;#ASMEND
	s_waitcnt vmcnt(1)
	v_cvt_f32_f16_sdwa v27, v6 dst_sel:DWORD dst_unused:UNUSED_PAD src0_sel:WORD_1
	v_cvt_f32_f16_e32 v26, v6
	;;#ASMSTART
	v_pk_mul_f32 v[14:15], v[30:31], v[10:11]
	;;#ASMEND
	;;#ASMSTART
	v_pk_mul_f32 v[16:17], v[28:29], v[10:11]
	;;#ASMEND
	v_cvt_f32_f16_sdwa v29, v7 dst_sel:DWORD dst_unused:UNUSED_PAD src0_sel:WORD_1
	v_cvt_f32_f16_e32 v28, v7
	;;#ASMSTART
	v_pk_mul_f32 v[32:33], v[32:33], v[10:11]
	;;#ASMEND
	;;#ASMSTART
	v_pk_mul_f32 v[20:21], v[20:21], v[10:11]
	;;#ASMEND
	;; [unrolled: 3-line block ×5, first 2 shown]
	v_pk_add_f32 v[10:11], v[26:27], 1.0 op_sel_hi:[1,0]
	;;#ASMSTART
	v_pk_mul_f32 v[26:27], v[12:13], v[10:11]
	;;#ASMEND
	v_cvt_f32_f16_sdwa v13, v8 dst_sel:DWORD dst_unused:UNUSED_PAD src0_sel:WORD_1
	v_cvt_f32_f16_e32 v12, v8
	v_cvt_f32_f16_sdwa v19, v9 dst_sel:DWORD dst_unused:UNUSED_PAD src0_sel:WORD_1
	v_cvt_f32_f16_e32 v18, v9
	v_pk_add_f32 v[10:11], v[28:29], 1.0 op_sel_hi:[1,0]
	;;#ASMSTART
	v_pk_mul_f32 v[30:31], v[14:15], v[10:11]
	;;#ASMEND
	s_waitcnt vmcnt(0)
	v_cvt_f32_f16_sdwa v11, v2 dst_sel:DWORD dst_unused:UNUSED_PAD src0_sel:WORD_1
	v_cvt_f32_f16_e32 v10, v2
	v_pk_add_f32 v[8:9], v[12:13], 1.0 op_sel_hi:[1,0]
	;;#ASMSTART
	v_pk_mul_f32 v[28:29], v[16:17], v[8:9]
	;;#ASMEND
	v_pk_add_f32 v[8:9], v[18:19], 1.0 op_sel_hi:[1,0]
	v_cvt_f32_f16_sdwa v13, v3 dst_sel:DWORD dst_unused:UNUSED_PAD src0_sel:WORD_1
	v_cvt_f32_f16_e32 v12, v3
	;;#ASMSTART
	v_pk_mul_f32 v[32:33], v[32:33], v[8:9]
	;;#ASMEND
	v_cvt_f32_f16_sdwa v9, v4 dst_sel:DWORD dst_unused:UNUSED_PAD src0_sel:WORD_1
	v_cvt_f32_f16_e32 v8, v4
	v_pk_add_f32 v[2:3], v[10:11], 1.0 op_sel_hi:[1,0]
	v_cvt_f32_f16_sdwa v11, v5 dst_sel:DWORD dst_unused:UNUSED_PAD src0_sel:WORD_1
	v_cvt_f32_f16_e32 v10, v5
	;;#ASMSTART
	v_pk_mul_f32 v[20:21], v[20:21], v[2:3]
	;;#ASMEND
	v_pk_add_f32 v[2:3], v[12:13], 1.0 op_sel_hi:[1,0]
	;;#ASMSTART
	v_pk_mul_f32 v[24:25], v[24:25], v[2:3]
	;;#ASMEND
	v_pk_add_f32 v[2:3], v[8:9], 1.0 op_sel_hi:[1,0]
	;; [unrolled: 4-line block ×3, first 2 shown]
	;;#ASMSTART
	v_pk_mul_f32 v[18:19], v[6:7], v[2:3]
	;;#ASMEND
	s_or_b64 exec, exec, s[26:27]
	s_mov_b64 s[2:3], -1
	s_and_b64 vcc, exec, s[22:23]
	s_cbranch_vccz .LBB603_15
.LBB603_19:
	s_and_saveexec_b64 s[2:3], s[0:1]
	s_cbranch_execz .LBB603_21
; %bb.20:
	s_mul_hi_i32 s23, s25, s6
	s_mul_i32 s22, s25, s6
	s_waitcnt vmcnt(0)
	v_cvt_f16_f32_e32 v2, v26
	v_cvt_f16_f32_e32 v3, v30
	;; [unrolled: 1-line block ×8, first 2 shown]
	s_lshl_b64 s[22:23], s[22:23], 1
	s_add_u32 s28, s14, s22
	s_addc_u32 s7, s15, s23
	s_and_b32 s29, s7, 0xffff
	s_mov_b32 s31, 0x20000
	v_pack_b32_f16 v5, v5, v6
	v_pack_b32_f16 v4, v4, v7
	;; [unrolled: 1-line block ×4, first 2 shown]
	v_lshlrev_b32_e32 v6, 5, v0
	buffer_store_dwordx4 v[2:5], v6, s[28:31], 0 offen
	v_cvt_f16_f32_e32 v7, v19
	v_cvt_f16_f32_e32 v2, v20
	;; [unrolled: 1-line block ×8, first 2 shown]
	v_pack_b32_f16 v5, v5, v7
	v_pack_b32_f16 v4, v4, v8
	;; [unrolled: 1-line block ×4, first 2 shown]
	;;#ASMSTART
	s_nop 0
	;;#ASMEND
	buffer_store_dwordx4 v[2:5], v6, s[28:31], 16 offen
	;;#ASMSTART
	s_nop 0
	;;#ASMEND
.LBB603_21:
	s_or_b64 exec, exec, s[2:3]
	s_cbranch_execnz .LBB603_16
.LBB603_22:
	s_and_saveexec_b64 s[2:3], s[0:1]
	s_cbranch_execz .LBB603_24
; %bb.23:
	s_load_dwordx2 s[0:1], s[4:5], 0x10
	s_mul_hi_i32 s23, s24, s6
	s_mul_i32 s22, s24, s6
	s_waitcnt vmcnt(0)
	v_cvt_f16_f32_e32 v2, v26
	v_cvt_f16_f32_e32 v3, v30
	;; [unrolled: 1-line block ×8, first 2 shown]
	s_lshl_b64 s[22:23], s[22:23], 1
	s_waitcnt lgkmcnt(0)
	s_add_u32 s28, s0, s22
	s_addc_u32 s0, s1, s23
	s_mov_b32 s31, 0x20000
	s_and_b32 s29, s0, 0xffff
	v_pack_b32_f16 v5, v5, v6
	v_pack_b32_f16 v4, v4, v7
	;; [unrolled: 1-line block ×4, first 2 shown]
	v_lshlrev_b32_e32 v6, 5, v0
	buffer_store_dwordx4 v[2:5], v6, s[28:31], 0 offen
	v_cvt_f16_f32_e32 v7, v19
	v_cvt_f16_f32_e32 v2, v20
	;; [unrolled: 1-line block ×8, first 2 shown]
	v_pack_b32_f16 v5, v5, v7
	v_pack_b32_f16 v4, v4, v8
	;; [unrolled: 1-line block ×4, first 2 shown]
	;;#ASMSTART
	s_nop 0
	;;#ASMEND
	buffer_store_dwordx4 v[2:5], v6, s[28:31], 16 offen
	;;#ASMSTART
	s_nop 0
	;;#ASMEND
.LBB603_24:
	s_or_b64 exec, exec, s[2:3]
	s_cmp_lt_i32 s16, 1
	s_cbranch_scc1 .LBB603_17
.LBB603_25:
	s_load_dword s0, s[4:5], 0x94
	s_waitcnt lgkmcnt(0)
	s_cmp_lg_u32 s0, 1
	s_cbranch_scc1 .LBB603_17
; %bb.26:
	s_lshl_b32 s0, s16, 1
	s_add_i32 s0, s0, 2
	v_cmp_gt_u32_e32 vcc, s16, v1
	s_and_b32 s22, s0, -4
	v_mov_b32_e32 v18, 0
	v_lshlrev_b32_e32 v1, 5, v0
	s_waitcnt vmcnt(2)
	v_mov_b32_e32 v14, 0
	v_mov_b32_e32 v15, 0
	;; [unrolled: 1-line block ×8, first 2 shown]
	s_waitcnt vmcnt(1)
	v_mov_b32_e32 v6, 0
	v_mov_b32_e32 v7, 0
	;; [unrolled: 1-line block ×4, first 2 shown]
	s_waitcnt vmcnt(0)
	v_mov_b32_e32 v2, 0
	v_mov_b32_e32 v3, 0
	;; [unrolled: 1-line block ×4, first 2 shown]
	s_barrier
	s_and_saveexec_b64 s[0:1], vcc
	s_cbranch_execz .LBB603_28
; %bb.27:
	s_mul_hi_i32 s3, s18, s6
	s_mul_i32 s2, s18, s6
	s_and_b32 s21, s21, 0xffff
	s_lshl_b64 s[2:3], s[2:3], 1
	s_add_u32 s28, s10, s2
	s_mov_b32 s23, 0x20000
	s_addc_u32 s2, s11, s3
	s_and_b32 s29, s2, 0xffff
	s_mov_b32 s30, s22
	s_mov_b32 s31, s23
	buffer_load_dwordx4 v[14:17], v1, s[28:31], 0 offen
	buffer_load_dwordx4 v[10:13], v1, s[28:31], 16 offen
	;; [unrolled: 1-line block ×4, first 2 shown]
.LBB603_28:
	s_or_b64 exec, exec, s[0:1]
	v_mov_b32_e32 v19, 0
	v_mov_b32_e32 v32, 0
	;; [unrolled: 1-line block ×15, first 2 shown]
	s_and_saveexec_b64 s[0:1], vcc
	s_cbranch_execz .LBB603_30
; %bb.29:
	s_waitcnt vmcnt(3)
	v_cvt_f32_f16_sdwa v19, v14 dst_sel:DWORD dst_unused:UNUSED_PAD src0_sel:WORD_1
	v_cvt_f32_f16_e32 v18, v14
	v_cvt_f32_f16_sdwa v33, v15 dst_sel:DWORD dst_unused:UNUSED_PAD src0_sel:WORD_1
	v_cvt_f32_f16_e32 v32, v15
	;; [unrolled: 2-line block ×4, first 2 shown]
	s_waitcnt vmcnt(2)
	v_cvt_f32_f16_sdwa v27, v10 dst_sel:DWORD dst_unused:UNUSED_PAD src0_sel:WORD_1
	v_cvt_f32_f16_e32 v26, v10
	v_cvt_f32_f16_sdwa v25, v11 dst_sel:DWORD dst_unused:UNUSED_PAD src0_sel:WORD_1
	v_cvt_f32_f16_e32 v24, v11
	;; [unrolled: 2-line block ×4, first 2 shown]
.LBB603_30:
	s_or_b64 exec, exec, s[0:1]
	s_waitcnt vmcnt(2)
	v_mul_f32_e32 v10, v19, v19
	v_fmac_f32_e32 v10, v18, v18
	v_fmac_f32_e32 v10, v32, v32
	;; [unrolled: 1-line block ×15, first 2 shown]
	s_nop 1
	v_mov_b32_dpp v11, v10 quad_perm:[1,0,3,2] row_mask:0xf bank_mask:0xf
	v_add_f32_e32 v10, v10, v11
	s_nop 1
	v_mov_b32_dpp v11, v10 quad_perm:[2,3,0,1] row_mask:0xf bank_mask:0xf
	v_add_f32_e32 v10, v10, v11
	s_nop 1
	v_mov_b32_dpp v11, v10 row_half_mirror row_mask:0xf bank_mask:0xf
	v_add_f32_e32 v10, v10, v11
	s_nop 1
	v_mov_b32_dpp v11, v10 row_mirror row_mask:0xf bank_mask:0xf
	v_add_f32_e32 v10, v10, v11
	s_nop 1
	v_mov_b32_dpp v11, v10 row_bcast:15 row_mask:0xf bank_mask:0xf
	v_add_f32_e32 v10, v10, v11
	s_nop 1
	v_mov_b32_dpp v11, v10 row_bcast:31 row_mask:0xf bank_mask:0xf
	s_and_saveexec_b64 s[0:1], s[8:9]
	s_cbranch_execz .LBB603_32
; %bb.31:
	v_lshrrev_b32_e32 v0, 4, v0
	v_add_f32_e32 v10, v10, v11
	v_and_b32_e32 v0, 60, v0
	ds_write_b32 v0, v10
.LBB603_32:
	s_or_b64 exec, exec, s[0:1]
	s_waitcnt lgkmcnt(0)
	s_barrier
	ds_read_b32 v0, v34
	s_waitcnt lgkmcnt(0)
	s_nop 0
	v_mov_b32_dpp v10, v0 quad_perm:[1,0,3,2] row_mask:0xf bank_mask:0xf
	s_and_saveexec_b64 s[0:1], vcc
	s_cbranch_execz .LBB603_17
; %bb.33:
	v_cvt_f32_u32_e32 v11, s16
	v_add_f32_e32 v0, v0, v10
	s_mov_b32 s23, 0x20000
	v_div_scale_f32 v10, s[0:1], v11, v11, v0
	v_rcp_f32_e32 v12, v10
	v_div_scale_f32 v13, vcc, v0, v11, v0
	s_mov_b32 s0, 0x800000
	v_fma_f32 v14, -v10, v12, 1.0
	v_fmac_f32_e32 v12, v14, v12
	v_mul_f32_e32 v14, v13, v12
	v_fma_f32 v15, -v10, v14, v13
	v_fmac_f32_e32 v14, v15, v12
	v_fma_f32 v10, -v10, v14, v13
	v_div_fmas_f32 v10, v10, v12, v14
	v_div_fixup_f32 v0, v10, v11, v0
	v_add_f32_e32 v0, s13, v0
	v_mul_f32_e32 v10, 0x4b800000, v0
	v_cmp_gt_f32_e32 vcc, s0, v0
	v_cndmask_b32_e32 v0, v0, v10, vcc
	v_rsq_f32_e32 v0, v0
	s_mul_hi_i32 s1, s25, s6
	s_mul_i32 s0, s25, s6
	s_lshl_b64 s[0:1], s[0:1], 1
	v_mul_f32_e32 v10, 0x45800000, v0
	v_cndmask_b32_e32 v10, v0, v10, vcc
	v_mov_b32_e32 v11, v10
	;;#ASMSTART
	v_pk_mul_f32 v[12:13], v[18:19], v[10:11]
	;;#ASMEND
	;;#ASMSTART
	v_pk_mul_f32 v[14:15], v[32:33], v[10:11]
	;;#ASMEND
	;; [unrolled: 3-line block ×4, first 2 shown]
	s_waitcnt vmcnt(1)
	v_cvt_f32_f16_sdwa v29, v6 dst_sel:DWORD dst_unused:UNUSED_PAD src0_sel:WORD_1
	v_cvt_f32_f16_e32 v28, v6
	v_cvt_f32_f16_sdwa v31, v7 dst_sel:DWORD dst_unused:UNUSED_PAD src0_sel:WORD_1
	v_cvt_f32_f16_e32 v30, v7
	;;#ASMSTART
	v_pk_mul_f32 v[26:27], v[26:27], v[10:11]
	;;#ASMEND
	;;#ASMSTART
	v_pk_mul_f32 v[24:25], v[24:25], v[10:11]
	;;#ASMEND
	;; [unrolled: 3-line block ×4, first 2 shown]
	v_cvt_f32_f16_sdwa v21, v8 dst_sel:DWORD dst_unused:UNUSED_PAD src0_sel:WORD_1
	v_cvt_f32_f16_e32 v20, v8
	v_pk_add_f32 v[10:11], v[28:29], 1.0 op_sel_hi:[1,0]
	;;#ASMSTART
	v_pk_mul_f32 v[10:11], v[12:13], v[10:11]
	;;#ASMEND
	v_pk_add_f32 v[12:13], v[30:31], 1.0 op_sel_hi:[1,0]
	v_cvt_f32_f16_sdwa v29, v9 dst_sel:DWORD dst_unused:UNUSED_PAD src0_sel:WORD_1
	v_cvt_f32_f16_e32 v28, v9
	;;#ASMSTART
	v_pk_mul_f32 v[8:9], v[14:15], v[12:13]
	;;#ASMEND
	v_pk_add_f32 v[12:13], v[20:21], 1.0 op_sel_hi:[1,0]
	;;#ASMSTART
	v_pk_mul_f32 v[12:13], v[16:17], v[12:13]
	;;#ASMEND
	s_waitcnt vmcnt(0)
	v_cvt_f32_f16_sdwa v17, v2 dst_sel:DWORD dst_unused:UNUSED_PAD src0_sel:WORD_1
	v_cvt_f32_f16_e32 v16, v2
	v_cvt_f32_f16_sdwa v21, v3 dst_sel:DWORD dst_unused:UNUSED_PAD src0_sel:WORD_1
	v_cvt_f32_f16_e32 v20, v3
	v_pk_add_f32 v[14:15], v[28:29], 1.0 op_sel_hi:[1,0]
	;;#ASMSTART
	v_pk_mul_f32 v[2:3], v[18:19], v[14:15]
	;;#ASMEND
	v_cvt_f32_f16_sdwa v19, v4 dst_sel:DWORD dst_unused:UNUSED_PAD src0_sel:WORD_1
	v_cvt_f32_f16_e32 v18, v4
	v_pk_add_f32 v[14:15], v[16:17], 1.0 op_sel_hi:[1,0]
	v_pk_add_f32 v[16:17], v[20:21], 1.0 op_sel_hi:[1,0]
	v_cvt_f32_f16_sdwa v21, v5 dst_sel:DWORD dst_unused:UNUSED_PAD src0_sel:WORD_1
	v_cvt_f32_f16_e32 v20, v5
	v_pk_add_f32 v[4:5], v[18:19], 1.0 op_sel_hi:[1,0]
	;;#ASMSTART
	v_pk_mul_f32 v[14:15], v[26:27], v[14:15]
	;;#ASMEND
	;;#ASMSTART
	v_pk_mul_f32 v[16:17], v[24:25], v[16:17]
	;;#ASMEND
	;; [unrolled: 3-line block ×3, first 2 shown]
	v_pk_add_f32 v[4:5], v[20:21], 1.0 op_sel_hi:[1,0]
	;;#ASMSTART
	v_pk_mul_f32 v[6:7], v[6:7], v[4:5]
	;;#ASMEND
	v_cvt_f16_f32_e32 v0, v10
	v_cvt_f16_f32_e32 v4, v11
	;; [unrolled: 1-line block ×8, first 2 shown]
	s_add_u32 s20, s14, s0
	s_addc_u32 s0, s15, s1
	s_and_b32 s21, s0, 0xffff
	v_pack_b32_f16 v2, v0, v4
	v_pack_b32_f16 v3, v5, v8
	;; [unrolled: 1-line block ×4, first 2 shown]
	buffer_store_dwordx4 v[2:5], v1, s[20:23], 0 offen
	v_cvt_f16_f32_e32 v0, v14
	v_cvt_f16_f32_e32 v2, v15
	v_cvt_f16_f32_e32 v3, v16
	v_cvt_f16_f32_e32 v4, v17
	v_cvt_f16_f32_e32 v5, v18
	v_cvt_f16_f32_e32 v8, v19
	v_cvt_f16_f32_e32 v6, v6
	v_cvt_f16_f32_e32 v7, v7
	v_pack_b32_f16 v2, v0, v2
	v_pack_b32_f16 v3, v3, v4
	;; [unrolled: 1-line block ×4, first 2 shown]
	;;#ASMSTART
	s_nop 0
	;;#ASMEND
	buffer_store_dwordx4 v[2:5], v1, s[20:23], 16 offen
	;;#ASMSTART
	s_nop 0
	;;#ASMEND
	s_endpgm
	.section	.rodata,"a",@progbits
	.p2align	6, 0x0
	.amdhsa_kernel _ZN5aiter35fused_qk_rmsnorm_group_quant_kernelIDF16_N4opus5fp4_tELi128ELi16ELi8ELb1ELb1ELb1ELb1ELb0ELb0EEEvPT0_PvPT_S7_S7_PKS6_S9_S9_S9_S9_ffiiiiiiiiiiiii
		.amdhsa_group_segment_fixed_size 16
		.amdhsa_private_segment_fixed_size 0
		.amdhsa_kernarg_size 400
		.amdhsa_user_sgpr_count 6
		.amdhsa_user_sgpr_private_segment_buffer 1
		.amdhsa_user_sgpr_dispatch_ptr 0
		.amdhsa_user_sgpr_queue_ptr 0
		.amdhsa_user_sgpr_kernarg_segment_ptr 1
		.amdhsa_user_sgpr_dispatch_id 0
		.amdhsa_user_sgpr_flat_scratch_init 0
		.amdhsa_user_sgpr_kernarg_preload_length 0
		.amdhsa_user_sgpr_kernarg_preload_offset 0
		.amdhsa_user_sgpr_private_segment_size 0
		.amdhsa_uses_dynamic_stack 0
		.amdhsa_system_sgpr_private_segment_wavefront_offset 0
		.amdhsa_system_sgpr_workgroup_id_x 1
		.amdhsa_system_sgpr_workgroup_id_y 1
		.amdhsa_system_sgpr_workgroup_id_z 0
		.amdhsa_system_sgpr_workgroup_info 0
		.amdhsa_system_vgpr_workitem_id 0
		.amdhsa_next_free_vgpr 49
		.amdhsa_next_free_sgpr 32
		.amdhsa_accum_offset 52
		.amdhsa_reserve_vcc 1
		.amdhsa_reserve_flat_scratch 0
		.amdhsa_float_round_mode_32 0
		.amdhsa_float_round_mode_16_64 0
		.amdhsa_float_denorm_mode_32 3
		.amdhsa_float_denorm_mode_16_64 3
		.amdhsa_dx10_clamp 1
		.amdhsa_ieee_mode 1
		.amdhsa_fp16_overflow 0
		.amdhsa_tg_split 0
		.amdhsa_exception_fp_ieee_invalid_op 0
		.amdhsa_exception_fp_denorm_src 0
		.amdhsa_exception_fp_ieee_div_zero 0
		.amdhsa_exception_fp_ieee_overflow 0
		.amdhsa_exception_fp_ieee_underflow 0
		.amdhsa_exception_fp_ieee_inexact 0
		.amdhsa_exception_int_div_zero 0
	.end_amdhsa_kernel
	.section	.text._ZN5aiter35fused_qk_rmsnorm_group_quant_kernelIDF16_N4opus5fp4_tELi128ELi16ELi8ELb1ELb1ELb1ELb1ELb0ELb0EEEvPT0_PvPT_S7_S7_PKS6_S9_S9_S9_S9_ffiiiiiiiiiiiii,"axG",@progbits,_ZN5aiter35fused_qk_rmsnorm_group_quant_kernelIDF16_N4opus5fp4_tELi128ELi16ELi8ELb1ELb1ELb1ELb1ELb0ELb0EEEvPT0_PvPT_S7_S7_PKS6_S9_S9_S9_S9_ffiiiiiiiiiiiii,comdat
.Lfunc_end603:
	.size	_ZN5aiter35fused_qk_rmsnorm_group_quant_kernelIDF16_N4opus5fp4_tELi128ELi16ELi8ELb1ELb1ELb1ELb1ELb0ELb0EEEvPT0_PvPT_S7_S7_PKS6_S9_S9_S9_S9_ffiiiiiiiiiiiii, .Lfunc_end603-_ZN5aiter35fused_qk_rmsnorm_group_quant_kernelIDF16_N4opus5fp4_tELi128ELi16ELi8ELb1ELb1ELb1ELb1ELb0ELb0EEEvPT0_PvPT_S7_S7_PKS6_S9_S9_S9_S9_ffiiiiiiiiiiiii
                                        ; -- End function
	.section	.AMDGPU.csdata,"",@progbits
; Kernel info:
; codeLenInByte = 3576
; NumSgprs: 36
; NumVgprs: 49
; NumAgprs: 0
; TotalNumVgprs: 49
; ScratchSize: 0
; MemoryBound: 0
; FloatMode: 240
; IeeeMode: 1
; LDSByteSize: 16 bytes/workgroup (compile time only)
; SGPRBlocks: 4
; VGPRBlocks: 6
; NumSGPRsForWavesPerEU: 36
; NumVGPRsForWavesPerEU: 49
; AccumOffset: 52
; Occupancy: 8
; WaveLimiterHint : 0
; COMPUTE_PGM_RSRC2:SCRATCH_EN: 0
; COMPUTE_PGM_RSRC2:USER_SGPR: 6
; COMPUTE_PGM_RSRC2:TRAP_HANDLER: 0
; COMPUTE_PGM_RSRC2:TGID_X_EN: 1
; COMPUTE_PGM_RSRC2:TGID_Y_EN: 1
; COMPUTE_PGM_RSRC2:TGID_Z_EN: 0
; COMPUTE_PGM_RSRC2:TIDIG_COMP_CNT: 0
; COMPUTE_PGM_RSRC3_GFX90A:ACCUM_OFFSET: 12
; COMPUTE_PGM_RSRC3_GFX90A:TG_SPLIT: 0
	.section	.text._ZN5aiter35fused_qk_rmsnorm_group_quant_kernelItN4opus5fp4_tELi128ELi16ELi8ELb1ELb1ELb1ELb1ELb0ELb0EEEvPT0_PvPT_S7_S7_PKS6_S9_S9_S9_S9_ffiiiiiiiiiiiii,"axG",@progbits,_ZN5aiter35fused_qk_rmsnorm_group_quant_kernelItN4opus5fp4_tELi128ELi16ELi8ELb1ELb1ELb1ELb1ELb0ELb0EEEvPT0_PvPT_S7_S7_PKS6_S9_S9_S9_S9_ffiiiiiiiiiiiii,comdat
	.protected	_ZN5aiter35fused_qk_rmsnorm_group_quant_kernelItN4opus5fp4_tELi128ELi16ELi8ELb1ELb1ELb1ELb1ELb0ELb0EEEvPT0_PvPT_S7_S7_PKS6_S9_S9_S9_S9_ffiiiiiiiiiiiii ; -- Begin function _ZN5aiter35fused_qk_rmsnorm_group_quant_kernelItN4opus5fp4_tELi128ELi16ELi8ELb1ELb1ELb1ELb1ELb0ELb0EEEvPT0_PvPT_S7_S7_PKS6_S9_S9_S9_S9_ffiiiiiiiiiiiii
	.globl	_ZN5aiter35fused_qk_rmsnorm_group_quant_kernelItN4opus5fp4_tELi128ELi16ELi8ELb1ELb1ELb1ELb1ELb0ELb0EEEvPT0_PvPT_S7_S7_PKS6_S9_S9_S9_S9_ffiiiiiiiiiiiii
	.p2align	8
	.type	_ZN5aiter35fused_qk_rmsnorm_group_quant_kernelItN4opus5fp4_tELi128ELi16ELi8ELb1ELb1ELb1ELb1ELb0ELb0EEEvPT0_PvPT_S7_S7_PKS6_S9_S9_S9_S9_ffiiiiiiiiiiiii,@function
_ZN5aiter35fused_qk_rmsnorm_group_quant_kernelItN4opus5fp4_tELi128ELi16ELi8ELb1ELb1ELb1ELb1ELb0ELb0EEEvPT0_PvPT_S7_S7_PKS6_S9_S9_S9_S9_ffiiiiiiiiiiiii: ; @_ZN5aiter35fused_qk_rmsnorm_group_quant_kernelItN4opus5fp4_tELi128ELi16ELi8ELb1ELb1ELb1ELb1ELb0ELb0EEEvPT0_PvPT_S7_S7_PKS6_S9_S9_S9_S9_ffiiiiiiiiiiiii
; %bb.0:
	s_load_dwordx8 s[12:19], s[4:5], 0x50
	s_waitcnt lgkmcnt(0)
	s_cmp_ge_i32 s6, s14
	s_cbranch_scc1 .LBB604_17
; %bb.1:
	s_cmp_lg_u32 s7, 0
	s_cselect_b64 s[22:23], -1, 0
	s_cmp_eq_u32 s7, 0
	s_cselect_b64 s[2:3], -1, 0
	s_and_b64 s[0:1], s[2:3], exec
	s_cselect_b32 s7, s15, s16
	s_load_dwordx2 s[10:11], s[4:5], 0x30
	s_load_dwordx2 s[20:21], s[4:5], 0x48
	s_add_i32 s0, s7, 1
	s_lshr_b32 s1, s0, 31
	s_add_i32 s0, s0, s1
	s_lshl_b32 s0, s0, 1
	v_lshlrev_b32_e32 v1, 4, v0
	s_and_b32 s30, s0, -4
	v_cmp_gt_i32_e64 s[0:1], s7, v1
	v_mov_b32_e32 v62, 0
	v_mov_b32_e32 v63, 0
	;; [unrolled: 1-line block ×16, first 2 shown]
	s_and_saveexec_b64 s[8:9], s[0:1]
	s_cbranch_execz .LBB604_3
; %bb.2:
	s_load_dwordx2 s[14:15], s[4:5], 0x28
	s_load_dwordx2 s[26:27], s[4:5], 0x40
	s_and_b64 s[24:25], s[2:3], exec
	s_cselect_b32 s17, s17, s18
	s_mov_b32 s31, 0x20000
	s_waitcnt lgkmcnt(0)
	s_cselect_b32 s25, s15, s11
	s_cselect_b32 s24, s14, s10
	s_mul_hi_i32 s15, s17, s6
	s_mul_i32 s14, s17, s6
	s_lshl_b64 s[14:15], s[14:15], 1
	s_add_u32 s24, s24, s14
	s_addc_u32 s17, s25, s15
	s_and_b64 s[14:15], s[2:3], exec
	s_cselect_b32 s28, s26, s20
	s_cselect_b32 s14, s27, s21
	s_and_b32 s25, s17, 0xffff
	s_mov_b32 s26, s30
	s_mov_b32 s27, s31
	v_lshlrev_b32_e32 v2, 5, v0
	s_and_b32 s29, s14, 0xffff
	buffer_load_dwordx4 v[66:69], v2, s[24:27], 0 offen
	buffer_load_dwordx4 v[70:73], v2, s[24:27], 16 offen
	;; [unrolled: 1-line block ×4, first 2 shown]
.LBB604_3:
	s_or_b64 exec, exec, s[8:9]
	s_load_dwordx4 s[24:27], s[4:5], 0x7c
	s_and_b64 vcc, exec, s[22:23]
	s_cbranch_vccz .LBB604_7
; %bb.4:
	v_mov_b32_e32 v75, 0
	v_mov_b32_e32 v74, 0
	;; [unrolled: 1-line block ×16, first 2 shown]
	s_and_saveexec_b64 s[8:9], s[0:1]
	s_cbranch_execz .LBB604_6
; %bb.5:
	s_waitcnt vmcnt(3)
	v_cvt_f32_u32_sdwa v2, v66 dst_sel:DWORD dst_unused:UNUSED_PAD src0_sel:WORD_0
	v_cvt_f32_u32_sdwa v3, v66 dst_sel:DWORD dst_unused:UNUSED_PAD src0_sel:WORD_1
	v_cvt_f32_u32_sdwa v6, v67 dst_sel:DWORD dst_unused:UNUSED_PAD src0_sel:WORD_0
	v_cvt_f32_u32_sdwa v7, v67 dst_sel:DWORD dst_unused:UNUSED_PAD src0_sel:WORD_1
	v_cvt_f32_u32_sdwa v40, v68 dst_sel:DWORD dst_unused:UNUSED_PAD src0_sel:WORD_0
	v_cvt_f32_u32_sdwa v41, v68 dst_sel:DWORD dst_unused:UNUSED_PAD src0_sel:WORD_1
	v_cvt_f32_u32_sdwa v30, v69 dst_sel:DWORD dst_unused:UNUSED_PAD src0_sel:WORD_0
	v_cvt_f32_u32_sdwa v31, v69 dst_sel:DWORD dst_unused:UNUSED_PAD src0_sel:WORD_1
	s_waitcnt vmcnt(2)
	v_cvt_f32_u32_sdwa v50, v70 dst_sel:DWORD dst_unused:UNUSED_PAD src0_sel:WORD_0
	v_cvt_f32_u32_sdwa v51, v70 dst_sel:DWORD dst_unused:UNUSED_PAD src0_sel:WORD_1
	v_cvt_f32_u32_sdwa v24, v71 dst_sel:DWORD dst_unused:UNUSED_PAD src0_sel:WORD_0
	v_cvt_f32_u32_sdwa v25, v71 dst_sel:DWORD dst_unused:UNUSED_PAD src0_sel:WORD_1
	;; [unrolled: 2-line block ×4, first 2 shown]
.LBB604_6:
	s_or_b64 exec, exec, s[8:9]
	s_cbranch_execz .LBB604_8
	s_branch .LBB604_11
.LBB604_7:
                                        ; implicit-def: $vgpr2_vgpr3_vgpr4_vgpr5_vgpr6_vgpr7_vgpr8_vgpr9_vgpr10_vgpr11_vgpr12_vgpr13_vgpr14_vgpr15_vgpr16_vgpr17
                                        ; implicit-def: $vgpr36_vgpr37_vgpr38_vgpr39_vgpr40_vgpr41_vgpr42_vgpr43_vgpr44_vgpr45_vgpr46_vgpr47_vgpr48_vgpr49_vgpr50_vgpr51
                                        ; implicit-def: $vgpr4_vgpr5_vgpr6_vgpr7_vgpr8_vgpr9_vgpr10_vgpr11_vgpr12_vgpr13_vgpr14_vgpr15_vgpr16_vgpr17_vgpr18_vgpr19
                                        ; implicit-def: $vgpr24_vgpr25_vgpr26_vgpr27_vgpr28_vgpr29_vgpr30_vgpr31_vgpr32_vgpr33_vgpr34_vgpr35_vgpr36_vgpr37_vgpr38_vgpr39
                                        ; implicit-def: $vgpr75
                                        ; implicit-def: $vgpr42_vgpr43_vgpr44_vgpr45_vgpr46_vgpr47_vgpr48_vgpr49_vgpr50_vgpr51_vgpr52_vgpr53_vgpr54_vgpr55_vgpr56_vgpr57
                                        ; implicit-def: $vgpr14_vgpr15_vgpr16_vgpr17_vgpr18_vgpr19_vgpr20_vgpr21_vgpr22_vgpr23_vgpr24_vgpr25_vgpr26_vgpr27_vgpr28_vgpr29
                                        ; implicit-def: $vgpr8_vgpr9_vgpr10_vgpr11_vgpr12_vgpr13_vgpr14_vgpr15_vgpr16_vgpr17_vgpr18_vgpr19_vgpr20_vgpr21_vgpr22_vgpr23
.LBB604_8:
	v_mov_b32_e32 v75, 0
	v_mov_b32_e32 v74, 0
	;; [unrolled: 1-line block ×16, first 2 shown]
	s_and_saveexec_b64 s[8:9], s[0:1]
	s_cbranch_execz .LBB604_10
; %bb.9:
	s_load_dwordx2 s[14:15], s[4:5], 0x38
	s_mul_hi_i32 s29, s19, s6
	s_mul_i32 s28, s19, s6
	s_lshl_b64 s[28:29], s[28:29], 1
	s_mov_b32 s31, 0x20000
	s_waitcnt lgkmcnt(0)
	s_add_u32 s28, s14, s28
	s_addc_u32 s14, s15, s29
	s_and_b32 s29, s14, 0xffff
	v_lshlrev_b32_e32 v38, 5, v0
	buffer_load_dwordx4 v[6:9], v38, s[28:31], 16 offen
	buffer_load_dwordx4 v[10:13], v38, s[28:31], 0 offen
	s_load_dwordx2 s[14:15], s[4:5], 0x20
	s_waitcnt vmcnt(5)
	v_cvt_f32_u32_sdwa v3, v66 dst_sel:DWORD dst_unused:UNUSED_PAD src0_sel:WORD_1
	v_cvt_f32_u32_sdwa v2, v66 dst_sel:DWORD dst_unused:UNUSED_PAD src0_sel:WORD_0
	v_cvt_f32_u32_sdwa v21, v67 dst_sel:DWORD dst_unused:UNUSED_PAD src0_sel:WORD_1
	v_cvt_f32_u32_sdwa v20, v67 dst_sel:DWORD dst_unused:UNUSED_PAD src0_sel:WORD_0
	;; [unrolled: 2-line block ×4, first 2 shown]
	s_waitcnt vmcnt(4)
	v_cvt_f32_u32_sdwa v5, v70 dst_sel:DWORD dst_unused:UNUSED_PAD src0_sel:WORD_1
	v_cvt_f32_u32_sdwa v4, v70 dst_sel:DWORD dst_unused:UNUSED_PAD src0_sel:WORD_0
	v_cvt_f32_u32_sdwa v15, v71 dst_sel:DWORD dst_unused:UNUSED_PAD src0_sel:WORD_1
	v_cvt_f32_u32_sdwa v14, v71 dst_sel:DWORD dst_unused:UNUSED_PAD src0_sel:WORD_0
	;; [unrolled: 2-line block ×3, first 2 shown]
	v_cvt_f32_u32_sdwa v18, v73 dst_sel:DWORD dst_unused:UNUSED_PAD src0_sel:WORD_0
	v_cvt_f32_u32_sdwa v19, v73 dst_sel:DWORD dst_unused:UNUSED_PAD src0_sel:WORD_1
	s_mul_hi_i32 s27, s26, s6
	s_mul_i32 s26, s26, s6
	s_lshl_b64 s[26:27], s[26:27], 1
	s_waitcnt lgkmcnt(0)
	s_add_u32 s28, s14, s26
	s_mov_b32 s17, 0x7060302
	s_addc_u32 s14, s15, s27
	s_and_b32 s29, s14, 0xffff
	s_waitcnt vmcnt(1)
	v_cvt_f32_u32_sdwa v27, v6 dst_sel:DWORD dst_unused:UNUSED_PAD src0_sel:WORD_1
	v_cvt_f32_u32_sdwa v26, v6 dst_sel:DWORD dst_unused:UNUSED_PAD src0_sel:WORD_0
	v_cvt_f32_u32_sdwa v29, v7 dst_sel:DWORD dst_unused:UNUSED_PAD src0_sel:WORD_1
	v_cvt_f32_u32_sdwa v28, v7 dst_sel:DWORD dst_unused:UNUSED_PAD src0_sel:WORD_0
	;; [unrolled: 2-line block ×3, first 2 shown]
	v_cvt_f32_u32_sdwa v34, v9 dst_sel:DWORD dst_unused:UNUSED_PAD src0_sel:WORD_0
	v_cvt_f32_u32_sdwa v35, v9 dst_sel:DWORD dst_unused:UNUSED_PAD src0_sel:WORD_1
	s_waitcnt vmcnt(0)
	v_cvt_f32_u32_sdwa v37, v10 dst_sel:DWORD dst_unused:UNUSED_PAD src0_sel:WORD_1
	v_cvt_f32_u32_sdwa v36, v10 dst_sel:DWORD dst_unused:UNUSED_PAD src0_sel:WORD_0
	v_cvt_f32_u32_sdwa v7, v12 dst_sel:DWORD dst_unused:UNUSED_PAD src0_sel:WORD_1
	v_cvt_f32_u32_sdwa v6, v12 dst_sel:DWORD dst_unused:UNUSED_PAD src0_sel:WORD_0
	v_cvt_f32_u32_sdwa v9, v13 dst_sel:DWORD dst_unused:UNUSED_PAD src0_sel:WORD_1
	v_cvt_f32_u32_sdwa v8, v13 dst_sel:DWORD dst_unused:UNUSED_PAD src0_sel:WORD_0
	v_cvt_f32_u32_sdwa v13, v11 dst_sel:DWORD dst_unused:UNUSED_PAD src0_sel:WORD_1
	v_cvt_f32_u32_sdwa v12, v11 dst_sel:DWORD dst_unused:UNUSED_PAD src0_sel:WORD_0
	v_pk_add_f32 v[40:41], v[22:23], v[6:7]
	v_pk_add_f32 v[30:31], v[24:25], v[8:9]
	;; [unrolled: 1-line block ×4, first 2 shown]
	v_perm_b32 v11, v31, v30, s17
	v_perm_b32 v10, v41, v40, s17
	;; [unrolled: 1-line block ×4, first 2 shown]
	v_pk_add_f32 v[74:75], v[18:19], v[34:35]
	v_pk_add_f32 v[20:21], v[16:17], v[32:33]
	;; [unrolled: 1-line block ×4, first 2 shown]
	buffer_store_dwordx4 v[8:11], v38, s[28:31], 0 offen
	;;#ASMSTART
	s_nop 0
	;;#ASMEND
	s_nop 0
	v_perm_b32 v11, v75, v74, s17
	v_perm_b32 v10, v21, v20, s17
	;; [unrolled: 1-line block ×4, first 2 shown]
	buffer_store_dwordx4 v[8:11], v38, s[28:31], 16 offen
	;;#ASMSTART
	s_nop 0
	;;#ASMEND
.LBB604_10:
	s_or_b64 exec, exec, s[8:9]
.LBB604_11:
	v_mul_f32_e32 v4, v3, v3
	v_fmac_f32_e32 v4, v2, v2
	v_fmac_f32_e32 v4, v6, v6
	;; [unrolled: 1-line block ×15, first 2 shown]
	s_nop 1
	v_mov_b32_dpp v5, v4 quad_perm:[1,0,3,2] row_mask:0xf bank_mask:0xf
	v_add_f32_e32 v4, v4, v5
	s_nop 1
	v_mov_b32_dpp v5, v4 quad_perm:[2,3,0,1] row_mask:0xf bank_mask:0xf
	v_add_f32_e32 v4, v4, v5
	s_nop 1
	v_mov_b32_dpp v5, v4 row_half_mirror row_mask:0xf bank_mask:0xf
	v_add_f32_e32 v4, v4, v5
	s_nop 1
	v_mov_b32_dpp v5, v4 row_mirror row_mask:0xf bank_mask:0xf
	v_add_f32_e32 v4, v4, v5
	s_nop 1
	v_mov_b32_dpp v5, v4 row_bcast:15 row_mask:0xf bank_mask:0xf
	v_add_f32_e32 v4, v4, v5
	v_and_b32_e32 v5, 63, v0
	v_cmp_eq_u32_e64 s[8:9], 63, v5
	s_nop 0
	v_mov_b32_dpp v5, v4 row_bcast:31 row_mask:0xf bank_mask:0xf
	s_and_saveexec_b64 s[14:15], s[8:9]
	s_cbranch_execz .LBB604_13
; %bb.12:
	v_add_f32_e32 v4, v4, v5
	v_lshrrev_b32_e32 v5, 4, v0
	v_and_b32_e32 v5, 60, v5
	ds_write_b32 v5, v4 offset:8
.LBB604_13:
	s_or_b64 exec, exec, s[14:15]
	v_and_b32_e32 v4, 1, v0
	v_lshlrev_b32_e32 v34, 2, v4
	s_waitcnt lgkmcnt(0)
	s_barrier
	ds_read_b32 v4, v34 offset:8
	s_load_dwordx2 s[14:15], s[4:5], 0x18
	s_waitcnt lgkmcnt(0)
	v_mov_b32_dpp v5, v4 quad_perm:[1,0,3,2] row_mask:0xf bank_mask:0xf
	s_and_saveexec_b64 s[26:27], s[0:1]
	s_cbranch_execnz .LBB604_18
; %bb.14:
	s_or_b64 exec, exec, s[26:27]
	s_mov_b64 s[2:3], -1
	s_and_b64 vcc, exec, s[22:23]
	s_cbranch_vccnz .LBB604_19
.LBB604_15:
	s_andn2_b64 vcc, exec, s[2:3]
	s_cbranch_vccz .LBB604_22
.LBB604_16:
	s_cmp_lt_i32 s16, 1
	s_cbranch_scc0 .LBB604_25
.LBB604_17:
	s_endpgm
.LBB604_18:
	v_add_f32_e32 v4, v4, v5
	v_cvt_f32_u32_e32 v5, s7
	s_waitcnt vmcnt(1)
	v_cvt_f32_u32_sdwa v15, v62 dst_sel:DWORD dst_unused:UNUSED_PAD src0_sel:WORD_1
	v_cvt_f32_u32_sdwa v14, v62 dst_sel:DWORD dst_unused:UNUSED_PAD src0_sel:WORD_0
	v_cvt_f32_u32_sdwa v23, v65 dst_sel:DWORD dst_unused:UNUSED_PAD src0_sel:WORD_1
	v_div_scale_f32 v8, s[28:29], v5, v5, v4
	v_rcp_f32_e32 v9, v8
	v_pk_add_f32 v[14:15], v[14:15], 1.0 op_sel_hi:[1,0]
	v_cvt_f32_u32_sdwa v22, v65 dst_sel:DWORD dst_unused:UNUSED_PAD src0_sel:WORD_0
	s_waitcnt vmcnt(0)
	v_cvt_f32_u32_sdwa v27, v60 dst_sel:DWORD dst_unused:UNUSED_PAD src0_sel:WORD_1
	v_fma_f32 v10, -v8, v9, 1.0
	v_fmac_f32_e32 v9, v10, v9
	v_div_scale_f32 v10, vcc, v4, v5, v4
	v_mul_f32_e32 v11, v10, v9
	v_fma_f32 v12, -v8, v11, v10
	v_fmac_f32_e32 v11, v12, v9
	v_fma_f32 v8, -v8, v11, v10
	v_div_fmas_f32 v8, v8, v9, v11
	v_div_fixup_f32 v4, v8, v5, v4
	v_mov_b32_e32 v5, s13
	v_mov_b32_e32 v8, s12
	v_cndmask_b32_e64 v5, v5, v8, s[2:3]
	v_add_f32_e32 v4, v5, v4
	s_mov_b32 s2, 0x800000
	v_mul_f32_e32 v5, 0x4b800000, v4
	v_cmp_gt_f32_e32 vcc, s2, v4
	v_cndmask_b32_e32 v4, v4, v5, vcc
	v_rsq_f32_e32 v4, v4
	v_cvt_f32_u32_sdwa v26, v60 dst_sel:DWORD dst_unused:UNUSED_PAD src0_sel:WORD_0
	v_cvt_f32_u32_sdwa v29, v61 dst_sel:DWORD dst_unused:UNUSED_PAD src0_sel:WORD_1
	v_cvt_f32_u32_sdwa v28, v61 dst_sel:DWORD dst_unused:UNUSED_PAD src0_sel:WORD_0
	v_mul_f32_e32 v5, 0x45800000, v4
	v_cndmask_b32_e32 v4, v4, v5, vcc
	v_mov_b32_e32 v5, v4
	;;#ASMSTART
	v_pk_mul_f32 v[2:3], v[2:3], v[4:5]
	;;#ASMEND
	;;#ASMSTART
	v_pk_mul_f32 v[6:7], v[6:7], v[4:5]
	;;#ASMEND
	;; [unrolled: 3-line block ×9, first 2 shown]
	v_cvt_f32_u32_sdwa v15, v63 dst_sel:DWORD dst_unused:UNUSED_PAD src0_sel:WORD_1
	v_cvt_f32_u32_sdwa v14, v63 dst_sel:DWORD dst_unused:UNUSED_PAD src0_sel:WORD_0
	v_cvt_f32_u32_sdwa v21, v64 dst_sel:DWORD dst_unused:UNUSED_PAD src0_sel:WORD_1
	v_cvt_f32_u32_sdwa v20, v64 dst_sel:DWORD dst_unused:UNUSED_PAD src0_sel:WORD_0
	v_cvt_f32_u32_sdwa v25, v59 dst_sel:DWORD dst_unused:UNUSED_PAD src0_sel:WORD_1
	v_pk_add_f32 v[14:15], v[14:15], 1.0 op_sel_hi:[1,0]
	v_cvt_f32_u32_sdwa v24, v59 dst_sel:DWORD dst_unused:UNUSED_PAD src0_sel:WORD_0
	;;#ASMSTART
	v_pk_mul_f32 v[6:7], v[6:7], v[14:15]
	;;#ASMEND
	v_pk_add_f32 v[14:15], v[20:21], 1.0 op_sel_hi:[1,0]
	v_pk_add_f32 v[20:21], v[22:23], 1.0 op_sel_hi:[1,0]
	v_cvt_f32_u32_sdwa v23, v58 dst_sel:DWORD dst_unused:UNUSED_PAD src0_sel:WORD_1
	v_cvt_f32_u32_sdwa v22, v58 dst_sel:DWORD dst_unused:UNUSED_PAD src0_sel:WORD_0
	v_pk_add_f32 v[24:25], v[24:25], 1.0 op_sel_hi:[1,0]
	v_pk_add_f32 v[26:27], v[26:27], 1.0 op_sel_hi:[1,0]
	;; [unrolled: 1-line block ×4, first 2 shown]
	;;#ASMSTART
	v_pk_mul_f32 v[40:41], v[8:9], v[14:15]
	;;#ASMEND
	;;#ASMSTART
	v_pk_mul_f32 v[30:31], v[10:11], v[20:21]
	;;#ASMEND
	;; [unrolled: 3-line block ×6, first 2 shown]
	s_or_b64 exec, exec, s[26:27]
	s_mov_b64 s[2:3], -1
	s_and_b64 vcc, exec, s[22:23]
	s_cbranch_vccz .LBB604_15
.LBB604_19:
	s_and_saveexec_b64 s[2:3], s[0:1]
	s_cbranch_execz .LBB604_21
; %bb.20:
	s_mul_hi_i32 s23, s25, s6
	s_mul_i32 s22, s25, s6
	s_lshl_b64 s[22:23], s[22:23], 1
	s_add_u32 s28, s14, s22
	s_addc_u32 s7, s15, s23
	s_and_b32 s29, s7, 0xffff
	s_mov_b32 s7, 0x7060302
	s_mov_b32 s31, 0x20000
	v_perm_b32 v11, v31, v30, s7
	v_perm_b32 v10, v41, v40, s7
	;; [unrolled: 1-line block ×4, first 2 shown]
	v_lshlrev_b32_e32 v4, 5, v0
	buffer_store_dwordx4 v[8:11], v4, s[28:31], 0 offen
	;;#ASMSTART
	s_nop 0
	;;#ASMEND
	s_nop 0
	v_perm_b32 v11, v75, v74, s7
	v_perm_b32 v10, v21, v20, s7
	;; [unrolled: 1-line block ×4, first 2 shown]
	buffer_store_dwordx4 v[8:11], v4, s[28:31], 16 offen
	;;#ASMSTART
	s_nop 0
	;;#ASMEND
.LBB604_21:
	s_or_b64 exec, exec, s[2:3]
	s_cbranch_execnz .LBB604_16
.LBB604_22:
	s_and_saveexec_b64 s[2:3], s[0:1]
	s_cbranch_execz .LBB604_24
; %bb.23:
	s_load_dwordx2 s[0:1], s[4:5], 0x10
	s_mul_hi_i32 s23, s24, s6
	s_mul_i32 s22, s24, s6
	s_lshl_b64 s[22:23], s[22:23], 1
	s_mov_b32 s7, 0x7060302
	s_waitcnt lgkmcnt(0)
	s_add_u32 s28, s0, s22
	s_addc_u32 s0, s1, s23
	v_perm_b32 v9, v31, v30, s7
	v_perm_b32 v8, v41, v40, s7
	;; [unrolled: 1-line block ×4, first 2 shown]
	s_and_b32 s29, s0, 0xffff
	s_mov_b32 s31, 0x20000
	v_lshlrev_b32_e32 v10, 5, v0
	v_perm_b32 v5, v75, v74, s7
	v_perm_b32 v4, v21, v20, s7
	;; [unrolled: 1-line block ×4, first 2 shown]
	buffer_store_dwordx4 v[6:9], v10, s[28:31], 0 offen
	;;#ASMSTART
	s_nop 0
	;;#ASMEND
	buffer_store_dwordx4 v[2:5], v10, s[28:31], 16 offen
	;;#ASMSTART
	s_nop 0
	;;#ASMEND
.LBB604_24:
	s_or_b64 exec, exec, s[2:3]
	s_cmp_lt_i32 s16, 1
	s_cbranch_scc1 .LBB604_17
.LBB604_25:
	s_load_dword s0, s[4:5], 0x94
	s_waitcnt lgkmcnt(0)
	s_cmp_lg_u32 s0, 1
	s_cbranch_scc1 .LBB604_17
; %bb.26:
	s_lshl_b32 s0, s16, 1
	s_add_i32 s0, s0, 2
	v_cmp_gt_u32_e32 vcc, s16, v1
	s_and_b32 s22, s0, -4
	v_mov_b32_e32 v18, 0
	v_lshlrev_b32_e32 v1, 5, v0
	v_mov_b32_e32 v14, 0
	v_mov_b32_e32 v15, 0
	v_mov_b32_e32 v16, 0
	v_mov_b32_e32 v17, 0
	v_mov_b32_e32 v10, 0
	v_mov_b32_e32 v11, 0
	v_mov_b32_e32 v12, 0
	v_mov_b32_e32 v13, 0
	v_mov_b32_e32 v6, 0
	v_mov_b32_e32 v7, 0
	v_mov_b32_e32 v8, 0
	v_mov_b32_e32 v9, 0
	v_mov_b32_e32 v2, 0
	v_mov_b32_e32 v3, 0
	v_mov_b32_e32 v4, 0
	v_mov_b32_e32 v5, 0
	s_barrier
	s_and_saveexec_b64 s[0:1], vcc
	s_cbranch_execz .LBB604_28
; %bb.27:
	s_mul_hi_i32 s3, s18, s6
	s_mul_i32 s2, s18, s6
	s_and_b32 s21, s21, 0xffff
	s_lshl_b64 s[2:3], s[2:3], 1
	s_add_u32 s28, s10, s2
	s_mov_b32 s23, 0x20000
	s_addc_u32 s2, s11, s3
	s_and_b32 s29, s2, 0xffff
	s_mov_b32 s30, s22
	s_mov_b32 s31, s23
	buffer_load_dwordx4 v[14:17], v1, s[28:31], 0 offen
	buffer_load_dwordx4 v[10:13], v1, s[28:31], 16 offen
	;; [unrolled: 1-line block ×4, first 2 shown]
.LBB604_28:
	s_or_b64 exec, exec, s[0:1]
	v_mov_b32_e32 v19, 0
	v_mov_b32_e32 v32, 0
	;; [unrolled: 1-line block ×15, first 2 shown]
	s_and_saveexec_b64 s[0:1], vcc
	s_cbranch_execz .LBB604_30
; %bb.29:
	s_waitcnt vmcnt(3)
	v_cvt_f32_u32_sdwa v18, v14 dst_sel:DWORD dst_unused:UNUSED_PAD src0_sel:WORD_0
	v_cvt_f32_u32_sdwa v19, v14 dst_sel:DWORD dst_unused:UNUSED_PAD src0_sel:WORD_1
	v_cvt_f32_u32_sdwa v32, v15 dst_sel:DWORD dst_unused:UNUSED_PAD src0_sel:WORD_0
	v_cvt_f32_u32_sdwa v33, v15 dst_sel:DWORD dst_unused:UNUSED_PAD src0_sel:WORD_1
	;; [unrolled: 2-line block ×4, first 2 shown]
	s_waitcnt vmcnt(2)
	v_cvt_f32_u32_sdwa v26, v10 dst_sel:DWORD dst_unused:UNUSED_PAD src0_sel:WORD_0
	v_cvt_f32_u32_sdwa v27, v10 dst_sel:DWORD dst_unused:UNUSED_PAD src0_sel:WORD_1
	v_cvt_f32_u32_sdwa v24, v11 dst_sel:DWORD dst_unused:UNUSED_PAD src0_sel:WORD_0
	v_cvt_f32_u32_sdwa v25, v11 dst_sel:DWORD dst_unused:UNUSED_PAD src0_sel:WORD_1
	v_cvt_f32_u32_sdwa v22, v12 dst_sel:DWORD dst_unused:UNUSED_PAD src0_sel:WORD_0
	v_cvt_f32_u32_sdwa v23, v12 dst_sel:DWORD dst_unused:UNUSED_PAD src0_sel:WORD_1
	v_cvt_f32_u32_sdwa v20, v13 dst_sel:DWORD dst_unused:UNUSED_PAD src0_sel:WORD_0
	v_cvt_f32_u32_sdwa v21, v13 dst_sel:DWORD dst_unused:UNUSED_PAD src0_sel:WORD_1
.LBB604_30:
	s_or_b64 exec, exec, s[0:1]
	s_waitcnt vmcnt(2)
	v_mul_f32_e32 v10, v19, v19
	v_fmac_f32_e32 v10, v18, v18
	v_fmac_f32_e32 v10, v32, v32
	;; [unrolled: 1-line block ×15, first 2 shown]
	s_nop 1
	v_mov_b32_dpp v11, v10 quad_perm:[1,0,3,2] row_mask:0xf bank_mask:0xf
	v_add_f32_e32 v10, v10, v11
	s_nop 1
	v_mov_b32_dpp v11, v10 quad_perm:[2,3,0,1] row_mask:0xf bank_mask:0xf
	v_add_f32_e32 v10, v10, v11
	s_nop 1
	v_mov_b32_dpp v11, v10 row_half_mirror row_mask:0xf bank_mask:0xf
	v_add_f32_e32 v10, v10, v11
	s_nop 1
	v_mov_b32_dpp v11, v10 row_mirror row_mask:0xf bank_mask:0xf
	v_add_f32_e32 v10, v10, v11
	s_nop 1
	v_mov_b32_dpp v11, v10 row_bcast:15 row_mask:0xf bank_mask:0xf
	v_add_f32_e32 v10, v10, v11
	s_nop 1
	v_mov_b32_dpp v11, v10 row_bcast:31 row_mask:0xf bank_mask:0xf
	s_and_saveexec_b64 s[0:1], s[8:9]
	s_cbranch_execz .LBB604_32
; %bb.31:
	v_lshrrev_b32_e32 v0, 4, v0
	v_add_f32_e32 v10, v10, v11
	v_and_b32_e32 v0, 60, v0
	ds_write_b32 v0, v10
.LBB604_32:
	s_or_b64 exec, exec, s[0:1]
	s_waitcnt lgkmcnt(0)
	s_barrier
	ds_read_b32 v0, v34
	s_waitcnt lgkmcnt(0)
	s_nop 0
	v_mov_b32_dpp v10, v0 quad_perm:[1,0,3,2] row_mask:0xf bank_mask:0xf
	s_and_saveexec_b64 s[0:1], vcc
	s_cbranch_execz .LBB604_17
; %bb.33:
	v_cvt_f32_u32_e32 v11, s16
	v_add_f32_e32 v0, v0, v10
	s_mov_b32 s23, 0x20000
	v_div_scale_f32 v10, s[0:1], v11, v11, v0
	v_rcp_f32_e32 v12, v10
	v_div_scale_f32 v13, vcc, v0, v11, v0
	s_mov_b32 s0, 0x800000
	v_fma_f32 v14, -v10, v12, 1.0
	v_fmac_f32_e32 v12, v14, v12
	v_mul_f32_e32 v14, v13, v12
	v_fma_f32 v15, -v10, v14, v13
	v_fmac_f32_e32 v14, v15, v12
	v_fma_f32 v10, -v10, v14, v13
	v_div_fmas_f32 v10, v10, v12, v14
	v_div_fixup_f32 v0, v10, v11, v0
	v_add_f32_e32 v0, s13, v0
	v_mul_f32_e32 v10, 0x4b800000, v0
	v_cmp_gt_f32_e32 vcc, s0, v0
	v_cndmask_b32_e32 v0, v0, v10, vcc
	v_rsq_f32_e32 v0, v0
	s_mul_hi_i32 s1, s25, s6
	s_mul_i32 s0, s25, s6
	s_lshl_b64 s[0:1], s[0:1], 1
	v_mul_f32_e32 v10, 0x45800000, v0
	v_cndmask_b32_e32 v10, v0, v10, vcc
	v_mov_b32_e32 v11, v10
	;;#ASMSTART
	v_pk_mul_f32 v[12:13], v[18:19], v[10:11]
	;;#ASMEND
	;;#ASMSTART
	v_pk_mul_f32 v[14:15], v[32:33], v[10:11]
	;;#ASMEND
	;;#ASMSTART
	v_pk_mul_f32 v[16:17], v[30:31], v[10:11]
	;;#ASMEND
	;;#ASMSTART
	v_pk_mul_f32 v[18:19], v[28:29], v[10:11]
	;;#ASMEND
	s_waitcnt vmcnt(1)
	v_cvt_f32_u32_sdwa v29, v6 dst_sel:DWORD dst_unused:UNUSED_PAD src0_sel:WORD_1
	v_cvt_f32_u32_sdwa v28, v6 dst_sel:DWORD dst_unused:UNUSED_PAD src0_sel:WORD_0
	v_cvt_f32_u32_sdwa v31, v7 dst_sel:DWORD dst_unused:UNUSED_PAD src0_sel:WORD_1
	v_cvt_f32_u32_sdwa v30, v7 dst_sel:DWORD dst_unused:UNUSED_PAD src0_sel:WORD_0
	;;#ASMSTART
	v_pk_mul_f32 v[26:27], v[26:27], v[10:11]
	;;#ASMEND
	;;#ASMSTART
	v_pk_mul_f32 v[24:25], v[24:25], v[10:11]
	;;#ASMEND
	;;#ASMSTART
	v_pk_mul_f32 v[22:23], v[22:23], v[10:11]
	;;#ASMEND
	;;#ASMSTART
	v_pk_mul_f32 v[6:7], v[20:21], v[10:11]
	;;#ASMEND
	v_cvt_f32_u32_sdwa v21, v8 dst_sel:DWORD dst_unused:UNUSED_PAD src0_sel:WORD_1
	v_cvt_f32_u32_sdwa v20, v8 dst_sel:DWORD dst_unused:UNUSED_PAD src0_sel:WORD_0
	v_pk_add_f32 v[10:11], v[28:29], 1.0 op_sel_hi:[1,0]
	;;#ASMSTART
	v_pk_mul_f32 v[10:11], v[12:13], v[10:11]
	;;#ASMEND
	v_pk_add_f32 v[12:13], v[30:31], 1.0 op_sel_hi:[1,0]
	v_cvt_f32_u32_sdwa v29, v9 dst_sel:DWORD dst_unused:UNUSED_PAD src0_sel:WORD_1
	v_cvt_f32_u32_sdwa v28, v9 dst_sel:DWORD dst_unused:UNUSED_PAD src0_sel:WORD_0
	;;#ASMSTART
	v_pk_mul_f32 v[8:9], v[14:15], v[12:13]
	;;#ASMEND
	v_pk_add_f32 v[12:13], v[20:21], 1.0 op_sel_hi:[1,0]
	;;#ASMSTART
	v_pk_mul_f32 v[12:13], v[16:17], v[12:13]
	;;#ASMEND
	s_waitcnt vmcnt(0)
	v_cvt_f32_u32_sdwa v17, v2 dst_sel:DWORD dst_unused:UNUSED_PAD src0_sel:WORD_1
	v_cvt_f32_u32_sdwa v16, v2 dst_sel:DWORD dst_unused:UNUSED_PAD src0_sel:WORD_0
	v_cvt_f32_u32_sdwa v21, v3 dst_sel:DWORD dst_unused:UNUSED_PAD src0_sel:WORD_1
	v_cvt_f32_u32_sdwa v20, v3 dst_sel:DWORD dst_unused:UNUSED_PAD src0_sel:WORD_0
	v_pk_add_f32 v[14:15], v[28:29], 1.0 op_sel_hi:[1,0]
	;;#ASMSTART
	v_pk_mul_f32 v[14:15], v[18:19], v[14:15]
	;;#ASMEND
	v_pk_add_f32 v[2:3], v[16:17], 1.0 op_sel_hi:[1,0]
	v_cvt_f32_u32_sdwa v19, v4 dst_sel:DWORD dst_unused:UNUSED_PAD src0_sel:WORD_1
	v_cvt_f32_u32_sdwa v18, v4 dst_sel:DWORD dst_unused:UNUSED_PAD src0_sel:WORD_0
	;;#ASMSTART
	v_pk_mul_f32 v[16:17], v[26:27], v[2:3]
	;;#ASMEND
	v_pk_add_f32 v[2:3], v[20:21], 1.0 op_sel_hi:[1,0]
	v_cvt_f32_u32_sdwa v21, v5 dst_sel:DWORD dst_unused:UNUSED_PAD src0_sel:WORD_1
	v_cvt_f32_u32_sdwa v20, v5 dst_sel:DWORD dst_unused:UNUSED_PAD src0_sel:WORD_0
	s_add_u32 s20, s14, s0
	;;#ASMSTART
	v_pk_mul_f32 v[24:25], v[24:25], v[2:3]
	;;#ASMEND
	v_pk_add_f32 v[2:3], v[18:19], 1.0 op_sel_hi:[1,0]
	s_addc_u32 s0, s15, s1
	;;#ASMSTART
	v_pk_mul_f32 v[18:19], v[22:23], v[2:3]
	;;#ASMEND
	v_pk_add_f32 v[2:3], v[20:21], 1.0 op_sel_hi:[1,0]
	s_and_b32 s21, s0, 0xffff
	s_mov_b32 s0, 0x7060302
	;;#ASMSTART
	v_pk_mul_f32 v[6:7], v[6:7], v[2:3]
	;;#ASMEND
	v_perm_b32 v2, v11, v10, s0
	v_perm_b32 v3, v9, v8, s0
	;; [unrolled: 1-line block ×4, first 2 shown]
	buffer_store_dwordx4 v[2:5], v1, s[20:23], 0 offen
	;;#ASMSTART
	s_nop 0
	;;#ASMEND
	s_nop 0
	v_perm_b32 v2, v17, v16, s0
	v_perm_b32 v3, v25, v24, s0
	;; [unrolled: 1-line block ×4, first 2 shown]
	buffer_store_dwordx4 v[2:5], v1, s[20:23], 16 offen
	;;#ASMSTART
	s_nop 0
	;;#ASMEND
	s_endpgm
	.section	.rodata,"a",@progbits
	.p2align	6, 0x0
	.amdhsa_kernel _ZN5aiter35fused_qk_rmsnorm_group_quant_kernelItN4opus5fp4_tELi128ELi16ELi8ELb1ELb1ELb1ELb1ELb0ELb0EEEvPT0_PvPT_S7_S7_PKS6_S9_S9_S9_S9_ffiiiiiiiiiiiii
		.amdhsa_group_segment_fixed_size 16
		.amdhsa_private_segment_fixed_size 0
		.amdhsa_kernarg_size 400
		.amdhsa_user_sgpr_count 6
		.amdhsa_user_sgpr_private_segment_buffer 1
		.amdhsa_user_sgpr_dispatch_ptr 0
		.amdhsa_user_sgpr_queue_ptr 0
		.amdhsa_user_sgpr_kernarg_segment_ptr 1
		.amdhsa_user_sgpr_dispatch_id 0
		.amdhsa_user_sgpr_flat_scratch_init 0
		.amdhsa_user_sgpr_kernarg_preload_length 0
		.amdhsa_user_sgpr_kernarg_preload_offset 0
		.amdhsa_user_sgpr_private_segment_size 0
		.amdhsa_uses_dynamic_stack 0
		.amdhsa_system_sgpr_private_segment_wavefront_offset 0
		.amdhsa_system_sgpr_workgroup_id_x 1
		.amdhsa_system_sgpr_workgroup_id_y 1
		.amdhsa_system_sgpr_workgroup_id_z 0
		.amdhsa_system_sgpr_workgroup_info 0
		.amdhsa_system_vgpr_workitem_id 0
		.amdhsa_next_free_vgpr 76
		.amdhsa_next_free_sgpr 32
		.amdhsa_accum_offset 76
		.amdhsa_reserve_vcc 1
		.amdhsa_reserve_flat_scratch 0
		.amdhsa_float_round_mode_32 0
		.amdhsa_float_round_mode_16_64 0
		.amdhsa_float_denorm_mode_32 3
		.amdhsa_float_denorm_mode_16_64 3
		.amdhsa_dx10_clamp 1
		.amdhsa_ieee_mode 1
		.amdhsa_fp16_overflow 0
		.amdhsa_tg_split 0
		.amdhsa_exception_fp_ieee_invalid_op 0
		.amdhsa_exception_fp_denorm_src 0
		.amdhsa_exception_fp_ieee_div_zero 0
		.amdhsa_exception_fp_ieee_overflow 0
		.amdhsa_exception_fp_ieee_underflow 0
		.amdhsa_exception_fp_ieee_inexact 0
		.amdhsa_exception_int_div_zero 0
	.end_amdhsa_kernel
	.section	.text._ZN5aiter35fused_qk_rmsnorm_group_quant_kernelItN4opus5fp4_tELi128ELi16ELi8ELb1ELb1ELb1ELb1ELb0ELb0EEEvPT0_PvPT_S7_S7_PKS6_S9_S9_S9_S9_ffiiiiiiiiiiiii,"axG",@progbits,_ZN5aiter35fused_qk_rmsnorm_group_quant_kernelItN4opus5fp4_tELi128ELi16ELi8ELb1ELb1ELb1ELb1ELb0ELb0EEEvPT0_PvPT_S7_S7_PKS6_S9_S9_S9_S9_ffiiiiiiiiiiiii,comdat
.Lfunc_end604:
	.size	_ZN5aiter35fused_qk_rmsnorm_group_quant_kernelItN4opus5fp4_tELi128ELi16ELi8ELb1ELb1ELb1ELb1ELb0ELb0EEEvPT0_PvPT_S7_S7_PKS6_S9_S9_S9_S9_ffiiiiiiiiiiiii, .Lfunc_end604-_ZN5aiter35fused_qk_rmsnorm_group_quant_kernelItN4opus5fp4_tELi128ELi16ELi8ELb1ELb1ELb1ELb1ELb0ELb0EEEvPT0_PvPT_S7_S7_PKS6_S9_S9_S9_S9_ffiiiiiiiiiiiii
                                        ; -- End function
	.section	.AMDGPU.csdata,"",@progbits
; Kernel info:
; codeLenInByte = 3536
; NumSgprs: 36
; NumVgprs: 76
; NumAgprs: 0
; TotalNumVgprs: 76
; ScratchSize: 0
; MemoryBound: 0
; FloatMode: 240
; IeeeMode: 1
; LDSByteSize: 16 bytes/workgroup (compile time only)
; SGPRBlocks: 4
; VGPRBlocks: 9
; NumSGPRsForWavesPerEU: 36
; NumVGPRsForWavesPerEU: 76
; AccumOffset: 76
; Occupancy: 6
; WaveLimiterHint : 0
; COMPUTE_PGM_RSRC2:SCRATCH_EN: 0
; COMPUTE_PGM_RSRC2:USER_SGPR: 6
; COMPUTE_PGM_RSRC2:TRAP_HANDLER: 0
; COMPUTE_PGM_RSRC2:TGID_X_EN: 1
; COMPUTE_PGM_RSRC2:TGID_Y_EN: 1
; COMPUTE_PGM_RSRC2:TGID_Z_EN: 0
; COMPUTE_PGM_RSRC2:TIDIG_COMP_CNT: 0
; COMPUTE_PGM_RSRC3_GFX90A:ACCUM_OFFSET: 18
; COMPUTE_PGM_RSRC3_GFX90A:TG_SPLIT: 0
	.section	.text._ZN5aiter35fused_qk_rmsnorm_group_quant_kernelIDF16_DB8_Li128ELi16ELi8ELb1ELb1ELb0ELb1ELb0ELb0EEEvPT0_PvPT_S6_S6_PKS5_S8_S8_S8_S8_ffiiiiiiiiiiiii,"axG",@progbits,_ZN5aiter35fused_qk_rmsnorm_group_quant_kernelIDF16_DB8_Li128ELi16ELi8ELb1ELb1ELb0ELb1ELb0ELb0EEEvPT0_PvPT_S6_S6_PKS5_S8_S8_S8_S8_ffiiiiiiiiiiiii,comdat
	.protected	_ZN5aiter35fused_qk_rmsnorm_group_quant_kernelIDF16_DB8_Li128ELi16ELi8ELb1ELb1ELb0ELb1ELb0ELb0EEEvPT0_PvPT_S6_S6_PKS5_S8_S8_S8_S8_ffiiiiiiiiiiiii ; -- Begin function _ZN5aiter35fused_qk_rmsnorm_group_quant_kernelIDF16_DB8_Li128ELi16ELi8ELb1ELb1ELb0ELb1ELb0ELb0EEEvPT0_PvPT_S6_S6_PKS5_S8_S8_S8_S8_ffiiiiiiiiiiiii
	.globl	_ZN5aiter35fused_qk_rmsnorm_group_quant_kernelIDF16_DB8_Li128ELi16ELi8ELb1ELb1ELb0ELb1ELb0ELb0EEEvPT0_PvPT_S6_S6_PKS5_S8_S8_S8_S8_ffiiiiiiiiiiiii
	.p2align	8
	.type	_ZN5aiter35fused_qk_rmsnorm_group_quant_kernelIDF16_DB8_Li128ELi16ELi8ELb1ELb1ELb0ELb1ELb0ELb0EEEvPT0_PvPT_S6_S6_PKS5_S8_S8_S8_S8_ffiiiiiiiiiiiii,@function
_ZN5aiter35fused_qk_rmsnorm_group_quant_kernelIDF16_DB8_Li128ELi16ELi8ELb1ELb1ELb0ELb1ELb0ELb0EEEvPT0_PvPT_S6_S6_PKS5_S8_S8_S8_S8_ffiiiiiiiiiiiii: ; @_ZN5aiter35fused_qk_rmsnorm_group_quant_kernelIDF16_DB8_Li128ELi16ELi8ELb1ELb1ELb0ELb1ELb0ELb0EEEvPT0_PvPT_S6_S6_PKS5_S8_S8_S8_S8_ffiiiiiiiiiiiii
; %bb.0:
	s_load_dwordx8 s[12:19], s[4:5], 0x50
	s_waitcnt lgkmcnt(0)
	s_cmp_ge_i32 s6, s14
	s_cbranch_scc1 .LBB605_17
; %bb.1:
	s_cmp_lg_u32 s7, 0
	s_cselect_b64 s[22:23], -1, 0
	s_cmp_eq_u32 s7, 0
	s_cselect_b64 s[2:3], -1, 0
	s_and_b64 s[0:1], s[2:3], exec
	s_cselect_b32 s7, s15, s16
	s_load_dwordx2 s[10:11], s[4:5], 0x30
	s_load_dwordx2 s[20:21], s[4:5], 0x48
	s_add_i32 s0, s7, 1
	s_lshr_b32 s1, s0, 31
	s_add_i32 s0, s0, s1
	s_lshl_b32 s0, s0, 1
	v_lshlrev_b32_e32 v1, 4, v0
	s_and_b32 s30, s0, -4
	v_cmp_gt_i32_e64 s[0:1], s7, v1
	v_mov_b32_e32 v6, 0
	v_mov_b32_e32 v7, 0
	v_mov_b32_e32 v8, 0
	v_mov_b32_e32 v9, 0
	v_mov_b32_e32 v2, 0
	v_mov_b32_e32 v3, 0
	v_mov_b32_e32 v4, 0
	v_mov_b32_e32 v5, 0
	v_mov_b32_e32 v10, 0
	v_mov_b32_e32 v11, 0
	v_mov_b32_e32 v12, 0
	v_mov_b32_e32 v13, 0
	v_mov_b32_e32 v14, 0
	v_mov_b32_e32 v15, 0
	v_mov_b32_e32 v16, 0
	v_mov_b32_e32 v17, 0
	s_and_saveexec_b64 s[8:9], s[0:1]
	s_cbranch_execz .LBB605_3
; %bb.2:
	s_load_dwordx2 s[14:15], s[4:5], 0x28
	s_load_dwordx2 s[26:27], s[4:5], 0x40
	s_and_b64 s[24:25], s[2:3], exec
	s_cselect_b32 s17, s17, s18
	s_mov_b32 s31, 0x20000
	s_waitcnt lgkmcnt(0)
	s_cselect_b32 s25, s15, s11
	s_cselect_b32 s24, s14, s10
	s_mul_hi_i32 s15, s17, s6
	s_mul_i32 s14, s17, s6
	s_lshl_b64 s[14:15], s[14:15], 1
	s_add_u32 s24, s24, s14
	s_addc_u32 s17, s25, s15
	s_and_b64 s[14:15], s[2:3], exec
	s_cselect_b32 s28, s26, s20
	s_cselect_b32 s14, s27, s21
	s_and_b32 s25, s17, 0xffff
	s_mov_b32 s26, s30
	s_mov_b32 s27, s31
	v_lshlrev_b32_e32 v18, 5, v0
	s_and_b32 s29, s14, 0xffff
	buffer_load_dwordx4 v[10:13], v18, s[24:27], 0 offen
	buffer_load_dwordx4 v[14:17], v18, s[24:27], 16 offen
	;; [unrolled: 1-line block ×4, first 2 shown]
.LBB605_3:
	s_or_b64 exec, exec, s[8:9]
	s_load_dwordx4 s[24:27], s[4:5], 0x7c
	s_and_b64 vcc, exec, s[22:23]
	s_cbranch_vccz .LBB605_7
; %bb.4:
	v_mov_b32_e32 v19, 0
	v_mov_b32_e32 v18, 0
	;; [unrolled: 1-line block ×16, first 2 shown]
	s_and_saveexec_b64 s[8:9], s[0:1]
	s_cbranch_execz .LBB605_6
; %bb.5:
	s_waitcnt vmcnt(3)
	v_cvt_f32_f16_sdwa v33, v10 dst_sel:DWORD dst_unused:UNUSED_PAD src0_sel:WORD_1
	v_cvt_f32_f16_e32 v32, v10
	v_cvt_f32_f16_sdwa v31, v11 dst_sel:DWORD dst_unused:UNUSED_PAD src0_sel:WORD_1
	v_cvt_f32_f16_e32 v30, v11
	;; [unrolled: 2-line block ×4, first 2 shown]
	s_waitcnt vmcnt(2)
	v_cvt_f32_f16_sdwa v25, v14 dst_sel:DWORD dst_unused:UNUSED_PAD src0_sel:WORD_1
	v_cvt_f32_f16_e32 v24, v14
	v_cvt_f32_f16_sdwa v23, v15 dst_sel:DWORD dst_unused:UNUSED_PAD src0_sel:WORD_1
	v_cvt_f32_f16_e32 v22, v15
	;; [unrolled: 2-line block ×4, first 2 shown]
.LBB605_6:
	s_or_b64 exec, exec, s[8:9]
	s_cbranch_execz .LBB605_8
	s_branch .LBB605_11
.LBB605_7:
                                        ; implicit-def: $vgpr19
                                        ; implicit-def: $vgpr21
                                        ; implicit-def: $vgpr23
                                        ; implicit-def: $vgpr25
                                        ; implicit-def: $vgpr29
                                        ; implicit-def: $vgpr27
                                        ; implicit-def: $vgpr31
                                        ; implicit-def: $vgpr33
.LBB605_8:
	v_mov_b32_e32 v19, 0
	v_mov_b32_e32 v18, 0
	;; [unrolled: 1-line block ×16, first 2 shown]
	s_and_saveexec_b64 s[8:9], s[0:1]
	s_cbranch_execz .LBB605_10
; %bb.9:
	s_load_dwordx2 s[14:15], s[4:5], 0x38
	s_mul_hi_i32 s29, s19, s6
	s_mul_i32 s28, s19, s6
	s_lshl_b64 s[28:29], s[28:29], 1
	s_mov_b32 s31, 0x20000
	s_waitcnt lgkmcnt(0)
	s_add_u32 s28, s14, s28
	s_addc_u32 s14, s15, s29
	s_and_b32 s29, s14, 0xffff
	v_lshlrev_b32_e32 v48, 5, v0
	buffer_load_dwordx4 v[18:21], v48, s[28:31], 16 offen
	buffer_load_dwordx4 v[22:25], v48, s[28:31], 0 offen
	s_waitcnt vmcnt(4)
	v_cvt_f32_f16_sdwa v27, v14 dst_sel:DWORD dst_unused:UNUSED_PAD src0_sel:WORD_1
	v_cvt_f32_f16_e32 v26, v14
	v_cvt_f32_f16_sdwa v29, v15 dst_sel:DWORD dst_unused:UNUSED_PAD src0_sel:WORD_1
	v_cvt_f32_f16_e32 v28, v15
	;; [unrolled: 2-line block ×8, first 2 shown]
	s_load_dwordx2 s[14:15], s[4:5], 0x20
	s_mul_hi_i32 s27, s26, s6
	s_mul_i32 s26, s26, s6
	s_lshl_b64 s[26:27], s[26:27], 1
	s_waitcnt lgkmcnt(0)
	s_add_u32 s28, s14, s26
	s_addc_u32 s14, s15, s27
	s_and_b32 s29, s14, 0xffff
	s_waitcnt vmcnt(1)
	v_cvt_f32_f16_e32 v12, v18
	v_cvt_f32_f16_sdwa v13, v18 dst_sel:DWORD dst_unused:UNUSED_PAD src0_sel:WORD_1
	v_cvt_f32_f16_e32 v18, v19
	v_cvt_f32_f16_sdwa v19, v19 dst_sel:DWORD dst_unused:UNUSED_PAD src0_sel:WORD_1
	;; [unrolled: 2-line block ×4, first 2 shown]
	s_waitcnt vmcnt(0)
	v_cvt_f32_f16_e32 v40, v22
	v_cvt_f32_f16_sdwa v41, v22 dst_sel:DWORD dst_unused:UNUSED_PAD src0_sel:WORD_1
	v_cvt_f32_f16_e32 v42, v23
	v_cvt_f32_f16_sdwa v43, v23 dst_sel:DWORD dst_unused:UNUSED_PAD src0_sel:WORD_1
	;; [unrolled: 2-line block ×4, first 2 shown]
	v_pk_add_f32 v[24:25], v[26:27], v[12:13]
	v_pk_add_f32 v[22:23], v[28:29], v[18:19]
	;; [unrolled: 1-line block ×8, first 2 shown]
	v_cvt_f16_f32_e32 v10, v33
	v_cvt_f16_f32_e32 v14, v32
	;; [unrolled: 1-line block ×16, first 2 shown]
	v_pack_b32_f16 v13, v17, v13
	v_pack_b32_f16 v12, v16, v12
	;; [unrolled: 1-line block ×8, first 2 shown]
	buffer_store_dwordx4 v[10:13], v48, s[28:31], 0 offen
	;;#ASMSTART
	s_nop 0
	;;#ASMEND
	buffer_store_dwordx4 v[14:17], v48, s[28:31], 16 offen
	;;#ASMSTART
	s_nop 0
	;;#ASMEND
.LBB605_10:
	s_or_b64 exec, exec, s[8:9]
.LBB605_11:
	s_waitcnt vmcnt(3)
	v_mul_f32_e32 v10, v33, v33
	v_fmac_f32_e32 v10, v32, v32
	v_fmac_f32_e32 v10, v30, v30
	;; [unrolled: 1-line block ×15, first 2 shown]
	v_and_b32_e32 v12, 63, v0
	v_cmp_eq_u32_e64 s[8:9], 63, v12
	v_mov_b32_dpp v11, v10 quad_perm:[1,0,3,2] row_mask:0xf bank_mask:0xf
	v_add_f32_e32 v10, v10, v11
	s_nop 1
	v_mov_b32_dpp v11, v10 quad_perm:[2,3,0,1] row_mask:0xf bank_mask:0xf
	v_add_f32_e32 v10, v10, v11
	s_nop 1
	v_mov_b32_dpp v11, v10 row_half_mirror row_mask:0xf bank_mask:0xf
	v_add_f32_e32 v10, v10, v11
	s_nop 1
	v_mov_b32_dpp v11, v10 row_mirror row_mask:0xf bank_mask:0xf
	v_add_f32_e32 v10, v10, v11
	s_nop 1
	v_mov_b32_dpp v11, v10 row_bcast:15 row_mask:0xf bank_mask:0xf
	v_add_f32_e32 v10, v10, v11
	s_nop 1
	v_mov_b32_dpp v11, v10 row_bcast:31 row_mask:0xf bank_mask:0xf
	s_and_saveexec_b64 s[14:15], s[8:9]
	s_cbranch_execz .LBB605_13
; %bb.12:
	v_add_f32_e32 v10, v10, v11
	v_lshrrev_b32_e32 v11, 4, v0
	v_and_b32_e32 v11, 60, v11
	ds_write_b32 v11, v10 offset:8
.LBB605_13:
	s_or_b64 exec, exec, s[14:15]
	v_and_b32_e32 v10, 1, v0
	v_lshlrev_b32_e32 v34, 2, v10
	s_waitcnt lgkmcnt(0)
	s_barrier
	ds_read_b32 v10, v34 offset:8
	s_load_dwordx2 s[14:15], s[4:5], 0x18
	s_waitcnt lgkmcnt(0)
	v_mov_b32_dpp v11, v10 quad_perm:[1,0,3,2] row_mask:0xf bank_mask:0xf
	s_and_saveexec_b64 s[26:27], s[0:1]
	s_cbranch_execnz .LBB605_18
; %bb.14:
	s_or_b64 exec, exec, s[26:27]
	s_mov_b64 s[2:3], -1
	s_and_b64 vcc, exec, s[22:23]
	s_cbranch_vccnz .LBB605_19
.LBB605_15:
	s_andn2_b64 vcc, exec, s[2:3]
	s_cbranch_vccz .LBB605_22
.LBB605_16:
	s_cmp_lt_i32 s16, 1
	s_cbranch_scc0 .LBB605_25
.LBB605_17:
	s_endpgm
.LBB605_18:
	v_cvt_f32_u32_e32 v12, s7
	v_add_f32_e32 v10, v10, v11
	s_waitcnt vmcnt(2)
	v_mov_b32_e32 v14, s13
	v_mov_b32_e32 v15, s12
	v_div_scale_f32 v11, s[28:29], v12, v12, v10
	v_rcp_f32_e32 v13, v11
	v_cndmask_b32_e64 v14, v14, v15, s[2:3]
	s_mov_b32 s2, 0x800000
	s_waitcnt vmcnt(1)
	v_cvt_f32_f16_sdwa v37, v9 dst_sel:DWORD dst_unused:UNUSED_PAD src0_sel:WORD_1
	v_fma_f32 v15, -v11, v13, 1.0
	v_fmac_f32_e32 v13, v15, v13
	v_div_scale_f32 v15, vcc, v10, v12, v10
	v_mul_f32_e32 v16, v15, v13
	v_fma_f32 v17, -v11, v16, v15
	v_fmac_f32_e32 v16, v17, v13
	v_fma_f32 v11, -v11, v16, v15
	v_div_fmas_f32 v11, v11, v13, v16
	v_div_fixup_f32 v10, v11, v12, v10
	v_add_f32_e32 v10, v14, v10
	v_mul_f32_e32 v11, 0x4b800000, v10
	v_cmp_gt_f32_e32 vcc, s2, v10
	v_cndmask_b32_e32 v10, v10, v11, vcc
	v_rsq_f32_e32 v10, v10
	v_cvt_f32_f16_e32 v36, v9
	s_waitcnt vmcnt(0)
	v_cvt_f32_f16_sdwa v9, v3 dst_sel:DWORD dst_unused:UNUSED_PAD src0_sel:WORD_1
	v_mul_f32_e32 v11, 0x45800000, v10
	v_cndmask_b32_e32 v10, v10, v11, vcc
	v_mov_b32_e32 v11, v10
	;;#ASMSTART
	v_pk_mul_f32 v[12:13], v[32:33], v[10:11]
	;;#ASMEND
	;;#ASMSTART
	v_pk_mul_f32 v[14:15], v[30:31], v[10:11]
	;;#ASMEND
	;; [unrolled: 3-line block ×8, first 2 shown]
	v_cvt_f32_f16_sdwa v19, v6 dst_sel:DWORD dst_unused:UNUSED_PAD src0_sel:WORD_1
	v_cvt_f32_f16_e32 v18, v6
	v_cvt_f32_f16_sdwa v27, v7 dst_sel:DWORD dst_unused:UNUSED_PAD src0_sel:WORD_1
	v_cvt_f32_f16_e32 v26, v7
	;; [unrolled: 2-line block ×3, first 2 shown]
	;;#ASMSTART
	v_pk_mul_f32 v[32:33], v[12:13], v[18:19]
	;;#ASMEND
	;;#ASMSTART
	v_pk_mul_f32 v[30:31], v[14:15], v[26:27]
	;;#ASMEND
	;; [unrolled: 3-line block ×4, first 2 shown]
	v_cvt_f32_f16_sdwa v7, v2 dst_sel:DWORD dst_unused:UNUSED_PAD src0_sel:WORD_1
	v_cvt_f32_f16_e32 v6, v2
	v_cvt_f32_f16_e32 v8, v3
	v_cvt_f32_f16_sdwa v3, v4 dst_sel:DWORD dst_unused:UNUSED_PAD src0_sel:WORD_1
	v_cvt_f32_f16_e32 v2, v4
	v_cvt_f32_f16_sdwa v13, v5 dst_sel:DWORD dst_unused:UNUSED_PAD src0_sel:WORD_1
	v_cvt_f32_f16_e32 v12, v5
	;;#ASMSTART
	v_pk_mul_f32 v[24:25], v[24:25], v[6:7]
	;;#ASMEND
	;;#ASMSTART
	v_pk_mul_f32 v[22:23], v[22:23], v[8:9]
	;;#ASMEND
	;; [unrolled: 3-line block ×4, first 2 shown]
	s_or_b64 exec, exec, s[26:27]
	s_mov_b64 s[2:3], -1
	s_and_b64 vcc, exec, s[22:23]
	s_cbranch_vccz .LBB605_15
.LBB605_19:
	s_and_saveexec_b64 s[2:3], s[0:1]
	s_cbranch_execz .LBB605_21
; %bb.20:
	s_mul_hi_i32 s23, s25, s6
	s_mul_i32 s22, s25, s6
	s_waitcnt vmcnt(0)
	v_cvt_f16_f32_e32 v2, v32
	v_cvt_f16_f32_e32 v3, v30
	;; [unrolled: 1-line block ×8, first 2 shown]
	s_lshl_b64 s[22:23], s[22:23], 1
	s_add_u32 s28, s14, s22
	s_addc_u32 s7, s15, s23
	s_and_b32 s29, s7, 0xffff
	s_mov_b32 s31, 0x20000
	v_pack_b32_f16 v5, v5, v6
	v_pack_b32_f16 v4, v4, v7
	;; [unrolled: 1-line block ×4, first 2 shown]
	v_lshlrev_b32_e32 v6, 5, v0
	buffer_store_dwordx4 v[2:5], v6, s[28:31], 0 offen
	v_cvt_f16_f32_e32 v7, v19
	v_cvt_f16_f32_e32 v2, v24
	;; [unrolled: 1-line block ×8, first 2 shown]
	v_pack_b32_f16 v5, v5, v7
	v_pack_b32_f16 v4, v4, v8
	;; [unrolled: 1-line block ×4, first 2 shown]
	;;#ASMSTART
	s_nop 0
	;;#ASMEND
	buffer_store_dwordx4 v[2:5], v6, s[28:31], 16 offen
	;;#ASMSTART
	s_nop 0
	;;#ASMEND
.LBB605_21:
	s_or_b64 exec, exec, s[2:3]
	s_cbranch_execnz .LBB605_16
.LBB605_22:
	s_and_saveexec_b64 s[2:3], s[0:1]
	s_cbranch_execz .LBB605_24
; %bb.23:
	s_load_dwordx2 s[0:1], s[4:5], 0x10
	s_mul_hi_i32 s23, s24, s6
	s_mul_i32 s22, s24, s6
	s_waitcnt vmcnt(0)
	v_cvt_f16_f32_e32 v2, v32
	v_cvt_f16_f32_e32 v3, v30
	;; [unrolled: 1-line block ×8, first 2 shown]
	s_lshl_b64 s[22:23], s[22:23], 1
	s_waitcnt lgkmcnt(0)
	s_add_u32 s28, s0, s22
	s_addc_u32 s0, s1, s23
	s_mov_b32 s31, 0x20000
	s_and_b32 s29, s0, 0xffff
	v_pack_b32_f16 v5, v5, v6
	v_pack_b32_f16 v4, v4, v7
	;; [unrolled: 1-line block ×4, first 2 shown]
	v_lshlrev_b32_e32 v6, 5, v0
	buffer_store_dwordx4 v[2:5], v6, s[28:31], 0 offen
	v_cvt_f16_f32_e32 v7, v19
	v_cvt_f16_f32_e32 v2, v24
	;; [unrolled: 1-line block ×8, first 2 shown]
	v_pack_b32_f16 v5, v5, v7
	v_pack_b32_f16 v4, v4, v8
	;; [unrolled: 1-line block ×4, first 2 shown]
	;;#ASMSTART
	s_nop 0
	;;#ASMEND
	buffer_store_dwordx4 v[2:5], v6, s[28:31], 16 offen
	;;#ASMSTART
	s_nop 0
	;;#ASMEND
.LBB605_24:
	s_or_b64 exec, exec, s[2:3]
	s_cmp_lt_i32 s16, 1
	s_cbranch_scc1 .LBB605_17
.LBB605_25:
	s_load_dword s0, s[4:5], 0x94
	s_waitcnt lgkmcnt(0)
	s_cmp_lg_u32 s0, 1
	s_cbranch_scc1 .LBB605_17
; %bb.26:
	s_lshl_b32 s0, s16, 1
	s_add_i32 s0, s0, 2
	v_cmp_gt_u32_e32 vcc, s16, v1
	s_and_b32 s22, s0, -4
	v_mov_b32_e32 v18, 0
	v_lshlrev_b32_e32 v1, 5, v0
	s_waitcnt vmcnt(2)
	v_mov_b32_e32 v14, 0
	v_mov_b32_e32 v15, 0
	v_mov_b32_e32 v16, 0
	v_mov_b32_e32 v17, 0
	v_mov_b32_e32 v10, 0
	v_mov_b32_e32 v11, 0
	v_mov_b32_e32 v12, 0
	v_mov_b32_e32 v13, 0
	s_waitcnt vmcnt(1)
	v_mov_b32_e32 v6, 0
	v_mov_b32_e32 v7, 0
	;; [unrolled: 1-line block ×4, first 2 shown]
	s_waitcnt vmcnt(0)
	v_mov_b32_e32 v2, 0
	v_mov_b32_e32 v3, 0
	;; [unrolled: 1-line block ×4, first 2 shown]
	s_barrier
	s_and_saveexec_b64 s[0:1], vcc
	s_cbranch_execz .LBB605_28
; %bb.27:
	s_mul_hi_i32 s3, s18, s6
	s_mul_i32 s2, s18, s6
	s_and_b32 s21, s21, 0xffff
	s_lshl_b64 s[2:3], s[2:3], 1
	s_add_u32 s28, s10, s2
	s_mov_b32 s23, 0x20000
	s_addc_u32 s2, s11, s3
	s_and_b32 s29, s2, 0xffff
	s_mov_b32 s30, s22
	s_mov_b32 s31, s23
	buffer_load_dwordx4 v[14:17], v1, s[28:31], 0 offen
	buffer_load_dwordx4 v[10:13], v1, s[28:31], 16 offen
	;; [unrolled: 1-line block ×4, first 2 shown]
.LBB605_28:
	s_or_b64 exec, exec, s[0:1]
	v_mov_b32_e32 v19, 0
	v_mov_b32_e32 v32, 0
	v_mov_b32_e32 v33, 0
	v_mov_b32_e32 v30, 0
	v_mov_b32_e32 v31, 0
	v_mov_b32_e32 v28, 0
	v_mov_b32_e32 v29, 0
	v_mov_b32_e32 v26, 0
	v_mov_b32_e32 v27, 0
	v_mov_b32_e32 v24, 0
	v_mov_b32_e32 v25, 0
	v_mov_b32_e32 v22, 0
	v_mov_b32_e32 v23, 0
	v_mov_b32_e32 v20, 0
	v_mov_b32_e32 v21, 0
	s_and_saveexec_b64 s[0:1], vcc
	s_cbranch_execz .LBB605_30
; %bb.29:
	s_waitcnt vmcnt(3)
	v_cvt_f32_f16_sdwa v19, v14 dst_sel:DWORD dst_unused:UNUSED_PAD src0_sel:WORD_1
	v_cvt_f32_f16_e32 v18, v14
	v_cvt_f32_f16_sdwa v33, v15 dst_sel:DWORD dst_unused:UNUSED_PAD src0_sel:WORD_1
	v_cvt_f32_f16_e32 v32, v15
	;; [unrolled: 2-line block ×4, first 2 shown]
	s_waitcnt vmcnt(2)
	v_cvt_f32_f16_sdwa v27, v10 dst_sel:DWORD dst_unused:UNUSED_PAD src0_sel:WORD_1
	v_cvt_f32_f16_e32 v26, v10
	v_cvt_f32_f16_sdwa v25, v11 dst_sel:DWORD dst_unused:UNUSED_PAD src0_sel:WORD_1
	v_cvt_f32_f16_e32 v24, v11
	;; [unrolled: 2-line block ×4, first 2 shown]
.LBB605_30:
	s_or_b64 exec, exec, s[0:1]
	s_waitcnt vmcnt(2)
	v_mul_f32_e32 v10, v19, v19
	v_fmac_f32_e32 v10, v18, v18
	v_fmac_f32_e32 v10, v32, v32
	v_fmac_f32_e32 v10, v33, v33
	v_fmac_f32_e32 v10, v30, v30
	v_fmac_f32_e32 v10, v31, v31
	v_fmac_f32_e32 v10, v28, v28
	v_fmac_f32_e32 v10, v29, v29
	v_fmac_f32_e32 v10, v26, v26
	v_fmac_f32_e32 v10, v27, v27
	v_fmac_f32_e32 v10, v24, v24
	v_fmac_f32_e32 v10, v25, v25
	v_fmac_f32_e32 v10, v22, v22
	v_fmac_f32_e32 v10, v23, v23
	v_fmac_f32_e32 v10, v20, v20
	v_fmac_f32_e32 v10, v21, v21
	s_nop 1
	v_mov_b32_dpp v11, v10 quad_perm:[1,0,3,2] row_mask:0xf bank_mask:0xf
	v_add_f32_e32 v10, v10, v11
	s_nop 1
	v_mov_b32_dpp v11, v10 quad_perm:[2,3,0,1] row_mask:0xf bank_mask:0xf
	v_add_f32_e32 v10, v10, v11
	s_nop 1
	v_mov_b32_dpp v11, v10 row_half_mirror row_mask:0xf bank_mask:0xf
	v_add_f32_e32 v10, v10, v11
	s_nop 1
	v_mov_b32_dpp v11, v10 row_mirror row_mask:0xf bank_mask:0xf
	v_add_f32_e32 v10, v10, v11
	s_nop 1
	v_mov_b32_dpp v11, v10 row_bcast:15 row_mask:0xf bank_mask:0xf
	v_add_f32_e32 v10, v10, v11
	s_nop 1
	v_mov_b32_dpp v11, v10 row_bcast:31 row_mask:0xf bank_mask:0xf
	s_and_saveexec_b64 s[0:1], s[8:9]
	s_cbranch_execz .LBB605_32
; %bb.31:
	v_lshrrev_b32_e32 v0, 4, v0
	v_add_f32_e32 v10, v10, v11
	v_and_b32_e32 v0, 60, v0
	ds_write_b32 v0, v10
.LBB605_32:
	s_or_b64 exec, exec, s[0:1]
	s_waitcnt lgkmcnt(0)
	s_barrier
	ds_read_b32 v0, v34
	s_waitcnt lgkmcnt(0)
	s_nop 0
	v_mov_b32_dpp v10, v0 quad_perm:[1,0,3,2] row_mask:0xf bank_mask:0xf
	s_and_saveexec_b64 s[0:1], vcc
	s_cbranch_execz .LBB605_17
; %bb.33:
	v_cvt_f32_u32_e32 v11, s16
	v_add_f32_e32 v0, v0, v10
	s_mov_b32 s23, 0x20000
	v_div_scale_f32 v10, s[0:1], v11, v11, v0
	v_rcp_f32_e32 v12, v10
	v_div_scale_f32 v13, vcc, v0, v11, v0
	s_mov_b32 s0, 0x800000
	v_fma_f32 v14, -v10, v12, 1.0
	v_fmac_f32_e32 v12, v14, v12
	v_mul_f32_e32 v14, v13, v12
	v_fma_f32 v15, -v10, v14, v13
	v_fmac_f32_e32 v14, v15, v12
	v_fma_f32 v10, -v10, v14, v13
	v_div_fmas_f32 v10, v10, v12, v14
	v_div_fixup_f32 v0, v10, v11, v0
	v_add_f32_e32 v0, s13, v0
	v_mul_f32_e32 v10, 0x4b800000, v0
	v_cmp_gt_f32_e32 vcc, s0, v0
	v_cndmask_b32_e32 v0, v0, v10, vcc
	v_rsq_f32_e32 v0, v0
	s_mul_hi_i32 s1, s25, s6
	s_mul_i32 s0, s25, s6
	s_lshl_b64 s[0:1], s[0:1], 1
	v_mul_f32_e32 v10, 0x45800000, v0
	v_cndmask_b32_e32 v10, v0, v10, vcc
	v_mov_b32_e32 v11, v10
	;;#ASMSTART
	v_pk_mul_f32 v[12:13], v[18:19], v[10:11]
	;;#ASMEND
	;;#ASMSTART
	v_pk_mul_f32 v[14:15], v[32:33], v[10:11]
	;;#ASMEND
	;; [unrolled: 3-line block ×8, first 2 shown]
	s_waitcnt vmcnt(1)
	v_cvt_f32_f16_sdwa v21, v6 dst_sel:DWORD dst_unused:UNUSED_PAD src0_sel:WORD_1
	v_cvt_f32_f16_e32 v20, v6
	v_cvt_f32_f16_sdwa v29, v7 dst_sel:DWORD dst_unused:UNUSED_PAD src0_sel:WORD_1
	v_cvt_f32_f16_e32 v28, v7
	v_cvt_f32_f16_sdwa v7, v8 dst_sel:DWORD dst_unused:UNUSED_PAD src0_sel:WORD_1
	v_cvt_f32_f16_e32 v6, v8
	v_cvt_f32_f16_sdwa v31, v9 dst_sel:DWORD dst_unused:UNUSED_PAD src0_sel:WORD_1
	v_cvt_f32_f16_e32 v30, v9
	;;#ASMSTART
	v_pk_mul_f32 v[8:9], v[12:13], v[20:21]
	;;#ASMEND
	;;#ASMSTART
	v_pk_mul_f32 v[12:13], v[14:15], v[28:29]
	;;#ASMEND
	;; [unrolled: 3-line block ×4, first 2 shown]
	s_waitcnt vmcnt(0)
	v_cvt_f32_f16_sdwa v17, v2 dst_sel:DWORD dst_unused:UNUSED_PAD src0_sel:WORD_1
	v_cvt_f32_f16_e32 v16, v2
	v_cvt_f32_f16_sdwa v19, v3 dst_sel:DWORD dst_unused:UNUSED_PAD src0_sel:WORD_1
	v_cvt_f32_f16_e32 v18, v3
	;; [unrolled: 2-line block ×4, first 2 shown]
	;;#ASMSTART
	v_pk_mul_f32 v[16:17], v[26:27], v[16:17]
	;;#ASMEND
	;;#ASMSTART
	v_pk_mul_f32 v[18:19], v[24:25], v[18:19]
	;;#ASMEND
	;;#ASMSTART
	v_pk_mul_f32 v[22:23], v[22:23], v[2:3]
	;;#ASMEND
	v_cvt_f16_f32_e32 v0, v8
	v_cvt_f16_f32_e32 v2, v9
	;; [unrolled: 1-line block ×8, first 2 shown]
	s_add_u32 s20, s14, s0
	s_addc_u32 s0, s15, s1
	s_and_b32 s21, s0, 0xffff
	v_pack_b32_f16 v2, v0, v2
	v_pack_b32_f16 v3, v3, v4
	;; [unrolled: 1-line block ×4, first 2 shown]
	;;#ASMSTART
	v_pk_mul_f32 v[10:11], v[10:11], v[20:21]
	;;#ASMEND
	buffer_store_dwordx4 v[2:5], v1, s[20:23], 0 offen
	v_cvt_f16_f32_e32 v0, v16
	v_cvt_f16_f32_e32 v2, v17
	;; [unrolled: 1-line block ×8, first 2 shown]
	v_pack_b32_f16 v2, v0, v2
	v_pack_b32_f16 v3, v3, v4
	;; [unrolled: 1-line block ×4, first 2 shown]
	;;#ASMSTART
	s_nop 0
	;;#ASMEND
	buffer_store_dwordx4 v[2:5], v1, s[20:23], 16 offen
	;;#ASMSTART
	s_nop 0
	;;#ASMEND
	s_endpgm
	.section	.rodata,"a",@progbits
	.p2align	6, 0x0
	.amdhsa_kernel _ZN5aiter35fused_qk_rmsnorm_group_quant_kernelIDF16_DB8_Li128ELi16ELi8ELb1ELb1ELb0ELb1ELb0ELb0EEEvPT0_PvPT_S6_S6_PKS5_S8_S8_S8_S8_ffiiiiiiiiiiiii
		.amdhsa_group_segment_fixed_size 16
		.amdhsa_private_segment_fixed_size 0
		.amdhsa_kernarg_size 400
		.amdhsa_user_sgpr_count 6
		.amdhsa_user_sgpr_private_segment_buffer 1
		.amdhsa_user_sgpr_dispatch_ptr 0
		.amdhsa_user_sgpr_queue_ptr 0
		.amdhsa_user_sgpr_kernarg_segment_ptr 1
		.amdhsa_user_sgpr_dispatch_id 0
		.amdhsa_user_sgpr_flat_scratch_init 0
		.amdhsa_user_sgpr_kernarg_preload_length 0
		.amdhsa_user_sgpr_kernarg_preload_offset 0
		.amdhsa_user_sgpr_private_segment_size 0
		.amdhsa_uses_dynamic_stack 0
		.amdhsa_system_sgpr_private_segment_wavefront_offset 0
		.amdhsa_system_sgpr_workgroup_id_x 1
		.amdhsa_system_sgpr_workgroup_id_y 1
		.amdhsa_system_sgpr_workgroup_id_z 0
		.amdhsa_system_sgpr_workgroup_info 0
		.amdhsa_system_vgpr_workitem_id 0
		.amdhsa_next_free_vgpr 49
		.amdhsa_next_free_sgpr 32
		.amdhsa_accum_offset 52
		.amdhsa_reserve_vcc 1
		.amdhsa_reserve_flat_scratch 0
		.amdhsa_float_round_mode_32 0
		.amdhsa_float_round_mode_16_64 0
		.amdhsa_float_denorm_mode_32 3
		.amdhsa_float_denorm_mode_16_64 3
		.amdhsa_dx10_clamp 1
		.amdhsa_ieee_mode 1
		.amdhsa_fp16_overflow 0
		.amdhsa_tg_split 0
		.amdhsa_exception_fp_ieee_invalid_op 0
		.amdhsa_exception_fp_denorm_src 0
		.amdhsa_exception_fp_ieee_div_zero 0
		.amdhsa_exception_fp_ieee_overflow 0
		.amdhsa_exception_fp_ieee_underflow 0
		.amdhsa_exception_fp_ieee_inexact 0
		.amdhsa_exception_int_div_zero 0
	.end_amdhsa_kernel
	.section	.text._ZN5aiter35fused_qk_rmsnorm_group_quant_kernelIDF16_DB8_Li128ELi16ELi8ELb1ELb1ELb0ELb1ELb0ELb0EEEvPT0_PvPT_S6_S6_PKS5_S8_S8_S8_S8_ffiiiiiiiiiiiii,"axG",@progbits,_ZN5aiter35fused_qk_rmsnorm_group_quant_kernelIDF16_DB8_Li128ELi16ELi8ELb1ELb1ELb0ELb1ELb0ELb0EEEvPT0_PvPT_S6_S6_PKS5_S8_S8_S8_S8_ffiiiiiiiiiiiii,comdat
.Lfunc_end605:
	.size	_ZN5aiter35fused_qk_rmsnorm_group_quant_kernelIDF16_DB8_Li128ELi16ELi8ELb1ELb1ELb0ELb1ELb0ELb0EEEvPT0_PvPT_S6_S6_PKS5_S8_S8_S8_S8_ffiiiiiiiiiiiii, .Lfunc_end605-_ZN5aiter35fused_qk_rmsnorm_group_quant_kernelIDF16_DB8_Li128ELi16ELi8ELb1ELb1ELb0ELb1ELb0ELb0EEEvPT0_PvPT_S6_S6_PKS5_S8_S8_S8_S8_ffiiiiiiiiiiiii
                                        ; -- End function
	.section	.AMDGPU.csdata,"",@progbits
; Kernel info:
; codeLenInByte = 3448
; NumSgprs: 36
; NumVgprs: 49
; NumAgprs: 0
; TotalNumVgprs: 49
; ScratchSize: 0
; MemoryBound: 0
; FloatMode: 240
; IeeeMode: 1
; LDSByteSize: 16 bytes/workgroup (compile time only)
; SGPRBlocks: 4
; VGPRBlocks: 6
; NumSGPRsForWavesPerEU: 36
; NumVGPRsForWavesPerEU: 49
; AccumOffset: 52
; Occupancy: 8
; WaveLimiterHint : 0
; COMPUTE_PGM_RSRC2:SCRATCH_EN: 0
; COMPUTE_PGM_RSRC2:USER_SGPR: 6
; COMPUTE_PGM_RSRC2:TRAP_HANDLER: 0
; COMPUTE_PGM_RSRC2:TGID_X_EN: 1
; COMPUTE_PGM_RSRC2:TGID_Y_EN: 1
; COMPUTE_PGM_RSRC2:TGID_Z_EN: 0
; COMPUTE_PGM_RSRC2:TIDIG_COMP_CNT: 0
; COMPUTE_PGM_RSRC3_GFX90A:ACCUM_OFFSET: 12
; COMPUTE_PGM_RSRC3_GFX90A:TG_SPLIT: 0
	.section	.text._ZN5aiter35fused_qk_rmsnorm_group_quant_kernelItDB8_Li128ELi16ELi8ELb1ELb1ELb0ELb1ELb0ELb0EEEvPT0_PvPT_S6_S6_PKS5_S8_S8_S8_S8_ffiiiiiiiiiiiii,"axG",@progbits,_ZN5aiter35fused_qk_rmsnorm_group_quant_kernelItDB8_Li128ELi16ELi8ELb1ELb1ELb0ELb1ELb0ELb0EEEvPT0_PvPT_S6_S6_PKS5_S8_S8_S8_S8_ffiiiiiiiiiiiii,comdat
	.protected	_ZN5aiter35fused_qk_rmsnorm_group_quant_kernelItDB8_Li128ELi16ELi8ELb1ELb1ELb0ELb1ELb0ELb0EEEvPT0_PvPT_S6_S6_PKS5_S8_S8_S8_S8_ffiiiiiiiiiiiii ; -- Begin function _ZN5aiter35fused_qk_rmsnorm_group_quant_kernelItDB8_Li128ELi16ELi8ELb1ELb1ELb0ELb1ELb0ELb0EEEvPT0_PvPT_S6_S6_PKS5_S8_S8_S8_S8_ffiiiiiiiiiiiii
	.globl	_ZN5aiter35fused_qk_rmsnorm_group_quant_kernelItDB8_Li128ELi16ELi8ELb1ELb1ELb0ELb1ELb0ELb0EEEvPT0_PvPT_S6_S6_PKS5_S8_S8_S8_S8_ffiiiiiiiiiiiii
	.p2align	8
	.type	_ZN5aiter35fused_qk_rmsnorm_group_quant_kernelItDB8_Li128ELi16ELi8ELb1ELb1ELb0ELb1ELb0ELb0EEEvPT0_PvPT_S6_S6_PKS5_S8_S8_S8_S8_ffiiiiiiiiiiiii,@function
_ZN5aiter35fused_qk_rmsnorm_group_quant_kernelItDB8_Li128ELi16ELi8ELb1ELb1ELb0ELb1ELb0ELb0EEEvPT0_PvPT_S6_S6_PKS5_S8_S8_S8_S8_ffiiiiiiiiiiiii: ; @_ZN5aiter35fused_qk_rmsnorm_group_quant_kernelItDB8_Li128ELi16ELi8ELb1ELb1ELb0ELb1ELb0ELb0EEEvPT0_PvPT_S6_S6_PKS5_S8_S8_S8_S8_ffiiiiiiiiiiiii
; %bb.0:
	s_load_dwordx8 s[12:19], s[4:5], 0x50
	s_waitcnt lgkmcnt(0)
	s_cmp_ge_i32 s6, s14
	s_cbranch_scc1 .LBB606_17
; %bb.1:
	s_cmp_lg_u32 s7, 0
	s_cselect_b64 s[22:23], -1, 0
	s_cmp_eq_u32 s7, 0
	s_cselect_b64 s[2:3], -1, 0
	s_and_b64 s[0:1], s[2:3], exec
	s_cselect_b32 s7, s15, s16
	s_load_dwordx2 s[10:11], s[4:5], 0x30
	s_load_dwordx2 s[20:21], s[4:5], 0x48
	s_add_i32 s0, s7, 1
	s_lshr_b32 s1, s0, 31
	s_add_i32 s0, s0, s1
	s_lshl_b32 s0, s0, 1
	v_lshlrev_b32_e32 v1, 4, v0
	s_and_b32 s30, s0, -4
	v_cmp_gt_i32_e64 s[0:1], s7, v1
	v_mov_b32_e32 v76, 0
	v_mov_b32_e32 v77, 0
	;; [unrolled: 1-line block ×16, first 2 shown]
	s_and_saveexec_b64 s[8:9], s[0:1]
	s_cbranch_execz .LBB606_3
; %bb.2:
	s_load_dwordx2 s[14:15], s[4:5], 0x28
	s_load_dwordx2 s[26:27], s[4:5], 0x40
	s_and_b64 s[24:25], s[2:3], exec
	s_cselect_b32 s17, s17, s18
	s_mov_b32 s31, 0x20000
	s_waitcnt lgkmcnt(0)
	s_cselect_b32 s25, s15, s11
	s_cselect_b32 s24, s14, s10
	s_mul_hi_i32 s15, s17, s6
	s_mul_i32 s14, s17, s6
	s_lshl_b64 s[14:15], s[14:15], 1
	s_add_u32 s24, s24, s14
	s_addc_u32 s17, s25, s15
	s_and_b64 s[14:15], s[2:3], exec
	s_cselect_b32 s28, s26, s20
	s_cselect_b32 s14, s27, s21
	s_and_b32 s25, s17, 0xffff
	s_mov_b32 s26, s30
	s_mov_b32 s27, s31
	v_lshlrev_b32_e32 v2, 5, v0
	s_and_b32 s29, s14, 0xffff
	buffer_load_dwordx4 v[80:83], v2, s[24:27], 0 offen
	buffer_load_dwordx4 v[84:87], v2, s[24:27], 16 offen
	;; [unrolled: 1-line block ×4, first 2 shown]
.LBB606_3:
	s_or_b64 exec, exec, s[8:9]
	s_load_dwordx4 s[24:27], s[4:5], 0x7c
	s_and_b64 vcc, exec, s[22:23]
	s_cbranch_vccz .LBB606_7
; %bb.4:
	v_mov_b32_e32 v89, 0
	v_mov_b32_e32 v88, 0
	;; [unrolled: 1-line block ×16, first 2 shown]
	s_and_saveexec_b64 s[8:9], s[0:1]
	s_cbranch_execz .LBB606_6
; %bb.5:
	s_waitcnt vmcnt(3)
	v_cvt_f32_u32_sdwa v18, v80 dst_sel:DWORD dst_unused:UNUSED_PAD src0_sel:WORD_0
	v_cvt_f32_u32_sdwa v19, v80 dst_sel:DWORD dst_unused:UNUSED_PAD src0_sel:WORD_1
	v_cvt_f32_u32_sdwa v4, v81 dst_sel:DWORD dst_unused:UNUSED_PAD src0_sel:WORD_0
	v_cvt_f32_u32_sdwa v5, v81 dst_sel:DWORD dst_unused:UNUSED_PAD src0_sel:WORD_1
	;; [unrolled: 2-line block ×4, first 2 shown]
	s_waitcnt vmcnt(2)
	v_cvt_f32_u32_sdwa v64, v84 dst_sel:DWORD dst_unused:UNUSED_PAD src0_sel:WORD_0
	v_cvt_f32_u32_sdwa v65, v84 dst_sel:DWORD dst_unused:UNUSED_PAD src0_sel:WORD_1
	v_cvt_f32_u32_sdwa v48, v85 dst_sel:DWORD dst_unused:UNUSED_PAD src0_sel:WORD_0
	v_cvt_f32_u32_sdwa v49, v85 dst_sel:DWORD dst_unused:UNUSED_PAD src0_sel:WORD_1
	;; [unrolled: 2-line block ×4, first 2 shown]
.LBB606_6:
	s_or_b64 exec, exec, s[8:9]
	s_cbranch_execz .LBB606_8
	s_branch .LBB606_11
.LBB606_7:
                                        ; implicit-def: $vgpr18_vgpr19_vgpr20_vgpr21_vgpr22_vgpr23_vgpr24_vgpr25_vgpr26_vgpr27_vgpr28_vgpr29_vgpr30_vgpr31_vgpr32_vgpr33
                                        ; implicit-def: $vgpr50_vgpr51_vgpr52_vgpr53_vgpr54_vgpr55_vgpr56_vgpr57_vgpr58_vgpr59_vgpr60_vgpr61_vgpr62_vgpr63_vgpr64_vgpr65
                                        ; implicit-def: $vgpr30_vgpr31_vgpr32_vgpr33_vgpr34_vgpr35_vgpr36_vgpr37_vgpr38_vgpr39_vgpr40_vgpr41_vgpr42_vgpr43_vgpr44_vgpr45
                                        ; implicit-def: $vgpr89
                                        ; implicit-def: $vgpr2_vgpr3_vgpr4_vgpr5_vgpr6_vgpr7_vgpr8_vgpr9_vgpr10_vgpr11_vgpr12_vgpr13_vgpr14_vgpr15_vgpr16_vgpr17
                                        ; implicit-def: $vgpr56_vgpr57_vgpr58_vgpr59_vgpr60_vgpr61_vgpr62_vgpr63_vgpr64_vgpr65_vgpr66_vgpr67_vgpr68_vgpr69_vgpr70_vgpr71
                                        ; implicit-def: $vgpr38_vgpr39_vgpr40_vgpr41_vgpr42_vgpr43_vgpr44_vgpr45_vgpr46_vgpr47_vgpr48_vgpr49_vgpr50_vgpr51_vgpr52_vgpr53
                                        ; implicit-def: $vgpr20_vgpr21_vgpr22_vgpr23_vgpr24_vgpr25_vgpr26_vgpr27_vgpr28_vgpr29_vgpr30_vgpr31_vgpr32_vgpr33_vgpr34_vgpr35
.LBB606_8:
	v_mov_b32_e32 v89, 0
	v_mov_b32_e32 v88, 0
	;; [unrolled: 1-line block ×16, first 2 shown]
	s_and_saveexec_b64 s[8:9], s[0:1]
	s_cbranch_execz .LBB606_10
; %bb.9:
	s_load_dwordx2 s[14:15], s[4:5], 0x38
	s_mul_hi_i32 s29, s19, s6
	s_mul_i32 s28, s19, s6
	s_lshl_b64 s[28:29], s[28:29], 1
	s_mov_b32 s31, 0x20000
	s_waitcnt lgkmcnt(0)
	s_add_u32 s28, s14, s28
	s_addc_u32 s14, s15, s29
	s_and_b32 s29, s14, 0xffff
	v_lshlrev_b32_e32 v38, 5, v0
	buffer_load_dwordx4 v[4:7], v38, s[28:31], 16 offen
	buffer_load_dwordx4 v[8:11], v38, s[28:31], 0 offen
	s_load_dwordx2 s[14:15], s[4:5], 0x20
	s_waitcnt vmcnt(5)
	v_cvt_f32_u32_sdwa v19, v80 dst_sel:DWORD dst_unused:UNUSED_PAD src0_sel:WORD_1
	v_cvt_f32_u32_sdwa v18, v80 dst_sel:DWORD dst_unused:UNUSED_PAD src0_sel:WORD_0
	v_cvt_f32_u32_sdwa v21, v81 dst_sel:DWORD dst_unused:UNUSED_PAD src0_sel:WORD_1
	v_cvt_f32_u32_sdwa v20, v81 dst_sel:DWORD dst_unused:UNUSED_PAD src0_sel:WORD_0
	;; [unrolled: 2-line block ×4, first 2 shown]
	s_waitcnt vmcnt(4)
	v_cvt_f32_u32_sdwa v3, v84 dst_sel:DWORD dst_unused:UNUSED_PAD src0_sel:WORD_1
	v_cvt_f32_u32_sdwa v2, v84 dst_sel:DWORD dst_unused:UNUSED_PAD src0_sel:WORD_0
	v_cvt_f32_u32_sdwa v13, v85 dst_sel:DWORD dst_unused:UNUSED_PAD src0_sel:WORD_1
	v_cvt_f32_u32_sdwa v12, v85 dst_sel:DWORD dst_unused:UNUSED_PAD src0_sel:WORD_0
	;; [unrolled: 2-line block ×3, first 2 shown]
	v_cvt_f32_u32_sdwa v16, v87 dst_sel:DWORD dst_unused:UNUSED_PAD src0_sel:WORD_0
	v_cvt_f32_u32_sdwa v17, v87 dst_sel:DWORD dst_unused:UNUSED_PAD src0_sel:WORD_1
	s_mul_hi_i32 s27, s26, s6
	s_mul_i32 s26, s26, s6
	s_lshl_b64 s[26:27], s[26:27], 1
	s_waitcnt lgkmcnt(0)
	s_add_u32 s28, s14, s26
	s_mov_b32 s17, 0x7060302
	s_addc_u32 s14, s15, s27
	s_and_b32 s29, s14, 0xffff
	s_waitcnt vmcnt(1)
	v_cvt_f32_u32_sdwa v27, v4 dst_sel:DWORD dst_unused:UNUSED_PAD src0_sel:WORD_1
	v_cvt_f32_u32_sdwa v26, v4 dst_sel:DWORD dst_unused:UNUSED_PAD src0_sel:WORD_0
	v_cvt_f32_u32_sdwa v29, v5 dst_sel:DWORD dst_unused:UNUSED_PAD src0_sel:WORD_1
	v_cvt_f32_u32_sdwa v28, v5 dst_sel:DWORD dst_unused:UNUSED_PAD src0_sel:WORD_0
	;; [unrolled: 2-line block ×3, first 2 shown]
	v_cvt_f32_u32_sdwa v32, v7 dst_sel:DWORD dst_unused:UNUSED_PAD src0_sel:WORD_0
	v_cvt_f32_u32_sdwa v33, v7 dst_sel:DWORD dst_unused:UNUSED_PAD src0_sel:WORD_1
	s_waitcnt vmcnt(0)
	v_cvt_f32_u32_sdwa v35, v8 dst_sel:DWORD dst_unused:UNUSED_PAD src0_sel:WORD_1
	v_cvt_f32_u32_sdwa v34, v8 dst_sel:DWORD dst_unused:UNUSED_PAD src0_sel:WORD_0
	v_cvt_f32_u32_sdwa v5, v10 dst_sel:DWORD dst_unused:UNUSED_PAD src0_sel:WORD_1
	v_cvt_f32_u32_sdwa v4, v10 dst_sel:DWORD dst_unused:UNUSED_PAD src0_sel:WORD_0
	;; [unrolled: 2-line block ×4, first 2 shown]
	v_pk_add_f32 v[54:55], v[22:23], v[4:5]
	v_pk_add_f32 v[36:37], v[24:25], v[6:7]
	;; [unrolled: 1-line block ×4, first 2 shown]
	v_perm_b32 v9, v37, v36, s17
	v_perm_b32 v8, v55, v54, s17
	;; [unrolled: 1-line block ×4, first 2 shown]
	v_pk_add_f32 v[88:89], v[16:17], v[32:33]
	v_pk_add_f32 v[32:33], v[14:15], v[30:31]
	;; [unrolled: 1-line block ×4, first 2 shown]
	buffer_store_dwordx4 v[6:9], v38, s[28:31], 0 offen
	;;#ASMSTART
	s_nop 0
	;;#ASMEND
	s_nop 0
	v_perm_b32 v9, v89, v88, s17
	v_perm_b32 v8, v33, v32, s17
	;; [unrolled: 1-line block ×4, first 2 shown]
	buffer_store_dwordx4 v[6:9], v38, s[28:31], 16 offen
	;;#ASMSTART
	s_nop 0
	;;#ASMEND
.LBB606_10:
	s_or_b64 exec, exec, s[8:9]
.LBB606_11:
	v_mul_f32_e32 v2, v19, v19
	v_fmac_f32_e32 v2, v18, v18
	v_fmac_f32_e32 v2, v4, v4
	;; [unrolled: 1-line block ×15, first 2 shown]
	s_nop 1
	v_mov_b32_dpp v3, v2 quad_perm:[1,0,3,2] row_mask:0xf bank_mask:0xf
	v_add_f32_e32 v2, v2, v3
	s_nop 1
	v_mov_b32_dpp v3, v2 quad_perm:[2,3,0,1] row_mask:0xf bank_mask:0xf
	v_add_f32_e32 v2, v2, v3
	s_nop 1
	v_mov_b32_dpp v3, v2 row_half_mirror row_mask:0xf bank_mask:0xf
	v_add_f32_e32 v2, v2, v3
	s_nop 1
	v_mov_b32_dpp v3, v2 row_mirror row_mask:0xf bank_mask:0xf
	v_add_f32_e32 v2, v2, v3
	s_nop 1
	v_mov_b32_dpp v3, v2 row_bcast:15 row_mask:0xf bank_mask:0xf
	v_add_f32_e32 v2, v2, v3
	v_and_b32_e32 v3, 63, v0
	v_cmp_eq_u32_e64 s[8:9], 63, v3
	s_nop 0
	v_mov_b32_dpp v3, v2 row_bcast:31 row_mask:0xf bank_mask:0xf
	s_and_saveexec_b64 s[14:15], s[8:9]
	s_cbranch_execz .LBB606_13
; %bb.12:
	v_add_f32_e32 v2, v2, v3
	v_lshrrev_b32_e32 v3, 4, v0
	v_and_b32_e32 v3, 60, v3
	ds_write_b32 v3, v2 offset:8
.LBB606_13:
	s_or_b64 exec, exec, s[14:15]
	v_and_b32_e32 v2, 1, v0
	v_lshlrev_b32_e32 v34, 2, v2
	s_waitcnt lgkmcnt(0)
	s_barrier
	ds_read_b32 v2, v34 offset:8
	s_load_dwordx2 s[14:15], s[4:5], 0x18
	s_waitcnt lgkmcnt(0)
	v_mov_b32_dpp v3, v2 quad_perm:[1,0,3,2] row_mask:0xf bank_mask:0xf
	s_and_saveexec_b64 s[26:27], s[0:1]
	s_cbranch_execnz .LBB606_18
; %bb.14:
	s_or_b64 exec, exec, s[26:27]
	s_mov_b64 s[2:3], -1
	s_and_b64 vcc, exec, s[22:23]
	s_cbranch_vccnz .LBB606_19
.LBB606_15:
	s_andn2_b64 vcc, exec, s[2:3]
	s_cbranch_vccz .LBB606_22
.LBB606_16:
	s_cmp_lt_i32 s16, 1
	s_cbranch_scc0 .LBB606_25
.LBB606_17:
	s_endpgm
.LBB606_18:
	v_add_f32_e32 v2, v2, v3
	v_cvt_f32_u32_e32 v3, s7
	s_waitcnt vmcnt(1)
	v_cvt_f32_u32_sdwa v17, v76 dst_sel:DWORD dst_unused:UNUSED_PAD src0_sel:WORD_1
	v_cvt_f32_u32_sdwa v16, v76 dst_sel:DWORD dst_unused:UNUSED_PAD src0_sel:WORD_0
	v_cvt_f32_u32_sdwa v21, v77 dst_sel:DWORD dst_unused:UNUSED_PAD src0_sel:WORD_1
	v_div_scale_f32 v6, s[28:29], v3, v3, v2
	v_rcp_f32_e32 v7, v6
	v_cvt_f32_u32_sdwa v20, v77 dst_sel:DWORD dst_unused:UNUSED_PAD src0_sel:WORD_0
	s_waitcnt vmcnt(0)
	v_cvt_f32_u32_sdwa v25, v73 dst_sel:DWORD dst_unused:UNUSED_PAD src0_sel:WORD_1
	v_cvt_f32_u32_sdwa v24, v73 dst_sel:DWORD dst_unused:UNUSED_PAD src0_sel:WORD_0
	v_fma_f32 v8, -v6, v7, 1.0
	v_fmac_f32_e32 v7, v8, v7
	v_div_scale_f32 v8, vcc, v2, v3, v2
	v_mul_f32_e32 v9, v8, v7
	v_fma_f32 v10, -v6, v9, v8
	v_fmac_f32_e32 v9, v10, v7
	v_fma_f32 v6, -v6, v9, v8
	v_div_fmas_f32 v6, v6, v7, v9
	v_div_fixup_f32 v2, v6, v3, v2
	v_mov_b32_e32 v3, s13
	v_mov_b32_e32 v6, s12
	v_cndmask_b32_e64 v3, v3, v6, s[2:3]
	v_add_f32_e32 v2, v3, v2
	s_mov_b32 s2, 0x800000
	v_mul_f32_e32 v3, 0x4b800000, v2
	v_cmp_gt_f32_e32 vcc, s2, v2
	v_cndmask_b32_e32 v2, v2, v3, vcc
	v_rsq_f32_e32 v2, v2
	v_cvt_f32_u32_sdwa v27, v74 dst_sel:DWORD dst_unused:UNUSED_PAD src0_sel:WORD_1
	v_cvt_f32_u32_sdwa v26, v74 dst_sel:DWORD dst_unused:UNUSED_PAD src0_sel:WORD_0
	v_cvt_f32_u32_sdwa v29, v75 dst_sel:DWORD dst_unused:UNUSED_PAD src0_sel:WORD_1
	v_mul_f32_e32 v3, 0x45800000, v2
	v_cndmask_b32_e32 v2, v2, v3, vcc
	v_mov_b32_e32 v3, v2
	;;#ASMSTART
	v_pk_mul_f32 v[6:7], v[18:19], v[2:3]
	;;#ASMEND
	;;#ASMSTART
	v_pk_mul_f32 v[4:5], v[4:5], v[2:3]
	;;#ASMEND
	;; [unrolled: 3-line block ×10, first 2 shown]
	v_cvt_f32_u32_sdwa v7, v78 dst_sel:DWORD dst_unused:UNUSED_PAD src0_sel:WORD_1
	v_cvt_f32_u32_sdwa v6, v78 dst_sel:DWORD dst_unused:UNUSED_PAD src0_sel:WORD_0
	v_cvt_f32_u32_sdwa v17, v79 dst_sel:DWORD dst_unused:UNUSED_PAD src0_sel:WORD_1
	v_cvt_f32_u32_sdwa v16, v79 dst_sel:DWORD dst_unused:UNUSED_PAD src0_sel:WORD_0
	;; [unrolled: 2-line block ×3, first 2 shown]
	v_cvt_f32_u32_sdwa v28, v75 dst_sel:DWORD dst_unused:UNUSED_PAD src0_sel:WORD_0
	;;#ASMSTART
	v_pk_mul_f32 v[54:55], v[8:9], v[6:7]
	;;#ASMEND
	;;#ASMSTART
	v_pk_mul_f32 v[36:37], v[10:11], v[16:17]
	;;#ASMEND
	;; [unrolled: 3-line block ×6, first 2 shown]
	s_or_b64 exec, exec, s[26:27]
	s_mov_b64 s[2:3], -1
	s_and_b64 vcc, exec, s[22:23]
	s_cbranch_vccz .LBB606_15
.LBB606_19:
	s_and_saveexec_b64 s[2:3], s[0:1]
	s_cbranch_execz .LBB606_21
; %bb.20:
	s_mul_hi_i32 s23, s25, s6
	s_mul_i32 s22, s25, s6
	s_lshl_b64 s[22:23], s[22:23], 1
	s_add_u32 s28, s14, s22
	s_addc_u32 s7, s15, s23
	s_and_b32 s29, s7, 0xffff
	s_mov_b32 s7, 0x7060302
	s_mov_b32 s31, 0x20000
	v_perm_b32 v9, v37, v36, s7
	v_perm_b32 v8, v55, v54, s7
	;; [unrolled: 1-line block ×4, first 2 shown]
	v_lshlrev_b32_e32 v2, 5, v0
	buffer_store_dwordx4 v[6:9], v2, s[28:31], 0 offen
	;;#ASMSTART
	s_nop 0
	;;#ASMEND
	s_nop 0
	v_perm_b32 v9, v89, v88, s7
	v_perm_b32 v8, v33, v32, s7
	;; [unrolled: 1-line block ×4, first 2 shown]
	buffer_store_dwordx4 v[6:9], v2, s[28:31], 16 offen
	;;#ASMSTART
	s_nop 0
	;;#ASMEND
.LBB606_21:
	s_or_b64 exec, exec, s[2:3]
	s_cbranch_execnz .LBB606_16
.LBB606_22:
	s_and_saveexec_b64 s[2:3], s[0:1]
	s_cbranch_execz .LBB606_24
; %bb.23:
	s_load_dwordx2 s[0:1], s[4:5], 0x10
	s_mul_hi_i32 s23, s24, s6
	s_mul_i32 s22, s24, s6
	s_lshl_b64 s[22:23], s[22:23], 1
	s_mov_b32 s7, 0x7060302
	s_waitcnt lgkmcnt(0)
	s_add_u32 s28, s0, s22
	s_addc_u32 s0, s1, s23
	v_perm_b32 v7, v37, v36, s7
	v_perm_b32 v6, v55, v54, s7
	;; [unrolled: 1-line block ×4, first 2 shown]
	s_and_b32 s29, s0, 0xffff
	s_mov_b32 s31, 0x20000
	v_lshlrev_b32_e32 v8, 5, v0
	buffer_store_dwordx4 v[4:7], v8, s[28:31], 0 offen
	v_perm_b32 v3, v49, v48, s7
	v_perm_b32 v5, v89, v88, s7
	;; [unrolled: 1-line block ×4, first 2 shown]
	;;#ASMSTART
	s_nop 0
	;;#ASMEND
	buffer_store_dwordx4 v[2:5], v8, s[28:31], 16 offen
	;;#ASMSTART
	s_nop 0
	;;#ASMEND
.LBB606_24:
	s_or_b64 exec, exec, s[2:3]
	s_cmp_lt_i32 s16, 1
	s_cbranch_scc1 .LBB606_17
.LBB606_25:
	s_load_dword s0, s[4:5], 0x94
	s_waitcnt lgkmcnt(0)
	s_cmp_lg_u32 s0, 1
	s_cbranch_scc1 .LBB606_17
; %bb.26:
	s_lshl_b32 s0, s16, 1
	s_add_i32 s0, s0, 2
	v_cmp_gt_u32_e32 vcc, s16, v1
	s_and_b32 s22, s0, -4
	v_mov_b32_e32 v18, 0
	v_lshlrev_b32_e32 v1, 5, v0
	v_mov_b32_e32 v14, 0
	v_mov_b32_e32 v15, 0
	;; [unrolled: 1-line block ×16, first 2 shown]
	s_barrier
	s_and_saveexec_b64 s[0:1], vcc
	s_cbranch_execz .LBB606_28
; %bb.27:
	s_mul_hi_i32 s3, s18, s6
	s_mul_i32 s2, s18, s6
	s_and_b32 s21, s21, 0xffff
	s_lshl_b64 s[2:3], s[2:3], 1
	s_add_u32 s28, s10, s2
	s_mov_b32 s23, 0x20000
	s_addc_u32 s2, s11, s3
	s_and_b32 s29, s2, 0xffff
	s_mov_b32 s30, s22
	s_mov_b32 s31, s23
	buffer_load_dwordx4 v[14:17], v1, s[28:31], 0 offen
	buffer_load_dwordx4 v[10:13], v1, s[28:31], 16 offen
	;; [unrolled: 1-line block ×4, first 2 shown]
.LBB606_28:
	s_or_b64 exec, exec, s[0:1]
	v_mov_b32_e32 v19, 0
	v_mov_b32_e32 v32, 0
	;; [unrolled: 1-line block ×15, first 2 shown]
	s_and_saveexec_b64 s[0:1], vcc
	s_cbranch_execz .LBB606_30
; %bb.29:
	s_waitcnt vmcnt(3)
	v_cvt_f32_u32_sdwa v18, v14 dst_sel:DWORD dst_unused:UNUSED_PAD src0_sel:WORD_0
	v_cvt_f32_u32_sdwa v19, v14 dst_sel:DWORD dst_unused:UNUSED_PAD src0_sel:WORD_1
	v_cvt_f32_u32_sdwa v32, v15 dst_sel:DWORD dst_unused:UNUSED_PAD src0_sel:WORD_0
	v_cvt_f32_u32_sdwa v33, v15 dst_sel:DWORD dst_unused:UNUSED_PAD src0_sel:WORD_1
	;; [unrolled: 2-line block ×4, first 2 shown]
	s_waitcnt vmcnt(2)
	v_cvt_f32_u32_sdwa v26, v10 dst_sel:DWORD dst_unused:UNUSED_PAD src0_sel:WORD_0
	v_cvt_f32_u32_sdwa v27, v10 dst_sel:DWORD dst_unused:UNUSED_PAD src0_sel:WORD_1
	v_cvt_f32_u32_sdwa v24, v11 dst_sel:DWORD dst_unused:UNUSED_PAD src0_sel:WORD_0
	v_cvt_f32_u32_sdwa v25, v11 dst_sel:DWORD dst_unused:UNUSED_PAD src0_sel:WORD_1
	v_cvt_f32_u32_sdwa v22, v12 dst_sel:DWORD dst_unused:UNUSED_PAD src0_sel:WORD_0
	v_cvt_f32_u32_sdwa v23, v12 dst_sel:DWORD dst_unused:UNUSED_PAD src0_sel:WORD_1
	v_cvt_f32_u32_sdwa v20, v13 dst_sel:DWORD dst_unused:UNUSED_PAD src0_sel:WORD_0
	v_cvt_f32_u32_sdwa v21, v13 dst_sel:DWORD dst_unused:UNUSED_PAD src0_sel:WORD_1
.LBB606_30:
	s_or_b64 exec, exec, s[0:1]
	s_waitcnt vmcnt(2)
	v_mul_f32_e32 v10, v19, v19
	v_fmac_f32_e32 v10, v18, v18
	v_fmac_f32_e32 v10, v32, v32
	;; [unrolled: 1-line block ×15, first 2 shown]
	s_nop 1
	v_mov_b32_dpp v11, v10 quad_perm:[1,0,3,2] row_mask:0xf bank_mask:0xf
	v_add_f32_e32 v10, v10, v11
	s_nop 1
	v_mov_b32_dpp v11, v10 quad_perm:[2,3,0,1] row_mask:0xf bank_mask:0xf
	v_add_f32_e32 v10, v10, v11
	s_nop 1
	v_mov_b32_dpp v11, v10 row_half_mirror row_mask:0xf bank_mask:0xf
	v_add_f32_e32 v10, v10, v11
	s_nop 1
	v_mov_b32_dpp v11, v10 row_mirror row_mask:0xf bank_mask:0xf
	v_add_f32_e32 v10, v10, v11
	s_nop 1
	v_mov_b32_dpp v11, v10 row_bcast:15 row_mask:0xf bank_mask:0xf
	v_add_f32_e32 v10, v10, v11
	s_nop 1
	v_mov_b32_dpp v11, v10 row_bcast:31 row_mask:0xf bank_mask:0xf
	s_and_saveexec_b64 s[0:1], s[8:9]
	s_cbranch_execz .LBB606_32
; %bb.31:
	v_lshrrev_b32_e32 v0, 4, v0
	v_add_f32_e32 v10, v10, v11
	v_and_b32_e32 v0, 60, v0
	ds_write_b32 v0, v10
.LBB606_32:
	s_or_b64 exec, exec, s[0:1]
	s_waitcnt lgkmcnt(0)
	s_barrier
	ds_read_b32 v0, v34
	s_waitcnt lgkmcnt(0)
	s_nop 0
	v_mov_b32_dpp v10, v0 quad_perm:[1,0,3,2] row_mask:0xf bank_mask:0xf
	s_and_saveexec_b64 s[0:1], vcc
	s_cbranch_execz .LBB606_17
; %bb.33:
	v_cvt_f32_u32_e32 v11, s16
	v_add_f32_e32 v0, v0, v10
	s_mov_b32 s23, 0x20000
	v_div_scale_f32 v10, s[0:1], v11, v11, v0
	v_rcp_f32_e32 v12, v10
	v_div_scale_f32 v13, vcc, v0, v11, v0
	s_mov_b32 s0, 0x800000
	v_fma_f32 v14, -v10, v12, 1.0
	v_fmac_f32_e32 v12, v14, v12
	v_mul_f32_e32 v14, v13, v12
	v_fma_f32 v15, -v10, v14, v13
	v_fmac_f32_e32 v14, v15, v12
	v_fma_f32 v10, -v10, v14, v13
	v_div_fmas_f32 v10, v10, v12, v14
	v_div_fixup_f32 v0, v10, v11, v0
	v_add_f32_e32 v0, s13, v0
	v_mul_f32_e32 v10, 0x4b800000, v0
	v_cmp_gt_f32_e32 vcc, s0, v0
	v_cndmask_b32_e32 v0, v0, v10, vcc
	v_rsq_f32_e32 v0, v0
	s_mul_hi_i32 s1, s25, s6
	s_mul_i32 s0, s25, s6
	s_lshl_b64 s[0:1], s[0:1], 1
	v_mul_f32_e32 v10, 0x45800000, v0
	v_cndmask_b32_e32 v10, v0, v10, vcc
	v_mov_b32_e32 v11, v10
	s_add_u32 s20, s14, s0
	;;#ASMSTART
	v_pk_mul_f32 v[12:13], v[18:19], v[10:11]
	;;#ASMEND
	;;#ASMSTART
	v_pk_mul_f32 v[14:15], v[32:33], v[10:11]
	;;#ASMEND
	;; [unrolled: 3-line block ×8, first 2 shown]
	s_waitcnt vmcnt(1)
	v_cvt_f32_u32_sdwa v21, v6 dst_sel:DWORD dst_unused:UNUSED_PAD src0_sel:WORD_1
	v_cvt_f32_u32_sdwa v20, v6 dst_sel:DWORD dst_unused:UNUSED_PAD src0_sel:WORD_0
	v_cvt_f32_u32_sdwa v29, v7 dst_sel:DWORD dst_unused:UNUSED_PAD src0_sel:WORD_1
	v_cvt_f32_u32_sdwa v28, v7 dst_sel:DWORD dst_unused:UNUSED_PAD src0_sel:WORD_0
	v_cvt_f32_u32_sdwa v7, v8 dst_sel:DWORD dst_unused:UNUSED_PAD src0_sel:WORD_1
	v_cvt_f32_u32_sdwa v6, v8 dst_sel:DWORD dst_unused:UNUSED_PAD src0_sel:WORD_0
	s_addc_u32 s0, s15, s1
	v_cvt_f32_u32_sdwa v31, v9 dst_sel:DWORD dst_unused:UNUSED_PAD src0_sel:WORD_1
	v_cvt_f32_u32_sdwa v30, v9 dst_sel:DWORD dst_unused:UNUSED_PAD src0_sel:WORD_0
	;;#ASMSTART
	v_pk_mul_f32 v[8:9], v[12:13], v[20:21]
	;;#ASMEND
	;;#ASMSTART
	v_pk_mul_f32 v[12:13], v[14:15], v[28:29]
	;;#ASMEND
	;; [unrolled: 3-line block ×4, first 2 shown]
	s_waitcnt vmcnt(0)
	v_cvt_f32_u32_sdwa v17, v2 dst_sel:DWORD dst_unused:UNUSED_PAD src0_sel:WORD_1
	v_cvt_f32_u32_sdwa v16, v2 dst_sel:DWORD dst_unused:UNUSED_PAD src0_sel:WORD_0
	v_cvt_f32_u32_sdwa v19, v3 dst_sel:DWORD dst_unused:UNUSED_PAD src0_sel:WORD_1
	v_cvt_f32_u32_sdwa v18, v3 dst_sel:DWORD dst_unused:UNUSED_PAD src0_sel:WORD_0
	;; [unrolled: 2-line block ×3, first 2 shown]
	s_and_b32 s21, s0, 0xffff
	s_mov_b32 s0, 0x7060302
	v_cvt_f32_u32_sdwa v21, v5 dst_sel:DWORD dst_unused:UNUSED_PAD src0_sel:WORD_1
	v_cvt_f32_u32_sdwa v20, v5 dst_sel:DWORD dst_unused:UNUSED_PAD src0_sel:WORD_0
	;;#ASMSTART
	v_pk_mul_f32 v[16:17], v[26:27], v[16:17]
	;;#ASMEND
	;;#ASMSTART
	v_pk_mul_f32 v[18:19], v[24:25], v[18:19]
	;;#ASMEND
	;; [unrolled: 3-line block ×3, first 2 shown]
	v_perm_b32 v2, v9, v8, s0
	v_perm_b32 v3, v13, v12, s0
	;; [unrolled: 1-line block ×4, first 2 shown]
	;;#ASMSTART
	v_pk_mul_f32 v[10:11], v[10:11], v[20:21]
	;;#ASMEND
	buffer_store_dwordx4 v[2:5], v1, s[20:23], 0 offen
	;;#ASMSTART
	s_nop 0
	;;#ASMEND
	s_nop 0
	v_perm_b32 v2, v17, v16, s0
	v_perm_b32 v3, v19, v18, s0
	;; [unrolled: 1-line block ×4, first 2 shown]
	buffer_store_dwordx4 v[2:5], v1, s[20:23], 16 offen
	;;#ASMSTART
	s_nop 0
	;;#ASMEND
	s_endpgm
	.section	.rodata,"a",@progbits
	.p2align	6, 0x0
	.amdhsa_kernel _ZN5aiter35fused_qk_rmsnorm_group_quant_kernelItDB8_Li128ELi16ELi8ELb1ELb1ELb0ELb1ELb0ELb0EEEvPT0_PvPT_S6_S6_PKS5_S8_S8_S8_S8_ffiiiiiiiiiiiii
		.amdhsa_group_segment_fixed_size 16
		.amdhsa_private_segment_fixed_size 0
		.amdhsa_kernarg_size 400
		.amdhsa_user_sgpr_count 6
		.amdhsa_user_sgpr_private_segment_buffer 1
		.amdhsa_user_sgpr_dispatch_ptr 0
		.amdhsa_user_sgpr_queue_ptr 0
		.amdhsa_user_sgpr_kernarg_segment_ptr 1
		.amdhsa_user_sgpr_dispatch_id 0
		.amdhsa_user_sgpr_flat_scratch_init 0
		.amdhsa_user_sgpr_kernarg_preload_length 0
		.amdhsa_user_sgpr_kernarg_preload_offset 0
		.amdhsa_user_sgpr_private_segment_size 0
		.amdhsa_uses_dynamic_stack 0
		.amdhsa_system_sgpr_private_segment_wavefront_offset 0
		.amdhsa_system_sgpr_workgroup_id_x 1
		.amdhsa_system_sgpr_workgroup_id_y 1
		.amdhsa_system_sgpr_workgroup_id_z 0
		.amdhsa_system_sgpr_workgroup_info 0
		.amdhsa_system_vgpr_workitem_id 0
		.amdhsa_next_free_vgpr 90
		.amdhsa_next_free_sgpr 32
		.amdhsa_accum_offset 92
		.amdhsa_reserve_vcc 1
		.amdhsa_reserve_flat_scratch 0
		.amdhsa_float_round_mode_32 0
		.amdhsa_float_round_mode_16_64 0
		.amdhsa_float_denorm_mode_32 3
		.amdhsa_float_denorm_mode_16_64 3
		.amdhsa_dx10_clamp 1
		.amdhsa_ieee_mode 1
		.amdhsa_fp16_overflow 0
		.amdhsa_tg_split 0
		.amdhsa_exception_fp_ieee_invalid_op 0
		.amdhsa_exception_fp_denorm_src 0
		.amdhsa_exception_fp_ieee_div_zero 0
		.amdhsa_exception_fp_ieee_overflow 0
		.amdhsa_exception_fp_ieee_underflow 0
		.amdhsa_exception_fp_ieee_inexact 0
		.amdhsa_exception_int_div_zero 0
	.end_amdhsa_kernel
	.section	.text._ZN5aiter35fused_qk_rmsnorm_group_quant_kernelItDB8_Li128ELi16ELi8ELb1ELb1ELb0ELb1ELb0ELb0EEEvPT0_PvPT_S6_S6_PKS5_S8_S8_S8_S8_ffiiiiiiiiiiiii,"axG",@progbits,_ZN5aiter35fused_qk_rmsnorm_group_quant_kernelItDB8_Li128ELi16ELi8ELb1ELb1ELb0ELb1ELb0ELb0EEEvPT0_PvPT_S6_S6_PKS5_S8_S8_S8_S8_ffiiiiiiiiiiiii,comdat
.Lfunc_end606:
	.size	_ZN5aiter35fused_qk_rmsnorm_group_quant_kernelItDB8_Li128ELi16ELi8ELb1ELb1ELb0ELb1ELb0ELb0EEEvPT0_PvPT_S6_S6_PKS5_S8_S8_S8_S8_ffiiiiiiiiiiiii, .Lfunc_end606-_ZN5aiter35fused_qk_rmsnorm_group_quant_kernelItDB8_Li128ELi16ELi8ELb1ELb1ELb0ELb1ELb0ELb0EEEvPT0_PvPT_S6_S6_PKS5_S8_S8_S8_S8_ffiiiiiiiiiiiii
                                        ; -- End function
	.section	.AMDGPU.csdata,"",@progbits
; Kernel info:
; codeLenInByte = 3408
; NumSgprs: 36
; NumVgprs: 90
; NumAgprs: 0
; TotalNumVgprs: 90
; ScratchSize: 0
; MemoryBound: 0
; FloatMode: 240
; IeeeMode: 1
; LDSByteSize: 16 bytes/workgroup (compile time only)
; SGPRBlocks: 4
; VGPRBlocks: 11
; NumSGPRsForWavesPerEU: 36
; NumVGPRsForWavesPerEU: 90
; AccumOffset: 92
; Occupancy: 5
; WaveLimiterHint : 0
; COMPUTE_PGM_RSRC2:SCRATCH_EN: 0
; COMPUTE_PGM_RSRC2:USER_SGPR: 6
; COMPUTE_PGM_RSRC2:TRAP_HANDLER: 0
; COMPUTE_PGM_RSRC2:TGID_X_EN: 1
; COMPUTE_PGM_RSRC2:TGID_Y_EN: 1
; COMPUTE_PGM_RSRC2:TGID_Z_EN: 0
; COMPUTE_PGM_RSRC2:TIDIG_COMP_CNT: 0
; COMPUTE_PGM_RSRC3_GFX90A:ACCUM_OFFSET: 22
; COMPUTE_PGM_RSRC3_GFX90A:TG_SPLIT: 0
	.section	.text._ZN5aiter35fused_qk_rmsnorm_group_quant_kernelIDF16_N4opus5fp4_tELi128ELi16ELi8ELb1ELb1ELb0ELb1ELb0ELb0EEEvPT0_PvPT_S7_S7_PKS6_S9_S9_S9_S9_ffiiiiiiiiiiiii,"axG",@progbits,_ZN5aiter35fused_qk_rmsnorm_group_quant_kernelIDF16_N4opus5fp4_tELi128ELi16ELi8ELb1ELb1ELb0ELb1ELb0ELb0EEEvPT0_PvPT_S7_S7_PKS6_S9_S9_S9_S9_ffiiiiiiiiiiiii,comdat
	.protected	_ZN5aiter35fused_qk_rmsnorm_group_quant_kernelIDF16_N4opus5fp4_tELi128ELi16ELi8ELb1ELb1ELb0ELb1ELb0ELb0EEEvPT0_PvPT_S7_S7_PKS6_S9_S9_S9_S9_ffiiiiiiiiiiiii ; -- Begin function _ZN5aiter35fused_qk_rmsnorm_group_quant_kernelIDF16_N4opus5fp4_tELi128ELi16ELi8ELb1ELb1ELb0ELb1ELb0ELb0EEEvPT0_PvPT_S7_S7_PKS6_S9_S9_S9_S9_ffiiiiiiiiiiiii
	.globl	_ZN5aiter35fused_qk_rmsnorm_group_quant_kernelIDF16_N4opus5fp4_tELi128ELi16ELi8ELb1ELb1ELb0ELb1ELb0ELb0EEEvPT0_PvPT_S7_S7_PKS6_S9_S9_S9_S9_ffiiiiiiiiiiiii
	.p2align	8
	.type	_ZN5aiter35fused_qk_rmsnorm_group_quant_kernelIDF16_N4opus5fp4_tELi128ELi16ELi8ELb1ELb1ELb0ELb1ELb0ELb0EEEvPT0_PvPT_S7_S7_PKS6_S9_S9_S9_S9_ffiiiiiiiiiiiii,@function
_ZN5aiter35fused_qk_rmsnorm_group_quant_kernelIDF16_N4opus5fp4_tELi128ELi16ELi8ELb1ELb1ELb0ELb1ELb0ELb0EEEvPT0_PvPT_S7_S7_PKS6_S9_S9_S9_S9_ffiiiiiiiiiiiii: ; @_ZN5aiter35fused_qk_rmsnorm_group_quant_kernelIDF16_N4opus5fp4_tELi128ELi16ELi8ELb1ELb1ELb0ELb1ELb0ELb0EEEvPT0_PvPT_S7_S7_PKS6_S9_S9_S9_S9_ffiiiiiiiiiiiii
; %bb.0:
	s_load_dwordx8 s[12:19], s[4:5], 0x50
	s_waitcnt lgkmcnt(0)
	s_cmp_ge_i32 s6, s14
	s_cbranch_scc1 .LBB607_17
; %bb.1:
	s_cmp_lg_u32 s7, 0
	s_cselect_b64 s[22:23], -1, 0
	s_cmp_eq_u32 s7, 0
	s_cselect_b64 s[2:3], -1, 0
	s_and_b64 s[0:1], s[2:3], exec
	s_cselect_b32 s7, s15, s16
	s_load_dwordx2 s[10:11], s[4:5], 0x30
	s_load_dwordx2 s[20:21], s[4:5], 0x48
	s_add_i32 s0, s7, 1
	s_lshr_b32 s1, s0, 31
	s_add_i32 s0, s0, s1
	s_lshl_b32 s0, s0, 1
	v_lshlrev_b32_e32 v1, 4, v0
	s_and_b32 s30, s0, -4
	v_cmp_gt_i32_e64 s[0:1], s7, v1
	v_mov_b32_e32 v6, 0
	v_mov_b32_e32 v7, 0
	v_mov_b32_e32 v8, 0
	v_mov_b32_e32 v9, 0
	v_mov_b32_e32 v2, 0
	v_mov_b32_e32 v3, 0
	v_mov_b32_e32 v4, 0
	v_mov_b32_e32 v5, 0
	v_mov_b32_e32 v10, 0
	v_mov_b32_e32 v11, 0
	v_mov_b32_e32 v12, 0
	v_mov_b32_e32 v13, 0
	v_mov_b32_e32 v14, 0
	v_mov_b32_e32 v15, 0
	v_mov_b32_e32 v16, 0
	v_mov_b32_e32 v17, 0
	s_and_saveexec_b64 s[8:9], s[0:1]
	s_cbranch_execz .LBB607_3
; %bb.2:
	s_load_dwordx2 s[14:15], s[4:5], 0x28
	s_load_dwordx2 s[26:27], s[4:5], 0x40
	s_and_b64 s[24:25], s[2:3], exec
	s_cselect_b32 s17, s17, s18
	s_mov_b32 s31, 0x20000
	s_waitcnt lgkmcnt(0)
	s_cselect_b32 s25, s15, s11
	s_cselect_b32 s24, s14, s10
	s_mul_hi_i32 s15, s17, s6
	s_mul_i32 s14, s17, s6
	s_lshl_b64 s[14:15], s[14:15], 1
	s_add_u32 s24, s24, s14
	s_addc_u32 s17, s25, s15
	s_and_b64 s[14:15], s[2:3], exec
	s_cselect_b32 s28, s26, s20
	s_cselect_b32 s14, s27, s21
	s_and_b32 s25, s17, 0xffff
	s_mov_b32 s26, s30
	s_mov_b32 s27, s31
	v_lshlrev_b32_e32 v18, 5, v0
	s_and_b32 s29, s14, 0xffff
	buffer_load_dwordx4 v[10:13], v18, s[24:27], 0 offen
	buffer_load_dwordx4 v[14:17], v18, s[24:27], 16 offen
	buffer_load_dwordx4 v[6:9], v18, s[28:31], 0 offen
	buffer_load_dwordx4 v[2:5], v18, s[28:31], 16 offen
.LBB607_3:
	s_or_b64 exec, exec, s[8:9]
	s_load_dwordx4 s[24:27], s[4:5], 0x7c
	s_and_b64 vcc, exec, s[22:23]
	s_cbranch_vccz .LBB607_7
; %bb.4:
	v_mov_b32_e32 v19, 0
	v_mov_b32_e32 v18, 0
	;; [unrolled: 1-line block ×16, first 2 shown]
	s_and_saveexec_b64 s[8:9], s[0:1]
	s_cbranch_execz .LBB607_6
; %bb.5:
	s_waitcnt vmcnt(3)
	v_cvt_f32_f16_sdwa v33, v10 dst_sel:DWORD dst_unused:UNUSED_PAD src0_sel:WORD_1
	v_cvt_f32_f16_e32 v32, v10
	v_cvt_f32_f16_sdwa v31, v11 dst_sel:DWORD dst_unused:UNUSED_PAD src0_sel:WORD_1
	v_cvt_f32_f16_e32 v30, v11
	;; [unrolled: 2-line block ×4, first 2 shown]
	s_waitcnt vmcnt(2)
	v_cvt_f32_f16_sdwa v25, v14 dst_sel:DWORD dst_unused:UNUSED_PAD src0_sel:WORD_1
	v_cvt_f32_f16_e32 v24, v14
	v_cvt_f32_f16_sdwa v23, v15 dst_sel:DWORD dst_unused:UNUSED_PAD src0_sel:WORD_1
	v_cvt_f32_f16_e32 v22, v15
	;; [unrolled: 2-line block ×4, first 2 shown]
.LBB607_6:
	s_or_b64 exec, exec, s[8:9]
	s_cbranch_execz .LBB607_8
	s_branch .LBB607_11
.LBB607_7:
                                        ; implicit-def: $vgpr19
                                        ; implicit-def: $vgpr21
                                        ; implicit-def: $vgpr23
                                        ; implicit-def: $vgpr25
                                        ; implicit-def: $vgpr29
                                        ; implicit-def: $vgpr27
                                        ; implicit-def: $vgpr31
                                        ; implicit-def: $vgpr33
.LBB607_8:
	v_mov_b32_e32 v19, 0
	v_mov_b32_e32 v18, 0
	;; [unrolled: 1-line block ×16, first 2 shown]
	s_and_saveexec_b64 s[8:9], s[0:1]
	s_cbranch_execz .LBB607_10
; %bb.9:
	s_load_dwordx2 s[14:15], s[4:5], 0x38
	s_mul_hi_i32 s29, s19, s6
	s_mul_i32 s28, s19, s6
	s_lshl_b64 s[28:29], s[28:29], 1
	s_mov_b32 s31, 0x20000
	s_waitcnt lgkmcnt(0)
	s_add_u32 s28, s14, s28
	s_addc_u32 s14, s15, s29
	s_and_b32 s29, s14, 0xffff
	v_lshlrev_b32_e32 v48, 5, v0
	buffer_load_dwordx4 v[18:21], v48, s[28:31], 16 offen
	buffer_load_dwordx4 v[22:25], v48, s[28:31], 0 offen
	s_waitcnt vmcnt(4)
	v_cvt_f32_f16_sdwa v27, v14 dst_sel:DWORD dst_unused:UNUSED_PAD src0_sel:WORD_1
	v_cvt_f32_f16_e32 v26, v14
	v_cvt_f32_f16_sdwa v29, v15 dst_sel:DWORD dst_unused:UNUSED_PAD src0_sel:WORD_1
	v_cvt_f32_f16_e32 v28, v15
	;; [unrolled: 2-line block ×8, first 2 shown]
	s_load_dwordx2 s[14:15], s[4:5], 0x20
	s_mul_hi_i32 s27, s26, s6
	s_mul_i32 s26, s26, s6
	s_lshl_b64 s[26:27], s[26:27], 1
	s_waitcnt lgkmcnt(0)
	s_add_u32 s28, s14, s26
	s_addc_u32 s14, s15, s27
	s_and_b32 s29, s14, 0xffff
	s_waitcnt vmcnt(1)
	v_cvt_f32_f16_e32 v12, v18
	v_cvt_f32_f16_sdwa v13, v18 dst_sel:DWORD dst_unused:UNUSED_PAD src0_sel:WORD_1
	v_cvt_f32_f16_e32 v18, v19
	v_cvt_f32_f16_sdwa v19, v19 dst_sel:DWORD dst_unused:UNUSED_PAD src0_sel:WORD_1
	;; [unrolled: 2-line block ×4, first 2 shown]
	s_waitcnt vmcnt(0)
	v_cvt_f32_f16_e32 v40, v22
	v_cvt_f32_f16_sdwa v41, v22 dst_sel:DWORD dst_unused:UNUSED_PAD src0_sel:WORD_1
	v_cvt_f32_f16_e32 v42, v23
	v_cvt_f32_f16_sdwa v43, v23 dst_sel:DWORD dst_unused:UNUSED_PAD src0_sel:WORD_1
	;; [unrolled: 2-line block ×4, first 2 shown]
	v_pk_add_f32 v[24:25], v[26:27], v[12:13]
	v_pk_add_f32 v[22:23], v[28:29], v[18:19]
	;; [unrolled: 1-line block ×8, first 2 shown]
	v_cvt_f16_f32_e32 v10, v33
	v_cvt_f16_f32_e32 v14, v32
	;; [unrolled: 1-line block ×16, first 2 shown]
	v_pack_b32_f16 v13, v17, v13
	v_pack_b32_f16 v12, v16, v12
	;; [unrolled: 1-line block ×8, first 2 shown]
	buffer_store_dwordx4 v[10:13], v48, s[28:31], 0 offen
	;;#ASMSTART
	s_nop 0
	;;#ASMEND
	buffer_store_dwordx4 v[14:17], v48, s[28:31], 16 offen
	;;#ASMSTART
	s_nop 0
	;;#ASMEND
.LBB607_10:
	s_or_b64 exec, exec, s[8:9]
.LBB607_11:
	s_waitcnt vmcnt(3)
	v_mul_f32_e32 v10, v33, v33
	v_fmac_f32_e32 v10, v32, v32
	v_fmac_f32_e32 v10, v30, v30
	;; [unrolled: 1-line block ×15, first 2 shown]
	v_and_b32_e32 v12, 63, v0
	v_cmp_eq_u32_e64 s[8:9], 63, v12
	v_mov_b32_dpp v11, v10 quad_perm:[1,0,3,2] row_mask:0xf bank_mask:0xf
	v_add_f32_e32 v10, v10, v11
	s_nop 1
	v_mov_b32_dpp v11, v10 quad_perm:[2,3,0,1] row_mask:0xf bank_mask:0xf
	v_add_f32_e32 v10, v10, v11
	s_nop 1
	v_mov_b32_dpp v11, v10 row_half_mirror row_mask:0xf bank_mask:0xf
	v_add_f32_e32 v10, v10, v11
	s_nop 1
	v_mov_b32_dpp v11, v10 row_mirror row_mask:0xf bank_mask:0xf
	v_add_f32_e32 v10, v10, v11
	s_nop 1
	v_mov_b32_dpp v11, v10 row_bcast:15 row_mask:0xf bank_mask:0xf
	v_add_f32_e32 v10, v10, v11
	s_nop 1
	v_mov_b32_dpp v11, v10 row_bcast:31 row_mask:0xf bank_mask:0xf
	s_and_saveexec_b64 s[14:15], s[8:9]
	s_cbranch_execz .LBB607_13
; %bb.12:
	v_add_f32_e32 v10, v10, v11
	v_lshrrev_b32_e32 v11, 4, v0
	v_and_b32_e32 v11, 60, v11
	ds_write_b32 v11, v10 offset:8
.LBB607_13:
	s_or_b64 exec, exec, s[14:15]
	v_and_b32_e32 v10, 1, v0
	v_lshlrev_b32_e32 v34, 2, v10
	s_waitcnt lgkmcnt(0)
	s_barrier
	ds_read_b32 v10, v34 offset:8
	s_load_dwordx2 s[14:15], s[4:5], 0x18
	s_waitcnt lgkmcnt(0)
	v_mov_b32_dpp v11, v10 quad_perm:[1,0,3,2] row_mask:0xf bank_mask:0xf
	s_and_saveexec_b64 s[26:27], s[0:1]
	s_cbranch_execnz .LBB607_18
; %bb.14:
	s_or_b64 exec, exec, s[26:27]
	s_mov_b64 s[2:3], -1
	s_and_b64 vcc, exec, s[22:23]
	s_cbranch_vccnz .LBB607_19
.LBB607_15:
	s_andn2_b64 vcc, exec, s[2:3]
	s_cbranch_vccz .LBB607_22
.LBB607_16:
	s_cmp_lt_i32 s16, 1
	s_cbranch_scc0 .LBB607_25
.LBB607_17:
	s_endpgm
.LBB607_18:
	v_cvt_f32_u32_e32 v12, s7
	v_add_f32_e32 v10, v10, v11
	s_waitcnt vmcnt(2)
	v_mov_b32_e32 v14, s13
	v_mov_b32_e32 v15, s12
	v_div_scale_f32 v11, s[28:29], v12, v12, v10
	v_rcp_f32_e32 v13, v11
	v_cndmask_b32_e64 v14, v14, v15, s[2:3]
	s_mov_b32 s2, 0x800000
	s_waitcnt vmcnt(1)
	v_cvt_f32_f16_sdwa v37, v9 dst_sel:DWORD dst_unused:UNUSED_PAD src0_sel:WORD_1
	v_fma_f32 v15, -v11, v13, 1.0
	v_fmac_f32_e32 v13, v15, v13
	v_div_scale_f32 v15, vcc, v10, v12, v10
	v_mul_f32_e32 v16, v15, v13
	v_fma_f32 v17, -v11, v16, v15
	v_fmac_f32_e32 v16, v17, v13
	v_fma_f32 v11, -v11, v16, v15
	v_div_fmas_f32 v11, v11, v13, v16
	v_div_fixup_f32 v10, v11, v12, v10
	v_add_f32_e32 v10, v14, v10
	v_mul_f32_e32 v11, 0x4b800000, v10
	v_cmp_gt_f32_e32 vcc, s2, v10
	v_cndmask_b32_e32 v10, v10, v11, vcc
	v_rsq_f32_e32 v10, v10
	v_cvt_f32_f16_e32 v36, v9
	s_waitcnt vmcnt(0)
	v_cvt_f32_f16_sdwa v9, v3 dst_sel:DWORD dst_unused:UNUSED_PAD src0_sel:WORD_1
	v_mul_f32_e32 v11, 0x45800000, v10
	v_cndmask_b32_e32 v10, v10, v11, vcc
	v_mov_b32_e32 v11, v10
	;;#ASMSTART
	v_pk_mul_f32 v[12:13], v[32:33], v[10:11]
	;;#ASMEND
	;;#ASMSTART
	v_pk_mul_f32 v[14:15], v[30:31], v[10:11]
	;;#ASMEND
	;; [unrolled: 3-line block ×8, first 2 shown]
	v_cvt_f32_f16_sdwa v19, v6 dst_sel:DWORD dst_unused:UNUSED_PAD src0_sel:WORD_1
	v_cvt_f32_f16_e32 v18, v6
	v_cvt_f32_f16_sdwa v27, v7 dst_sel:DWORD dst_unused:UNUSED_PAD src0_sel:WORD_1
	v_cvt_f32_f16_e32 v26, v7
	;; [unrolled: 2-line block ×3, first 2 shown]
	;;#ASMSTART
	v_pk_mul_f32 v[32:33], v[12:13], v[18:19]
	;;#ASMEND
	;;#ASMSTART
	v_pk_mul_f32 v[30:31], v[14:15], v[26:27]
	;;#ASMEND
	;; [unrolled: 3-line block ×4, first 2 shown]
	v_cvt_f32_f16_sdwa v7, v2 dst_sel:DWORD dst_unused:UNUSED_PAD src0_sel:WORD_1
	v_cvt_f32_f16_e32 v6, v2
	v_cvt_f32_f16_e32 v8, v3
	v_cvt_f32_f16_sdwa v3, v4 dst_sel:DWORD dst_unused:UNUSED_PAD src0_sel:WORD_1
	v_cvt_f32_f16_e32 v2, v4
	v_cvt_f32_f16_sdwa v13, v5 dst_sel:DWORD dst_unused:UNUSED_PAD src0_sel:WORD_1
	v_cvt_f32_f16_e32 v12, v5
	;;#ASMSTART
	v_pk_mul_f32 v[24:25], v[24:25], v[6:7]
	;;#ASMEND
	;;#ASMSTART
	v_pk_mul_f32 v[22:23], v[22:23], v[8:9]
	;;#ASMEND
	;; [unrolled: 3-line block ×4, first 2 shown]
	s_or_b64 exec, exec, s[26:27]
	s_mov_b64 s[2:3], -1
	s_and_b64 vcc, exec, s[22:23]
	s_cbranch_vccz .LBB607_15
.LBB607_19:
	s_and_saveexec_b64 s[2:3], s[0:1]
	s_cbranch_execz .LBB607_21
; %bb.20:
	s_mul_hi_i32 s23, s25, s6
	s_mul_i32 s22, s25, s6
	s_waitcnt vmcnt(0)
	v_cvt_f16_f32_e32 v2, v32
	v_cvt_f16_f32_e32 v3, v30
	;; [unrolled: 1-line block ×8, first 2 shown]
	s_lshl_b64 s[22:23], s[22:23], 1
	s_add_u32 s28, s14, s22
	s_addc_u32 s7, s15, s23
	s_and_b32 s29, s7, 0xffff
	s_mov_b32 s31, 0x20000
	v_pack_b32_f16 v5, v5, v6
	v_pack_b32_f16 v4, v4, v7
	;; [unrolled: 1-line block ×4, first 2 shown]
	v_lshlrev_b32_e32 v6, 5, v0
	buffer_store_dwordx4 v[2:5], v6, s[28:31], 0 offen
	v_cvt_f16_f32_e32 v7, v19
	v_cvt_f16_f32_e32 v2, v24
	v_cvt_f16_f32_e32 v3, v22
	v_cvt_f16_f32_e32 v4, v20
	v_cvt_f16_f32_e32 v5, v18
	v_cvt_f16_f32_e32 v8, v21
	v_cvt_f16_f32_e32 v9, v23
	v_cvt_f16_f32_e32 v10, v25
	v_pack_b32_f16 v5, v5, v7
	v_pack_b32_f16 v4, v4, v8
	;; [unrolled: 1-line block ×4, first 2 shown]
	;;#ASMSTART
	s_nop 0
	;;#ASMEND
	buffer_store_dwordx4 v[2:5], v6, s[28:31], 16 offen
	;;#ASMSTART
	s_nop 0
	;;#ASMEND
.LBB607_21:
	s_or_b64 exec, exec, s[2:3]
	s_cbranch_execnz .LBB607_16
.LBB607_22:
	s_and_saveexec_b64 s[2:3], s[0:1]
	s_cbranch_execz .LBB607_24
; %bb.23:
	s_load_dwordx2 s[0:1], s[4:5], 0x10
	s_mul_hi_i32 s23, s24, s6
	s_mul_i32 s22, s24, s6
	s_waitcnt vmcnt(0)
	v_cvt_f16_f32_e32 v2, v32
	v_cvt_f16_f32_e32 v3, v30
	;; [unrolled: 1-line block ×8, first 2 shown]
	s_lshl_b64 s[22:23], s[22:23], 1
	s_waitcnt lgkmcnt(0)
	s_add_u32 s28, s0, s22
	s_addc_u32 s0, s1, s23
	s_mov_b32 s31, 0x20000
	s_and_b32 s29, s0, 0xffff
	v_pack_b32_f16 v5, v5, v6
	v_pack_b32_f16 v4, v4, v7
	;; [unrolled: 1-line block ×4, first 2 shown]
	v_lshlrev_b32_e32 v6, 5, v0
	buffer_store_dwordx4 v[2:5], v6, s[28:31], 0 offen
	v_cvt_f16_f32_e32 v7, v19
	v_cvt_f16_f32_e32 v2, v24
	v_cvt_f16_f32_e32 v3, v22
	v_cvt_f16_f32_e32 v4, v20
	v_cvt_f16_f32_e32 v5, v18
	v_cvt_f16_f32_e32 v8, v21
	v_cvt_f16_f32_e32 v9, v23
	v_cvt_f16_f32_e32 v10, v25
	v_pack_b32_f16 v5, v5, v7
	v_pack_b32_f16 v4, v4, v8
	;; [unrolled: 1-line block ×4, first 2 shown]
	;;#ASMSTART
	s_nop 0
	;;#ASMEND
	buffer_store_dwordx4 v[2:5], v6, s[28:31], 16 offen
	;;#ASMSTART
	s_nop 0
	;;#ASMEND
.LBB607_24:
	s_or_b64 exec, exec, s[2:3]
	s_cmp_lt_i32 s16, 1
	s_cbranch_scc1 .LBB607_17
.LBB607_25:
	s_load_dword s0, s[4:5], 0x94
	s_waitcnt lgkmcnt(0)
	s_cmp_lg_u32 s0, 1
	s_cbranch_scc1 .LBB607_17
; %bb.26:
	s_lshl_b32 s0, s16, 1
	s_add_i32 s0, s0, 2
	v_cmp_gt_u32_e32 vcc, s16, v1
	s_and_b32 s22, s0, -4
	v_mov_b32_e32 v18, 0
	v_lshlrev_b32_e32 v1, 5, v0
	s_waitcnt vmcnt(2)
	v_mov_b32_e32 v14, 0
	v_mov_b32_e32 v15, 0
	;; [unrolled: 1-line block ×8, first 2 shown]
	s_waitcnt vmcnt(1)
	v_mov_b32_e32 v6, 0
	v_mov_b32_e32 v7, 0
	;; [unrolled: 1-line block ×4, first 2 shown]
	s_waitcnt vmcnt(0)
	v_mov_b32_e32 v2, 0
	v_mov_b32_e32 v3, 0
	;; [unrolled: 1-line block ×4, first 2 shown]
	s_barrier
	s_and_saveexec_b64 s[0:1], vcc
	s_cbranch_execz .LBB607_28
; %bb.27:
	s_mul_hi_i32 s3, s18, s6
	s_mul_i32 s2, s18, s6
	s_and_b32 s21, s21, 0xffff
	s_lshl_b64 s[2:3], s[2:3], 1
	s_add_u32 s28, s10, s2
	s_mov_b32 s23, 0x20000
	s_addc_u32 s2, s11, s3
	s_and_b32 s29, s2, 0xffff
	s_mov_b32 s30, s22
	s_mov_b32 s31, s23
	buffer_load_dwordx4 v[14:17], v1, s[28:31], 0 offen
	buffer_load_dwordx4 v[10:13], v1, s[28:31], 16 offen
	;; [unrolled: 1-line block ×4, first 2 shown]
.LBB607_28:
	s_or_b64 exec, exec, s[0:1]
	v_mov_b32_e32 v19, 0
	v_mov_b32_e32 v32, 0
	;; [unrolled: 1-line block ×15, first 2 shown]
	s_and_saveexec_b64 s[0:1], vcc
	s_cbranch_execz .LBB607_30
; %bb.29:
	s_waitcnt vmcnt(3)
	v_cvt_f32_f16_sdwa v19, v14 dst_sel:DWORD dst_unused:UNUSED_PAD src0_sel:WORD_1
	v_cvt_f32_f16_e32 v18, v14
	v_cvt_f32_f16_sdwa v33, v15 dst_sel:DWORD dst_unused:UNUSED_PAD src0_sel:WORD_1
	v_cvt_f32_f16_e32 v32, v15
	;; [unrolled: 2-line block ×4, first 2 shown]
	s_waitcnt vmcnt(2)
	v_cvt_f32_f16_sdwa v27, v10 dst_sel:DWORD dst_unused:UNUSED_PAD src0_sel:WORD_1
	v_cvt_f32_f16_e32 v26, v10
	v_cvt_f32_f16_sdwa v25, v11 dst_sel:DWORD dst_unused:UNUSED_PAD src0_sel:WORD_1
	v_cvt_f32_f16_e32 v24, v11
	;; [unrolled: 2-line block ×4, first 2 shown]
.LBB607_30:
	s_or_b64 exec, exec, s[0:1]
	s_waitcnt vmcnt(2)
	v_mul_f32_e32 v10, v19, v19
	v_fmac_f32_e32 v10, v18, v18
	v_fmac_f32_e32 v10, v32, v32
	;; [unrolled: 1-line block ×15, first 2 shown]
	s_nop 1
	v_mov_b32_dpp v11, v10 quad_perm:[1,0,3,2] row_mask:0xf bank_mask:0xf
	v_add_f32_e32 v10, v10, v11
	s_nop 1
	v_mov_b32_dpp v11, v10 quad_perm:[2,3,0,1] row_mask:0xf bank_mask:0xf
	v_add_f32_e32 v10, v10, v11
	s_nop 1
	v_mov_b32_dpp v11, v10 row_half_mirror row_mask:0xf bank_mask:0xf
	v_add_f32_e32 v10, v10, v11
	s_nop 1
	v_mov_b32_dpp v11, v10 row_mirror row_mask:0xf bank_mask:0xf
	v_add_f32_e32 v10, v10, v11
	s_nop 1
	v_mov_b32_dpp v11, v10 row_bcast:15 row_mask:0xf bank_mask:0xf
	v_add_f32_e32 v10, v10, v11
	s_nop 1
	v_mov_b32_dpp v11, v10 row_bcast:31 row_mask:0xf bank_mask:0xf
	s_and_saveexec_b64 s[0:1], s[8:9]
	s_cbranch_execz .LBB607_32
; %bb.31:
	v_lshrrev_b32_e32 v0, 4, v0
	v_add_f32_e32 v10, v10, v11
	v_and_b32_e32 v0, 60, v0
	ds_write_b32 v0, v10
.LBB607_32:
	s_or_b64 exec, exec, s[0:1]
	s_waitcnt lgkmcnt(0)
	s_barrier
	ds_read_b32 v0, v34
	s_waitcnt lgkmcnt(0)
	s_nop 0
	v_mov_b32_dpp v10, v0 quad_perm:[1,0,3,2] row_mask:0xf bank_mask:0xf
	s_and_saveexec_b64 s[0:1], vcc
	s_cbranch_execz .LBB607_17
; %bb.33:
	v_cvt_f32_u32_e32 v11, s16
	v_add_f32_e32 v0, v0, v10
	s_mov_b32 s23, 0x20000
	v_div_scale_f32 v10, s[0:1], v11, v11, v0
	v_rcp_f32_e32 v12, v10
	v_div_scale_f32 v13, vcc, v0, v11, v0
	s_mov_b32 s0, 0x800000
	v_fma_f32 v14, -v10, v12, 1.0
	v_fmac_f32_e32 v12, v14, v12
	v_mul_f32_e32 v14, v13, v12
	v_fma_f32 v15, -v10, v14, v13
	v_fmac_f32_e32 v14, v15, v12
	v_fma_f32 v10, -v10, v14, v13
	v_div_fmas_f32 v10, v10, v12, v14
	v_div_fixup_f32 v0, v10, v11, v0
	v_add_f32_e32 v0, s13, v0
	v_mul_f32_e32 v10, 0x4b800000, v0
	v_cmp_gt_f32_e32 vcc, s0, v0
	v_cndmask_b32_e32 v0, v0, v10, vcc
	v_rsq_f32_e32 v0, v0
	s_mul_hi_i32 s1, s25, s6
	s_mul_i32 s0, s25, s6
	s_lshl_b64 s[0:1], s[0:1], 1
	v_mul_f32_e32 v10, 0x45800000, v0
	v_cndmask_b32_e32 v10, v0, v10, vcc
	v_mov_b32_e32 v11, v10
	;;#ASMSTART
	v_pk_mul_f32 v[12:13], v[18:19], v[10:11]
	;;#ASMEND
	;;#ASMSTART
	v_pk_mul_f32 v[14:15], v[32:33], v[10:11]
	;;#ASMEND
	;; [unrolled: 3-line block ×8, first 2 shown]
	s_waitcnt vmcnt(1)
	v_cvt_f32_f16_sdwa v21, v6 dst_sel:DWORD dst_unused:UNUSED_PAD src0_sel:WORD_1
	v_cvt_f32_f16_e32 v20, v6
	v_cvt_f32_f16_sdwa v29, v7 dst_sel:DWORD dst_unused:UNUSED_PAD src0_sel:WORD_1
	v_cvt_f32_f16_e32 v28, v7
	;; [unrolled: 2-line block ×4, first 2 shown]
	;;#ASMSTART
	v_pk_mul_f32 v[8:9], v[12:13], v[20:21]
	;;#ASMEND
	;;#ASMSTART
	v_pk_mul_f32 v[12:13], v[14:15], v[28:29]
	;;#ASMEND
	;; [unrolled: 3-line block ×4, first 2 shown]
	s_waitcnt vmcnt(0)
	v_cvt_f32_f16_sdwa v17, v2 dst_sel:DWORD dst_unused:UNUSED_PAD src0_sel:WORD_1
	v_cvt_f32_f16_e32 v16, v2
	v_cvt_f32_f16_sdwa v19, v3 dst_sel:DWORD dst_unused:UNUSED_PAD src0_sel:WORD_1
	v_cvt_f32_f16_e32 v18, v3
	;; [unrolled: 2-line block ×4, first 2 shown]
	;;#ASMSTART
	v_pk_mul_f32 v[16:17], v[26:27], v[16:17]
	;;#ASMEND
	;;#ASMSTART
	v_pk_mul_f32 v[18:19], v[24:25], v[18:19]
	;;#ASMEND
	;; [unrolled: 3-line block ×3, first 2 shown]
	v_cvt_f16_f32_e32 v0, v8
	v_cvt_f16_f32_e32 v2, v9
	;; [unrolled: 1-line block ×8, first 2 shown]
	s_add_u32 s20, s14, s0
	s_addc_u32 s0, s15, s1
	s_and_b32 s21, s0, 0xffff
	v_pack_b32_f16 v2, v0, v2
	v_pack_b32_f16 v3, v3, v4
	v_pack_b32_f16 v4, v5, v6
	v_pack_b32_f16 v5, v7, v8
	;;#ASMSTART
	v_pk_mul_f32 v[10:11], v[10:11], v[20:21]
	;;#ASMEND
	buffer_store_dwordx4 v[2:5], v1, s[20:23], 0 offen
	v_cvt_f16_f32_e32 v0, v16
	v_cvt_f16_f32_e32 v2, v17
	;; [unrolled: 1-line block ×8, first 2 shown]
	v_pack_b32_f16 v2, v0, v2
	v_pack_b32_f16 v3, v3, v4
	;; [unrolled: 1-line block ×4, first 2 shown]
	;;#ASMSTART
	s_nop 0
	;;#ASMEND
	buffer_store_dwordx4 v[2:5], v1, s[20:23], 16 offen
	;;#ASMSTART
	s_nop 0
	;;#ASMEND
	s_endpgm
	.section	.rodata,"a",@progbits
	.p2align	6, 0x0
	.amdhsa_kernel _ZN5aiter35fused_qk_rmsnorm_group_quant_kernelIDF16_N4opus5fp4_tELi128ELi16ELi8ELb1ELb1ELb0ELb1ELb0ELb0EEEvPT0_PvPT_S7_S7_PKS6_S9_S9_S9_S9_ffiiiiiiiiiiiii
		.amdhsa_group_segment_fixed_size 16
		.amdhsa_private_segment_fixed_size 0
		.amdhsa_kernarg_size 400
		.amdhsa_user_sgpr_count 6
		.amdhsa_user_sgpr_private_segment_buffer 1
		.amdhsa_user_sgpr_dispatch_ptr 0
		.amdhsa_user_sgpr_queue_ptr 0
		.amdhsa_user_sgpr_kernarg_segment_ptr 1
		.amdhsa_user_sgpr_dispatch_id 0
		.amdhsa_user_sgpr_flat_scratch_init 0
		.amdhsa_user_sgpr_kernarg_preload_length 0
		.amdhsa_user_sgpr_kernarg_preload_offset 0
		.amdhsa_user_sgpr_private_segment_size 0
		.amdhsa_uses_dynamic_stack 0
		.amdhsa_system_sgpr_private_segment_wavefront_offset 0
		.amdhsa_system_sgpr_workgroup_id_x 1
		.amdhsa_system_sgpr_workgroup_id_y 1
		.amdhsa_system_sgpr_workgroup_id_z 0
		.amdhsa_system_sgpr_workgroup_info 0
		.amdhsa_system_vgpr_workitem_id 0
		.amdhsa_next_free_vgpr 49
		.amdhsa_next_free_sgpr 32
		.amdhsa_accum_offset 52
		.amdhsa_reserve_vcc 1
		.amdhsa_reserve_flat_scratch 0
		.amdhsa_float_round_mode_32 0
		.amdhsa_float_round_mode_16_64 0
		.amdhsa_float_denorm_mode_32 3
		.amdhsa_float_denorm_mode_16_64 3
		.amdhsa_dx10_clamp 1
		.amdhsa_ieee_mode 1
		.amdhsa_fp16_overflow 0
		.amdhsa_tg_split 0
		.amdhsa_exception_fp_ieee_invalid_op 0
		.amdhsa_exception_fp_denorm_src 0
		.amdhsa_exception_fp_ieee_div_zero 0
		.amdhsa_exception_fp_ieee_overflow 0
		.amdhsa_exception_fp_ieee_underflow 0
		.amdhsa_exception_fp_ieee_inexact 0
		.amdhsa_exception_int_div_zero 0
	.end_amdhsa_kernel
	.section	.text._ZN5aiter35fused_qk_rmsnorm_group_quant_kernelIDF16_N4opus5fp4_tELi128ELi16ELi8ELb1ELb1ELb0ELb1ELb0ELb0EEEvPT0_PvPT_S7_S7_PKS6_S9_S9_S9_S9_ffiiiiiiiiiiiii,"axG",@progbits,_ZN5aiter35fused_qk_rmsnorm_group_quant_kernelIDF16_N4opus5fp4_tELi128ELi16ELi8ELb1ELb1ELb0ELb1ELb0ELb0EEEvPT0_PvPT_S7_S7_PKS6_S9_S9_S9_S9_ffiiiiiiiiiiiii,comdat
.Lfunc_end607:
	.size	_ZN5aiter35fused_qk_rmsnorm_group_quant_kernelIDF16_N4opus5fp4_tELi128ELi16ELi8ELb1ELb1ELb0ELb1ELb0ELb0EEEvPT0_PvPT_S7_S7_PKS6_S9_S9_S9_S9_ffiiiiiiiiiiiii, .Lfunc_end607-_ZN5aiter35fused_qk_rmsnorm_group_quant_kernelIDF16_N4opus5fp4_tELi128ELi16ELi8ELb1ELb1ELb0ELb1ELb0ELb0EEEvPT0_PvPT_S7_S7_PKS6_S9_S9_S9_S9_ffiiiiiiiiiiiii
                                        ; -- End function
	.section	.AMDGPU.csdata,"",@progbits
; Kernel info:
; codeLenInByte = 3448
; NumSgprs: 36
; NumVgprs: 49
; NumAgprs: 0
; TotalNumVgprs: 49
; ScratchSize: 0
; MemoryBound: 0
; FloatMode: 240
; IeeeMode: 1
; LDSByteSize: 16 bytes/workgroup (compile time only)
; SGPRBlocks: 4
; VGPRBlocks: 6
; NumSGPRsForWavesPerEU: 36
; NumVGPRsForWavesPerEU: 49
; AccumOffset: 52
; Occupancy: 8
; WaveLimiterHint : 0
; COMPUTE_PGM_RSRC2:SCRATCH_EN: 0
; COMPUTE_PGM_RSRC2:USER_SGPR: 6
; COMPUTE_PGM_RSRC2:TRAP_HANDLER: 0
; COMPUTE_PGM_RSRC2:TGID_X_EN: 1
; COMPUTE_PGM_RSRC2:TGID_Y_EN: 1
; COMPUTE_PGM_RSRC2:TGID_Z_EN: 0
; COMPUTE_PGM_RSRC2:TIDIG_COMP_CNT: 0
; COMPUTE_PGM_RSRC3_GFX90A:ACCUM_OFFSET: 12
; COMPUTE_PGM_RSRC3_GFX90A:TG_SPLIT: 0
	.section	.text._ZN5aiter35fused_qk_rmsnorm_group_quant_kernelItN4opus5fp4_tELi128ELi16ELi8ELb1ELb1ELb0ELb1ELb0ELb0EEEvPT0_PvPT_S7_S7_PKS6_S9_S9_S9_S9_ffiiiiiiiiiiiii,"axG",@progbits,_ZN5aiter35fused_qk_rmsnorm_group_quant_kernelItN4opus5fp4_tELi128ELi16ELi8ELb1ELb1ELb0ELb1ELb0ELb0EEEvPT0_PvPT_S7_S7_PKS6_S9_S9_S9_S9_ffiiiiiiiiiiiii,comdat
	.protected	_ZN5aiter35fused_qk_rmsnorm_group_quant_kernelItN4opus5fp4_tELi128ELi16ELi8ELb1ELb1ELb0ELb1ELb0ELb0EEEvPT0_PvPT_S7_S7_PKS6_S9_S9_S9_S9_ffiiiiiiiiiiiii ; -- Begin function _ZN5aiter35fused_qk_rmsnorm_group_quant_kernelItN4opus5fp4_tELi128ELi16ELi8ELb1ELb1ELb0ELb1ELb0ELb0EEEvPT0_PvPT_S7_S7_PKS6_S9_S9_S9_S9_ffiiiiiiiiiiiii
	.globl	_ZN5aiter35fused_qk_rmsnorm_group_quant_kernelItN4opus5fp4_tELi128ELi16ELi8ELb1ELb1ELb0ELb1ELb0ELb0EEEvPT0_PvPT_S7_S7_PKS6_S9_S9_S9_S9_ffiiiiiiiiiiiii
	.p2align	8
	.type	_ZN5aiter35fused_qk_rmsnorm_group_quant_kernelItN4opus5fp4_tELi128ELi16ELi8ELb1ELb1ELb0ELb1ELb0ELb0EEEvPT0_PvPT_S7_S7_PKS6_S9_S9_S9_S9_ffiiiiiiiiiiiii,@function
_ZN5aiter35fused_qk_rmsnorm_group_quant_kernelItN4opus5fp4_tELi128ELi16ELi8ELb1ELb1ELb0ELb1ELb0ELb0EEEvPT0_PvPT_S7_S7_PKS6_S9_S9_S9_S9_ffiiiiiiiiiiiii: ; @_ZN5aiter35fused_qk_rmsnorm_group_quant_kernelItN4opus5fp4_tELi128ELi16ELi8ELb1ELb1ELb0ELb1ELb0ELb0EEEvPT0_PvPT_S7_S7_PKS6_S9_S9_S9_S9_ffiiiiiiiiiiiii
; %bb.0:
	s_load_dwordx8 s[12:19], s[4:5], 0x50
	s_waitcnt lgkmcnt(0)
	s_cmp_ge_i32 s6, s14
	s_cbranch_scc1 .LBB608_17
; %bb.1:
	s_cmp_lg_u32 s7, 0
	s_cselect_b64 s[22:23], -1, 0
	s_cmp_eq_u32 s7, 0
	s_cselect_b64 s[2:3], -1, 0
	s_and_b64 s[0:1], s[2:3], exec
	s_cselect_b32 s7, s15, s16
	s_load_dwordx2 s[10:11], s[4:5], 0x30
	s_load_dwordx2 s[20:21], s[4:5], 0x48
	s_add_i32 s0, s7, 1
	s_lshr_b32 s1, s0, 31
	s_add_i32 s0, s0, s1
	s_lshl_b32 s0, s0, 1
	v_lshlrev_b32_e32 v1, 4, v0
	s_and_b32 s30, s0, -4
	v_cmp_gt_i32_e64 s[0:1], s7, v1
	v_mov_b32_e32 v76, 0
	v_mov_b32_e32 v77, 0
	;; [unrolled: 1-line block ×16, first 2 shown]
	s_and_saveexec_b64 s[8:9], s[0:1]
	s_cbranch_execz .LBB608_3
; %bb.2:
	s_load_dwordx2 s[14:15], s[4:5], 0x28
	s_load_dwordx2 s[26:27], s[4:5], 0x40
	s_and_b64 s[24:25], s[2:3], exec
	s_cselect_b32 s17, s17, s18
	s_mov_b32 s31, 0x20000
	s_waitcnt lgkmcnt(0)
	s_cselect_b32 s25, s15, s11
	s_cselect_b32 s24, s14, s10
	s_mul_hi_i32 s15, s17, s6
	s_mul_i32 s14, s17, s6
	s_lshl_b64 s[14:15], s[14:15], 1
	s_add_u32 s24, s24, s14
	s_addc_u32 s17, s25, s15
	s_and_b64 s[14:15], s[2:3], exec
	s_cselect_b32 s28, s26, s20
	s_cselect_b32 s14, s27, s21
	s_and_b32 s25, s17, 0xffff
	s_mov_b32 s26, s30
	s_mov_b32 s27, s31
	v_lshlrev_b32_e32 v2, 5, v0
	s_and_b32 s29, s14, 0xffff
	buffer_load_dwordx4 v[80:83], v2, s[24:27], 0 offen
	buffer_load_dwordx4 v[84:87], v2, s[24:27], 16 offen
	;; [unrolled: 1-line block ×4, first 2 shown]
.LBB608_3:
	s_or_b64 exec, exec, s[8:9]
	s_load_dwordx4 s[24:27], s[4:5], 0x7c
	s_and_b64 vcc, exec, s[22:23]
	s_cbranch_vccz .LBB608_7
; %bb.4:
	v_mov_b32_e32 v89, 0
	v_mov_b32_e32 v88, 0
	;; [unrolled: 1-line block ×16, first 2 shown]
	s_and_saveexec_b64 s[8:9], s[0:1]
	s_cbranch_execz .LBB608_6
; %bb.5:
	s_waitcnt vmcnt(3)
	v_cvt_f32_u32_sdwa v18, v80 dst_sel:DWORD dst_unused:UNUSED_PAD src0_sel:WORD_0
	v_cvt_f32_u32_sdwa v19, v80 dst_sel:DWORD dst_unused:UNUSED_PAD src0_sel:WORD_1
	v_cvt_f32_u32_sdwa v4, v81 dst_sel:DWORD dst_unused:UNUSED_PAD src0_sel:WORD_0
	v_cvt_f32_u32_sdwa v5, v81 dst_sel:DWORD dst_unused:UNUSED_PAD src0_sel:WORD_1
	;; [unrolled: 2-line block ×4, first 2 shown]
	s_waitcnt vmcnt(2)
	v_cvt_f32_u32_sdwa v64, v84 dst_sel:DWORD dst_unused:UNUSED_PAD src0_sel:WORD_0
	v_cvt_f32_u32_sdwa v65, v84 dst_sel:DWORD dst_unused:UNUSED_PAD src0_sel:WORD_1
	v_cvt_f32_u32_sdwa v48, v85 dst_sel:DWORD dst_unused:UNUSED_PAD src0_sel:WORD_0
	v_cvt_f32_u32_sdwa v49, v85 dst_sel:DWORD dst_unused:UNUSED_PAD src0_sel:WORD_1
	;; [unrolled: 2-line block ×4, first 2 shown]
.LBB608_6:
	s_or_b64 exec, exec, s[8:9]
	s_cbranch_execz .LBB608_8
	s_branch .LBB608_11
.LBB608_7:
                                        ; implicit-def: $vgpr18_vgpr19_vgpr20_vgpr21_vgpr22_vgpr23_vgpr24_vgpr25_vgpr26_vgpr27_vgpr28_vgpr29_vgpr30_vgpr31_vgpr32_vgpr33
                                        ; implicit-def: $vgpr50_vgpr51_vgpr52_vgpr53_vgpr54_vgpr55_vgpr56_vgpr57_vgpr58_vgpr59_vgpr60_vgpr61_vgpr62_vgpr63_vgpr64_vgpr65
                                        ; implicit-def: $vgpr30_vgpr31_vgpr32_vgpr33_vgpr34_vgpr35_vgpr36_vgpr37_vgpr38_vgpr39_vgpr40_vgpr41_vgpr42_vgpr43_vgpr44_vgpr45
                                        ; implicit-def: $vgpr89
                                        ; implicit-def: $vgpr2_vgpr3_vgpr4_vgpr5_vgpr6_vgpr7_vgpr8_vgpr9_vgpr10_vgpr11_vgpr12_vgpr13_vgpr14_vgpr15_vgpr16_vgpr17
                                        ; implicit-def: $vgpr56_vgpr57_vgpr58_vgpr59_vgpr60_vgpr61_vgpr62_vgpr63_vgpr64_vgpr65_vgpr66_vgpr67_vgpr68_vgpr69_vgpr70_vgpr71
                                        ; implicit-def: $vgpr38_vgpr39_vgpr40_vgpr41_vgpr42_vgpr43_vgpr44_vgpr45_vgpr46_vgpr47_vgpr48_vgpr49_vgpr50_vgpr51_vgpr52_vgpr53
                                        ; implicit-def: $vgpr20_vgpr21_vgpr22_vgpr23_vgpr24_vgpr25_vgpr26_vgpr27_vgpr28_vgpr29_vgpr30_vgpr31_vgpr32_vgpr33_vgpr34_vgpr35
.LBB608_8:
	v_mov_b32_e32 v89, 0
	v_mov_b32_e32 v88, 0
	;; [unrolled: 1-line block ×16, first 2 shown]
	s_and_saveexec_b64 s[8:9], s[0:1]
	s_cbranch_execz .LBB608_10
; %bb.9:
	s_load_dwordx2 s[14:15], s[4:5], 0x38
	s_mul_hi_i32 s29, s19, s6
	s_mul_i32 s28, s19, s6
	s_lshl_b64 s[28:29], s[28:29], 1
	s_mov_b32 s31, 0x20000
	s_waitcnt lgkmcnt(0)
	s_add_u32 s28, s14, s28
	s_addc_u32 s14, s15, s29
	s_and_b32 s29, s14, 0xffff
	v_lshlrev_b32_e32 v38, 5, v0
	buffer_load_dwordx4 v[4:7], v38, s[28:31], 16 offen
	buffer_load_dwordx4 v[8:11], v38, s[28:31], 0 offen
	s_load_dwordx2 s[14:15], s[4:5], 0x20
	s_waitcnt vmcnt(5)
	v_cvt_f32_u32_sdwa v19, v80 dst_sel:DWORD dst_unused:UNUSED_PAD src0_sel:WORD_1
	v_cvt_f32_u32_sdwa v18, v80 dst_sel:DWORD dst_unused:UNUSED_PAD src0_sel:WORD_0
	v_cvt_f32_u32_sdwa v21, v81 dst_sel:DWORD dst_unused:UNUSED_PAD src0_sel:WORD_1
	v_cvt_f32_u32_sdwa v20, v81 dst_sel:DWORD dst_unused:UNUSED_PAD src0_sel:WORD_0
	;; [unrolled: 2-line block ×4, first 2 shown]
	s_waitcnt vmcnt(4)
	v_cvt_f32_u32_sdwa v3, v84 dst_sel:DWORD dst_unused:UNUSED_PAD src0_sel:WORD_1
	v_cvt_f32_u32_sdwa v2, v84 dst_sel:DWORD dst_unused:UNUSED_PAD src0_sel:WORD_0
	v_cvt_f32_u32_sdwa v13, v85 dst_sel:DWORD dst_unused:UNUSED_PAD src0_sel:WORD_1
	v_cvt_f32_u32_sdwa v12, v85 dst_sel:DWORD dst_unused:UNUSED_PAD src0_sel:WORD_0
	;; [unrolled: 2-line block ×3, first 2 shown]
	v_cvt_f32_u32_sdwa v16, v87 dst_sel:DWORD dst_unused:UNUSED_PAD src0_sel:WORD_0
	v_cvt_f32_u32_sdwa v17, v87 dst_sel:DWORD dst_unused:UNUSED_PAD src0_sel:WORD_1
	s_mul_hi_i32 s27, s26, s6
	s_mul_i32 s26, s26, s6
	s_lshl_b64 s[26:27], s[26:27], 1
	s_waitcnt lgkmcnt(0)
	s_add_u32 s28, s14, s26
	s_mov_b32 s17, 0x7060302
	s_addc_u32 s14, s15, s27
	s_and_b32 s29, s14, 0xffff
	s_waitcnt vmcnt(1)
	v_cvt_f32_u32_sdwa v27, v4 dst_sel:DWORD dst_unused:UNUSED_PAD src0_sel:WORD_1
	v_cvt_f32_u32_sdwa v26, v4 dst_sel:DWORD dst_unused:UNUSED_PAD src0_sel:WORD_0
	v_cvt_f32_u32_sdwa v29, v5 dst_sel:DWORD dst_unused:UNUSED_PAD src0_sel:WORD_1
	v_cvt_f32_u32_sdwa v28, v5 dst_sel:DWORD dst_unused:UNUSED_PAD src0_sel:WORD_0
	;; [unrolled: 2-line block ×3, first 2 shown]
	v_cvt_f32_u32_sdwa v32, v7 dst_sel:DWORD dst_unused:UNUSED_PAD src0_sel:WORD_0
	v_cvt_f32_u32_sdwa v33, v7 dst_sel:DWORD dst_unused:UNUSED_PAD src0_sel:WORD_1
	s_waitcnt vmcnt(0)
	v_cvt_f32_u32_sdwa v35, v8 dst_sel:DWORD dst_unused:UNUSED_PAD src0_sel:WORD_1
	v_cvt_f32_u32_sdwa v34, v8 dst_sel:DWORD dst_unused:UNUSED_PAD src0_sel:WORD_0
	v_cvt_f32_u32_sdwa v5, v10 dst_sel:DWORD dst_unused:UNUSED_PAD src0_sel:WORD_1
	v_cvt_f32_u32_sdwa v4, v10 dst_sel:DWORD dst_unused:UNUSED_PAD src0_sel:WORD_0
	;; [unrolled: 2-line block ×4, first 2 shown]
	v_pk_add_f32 v[54:55], v[22:23], v[4:5]
	v_pk_add_f32 v[36:37], v[24:25], v[6:7]
	;; [unrolled: 1-line block ×4, first 2 shown]
	v_perm_b32 v9, v37, v36, s17
	v_perm_b32 v8, v55, v54, s17
	;; [unrolled: 1-line block ×4, first 2 shown]
	v_pk_add_f32 v[88:89], v[16:17], v[32:33]
	v_pk_add_f32 v[32:33], v[14:15], v[30:31]
	;; [unrolled: 1-line block ×4, first 2 shown]
	buffer_store_dwordx4 v[6:9], v38, s[28:31], 0 offen
	;;#ASMSTART
	s_nop 0
	;;#ASMEND
	s_nop 0
	v_perm_b32 v9, v89, v88, s17
	v_perm_b32 v8, v33, v32, s17
	;; [unrolled: 1-line block ×4, first 2 shown]
	buffer_store_dwordx4 v[6:9], v38, s[28:31], 16 offen
	;;#ASMSTART
	s_nop 0
	;;#ASMEND
.LBB608_10:
	s_or_b64 exec, exec, s[8:9]
.LBB608_11:
	v_mul_f32_e32 v2, v19, v19
	v_fmac_f32_e32 v2, v18, v18
	v_fmac_f32_e32 v2, v4, v4
	;; [unrolled: 1-line block ×15, first 2 shown]
	s_nop 1
	v_mov_b32_dpp v3, v2 quad_perm:[1,0,3,2] row_mask:0xf bank_mask:0xf
	v_add_f32_e32 v2, v2, v3
	s_nop 1
	v_mov_b32_dpp v3, v2 quad_perm:[2,3,0,1] row_mask:0xf bank_mask:0xf
	v_add_f32_e32 v2, v2, v3
	s_nop 1
	v_mov_b32_dpp v3, v2 row_half_mirror row_mask:0xf bank_mask:0xf
	v_add_f32_e32 v2, v2, v3
	s_nop 1
	v_mov_b32_dpp v3, v2 row_mirror row_mask:0xf bank_mask:0xf
	v_add_f32_e32 v2, v2, v3
	s_nop 1
	v_mov_b32_dpp v3, v2 row_bcast:15 row_mask:0xf bank_mask:0xf
	v_add_f32_e32 v2, v2, v3
	v_and_b32_e32 v3, 63, v0
	v_cmp_eq_u32_e64 s[8:9], 63, v3
	s_nop 0
	v_mov_b32_dpp v3, v2 row_bcast:31 row_mask:0xf bank_mask:0xf
	s_and_saveexec_b64 s[14:15], s[8:9]
	s_cbranch_execz .LBB608_13
; %bb.12:
	v_add_f32_e32 v2, v2, v3
	v_lshrrev_b32_e32 v3, 4, v0
	v_and_b32_e32 v3, 60, v3
	ds_write_b32 v3, v2 offset:8
.LBB608_13:
	s_or_b64 exec, exec, s[14:15]
	v_and_b32_e32 v2, 1, v0
	v_lshlrev_b32_e32 v34, 2, v2
	s_waitcnt lgkmcnt(0)
	s_barrier
	ds_read_b32 v2, v34 offset:8
	s_load_dwordx2 s[14:15], s[4:5], 0x18
	s_waitcnt lgkmcnt(0)
	v_mov_b32_dpp v3, v2 quad_perm:[1,0,3,2] row_mask:0xf bank_mask:0xf
	s_and_saveexec_b64 s[26:27], s[0:1]
	s_cbranch_execnz .LBB608_18
; %bb.14:
	s_or_b64 exec, exec, s[26:27]
	s_mov_b64 s[2:3], -1
	s_and_b64 vcc, exec, s[22:23]
	s_cbranch_vccnz .LBB608_19
.LBB608_15:
	s_andn2_b64 vcc, exec, s[2:3]
	s_cbranch_vccz .LBB608_22
.LBB608_16:
	s_cmp_lt_i32 s16, 1
	s_cbranch_scc0 .LBB608_25
.LBB608_17:
	s_endpgm
.LBB608_18:
	v_add_f32_e32 v2, v2, v3
	v_cvt_f32_u32_e32 v3, s7
	s_waitcnt vmcnt(1)
	v_cvt_f32_u32_sdwa v17, v76 dst_sel:DWORD dst_unused:UNUSED_PAD src0_sel:WORD_1
	v_cvt_f32_u32_sdwa v16, v76 dst_sel:DWORD dst_unused:UNUSED_PAD src0_sel:WORD_0
	v_cvt_f32_u32_sdwa v21, v77 dst_sel:DWORD dst_unused:UNUSED_PAD src0_sel:WORD_1
	v_div_scale_f32 v6, s[28:29], v3, v3, v2
	v_rcp_f32_e32 v7, v6
	v_cvt_f32_u32_sdwa v20, v77 dst_sel:DWORD dst_unused:UNUSED_PAD src0_sel:WORD_0
	s_waitcnt vmcnt(0)
	v_cvt_f32_u32_sdwa v25, v73 dst_sel:DWORD dst_unused:UNUSED_PAD src0_sel:WORD_1
	v_cvt_f32_u32_sdwa v24, v73 dst_sel:DWORD dst_unused:UNUSED_PAD src0_sel:WORD_0
	v_fma_f32 v8, -v6, v7, 1.0
	v_fmac_f32_e32 v7, v8, v7
	v_div_scale_f32 v8, vcc, v2, v3, v2
	v_mul_f32_e32 v9, v8, v7
	v_fma_f32 v10, -v6, v9, v8
	v_fmac_f32_e32 v9, v10, v7
	v_fma_f32 v6, -v6, v9, v8
	v_div_fmas_f32 v6, v6, v7, v9
	v_div_fixup_f32 v2, v6, v3, v2
	v_mov_b32_e32 v3, s13
	v_mov_b32_e32 v6, s12
	v_cndmask_b32_e64 v3, v3, v6, s[2:3]
	v_add_f32_e32 v2, v3, v2
	s_mov_b32 s2, 0x800000
	v_mul_f32_e32 v3, 0x4b800000, v2
	v_cmp_gt_f32_e32 vcc, s2, v2
	v_cndmask_b32_e32 v2, v2, v3, vcc
	v_rsq_f32_e32 v2, v2
	v_cvt_f32_u32_sdwa v27, v74 dst_sel:DWORD dst_unused:UNUSED_PAD src0_sel:WORD_1
	v_cvt_f32_u32_sdwa v26, v74 dst_sel:DWORD dst_unused:UNUSED_PAD src0_sel:WORD_0
	v_cvt_f32_u32_sdwa v29, v75 dst_sel:DWORD dst_unused:UNUSED_PAD src0_sel:WORD_1
	v_mul_f32_e32 v3, 0x45800000, v2
	v_cndmask_b32_e32 v2, v2, v3, vcc
	v_mov_b32_e32 v3, v2
	;;#ASMSTART
	v_pk_mul_f32 v[6:7], v[18:19], v[2:3]
	;;#ASMEND
	;;#ASMSTART
	v_pk_mul_f32 v[4:5], v[4:5], v[2:3]
	;;#ASMEND
	;; [unrolled: 3-line block ×10, first 2 shown]
	v_cvt_f32_u32_sdwa v7, v78 dst_sel:DWORD dst_unused:UNUSED_PAD src0_sel:WORD_1
	v_cvt_f32_u32_sdwa v6, v78 dst_sel:DWORD dst_unused:UNUSED_PAD src0_sel:WORD_0
	v_cvt_f32_u32_sdwa v17, v79 dst_sel:DWORD dst_unused:UNUSED_PAD src0_sel:WORD_1
	v_cvt_f32_u32_sdwa v16, v79 dst_sel:DWORD dst_unused:UNUSED_PAD src0_sel:WORD_0
	;; [unrolled: 2-line block ×3, first 2 shown]
	v_cvt_f32_u32_sdwa v28, v75 dst_sel:DWORD dst_unused:UNUSED_PAD src0_sel:WORD_0
	;;#ASMSTART
	v_pk_mul_f32 v[54:55], v[8:9], v[6:7]
	;;#ASMEND
	;;#ASMSTART
	v_pk_mul_f32 v[36:37], v[10:11], v[16:17]
	;;#ASMEND
	;; [unrolled: 3-line block ×6, first 2 shown]
	s_or_b64 exec, exec, s[26:27]
	s_mov_b64 s[2:3], -1
	s_and_b64 vcc, exec, s[22:23]
	s_cbranch_vccz .LBB608_15
.LBB608_19:
	s_and_saveexec_b64 s[2:3], s[0:1]
	s_cbranch_execz .LBB608_21
; %bb.20:
	s_mul_hi_i32 s23, s25, s6
	s_mul_i32 s22, s25, s6
	s_lshl_b64 s[22:23], s[22:23], 1
	s_add_u32 s28, s14, s22
	s_addc_u32 s7, s15, s23
	s_and_b32 s29, s7, 0xffff
	s_mov_b32 s7, 0x7060302
	s_mov_b32 s31, 0x20000
	v_perm_b32 v9, v37, v36, s7
	v_perm_b32 v8, v55, v54, s7
	;; [unrolled: 1-line block ×4, first 2 shown]
	v_lshlrev_b32_e32 v2, 5, v0
	buffer_store_dwordx4 v[6:9], v2, s[28:31], 0 offen
	;;#ASMSTART
	s_nop 0
	;;#ASMEND
	s_nop 0
	v_perm_b32 v9, v89, v88, s7
	v_perm_b32 v8, v33, v32, s7
	;; [unrolled: 1-line block ×4, first 2 shown]
	buffer_store_dwordx4 v[6:9], v2, s[28:31], 16 offen
	;;#ASMSTART
	s_nop 0
	;;#ASMEND
.LBB608_21:
	s_or_b64 exec, exec, s[2:3]
	s_cbranch_execnz .LBB608_16
.LBB608_22:
	s_and_saveexec_b64 s[2:3], s[0:1]
	s_cbranch_execz .LBB608_24
; %bb.23:
	s_load_dwordx2 s[0:1], s[4:5], 0x10
	s_mul_hi_i32 s23, s24, s6
	s_mul_i32 s22, s24, s6
	s_lshl_b64 s[22:23], s[22:23], 1
	s_mov_b32 s7, 0x7060302
	s_waitcnt lgkmcnt(0)
	s_add_u32 s28, s0, s22
	s_addc_u32 s0, s1, s23
	v_perm_b32 v7, v37, v36, s7
	v_perm_b32 v6, v55, v54, s7
	;; [unrolled: 1-line block ×4, first 2 shown]
	s_and_b32 s29, s0, 0xffff
	s_mov_b32 s31, 0x20000
	v_lshlrev_b32_e32 v8, 5, v0
	buffer_store_dwordx4 v[4:7], v8, s[28:31], 0 offen
	v_perm_b32 v3, v49, v48, s7
	v_perm_b32 v5, v89, v88, s7
	;; [unrolled: 1-line block ×4, first 2 shown]
	;;#ASMSTART
	s_nop 0
	;;#ASMEND
	buffer_store_dwordx4 v[2:5], v8, s[28:31], 16 offen
	;;#ASMSTART
	s_nop 0
	;;#ASMEND
.LBB608_24:
	s_or_b64 exec, exec, s[2:3]
	s_cmp_lt_i32 s16, 1
	s_cbranch_scc1 .LBB608_17
.LBB608_25:
	s_load_dword s0, s[4:5], 0x94
	s_waitcnt lgkmcnt(0)
	s_cmp_lg_u32 s0, 1
	s_cbranch_scc1 .LBB608_17
; %bb.26:
	s_lshl_b32 s0, s16, 1
	s_add_i32 s0, s0, 2
	v_cmp_gt_u32_e32 vcc, s16, v1
	s_and_b32 s22, s0, -4
	v_mov_b32_e32 v18, 0
	v_lshlrev_b32_e32 v1, 5, v0
	v_mov_b32_e32 v14, 0
	v_mov_b32_e32 v15, 0
	v_mov_b32_e32 v16, 0
	v_mov_b32_e32 v17, 0
	v_mov_b32_e32 v10, 0
	v_mov_b32_e32 v11, 0
	v_mov_b32_e32 v12, 0
	v_mov_b32_e32 v13, 0
	v_mov_b32_e32 v6, 0
	v_mov_b32_e32 v7, 0
	v_mov_b32_e32 v8, 0
	v_mov_b32_e32 v9, 0
	v_mov_b32_e32 v2, 0
	v_mov_b32_e32 v3, 0
	v_mov_b32_e32 v4, 0
	v_mov_b32_e32 v5, 0
	s_barrier
	s_and_saveexec_b64 s[0:1], vcc
	s_cbranch_execz .LBB608_28
; %bb.27:
	s_mul_hi_i32 s3, s18, s6
	s_mul_i32 s2, s18, s6
	s_and_b32 s21, s21, 0xffff
	s_lshl_b64 s[2:3], s[2:3], 1
	s_add_u32 s28, s10, s2
	s_mov_b32 s23, 0x20000
	s_addc_u32 s2, s11, s3
	s_and_b32 s29, s2, 0xffff
	s_mov_b32 s30, s22
	s_mov_b32 s31, s23
	buffer_load_dwordx4 v[14:17], v1, s[28:31], 0 offen
	buffer_load_dwordx4 v[10:13], v1, s[28:31], 16 offen
	;; [unrolled: 1-line block ×4, first 2 shown]
.LBB608_28:
	s_or_b64 exec, exec, s[0:1]
	v_mov_b32_e32 v19, 0
	v_mov_b32_e32 v32, 0
	;; [unrolled: 1-line block ×15, first 2 shown]
	s_and_saveexec_b64 s[0:1], vcc
	s_cbranch_execz .LBB608_30
; %bb.29:
	s_waitcnt vmcnt(3)
	v_cvt_f32_u32_sdwa v18, v14 dst_sel:DWORD dst_unused:UNUSED_PAD src0_sel:WORD_0
	v_cvt_f32_u32_sdwa v19, v14 dst_sel:DWORD dst_unused:UNUSED_PAD src0_sel:WORD_1
	v_cvt_f32_u32_sdwa v32, v15 dst_sel:DWORD dst_unused:UNUSED_PAD src0_sel:WORD_0
	v_cvt_f32_u32_sdwa v33, v15 dst_sel:DWORD dst_unused:UNUSED_PAD src0_sel:WORD_1
	;; [unrolled: 2-line block ×4, first 2 shown]
	s_waitcnt vmcnt(2)
	v_cvt_f32_u32_sdwa v26, v10 dst_sel:DWORD dst_unused:UNUSED_PAD src0_sel:WORD_0
	v_cvt_f32_u32_sdwa v27, v10 dst_sel:DWORD dst_unused:UNUSED_PAD src0_sel:WORD_1
	v_cvt_f32_u32_sdwa v24, v11 dst_sel:DWORD dst_unused:UNUSED_PAD src0_sel:WORD_0
	v_cvt_f32_u32_sdwa v25, v11 dst_sel:DWORD dst_unused:UNUSED_PAD src0_sel:WORD_1
	;; [unrolled: 2-line block ×4, first 2 shown]
.LBB608_30:
	s_or_b64 exec, exec, s[0:1]
	s_waitcnt vmcnt(2)
	v_mul_f32_e32 v10, v19, v19
	v_fmac_f32_e32 v10, v18, v18
	v_fmac_f32_e32 v10, v32, v32
	;; [unrolled: 1-line block ×15, first 2 shown]
	s_nop 1
	v_mov_b32_dpp v11, v10 quad_perm:[1,0,3,2] row_mask:0xf bank_mask:0xf
	v_add_f32_e32 v10, v10, v11
	s_nop 1
	v_mov_b32_dpp v11, v10 quad_perm:[2,3,0,1] row_mask:0xf bank_mask:0xf
	v_add_f32_e32 v10, v10, v11
	s_nop 1
	v_mov_b32_dpp v11, v10 row_half_mirror row_mask:0xf bank_mask:0xf
	v_add_f32_e32 v10, v10, v11
	s_nop 1
	v_mov_b32_dpp v11, v10 row_mirror row_mask:0xf bank_mask:0xf
	v_add_f32_e32 v10, v10, v11
	s_nop 1
	v_mov_b32_dpp v11, v10 row_bcast:15 row_mask:0xf bank_mask:0xf
	v_add_f32_e32 v10, v10, v11
	s_nop 1
	v_mov_b32_dpp v11, v10 row_bcast:31 row_mask:0xf bank_mask:0xf
	s_and_saveexec_b64 s[0:1], s[8:9]
	s_cbranch_execz .LBB608_32
; %bb.31:
	v_lshrrev_b32_e32 v0, 4, v0
	v_add_f32_e32 v10, v10, v11
	v_and_b32_e32 v0, 60, v0
	ds_write_b32 v0, v10
.LBB608_32:
	s_or_b64 exec, exec, s[0:1]
	s_waitcnt lgkmcnt(0)
	s_barrier
	ds_read_b32 v0, v34
	s_waitcnt lgkmcnt(0)
	s_nop 0
	v_mov_b32_dpp v10, v0 quad_perm:[1,0,3,2] row_mask:0xf bank_mask:0xf
	s_and_saveexec_b64 s[0:1], vcc
	s_cbranch_execz .LBB608_17
; %bb.33:
	v_cvt_f32_u32_e32 v11, s16
	v_add_f32_e32 v0, v0, v10
	s_mov_b32 s23, 0x20000
	v_div_scale_f32 v10, s[0:1], v11, v11, v0
	v_rcp_f32_e32 v12, v10
	v_div_scale_f32 v13, vcc, v0, v11, v0
	s_mov_b32 s0, 0x800000
	v_fma_f32 v14, -v10, v12, 1.0
	v_fmac_f32_e32 v12, v14, v12
	v_mul_f32_e32 v14, v13, v12
	v_fma_f32 v15, -v10, v14, v13
	v_fmac_f32_e32 v14, v15, v12
	v_fma_f32 v10, -v10, v14, v13
	v_div_fmas_f32 v10, v10, v12, v14
	v_div_fixup_f32 v0, v10, v11, v0
	v_add_f32_e32 v0, s13, v0
	v_mul_f32_e32 v10, 0x4b800000, v0
	v_cmp_gt_f32_e32 vcc, s0, v0
	v_cndmask_b32_e32 v0, v0, v10, vcc
	v_rsq_f32_e32 v0, v0
	s_mul_hi_i32 s1, s25, s6
	s_mul_i32 s0, s25, s6
	s_lshl_b64 s[0:1], s[0:1], 1
	v_mul_f32_e32 v10, 0x45800000, v0
	v_cndmask_b32_e32 v10, v0, v10, vcc
	v_mov_b32_e32 v11, v10
	s_add_u32 s20, s14, s0
	;;#ASMSTART
	v_pk_mul_f32 v[12:13], v[18:19], v[10:11]
	;;#ASMEND
	;;#ASMSTART
	v_pk_mul_f32 v[14:15], v[32:33], v[10:11]
	;;#ASMEND
	;; [unrolled: 3-line block ×8, first 2 shown]
	s_waitcnt vmcnt(1)
	v_cvt_f32_u32_sdwa v21, v6 dst_sel:DWORD dst_unused:UNUSED_PAD src0_sel:WORD_1
	v_cvt_f32_u32_sdwa v20, v6 dst_sel:DWORD dst_unused:UNUSED_PAD src0_sel:WORD_0
	v_cvt_f32_u32_sdwa v29, v7 dst_sel:DWORD dst_unused:UNUSED_PAD src0_sel:WORD_1
	v_cvt_f32_u32_sdwa v28, v7 dst_sel:DWORD dst_unused:UNUSED_PAD src0_sel:WORD_0
	;; [unrolled: 2-line block ×3, first 2 shown]
	s_addc_u32 s0, s15, s1
	v_cvt_f32_u32_sdwa v31, v9 dst_sel:DWORD dst_unused:UNUSED_PAD src0_sel:WORD_1
	v_cvt_f32_u32_sdwa v30, v9 dst_sel:DWORD dst_unused:UNUSED_PAD src0_sel:WORD_0
	;;#ASMSTART
	v_pk_mul_f32 v[8:9], v[12:13], v[20:21]
	;;#ASMEND
	;;#ASMSTART
	v_pk_mul_f32 v[12:13], v[14:15], v[28:29]
	;;#ASMEND
	;; [unrolled: 3-line block ×4, first 2 shown]
	s_waitcnt vmcnt(0)
	v_cvt_f32_u32_sdwa v17, v2 dst_sel:DWORD dst_unused:UNUSED_PAD src0_sel:WORD_1
	v_cvt_f32_u32_sdwa v16, v2 dst_sel:DWORD dst_unused:UNUSED_PAD src0_sel:WORD_0
	v_cvt_f32_u32_sdwa v19, v3 dst_sel:DWORD dst_unused:UNUSED_PAD src0_sel:WORD_1
	v_cvt_f32_u32_sdwa v18, v3 dst_sel:DWORD dst_unused:UNUSED_PAD src0_sel:WORD_0
	;; [unrolled: 2-line block ×3, first 2 shown]
	s_and_b32 s21, s0, 0xffff
	s_mov_b32 s0, 0x7060302
	v_cvt_f32_u32_sdwa v21, v5 dst_sel:DWORD dst_unused:UNUSED_PAD src0_sel:WORD_1
	v_cvt_f32_u32_sdwa v20, v5 dst_sel:DWORD dst_unused:UNUSED_PAD src0_sel:WORD_0
	;;#ASMSTART
	v_pk_mul_f32 v[16:17], v[26:27], v[16:17]
	;;#ASMEND
	;;#ASMSTART
	v_pk_mul_f32 v[18:19], v[24:25], v[18:19]
	;;#ASMEND
	;; [unrolled: 3-line block ×3, first 2 shown]
	v_perm_b32 v2, v9, v8, s0
	v_perm_b32 v3, v13, v12, s0
	;; [unrolled: 1-line block ×4, first 2 shown]
	;;#ASMSTART
	v_pk_mul_f32 v[10:11], v[10:11], v[20:21]
	;;#ASMEND
	buffer_store_dwordx4 v[2:5], v1, s[20:23], 0 offen
	;;#ASMSTART
	s_nop 0
	;;#ASMEND
	s_nop 0
	v_perm_b32 v2, v17, v16, s0
	v_perm_b32 v3, v19, v18, s0
	;; [unrolled: 1-line block ×4, first 2 shown]
	buffer_store_dwordx4 v[2:5], v1, s[20:23], 16 offen
	;;#ASMSTART
	s_nop 0
	;;#ASMEND
	s_endpgm
	.section	.rodata,"a",@progbits
	.p2align	6, 0x0
	.amdhsa_kernel _ZN5aiter35fused_qk_rmsnorm_group_quant_kernelItN4opus5fp4_tELi128ELi16ELi8ELb1ELb1ELb0ELb1ELb0ELb0EEEvPT0_PvPT_S7_S7_PKS6_S9_S9_S9_S9_ffiiiiiiiiiiiii
		.amdhsa_group_segment_fixed_size 16
		.amdhsa_private_segment_fixed_size 0
		.amdhsa_kernarg_size 400
		.amdhsa_user_sgpr_count 6
		.amdhsa_user_sgpr_private_segment_buffer 1
		.amdhsa_user_sgpr_dispatch_ptr 0
		.amdhsa_user_sgpr_queue_ptr 0
		.amdhsa_user_sgpr_kernarg_segment_ptr 1
		.amdhsa_user_sgpr_dispatch_id 0
		.amdhsa_user_sgpr_flat_scratch_init 0
		.amdhsa_user_sgpr_kernarg_preload_length 0
		.amdhsa_user_sgpr_kernarg_preload_offset 0
		.amdhsa_user_sgpr_private_segment_size 0
		.amdhsa_uses_dynamic_stack 0
		.amdhsa_system_sgpr_private_segment_wavefront_offset 0
		.amdhsa_system_sgpr_workgroup_id_x 1
		.amdhsa_system_sgpr_workgroup_id_y 1
		.amdhsa_system_sgpr_workgroup_id_z 0
		.amdhsa_system_sgpr_workgroup_info 0
		.amdhsa_system_vgpr_workitem_id 0
		.amdhsa_next_free_vgpr 90
		.amdhsa_next_free_sgpr 32
		.amdhsa_accum_offset 92
		.amdhsa_reserve_vcc 1
		.amdhsa_reserve_flat_scratch 0
		.amdhsa_float_round_mode_32 0
		.amdhsa_float_round_mode_16_64 0
		.amdhsa_float_denorm_mode_32 3
		.amdhsa_float_denorm_mode_16_64 3
		.amdhsa_dx10_clamp 1
		.amdhsa_ieee_mode 1
		.amdhsa_fp16_overflow 0
		.amdhsa_tg_split 0
		.amdhsa_exception_fp_ieee_invalid_op 0
		.amdhsa_exception_fp_denorm_src 0
		.amdhsa_exception_fp_ieee_div_zero 0
		.amdhsa_exception_fp_ieee_overflow 0
		.amdhsa_exception_fp_ieee_underflow 0
		.amdhsa_exception_fp_ieee_inexact 0
		.amdhsa_exception_int_div_zero 0
	.end_amdhsa_kernel
	.section	.text._ZN5aiter35fused_qk_rmsnorm_group_quant_kernelItN4opus5fp4_tELi128ELi16ELi8ELb1ELb1ELb0ELb1ELb0ELb0EEEvPT0_PvPT_S7_S7_PKS6_S9_S9_S9_S9_ffiiiiiiiiiiiii,"axG",@progbits,_ZN5aiter35fused_qk_rmsnorm_group_quant_kernelItN4opus5fp4_tELi128ELi16ELi8ELb1ELb1ELb0ELb1ELb0ELb0EEEvPT0_PvPT_S7_S7_PKS6_S9_S9_S9_S9_ffiiiiiiiiiiiii,comdat
.Lfunc_end608:
	.size	_ZN5aiter35fused_qk_rmsnorm_group_quant_kernelItN4opus5fp4_tELi128ELi16ELi8ELb1ELb1ELb0ELb1ELb0ELb0EEEvPT0_PvPT_S7_S7_PKS6_S9_S9_S9_S9_ffiiiiiiiiiiiii, .Lfunc_end608-_ZN5aiter35fused_qk_rmsnorm_group_quant_kernelItN4opus5fp4_tELi128ELi16ELi8ELb1ELb1ELb0ELb1ELb0ELb0EEEvPT0_PvPT_S7_S7_PKS6_S9_S9_S9_S9_ffiiiiiiiiiiiii
                                        ; -- End function
	.section	.AMDGPU.csdata,"",@progbits
; Kernel info:
; codeLenInByte = 3408
; NumSgprs: 36
; NumVgprs: 90
; NumAgprs: 0
; TotalNumVgprs: 90
; ScratchSize: 0
; MemoryBound: 0
; FloatMode: 240
; IeeeMode: 1
; LDSByteSize: 16 bytes/workgroup (compile time only)
; SGPRBlocks: 4
; VGPRBlocks: 11
; NumSGPRsForWavesPerEU: 36
; NumVGPRsForWavesPerEU: 90
; AccumOffset: 92
; Occupancy: 5
; WaveLimiterHint : 0
; COMPUTE_PGM_RSRC2:SCRATCH_EN: 0
; COMPUTE_PGM_RSRC2:USER_SGPR: 6
; COMPUTE_PGM_RSRC2:TRAP_HANDLER: 0
; COMPUTE_PGM_RSRC2:TGID_X_EN: 1
; COMPUTE_PGM_RSRC2:TGID_Y_EN: 1
; COMPUTE_PGM_RSRC2:TGID_Z_EN: 0
; COMPUTE_PGM_RSRC2:TIDIG_COMP_CNT: 0
; COMPUTE_PGM_RSRC3_GFX90A:ACCUM_OFFSET: 22
; COMPUTE_PGM_RSRC3_GFX90A:TG_SPLIT: 0
	.section	.text._ZN5aiter35fused_qk_rmsnorm_group_quant_kernelIDF16_DB8_Li128ELi16ELi8ELb0ELb1ELb1ELb1ELb0ELb0EEEvPT0_PvPT_S6_S6_PKS5_S8_S8_S8_S8_ffiiiiiiiiiiiii,"axG",@progbits,_ZN5aiter35fused_qk_rmsnorm_group_quant_kernelIDF16_DB8_Li128ELi16ELi8ELb0ELb1ELb1ELb1ELb0ELb0EEEvPT0_PvPT_S6_S6_PKS5_S8_S8_S8_S8_ffiiiiiiiiiiiii,comdat
	.protected	_ZN5aiter35fused_qk_rmsnorm_group_quant_kernelIDF16_DB8_Li128ELi16ELi8ELb0ELb1ELb1ELb1ELb0ELb0EEEvPT0_PvPT_S6_S6_PKS5_S8_S8_S8_S8_ffiiiiiiiiiiiii ; -- Begin function _ZN5aiter35fused_qk_rmsnorm_group_quant_kernelIDF16_DB8_Li128ELi16ELi8ELb0ELb1ELb1ELb1ELb0ELb0EEEvPT0_PvPT_S6_S6_PKS5_S8_S8_S8_S8_ffiiiiiiiiiiiii
	.globl	_ZN5aiter35fused_qk_rmsnorm_group_quant_kernelIDF16_DB8_Li128ELi16ELi8ELb0ELb1ELb1ELb1ELb0ELb0EEEvPT0_PvPT_S6_S6_PKS5_S8_S8_S8_S8_ffiiiiiiiiiiiii
	.p2align	8
	.type	_ZN5aiter35fused_qk_rmsnorm_group_quant_kernelIDF16_DB8_Li128ELi16ELi8ELb0ELb1ELb1ELb1ELb0ELb0EEEvPT0_PvPT_S6_S6_PKS5_S8_S8_S8_S8_ffiiiiiiiiiiiii,@function
_ZN5aiter35fused_qk_rmsnorm_group_quant_kernelIDF16_DB8_Li128ELi16ELi8ELb0ELb1ELb1ELb1ELb0ELb0EEEvPT0_PvPT_S6_S6_PKS5_S8_S8_S8_S8_ffiiiiiiiiiiiii: ; @_ZN5aiter35fused_qk_rmsnorm_group_quant_kernelIDF16_DB8_Li128ELi16ELi8ELb0ELb1ELb1ELb1ELb0ELb0EEEvPT0_PvPT_S6_S6_PKS5_S8_S8_S8_S8_ffiiiiiiiiiiiii
; %bb.0:
	s_load_dwordx4 s[12:15], s[4:5], 0x50
	s_waitcnt lgkmcnt(0)
	s_cmp_ge_i32 s6, s14
	s_cbranch_scc1 .LBB609_12
; %bb.1:
	s_load_dwordx2 s[24:25], s[4:5], 0x30
	s_load_dwordx2 s[8:9], s[4:5], 0x48
	s_load_dwordx4 s[16:19], s[4:5], 0x60
	s_cmp_lg_u32 s7, 0
	s_cselect_b64 s[10:11], -1, 0
	s_cmp_eq_u32 s7, 0
	s_cselect_b64 vcc, -1, 0
	s_and_b64 s[0:1], vcc, exec
	s_waitcnt lgkmcnt(0)
	s_cselect_b32 s7, s15, s16
	s_add_i32 s0, s7, 1
	s_lshr_b32 s1, s0, 31
	s_add_i32 s0, s0, s1
	s_lshl_b32 s0, s0, 1
	v_lshlrev_b32_e32 v1, 4, v0
	s_and_b32 s22, s0, -4
	v_cmp_gt_i32_e64 s[2:3], s7, v1
	v_mov_b32_e32 v18, 0
	v_mov_b32_e32 v6, 0
	;; [unrolled: 1-line block ×17, first 2 shown]
	s_and_saveexec_b64 s[0:1], s[2:3]
	s_cbranch_execz .LBB609_3
; %bb.2:
	s_load_dwordx2 s[14:15], s[4:5], 0x28
	s_load_dwordx2 s[20:21], s[4:5], 0x40
	s_and_b64 s[26:27], vcc, exec
	s_cselect_b32 s17, s17, s18
	s_mov_b32 s30, s22
	s_waitcnt lgkmcnt(0)
	s_cselect_b32 s19, s15, s25
	s_cselect_b32 s23, s14, s24
	s_mul_hi_i32 s15, s17, s6
	s_mul_i32 s14, s17, s6
	s_lshl_b64 s[14:15], s[14:15], 1
	s_add_u32 s28, s23, s14
	s_addc_u32 s17, s19, s15
	s_and_b64 s[14:15], vcc, exec
	s_mov_b32 s23, 0x20000
	s_cselect_b32 s20, s20, s8
	s_cselect_b32 s14, s21, s9
	s_and_b32 s29, s17, 0xffff
	s_mov_b32 s31, s23
	v_lshlrev_b32_e32 v19, 5, v0
	s_and_b32 s21, s14, 0xffff
	buffer_load_dwordx4 v[14:17], v19, s[28:31], 0 offen
	buffer_load_dwordx4 v[10:13], v19, s[28:31], 16 offen
	;; [unrolled: 1-line block ×4, first 2 shown]
.LBB609_3:
	s_or_b64 exec, exec, s[0:1]
	v_mov_b32_e32 v19, 0
	v_mov_b32_e32 v22, 0
	;; [unrolled: 1-line block ×15, first 2 shown]
	s_and_saveexec_b64 s[0:1], s[2:3]
	s_cbranch_execz .LBB609_5
; %bb.4:
	s_waitcnt vmcnt(3)
	v_cvt_f32_f16_sdwa v19, v14 dst_sel:DWORD dst_unused:UNUSED_PAD src0_sel:WORD_1
	v_cvt_f32_f16_e32 v18, v14
	v_cvt_f32_f16_sdwa v23, v15 dst_sel:DWORD dst_unused:UNUSED_PAD src0_sel:WORD_1
	v_cvt_f32_f16_e32 v22, v15
	;; [unrolled: 2-line block ×4, first 2 shown]
	s_waitcnt vmcnt(2)
	v_cvt_f32_f16_sdwa v21, v10 dst_sel:DWORD dst_unused:UNUSED_PAD src0_sel:WORD_1
	v_cvt_f32_f16_e32 v20, v10
	v_cvt_f32_f16_sdwa v29, v11 dst_sel:DWORD dst_unused:UNUSED_PAD src0_sel:WORD_1
	v_cvt_f32_f16_e32 v28, v11
	;; [unrolled: 2-line block ×4, first 2 shown]
.LBB609_5:
	s_or_b64 exec, exec, s[0:1]
	s_waitcnt vmcnt(2)
	v_mul_f32_e32 v10, v19, v19
	v_fmac_f32_e32 v10, v18, v18
	v_fmac_f32_e32 v10, v22, v22
	v_fmac_f32_e32 v10, v23, v23
	v_fmac_f32_e32 v10, v24, v24
	v_fmac_f32_e32 v10, v25, v25
	v_fmac_f32_e32 v10, v32, v32
	v_fmac_f32_e32 v10, v33, v33
	v_fmac_f32_e32 v10, v20, v20
	v_fmac_f32_e32 v10, v21, v21
	v_fmac_f32_e32 v10, v28, v28
	v_fmac_f32_e32 v10, v29, v29
	v_fmac_f32_e32 v10, v30, v30
	v_fmac_f32_e32 v10, v31, v31
	v_fmac_f32_e32 v10, v26, v26
	v_fmac_f32_e32 v10, v27, v27
	v_and_b32_e32 v12, 63, v0
	v_cmp_eq_u32_e64 s[0:1], 63, v12
	v_mov_b32_dpp v11, v10 quad_perm:[1,0,3,2] row_mask:0xf bank_mask:0xf
	v_add_f32_e32 v10, v10, v11
	s_nop 1
	v_mov_b32_dpp v11, v10 quad_perm:[2,3,0,1] row_mask:0xf bank_mask:0xf
	v_add_f32_e32 v10, v10, v11
	s_nop 1
	v_mov_b32_dpp v11, v10 row_half_mirror row_mask:0xf bank_mask:0xf
	v_add_f32_e32 v10, v10, v11
	s_nop 1
	v_mov_b32_dpp v11, v10 row_mirror row_mask:0xf bank_mask:0xf
	v_add_f32_e32 v10, v10, v11
	s_nop 1
	v_mov_b32_dpp v11, v10 row_bcast:15 row_mask:0xf bank_mask:0xf
	v_add_f32_e32 v10, v10, v11
	s_nop 1
	v_mov_b32_dpp v11, v10 row_bcast:31 row_mask:0xf bank_mask:0xf
	s_and_saveexec_b64 s[14:15], s[0:1]
	s_cbranch_execz .LBB609_7
; %bb.6:
	v_add_f32_e32 v10, v10, v11
	v_lshrrev_b32_e32 v11, 4, v0
	v_and_b32_e32 v11, 60, v11
	ds_write_b32 v11, v10 offset:8
.LBB609_7:
	s_or_b64 exec, exec, s[14:15]
	v_and_b32_e32 v10, 1, v0
	v_lshlrev_b32_e32 v34, 2, v10
	s_waitcnt lgkmcnt(0)
	s_barrier
	ds_read_b32 v10, v34 offset:8
	s_load_dwordx2 s[14:15], s[4:5], 0x18
	s_waitcnt lgkmcnt(0)
	v_mov_b32_dpp v11, v10 quad_perm:[1,0,3,2] row_mask:0xf bank_mask:0xf
	s_and_saveexec_b64 s[20:21], s[2:3]
	s_cbranch_execz .LBB609_9
; %bb.8:
	v_cvt_f32_u32_e32 v12, s7
	v_add_f32_e32 v10, v10, v11
	v_mov_b32_e32 v14, s13
	v_mov_b32_e32 v15, s12
	v_div_scale_f32 v11, s[26:27], v12, v12, v10
	v_rcp_f32_e32 v13, v11
	v_cndmask_b32_e32 v14, v14, v15, vcc
	s_mov_b32 s7, 0x800000
	v_fma_f32 v15, -v11, v13, 1.0
	v_fmac_f32_e32 v13, v15, v13
	v_div_scale_f32 v15, vcc, v10, v12, v10
	v_mul_f32_e32 v16, v15, v13
	v_fma_f32 v17, -v11, v16, v15
	v_fmac_f32_e32 v16, v17, v13
	v_fma_f32 v11, -v11, v16, v15
	v_div_fmas_f32 v11, v11, v13, v16
	v_div_fixup_f32 v10, v11, v12, v10
	v_add_f32_e32 v10, v14, v10
	v_mul_f32_e32 v11, 0x4b800000, v10
	v_cmp_gt_f32_e32 vcc, s7, v10
	v_cndmask_b32_e32 v10, v10, v11, vcc
	v_rsq_f32_e32 v10, v10
	v_mul_f32_e32 v11, 0x45800000, v10
	v_cndmask_b32_e32 v10, v10, v11, vcc
	v_mov_b32_e32 v11, v10
	;;#ASMSTART
	v_pk_mul_f32 v[12:13], v[18:19], v[10:11]
	;;#ASMEND
	s_waitcnt vmcnt(1)
	v_cvt_f32_f16_sdwa v19, v6 dst_sel:DWORD dst_unused:UNUSED_PAD src0_sel:WORD_1
	v_cvt_f32_f16_e32 v18, v6
	;;#ASMSTART
	v_pk_mul_f32 v[14:15], v[22:23], v[10:11]
	;;#ASMEND
	v_cvt_f32_f16_sdwa v23, v7 dst_sel:DWORD dst_unused:UNUSED_PAD src0_sel:WORD_1
	v_cvt_f32_f16_e32 v22, v7
	;;#ASMSTART
	v_pk_mul_f32 v[16:17], v[24:25], v[10:11]
	;;#ASMEND
	;;#ASMSTART
	v_pk_mul_f32 v[32:33], v[32:33], v[10:11]
	;;#ASMEND
	;; [unrolled: 3-line block ×6, first 2 shown]
	v_pk_add_f32 v[10:11], v[18:19], 1.0 op_sel_hi:[1,0]
	;;#ASMSTART
	v_pk_mul_f32 v[18:19], v[12:13], v[10:11]
	;;#ASMEND
	v_cvt_f32_f16_sdwa v13, v8 dst_sel:DWORD dst_unused:UNUSED_PAD src0_sel:WORD_1
	v_cvt_f32_f16_e32 v12, v8
	v_cvt_f32_f16_sdwa v27, v9 dst_sel:DWORD dst_unused:UNUSED_PAD src0_sel:WORD_1
	v_cvt_f32_f16_e32 v26, v9
	v_pk_add_f32 v[10:11], v[22:23], 1.0 op_sel_hi:[1,0]
	;;#ASMSTART
	v_pk_mul_f32 v[22:23], v[14:15], v[10:11]
	;;#ASMEND
	s_waitcnt vmcnt(0)
	v_cvt_f32_f16_sdwa v11, v2 dst_sel:DWORD dst_unused:UNUSED_PAD src0_sel:WORD_1
	v_cvt_f32_f16_e32 v10, v2
	v_pk_add_f32 v[8:9], v[12:13], 1.0 op_sel_hi:[1,0]
	;;#ASMSTART
	v_pk_mul_f32 v[24:25], v[16:17], v[8:9]
	;;#ASMEND
	v_pk_add_f32 v[8:9], v[26:27], 1.0 op_sel_hi:[1,0]
	v_cvt_f32_f16_sdwa v13, v3 dst_sel:DWORD dst_unused:UNUSED_PAD src0_sel:WORD_1
	v_cvt_f32_f16_e32 v12, v3
	;;#ASMSTART
	v_pk_mul_f32 v[32:33], v[32:33], v[8:9]
	;;#ASMEND
	v_cvt_f32_f16_sdwa v9, v4 dst_sel:DWORD dst_unused:UNUSED_PAD src0_sel:WORD_1
	v_cvt_f32_f16_e32 v8, v4
	v_pk_add_f32 v[2:3], v[10:11], 1.0 op_sel_hi:[1,0]
	v_cvt_f32_f16_sdwa v11, v5 dst_sel:DWORD dst_unused:UNUSED_PAD src0_sel:WORD_1
	v_cvt_f32_f16_e32 v10, v5
	;;#ASMSTART
	v_pk_mul_f32 v[20:21], v[20:21], v[2:3]
	;;#ASMEND
	v_pk_add_f32 v[2:3], v[12:13], 1.0 op_sel_hi:[1,0]
	;;#ASMSTART
	v_pk_mul_f32 v[28:29], v[28:29], v[2:3]
	;;#ASMEND
	v_pk_add_f32 v[2:3], v[8:9], 1.0 op_sel_hi:[1,0]
	;; [unrolled: 4-line block ×3, first 2 shown]
	;;#ASMSTART
	v_pk_mul_f32 v[26:27], v[6:7], v[2:3]
	;;#ASMEND
.LBB609_9:
	s_or_b64 exec, exec, s[20:21]
	s_load_dwordx2 s[26:27], s[4:5], 0x7c
	s_mov_b64 s[20:21], -1
	s_and_b64 vcc, exec, s[10:11]
	s_cbranch_vccnz .LBB609_13
; %bb.10:
	s_andn2_b64 vcc, exec, s[20:21]
	s_cbranch_vccz .LBB609_16
.LBB609_11:
	s_cmp_lt_i32 s16, 1
	s_cbranch_scc0 .LBB609_19
.LBB609_12:
	s_endpgm
.LBB609_13:
	s_and_saveexec_b64 s[10:11], s[2:3]
	s_cbranch_execz .LBB609_15
; %bb.14:
	s_waitcnt lgkmcnt(0)
	s_mul_hi_i32 s21, s27, s6
	s_mul_i32 s20, s27, s6
	s_waitcnt vmcnt(0)
	v_cvt_f16_f32_e32 v2, v18
	v_cvt_f16_f32_e32 v3, v22
	v_cvt_f16_f32_e32 v4, v24
	v_cvt_f16_f32_e32 v5, v32
	v_cvt_f16_f32_e32 v6, v33
	v_cvt_f16_f32_e32 v7, v25
	v_cvt_f16_f32_e32 v8, v23
	v_cvt_f16_f32_e32 v9, v19
	s_lshl_b64 s[20:21], s[20:21], 1
	s_add_u32 s20, s14, s20
	s_addc_u32 s7, s15, s21
	s_and_b32 s21, s7, 0xffff
	s_mov_b32 s23, 0x20000
	v_pack_b32_f16 v5, v5, v6
	v_pack_b32_f16 v4, v4, v7
	;; [unrolled: 1-line block ×4, first 2 shown]
	v_lshlrev_b32_e32 v6, 5, v0
	buffer_store_dwordx4 v[2:5], v6, s[20:23], 0 offen
	v_cvt_f16_f32_e32 v7, v27
	v_cvt_f16_f32_e32 v2, v20
	;; [unrolled: 1-line block ×8, first 2 shown]
	v_pack_b32_f16 v5, v5, v7
	v_pack_b32_f16 v4, v4, v8
	;; [unrolled: 1-line block ×4, first 2 shown]
	;;#ASMSTART
	s_nop 0
	;;#ASMEND
	buffer_store_dwordx4 v[2:5], v6, s[20:23], 16 offen
	;;#ASMSTART
	s_nop 0
	;;#ASMEND
.LBB609_15:
	s_or_b64 exec, exec, s[10:11]
	s_cbranch_execnz .LBB609_11
.LBB609_16:
	s_and_saveexec_b64 s[10:11], s[2:3]
	s_cbranch_execz .LBB609_18
; %bb.17:
	s_load_dwordx2 s[2:3], s[4:5], 0x10
	s_waitcnt lgkmcnt(0)
	s_mul_hi_i32 s21, s26, s6
	s_mul_i32 s20, s26, s6
	s_waitcnt vmcnt(0)
	v_cvt_f16_f32_e32 v2, v18
	v_cvt_f16_f32_e32 v3, v22
	;; [unrolled: 1-line block ×8, first 2 shown]
	s_lshl_b64 s[20:21], s[20:21], 1
	s_add_u32 s20, s2, s20
	s_addc_u32 s2, s3, s21
	s_mov_b32 s23, 0x20000
	s_and_b32 s21, s2, 0xffff
	v_pack_b32_f16 v5, v5, v6
	v_pack_b32_f16 v4, v4, v7
	v_pack_b32_f16 v3, v3, v8
	v_pack_b32_f16 v2, v2, v9
	v_lshlrev_b32_e32 v6, 5, v0
	buffer_store_dwordx4 v[2:5], v6, s[20:23], 0 offen
	v_cvt_f16_f32_e32 v7, v27
	v_cvt_f16_f32_e32 v2, v20
	;; [unrolled: 1-line block ×8, first 2 shown]
	v_pack_b32_f16 v5, v5, v7
	v_pack_b32_f16 v4, v4, v8
	;; [unrolled: 1-line block ×4, first 2 shown]
	;;#ASMSTART
	s_nop 0
	;;#ASMEND
	buffer_store_dwordx4 v[2:5], v6, s[20:23], 16 offen
	;;#ASMSTART
	s_nop 0
	;;#ASMEND
.LBB609_18:
	s_or_b64 exec, exec, s[10:11]
	s_cmp_lt_i32 s16, 1
	s_cbranch_scc1 .LBB609_12
.LBB609_19:
	s_load_dword s2, s[4:5], 0x94
	s_waitcnt lgkmcnt(0)
	s_cmp_lg_u32 s2, 1
	s_cbranch_scc1 .LBB609_12
; %bb.20:
	s_lshl_b32 s2, s16, 1
	s_add_i32 s2, s2, 2
	v_cmp_gt_u32_e32 vcc, s16, v1
	s_and_b32 s10, s2, -4
	v_mov_b32_e32 v18, 0
	v_lshlrev_b32_e32 v1, 5, v0
	v_mov_b32_e32 v14, 0
	v_mov_b32_e32 v15, 0
	;; [unrolled: 1-line block ×8, first 2 shown]
	s_waitcnt vmcnt(1)
	v_mov_b32_e32 v6, 0
	v_mov_b32_e32 v7, 0
	;; [unrolled: 1-line block ×4, first 2 shown]
	s_waitcnt vmcnt(0)
	v_mov_b32_e32 v2, 0
	v_mov_b32_e32 v3, 0
	;; [unrolled: 1-line block ×4, first 2 shown]
	s_barrier
	s_and_saveexec_b64 s[2:3], vcc
	s_cbranch_execz .LBB609_22
; %bb.21:
	s_mul_hi_i32 s5, s18, s6
	s_mul_i32 s4, s18, s6
	s_and_b32 s9, s9, 0xffff
	s_lshl_b64 s[4:5], s[4:5], 1
	s_add_u32 s20, s24, s4
	s_mov_b32 s11, 0x20000
	s_addc_u32 s4, s25, s5
	s_and_b32 s21, s4, 0xffff
	s_mov_b32 s22, s10
	s_mov_b32 s23, s11
	buffer_load_dwordx4 v[14:17], v1, s[20:23], 0 offen
	buffer_load_dwordx4 v[10:13], v1, s[20:23], 16 offen
	;; [unrolled: 1-line block ×4, first 2 shown]
.LBB609_22:
	s_or_b64 exec, exec, s[2:3]
	v_mov_b32_e32 v19, 0
	v_mov_b32_e32 v32, 0
	;; [unrolled: 1-line block ×15, first 2 shown]
	s_and_saveexec_b64 s[2:3], vcc
	s_cbranch_execz .LBB609_24
; %bb.23:
	s_waitcnt vmcnt(3)
	v_cvt_f32_f16_sdwa v19, v14 dst_sel:DWORD dst_unused:UNUSED_PAD src0_sel:WORD_1
	v_cvt_f32_f16_e32 v18, v14
	v_cvt_f32_f16_sdwa v33, v15 dst_sel:DWORD dst_unused:UNUSED_PAD src0_sel:WORD_1
	v_cvt_f32_f16_e32 v32, v15
	;; [unrolled: 2-line block ×4, first 2 shown]
	s_waitcnt vmcnt(2)
	v_cvt_f32_f16_sdwa v27, v10 dst_sel:DWORD dst_unused:UNUSED_PAD src0_sel:WORD_1
	v_cvt_f32_f16_e32 v26, v10
	v_cvt_f32_f16_sdwa v25, v11 dst_sel:DWORD dst_unused:UNUSED_PAD src0_sel:WORD_1
	v_cvt_f32_f16_e32 v24, v11
	;; [unrolled: 2-line block ×4, first 2 shown]
.LBB609_24:
	s_or_b64 exec, exec, s[2:3]
	s_waitcnt vmcnt(2)
	v_mul_f32_e32 v10, v19, v19
	v_fmac_f32_e32 v10, v18, v18
	v_fmac_f32_e32 v10, v32, v32
	;; [unrolled: 1-line block ×15, first 2 shown]
	s_nop 1
	v_mov_b32_dpp v11, v10 quad_perm:[1,0,3,2] row_mask:0xf bank_mask:0xf
	v_add_f32_e32 v10, v10, v11
	s_nop 1
	v_mov_b32_dpp v11, v10 quad_perm:[2,3,0,1] row_mask:0xf bank_mask:0xf
	v_add_f32_e32 v10, v10, v11
	s_nop 1
	v_mov_b32_dpp v11, v10 row_half_mirror row_mask:0xf bank_mask:0xf
	v_add_f32_e32 v10, v10, v11
	s_nop 1
	v_mov_b32_dpp v11, v10 row_mirror row_mask:0xf bank_mask:0xf
	v_add_f32_e32 v10, v10, v11
	s_nop 1
	v_mov_b32_dpp v11, v10 row_bcast:15 row_mask:0xf bank_mask:0xf
	v_add_f32_e32 v10, v10, v11
	s_nop 1
	v_mov_b32_dpp v11, v10 row_bcast:31 row_mask:0xf bank_mask:0xf
	s_and_saveexec_b64 s[2:3], s[0:1]
	s_cbranch_execz .LBB609_26
; %bb.25:
	v_lshrrev_b32_e32 v0, 4, v0
	v_add_f32_e32 v10, v10, v11
	v_and_b32_e32 v0, 60, v0
	ds_write_b32 v0, v10
.LBB609_26:
	s_or_b64 exec, exec, s[2:3]
	s_waitcnt lgkmcnt(0)
	s_barrier
	ds_read_b32 v0, v34
	s_waitcnt lgkmcnt(0)
	s_nop 0
	v_mov_b32_dpp v10, v0 quad_perm:[1,0,3,2] row_mask:0xf bank_mask:0xf
	s_and_saveexec_b64 s[0:1], vcc
	s_cbranch_execz .LBB609_12
; %bb.27:
	v_cvt_f32_u32_e32 v11, s16
	v_add_f32_e32 v0, v0, v10
	s_mov_b32 s11, 0x20000
	v_div_scale_f32 v10, s[0:1], v11, v11, v0
	v_rcp_f32_e32 v12, v10
	v_div_scale_f32 v13, vcc, v0, v11, v0
	s_mov_b32 s0, 0x800000
	v_fma_f32 v14, -v10, v12, 1.0
	v_fmac_f32_e32 v12, v14, v12
	v_mul_f32_e32 v14, v13, v12
	v_fma_f32 v15, -v10, v14, v13
	v_fmac_f32_e32 v14, v15, v12
	v_fma_f32 v10, -v10, v14, v13
	v_div_fmas_f32 v10, v10, v12, v14
	v_div_fixup_f32 v0, v10, v11, v0
	v_add_f32_e32 v0, s13, v0
	v_mul_f32_e32 v10, 0x4b800000, v0
	v_cmp_gt_f32_e32 vcc, s0, v0
	v_cndmask_b32_e32 v0, v0, v10, vcc
	v_rsq_f32_e32 v0, v0
	s_mul_hi_i32 s1, s27, s6
	s_mul_i32 s0, s27, s6
	s_lshl_b64 s[0:1], s[0:1], 1
	v_mul_f32_e32 v10, 0x45800000, v0
	v_cndmask_b32_e32 v10, v0, v10, vcc
	v_mov_b32_e32 v11, v10
	;;#ASMSTART
	v_pk_mul_f32 v[12:13], v[18:19], v[10:11]
	;;#ASMEND
	;;#ASMSTART
	v_pk_mul_f32 v[14:15], v[32:33], v[10:11]
	;;#ASMEND
	;; [unrolled: 3-line block ×4, first 2 shown]
	s_waitcnt vmcnt(1)
	v_cvt_f32_f16_sdwa v29, v6 dst_sel:DWORD dst_unused:UNUSED_PAD src0_sel:WORD_1
	v_cvt_f32_f16_e32 v28, v6
	v_cvt_f32_f16_sdwa v31, v7 dst_sel:DWORD dst_unused:UNUSED_PAD src0_sel:WORD_1
	v_cvt_f32_f16_e32 v30, v7
	;;#ASMSTART
	v_pk_mul_f32 v[26:27], v[26:27], v[10:11]
	;;#ASMEND
	;;#ASMSTART
	v_pk_mul_f32 v[24:25], v[24:25], v[10:11]
	;;#ASMEND
	;; [unrolled: 3-line block ×4, first 2 shown]
	v_cvt_f32_f16_sdwa v21, v8 dst_sel:DWORD dst_unused:UNUSED_PAD src0_sel:WORD_1
	v_cvt_f32_f16_e32 v20, v8
	v_pk_add_f32 v[10:11], v[28:29], 1.0 op_sel_hi:[1,0]
	;;#ASMSTART
	v_pk_mul_f32 v[10:11], v[12:13], v[10:11]
	;;#ASMEND
	v_pk_add_f32 v[12:13], v[30:31], 1.0 op_sel_hi:[1,0]
	v_cvt_f32_f16_sdwa v29, v9 dst_sel:DWORD dst_unused:UNUSED_PAD src0_sel:WORD_1
	v_cvt_f32_f16_e32 v28, v9
	;;#ASMSTART
	v_pk_mul_f32 v[8:9], v[14:15], v[12:13]
	;;#ASMEND
	v_pk_add_f32 v[12:13], v[20:21], 1.0 op_sel_hi:[1,0]
	;;#ASMSTART
	v_pk_mul_f32 v[12:13], v[16:17], v[12:13]
	;;#ASMEND
	s_waitcnt vmcnt(0)
	v_cvt_f32_f16_sdwa v17, v2 dst_sel:DWORD dst_unused:UNUSED_PAD src0_sel:WORD_1
	v_cvt_f32_f16_e32 v16, v2
	v_cvt_f32_f16_sdwa v21, v3 dst_sel:DWORD dst_unused:UNUSED_PAD src0_sel:WORD_1
	v_cvt_f32_f16_e32 v20, v3
	v_pk_add_f32 v[14:15], v[28:29], 1.0 op_sel_hi:[1,0]
	;;#ASMSTART
	v_pk_mul_f32 v[2:3], v[18:19], v[14:15]
	;;#ASMEND
	v_cvt_f32_f16_sdwa v19, v4 dst_sel:DWORD dst_unused:UNUSED_PAD src0_sel:WORD_1
	v_cvt_f32_f16_e32 v18, v4
	v_pk_add_f32 v[14:15], v[16:17], 1.0 op_sel_hi:[1,0]
	v_pk_add_f32 v[16:17], v[20:21], 1.0 op_sel_hi:[1,0]
	v_cvt_f32_f16_sdwa v21, v5 dst_sel:DWORD dst_unused:UNUSED_PAD src0_sel:WORD_1
	v_cvt_f32_f16_e32 v20, v5
	v_pk_add_f32 v[4:5], v[18:19], 1.0 op_sel_hi:[1,0]
	;;#ASMSTART
	v_pk_mul_f32 v[14:15], v[26:27], v[14:15]
	;;#ASMEND
	;;#ASMSTART
	v_pk_mul_f32 v[16:17], v[24:25], v[16:17]
	;;#ASMEND
	;; [unrolled: 3-line block ×3, first 2 shown]
	v_pk_add_f32 v[4:5], v[20:21], 1.0 op_sel_hi:[1,0]
	;;#ASMSTART
	v_pk_mul_f32 v[6:7], v[6:7], v[4:5]
	;;#ASMEND
	v_cvt_f16_f32_e32 v0, v10
	v_cvt_f16_f32_e32 v4, v11
	;; [unrolled: 1-line block ×8, first 2 shown]
	s_add_u32 s8, s14, s0
	s_addc_u32 s0, s15, s1
	s_and_b32 s9, s0, 0xffff
	v_pack_b32_f16 v2, v0, v4
	v_pack_b32_f16 v3, v5, v8
	;; [unrolled: 1-line block ×4, first 2 shown]
	buffer_store_dwordx4 v[2:5], v1, s[8:11], 0 offen
	v_cvt_f16_f32_e32 v0, v14
	v_cvt_f16_f32_e32 v2, v15
	;; [unrolled: 1-line block ×8, first 2 shown]
	v_pack_b32_f16 v2, v0, v2
	v_pack_b32_f16 v3, v3, v4
	;; [unrolled: 1-line block ×4, first 2 shown]
	;;#ASMSTART
	s_nop 0
	;;#ASMEND
	buffer_store_dwordx4 v[2:5], v1, s[8:11], 16 offen
	;;#ASMSTART
	s_nop 0
	;;#ASMEND
	s_endpgm
	.section	.rodata,"a",@progbits
	.p2align	6, 0x0
	.amdhsa_kernel _ZN5aiter35fused_qk_rmsnorm_group_quant_kernelIDF16_DB8_Li128ELi16ELi8ELb0ELb1ELb1ELb1ELb0ELb0EEEvPT0_PvPT_S6_S6_PKS5_S8_S8_S8_S8_ffiiiiiiiiiiiii
		.amdhsa_group_segment_fixed_size 16
		.amdhsa_private_segment_fixed_size 0
		.amdhsa_kernarg_size 400
		.amdhsa_user_sgpr_count 6
		.amdhsa_user_sgpr_private_segment_buffer 1
		.amdhsa_user_sgpr_dispatch_ptr 0
		.amdhsa_user_sgpr_queue_ptr 0
		.amdhsa_user_sgpr_kernarg_segment_ptr 1
		.amdhsa_user_sgpr_dispatch_id 0
		.amdhsa_user_sgpr_flat_scratch_init 0
		.amdhsa_user_sgpr_kernarg_preload_length 0
		.amdhsa_user_sgpr_kernarg_preload_offset 0
		.amdhsa_user_sgpr_private_segment_size 0
		.amdhsa_uses_dynamic_stack 0
		.amdhsa_system_sgpr_private_segment_wavefront_offset 0
		.amdhsa_system_sgpr_workgroup_id_x 1
		.amdhsa_system_sgpr_workgroup_id_y 1
		.amdhsa_system_sgpr_workgroup_id_z 0
		.amdhsa_system_sgpr_workgroup_info 0
		.amdhsa_system_vgpr_workitem_id 0
		.amdhsa_next_free_vgpr 35
		.amdhsa_next_free_sgpr 32
		.amdhsa_accum_offset 36
		.amdhsa_reserve_vcc 1
		.amdhsa_reserve_flat_scratch 0
		.amdhsa_float_round_mode_32 0
		.amdhsa_float_round_mode_16_64 0
		.amdhsa_float_denorm_mode_32 3
		.amdhsa_float_denorm_mode_16_64 3
		.amdhsa_dx10_clamp 1
		.amdhsa_ieee_mode 1
		.amdhsa_fp16_overflow 0
		.amdhsa_tg_split 0
		.amdhsa_exception_fp_ieee_invalid_op 0
		.amdhsa_exception_fp_denorm_src 0
		.amdhsa_exception_fp_ieee_div_zero 0
		.amdhsa_exception_fp_ieee_overflow 0
		.amdhsa_exception_fp_ieee_underflow 0
		.amdhsa_exception_fp_ieee_inexact 0
		.amdhsa_exception_int_div_zero 0
	.end_amdhsa_kernel
	.section	.text._ZN5aiter35fused_qk_rmsnorm_group_quant_kernelIDF16_DB8_Li128ELi16ELi8ELb0ELb1ELb1ELb1ELb0ELb0EEEvPT0_PvPT_S6_S6_PKS5_S8_S8_S8_S8_ffiiiiiiiiiiiii,"axG",@progbits,_ZN5aiter35fused_qk_rmsnorm_group_quant_kernelIDF16_DB8_Li128ELi16ELi8ELb0ELb1ELb1ELb1ELb0ELb0EEEvPT0_PvPT_S6_S6_PKS5_S8_S8_S8_S8_ffiiiiiiiiiiiii,comdat
.Lfunc_end609:
	.size	_ZN5aiter35fused_qk_rmsnorm_group_quant_kernelIDF16_DB8_Li128ELi16ELi8ELb0ELb1ELb1ELb1ELb0ELb0EEEvPT0_PvPT_S6_S6_PKS5_S8_S8_S8_S8_ffiiiiiiiiiiiii, .Lfunc_end609-_ZN5aiter35fused_qk_rmsnorm_group_quant_kernelIDF16_DB8_Li128ELi16ELi8ELb0ELb1ELb1ELb1ELb0ELb0EEEvPT0_PvPT_S6_S6_PKS5_S8_S8_S8_S8_ffiiiiiiiiiiiii
                                        ; -- End function
	.section	.AMDGPU.csdata,"",@progbits
; Kernel info:
; codeLenInByte = 2936
; NumSgprs: 36
; NumVgprs: 35
; NumAgprs: 0
; TotalNumVgprs: 35
; ScratchSize: 0
; MemoryBound: 0
; FloatMode: 240
; IeeeMode: 1
; LDSByteSize: 16 bytes/workgroup (compile time only)
; SGPRBlocks: 4
; VGPRBlocks: 4
; NumSGPRsForWavesPerEU: 36
; NumVGPRsForWavesPerEU: 35
; AccumOffset: 36
; Occupancy: 8
; WaveLimiterHint : 0
; COMPUTE_PGM_RSRC2:SCRATCH_EN: 0
; COMPUTE_PGM_RSRC2:USER_SGPR: 6
; COMPUTE_PGM_RSRC2:TRAP_HANDLER: 0
; COMPUTE_PGM_RSRC2:TGID_X_EN: 1
; COMPUTE_PGM_RSRC2:TGID_Y_EN: 1
; COMPUTE_PGM_RSRC2:TGID_Z_EN: 0
; COMPUTE_PGM_RSRC2:TIDIG_COMP_CNT: 0
; COMPUTE_PGM_RSRC3_GFX90A:ACCUM_OFFSET: 8
; COMPUTE_PGM_RSRC3_GFX90A:TG_SPLIT: 0
	.section	.text._ZN5aiter35fused_qk_rmsnorm_group_quant_kernelItDB8_Li128ELi16ELi8ELb0ELb1ELb1ELb1ELb0ELb0EEEvPT0_PvPT_S6_S6_PKS5_S8_S8_S8_S8_ffiiiiiiiiiiiii,"axG",@progbits,_ZN5aiter35fused_qk_rmsnorm_group_quant_kernelItDB8_Li128ELi16ELi8ELb0ELb1ELb1ELb1ELb0ELb0EEEvPT0_PvPT_S6_S6_PKS5_S8_S8_S8_S8_ffiiiiiiiiiiiii,comdat
	.protected	_ZN5aiter35fused_qk_rmsnorm_group_quant_kernelItDB8_Li128ELi16ELi8ELb0ELb1ELb1ELb1ELb0ELb0EEEvPT0_PvPT_S6_S6_PKS5_S8_S8_S8_S8_ffiiiiiiiiiiiii ; -- Begin function _ZN5aiter35fused_qk_rmsnorm_group_quant_kernelItDB8_Li128ELi16ELi8ELb0ELb1ELb1ELb1ELb0ELb0EEEvPT0_PvPT_S6_S6_PKS5_S8_S8_S8_S8_ffiiiiiiiiiiiii
	.globl	_ZN5aiter35fused_qk_rmsnorm_group_quant_kernelItDB8_Li128ELi16ELi8ELb0ELb1ELb1ELb1ELb0ELb0EEEvPT0_PvPT_S6_S6_PKS5_S8_S8_S8_S8_ffiiiiiiiiiiiii
	.p2align	8
	.type	_ZN5aiter35fused_qk_rmsnorm_group_quant_kernelItDB8_Li128ELi16ELi8ELb0ELb1ELb1ELb1ELb0ELb0EEEvPT0_PvPT_S6_S6_PKS5_S8_S8_S8_S8_ffiiiiiiiiiiiii,@function
_ZN5aiter35fused_qk_rmsnorm_group_quant_kernelItDB8_Li128ELi16ELi8ELb0ELb1ELb1ELb1ELb0ELb0EEEvPT0_PvPT_S6_S6_PKS5_S8_S8_S8_S8_ffiiiiiiiiiiiii: ; @_ZN5aiter35fused_qk_rmsnorm_group_quant_kernelItDB8_Li128ELi16ELi8ELb0ELb1ELb1ELb1ELb0ELb0EEEvPT0_PvPT_S6_S6_PKS5_S8_S8_S8_S8_ffiiiiiiiiiiiii
; %bb.0:
	s_load_dwordx4 s[12:15], s[4:5], 0x50
	s_waitcnt lgkmcnt(0)
	s_cmp_ge_i32 s6, s14
	s_cbranch_scc1 .LBB610_12
; %bb.1:
	s_load_dwordx2 s[24:25], s[4:5], 0x30
	s_load_dwordx2 s[8:9], s[4:5], 0x48
	s_load_dwordx4 s[16:19], s[4:5], 0x60
	s_cmp_lg_u32 s7, 0
	s_cselect_b64 s[10:11], -1, 0
	s_cmp_eq_u32 s7, 0
	s_cselect_b64 vcc, -1, 0
	s_and_b64 s[0:1], vcc, exec
	s_waitcnt lgkmcnt(0)
	s_cselect_b32 s7, s15, s16
	s_add_i32 s0, s7, 1
	s_lshr_b32 s1, s0, 31
	s_add_i32 s0, s0, s1
	s_lshl_b32 s0, s0, 1
	v_lshlrev_b32_e32 v1, 4, v0
	s_and_b32 s22, s0, -4
	v_cmp_gt_i32_e64 s[2:3], s7, v1
	v_mov_b32_e32 v18, 0
	v_mov_b32_e32 v6, 0
	;; [unrolled: 1-line block ×17, first 2 shown]
	s_and_saveexec_b64 s[0:1], s[2:3]
	s_cbranch_execz .LBB610_3
; %bb.2:
	s_load_dwordx2 s[14:15], s[4:5], 0x28
	s_load_dwordx2 s[20:21], s[4:5], 0x40
	s_and_b64 s[26:27], vcc, exec
	s_cselect_b32 s17, s17, s18
	s_mov_b32 s30, s22
	s_waitcnt lgkmcnt(0)
	s_cselect_b32 s19, s15, s25
	s_cselect_b32 s23, s14, s24
	s_mul_hi_i32 s15, s17, s6
	s_mul_i32 s14, s17, s6
	s_lshl_b64 s[14:15], s[14:15], 1
	s_add_u32 s28, s23, s14
	s_addc_u32 s17, s19, s15
	s_and_b64 s[14:15], vcc, exec
	s_mov_b32 s23, 0x20000
	s_cselect_b32 s20, s20, s8
	s_cselect_b32 s14, s21, s9
	s_and_b32 s29, s17, 0xffff
	s_mov_b32 s31, s23
	v_lshlrev_b32_e32 v19, 5, v0
	s_and_b32 s21, s14, 0xffff
	buffer_load_dwordx4 v[14:17], v19, s[28:31], 0 offen
	buffer_load_dwordx4 v[10:13], v19, s[28:31], 16 offen
	;; [unrolled: 1-line block ×4, first 2 shown]
.LBB610_3:
	s_or_b64 exec, exec, s[0:1]
	v_mov_b32_e32 v19, 0
	v_mov_b32_e32 v20, 0
	;; [unrolled: 1-line block ×15, first 2 shown]
	s_and_saveexec_b64 s[0:1], s[2:3]
	s_cbranch_execz .LBB610_5
; %bb.4:
	s_waitcnt vmcnt(3)
	v_cvt_f32_u32_sdwa v18, v14 dst_sel:DWORD dst_unused:UNUSED_PAD src0_sel:WORD_0
	v_cvt_f32_u32_sdwa v19, v14 dst_sel:DWORD dst_unused:UNUSED_PAD src0_sel:WORD_1
	v_cvt_f32_u32_sdwa v20, v15 dst_sel:DWORD dst_unused:UNUSED_PAD src0_sel:WORD_0
	v_cvt_f32_u32_sdwa v21, v15 dst_sel:DWORD dst_unused:UNUSED_PAD src0_sel:WORD_1
	;; [unrolled: 2-line block ×4, first 2 shown]
	s_waitcnt vmcnt(2)
	v_cvt_f32_u32_sdwa v24, v10 dst_sel:DWORD dst_unused:UNUSED_PAD src0_sel:WORD_0
	v_cvt_f32_u32_sdwa v25, v10 dst_sel:DWORD dst_unused:UNUSED_PAD src0_sel:WORD_1
	v_cvt_f32_u32_sdwa v30, v11 dst_sel:DWORD dst_unused:UNUSED_PAD src0_sel:WORD_0
	v_cvt_f32_u32_sdwa v31, v11 dst_sel:DWORD dst_unused:UNUSED_PAD src0_sel:WORD_1
	;; [unrolled: 2-line block ×4, first 2 shown]
.LBB610_5:
	s_or_b64 exec, exec, s[0:1]
	s_waitcnt vmcnt(2)
	v_mul_f32_e32 v10, v19, v19
	v_fmac_f32_e32 v10, v18, v18
	v_fmac_f32_e32 v10, v20, v20
	;; [unrolled: 1-line block ×15, first 2 shown]
	v_and_b32_e32 v12, 63, v0
	v_cmp_eq_u32_e64 s[0:1], 63, v12
	v_mov_b32_dpp v11, v10 quad_perm:[1,0,3,2] row_mask:0xf bank_mask:0xf
	v_add_f32_e32 v10, v10, v11
	s_nop 1
	v_mov_b32_dpp v11, v10 quad_perm:[2,3,0,1] row_mask:0xf bank_mask:0xf
	v_add_f32_e32 v10, v10, v11
	s_nop 1
	v_mov_b32_dpp v11, v10 row_half_mirror row_mask:0xf bank_mask:0xf
	v_add_f32_e32 v10, v10, v11
	s_nop 1
	v_mov_b32_dpp v11, v10 row_mirror row_mask:0xf bank_mask:0xf
	v_add_f32_e32 v10, v10, v11
	s_nop 1
	v_mov_b32_dpp v11, v10 row_bcast:15 row_mask:0xf bank_mask:0xf
	v_add_f32_e32 v10, v10, v11
	s_nop 1
	v_mov_b32_dpp v11, v10 row_bcast:31 row_mask:0xf bank_mask:0xf
	s_and_saveexec_b64 s[14:15], s[0:1]
	s_cbranch_execz .LBB610_7
; %bb.6:
	v_add_f32_e32 v10, v10, v11
	v_lshrrev_b32_e32 v11, 4, v0
	v_and_b32_e32 v11, 60, v11
	ds_write_b32 v11, v10 offset:8
.LBB610_7:
	s_or_b64 exec, exec, s[14:15]
	v_and_b32_e32 v10, 1, v0
	v_lshlrev_b32_e32 v34, 2, v10
	s_waitcnt lgkmcnt(0)
	s_barrier
	ds_read_b32 v10, v34 offset:8
	s_load_dwordx2 s[14:15], s[4:5], 0x18
	s_waitcnt lgkmcnt(0)
	v_mov_b32_dpp v11, v10 quad_perm:[1,0,3,2] row_mask:0xf bank_mask:0xf
	s_and_saveexec_b64 s[20:21], s[2:3]
	s_cbranch_execz .LBB610_9
; %bb.8:
	v_cvt_f32_u32_e32 v12, s7
	v_add_f32_e32 v10, v10, v11
	v_mov_b32_e32 v14, s13
	v_mov_b32_e32 v15, s12
	v_div_scale_f32 v11, s[26:27], v12, v12, v10
	v_rcp_f32_e32 v13, v11
	v_cndmask_b32_e32 v14, v14, v15, vcc
	s_mov_b32 s7, 0x800000
	v_fma_f32 v15, -v11, v13, 1.0
	v_fmac_f32_e32 v13, v15, v13
	v_div_scale_f32 v15, vcc, v10, v12, v10
	v_mul_f32_e32 v16, v15, v13
	v_fma_f32 v17, -v11, v16, v15
	v_fmac_f32_e32 v16, v17, v13
	v_fma_f32 v11, -v11, v16, v15
	v_div_fmas_f32 v11, v11, v13, v16
	v_div_fixup_f32 v10, v11, v12, v10
	v_add_f32_e32 v10, v14, v10
	v_mul_f32_e32 v11, 0x4b800000, v10
	v_cmp_gt_f32_e32 vcc, s7, v10
	v_cndmask_b32_e32 v10, v10, v11, vcc
	v_rsq_f32_e32 v10, v10
	v_mul_f32_e32 v11, 0x45800000, v10
	v_cndmask_b32_e32 v10, v10, v11, vcc
	v_mov_b32_e32 v11, v10
	;;#ASMSTART
	v_pk_mul_f32 v[12:13], v[18:19], v[10:11]
	;;#ASMEND
	s_waitcnt vmcnt(1)
	v_cvt_f32_u32_sdwa v19, v6 dst_sel:DWORD dst_unused:UNUSED_PAD src0_sel:WORD_1
	v_cvt_f32_u32_sdwa v18, v6 dst_sel:DWORD dst_unused:UNUSED_PAD src0_sel:WORD_0
	;;#ASMSTART
	v_pk_mul_f32 v[14:15], v[20:21], v[10:11]
	;;#ASMEND
	v_cvt_f32_u32_sdwa v21, v7 dst_sel:DWORD dst_unused:UNUSED_PAD src0_sel:WORD_1
	v_cvt_f32_u32_sdwa v20, v7 dst_sel:DWORD dst_unused:UNUSED_PAD src0_sel:WORD_0
	;;#ASMSTART
	v_pk_mul_f32 v[16:17], v[22:23], v[10:11]
	;;#ASMEND
	;;#ASMSTART
	v_pk_mul_f32 v[26:27], v[26:27], v[10:11]
	;;#ASMEND
	;; [unrolled: 3-line block ×6, first 2 shown]
	v_pk_add_f32 v[10:11], v[18:19], 1.0 op_sel_hi:[1,0]
	;;#ASMSTART
	v_pk_mul_f32 v[18:19], v[12:13], v[10:11]
	;;#ASMEND
	v_cvt_f32_u32_sdwa v13, v8 dst_sel:DWORD dst_unused:UNUSED_PAD src0_sel:WORD_1
	v_cvt_f32_u32_sdwa v12, v8 dst_sel:DWORD dst_unused:UNUSED_PAD src0_sel:WORD_0
	v_cvt_f32_u32_sdwa v29, v9 dst_sel:DWORD dst_unused:UNUSED_PAD src0_sel:WORD_1
	v_cvt_f32_u32_sdwa v28, v9 dst_sel:DWORD dst_unused:UNUSED_PAD src0_sel:WORD_0
	v_pk_add_f32 v[10:11], v[20:21], 1.0 op_sel_hi:[1,0]
	;;#ASMSTART
	v_pk_mul_f32 v[20:21], v[14:15], v[10:11]
	;;#ASMEND
	s_waitcnt vmcnt(0)
	v_cvt_f32_u32_sdwa v11, v2 dst_sel:DWORD dst_unused:UNUSED_PAD src0_sel:WORD_1
	v_cvt_f32_u32_sdwa v10, v2 dst_sel:DWORD dst_unused:UNUSED_PAD src0_sel:WORD_0
	v_pk_add_f32 v[8:9], v[12:13], 1.0 op_sel_hi:[1,0]
	;;#ASMSTART
	v_pk_mul_f32 v[22:23], v[16:17], v[8:9]
	;;#ASMEND
	v_pk_add_f32 v[8:9], v[28:29], 1.0 op_sel_hi:[1,0]
	v_cvt_f32_u32_sdwa v13, v3 dst_sel:DWORD dst_unused:UNUSED_PAD src0_sel:WORD_1
	v_cvt_f32_u32_sdwa v12, v3 dst_sel:DWORD dst_unused:UNUSED_PAD src0_sel:WORD_0
	;;#ASMSTART
	v_pk_mul_f32 v[26:27], v[26:27], v[8:9]
	;;#ASMEND
	v_cvt_f32_u32_sdwa v9, v4 dst_sel:DWORD dst_unused:UNUSED_PAD src0_sel:WORD_1
	v_cvt_f32_u32_sdwa v8, v4 dst_sel:DWORD dst_unused:UNUSED_PAD src0_sel:WORD_0
	v_pk_add_f32 v[2:3], v[10:11], 1.0 op_sel_hi:[1,0]
	v_cvt_f32_u32_sdwa v11, v5 dst_sel:DWORD dst_unused:UNUSED_PAD src0_sel:WORD_1
	v_cvt_f32_u32_sdwa v10, v5 dst_sel:DWORD dst_unused:UNUSED_PAD src0_sel:WORD_0
	;;#ASMSTART
	v_pk_mul_f32 v[24:25], v[24:25], v[2:3]
	;;#ASMEND
	v_pk_add_f32 v[2:3], v[12:13], 1.0 op_sel_hi:[1,0]
	;;#ASMSTART
	v_pk_mul_f32 v[30:31], v[30:31], v[2:3]
	;;#ASMEND
	v_pk_add_f32 v[2:3], v[8:9], 1.0 op_sel_hi:[1,0]
	;; [unrolled: 4-line block ×3, first 2 shown]
	;;#ASMSTART
	v_pk_mul_f32 v[28:29], v[6:7], v[2:3]
	;;#ASMEND
.LBB610_9:
	s_or_b64 exec, exec, s[20:21]
	s_load_dwordx2 s[26:27], s[4:5], 0x7c
	s_mov_b64 s[20:21], -1
	s_and_b64 vcc, exec, s[10:11]
	s_cbranch_vccnz .LBB610_13
; %bb.10:
	s_andn2_b64 vcc, exec, s[20:21]
	s_cbranch_vccz .LBB610_16
.LBB610_11:
	s_cmp_lt_i32 s16, 1
	s_cbranch_scc0 .LBB610_19
.LBB610_12:
	s_endpgm
.LBB610_13:
	s_and_saveexec_b64 s[10:11], s[2:3]
	s_cbranch_execz .LBB610_15
; %bb.14:
	s_waitcnt lgkmcnt(0)
	s_mul_hi_i32 s21, s27, s6
	s_mul_i32 s20, s27, s6
	s_lshl_b64 s[20:21], s[20:21], 1
	s_add_u32 s20, s14, s20
	s_addc_u32 s7, s15, s21
	s_and_b32 s21, s7, 0xffff
	s_mov_b32 s7, 0x7060302
	s_mov_b32 s23, 0x20000
	s_waitcnt vmcnt(0)
	v_perm_b32 v5, v27, v26, s7
	v_perm_b32 v4, v23, v22, s7
	;; [unrolled: 1-line block ×4, first 2 shown]
	v_lshlrev_b32_e32 v6, 5, v0
	buffer_store_dwordx4 v[2:5], v6, s[20:23], 0 offen
	;;#ASMSTART
	s_nop 0
	;;#ASMEND
	s_nop 0
	v_perm_b32 v5, v29, v28, s7
	v_perm_b32 v4, v33, v32, s7
	;; [unrolled: 1-line block ×4, first 2 shown]
	buffer_store_dwordx4 v[2:5], v6, s[20:23], 16 offen
	;;#ASMSTART
	s_nop 0
	;;#ASMEND
.LBB610_15:
	s_or_b64 exec, exec, s[10:11]
	s_cbranch_execnz .LBB610_11
.LBB610_16:
	s_and_saveexec_b64 s[10:11], s[2:3]
	s_cbranch_execz .LBB610_18
; %bb.17:
	s_load_dwordx2 s[2:3], s[4:5], 0x10
	s_waitcnt lgkmcnt(0)
	s_mul_hi_i32 s21, s26, s6
	s_mul_i32 s20, s26, s6
	s_lshl_b64 s[20:21], s[20:21], 1
	s_mov_b32 s23, 0x20000
	s_add_u32 s20, s2, s20
	s_addc_u32 s2, s3, s21
	s_and_b32 s21, s2, 0xffff
	s_mov_b32 s2, 0x7060302
	s_waitcnt vmcnt(0)
	v_perm_b32 v5, v27, v26, s2
	v_perm_b32 v4, v23, v22, s2
	;; [unrolled: 1-line block ×4, first 2 shown]
	v_lshlrev_b32_e32 v6, 5, v0
	buffer_store_dwordx4 v[2:5], v6, s[20:23], 0 offen
	;;#ASMSTART
	s_nop 0
	;;#ASMEND
	s_nop 0
	v_perm_b32 v5, v29, v28, s2
	v_perm_b32 v4, v33, v32, s2
	v_perm_b32 v3, v31, v30, s2
	v_perm_b32 v2, v25, v24, s2
	buffer_store_dwordx4 v[2:5], v6, s[20:23], 16 offen
	;;#ASMSTART
	s_nop 0
	;;#ASMEND
.LBB610_18:
	s_or_b64 exec, exec, s[10:11]
	s_cmp_lt_i32 s16, 1
	s_cbranch_scc1 .LBB610_12
.LBB610_19:
	s_load_dword s2, s[4:5], 0x94
	s_waitcnt lgkmcnt(0)
	s_cmp_lg_u32 s2, 1
	s_cbranch_scc1 .LBB610_12
; %bb.20:
	s_lshl_b32 s2, s16, 1
	s_add_i32 s2, s2, 2
	v_cmp_gt_u32_e32 vcc, s16, v1
	s_and_b32 s10, s2, -4
	v_mov_b32_e32 v18, 0
	v_lshlrev_b32_e32 v1, 5, v0
	v_mov_b32_e32 v14, 0
	v_mov_b32_e32 v15, 0
	;; [unrolled: 1-line block ×8, first 2 shown]
	s_waitcnt vmcnt(1)
	v_mov_b32_e32 v6, 0
	v_mov_b32_e32 v7, 0
	;; [unrolled: 1-line block ×4, first 2 shown]
	s_waitcnt vmcnt(0)
	v_mov_b32_e32 v2, 0
	v_mov_b32_e32 v3, 0
	v_mov_b32_e32 v4, 0
	v_mov_b32_e32 v5, 0
	s_barrier
	s_and_saveexec_b64 s[2:3], vcc
	s_cbranch_execz .LBB610_22
; %bb.21:
	s_mul_hi_i32 s5, s18, s6
	s_mul_i32 s4, s18, s6
	s_and_b32 s9, s9, 0xffff
	s_lshl_b64 s[4:5], s[4:5], 1
	s_add_u32 s20, s24, s4
	s_mov_b32 s11, 0x20000
	s_addc_u32 s4, s25, s5
	s_and_b32 s21, s4, 0xffff
	s_mov_b32 s22, s10
	s_mov_b32 s23, s11
	buffer_load_dwordx4 v[14:17], v1, s[20:23], 0 offen
	buffer_load_dwordx4 v[10:13], v1, s[20:23], 16 offen
	;; [unrolled: 1-line block ×4, first 2 shown]
.LBB610_22:
	s_or_b64 exec, exec, s[2:3]
	v_mov_b32_e32 v19, 0
	v_mov_b32_e32 v32, 0
	;; [unrolled: 1-line block ×15, first 2 shown]
	s_and_saveexec_b64 s[2:3], vcc
	s_cbranch_execz .LBB610_24
; %bb.23:
	s_waitcnt vmcnt(3)
	v_cvt_f32_u32_sdwa v18, v14 dst_sel:DWORD dst_unused:UNUSED_PAD src0_sel:WORD_0
	v_cvt_f32_u32_sdwa v19, v14 dst_sel:DWORD dst_unused:UNUSED_PAD src0_sel:WORD_1
	v_cvt_f32_u32_sdwa v32, v15 dst_sel:DWORD dst_unused:UNUSED_PAD src0_sel:WORD_0
	v_cvt_f32_u32_sdwa v33, v15 dst_sel:DWORD dst_unused:UNUSED_PAD src0_sel:WORD_1
	;; [unrolled: 2-line block ×4, first 2 shown]
	s_waitcnt vmcnt(2)
	v_cvt_f32_u32_sdwa v26, v10 dst_sel:DWORD dst_unused:UNUSED_PAD src0_sel:WORD_0
	v_cvt_f32_u32_sdwa v27, v10 dst_sel:DWORD dst_unused:UNUSED_PAD src0_sel:WORD_1
	v_cvt_f32_u32_sdwa v24, v11 dst_sel:DWORD dst_unused:UNUSED_PAD src0_sel:WORD_0
	v_cvt_f32_u32_sdwa v25, v11 dst_sel:DWORD dst_unused:UNUSED_PAD src0_sel:WORD_1
	;; [unrolled: 2-line block ×4, first 2 shown]
.LBB610_24:
	s_or_b64 exec, exec, s[2:3]
	s_waitcnt vmcnt(2)
	v_mul_f32_e32 v10, v19, v19
	v_fmac_f32_e32 v10, v18, v18
	v_fmac_f32_e32 v10, v32, v32
	;; [unrolled: 1-line block ×15, first 2 shown]
	s_nop 1
	v_mov_b32_dpp v11, v10 quad_perm:[1,0,3,2] row_mask:0xf bank_mask:0xf
	v_add_f32_e32 v10, v10, v11
	s_nop 1
	v_mov_b32_dpp v11, v10 quad_perm:[2,3,0,1] row_mask:0xf bank_mask:0xf
	v_add_f32_e32 v10, v10, v11
	s_nop 1
	v_mov_b32_dpp v11, v10 row_half_mirror row_mask:0xf bank_mask:0xf
	v_add_f32_e32 v10, v10, v11
	s_nop 1
	v_mov_b32_dpp v11, v10 row_mirror row_mask:0xf bank_mask:0xf
	v_add_f32_e32 v10, v10, v11
	s_nop 1
	v_mov_b32_dpp v11, v10 row_bcast:15 row_mask:0xf bank_mask:0xf
	v_add_f32_e32 v10, v10, v11
	s_nop 1
	v_mov_b32_dpp v11, v10 row_bcast:31 row_mask:0xf bank_mask:0xf
	s_and_saveexec_b64 s[2:3], s[0:1]
	s_cbranch_execz .LBB610_26
; %bb.25:
	v_lshrrev_b32_e32 v0, 4, v0
	v_add_f32_e32 v10, v10, v11
	v_and_b32_e32 v0, 60, v0
	ds_write_b32 v0, v10
.LBB610_26:
	s_or_b64 exec, exec, s[2:3]
	s_waitcnt lgkmcnt(0)
	s_barrier
	ds_read_b32 v0, v34
	s_waitcnt lgkmcnt(0)
	s_nop 0
	v_mov_b32_dpp v10, v0 quad_perm:[1,0,3,2] row_mask:0xf bank_mask:0xf
	s_and_saveexec_b64 s[0:1], vcc
	s_cbranch_execz .LBB610_12
; %bb.27:
	v_cvt_f32_u32_e32 v11, s16
	v_add_f32_e32 v0, v0, v10
	s_mov_b32 s11, 0x20000
	v_div_scale_f32 v10, s[0:1], v11, v11, v0
	v_rcp_f32_e32 v12, v10
	v_div_scale_f32 v13, vcc, v0, v11, v0
	s_mov_b32 s0, 0x800000
	v_fma_f32 v14, -v10, v12, 1.0
	v_fmac_f32_e32 v12, v14, v12
	v_mul_f32_e32 v14, v13, v12
	v_fma_f32 v15, -v10, v14, v13
	v_fmac_f32_e32 v14, v15, v12
	v_fma_f32 v10, -v10, v14, v13
	v_div_fmas_f32 v10, v10, v12, v14
	v_div_fixup_f32 v0, v10, v11, v0
	v_add_f32_e32 v0, s13, v0
	v_mul_f32_e32 v10, 0x4b800000, v0
	v_cmp_gt_f32_e32 vcc, s0, v0
	v_cndmask_b32_e32 v0, v0, v10, vcc
	v_rsq_f32_e32 v0, v0
	s_mul_hi_i32 s1, s27, s6
	s_mul_i32 s0, s27, s6
	s_lshl_b64 s[0:1], s[0:1], 1
	v_mul_f32_e32 v10, 0x45800000, v0
	v_cndmask_b32_e32 v10, v0, v10, vcc
	v_mov_b32_e32 v11, v10
	;;#ASMSTART
	v_pk_mul_f32 v[12:13], v[18:19], v[10:11]
	;;#ASMEND
	;;#ASMSTART
	v_pk_mul_f32 v[14:15], v[32:33], v[10:11]
	;;#ASMEND
	;; [unrolled: 3-line block ×4, first 2 shown]
	s_waitcnt vmcnt(1)
	v_cvt_f32_u32_sdwa v29, v6 dst_sel:DWORD dst_unused:UNUSED_PAD src0_sel:WORD_1
	v_cvt_f32_u32_sdwa v28, v6 dst_sel:DWORD dst_unused:UNUSED_PAD src0_sel:WORD_0
	v_cvt_f32_u32_sdwa v31, v7 dst_sel:DWORD dst_unused:UNUSED_PAD src0_sel:WORD_1
	v_cvt_f32_u32_sdwa v30, v7 dst_sel:DWORD dst_unused:UNUSED_PAD src0_sel:WORD_0
	;;#ASMSTART
	v_pk_mul_f32 v[26:27], v[26:27], v[10:11]
	;;#ASMEND
	;;#ASMSTART
	v_pk_mul_f32 v[24:25], v[24:25], v[10:11]
	;;#ASMEND
	;; [unrolled: 3-line block ×4, first 2 shown]
	v_cvt_f32_u32_sdwa v21, v8 dst_sel:DWORD dst_unused:UNUSED_PAD src0_sel:WORD_1
	v_cvt_f32_u32_sdwa v20, v8 dst_sel:DWORD dst_unused:UNUSED_PAD src0_sel:WORD_0
	v_pk_add_f32 v[10:11], v[28:29], 1.0 op_sel_hi:[1,0]
	;;#ASMSTART
	v_pk_mul_f32 v[10:11], v[12:13], v[10:11]
	;;#ASMEND
	v_pk_add_f32 v[12:13], v[30:31], 1.0 op_sel_hi:[1,0]
	v_cvt_f32_u32_sdwa v29, v9 dst_sel:DWORD dst_unused:UNUSED_PAD src0_sel:WORD_1
	v_cvt_f32_u32_sdwa v28, v9 dst_sel:DWORD dst_unused:UNUSED_PAD src0_sel:WORD_0
	;;#ASMSTART
	v_pk_mul_f32 v[8:9], v[14:15], v[12:13]
	;;#ASMEND
	v_pk_add_f32 v[12:13], v[20:21], 1.0 op_sel_hi:[1,0]
	;;#ASMSTART
	v_pk_mul_f32 v[12:13], v[16:17], v[12:13]
	;;#ASMEND
	s_waitcnt vmcnt(0)
	v_cvt_f32_u32_sdwa v17, v2 dst_sel:DWORD dst_unused:UNUSED_PAD src0_sel:WORD_1
	v_cvt_f32_u32_sdwa v16, v2 dst_sel:DWORD dst_unused:UNUSED_PAD src0_sel:WORD_0
	v_cvt_f32_u32_sdwa v21, v3 dst_sel:DWORD dst_unused:UNUSED_PAD src0_sel:WORD_1
	v_cvt_f32_u32_sdwa v20, v3 dst_sel:DWORD dst_unused:UNUSED_PAD src0_sel:WORD_0
	v_pk_add_f32 v[14:15], v[28:29], 1.0 op_sel_hi:[1,0]
	;;#ASMSTART
	v_pk_mul_f32 v[14:15], v[18:19], v[14:15]
	;;#ASMEND
	v_pk_add_f32 v[2:3], v[16:17], 1.0 op_sel_hi:[1,0]
	v_cvt_f32_u32_sdwa v19, v4 dst_sel:DWORD dst_unused:UNUSED_PAD src0_sel:WORD_1
	v_cvt_f32_u32_sdwa v18, v4 dst_sel:DWORD dst_unused:UNUSED_PAD src0_sel:WORD_0
	;;#ASMSTART
	v_pk_mul_f32 v[16:17], v[26:27], v[2:3]
	;;#ASMEND
	v_pk_add_f32 v[2:3], v[20:21], 1.0 op_sel_hi:[1,0]
	v_cvt_f32_u32_sdwa v21, v5 dst_sel:DWORD dst_unused:UNUSED_PAD src0_sel:WORD_1
	v_cvt_f32_u32_sdwa v20, v5 dst_sel:DWORD dst_unused:UNUSED_PAD src0_sel:WORD_0
	s_add_u32 s8, s14, s0
	;;#ASMSTART
	v_pk_mul_f32 v[24:25], v[24:25], v[2:3]
	;;#ASMEND
	v_pk_add_f32 v[2:3], v[18:19], 1.0 op_sel_hi:[1,0]
	s_addc_u32 s0, s15, s1
	;;#ASMSTART
	v_pk_mul_f32 v[18:19], v[22:23], v[2:3]
	;;#ASMEND
	v_pk_add_f32 v[2:3], v[20:21], 1.0 op_sel_hi:[1,0]
	s_and_b32 s9, s0, 0xffff
	s_mov_b32 s0, 0x7060302
	;;#ASMSTART
	v_pk_mul_f32 v[6:7], v[6:7], v[2:3]
	;;#ASMEND
	v_perm_b32 v2, v11, v10, s0
	v_perm_b32 v3, v9, v8, s0
	;; [unrolled: 1-line block ×4, first 2 shown]
	buffer_store_dwordx4 v[2:5], v1, s[8:11], 0 offen
	;;#ASMSTART
	s_nop 0
	;;#ASMEND
	s_nop 0
	v_perm_b32 v2, v17, v16, s0
	v_perm_b32 v3, v25, v24, s0
	;; [unrolled: 1-line block ×4, first 2 shown]
	buffer_store_dwordx4 v[2:5], v1, s[8:11], 16 offen
	;;#ASMSTART
	s_nop 0
	;;#ASMEND
	s_endpgm
	.section	.rodata,"a",@progbits
	.p2align	6, 0x0
	.amdhsa_kernel _ZN5aiter35fused_qk_rmsnorm_group_quant_kernelItDB8_Li128ELi16ELi8ELb0ELb1ELb1ELb1ELb0ELb0EEEvPT0_PvPT_S6_S6_PKS5_S8_S8_S8_S8_ffiiiiiiiiiiiii
		.amdhsa_group_segment_fixed_size 16
		.amdhsa_private_segment_fixed_size 0
		.amdhsa_kernarg_size 400
		.amdhsa_user_sgpr_count 6
		.amdhsa_user_sgpr_private_segment_buffer 1
		.amdhsa_user_sgpr_dispatch_ptr 0
		.amdhsa_user_sgpr_queue_ptr 0
		.amdhsa_user_sgpr_kernarg_segment_ptr 1
		.amdhsa_user_sgpr_dispatch_id 0
		.amdhsa_user_sgpr_flat_scratch_init 0
		.amdhsa_user_sgpr_kernarg_preload_length 0
		.amdhsa_user_sgpr_kernarg_preload_offset 0
		.amdhsa_user_sgpr_private_segment_size 0
		.amdhsa_uses_dynamic_stack 0
		.amdhsa_system_sgpr_private_segment_wavefront_offset 0
		.amdhsa_system_sgpr_workgroup_id_x 1
		.amdhsa_system_sgpr_workgroup_id_y 1
		.amdhsa_system_sgpr_workgroup_id_z 0
		.amdhsa_system_sgpr_workgroup_info 0
		.amdhsa_system_vgpr_workitem_id 0
		.amdhsa_next_free_vgpr 35
		.amdhsa_next_free_sgpr 32
		.amdhsa_accum_offset 36
		.amdhsa_reserve_vcc 1
		.amdhsa_reserve_flat_scratch 0
		.amdhsa_float_round_mode_32 0
		.amdhsa_float_round_mode_16_64 0
		.amdhsa_float_denorm_mode_32 3
		.amdhsa_float_denorm_mode_16_64 3
		.amdhsa_dx10_clamp 1
		.amdhsa_ieee_mode 1
		.amdhsa_fp16_overflow 0
		.amdhsa_tg_split 0
		.amdhsa_exception_fp_ieee_invalid_op 0
		.amdhsa_exception_fp_denorm_src 0
		.amdhsa_exception_fp_ieee_div_zero 0
		.amdhsa_exception_fp_ieee_overflow 0
		.amdhsa_exception_fp_ieee_underflow 0
		.amdhsa_exception_fp_ieee_inexact 0
		.amdhsa_exception_int_div_zero 0
	.end_amdhsa_kernel
	.section	.text._ZN5aiter35fused_qk_rmsnorm_group_quant_kernelItDB8_Li128ELi16ELi8ELb0ELb1ELb1ELb1ELb0ELb0EEEvPT0_PvPT_S6_S6_PKS5_S8_S8_S8_S8_ffiiiiiiiiiiiii,"axG",@progbits,_ZN5aiter35fused_qk_rmsnorm_group_quant_kernelItDB8_Li128ELi16ELi8ELb0ELb1ELb1ELb1ELb0ELb0EEEvPT0_PvPT_S6_S6_PKS5_S8_S8_S8_S8_ffiiiiiiiiiiiii,comdat
.Lfunc_end610:
	.size	_ZN5aiter35fused_qk_rmsnorm_group_quant_kernelItDB8_Li128ELi16ELi8ELb0ELb1ELb1ELb1ELb0ELb0EEEvPT0_PvPT_S6_S6_PKS5_S8_S8_S8_S8_ffiiiiiiiiiiiii, .Lfunc_end610-_ZN5aiter35fused_qk_rmsnorm_group_quant_kernelItDB8_Li128ELi16ELi8ELb0ELb1ELb1ELb1ELb0ELb0EEEvPT0_PvPT_S6_S6_PKS5_S8_S8_S8_S8_ffiiiiiiiiiiiii
                                        ; -- End function
	.section	.AMDGPU.csdata,"",@progbits
; Kernel info:
; codeLenInByte = 2908
; NumSgprs: 36
; NumVgprs: 35
; NumAgprs: 0
; TotalNumVgprs: 35
; ScratchSize: 0
; MemoryBound: 0
; FloatMode: 240
; IeeeMode: 1
; LDSByteSize: 16 bytes/workgroup (compile time only)
; SGPRBlocks: 4
; VGPRBlocks: 4
; NumSGPRsForWavesPerEU: 36
; NumVGPRsForWavesPerEU: 35
; AccumOffset: 36
; Occupancy: 8
; WaveLimiterHint : 0
; COMPUTE_PGM_RSRC2:SCRATCH_EN: 0
; COMPUTE_PGM_RSRC2:USER_SGPR: 6
; COMPUTE_PGM_RSRC2:TRAP_HANDLER: 0
; COMPUTE_PGM_RSRC2:TGID_X_EN: 1
; COMPUTE_PGM_RSRC2:TGID_Y_EN: 1
; COMPUTE_PGM_RSRC2:TGID_Z_EN: 0
; COMPUTE_PGM_RSRC2:TIDIG_COMP_CNT: 0
; COMPUTE_PGM_RSRC3_GFX90A:ACCUM_OFFSET: 8
; COMPUTE_PGM_RSRC3_GFX90A:TG_SPLIT: 0
	.section	.text._ZN5aiter35fused_qk_rmsnorm_group_quant_kernelIDF16_N4opus5fp4_tELi128ELi16ELi8ELb0ELb1ELb1ELb1ELb0ELb0EEEvPT0_PvPT_S7_S7_PKS6_S9_S9_S9_S9_ffiiiiiiiiiiiii,"axG",@progbits,_ZN5aiter35fused_qk_rmsnorm_group_quant_kernelIDF16_N4opus5fp4_tELi128ELi16ELi8ELb0ELb1ELb1ELb1ELb0ELb0EEEvPT0_PvPT_S7_S7_PKS6_S9_S9_S9_S9_ffiiiiiiiiiiiii,comdat
	.protected	_ZN5aiter35fused_qk_rmsnorm_group_quant_kernelIDF16_N4opus5fp4_tELi128ELi16ELi8ELb0ELb1ELb1ELb1ELb0ELb0EEEvPT0_PvPT_S7_S7_PKS6_S9_S9_S9_S9_ffiiiiiiiiiiiii ; -- Begin function _ZN5aiter35fused_qk_rmsnorm_group_quant_kernelIDF16_N4opus5fp4_tELi128ELi16ELi8ELb0ELb1ELb1ELb1ELb0ELb0EEEvPT0_PvPT_S7_S7_PKS6_S9_S9_S9_S9_ffiiiiiiiiiiiii
	.globl	_ZN5aiter35fused_qk_rmsnorm_group_quant_kernelIDF16_N4opus5fp4_tELi128ELi16ELi8ELb0ELb1ELb1ELb1ELb0ELb0EEEvPT0_PvPT_S7_S7_PKS6_S9_S9_S9_S9_ffiiiiiiiiiiiii
	.p2align	8
	.type	_ZN5aiter35fused_qk_rmsnorm_group_quant_kernelIDF16_N4opus5fp4_tELi128ELi16ELi8ELb0ELb1ELb1ELb1ELb0ELb0EEEvPT0_PvPT_S7_S7_PKS6_S9_S9_S9_S9_ffiiiiiiiiiiiii,@function
_ZN5aiter35fused_qk_rmsnorm_group_quant_kernelIDF16_N4opus5fp4_tELi128ELi16ELi8ELb0ELb1ELb1ELb1ELb0ELb0EEEvPT0_PvPT_S7_S7_PKS6_S9_S9_S9_S9_ffiiiiiiiiiiiii: ; @_ZN5aiter35fused_qk_rmsnorm_group_quant_kernelIDF16_N4opus5fp4_tELi128ELi16ELi8ELb0ELb1ELb1ELb1ELb0ELb0EEEvPT0_PvPT_S7_S7_PKS6_S9_S9_S9_S9_ffiiiiiiiiiiiii
; %bb.0:
	s_load_dwordx4 s[12:15], s[4:5], 0x50
	s_waitcnt lgkmcnt(0)
	s_cmp_ge_i32 s6, s14
	s_cbranch_scc1 .LBB611_12
; %bb.1:
	s_load_dwordx2 s[24:25], s[4:5], 0x30
	s_load_dwordx2 s[8:9], s[4:5], 0x48
	s_load_dwordx4 s[16:19], s[4:5], 0x60
	s_cmp_lg_u32 s7, 0
	s_cselect_b64 s[10:11], -1, 0
	s_cmp_eq_u32 s7, 0
	s_cselect_b64 vcc, -1, 0
	s_and_b64 s[0:1], vcc, exec
	s_waitcnt lgkmcnt(0)
	s_cselect_b32 s7, s15, s16
	s_add_i32 s0, s7, 1
	s_lshr_b32 s1, s0, 31
	s_add_i32 s0, s0, s1
	s_lshl_b32 s0, s0, 1
	v_lshlrev_b32_e32 v1, 4, v0
	s_and_b32 s22, s0, -4
	v_cmp_gt_i32_e64 s[2:3], s7, v1
	v_mov_b32_e32 v18, 0
	v_mov_b32_e32 v6, 0
	;; [unrolled: 1-line block ×17, first 2 shown]
	s_and_saveexec_b64 s[0:1], s[2:3]
	s_cbranch_execz .LBB611_3
; %bb.2:
	s_load_dwordx2 s[14:15], s[4:5], 0x28
	s_load_dwordx2 s[20:21], s[4:5], 0x40
	s_and_b64 s[26:27], vcc, exec
	s_cselect_b32 s17, s17, s18
	s_mov_b32 s30, s22
	s_waitcnt lgkmcnt(0)
	s_cselect_b32 s19, s15, s25
	s_cselect_b32 s23, s14, s24
	s_mul_hi_i32 s15, s17, s6
	s_mul_i32 s14, s17, s6
	s_lshl_b64 s[14:15], s[14:15], 1
	s_add_u32 s28, s23, s14
	s_addc_u32 s17, s19, s15
	s_and_b64 s[14:15], vcc, exec
	s_mov_b32 s23, 0x20000
	s_cselect_b32 s20, s20, s8
	s_cselect_b32 s14, s21, s9
	s_and_b32 s29, s17, 0xffff
	s_mov_b32 s31, s23
	v_lshlrev_b32_e32 v19, 5, v0
	s_and_b32 s21, s14, 0xffff
	buffer_load_dwordx4 v[14:17], v19, s[28:31], 0 offen
	buffer_load_dwordx4 v[10:13], v19, s[28:31], 16 offen
	;; [unrolled: 1-line block ×4, first 2 shown]
.LBB611_3:
	s_or_b64 exec, exec, s[0:1]
	v_mov_b32_e32 v19, 0
	v_mov_b32_e32 v22, 0
	;; [unrolled: 1-line block ×15, first 2 shown]
	s_and_saveexec_b64 s[0:1], s[2:3]
	s_cbranch_execz .LBB611_5
; %bb.4:
	s_waitcnt vmcnt(3)
	v_cvt_f32_f16_sdwa v19, v14 dst_sel:DWORD dst_unused:UNUSED_PAD src0_sel:WORD_1
	v_cvt_f32_f16_e32 v18, v14
	v_cvt_f32_f16_sdwa v23, v15 dst_sel:DWORD dst_unused:UNUSED_PAD src0_sel:WORD_1
	v_cvt_f32_f16_e32 v22, v15
	v_cvt_f32_f16_sdwa v25, v16 dst_sel:DWORD dst_unused:UNUSED_PAD src0_sel:WORD_1
	v_cvt_f32_f16_e32 v24, v16
	v_cvt_f32_f16_sdwa v33, v17 dst_sel:DWORD dst_unused:UNUSED_PAD src0_sel:WORD_1
	v_cvt_f32_f16_e32 v32, v17
	s_waitcnt vmcnt(2)
	v_cvt_f32_f16_sdwa v21, v10 dst_sel:DWORD dst_unused:UNUSED_PAD src0_sel:WORD_1
	v_cvt_f32_f16_e32 v20, v10
	v_cvt_f32_f16_sdwa v29, v11 dst_sel:DWORD dst_unused:UNUSED_PAD src0_sel:WORD_1
	v_cvt_f32_f16_e32 v28, v11
	;; [unrolled: 2-line block ×4, first 2 shown]
.LBB611_5:
	s_or_b64 exec, exec, s[0:1]
	s_waitcnt vmcnt(2)
	v_mul_f32_e32 v10, v19, v19
	v_fmac_f32_e32 v10, v18, v18
	v_fmac_f32_e32 v10, v22, v22
	;; [unrolled: 1-line block ×15, first 2 shown]
	v_and_b32_e32 v12, 63, v0
	v_cmp_eq_u32_e64 s[0:1], 63, v12
	v_mov_b32_dpp v11, v10 quad_perm:[1,0,3,2] row_mask:0xf bank_mask:0xf
	v_add_f32_e32 v10, v10, v11
	s_nop 1
	v_mov_b32_dpp v11, v10 quad_perm:[2,3,0,1] row_mask:0xf bank_mask:0xf
	v_add_f32_e32 v10, v10, v11
	s_nop 1
	v_mov_b32_dpp v11, v10 row_half_mirror row_mask:0xf bank_mask:0xf
	v_add_f32_e32 v10, v10, v11
	s_nop 1
	v_mov_b32_dpp v11, v10 row_mirror row_mask:0xf bank_mask:0xf
	v_add_f32_e32 v10, v10, v11
	s_nop 1
	v_mov_b32_dpp v11, v10 row_bcast:15 row_mask:0xf bank_mask:0xf
	v_add_f32_e32 v10, v10, v11
	s_nop 1
	v_mov_b32_dpp v11, v10 row_bcast:31 row_mask:0xf bank_mask:0xf
	s_and_saveexec_b64 s[14:15], s[0:1]
	s_cbranch_execz .LBB611_7
; %bb.6:
	v_add_f32_e32 v10, v10, v11
	v_lshrrev_b32_e32 v11, 4, v0
	v_and_b32_e32 v11, 60, v11
	ds_write_b32 v11, v10 offset:8
.LBB611_7:
	s_or_b64 exec, exec, s[14:15]
	v_and_b32_e32 v10, 1, v0
	v_lshlrev_b32_e32 v34, 2, v10
	s_waitcnt lgkmcnt(0)
	s_barrier
	ds_read_b32 v10, v34 offset:8
	s_load_dwordx2 s[14:15], s[4:5], 0x18
	s_waitcnt lgkmcnt(0)
	v_mov_b32_dpp v11, v10 quad_perm:[1,0,3,2] row_mask:0xf bank_mask:0xf
	s_and_saveexec_b64 s[20:21], s[2:3]
	s_cbranch_execz .LBB611_9
; %bb.8:
	v_cvt_f32_u32_e32 v12, s7
	v_add_f32_e32 v10, v10, v11
	v_mov_b32_e32 v14, s13
	v_mov_b32_e32 v15, s12
	v_div_scale_f32 v11, s[26:27], v12, v12, v10
	v_rcp_f32_e32 v13, v11
	v_cndmask_b32_e32 v14, v14, v15, vcc
	s_mov_b32 s7, 0x800000
	v_fma_f32 v15, -v11, v13, 1.0
	v_fmac_f32_e32 v13, v15, v13
	v_div_scale_f32 v15, vcc, v10, v12, v10
	v_mul_f32_e32 v16, v15, v13
	v_fma_f32 v17, -v11, v16, v15
	v_fmac_f32_e32 v16, v17, v13
	v_fma_f32 v11, -v11, v16, v15
	v_div_fmas_f32 v11, v11, v13, v16
	v_div_fixup_f32 v10, v11, v12, v10
	v_add_f32_e32 v10, v14, v10
	v_mul_f32_e32 v11, 0x4b800000, v10
	v_cmp_gt_f32_e32 vcc, s7, v10
	v_cndmask_b32_e32 v10, v10, v11, vcc
	v_rsq_f32_e32 v10, v10
	v_mul_f32_e32 v11, 0x45800000, v10
	v_cndmask_b32_e32 v10, v10, v11, vcc
	v_mov_b32_e32 v11, v10
	;;#ASMSTART
	v_pk_mul_f32 v[12:13], v[18:19], v[10:11]
	;;#ASMEND
	s_waitcnt vmcnt(1)
	v_cvt_f32_f16_sdwa v19, v6 dst_sel:DWORD dst_unused:UNUSED_PAD src0_sel:WORD_1
	v_cvt_f32_f16_e32 v18, v6
	;;#ASMSTART
	v_pk_mul_f32 v[14:15], v[22:23], v[10:11]
	;;#ASMEND
	v_cvt_f32_f16_sdwa v23, v7 dst_sel:DWORD dst_unused:UNUSED_PAD src0_sel:WORD_1
	v_cvt_f32_f16_e32 v22, v7
	;;#ASMSTART
	v_pk_mul_f32 v[16:17], v[24:25], v[10:11]
	;;#ASMEND
	;;#ASMSTART
	v_pk_mul_f32 v[32:33], v[32:33], v[10:11]
	;;#ASMEND
	;; [unrolled: 3-line block ×6, first 2 shown]
	v_pk_add_f32 v[10:11], v[18:19], 1.0 op_sel_hi:[1,0]
	;;#ASMSTART
	v_pk_mul_f32 v[18:19], v[12:13], v[10:11]
	;;#ASMEND
	v_cvt_f32_f16_sdwa v13, v8 dst_sel:DWORD dst_unused:UNUSED_PAD src0_sel:WORD_1
	v_cvt_f32_f16_e32 v12, v8
	v_cvt_f32_f16_sdwa v27, v9 dst_sel:DWORD dst_unused:UNUSED_PAD src0_sel:WORD_1
	v_cvt_f32_f16_e32 v26, v9
	v_pk_add_f32 v[10:11], v[22:23], 1.0 op_sel_hi:[1,0]
	;;#ASMSTART
	v_pk_mul_f32 v[22:23], v[14:15], v[10:11]
	;;#ASMEND
	s_waitcnt vmcnt(0)
	v_cvt_f32_f16_sdwa v11, v2 dst_sel:DWORD dst_unused:UNUSED_PAD src0_sel:WORD_1
	v_cvt_f32_f16_e32 v10, v2
	v_pk_add_f32 v[8:9], v[12:13], 1.0 op_sel_hi:[1,0]
	;;#ASMSTART
	v_pk_mul_f32 v[24:25], v[16:17], v[8:9]
	;;#ASMEND
	v_pk_add_f32 v[8:9], v[26:27], 1.0 op_sel_hi:[1,0]
	v_cvt_f32_f16_sdwa v13, v3 dst_sel:DWORD dst_unused:UNUSED_PAD src0_sel:WORD_1
	v_cvt_f32_f16_e32 v12, v3
	;;#ASMSTART
	v_pk_mul_f32 v[32:33], v[32:33], v[8:9]
	;;#ASMEND
	v_cvt_f32_f16_sdwa v9, v4 dst_sel:DWORD dst_unused:UNUSED_PAD src0_sel:WORD_1
	v_cvt_f32_f16_e32 v8, v4
	v_pk_add_f32 v[2:3], v[10:11], 1.0 op_sel_hi:[1,0]
	v_cvt_f32_f16_sdwa v11, v5 dst_sel:DWORD dst_unused:UNUSED_PAD src0_sel:WORD_1
	v_cvt_f32_f16_e32 v10, v5
	;;#ASMSTART
	v_pk_mul_f32 v[20:21], v[20:21], v[2:3]
	;;#ASMEND
	v_pk_add_f32 v[2:3], v[12:13], 1.0 op_sel_hi:[1,0]
	;;#ASMSTART
	v_pk_mul_f32 v[28:29], v[28:29], v[2:3]
	;;#ASMEND
	v_pk_add_f32 v[2:3], v[8:9], 1.0 op_sel_hi:[1,0]
	;; [unrolled: 4-line block ×3, first 2 shown]
	;;#ASMSTART
	v_pk_mul_f32 v[26:27], v[6:7], v[2:3]
	;;#ASMEND
.LBB611_9:
	s_or_b64 exec, exec, s[20:21]
	s_load_dwordx2 s[26:27], s[4:5], 0x7c
	s_mov_b64 s[20:21], -1
	s_and_b64 vcc, exec, s[10:11]
	s_cbranch_vccnz .LBB611_13
; %bb.10:
	s_andn2_b64 vcc, exec, s[20:21]
	s_cbranch_vccz .LBB611_16
.LBB611_11:
	s_cmp_lt_i32 s16, 1
	s_cbranch_scc0 .LBB611_19
.LBB611_12:
	s_endpgm
.LBB611_13:
	s_and_saveexec_b64 s[10:11], s[2:3]
	s_cbranch_execz .LBB611_15
; %bb.14:
	s_waitcnt lgkmcnt(0)
	s_mul_hi_i32 s21, s27, s6
	s_mul_i32 s20, s27, s6
	s_waitcnt vmcnt(0)
	v_cvt_f16_f32_e32 v2, v18
	v_cvt_f16_f32_e32 v3, v22
	;; [unrolled: 1-line block ×8, first 2 shown]
	s_lshl_b64 s[20:21], s[20:21], 1
	s_add_u32 s20, s14, s20
	s_addc_u32 s7, s15, s21
	s_and_b32 s21, s7, 0xffff
	s_mov_b32 s23, 0x20000
	v_pack_b32_f16 v5, v5, v6
	v_pack_b32_f16 v4, v4, v7
	;; [unrolled: 1-line block ×4, first 2 shown]
	v_lshlrev_b32_e32 v6, 5, v0
	buffer_store_dwordx4 v[2:5], v6, s[20:23], 0 offen
	v_cvt_f16_f32_e32 v7, v27
	v_cvt_f16_f32_e32 v2, v20
	;; [unrolled: 1-line block ×8, first 2 shown]
	v_pack_b32_f16 v5, v5, v7
	v_pack_b32_f16 v4, v4, v8
	;; [unrolled: 1-line block ×4, first 2 shown]
	;;#ASMSTART
	s_nop 0
	;;#ASMEND
	buffer_store_dwordx4 v[2:5], v6, s[20:23], 16 offen
	;;#ASMSTART
	s_nop 0
	;;#ASMEND
.LBB611_15:
	s_or_b64 exec, exec, s[10:11]
	s_cbranch_execnz .LBB611_11
.LBB611_16:
	s_and_saveexec_b64 s[10:11], s[2:3]
	s_cbranch_execz .LBB611_18
; %bb.17:
	s_load_dwordx2 s[2:3], s[4:5], 0x10
	s_waitcnt lgkmcnt(0)
	s_mul_hi_i32 s21, s26, s6
	s_mul_i32 s20, s26, s6
	s_waitcnt vmcnt(0)
	v_cvt_f16_f32_e32 v2, v18
	v_cvt_f16_f32_e32 v3, v22
	;; [unrolled: 1-line block ×8, first 2 shown]
	s_lshl_b64 s[20:21], s[20:21], 1
	s_add_u32 s20, s2, s20
	s_addc_u32 s2, s3, s21
	s_mov_b32 s23, 0x20000
	s_and_b32 s21, s2, 0xffff
	v_pack_b32_f16 v5, v5, v6
	v_pack_b32_f16 v4, v4, v7
	;; [unrolled: 1-line block ×4, first 2 shown]
	v_lshlrev_b32_e32 v6, 5, v0
	buffer_store_dwordx4 v[2:5], v6, s[20:23], 0 offen
	v_cvt_f16_f32_e32 v7, v27
	v_cvt_f16_f32_e32 v2, v20
	;; [unrolled: 1-line block ×8, first 2 shown]
	v_pack_b32_f16 v5, v5, v7
	v_pack_b32_f16 v4, v4, v8
	;; [unrolled: 1-line block ×4, first 2 shown]
	;;#ASMSTART
	s_nop 0
	;;#ASMEND
	buffer_store_dwordx4 v[2:5], v6, s[20:23], 16 offen
	;;#ASMSTART
	s_nop 0
	;;#ASMEND
.LBB611_18:
	s_or_b64 exec, exec, s[10:11]
	s_cmp_lt_i32 s16, 1
	s_cbranch_scc1 .LBB611_12
.LBB611_19:
	s_load_dword s2, s[4:5], 0x94
	s_waitcnt lgkmcnt(0)
	s_cmp_lg_u32 s2, 1
	s_cbranch_scc1 .LBB611_12
; %bb.20:
	s_lshl_b32 s2, s16, 1
	s_add_i32 s2, s2, 2
	v_cmp_gt_u32_e32 vcc, s16, v1
	s_and_b32 s10, s2, -4
	v_mov_b32_e32 v18, 0
	v_lshlrev_b32_e32 v1, 5, v0
	v_mov_b32_e32 v14, 0
	v_mov_b32_e32 v15, 0
	v_mov_b32_e32 v16, 0
	v_mov_b32_e32 v17, 0
	v_mov_b32_e32 v10, 0
	v_mov_b32_e32 v11, 0
	v_mov_b32_e32 v12, 0
	v_mov_b32_e32 v13, 0
	s_waitcnt vmcnt(1)
	v_mov_b32_e32 v6, 0
	v_mov_b32_e32 v7, 0
	;; [unrolled: 1-line block ×4, first 2 shown]
	s_waitcnt vmcnt(0)
	v_mov_b32_e32 v2, 0
	v_mov_b32_e32 v3, 0
	;; [unrolled: 1-line block ×4, first 2 shown]
	s_barrier
	s_and_saveexec_b64 s[2:3], vcc
	s_cbranch_execz .LBB611_22
; %bb.21:
	s_mul_hi_i32 s5, s18, s6
	s_mul_i32 s4, s18, s6
	s_and_b32 s9, s9, 0xffff
	s_lshl_b64 s[4:5], s[4:5], 1
	s_add_u32 s20, s24, s4
	s_mov_b32 s11, 0x20000
	s_addc_u32 s4, s25, s5
	s_and_b32 s21, s4, 0xffff
	s_mov_b32 s22, s10
	s_mov_b32 s23, s11
	buffer_load_dwordx4 v[14:17], v1, s[20:23], 0 offen
	buffer_load_dwordx4 v[10:13], v1, s[20:23], 16 offen
	;; [unrolled: 1-line block ×4, first 2 shown]
.LBB611_22:
	s_or_b64 exec, exec, s[2:3]
	v_mov_b32_e32 v19, 0
	v_mov_b32_e32 v32, 0
	;; [unrolled: 1-line block ×15, first 2 shown]
	s_and_saveexec_b64 s[2:3], vcc
	s_cbranch_execz .LBB611_24
; %bb.23:
	s_waitcnt vmcnt(3)
	v_cvt_f32_f16_sdwa v19, v14 dst_sel:DWORD dst_unused:UNUSED_PAD src0_sel:WORD_1
	v_cvt_f32_f16_e32 v18, v14
	v_cvt_f32_f16_sdwa v33, v15 dst_sel:DWORD dst_unused:UNUSED_PAD src0_sel:WORD_1
	v_cvt_f32_f16_e32 v32, v15
	;; [unrolled: 2-line block ×4, first 2 shown]
	s_waitcnt vmcnt(2)
	v_cvt_f32_f16_sdwa v27, v10 dst_sel:DWORD dst_unused:UNUSED_PAD src0_sel:WORD_1
	v_cvt_f32_f16_e32 v26, v10
	v_cvt_f32_f16_sdwa v25, v11 dst_sel:DWORD dst_unused:UNUSED_PAD src0_sel:WORD_1
	v_cvt_f32_f16_e32 v24, v11
	;; [unrolled: 2-line block ×4, first 2 shown]
.LBB611_24:
	s_or_b64 exec, exec, s[2:3]
	s_waitcnt vmcnt(2)
	v_mul_f32_e32 v10, v19, v19
	v_fmac_f32_e32 v10, v18, v18
	v_fmac_f32_e32 v10, v32, v32
	;; [unrolled: 1-line block ×15, first 2 shown]
	s_nop 1
	v_mov_b32_dpp v11, v10 quad_perm:[1,0,3,2] row_mask:0xf bank_mask:0xf
	v_add_f32_e32 v10, v10, v11
	s_nop 1
	v_mov_b32_dpp v11, v10 quad_perm:[2,3,0,1] row_mask:0xf bank_mask:0xf
	v_add_f32_e32 v10, v10, v11
	s_nop 1
	v_mov_b32_dpp v11, v10 row_half_mirror row_mask:0xf bank_mask:0xf
	v_add_f32_e32 v10, v10, v11
	s_nop 1
	v_mov_b32_dpp v11, v10 row_mirror row_mask:0xf bank_mask:0xf
	v_add_f32_e32 v10, v10, v11
	s_nop 1
	v_mov_b32_dpp v11, v10 row_bcast:15 row_mask:0xf bank_mask:0xf
	v_add_f32_e32 v10, v10, v11
	s_nop 1
	v_mov_b32_dpp v11, v10 row_bcast:31 row_mask:0xf bank_mask:0xf
	s_and_saveexec_b64 s[2:3], s[0:1]
	s_cbranch_execz .LBB611_26
; %bb.25:
	v_lshrrev_b32_e32 v0, 4, v0
	v_add_f32_e32 v10, v10, v11
	v_and_b32_e32 v0, 60, v0
	ds_write_b32 v0, v10
.LBB611_26:
	s_or_b64 exec, exec, s[2:3]
	s_waitcnt lgkmcnt(0)
	s_barrier
	ds_read_b32 v0, v34
	s_waitcnt lgkmcnt(0)
	s_nop 0
	v_mov_b32_dpp v10, v0 quad_perm:[1,0,3,2] row_mask:0xf bank_mask:0xf
	s_and_saveexec_b64 s[0:1], vcc
	s_cbranch_execz .LBB611_12
; %bb.27:
	v_cvt_f32_u32_e32 v11, s16
	v_add_f32_e32 v0, v0, v10
	s_mov_b32 s11, 0x20000
	v_div_scale_f32 v10, s[0:1], v11, v11, v0
	v_rcp_f32_e32 v12, v10
	v_div_scale_f32 v13, vcc, v0, v11, v0
	s_mov_b32 s0, 0x800000
	v_fma_f32 v14, -v10, v12, 1.0
	v_fmac_f32_e32 v12, v14, v12
	v_mul_f32_e32 v14, v13, v12
	v_fma_f32 v15, -v10, v14, v13
	v_fmac_f32_e32 v14, v15, v12
	v_fma_f32 v10, -v10, v14, v13
	v_div_fmas_f32 v10, v10, v12, v14
	v_div_fixup_f32 v0, v10, v11, v0
	v_add_f32_e32 v0, s13, v0
	v_mul_f32_e32 v10, 0x4b800000, v0
	v_cmp_gt_f32_e32 vcc, s0, v0
	v_cndmask_b32_e32 v0, v0, v10, vcc
	v_rsq_f32_e32 v0, v0
	s_mul_hi_i32 s1, s27, s6
	s_mul_i32 s0, s27, s6
	s_lshl_b64 s[0:1], s[0:1], 1
	v_mul_f32_e32 v10, 0x45800000, v0
	v_cndmask_b32_e32 v10, v0, v10, vcc
	v_mov_b32_e32 v11, v10
	;;#ASMSTART
	v_pk_mul_f32 v[12:13], v[18:19], v[10:11]
	;;#ASMEND
	;;#ASMSTART
	v_pk_mul_f32 v[14:15], v[32:33], v[10:11]
	;;#ASMEND
	;;#ASMSTART
	v_pk_mul_f32 v[16:17], v[30:31], v[10:11]
	;;#ASMEND
	;;#ASMSTART
	v_pk_mul_f32 v[18:19], v[28:29], v[10:11]
	;;#ASMEND
	s_waitcnt vmcnt(1)
	v_cvt_f32_f16_sdwa v29, v6 dst_sel:DWORD dst_unused:UNUSED_PAD src0_sel:WORD_1
	v_cvt_f32_f16_e32 v28, v6
	v_cvt_f32_f16_sdwa v31, v7 dst_sel:DWORD dst_unused:UNUSED_PAD src0_sel:WORD_1
	v_cvt_f32_f16_e32 v30, v7
	;;#ASMSTART
	v_pk_mul_f32 v[26:27], v[26:27], v[10:11]
	;;#ASMEND
	;;#ASMSTART
	v_pk_mul_f32 v[24:25], v[24:25], v[10:11]
	;;#ASMEND
	;; [unrolled: 3-line block ×4, first 2 shown]
	v_cvt_f32_f16_sdwa v21, v8 dst_sel:DWORD dst_unused:UNUSED_PAD src0_sel:WORD_1
	v_cvt_f32_f16_e32 v20, v8
	v_pk_add_f32 v[10:11], v[28:29], 1.0 op_sel_hi:[1,0]
	;;#ASMSTART
	v_pk_mul_f32 v[10:11], v[12:13], v[10:11]
	;;#ASMEND
	v_pk_add_f32 v[12:13], v[30:31], 1.0 op_sel_hi:[1,0]
	v_cvt_f32_f16_sdwa v29, v9 dst_sel:DWORD dst_unused:UNUSED_PAD src0_sel:WORD_1
	v_cvt_f32_f16_e32 v28, v9
	;;#ASMSTART
	v_pk_mul_f32 v[8:9], v[14:15], v[12:13]
	;;#ASMEND
	v_pk_add_f32 v[12:13], v[20:21], 1.0 op_sel_hi:[1,0]
	;;#ASMSTART
	v_pk_mul_f32 v[12:13], v[16:17], v[12:13]
	;;#ASMEND
	s_waitcnt vmcnt(0)
	v_cvt_f32_f16_sdwa v17, v2 dst_sel:DWORD dst_unused:UNUSED_PAD src0_sel:WORD_1
	v_cvt_f32_f16_e32 v16, v2
	v_cvt_f32_f16_sdwa v21, v3 dst_sel:DWORD dst_unused:UNUSED_PAD src0_sel:WORD_1
	v_cvt_f32_f16_e32 v20, v3
	v_pk_add_f32 v[14:15], v[28:29], 1.0 op_sel_hi:[1,0]
	;;#ASMSTART
	v_pk_mul_f32 v[2:3], v[18:19], v[14:15]
	;;#ASMEND
	v_cvt_f32_f16_sdwa v19, v4 dst_sel:DWORD dst_unused:UNUSED_PAD src0_sel:WORD_1
	v_cvt_f32_f16_e32 v18, v4
	v_pk_add_f32 v[14:15], v[16:17], 1.0 op_sel_hi:[1,0]
	v_pk_add_f32 v[16:17], v[20:21], 1.0 op_sel_hi:[1,0]
	v_cvt_f32_f16_sdwa v21, v5 dst_sel:DWORD dst_unused:UNUSED_PAD src0_sel:WORD_1
	v_cvt_f32_f16_e32 v20, v5
	v_pk_add_f32 v[4:5], v[18:19], 1.0 op_sel_hi:[1,0]
	;;#ASMSTART
	v_pk_mul_f32 v[14:15], v[26:27], v[14:15]
	;;#ASMEND
	;;#ASMSTART
	v_pk_mul_f32 v[16:17], v[24:25], v[16:17]
	;;#ASMEND
	;; [unrolled: 3-line block ×3, first 2 shown]
	v_pk_add_f32 v[4:5], v[20:21], 1.0 op_sel_hi:[1,0]
	;;#ASMSTART
	v_pk_mul_f32 v[6:7], v[6:7], v[4:5]
	;;#ASMEND
	v_cvt_f16_f32_e32 v0, v10
	v_cvt_f16_f32_e32 v4, v11
	;; [unrolled: 1-line block ×8, first 2 shown]
	s_add_u32 s8, s14, s0
	s_addc_u32 s0, s15, s1
	s_and_b32 s9, s0, 0xffff
	v_pack_b32_f16 v2, v0, v4
	v_pack_b32_f16 v3, v5, v8
	v_pack_b32_f16 v4, v9, v10
	v_pack_b32_f16 v5, v11, v12
	buffer_store_dwordx4 v[2:5], v1, s[8:11], 0 offen
	v_cvt_f16_f32_e32 v0, v14
	v_cvt_f16_f32_e32 v2, v15
	;; [unrolled: 1-line block ×8, first 2 shown]
	v_pack_b32_f16 v2, v0, v2
	v_pack_b32_f16 v3, v3, v4
	;; [unrolled: 1-line block ×4, first 2 shown]
	;;#ASMSTART
	s_nop 0
	;;#ASMEND
	buffer_store_dwordx4 v[2:5], v1, s[8:11], 16 offen
	;;#ASMSTART
	s_nop 0
	;;#ASMEND
	s_endpgm
	.section	.rodata,"a",@progbits
	.p2align	6, 0x0
	.amdhsa_kernel _ZN5aiter35fused_qk_rmsnorm_group_quant_kernelIDF16_N4opus5fp4_tELi128ELi16ELi8ELb0ELb1ELb1ELb1ELb0ELb0EEEvPT0_PvPT_S7_S7_PKS6_S9_S9_S9_S9_ffiiiiiiiiiiiii
		.amdhsa_group_segment_fixed_size 16
		.amdhsa_private_segment_fixed_size 0
		.amdhsa_kernarg_size 400
		.amdhsa_user_sgpr_count 6
		.amdhsa_user_sgpr_private_segment_buffer 1
		.amdhsa_user_sgpr_dispatch_ptr 0
		.amdhsa_user_sgpr_queue_ptr 0
		.amdhsa_user_sgpr_kernarg_segment_ptr 1
		.amdhsa_user_sgpr_dispatch_id 0
		.amdhsa_user_sgpr_flat_scratch_init 0
		.amdhsa_user_sgpr_kernarg_preload_length 0
		.amdhsa_user_sgpr_kernarg_preload_offset 0
		.amdhsa_user_sgpr_private_segment_size 0
		.amdhsa_uses_dynamic_stack 0
		.amdhsa_system_sgpr_private_segment_wavefront_offset 0
		.amdhsa_system_sgpr_workgroup_id_x 1
		.amdhsa_system_sgpr_workgroup_id_y 1
		.amdhsa_system_sgpr_workgroup_id_z 0
		.amdhsa_system_sgpr_workgroup_info 0
		.amdhsa_system_vgpr_workitem_id 0
		.amdhsa_next_free_vgpr 35
		.amdhsa_next_free_sgpr 32
		.amdhsa_accum_offset 36
		.amdhsa_reserve_vcc 1
		.amdhsa_reserve_flat_scratch 0
		.amdhsa_float_round_mode_32 0
		.amdhsa_float_round_mode_16_64 0
		.amdhsa_float_denorm_mode_32 3
		.amdhsa_float_denorm_mode_16_64 3
		.amdhsa_dx10_clamp 1
		.amdhsa_ieee_mode 1
		.amdhsa_fp16_overflow 0
		.amdhsa_tg_split 0
		.amdhsa_exception_fp_ieee_invalid_op 0
		.amdhsa_exception_fp_denorm_src 0
		.amdhsa_exception_fp_ieee_div_zero 0
		.amdhsa_exception_fp_ieee_overflow 0
		.amdhsa_exception_fp_ieee_underflow 0
		.amdhsa_exception_fp_ieee_inexact 0
		.amdhsa_exception_int_div_zero 0
	.end_amdhsa_kernel
	.section	.text._ZN5aiter35fused_qk_rmsnorm_group_quant_kernelIDF16_N4opus5fp4_tELi128ELi16ELi8ELb0ELb1ELb1ELb1ELb0ELb0EEEvPT0_PvPT_S7_S7_PKS6_S9_S9_S9_S9_ffiiiiiiiiiiiii,"axG",@progbits,_ZN5aiter35fused_qk_rmsnorm_group_quant_kernelIDF16_N4opus5fp4_tELi128ELi16ELi8ELb0ELb1ELb1ELb1ELb0ELb0EEEvPT0_PvPT_S7_S7_PKS6_S9_S9_S9_S9_ffiiiiiiiiiiiii,comdat
.Lfunc_end611:
	.size	_ZN5aiter35fused_qk_rmsnorm_group_quant_kernelIDF16_N4opus5fp4_tELi128ELi16ELi8ELb0ELb1ELb1ELb1ELb0ELb0EEEvPT0_PvPT_S7_S7_PKS6_S9_S9_S9_S9_ffiiiiiiiiiiiii, .Lfunc_end611-_ZN5aiter35fused_qk_rmsnorm_group_quant_kernelIDF16_N4opus5fp4_tELi128ELi16ELi8ELb0ELb1ELb1ELb1ELb0ELb0EEEvPT0_PvPT_S7_S7_PKS6_S9_S9_S9_S9_ffiiiiiiiiiiiii
                                        ; -- End function
	.section	.AMDGPU.csdata,"",@progbits
; Kernel info:
; codeLenInByte = 2936
; NumSgprs: 36
; NumVgprs: 35
; NumAgprs: 0
; TotalNumVgprs: 35
; ScratchSize: 0
; MemoryBound: 0
; FloatMode: 240
; IeeeMode: 1
; LDSByteSize: 16 bytes/workgroup (compile time only)
; SGPRBlocks: 4
; VGPRBlocks: 4
; NumSGPRsForWavesPerEU: 36
; NumVGPRsForWavesPerEU: 35
; AccumOffset: 36
; Occupancy: 8
; WaveLimiterHint : 0
; COMPUTE_PGM_RSRC2:SCRATCH_EN: 0
; COMPUTE_PGM_RSRC2:USER_SGPR: 6
; COMPUTE_PGM_RSRC2:TRAP_HANDLER: 0
; COMPUTE_PGM_RSRC2:TGID_X_EN: 1
; COMPUTE_PGM_RSRC2:TGID_Y_EN: 1
; COMPUTE_PGM_RSRC2:TGID_Z_EN: 0
; COMPUTE_PGM_RSRC2:TIDIG_COMP_CNT: 0
; COMPUTE_PGM_RSRC3_GFX90A:ACCUM_OFFSET: 8
; COMPUTE_PGM_RSRC3_GFX90A:TG_SPLIT: 0
	.section	.text._ZN5aiter35fused_qk_rmsnorm_group_quant_kernelItN4opus5fp4_tELi128ELi16ELi8ELb0ELb1ELb1ELb1ELb0ELb0EEEvPT0_PvPT_S7_S7_PKS6_S9_S9_S9_S9_ffiiiiiiiiiiiii,"axG",@progbits,_ZN5aiter35fused_qk_rmsnorm_group_quant_kernelItN4opus5fp4_tELi128ELi16ELi8ELb0ELb1ELb1ELb1ELb0ELb0EEEvPT0_PvPT_S7_S7_PKS6_S9_S9_S9_S9_ffiiiiiiiiiiiii,comdat
	.protected	_ZN5aiter35fused_qk_rmsnorm_group_quant_kernelItN4opus5fp4_tELi128ELi16ELi8ELb0ELb1ELb1ELb1ELb0ELb0EEEvPT0_PvPT_S7_S7_PKS6_S9_S9_S9_S9_ffiiiiiiiiiiiii ; -- Begin function _ZN5aiter35fused_qk_rmsnorm_group_quant_kernelItN4opus5fp4_tELi128ELi16ELi8ELb0ELb1ELb1ELb1ELb0ELb0EEEvPT0_PvPT_S7_S7_PKS6_S9_S9_S9_S9_ffiiiiiiiiiiiii
	.globl	_ZN5aiter35fused_qk_rmsnorm_group_quant_kernelItN4opus5fp4_tELi128ELi16ELi8ELb0ELb1ELb1ELb1ELb0ELb0EEEvPT0_PvPT_S7_S7_PKS6_S9_S9_S9_S9_ffiiiiiiiiiiiii
	.p2align	8
	.type	_ZN5aiter35fused_qk_rmsnorm_group_quant_kernelItN4opus5fp4_tELi128ELi16ELi8ELb0ELb1ELb1ELb1ELb0ELb0EEEvPT0_PvPT_S7_S7_PKS6_S9_S9_S9_S9_ffiiiiiiiiiiiii,@function
_ZN5aiter35fused_qk_rmsnorm_group_quant_kernelItN4opus5fp4_tELi128ELi16ELi8ELb0ELb1ELb1ELb1ELb0ELb0EEEvPT0_PvPT_S7_S7_PKS6_S9_S9_S9_S9_ffiiiiiiiiiiiii: ; @_ZN5aiter35fused_qk_rmsnorm_group_quant_kernelItN4opus5fp4_tELi128ELi16ELi8ELb0ELb1ELb1ELb1ELb0ELb0EEEvPT0_PvPT_S7_S7_PKS6_S9_S9_S9_S9_ffiiiiiiiiiiiii
; %bb.0:
	s_load_dwordx4 s[12:15], s[4:5], 0x50
	s_waitcnt lgkmcnt(0)
	s_cmp_ge_i32 s6, s14
	s_cbranch_scc1 .LBB612_12
; %bb.1:
	s_load_dwordx2 s[24:25], s[4:5], 0x30
	s_load_dwordx2 s[8:9], s[4:5], 0x48
	s_load_dwordx4 s[16:19], s[4:5], 0x60
	s_cmp_lg_u32 s7, 0
	s_cselect_b64 s[10:11], -1, 0
	s_cmp_eq_u32 s7, 0
	s_cselect_b64 vcc, -1, 0
	s_and_b64 s[0:1], vcc, exec
	s_waitcnt lgkmcnt(0)
	s_cselect_b32 s7, s15, s16
	s_add_i32 s0, s7, 1
	s_lshr_b32 s1, s0, 31
	s_add_i32 s0, s0, s1
	s_lshl_b32 s0, s0, 1
	v_lshlrev_b32_e32 v1, 4, v0
	s_and_b32 s22, s0, -4
	v_cmp_gt_i32_e64 s[2:3], s7, v1
	v_mov_b32_e32 v18, 0
	v_mov_b32_e32 v6, 0
	;; [unrolled: 1-line block ×17, first 2 shown]
	s_and_saveexec_b64 s[0:1], s[2:3]
	s_cbranch_execz .LBB612_3
; %bb.2:
	s_load_dwordx2 s[14:15], s[4:5], 0x28
	s_load_dwordx2 s[20:21], s[4:5], 0x40
	s_and_b64 s[26:27], vcc, exec
	s_cselect_b32 s17, s17, s18
	s_mov_b32 s30, s22
	s_waitcnt lgkmcnt(0)
	s_cselect_b32 s19, s15, s25
	s_cselect_b32 s23, s14, s24
	s_mul_hi_i32 s15, s17, s6
	s_mul_i32 s14, s17, s6
	s_lshl_b64 s[14:15], s[14:15], 1
	s_add_u32 s28, s23, s14
	s_addc_u32 s17, s19, s15
	s_and_b64 s[14:15], vcc, exec
	s_mov_b32 s23, 0x20000
	s_cselect_b32 s20, s20, s8
	s_cselect_b32 s14, s21, s9
	s_and_b32 s29, s17, 0xffff
	s_mov_b32 s31, s23
	v_lshlrev_b32_e32 v19, 5, v0
	s_and_b32 s21, s14, 0xffff
	buffer_load_dwordx4 v[14:17], v19, s[28:31], 0 offen
	buffer_load_dwordx4 v[10:13], v19, s[28:31], 16 offen
	;; [unrolled: 1-line block ×4, first 2 shown]
.LBB612_3:
	s_or_b64 exec, exec, s[0:1]
	v_mov_b32_e32 v19, 0
	v_mov_b32_e32 v20, 0
	;; [unrolled: 1-line block ×15, first 2 shown]
	s_and_saveexec_b64 s[0:1], s[2:3]
	s_cbranch_execz .LBB612_5
; %bb.4:
	s_waitcnt vmcnt(3)
	v_cvt_f32_u32_sdwa v18, v14 dst_sel:DWORD dst_unused:UNUSED_PAD src0_sel:WORD_0
	v_cvt_f32_u32_sdwa v19, v14 dst_sel:DWORD dst_unused:UNUSED_PAD src0_sel:WORD_1
	v_cvt_f32_u32_sdwa v20, v15 dst_sel:DWORD dst_unused:UNUSED_PAD src0_sel:WORD_0
	v_cvt_f32_u32_sdwa v21, v15 dst_sel:DWORD dst_unused:UNUSED_PAD src0_sel:WORD_1
	;; [unrolled: 2-line block ×4, first 2 shown]
	s_waitcnt vmcnt(2)
	v_cvt_f32_u32_sdwa v24, v10 dst_sel:DWORD dst_unused:UNUSED_PAD src0_sel:WORD_0
	v_cvt_f32_u32_sdwa v25, v10 dst_sel:DWORD dst_unused:UNUSED_PAD src0_sel:WORD_1
	v_cvt_f32_u32_sdwa v30, v11 dst_sel:DWORD dst_unused:UNUSED_PAD src0_sel:WORD_0
	v_cvt_f32_u32_sdwa v31, v11 dst_sel:DWORD dst_unused:UNUSED_PAD src0_sel:WORD_1
	;; [unrolled: 2-line block ×4, first 2 shown]
.LBB612_5:
	s_or_b64 exec, exec, s[0:1]
	s_waitcnt vmcnt(2)
	v_mul_f32_e32 v10, v19, v19
	v_fmac_f32_e32 v10, v18, v18
	v_fmac_f32_e32 v10, v20, v20
	;; [unrolled: 1-line block ×15, first 2 shown]
	v_and_b32_e32 v12, 63, v0
	v_cmp_eq_u32_e64 s[0:1], 63, v12
	v_mov_b32_dpp v11, v10 quad_perm:[1,0,3,2] row_mask:0xf bank_mask:0xf
	v_add_f32_e32 v10, v10, v11
	s_nop 1
	v_mov_b32_dpp v11, v10 quad_perm:[2,3,0,1] row_mask:0xf bank_mask:0xf
	v_add_f32_e32 v10, v10, v11
	s_nop 1
	v_mov_b32_dpp v11, v10 row_half_mirror row_mask:0xf bank_mask:0xf
	v_add_f32_e32 v10, v10, v11
	s_nop 1
	v_mov_b32_dpp v11, v10 row_mirror row_mask:0xf bank_mask:0xf
	v_add_f32_e32 v10, v10, v11
	s_nop 1
	v_mov_b32_dpp v11, v10 row_bcast:15 row_mask:0xf bank_mask:0xf
	v_add_f32_e32 v10, v10, v11
	s_nop 1
	v_mov_b32_dpp v11, v10 row_bcast:31 row_mask:0xf bank_mask:0xf
	s_and_saveexec_b64 s[14:15], s[0:1]
	s_cbranch_execz .LBB612_7
; %bb.6:
	v_add_f32_e32 v10, v10, v11
	v_lshrrev_b32_e32 v11, 4, v0
	v_and_b32_e32 v11, 60, v11
	ds_write_b32 v11, v10 offset:8
.LBB612_7:
	s_or_b64 exec, exec, s[14:15]
	v_and_b32_e32 v10, 1, v0
	v_lshlrev_b32_e32 v34, 2, v10
	s_waitcnt lgkmcnt(0)
	s_barrier
	ds_read_b32 v10, v34 offset:8
	s_load_dwordx2 s[14:15], s[4:5], 0x18
	s_waitcnt lgkmcnt(0)
	v_mov_b32_dpp v11, v10 quad_perm:[1,0,3,2] row_mask:0xf bank_mask:0xf
	s_and_saveexec_b64 s[20:21], s[2:3]
	s_cbranch_execz .LBB612_9
; %bb.8:
	v_cvt_f32_u32_e32 v12, s7
	v_add_f32_e32 v10, v10, v11
	v_mov_b32_e32 v14, s13
	v_mov_b32_e32 v15, s12
	v_div_scale_f32 v11, s[26:27], v12, v12, v10
	v_rcp_f32_e32 v13, v11
	v_cndmask_b32_e32 v14, v14, v15, vcc
	s_mov_b32 s7, 0x800000
	v_fma_f32 v15, -v11, v13, 1.0
	v_fmac_f32_e32 v13, v15, v13
	v_div_scale_f32 v15, vcc, v10, v12, v10
	v_mul_f32_e32 v16, v15, v13
	v_fma_f32 v17, -v11, v16, v15
	v_fmac_f32_e32 v16, v17, v13
	v_fma_f32 v11, -v11, v16, v15
	v_div_fmas_f32 v11, v11, v13, v16
	v_div_fixup_f32 v10, v11, v12, v10
	v_add_f32_e32 v10, v14, v10
	v_mul_f32_e32 v11, 0x4b800000, v10
	v_cmp_gt_f32_e32 vcc, s7, v10
	v_cndmask_b32_e32 v10, v10, v11, vcc
	v_rsq_f32_e32 v10, v10
	v_mul_f32_e32 v11, 0x45800000, v10
	v_cndmask_b32_e32 v10, v10, v11, vcc
	v_mov_b32_e32 v11, v10
	;;#ASMSTART
	v_pk_mul_f32 v[12:13], v[18:19], v[10:11]
	;;#ASMEND
	s_waitcnt vmcnt(1)
	v_cvt_f32_u32_sdwa v19, v6 dst_sel:DWORD dst_unused:UNUSED_PAD src0_sel:WORD_1
	v_cvt_f32_u32_sdwa v18, v6 dst_sel:DWORD dst_unused:UNUSED_PAD src0_sel:WORD_0
	;;#ASMSTART
	v_pk_mul_f32 v[14:15], v[20:21], v[10:11]
	;;#ASMEND
	v_cvt_f32_u32_sdwa v21, v7 dst_sel:DWORD dst_unused:UNUSED_PAD src0_sel:WORD_1
	v_cvt_f32_u32_sdwa v20, v7 dst_sel:DWORD dst_unused:UNUSED_PAD src0_sel:WORD_0
	;;#ASMSTART
	v_pk_mul_f32 v[16:17], v[22:23], v[10:11]
	;;#ASMEND
	;;#ASMSTART
	v_pk_mul_f32 v[26:27], v[26:27], v[10:11]
	;;#ASMEND
	;; [unrolled: 3-line block ×6, first 2 shown]
	v_pk_add_f32 v[10:11], v[18:19], 1.0 op_sel_hi:[1,0]
	;;#ASMSTART
	v_pk_mul_f32 v[18:19], v[12:13], v[10:11]
	;;#ASMEND
	v_cvt_f32_u32_sdwa v13, v8 dst_sel:DWORD dst_unused:UNUSED_PAD src0_sel:WORD_1
	v_cvt_f32_u32_sdwa v12, v8 dst_sel:DWORD dst_unused:UNUSED_PAD src0_sel:WORD_0
	v_cvt_f32_u32_sdwa v29, v9 dst_sel:DWORD dst_unused:UNUSED_PAD src0_sel:WORD_1
	v_cvt_f32_u32_sdwa v28, v9 dst_sel:DWORD dst_unused:UNUSED_PAD src0_sel:WORD_0
	v_pk_add_f32 v[10:11], v[20:21], 1.0 op_sel_hi:[1,0]
	;;#ASMSTART
	v_pk_mul_f32 v[20:21], v[14:15], v[10:11]
	;;#ASMEND
	s_waitcnt vmcnt(0)
	v_cvt_f32_u32_sdwa v11, v2 dst_sel:DWORD dst_unused:UNUSED_PAD src0_sel:WORD_1
	v_cvt_f32_u32_sdwa v10, v2 dst_sel:DWORD dst_unused:UNUSED_PAD src0_sel:WORD_0
	v_pk_add_f32 v[8:9], v[12:13], 1.0 op_sel_hi:[1,0]
	;;#ASMSTART
	v_pk_mul_f32 v[22:23], v[16:17], v[8:9]
	;;#ASMEND
	v_pk_add_f32 v[8:9], v[28:29], 1.0 op_sel_hi:[1,0]
	v_cvt_f32_u32_sdwa v13, v3 dst_sel:DWORD dst_unused:UNUSED_PAD src0_sel:WORD_1
	v_cvt_f32_u32_sdwa v12, v3 dst_sel:DWORD dst_unused:UNUSED_PAD src0_sel:WORD_0
	;;#ASMSTART
	v_pk_mul_f32 v[26:27], v[26:27], v[8:9]
	;;#ASMEND
	v_cvt_f32_u32_sdwa v9, v4 dst_sel:DWORD dst_unused:UNUSED_PAD src0_sel:WORD_1
	v_cvt_f32_u32_sdwa v8, v4 dst_sel:DWORD dst_unused:UNUSED_PAD src0_sel:WORD_0
	v_pk_add_f32 v[2:3], v[10:11], 1.0 op_sel_hi:[1,0]
	v_cvt_f32_u32_sdwa v11, v5 dst_sel:DWORD dst_unused:UNUSED_PAD src0_sel:WORD_1
	v_cvt_f32_u32_sdwa v10, v5 dst_sel:DWORD dst_unused:UNUSED_PAD src0_sel:WORD_0
	;;#ASMSTART
	v_pk_mul_f32 v[24:25], v[24:25], v[2:3]
	;;#ASMEND
	v_pk_add_f32 v[2:3], v[12:13], 1.0 op_sel_hi:[1,0]
	;;#ASMSTART
	v_pk_mul_f32 v[30:31], v[30:31], v[2:3]
	;;#ASMEND
	v_pk_add_f32 v[2:3], v[8:9], 1.0 op_sel_hi:[1,0]
	;; [unrolled: 4-line block ×3, first 2 shown]
	;;#ASMSTART
	v_pk_mul_f32 v[28:29], v[6:7], v[2:3]
	;;#ASMEND
.LBB612_9:
	s_or_b64 exec, exec, s[20:21]
	s_load_dwordx2 s[26:27], s[4:5], 0x7c
	s_mov_b64 s[20:21], -1
	s_and_b64 vcc, exec, s[10:11]
	s_cbranch_vccnz .LBB612_13
; %bb.10:
	s_andn2_b64 vcc, exec, s[20:21]
	s_cbranch_vccz .LBB612_16
.LBB612_11:
	s_cmp_lt_i32 s16, 1
	s_cbranch_scc0 .LBB612_19
.LBB612_12:
	s_endpgm
.LBB612_13:
	s_and_saveexec_b64 s[10:11], s[2:3]
	s_cbranch_execz .LBB612_15
; %bb.14:
	s_waitcnt lgkmcnt(0)
	s_mul_hi_i32 s21, s27, s6
	s_mul_i32 s20, s27, s6
	s_lshl_b64 s[20:21], s[20:21], 1
	s_add_u32 s20, s14, s20
	s_addc_u32 s7, s15, s21
	s_and_b32 s21, s7, 0xffff
	s_mov_b32 s7, 0x7060302
	s_mov_b32 s23, 0x20000
	s_waitcnt vmcnt(0)
	v_perm_b32 v5, v27, v26, s7
	v_perm_b32 v4, v23, v22, s7
	;; [unrolled: 1-line block ×4, first 2 shown]
	v_lshlrev_b32_e32 v6, 5, v0
	buffer_store_dwordx4 v[2:5], v6, s[20:23], 0 offen
	;;#ASMSTART
	s_nop 0
	;;#ASMEND
	s_nop 0
	v_perm_b32 v5, v29, v28, s7
	v_perm_b32 v4, v33, v32, s7
	;; [unrolled: 1-line block ×4, first 2 shown]
	buffer_store_dwordx4 v[2:5], v6, s[20:23], 16 offen
	;;#ASMSTART
	s_nop 0
	;;#ASMEND
.LBB612_15:
	s_or_b64 exec, exec, s[10:11]
	s_cbranch_execnz .LBB612_11
.LBB612_16:
	s_and_saveexec_b64 s[10:11], s[2:3]
	s_cbranch_execz .LBB612_18
; %bb.17:
	s_load_dwordx2 s[2:3], s[4:5], 0x10
	s_waitcnt lgkmcnt(0)
	s_mul_hi_i32 s21, s26, s6
	s_mul_i32 s20, s26, s6
	s_lshl_b64 s[20:21], s[20:21], 1
	s_mov_b32 s23, 0x20000
	s_add_u32 s20, s2, s20
	s_addc_u32 s2, s3, s21
	s_and_b32 s21, s2, 0xffff
	s_mov_b32 s2, 0x7060302
	s_waitcnt vmcnt(0)
	v_perm_b32 v5, v27, v26, s2
	v_perm_b32 v4, v23, v22, s2
	;; [unrolled: 1-line block ×4, first 2 shown]
	v_lshlrev_b32_e32 v6, 5, v0
	buffer_store_dwordx4 v[2:5], v6, s[20:23], 0 offen
	;;#ASMSTART
	s_nop 0
	;;#ASMEND
	s_nop 0
	v_perm_b32 v5, v29, v28, s2
	v_perm_b32 v4, v33, v32, s2
	v_perm_b32 v3, v31, v30, s2
	v_perm_b32 v2, v25, v24, s2
	buffer_store_dwordx4 v[2:5], v6, s[20:23], 16 offen
	;;#ASMSTART
	s_nop 0
	;;#ASMEND
.LBB612_18:
	s_or_b64 exec, exec, s[10:11]
	s_cmp_lt_i32 s16, 1
	s_cbranch_scc1 .LBB612_12
.LBB612_19:
	s_load_dword s2, s[4:5], 0x94
	s_waitcnt lgkmcnt(0)
	s_cmp_lg_u32 s2, 1
	s_cbranch_scc1 .LBB612_12
; %bb.20:
	s_lshl_b32 s2, s16, 1
	s_add_i32 s2, s2, 2
	v_cmp_gt_u32_e32 vcc, s16, v1
	s_and_b32 s10, s2, -4
	v_mov_b32_e32 v18, 0
	v_lshlrev_b32_e32 v1, 5, v0
	v_mov_b32_e32 v14, 0
	v_mov_b32_e32 v15, 0
	;; [unrolled: 1-line block ×8, first 2 shown]
	s_waitcnt vmcnt(1)
	v_mov_b32_e32 v6, 0
	v_mov_b32_e32 v7, 0
	v_mov_b32_e32 v8, 0
	v_mov_b32_e32 v9, 0
	s_waitcnt vmcnt(0)
	v_mov_b32_e32 v2, 0
	v_mov_b32_e32 v3, 0
	;; [unrolled: 1-line block ×4, first 2 shown]
	s_barrier
	s_and_saveexec_b64 s[2:3], vcc
	s_cbranch_execz .LBB612_22
; %bb.21:
	s_mul_hi_i32 s5, s18, s6
	s_mul_i32 s4, s18, s6
	s_and_b32 s9, s9, 0xffff
	s_lshl_b64 s[4:5], s[4:5], 1
	s_add_u32 s20, s24, s4
	s_mov_b32 s11, 0x20000
	s_addc_u32 s4, s25, s5
	s_and_b32 s21, s4, 0xffff
	s_mov_b32 s22, s10
	s_mov_b32 s23, s11
	buffer_load_dwordx4 v[14:17], v1, s[20:23], 0 offen
	buffer_load_dwordx4 v[10:13], v1, s[20:23], 16 offen
	;; [unrolled: 1-line block ×4, first 2 shown]
.LBB612_22:
	s_or_b64 exec, exec, s[2:3]
	v_mov_b32_e32 v19, 0
	v_mov_b32_e32 v32, 0
	;; [unrolled: 1-line block ×15, first 2 shown]
	s_and_saveexec_b64 s[2:3], vcc
	s_cbranch_execz .LBB612_24
; %bb.23:
	s_waitcnt vmcnt(3)
	v_cvt_f32_u32_sdwa v18, v14 dst_sel:DWORD dst_unused:UNUSED_PAD src0_sel:WORD_0
	v_cvt_f32_u32_sdwa v19, v14 dst_sel:DWORD dst_unused:UNUSED_PAD src0_sel:WORD_1
	v_cvt_f32_u32_sdwa v32, v15 dst_sel:DWORD dst_unused:UNUSED_PAD src0_sel:WORD_0
	v_cvt_f32_u32_sdwa v33, v15 dst_sel:DWORD dst_unused:UNUSED_PAD src0_sel:WORD_1
	;; [unrolled: 2-line block ×4, first 2 shown]
	s_waitcnt vmcnt(2)
	v_cvt_f32_u32_sdwa v26, v10 dst_sel:DWORD dst_unused:UNUSED_PAD src0_sel:WORD_0
	v_cvt_f32_u32_sdwa v27, v10 dst_sel:DWORD dst_unused:UNUSED_PAD src0_sel:WORD_1
	v_cvt_f32_u32_sdwa v24, v11 dst_sel:DWORD dst_unused:UNUSED_PAD src0_sel:WORD_0
	v_cvt_f32_u32_sdwa v25, v11 dst_sel:DWORD dst_unused:UNUSED_PAD src0_sel:WORD_1
	;; [unrolled: 2-line block ×4, first 2 shown]
.LBB612_24:
	s_or_b64 exec, exec, s[2:3]
	s_waitcnt vmcnt(2)
	v_mul_f32_e32 v10, v19, v19
	v_fmac_f32_e32 v10, v18, v18
	v_fmac_f32_e32 v10, v32, v32
	;; [unrolled: 1-line block ×15, first 2 shown]
	s_nop 1
	v_mov_b32_dpp v11, v10 quad_perm:[1,0,3,2] row_mask:0xf bank_mask:0xf
	v_add_f32_e32 v10, v10, v11
	s_nop 1
	v_mov_b32_dpp v11, v10 quad_perm:[2,3,0,1] row_mask:0xf bank_mask:0xf
	v_add_f32_e32 v10, v10, v11
	s_nop 1
	v_mov_b32_dpp v11, v10 row_half_mirror row_mask:0xf bank_mask:0xf
	v_add_f32_e32 v10, v10, v11
	s_nop 1
	v_mov_b32_dpp v11, v10 row_mirror row_mask:0xf bank_mask:0xf
	v_add_f32_e32 v10, v10, v11
	s_nop 1
	v_mov_b32_dpp v11, v10 row_bcast:15 row_mask:0xf bank_mask:0xf
	v_add_f32_e32 v10, v10, v11
	s_nop 1
	v_mov_b32_dpp v11, v10 row_bcast:31 row_mask:0xf bank_mask:0xf
	s_and_saveexec_b64 s[2:3], s[0:1]
	s_cbranch_execz .LBB612_26
; %bb.25:
	v_lshrrev_b32_e32 v0, 4, v0
	v_add_f32_e32 v10, v10, v11
	v_and_b32_e32 v0, 60, v0
	ds_write_b32 v0, v10
.LBB612_26:
	s_or_b64 exec, exec, s[2:3]
	s_waitcnt lgkmcnt(0)
	s_barrier
	ds_read_b32 v0, v34
	s_waitcnt lgkmcnt(0)
	s_nop 0
	v_mov_b32_dpp v10, v0 quad_perm:[1,0,3,2] row_mask:0xf bank_mask:0xf
	s_and_saveexec_b64 s[0:1], vcc
	s_cbranch_execz .LBB612_12
; %bb.27:
	v_cvt_f32_u32_e32 v11, s16
	v_add_f32_e32 v0, v0, v10
	s_mov_b32 s11, 0x20000
	v_div_scale_f32 v10, s[0:1], v11, v11, v0
	v_rcp_f32_e32 v12, v10
	v_div_scale_f32 v13, vcc, v0, v11, v0
	s_mov_b32 s0, 0x800000
	v_fma_f32 v14, -v10, v12, 1.0
	v_fmac_f32_e32 v12, v14, v12
	v_mul_f32_e32 v14, v13, v12
	v_fma_f32 v15, -v10, v14, v13
	v_fmac_f32_e32 v14, v15, v12
	v_fma_f32 v10, -v10, v14, v13
	v_div_fmas_f32 v10, v10, v12, v14
	v_div_fixup_f32 v0, v10, v11, v0
	v_add_f32_e32 v0, s13, v0
	v_mul_f32_e32 v10, 0x4b800000, v0
	v_cmp_gt_f32_e32 vcc, s0, v0
	v_cndmask_b32_e32 v0, v0, v10, vcc
	v_rsq_f32_e32 v0, v0
	s_mul_hi_i32 s1, s27, s6
	s_mul_i32 s0, s27, s6
	s_lshl_b64 s[0:1], s[0:1], 1
	v_mul_f32_e32 v10, 0x45800000, v0
	v_cndmask_b32_e32 v10, v0, v10, vcc
	v_mov_b32_e32 v11, v10
	;;#ASMSTART
	v_pk_mul_f32 v[12:13], v[18:19], v[10:11]
	;;#ASMEND
	;;#ASMSTART
	v_pk_mul_f32 v[14:15], v[32:33], v[10:11]
	;;#ASMEND
	;; [unrolled: 3-line block ×4, first 2 shown]
	s_waitcnt vmcnt(1)
	v_cvt_f32_u32_sdwa v29, v6 dst_sel:DWORD dst_unused:UNUSED_PAD src0_sel:WORD_1
	v_cvt_f32_u32_sdwa v28, v6 dst_sel:DWORD dst_unused:UNUSED_PAD src0_sel:WORD_0
	v_cvt_f32_u32_sdwa v31, v7 dst_sel:DWORD dst_unused:UNUSED_PAD src0_sel:WORD_1
	v_cvt_f32_u32_sdwa v30, v7 dst_sel:DWORD dst_unused:UNUSED_PAD src0_sel:WORD_0
	;;#ASMSTART
	v_pk_mul_f32 v[26:27], v[26:27], v[10:11]
	;;#ASMEND
	;;#ASMSTART
	v_pk_mul_f32 v[24:25], v[24:25], v[10:11]
	;;#ASMEND
	;; [unrolled: 3-line block ×4, first 2 shown]
	v_cvt_f32_u32_sdwa v21, v8 dst_sel:DWORD dst_unused:UNUSED_PAD src0_sel:WORD_1
	v_cvt_f32_u32_sdwa v20, v8 dst_sel:DWORD dst_unused:UNUSED_PAD src0_sel:WORD_0
	v_pk_add_f32 v[10:11], v[28:29], 1.0 op_sel_hi:[1,0]
	;;#ASMSTART
	v_pk_mul_f32 v[10:11], v[12:13], v[10:11]
	;;#ASMEND
	v_pk_add_f32 v[12:13], v[30:31], 1.0 op_sel_hi:[1,0]
	v_cvt_f32_u32_sdwa v29, v9 dst_sel:DWORD dst_unused:UNUSED_PAD src0_sel:WORD_1
	v_cvt_f32_u32_sdwa v28, v9 dst_sel:DWORD dst_unused:UNUSED_PAD src0_sel:WORD_0
	;;#ASMSTART
	v_pk_mul_f32 v[8:9], v[14:15], v[12:13]
	;;#ASMEND
	v_pk_add_f32 v[12:13], v[20:21], 1.0 op_sel_hi:[1,0]
	;;#ASMSTART
	v_pk_mul_f32 v[12:13], v[16:17], v[12:13]
	;;#ASMEND
	s_waitcnt vmcnt(0)
	v_cvt_f32_u32_sdwa v17, v2 dst_sel:DWORD dst_unused:UNUSED_PAD src0_sel:WORD_1
	v_cvt_f32_u32_sdwa v16, v2 dst_sel:DWORD dst_unused:UNUSED_PAD src0_sel:WORD_0
	v_cvt_f32_u32_sdwa v21, v3 dst_sel:DWORD dst_unused:UNUSED_PAD src0_sel:WORD_1
	v_cvt_f32_u32_sdwa v20, v3 dst_sel:DWORD dst_unused:UNUSED_PAD src0_sel:WORD_0
	v_pk_add_f32 v[14:15], v[28:29], 1.0 op_sel_hi:[1,0]
	;;#ASMSTART
	v_pk_mul_f32 v[14:15], v[18:19], v[14:15]
	;;#ASMEND
	v_pk_add_f32 v[2:3], v[16:17], 1.0 op_sel_hi:[1,0]
	v_cvt_f32_u32_sdwa v19, v4 dst_sel:DWORD dst_unused:UNUSED_PAD src0_sel:WORD_1
	v_cvt_f32_u32_sdwa v18, v4 dst_sel:DWORD dst_unused:UNUSED_PAD src0_sel:WORD_0
	;;#ASMSTART
	v_pk_mul_f32 v[16:17], v[26:27], v[2:3]
	;;#ASMEND
	v_pk_add_f32 v[2:3], v[20:21], 1.0 op_sel_hi:[1,0]
	v_cvt_f32_u32_sdwa v21, v5 dst_sel:DWORD dst_unused:UNUSED_PAD src0_sel:WORD_1
	v_cvt_f32_u32_sdwa v20, v5 dst_sel:DWORD dst_unused:UNUSED_PAD src0_sel:WORD_0
	s_add_u32 s8, s14, s0
	;;#ASMSTART
	v_pk_mul_f32 v[24:25], v[24:25], v[2:3]
	;;#ASMEND
	v_pk_add_f32 v[2:3], v[18:19], 1.0 op_sel_hi:[1,0]
	s_addc_u32 s0, s15, s1
	;;#ASMSTART
	v_pk_mul_f32 v[18:19], v[22:23], v[2:3]
	;;#ASMEND
	v_pk_add_f32 v[2:3], v[20:21], 1.0 op_sel_hi:[1,0]
	s_and_b32 s9, s0, 0xffff
	s_mov_b32 s0, 0x7060302
	;;#ASMSTART
	v_pk_mul_f32 v[6:7], v[6:7], v[2:3]
	;;#ASMEND
	v_perm_b32 v2, v11, v10, s0
	v_perm_b32 v3, v9, v8, s0
	v_perm_b32 v4, v13, v12, s0
	v_perm_b32 v5, v15, v14, s0
	buffer_store_dwordx4 v[2:5], v1, s[8:11], 0 offen
	;;#ASMSTART
	s_nop 0
	;;#ASMEND
	s_nop 0
	v_perm_b32 v2, v17, v16, s0
	v_perm_b32 v3, v25, v24, s0
	;; [unrolled: 1-line block ×4, first 2 shown]
	buffer_store_dwordx4 v[2:5], v1, s[8:11], 16 offen
	;;#ASMSTART
	s_nop 0
	;;#ASMEND
	s_endpgm
	.section	.rodata,"a",@progbits
	.p2align	6, 0x0
	.amdhsa_kernel _ZN5aiter35fused_qk_rmsnorm_group_quant_kernelItN4opus5fp4_tELi128ELi16ELi8ELb0ELb1ELb1ELb1ELb0ELb0EEEvPT0_PvPT_S7_S7_PKS6_S9_S9_S9_S9_ffiiiiiiiiiiiii
		.amdhsa_group_segment_fixed_size 16
		.amdhsa_private_segment_fixed_size 0
		.amdhsa_kernarg_size 400
		.amdhsa_user_sgpr_count 6
		.amdhsa_user_sgpr_private_segment_buffer 1
		.amdhsa_user_sgpr_dispatch_ptr 0
		.amdhsa_user_sgpr_queue_ptr 0
		.amdhsa_user_sgpr_kernarg_segment_ptr 1
		.amdhsa_user_sgpr_dispatch_id 0
		.amdhsa_user_sgpr_flat_scratch_init 0
		.amdhsa_user_sgpr_kernarg_preload_length 0
		.amdhsa_user_sgpr_kernarg_preload_offset 0
		.amdhsa_user_sgpr_private_segment_size 0
		.amdhsa_uses_dynamic_stack 0
		.amdhsa_system_sgpr_private_segment_wavefront_offset 0
		.amdhsa_system_sgpr_workgroup_id_x 1
		.amdhsa_system_sgpr_workgroup_id_y 1
		.amdhsa_system_sgpr_workgroup_id_z 0
		.amdhsa_system_sgpr_workgroup_info 0
		.amdhsa_system_vgpr_workitem_id 0
		.amdhsa_next_free_vgpr 35
		.amdhsa_next_free_sgpr 32
		.amdhsa_accum_offset 36
		.amdhsa_reserve_vcc 1
		.amdhsa_reserve_flat_scratch 0
		.amdhsa_float_round_mode_32 0
		.amdhsa_float_round_mode_16_64 0
		.amdhsa_float_denorm_mode_32 3
		.amdhsa_float_denorm_mode_16_64 3
		.amdhsa_dx10_clamp 1
		.amdhsa_ieee_mode 1
		.amdhsa_fp16_overflow 0
		.amdhsa_tg_split 0
		.amdhsa_exception_fp_ieee_invalid_op 0
		.amdhsa_exception_fp_denorm_src 0
		.amdhsa_exception_fp_ieee_div_zero 0
		.amdhsa_exception_fp_ieee_overflow 0
		.amdhsa_exception_fp_ieee_underflow 0
		.amdhsa_exception_fp_ieee_inexact 0
		.amdhsa_exception_int_div_zero 0
	.end_amdhsa_kernel
	.section	.text._ZN5aiter35fused_qk_rmsnorm_group_quant_kernelItN4opus5fp4_tELi128ELi16ELi8ELb0ELb1ELb1ELb1ELb0ELb0EEEvPT0_PvPT_S7_S7_PKS6_S9_S9_S9_S9_ffiiiiiiiiiiiii,"axG",@progbits,_ZN5aiter35fused_qk_rmsnorm_group_quant_kernelItN4opus5fp4_tELi128ELi16ELi8ELb0ELb1ELb1ELb1ELb0ELb0EEEvPT0_PvPT_S7_S7_PKS6_S9_S9_S9_S9_ffiiiiiiiiiiiii,comdat
.Lfunc_end612:
	.size	_ZN5aiter35fused_qk_rmsnorm_group_quant_kernelItN4opus5fp4_tELi128ELi16ELi8ELb0ELb1ELb1ELb1ELb0ELb0EEEvPT0_PvPT_S7_S7_PKS6_S9_S9_S9_S9_ffiiiiiiiiiiiii, .Lfunc_end612-_ZN5aiter35fused_qk_rmsnorm_group_quant_kernelItN4opus5fp4_tELi128ELi16ELi8ELb0ELb1ELb1ELb1ELb0ELb0EEEvPT0_PvPT_S7_S7_PKS6_S9_S9_S9_S9_ffiiiiiiiiiiiii
                                        ; -- End function
	.section	.AMDGPU.csdata,"",@progbits
; Kernel info:
; codeLenInByte = 2908
; NumSgprs: 36
; NumVgprs: 35
; NumAgprs: 0
; TotalNumVgprs: 35
; ScratchSize: 0
; MemoryBound: 0
; FloatMode: 240
; IeeeMode: 1
; LDSByteSize: 16 bytes/workgroup (compile time only)
; SGPRBlocks: 4
; VGPRBlocks: 4
; NumSGPRsForWavesPerEU: 36
; NumVGPRsForWavesPerEU: 35
; AccumOffset: 36
; Occupancy: 8
; WaveLimiterHint : 0
; COMPUTE_PGM_RSRC2:SCRATCH_EN: 0
; COMPUTE_PGM_RSRC2:USER_SGPR: 6
; COMPUTE_PGM_RSRC2:TRAP_HANDLER: 0
; COMPUTE_PGM_RSRC2:TGID_X_EN: 1
; COMPUTE_PGM_RSRC2:TGID_Y_EN: 1
; COMPUTE_PGM_RSRC2:TGID_Z_EN: 0
; COMPUTE_PGM_RSRC2:TIDIG_COMP_CNT: 0
; COMPUTE_PGM_RSRC3_GFX90A:ACCUM_OFFSET: 8
; COMPUTE_PGM_RSRC3_GFX90A:TG_SPLIT: 0
	.section	.text._ZN5aiter35fused_qk_rmsnorm_group_quant_kernelIDF16_DB8_Li128ELi16ELi8ELb0ELb1ELb0ELb1ELb0ELb0EEEvPT0_PvPT_S6_S6_PKS5_S8_S8_S8_S8_ffiiiiiiiiiiiii,"axG",@progbits,_ZN5aiter35fused_qk_rmsnorm_group_quant_kernelIDF16_DB8_Li128ELi16ELi8ELb0ELb1ELb0ELb1ELb0ELb0EEEvPT0_PvPT_S6_S6_PKS5_S8_S8_S8_S8_ffiiiiiiiiiiiii,comdat
	.protected	_ZN5aiter35fused_qk_rmsnorm_group_quant_kernelIDF16_DB8_Li128ELi16ELi8ELb0ELb1ELb0ELb1ELb0ELb0EEEvPT0_PvPT_S6_S6_PKS5_S8_S8_S8_S8_ffiiiiiiiiiiiii ; -- Begin function _ZN5aiter35fused_qk_rmsnorm_group_quant_kernelIDF16_DB8_Li128ELi16ELi8ELb0ELb1ELb0ELb1ELb0ELb0EEEvPT0_PvPT_S6_S6_PKS5_S8_S8_S8_S8_ffiiiiiiiiiiiii
	.globl	_ZN5aiter35fused_qk_rmsnorm_group_quant_kernelIDF16_DB8_Li128ELi16ELi8ELb0ELb1ELb0ELb1ELb0ELb0EEEvPT0_PvPT_S6_S6_PKS5_S8_S8_S8_S8_ffiiiiiiiiiiiii
	.p2align	8
	.type	_ZN5aiter35fused_qk_rmsnorm_group_quant_kernelIDF16_DB8_Li128ELi16ELi8ELb0ELb1ELb0ELb1ELb0ELb0EEEvPT0_PvPT_S6_S6_PKS5_S8_S8_S8_S8_ffiiiiiiiiiiiii,@function
_ZN5aiter35fused_qk_rmsnorm_group_quant_kernelIDF16_DB8_Li128ELi16ELi8ELb0ELb1ELb0ELb1ELb0ELb0EEEvPT0_PvPT_S6_S6_PKS5_S8_S8_S8_S8_ffiiiiiiiiiiiii: ; @_ZN5aiter35fused_qk_rmsnorm_group_quant_kernelIDF16_DB8_Li128ELi16ELi8ELb0ELb1ELb0ELb1ELb0ELb0EEEvPT0_PvPT_S6_S6_PKS5_S8_S8_S8_S8_ffiiiiiiiiiiiii
; %bb.0:
	s_load_dwordx4 s[12:15], s[4:5], 0x50
	s_waitcnt lgkmcnt(0)
	s_cmp_ge_i32 s6, s14
	s_cbranch_scc1 .LBB613_12
; %bb.1:
	s_load_dwordx2 s[24:25], s[4:5], 0x30
	s_load_dwordx2 s[8:9], s[4:5], 0x48
	s_load_dwordx4 s[16:19], s[4:5], 0x60
	s_cmp_lg_u32 s7, 0
	s_cselect_b64 s[10:11], -1, 0
	s_cmp_eq_u32 s7, 0
	s_cselect_b64 vcc, -1, 0
	s_and_b64 s[0:1], vcc, exec
	s_waitcnt lgkmcnt(0)
	s_cselect_b32 s7, s15, s16
	s_add_i32 s0, s7, 1
	s_lshr_b32 s1, s0, 31
	s_add_i32 s0, s0, s1
	s_lshl_b32 s0, s0, 1
	v_lshlrev_b32_e32 v1, 4, v0
	s_and_b32 s22, s0, -4
	v_cmp_gt_i32_e64 s[2:3], s7, v1
	v_mov_b32_e32 v18, 0
	v_mov_b32_e32 v6, 0
	;; [unrolled: 1-line block ×17, first 2 shown]
	s_and_saveexec_b64 s[0:1], s[2:3]
	s_cbranch_execz .LBB613_3
; %bb.2:
	s_load_dwordx2 s[14:15], s[4:5], 0x28
	s_load_dwordx2 s[20:21], s[4:5], 0x40
	s_and_b64 s[26:27], vcc, exec
	s_cselect_b32 s17, s17, s18
	s_mov_b32 s30, s22
	s_waitcnt lgkmcnt(0)
	s_cselect_b32 s19, s15, s25
	s_cselect_b32 s23, s14, s24
	s_mul_hi_i32 s15, s17, s6
	s_mul_i32 s14, s17, s6
	s_lshl_b64 s[14:15], s[14:15], 1
	s_add_u32 s28, s23, s14
	s_addc_u32 s17, s19, s15
	s_and_b64 s[14:15], vcc, exec
	s_mov_b32 s23, 0x20000
	s_cselect_b32 s20, s20, s8
	s_cselect_b32 s14, s21, s9
	s_and_b32 s29, s17, 0xffff
	s_mov_b32 s31, s23
	v_lshlrev_b32_e32 v19, 5, v0
	s_and_b32 s21, s14, 0xffff
	buffer_load_dwordx4 v[14:17], v19, s[28:31], 0 offen
	buffer_load_dwordx4 v[10:13], v19, s[28:31], 16 offen
	;; [unrolled: 1-line block ×4, first 2 shown]
.LBB613_3:
	s_or_b64 exec, exec, s[0:1]
	v_mov_b32_e32 v19, 0
	v_mov_b32_e32 v20, 0
	v_mov_b32_e32 v21, 0
	v_mov_b32_e32 v22, 0
	v_mov_b32_e32 v23, 0
	v_mov_b32_e32 v26, 0
	v_mov_b32_e32 v27, 0
	v_mov_b32_e32 v24, 0
	v_mov_b32_e32 v25, 0
	v_mov_b32_e32 v28, 0
	v_mov_b32_e32 v29, 0
	v_mov_b32_e32 v30, 0
	v_mov_b32_e32 v31, 0
	v_mov_b32_e32 v32, 0
	v_mov_b32_e32 v33, 0
	s_and_saveexec_b64 s[0:1], s[2:3]
	s_cbranch_execz .LBB613_5
; %bb.4:
	s_waitcnt vmcnt(3)
	v_cvt_f32_f16_sdwa v19, v14 dst_sel:DWORD dst_unused:UNUSED_PAD src0_sel:WORD_1
	v_cvt_f32_f16_e32 v18, v14
	v_cvt_f32_f16_sdwa v21, v15 dst_sel:DWORD dst_unused:UNUSED_PAD src0_sel:WORD_1
	v_cvt_f32_f16_e32 v20, v15
	;; [unrolled: 2-line block ×4, first 2 shown]
	s_waitcnt vmcnt(2)
	v_cvt_f32_f16_sdwa v25, v10 dst_sel:DWORD dst_unused:UNUSED_PAD src0_sel:WORD_1
	v_cvt_f32_f16_e32 v24, v10
	v_cvt_f32_f16_sdwa v29, v11 dst_sel:DWORD dst_unused:UNUSED_PAD src0_sel:WORD_1
	v_cvt_f32_f16_e32 v28, v11
	;; [unrolled: 2-line block ×4, first 2 shown]
.LBB613_5:
	s_or_b64 exec, exec, s[0:1]
	s_waitcnt vmcnt(2)
	v_mul_f32_e32 v10, v19, v19
	v_fmac_f32_e32 v10, v18, v18
	v_fmac_f32_e32 v10, v20, v20
	;; [unrolled: 1-line block ×15, first 2 shown]
	v_and_b32_e32 v12, 63, v0
	v_cmp_eq_u32_e64 s[0:1], 63, v12
	v_mov_b32_dpp v11, v10 quad_perm:[1,0,3,2] row_mask:0xf bank_mask:0xf
	v_add_f32_e32 v10, v10, v11
	s_nop 1
	v_mov_b32_dpp v11, v10 quad_perm:[2,3,0,1] row_mask:0xf bank_mask:0xf
	v_add_f32_e32 v10, v10, v11
	s_nop 1
	v_mov_b32_dpp v11, v10 row_half_mirror row_mask:0xf bank_mask:0xf
	v_add_f32_e32 v10, v10, v11
	s_nop 1
	v_mov_b32_dpp v11, v10 row_mirror row_mask:0xf bank_mask:0xf
	v_add_f32_e32 v10, v10, v11
	s_nop 1
	v_mov_b32_dpp v11, v10 row_bcast:15 row_mask:0xf bank_mask:0xf
	v_add_f32_e32 v10, v10, v11
	s_nop 1
	v_mov_b32_dpp v11, v10 row_bcast:31 row_mask:0xf bank_mask:0xf
	s_and_saveexec_b64 s[14:15], s[0:1]
	s_cbranch_execz .LBB613_7
; %bb.6:
	v_add_f32_e32 v10, v10, v11
	v_lshrrev_b32_e32 v11, 4, v0
	v_and_b32_e32 v11, 60, v11
	ds_write_b32 v11, v10 offset:8
.LBB613_7:
	s_or_b64 exec, exec, s[14:15]
	v_and_b32_e32 v10, 1, v0
	v_lshlrev_b32_e32 v34, 2, v10
	s_waitcnt lgkmcnt(0)
	s_barrier
	ds_read_b32 v10, v34 offset:8
	s_load_dwordx2 s[14:15], s[4:5], 0x18
	s_waitcnt lgkmcnt(0)
	v_mov_b32_dpp v11, v10 quad_perm:[1,0,3,2] row_mask:0xf bank_mask:0xf
	s_and_saveexec_b64 s[20:21], s[2:3]
	s_cbranch_execz .LBB613_9
; %bb.8:
	v_cvt_f32_u32_e32 v12, s7
	v_add_f32_e32 v10, v10, v11
	v_mov_b32_e32 v14, s13
	v_mov_b32_e32 v15, s12
	v_div_scale_f32 v11, s[26:27], v12, v12, v10
	v_rcp_f32_e32 v13, v11
	v_cndmask_b32_e32 v14, v14, v15, vcc
	s_mov_b32 s7, 0x800000
	v_fma_f32 v15, -v11, v13, 1.0
	v_fmac_f32_e32 v13, v15, v13
	v_div_scale_f32 v15, vcc, v10, v12, v10
	v_mul_f32_e32 v16, v15, v13
	v_fma_f32 v17, -v11, v16, v15
	v_fmac_f32_e32 v16, v17, v13
	v_fma_f32 v11, -v11, v16, v15
	v_div_fmas_f32 v11, v11, v13, v16
	v_div_fixup_f32 v10, v11, v12, v10
	v_add_f32_e32 v10, v14, v10
	v_mul_f32_e32 v11, 0x4b800000, v10
	v_cmp_gt_f32_e32 vcc, s7, v10
	v_cndmask_b32_e32 v10, v10, v11, vcc
	v_rsq_f32_e32 v10, v10
	v_mul_f32_e32 v11, 0x45800000, v10
	v_cndmask_b32_e32 v10, v10, v11, vcc
	v_mov_b32_e32 v11, v10
	;;#ASMSTART
	v_pk_mul_f32 v[12:13], v[18:19], v[10:11]
	;;#ASMEND
	;;#ASMSTART
	v_pk_mul_f32 v[14:15], v[20:21], v[10:11]
	;;#ASMEND
	;; [unrolled: 3-line block ×8, first 2 shown]
	s_waitcnt vmcnt(1)
	v_cvt_f32_f16_sdwa v19, v6 dst_sel:DWORD dst_unused:UNUSED_PAD src0_sel:WORD_1
	v_cvt_f32_f16_e32 v18, v6
	v_cvt_f32_f16_sdwa v21, v7 dst_sel:DWORD dst_unused:UNUSED_PAD src0_sel:WORD_1
	v_cvt_f32_f16_e32 v20, v7
	;; [unrolled: 2-line block ×4, first 2 shown]
	;;#ASMSTART
	v_pk_mul_f32 v[18:19], v[12:13], v[18:19]
	;;#ASMEND
	;;#ASMSTART
	v_pk_mul_f32 v[20:21], v[14:15], v[20:21]
	;;#ASMEND
	;;#ASMSTART
	v_pk_mul_f32 v[22:23], v[16:17], v[6:7]
	;;#ASMEND
	;;#ASMSTART
	v_pk_mul_f32 v[26:27], v[26:27], v[32:33]
	;;#ASMEND
	s_waitcnt vmcnt(0)
	v_cvt_f32_f16_sdwa v7, v2 dst_sel:DWORD dst_unused:UNUSED_PAD src0_sel:WORD_1
	v_cvt_f32_f16_e32 v6, v2
	v_cvt_f32_f16_sdwa v9, v3 dst_sel:DWORD dst_unused:UNUSED_PAD src0_sel:WORD_1
	v_cvt_f32_f16_e32 v8, v3
	;; [unrolled: 2-line block ×4, first 2 shown]
	;;#ASMSTART
	v_pk_mul_f32 v[24:25], v[24:25], v[6:7]
	;;#ASMEND
	;;#ASMSTART
	v_pk_mul_f32 v[28:29], v[28:29], v[8:9]
	;;#ASMEND
	;; [unrolled: 3-line block ×4, first 2 shown]
.LBB613_9:
	s_or_b64 exec, exec, s[20:21]
	s_load_dwordx2 s[26:27], s[4:5], 0x7c
	s_mov_b64 s[20:21], -1
	s_and_b64 vcc, exec, s[10:11]
	s_cbranch_vccnz .LBB613_13
; %bb.10:
	s_andn2_b64 vcc, exec, s[20:21]
	s_cbranch_vccz .LBB613_16
.LBB613_11:
	s_cmp_lt_i32 s16, 1
	s_cbranch_scc0 .LBB613_19
.LBB613_12:
	s_endpgm
.LBB613_13:
	s_and_saveexec_b64 s[10:11], s[2:3]
	s_cbranch_execz .LBB613_15
; %bb.14:
	s_waitcnt lgkmcnt(0)
	s_mul_hi_i32 s21, s27, s6
	s_mul_i32 s20, s27, s6
	s_waitcnt vmcnt(0)
	v_cvt_f16_f32_e32 v2, v18
	v_cvt_f16_f32_e32 v3, v20
	;; [unrolled: 1-line block ×8, first 2 shown]
	s_lshl_b64 s[20:21], s[20:21], 1
	s_add_u32 s20, s14, s20
	s_addc_u32 s7, s15, s21
	s_and_b32 s21, s7, 0xffff
	s_mov_b32 s23, 0x20000
	v_pack_b32_f16 v5, v5, v6
	v_pack_b32_f16 v4, v4, v7
	;; [unrolled: 1-line block ×4, first 2 shown]
	v_lshlrev_b32_e32 v6, 5, v0
	buffer_store_dwordx4 v[2:5], v6, s[20:23], 0 offen
	v_cvt_f16_f32_e32 v7, v33
	v_cvt_f16_f32_e32 v2, v24
	;; [unrolled: 1-line block ×8, first 2 shown]
	v_pack_b32_f16 v5, v5, v7
	v_pack_b32_f16 v4, v4, v8
	;; [unrolled: 1-line block ×4, first 2 shown]
	;;#ASMSTART
	s_nop 0
	;;#ASMEND
	buffer_store_dwordx4 v[2:5], v6, s[20:23], 16 offen
	;;#ASMSTART
	s_nop 0
	;;#ASMEND
.LBB613_15:
	s_or_b64 exec, exec, s[10:11]
	s_cbranch_execnz .LBB613_11
.LBB613_16:
	s_and_saveexec_b64 s[10:11], s[2:3]
	s_cbranch_execz .LBB613_18
; %bb.17:
	s_load_dwordx2 s[2:3], s[4:5], 0x10
	s_waitcnt lgkmcnt(0)
	s_mul_hi_i32 s21, s26, s6
	s_mul_i32 s20, s26, s6
	s_waitcnt vmcnt(0)
	v_cvt_f16_f32_e32 v2, v18
	v_cvt_f16_f32_e32 v3, v20
	;; [unrolled: 1-line block ×8, first 2 shown]
	s_lshl_b64 s[20:21], s[20:21], 1
	s_add_u32 s20, s2, s20
	s_addc_u32 s2, s3, s21
	s_mov_b32 s23, 0x20000
	s_and_b32 s21, s2, 0xffff
	v_pack_b32_f16 v5, v5, v6
	v_pack_b32_f16 v4, v4, v7
	;; [unrolled: 1-line block ×4, first 2 shown]
	v_lshlrev_b32_e32 v6, 5, v0
	buffer_store_dwordx4 v[2:5], v6, s[20:23], 0 offen
	v_cvt_f16_f32_e32 v7, v33
	v_cvt_f16_f32_e32 v2, v24
	;; [unrolled: 1-line block ×8, first 2 shown]
	v_pack_b32_f16 v5, v5, v7
	v_pack_b32_f16 v4, v4, v8
	;; [unrolled: 1-line block ×4, first 2 shown]
	;;#ASMSTART
	s_nop 0
	;;#ASMEND
	buffer_store_dwordx4 v[2:5], v6, s[20:23], 16 offen
	;;#ASMSTART
	s_nop 0
	;;#ASMEND
.LBB613_18:
	s_or_b64 exec, exec, s[10:11]
	s_cmp_lt_i32 s16, 1
	s_cbranch_scc1 .LBB613_12
.LBB613_19:
	s_load_dword s2, s[4:5], 0x94
	s_waitcnt lgkmcnt(0)
	s_cmp_lg_u32 s2, 1
	s_cbranch_scc1 .LBB613_12
; %bb.20:
	s_lshl_b32 s2, s16, 1
	s_add_i32 s2, s2, 2
	v_cmp_gt_u32_e32 vcc, s16, v1
	s_and_b32 s10, s2, -4
	v_mov_b32_e32 v18, 0
	v_lshlrev_b32_e32 v1, 5, v0
	v_mov_b32_e32 v14, 0
	v_mov_b32_e32 v15, 0
	;; [unrolled: 1-line block ×8, first 2 shown]
	s_waitcnt vmcnt(1)
	v_mov_b32_e32 v6, 0
	v_mov_b32_e32 v7, 0
	;; [unrolled: 1-line block ×4, first 2 shown]
	s_waitcnt vmcnt(0)
	v_mov_b32_e32 v2, 0
	v_mov_b32_e32 v3, 0
	;; [unrolled: 1-line block ×4, first 2 shown]
	s_barrier
	s_and_saveexec_b64 s[2:3], vcc
	s_cbranch_execz .LBB613_22
; %bb.21:
	s_mul_hi_i32 s5, s18, s6
	s_mul_i32 s4, s18, s6
	s_and_b32 s9, s9, 0xffff
	s_lshl_b64 s[4:5], s[4:5], 1
	s_add_u32 s20, s24, s4
	s_mov_b32 s11, 0x20000
	s_addc_u32 s4, s25, s5
	s_and_b32 s21, s4, 0xffff
	s_mov_b32 s22, s10
	s_mov_b32 s23, s11
	buffer_load_dwordx4 v[14:17], v1, s[20:23], 0 offen
	buffer_load_dwordx4 v[10:13], v1, s[20:23], 16 offen
	;; [unrolled: 1-line block ×4, first 2 shown]
.LBB613_22:
	s_or_b64 exec, exec, s[2:3]
	v_mov_b32_e32 v19, 0
	v_mov_b32_e32 v32, 0
	;; [unrolled: 1-line block ×15, first 2 shown]
	s_and_saveexec_b64 s[2:3], vcc
	s_cbranch_execz .LBB613_24
; %bb.23:
	s_waitcnt vmcnt(3)
	v_cvt_f32_f16_sdwa v19, v14 dst_sel:DWORD dst_unused:UNUSED_PAD src0_sel:WORD_1
	v_cvt_f32_f16_e32 v18, v14
	v_cvt_f32_f16_sdwa v33, v15 dst_sel:DWORD dst_unused:UNUSED_PAD src0_sel:WORD_1
	v_cvt_f32_f16_e32 v32, v15
	;; [unrolled: 2-line block ×4, first 2 shown]
	s_waitcnt vmcnt(2)
	v_cvt_f32_f16_sdwa v27, v10 dst_sel:DWORD dst_unused:UNUSED_PAD src0_sel:WORD_1
	v_cvt_f32_f16_e32 v26, v10
	v_cvt_f32_f16_sdwa v25, v11 dst_sel:DWORD dst_unused:UNUSED_PAD src0_sel:WORD_1
	v_cvt_f32_f16_e32 v24, v11
	;; [unrolled: 2-line block ×4, first 2 shown]
.LBB613_24:
	s_or_b64 exec, exec, s[2:3]
	s_waitcnt vmcnt(2)
	v_mul_f32_e32 v10, v19, v19
	v_fmac_f32_e32 v10, v18, v18
	v_fmac_f32_e32 v10, v32, v32
	;; [unrolled: 1-line block ×15, first 2 shown]
	s_nop 1
	v_mov_b32_dpp v11, v10 quad_perm:[1,0,3,2] row_mask:0xf bank_mask:0xf
	v_add_f32_e32 v10, v10, v11
	s_nop 1
	v_mov_b32_dpp v11, v10 quad_perm:[2,3,0,1] row_mask:0xf bank_mask:0xf
	v_add_f32_e32 v10, v10, v11
	s_nop 1
	v_mov_b32_dpp v11, v10 row_half_mirror row_mask:0xf bank_mask:0xf
	v_add_f32_e32 v10, v10, v11
	s_nop 1
	v_mov_b32_dpp v11, v10 row_mirror row_mask:0xf bank_mask:0xf
	v_add_f32_e32 v10, v10, v11
	s_nop 1
	v_mov_b32_dpp v11, v10 row_bcast:15 row_mask:0xf bank_mask:0xf
	v_add_f32_e32 v10, v10, v11
	s_nop 1
	v_mov_b32_dpp v11, v10 row_bcast:31 row_mask:0xf bank_mask:0xf
	s_and_saveexec_b64 s[2:3], s[0:1]
	s_cbranch_execz .LBB613_26
; %bb.25:
	v_lshrrev_b32_e32 v0, 4, v0
	v_add_f32_e32 v10, v10, v11
	v_and_b32_e32 v0, 60, v0
	ds_write_b32 v0, v10
.LBB613_26:
	s_or_b64 exec, exec, s[2:3]
	s_waitcnt lgkmcnt(0)
	s_barrier
	ds_read_b32 v0, v34
	s_waitcnt lgkmcnt(0)
	s_nop 0
	v_mov_b32_dpp v10, v0 quad_perm:[1,0,3,2] row_mask:0xf bank_mask:0xf
	s_and_saveexec_b64 s[0:1], vcc
	s_cbranch_execz .LBB613_12
; %bb.27:
	v_cvt_f32_u32_e32 v11, s16
	v_add_f32_e32 v0, v0, v10
	s_mov_b32 s11, 0x20000
	v_div_scale_f32 v10, s[0:1], v11, v11, v0
	v_rcp_f32_e32 v12, v10
	v_div_scale_f32 v13, vcc, v0, v11, v0
	s_mov_b32 s0, 0x800000
	v_fma_f32 v14, -v10, v12, 1.0
	v_fmac_f32_e32 v12, v14, v12
	v_mul_f32_e32 v14, v13, v12
	v_fma_f32 v15, -v10, v14, v13
	v_fmac_f32_e32 v14, v15, v12
	v_fma_f32 v10, -v10, v14, v13
	v_div_fmas_f32 v10, v10, v12, v14
	v_div_fixup_f32 v0, v10, v11, v0
	v_add_f32_e32 v0, s13, v0
	v_mul_f32_e32 v10, 0x4b800000, v0
	v_cmp_gt_f32_e32 vcc, s0, v0
	v_cndmask_b32_e32 v0, v0, v10, vcc
	v_rsq_f32_e32 v0, v0
	s_mul_hi_i32 s1, s27, s6
	s_mul_i32 s0, s27, s6
	s_lshl_b64 s[0:1], s[0:1], 1
	v_mul_f32_e32 v10, 0x45800000, v0
	v_cndmask_b32_e32 v10, v0, v10, vcc
	v_mov_b32_e32 v11, v10
	;;#ASMSTART
	v_pk_mul_f32 v[12:13], v[18:19], v[10:11]
	;;#ASMEND
	;;#ASMSTART
	v_pk_mul_f32 v[14:15], v[32:33], v[10:11]
	;;#ASMEND
	;;#ASMSTART
	v_pk_mul_f32 v[16:17], v[30:31], v[10:11]
	;;#ASMEND
	;;#ASMSTART
	v_pk_mul_f32 v[18:19], v[28:29], v[10:11]
	;;#ASMEND
	;;#ASMSTART
	v_pk_mul_f32 v[26:27], v[26:27], v[10:11]
	;;#ASMEND
	;;#ASMSTART
	v_pk_mul_f32 v[24:25], v[24:25], v[10:11]
	;;#ASMEND
	;;#ASMSTART
	v_pk_mul_f32 v[22:23], v[22:23], v[10:11]
	;;#ASMEND
	;;#ASMSTART
	v_pk_mul_f32 v[10:11], v[20:21], v[10:11]
	;;#ASMEND
	s_waitcnt vmcnt(1)
	v_cvt_f32_f16_sdwa v21, v6 dst_sel:DWORD dst_unused:UNUSED_PAD src0_sel:WORD_1
	v_cvt_f32_f16_e32 v20, v6
	v_cvt_f32_f16_sdwa v29, v7 dst_sel:DWORD dst_unused:UNUSED_PAD src0_sel:WORD_1
	v_cvt_f32_f16_e32 v28, v7
	;; [unrolled: 2-line block ×4, first 2 shown]
	;;#ASMSTART
	v_pk_mul_f32 v[8:9], v[12:13], v[20:21]
	;;#ASMEND
	;;#ASMSTART
	v_pk_mul_f32 v[12:13], v[14:15], v[28:29]
	;;#ASMEND
	;; [unrolled: 3-line block ×4, first 2 shown]
	s_waitcnt vmcnt(0)
	v_cvt_f32_f16_sdwa v17, v2 dst_sel:DWORD dst_unused:UNUSED_PAD src0_sel:WORD_1
	v_cvt_f32_f16_e32 v16, v2
	v_cvt_f32_f16_sdwa v19, v3 dst_sel:DWORD dst_unused:UNUSED_PAD src0_sel:WORD_1
	v_cvt_f32_f16_e32 v18, v3
	v_cvt_f32_f16_sdwa v3, v4 dst_sel:DWORD dst_unused:UNUSED_PAD src0_sel:WORD_1
	v_cvt_f32_f16_e32 v2, v4
	v_cvt_f32_f16_sdwa v21, v5 dst_sel:DWORD dst_unused:UNUSED_PAD src0_sel:WORD_1
	v_cvt_f32_f16_e32 v20, v5
	;;#ASMSTART
	v_pk_mul_f32 v[16:17], v[26:27], v[16:17]
	;;#ASMEND
	;;#ASMSTART
	v_pk_mul_f32 v[18:19], v[24:25], v[18:19]
	;;#ASMEND
	;; [unrolled: 3-line block ×3, first 2 shown]
	v_cvt_f16_f32_e32 v0, v8
	v_cvt_f16_f32_e32 v2, v9
	;; [unrolled: 1-line block ×8, first 2 shown]
	s_add_u32 s8, s14, s0
	s_addc_u32 s0, s15, s1
	s_and_b32 s9, s0, 0xffff
	v_pack_b32_f16 v2, v0, v2
	v_pack_b32_f16 v3, v3, v4
	;; [unrolled: 1-line block ×4, first 2 shown]
	;;#ASMSTART
	v_pk_mul_f32 v[10:11], v[10:11], v[20:21]
	;;#ASMEND
	buffer_store_dwordx4 v[2:5], v1, s[8:11], 0 offen
	v_cvt_f16_f32_e32 v0, v16
	v_cvt_f16_f32_e32 v2, v17
	;; [unrolled: 1-line block ×8, first 2 shown]
	v_pack_b32_f16 v2, v0, v2
	v_pack_b32_f16 v3, v3, v4
	;; [unrolled: 1-line block ×4, first 2 shown]
	;;#ASMSTART
	s_nop 0
	;;#ASMEND
	buffer_store_dwordx4 v[2:5], v1, s[8:11], 16 offen
	;;#ASMSTART
	s_nop 0
	;;#ASMEND
	s_endpgm
	.section	.rodata,"a",@progbits
	.p2align	6, 0x0
	.amdhsa_kernel _ZN5aiter35fused_qk_rmsnorm_group_quant_kernelIDF16_DB8_Li128ELi16ELi8ELb0ELb1ELb0ELb1ELb0ELb0EEEvPT0_PvPT_S6_S6_PKS5_S8_S8_S8_S8_ffiiiiiiiiiiiii
		.amdhsa_group_segment_fixed_size 16
		.amdhsa_private_segment_fixed_size 0
		.amdhsa_kernarg_size 400
		.amdhsa_user_sgpr_count 6
		.amdhsa_user_sgpr_private_segment_buffer 1
		.amdhsa_user_sgpr_dispatch_ptr 0
		.amdhsa_user_sgpr_queue_ptr 0
		.amdhsa_user_sgpr_kernarg_segment_ptr 1
		.amdhsa_user_sgpr_dispatch_id 0
		.amdhsa_user_sgpr_flat_scratch_init 0
		.amdhsa_user_sgpr_kernarg_preload_length 0
		.amdhsa_user_sgpr_kernarg_preload_offset 0
		.amdhsa_user_sgpr_private_segment_size 0
		.amdhsa_uses_dynamic_stack 0
		.amdhsa_system_sgpr_private_segment_wavefront_offset 0
		.amdhsa_system_sgpr_workgroup_id_x 1
		.amdhsa_system_sgpr_workgroup_id_y 1
		.amdhsa_system_sgpr_workgroup_id_z 0
		.amdhsa_system_sgpr_workgroup_info 0
		.amdhsa_system_vgpr_workitem_id 0
		.amdhsa_next_free_vgpr 35
		.amdhsa_next_free_sgpr 32
		.amdhsa_accum_offset 36
		.amdhsa_reserve_vcc 1
		.amdhsa_reserve_flat_scratch 0
		.amdhsa_float_round_mode_32 0
		.amdhsa_float_round_mode_16_64 0
		.amdhsa_float_denorm_mode_32 3
		.amdhsa_float_denorm_mode_16_64 3
		.amdhsa_dx10_clamp 1
		.amdhsa_ieee_mode 1
		.amdhsa_fp16_overflow 0
		.amdhsa_tg_split 0
		.amdhsa_exception_fp_ieee_invalid_op 0
		.amdhsa_exception_fp_denorm_src 0
		.amdhsa_exception_fp_ieee_div_zero 0
		.amdhsa_exception_fp_ieee_overflow 0
		.amdhsa_exception_fp_ieee_underflow 0
		.amdhsa_exception_fp_ieee_inexact 0
		.amdhsa_exception_int_div_zero 0
	.end_amdhsa_kernel
	.section	.text._ZN5aiter35fused_qk_rmsnorm_group_quant_kernelIDF16_DB8_Li128ELi16ELi8ELb0ELb1ELb0ELb1ELb0ELb0EEEvPT0_PvPT_S6_S6_PKS5_S8_S8_S8_S8_ffiiiiiiiiiiiii,"axG",@progbits,_ZN5aiter35fused_qk_rmsnorm_group_quant_kernelIDF16_DB8_Li128ELi16ELi8ELb0ELb1ELb0ELb1ELb0ELb0EEEvPT0_PvPT_S6_S6_PKS5_S8_S8_S8_S8_ffiiiiiiiiiiiii,comdat
.Lfunc_end613:
	.size	_ZN5aiter35fused_qk_rmsnorm_group_quant_kernelIDF16_DB8_Li128ELi16ELi8ELb0ELb1ELb0ELb1ELb0ELb0EEEvPT0_PvPT_S6_S6_PKS5_S8_S8_S8_S8_ffiiiiiiiiiiiii, .Lfunc_end613-_ZN5aiter35fused_qk_rmsnorm_group_quant_kernelIDF16_DB8_Li128ELi16ELi8ELb0ELb1ELb0ELb1ELb0ELb0EEEvPT0_PvPT_S6_S6_PKS5_S8_S8_S8_S8_ffiiiiiiiiiiiii
                                        ; -- End function
	.section	.AMDGPU.csdata,"",@progbits
; Kernel info:
; codeLenInByte = 2808
; NumSgprs: 36
; NumVgprs: 35
; NumAgprs: 0
; TotalNumVgprs: 35
; ScratchSize: 0
; MemoryBound: 0
; FloatMode: 240
; IeeeMode: 1
; LDSByteSize: 16 bytes/workgroup (compile time only)
; SGPRBlocks: 4
; VGPRBlocks: 4
; NumSGPRsForWavesPerEU: 36
; NumVGPRsForWavesPerEU: 35
; AccumOffset: 36
; Occupancy: 8
; WaveLimiterHint : 0
; COMPUTE_PGM_RSRC2:SCRATCH_EN: 0
; COMPUTE_PGM_RSRC2:USER_SGPR: 6
; COMPUTE_PGM_RSRC2:TRAP_HANDLER: 0
; COMPUTE_PGM_RSRC2:TGID_X_EN: 1
; COMPUTE_PGM_RSRC2:TGID_Y_EN: 1
; COMPUTE_PGM_RSRC2:TGID_Z_EN: 0
; COMPUTE_PGM_RSRC2:TIDIG_COMP_CNT: 0
; COMPUTE_PGM_RSRC3_GFX90A:ACCUM_OFFSET: 8
; COMPUTE_PGM_RSRC3_GFX90A:TG_SPLIT: 0
	.section	.text._ZN5aiter35fused_qk_rmsnorm_group_quant_kernelItDB8_Li128ELi16ELi8ELb0ELb1ELb0ELb1ELb0ELb0EEEvPT0_PvPT_S6_S6_PKS5_S8_S8_S8_S8_ffiiiiiiiiiiiii,"axG",@progbits,_ZN5aiter35fused_qk_rmsnorm_group_quant_kernelItDB8_Li128ELi16ELi8ELb0ELb1ELb0ELb1ELb0ELb0EEEvPT0_PvPT_S6_S6_PKS5_S8_S8_S8_S8_ffiiiiiiiiiiiii,comdat
	.protected	_ZN5aiter35fused_qk_rmsnorm_group_quant_kernelItDB8_Li128ELi16ELi8ELb0ELb1ELb0ELb1ELb0ELb0EEEvPT0_PvPT_S6_S6_PKS5_S8_S8_S8_S8_ffiiiiiiiiiiiii ; -- Begin function _ZN5aiter35fused_qk_rmsnorm_group_quant_kernelItDB8_Li128ELi16ELi8ELb0ELb1ELb0ELb1ELb0ELb0EEEvPT0_PvPT_S6_S6_PKS5_S8_S8_S8_S8_ffiiiiiiiiiiiii
	.globl	_ZN5aiter35fused_qk_rmsnorm_group_quant_kernelItDB8_Li128ELi16ELi8ELb0ELb1ELb0ELb1ELb0ELb0EEEvPT0_PvPT_S6_S6_PKS5_S8_S8_S8_S8_ffiiiiiiiiiiiii
	.p2align	8
	.type	_ZN5aiter35fused_qk_rmsnorm_group_quant_kernelItDB8_Li128ELi16ELi8ELb0ELb1ELb0ELb1ELb0ELb0EEEvPT0_PvPT_S6_S6_PKS5_S8_S8_S8_S8_ffiiiiiiiiiiiii,@function
_ZN5aiter35fused_qk_rmsnorm_group_quant_kernelItDB8_Li128ELi16ELi8ELb0ELb1ELb0ELb1ELb0ELb0EEEvPT0_PvPT_S6_S6_PKS5_S8_S8_S8_S8_ffiiiiiiiiiiiii: ; @_ZN5aiter35fused_qk_rmsnorm_group_quant_kernelItDB8_Li128ELi16ELi8ELb0ELb1ELb0ELb1ELb0ELb0EEEvPT0_PvPT_S6_S6_PKS5_S8_S8_S8_S8_ffiiiiiiiiiiiii
; %bb.0:
	s_load_dwordx4 s[12:15], s[4:5], 0x50
	s_waitcnt lgkmcnt(0)
	s_cmp_ge_i32 s6, s14
	s_cbranch_scc1 .LBB614_12
; %bb.1:
	s_load_dwordx2 s[24:25], s[4:5], 0x30
	s_load_dwordx2 s[8:9], s[4:5], 0x48
	s_load_dwordx4 s[16:19], s[4:5], 0x60
	s_cmp_lg_u32 s7, 0
	s_cselect_b64 s[10:11], -1, 0
	s_cmp_eq_u32 s7, 0
	s_cselect_b64 vcc, -1, 0
	s_and_b64 s[0:1], vcc, exec
	s_waitcnt lgkmcnt(0)
	s_cselect_b32 s7, s15, s16
	s_add_i32 s0, s7, 1
	s_lshr_b32 s1, s0, 31
	s_add_i32 s0, s0, s1
	s_lshl_b32 s0, s0, 1
	v_lshlrev_b32_e32 v1, 4, v0
	s_and_b32 s22, s0, -4
	v_cmp_gt_i32_e64 s[2:3], s7, v1
	v_mov_b32_e32 v18, 0
	v_mov_b32_e32 v6, 0
	;; [unrolled: 1-line block ×17, first 2 shown]
	s_and_saveexec_b64 s[0:1], s[2:3]
	s_cbranch_execz .LBB614_3
; %bb.2:
	s_load_dwordx2 s[14:15], s[4:5], 0x28
	s_load_dwordx2 s[20:21], s[4:5], 0x40
	s_and_b64 s[26:27], vcc, exec
	s_cselect_b32 s17, s17, s18
	s_mov_b32 s30, s22
	s_waitcnt lgkmcnt(0)
	s_cselect_b32 s19, s15, s25
	s_cselect_b32 s23, s14, s24
	s_mul_hi_i32 s15, s17, s6
	s_mul_i32 s14, s17, s6
	s_lshl_b64 s[14:15], s[14:15], 1
	s_add_u32 s28, s23, s14
	s_addc_u32 s17, s19, s15
	s_and_b64 s[14:15], vcc, exec
	s_mov_b32 s23, 0x20000
	s_cselect_b32 s20, s20, s8
	s_cselect_b32 s14, s21, s9
	s_and_b32 s29, s17, 0xffff
	s_mov_b32 s31, s23
	v_lshlrev_b32_e32 v19, 5, v0
	s_and_b32 s21, s14, 0xffff
	buffer_load_dwordx4 v[14:17], v19, s[28:31], 0 offen
	buffer_load_dwordx4 v[10:13], v19, s[28:31], 16 offen
	;; [unrolled: 1-line block ×4, first 2 shown]
.LBB614_3:
	s_or_b64 exec, exec, s[0:1]
	v_mov_b32_e32 v19, 0
	v_mov_b32_e32 v20, 0
	v_mov_b32_e32 v21, 0
	v_mov_b32_e32 v22, 0
	v_mov_b32_e32 v23, 0
	v_mov_b32_e32 v24, 0
	v_mov_b32_e32 v25, 0
	v_mov_b32_e32 v26, 0
	v_mov_b32_e32 v27, 0
	v_mov_b32_e32 v28, 0
	v_mov_b32_e32 v29, 0
	v_mov_b32_e32 v30, 0
	v_mov_b32_e32 v31, 0
	v_mov_b32_e32 v32, 0
	v_mov_b32_e32 v33, 0
	s_and_saveexec_b64 s[0:1], s[2:3]
	s_cbranch_execz .LBB614_5
; %bb.4:
	s_waitcnt vmcnt(3)
	v_cvt_f32_u32_sdwa v18, v14 dst_sel:DWORD dst_unused:UNUSED_PAD src0_sel:WORD_0
	v_cvt_f32_u32_sdwa v19, v14 dst_sel:DWORD dst_unused:UNUSED_PAD src0_sel:WORD_1
	v_cvt_f32_u32_sdwa v20, v15 dst_sel:DWORD dst_unused:UNUSED_PAD src0_sel:WORD_0
	v_cvt_f32_u32_sdwa v21, v15 dst_sel:DWORD dst_unused:UNUSED_PAD src0_sel:WORD_1
	;; [unrolled: 2-line block ×4, first 2 shown]
	s_waitcnt vmcnt(2)
	v_cvt_f32_u32_sdwa v26, v10 dst_sel:DWORD dst_unused:UNUSED_PAD src0_sel:WORD_0
	v_cvt_f32_u32_sdwa v27, v10 dst_sel:DWORD dst_unused:UNUSED_PAD src0_sel:WORD_1
	v_cvt_f32_u32_sdwa v28, v11 dst_sel:DWORD dst_unused:UNUSED_PAD src0_sel:WORD_0
	v_cvt_f32_u32_sdwa v29, v11 dst_sel:DWORD dst_unused:UNUSED_PAD src0_sel:WORD_1
	;; [unrolled: 2-line block ×4, first 2 shown]
.LBB614_5:
	s_or_b64 exec, exec, s[0:1]
	s_waitcnt vmcnt(2)
	v_mul_f32_e32 v10, v19, v19
	v_fmac_f32_e32 v10, v18, v18
	v_fmac_f32_e32 v10, v20, v20
	;; [unrolled: 1-line block ×15, first 2 shown]
	v_and_b32_e32 v12, 63, v0
	v_cmp_eq_u32_e64 s[0:1], 63, v12
	v_mov_b32_dpp v11, v10 quad_perm:[1,0,3,2] row_mask:0xf bank_mask:0xf
	v_add_f32_e32 v10, v10, v11
	s_nop 1
	v_mov_b32_dpp v11, v10 quad_perm:[2,3,0,1] row_mask:0xf bank_mask:0xf
	v_add_f32_e32 v10, v10, v11
	s_nop 1
	v_mov_b32_dpp v11, v10 row_half_mirror row_mask:0xf bank_mask:0xf
	v_add_f32_e32 v10, v10, v11
	s_nop 1
	v_mov_b32_dpp v11, v10 row_mirror row_mask:0xf bank_mask:0xf
	v_add_f32_e32 v10, v10, v11
	s_nop 1
	v_mov_b32_dpp v11, v10 row_bcast:15 row_mask:0xf bank_mask:0xf
	v_add_f32_e32 v10, v10, v11
	s_nop 1
	v_mov_b32_dpp v11, v10 row_bcast:31 row_mask:0xf bank_mask:0xf
	s_and_saveexec_b64 s[14:15], s[0:1]
	s_cbranch_execz .LBB614_7
; %bb.6:
	v_add_f32_e32 v10, v10, v11
	v_lshrrev_b32_e32 v11, 4, v0
	v_and_b32_e32 v11, 60, v11
	ds_write_b32 v11, v10 offset:8
.LBB614_7:
	s_or_b64 exec, exec, s[14:15]
	v_and_b32_e32 v10, 1, v0
	v_lshlrev_b32_e32 v34, 2, v10
	s_waitcnt lgkmcnt(0)
	s_barrier
	ds_read_b32 v10, v34 offset:8
	s_load_dwordx2 s[14:15], s[4:5], 0x18
	s_waitcnt lgkmcnt(0)
	v_mov_b32_dpp v11, v10 quad_perm:[1,0,3,2] row_mask:0xf bank_mask:0xf
	s_and_saveexec_b64 s[20:21], s[2:3]
	s_cbranch_execz .LBB614_9
; %bb.8:
	v_cvt_f32_u32_e32 v12, s7
	v_add_f32_e32 v10, v10, v11
	v_mov_b32_e32 v14, s13
	v_mov_b32_e32 v15, s12
	v_div_scale_f32 v11, s[26:27], v12, v12, v10
	v_rcp_f32_e32 v13, v11
	v_cndmask_b32_e32 v14, v14, v15, vcc
	s_mov_b32 s7, 0x800000
	v_fma_f32 v15, -v11, v13, 1.0
	v_fmac_f32_e32 v13, v15, v13
	v_div_scale_f32 v15, vcc, v10, v12, v10
	v_mul_f32_e32 v16, v15, v13
	v_fma_f32 v17, -v11, v16, v15
	v_fmac_f32_e32 v16, v17, v13
	v_fma_f32 v11, -v11, v16, v15
	v_div_fmas_f32 v11, v11, v13, v16
	v_div_fixup_f32 v10, v11, v12, v10
	v_add_f32_e32 v10, v14, v10
	v_mul_f32_e32 v11, 0x4b800000, v10
	v_cmp_gt_f32_e32 vcc, s7, v10
	v_cndmask_b32_e32 v10, v10, v11, vcc
	v_rsq_f32_e32 v10, v10
	v_mul_f32_e32 v11, 0x45800000, v10
	v_cndmask_b32_e32 v10, v10, v11, vcc
	v_mov_b32_e32 v11, v10
	;;#ASMSTART
	v_pk_mul_f32 v[12:13], v[18:19], v[10:11]
	;;#ASMEND
	;;#ASMSTART
	v_pk_mul_f32 v[14:15], v[20:21], v[10:11]
	;;#ASMEND
	;; [unrolled: 3-line block ×8, first 2 shown]
	s_waitcnt vmcnt(1)
	v_cvt_f32_u32_sdwa v19, v6 dst_sel:DWORD dst_unused:UNUSED_PAD src0_sel:WORD_1
	v_cvt_f32_u32_sdwa v18, v6 dst_sel:DWORD dst_unused:UNUSED_PAD src0_sel:WORD_0
	v_cvt_f32_u32_sdwa v21, v7 dst_sel:DWORD dst_unused:UNUSED_PAD src0_sel:WORD_1
	v_cvt_f32_u32_sdwa v20, v7 dst_sel:DWORD dst_unused:UNUSED_PAD src0_sel:WORD_0
	;; [unrolled: 2-line block ×4, first 2 shown]
	;;#ASMSTART
	v_pk_mul_f32 v[18:19], v[12:13], v[18:19]
	;;#ASMEND
	;;#ASMSTART
	v_pk_mul_f32 v[20:21], v[14:15], v[20:21]
	;;#ASMEND
	;; [unrolled: 3-line block ×4, first 2 shown]
	s_waitcnt vmcnt(0)
	v_cvt_f32_u32_sdwa v7, v2 dst_sel:DWORD dst_unused:UNUSED_PAD src0_sel:WORD_1
	v_cvt_f32_u32_sdwa v6, v2 dst_sel:DWORD dst_unused:UNUSED_PAD src0_sel:WORD_0
	v_cvt_f32_u32_sdwa v9, v3 dst_sel:DWORD dst_unused:UNUSED_PAD src0_sel:WORD_1
	v_cvt_f32_u32_sdwa v8, v3 dst_sel:DWORD dst_unused:UNUSED_PAD src0_sel:WORD_0
	;; [unrolled: 2-line block ×4, first 2 shown]
	;;#ASMSTART
	v_pk_mul_f32 v[26:27], v[26:27], v[6:7]
	;;#ASMEND
	;;#ASMSTART
	v_pk_mul_f32 v[28:29], v[28:29], v[8:9]
	;;#ASMEND
	;; [unrolled: 3-line block ×4, first 2 shown]
.LBB614_9:
	s_or_b64 exec, exec, s[20:21]
	s_load_dwordx2 s[26:27], s[4:5], 0x7c
	s_mov_b64 s[20:21], -1
	s_and_b64 vcc, exec, s[10:11]
	s_cbranch_vccnz .LBB614_13
; %bb.10:
	s_andn2_b64 vcc, exec, s[20:21]
	s_cbranch_vccz .LBB614_16
.LBB614_11:
	s_cmp_lt_i32 s16, 1
	s_cbranch_scc0 .LBB614_19
.LBB614_12:
	s_endpgm
.LBB614_13:
	s_and_saveexec_b64 s[10:11], s[2:3]
	s_cbranch_execz .LBB614_15
; %bb.14:
	s_waitcnt lgkmcnt(0)
	s_mul_hi_i32 s21, s27, s6
	s_mul_i32 s20, s27, s6
	s_lshl_b64 s[20:21], s[20:21], 1
	s_add_u32 s20, s14, s20
	s_addc_u32 s7, s15, s21
	s_and_b32 s21, s7, 0xffff
	s_mov_b32 s7, 0x7060302
	s_mov_b32 s23, 0x20000
	s_waitcnt vmcnt(0)
	v_perm_b32 v5, v25, v24, s7
	v_perm_b32 v4, v23, v22, s7
	;; [unrolled: 1-line block ×4, first 2 shown]
	v_lshlrev_b32_e32 v6, 5, v0
	buffer_store_dwordx4 v[2:5], v6, s[20:23], 0 offen
	;;#ASMSTART
	s_nop 0
	;;#ASMEND
	s_nop 0
	v_perm_b32 v5, v33, v32, s7
	v_perm_b32 v4, v31, v30, s7
	;; [unrolled: 1-line block ×4, first 2 shown]
	buffer_store_dwordx4 v[2:5], v6, s[20:23], 16 offen
	;;#ASMSTART
	s_nop 0
	;;#ASMEND
.LBB614_15:
	s_or_b64 exec, exec, s[10:11]
	s_cbranch_execnz .LBB614_11
.LBB614_16:
	s_and_saveexec_b64 s[10:11], s[2:3]
	s_cbranch_execz .LBB614_18
; %bb.17:
	s_load_dwordx2 s[2:3], s[4:5], 0x10
	s_waitcnt lgkmcnt(0)
	s_mul_hi_i32 s21, s26, s6
	s_mul_i32 s20, s26, s6
	s_lshl_b64 s[20:21], s[20:21], 1
	s_mov_b32 s23, 0x20000
	s_add_u32 s20, s2, s20
	s_addc_u32 s2, s3, s21
	s_and_b32 s21, s2, 0xffff
	s_mov_b32 s2, 0x7060302
	s_waitcnt vmcnt(0)
	v_perm_b32 v5, v25, v24, s2
	v_perm_b32 v4, v23, v22, s2
	;; [unrolled: 1-line block ×4, first 2 shown]
	v_lshlrev_b32_e32 v6, 5, v0
	buffer_store_dwordx4 v[2:5], v6, s[20:23], 0 offen
	;;#ASMSTART
	s_nop 0
	;;#ASMEND
	s_nop 0
	v_perm_b32 v5, v33, v32, s2
	v_perm_b32 v4, v31, v30, s2
	;; [unrolled: 1-line block ×4, first 2 shown]
	buffer_store_dwordx4 v[2:5], v6, s[20:23], 16 offen
	;;#ASMSTART
	s_nop 0
	;;#ASMEND
.LBB614_18:
	s_or_b64 exec, exec, s[10:11]
	s_cmp_lt_i32 s16, 1
	s_cbranch_scc1 .LBB614_12
.LBB614_19:
	s_load_dword s2, s[4:5], 0x94
	s_waitcnt lgkmcnt(0)
	s_cmp_lg_u32 s2, 1
	s_cbranch_scc1 .LBB614_12
; %bb.20:
	s_lshl_b32 s2, s16, 1
	s_add_i32 s2, s2, 2
	v_cmp_gt_u32_e32 vcc, s16, v1
	s_and_b32 s10, s2, -4
	v_mov_b32_e32 v18, 0
	v_lshlrev_b32_e32 v1, 5, v0
	v_mov_b32_e32 v14, 0
	v_mov_b32_e32 v15, 0
	;; [unrolled: 1-line block ×8, first 2 shown]
	s_waitcnt vmcnt(1)
	v_mov_b32_e32 v6, 0
	v_mov_b32_e32 v7, 0
	;; [unrolled: 1-line block ×4, first 2 shown]
	s_waitcnt vmcnt(0)
	v_mov_b32_e32 v2, 0
	v_mov_b32_e32 v3, 0
	;; [unrolled: 1-line block ×4, first 2 shown]
	s_barrier
	s_and_saveexec_b64 s[2:3], vcc
	s_cbranch_execz .LBB614_22
; %bb.21:
	s_mul_hi_i32 s5, s18, s6
	s_mul_i32 s4, s18, s6
	s_and_b32 s9, s9, 0xffff
	s_lshl_b64 s[4:5], s[4:5], 1
	s_add_u32 s20, s24, s4
	s_mov_b32 s11, 0x20000
	s_addc_u32 s4, s25, s5
	s_and_b32 s21, s4, 0xffff
	s_mov_b32 s22, s10
	s_mov_b32 s23, s11
	buffer_load_dwordx4 v[14:17], v1, s[20:23], 0 offen
	buffer_load_dwordx4 v[10:13], v1, s[20:23], 16 offen
	;; [unrolled: 1-line block ×4, first 2 shown]
.LBB614_22:
	s_or_b64 exec, exec, s[2:3]
	v_mov_b32_e32 v19, 0
	v_mov_b32_e32 v32, 0
	;; [unrolled: 1-line block ×15, first 2 shown]
	s_and_saveexec_b64 s[2:3], vcc
	s_cbranch_execz .LBB614_24
; %bb.23:
	s_waitcnt vmcnt(3)
	v_cvt_f32_u32_sdwa v18, v14 dst_sel:DWORD dst_unused:UNUSED_PAD src0_sel:WORD_0
	v_cvt_f32_u32_sdwa v19, v14 dst_sel:DWORD dst_unused:UNUSED_PAD src0_sel:WORD_1
	v_cvt_f32_u32_sdwa v32, v15 dst_sel:DWORD dst_unused:UNUSED_PAD src0_sel:WORD_0
	v_cvt_f32_u32_sdwa v33, v15 dst_sel:DWORD dst_unused:UNUSED_PAD src0_sel:WORD_1
	v_cvt_f32_u32_sdwa v30, v16 dst_sel:DWORD dst_unused:UNUSED_PAD src0_sel:WORD_0
	v_cvt_f32_u32_sdwa v31, v16 dst_sel:DWORD dst_unused:UNUSED_PAD src0_sel:WORD_1
	v_cvt_f32_u32_sdwa v28, v17 dst_sel:DWORD dst_unused:UNUSED_PAD src0_sel:WORD_0
	v_cvt_f32_u32_sdwa v29, v17 dst_sel:DWORD dst_unused:UNUSED_PAD src0_sel:WORD_1
	s_waitcnt vmcnt(2)
	v_cvt_f32_u32_sdwa v26, v10 dst_sel:DWORD dst_unused:UNUSED_PAD src0_sel:WORD_0
	v_cvt_f32_u32_sdwa v27, v10 dst_sel:DWORD dst_unused:UNUSED_PAD src0_sel:WORD_1
	v_cvt_f32_u32_sdwa v24, v11 dst_sel:DWORD dst_unused:UNUSED_PAD src0_sel:WORD_0
	v_cvt_f32_u32_sdwa v25, v11 dst_sel:DWORD dst_unused:UNUSED_PAD src0_sel:WORD_1
	;; [unrolled: 2-line block ×4, first 2 shown]
.LBB614_24:
	s_or_b64 exec, exec, s[2:3]
	s_waitcnt vmcnt(2)
	v_mul_f32_e32 v10, v19, v19
	v_fmac_f32_e32 v10, v18, v18
	v_fmac_f32_e32 v10, v32, v32
	;; [unrolled: 1-line block ×15, first 2 shown]
	s_nop 1
	v_mov_b32_dpp v11, v10 quad_perm:[1,0,3,2] row_mask:0xf bank_mask:0xf
	v_add_f32_e32 v10, v10, v11
	s_nop 1
	v_mov_b32_dpp v11, v10 quad_perm:[2,3,0,1] row_mask:0xf bank_mask:0xf
	v_add_f32_e32 v10, v10, v11
	s_nop 1
	v_mov_b32_dpp v11, v10 row_half_mirror row_mask:0xf bank_mask:0xf
	v_add_f32_e32 v10, v10, v11
	s_nop 1
	v_mov_b32_dpp v11, v10 row_mirror row_mask:0xf bank_mask:0xf
	v_add_f32_e32 v10, v10, v11
	s_nop 1
	v_mov_b32_dpp v11, v10 row_bcast:15 row_mask:0xf bank_mask:0xf
	v_add_f32_e32 v10, v10, v11
	s_nop 1
	v_mov_b32_dpp v11, v10 row_bcast:31 row_mask:0xf bank_mask:0xf
	s_and_saveexec_b64 s[2:3], s[0:1]
	s_cbranch_execz .LBB614_26
; %bb.25:
	v_lshrrev_b32_e32 v0, 4, v0
	v_add_f32_e32 v10, v10, v11
	v_and_b32_e32 v0, 60, v0
	ds_write_b32 v0, v10
.LBB614_26:
	s_or_b64 exec, exec, s[2:3]
	s_waitcnt lgkmcnt(0)
	s_barrier
	ds_read_b32 v0, v34
	s_waitcnt lgkmcnt(0)
	s_nop 0
	v_mov_b32_dpp v10, v0 quad_perm:[1,0,3,2] row_mask:0xf bank_mask:0xf
	s_and_saveexec_b64 s[0:1], vcc
	s_cbranch_execz .LBB614_12
; %bb.27:
	v_cvt_f32_u32_e32 v11, s16
	v_add_f32_e32 v0, v0, v10
	s_mov_b32 s11, 0x20000
	v_div_scale_f32 v10, s[0:1], v11, v11, v0
	v_rcp_f32_e32 v12, v10
	v_div_scale_f32 v13, vcc, v0, v11, v0
	s_mov_b32 s0, 0x800000
	v_fma_f32 v14, -v10, v12, 1.0
	v_fmac_f32_e32 v12, v14, v12
	v_mul_f32_e32 v14, v13, v12
	v_fma_f32 v15, -v10, v14, v13
	v_fmac_f32_e32 v14, v15, v12
	v_fma_f32 v10, -v10, v14, v13
	v_div_fmas_f32 v10, v10, v12, v14
	v_div_fixup_f32 v0, v10, v11, v0
	v_add_f32_e32 v0, s13, v0
	v_mul_f32_e32 v10, 0x4b800000, v0
	v_cmp_gt_f32_e32 vcc, s0, v0
	v_cndmask_b32_e32 v0, v0, v10, vcc
	v_rsq_f32_e32 v0, v0
	s_mul_hi_i32 s1, s27, s6
	s_mul_i32 s0, s27, s6
	s_lshl_b64 s[0:1], s[0:1], 1
	v_mul_f32_e32 v10, 0x45800000, v0
	v_cndmask_b32_e32 v10, v0, v10, vcc
	v_mov_b32_e32 v11, v10
	s_add_u32 s8, s14, s0
	;;#ASMSTART
	v_pk_mul_f32 v[12:13], v[18:19], v[10:11]
	;;#ASMEND
	;;#ASMSTART
	v_pk_mul_f32 v[14:15], v[32:33], v[10:11]
	;;#ASMEND
	;; [unrolled: 3-line block ×8, first 2 shown]
	s_waitcnt vmcnt(1)
	v_cvt_f32_u32_sdwa v21, v6 dst_sel:DWORD dst_unused:UNUSED_PAD src0_sel:WORD_1
	v_cvt_f32_u32_sdwa v20, v6 dst_sel:DWORD dst_unused:UNUSED_PAD src0_sel:WORD_0
	v_cvt_f32_u32_sdwa v29, v7 dst_sel:DWORD dst_unused:UNUSED_PAD src0_sel:WORD_1
	v_cvt_f32_u32_sdwa v28, v7 dst_sel:DWORD dst_unused:UNUSED_PAD src0_sel:WORD_0
	;; [unrolled: 2-line block ×3, first 2 shown]
	s_addc_u32 s0, s15, s1
	v_cvt_f32_u32_sdwa v31, v9 dst_sel:DWORD dst_unused:UNUSED_PAD src0_sel:WORD_1
	v_cvt_f32_u32_sdwa v30, v9 dst_sel:DWORD dst_unused:UNUSED_PAD src0_sel:WORD_0
	;;#ASMSTART
	v_pk_mul_f32 v[8:9], v[12:13], v[20:21]
	;;#ASMEND
	;;#ASMSTART
	v_pk_mul_f32 v[12:13], v[14:15], v[28:29]
	;;#ASMEND
	;;#ASMSTART
	v_pk_mul_f32 v[6:7], v[16:17], v[6:7]
	;;#ASMEND
	;;#ASMSTART
	v_pk_mul_f32 v[14:15], v[18:19], v[30:31]
	;;#ASMEND
	s_waitcnt vmcnt(0)
	v_cvt_f32_u32_sdwa v17, v2 dst_sel:DWORD dst_unused:UNUSED_PAD src0_sel:WORD_1
	v_cvt_f32_u32_sdwa v16, v2 dst_sel:DWORD dst_unused:UNUSED_PAD src0_sel:WORD_0
	v_cvt_f32_u32_sdwa v19, v3 dst_sel:DWORD dst_unused:UNUSED_PAD src0_sel:WORD_1
	v_cvt_f32_u32_sdwa v18, v3 dst_sel:DWORD dst_unused:UNUSED_PAD src0_sel:WORD_0
	;; [unrolled: 2-line block ×3, first 2 shown]
	s_and_b32 s9, s0, 0xffff
	s_mov_b32 s0, 0x7060302
	v_cvt_f32_u32_sdwa v21, v5 dst_sel:DWORD dst_unused:UNUSED_PAD src0_sel:WORD_1
	v_cvt_f32_u32_sdwa v20, v5 dst_sel:DWORD dst_unused:UNUSED_PAD src0_sel:WORD_0
	;;#ASMSTART
	v_pk_mul_f32 v[16:17], v[26:27], v[16:17]
	;;#ASMEND
	;;#ASMSTART
	v_pk_mul_f32 v[18:19], v[24:25], v[18:19]
	;;#ASMEND
	;; [unrolled: 3-line block ×3, first 2 shown]
	v_perm_b32 v2, v9, v8, s0
	v_perm_b32 v3, v13, v12, s0
	;; [unrolled: 1-line block ×4, first 2 shown]
	;;#ASMSTART
	v_pk_mul_f32 v[10:11], v[10:11], v[20:21]
	;;#ASMEND
	buffer_store_dwordx4 v[2:5], v1, s[8:11], 0 offen
	;;#ASMSTART
	s_nop 0
	;;#ASMEND
	s_nop 0
	v_perm_b32 v2, v17, v16, s0
	v_perm_b32 v3, v19, v18, s0
	;; [unrolled: 1-line block ×4, first 2 shown]
	buffer_store_dwordx4 v[2:5], v1, s[8:11], 16 offen
	;;#ASMSTART
	s_nop 0
	;;#ASMEND
	s_endpgm
	.section	.rodata,"a",@progbits
	.p2align	6, 0x0
	.amdhsa_kernel _ZN5aiter35fused_qk_rmsnorm_group_quant_kernelItDB8_Li128ELi16ELi8ELb0ELb1ELb0ELb1ELb0ELb0EEEvPT0_PvPT_S6_S6_PKS5_S8_S8_S8_S8_ffiiiiiiiiiiiii
		.amdhsa_group_segment_fixed_size 16
		.amdhsa_private_segment_fixed_size 0
		.amdhsa_kernarg_size 400
		.amdhsa_user_sgpr_count 6
		.amdhsa_user_sgpr_private_segment_buffer 1
		.amdhsa_user_sgpr_dispatch_ptr 0
		.amdhsa_user_sgpr_queue_ptr 0
		.amdhsa_user_sgpr_kernarg_segment_ptr 1
		.amdhsa_user_sgpr_dispatch_id 0
		.amdhsa_user_sgpr_flat_scratch_init 0
		.amdhsa_user_sgpr_kernarg_preload_length 0
		.amdhsa_user_sgpr_kernarg_preload_offset 0
		.amdhsa_user_sgpr_private_segment_size 0
		.amdhsa_uses_dynamic_stack 0
		.amdhsa_system_sgpr_private_segment_wavefront_offset 0
		.amdhsa_system_sgpr_workgroup_id_x 1
		.amdhsa_system_sgpr_workgroup_id_y 1
		.amdhsa_system_sgpr_workgroup_id_z 0
		.amdhsa_system_sgpr_workgroup_info 0
		.amdhsa_system_vgpr_workitem_id 0
		.amdhsa_next_free_vgpr 35
		.amdhsa_next_free_sgpr 32
		.amdhsa_accum_offset 36
		.amdhsa_reserve_vcc 1
		.amdhsa_reserve_flat_scratch 0
		.amdhsa_float_round_mode_32 0
		.amdhsa_float_round_mode_16_64 0
		.amdhsa_float_denorm_mode_32 3
		.amdhsa_float_denorm_mode_16_64 3
		.amdhsa_dx10_clamp 1
		.amdhsa_ieee_mode 1
		.amdhsa_fp16_overflow 0
		.amdhsa_tg_split 0
		.amdhsa_exception_fp_ieee_invalid_op 0
		.amdhsa_exception_fp_denorm_src 0
		.amdhsa_exception_fp_ieee_div_zero 0
		.amdhsa_exception_fp_ieee_overflow 0
		.amdhsa_exception_fp_ieee_underflow 0
		.amdhsa_exception_fp_ieee_inexact 0
		.amdhsa_exception_int_div_zero 0
	.end_amdhsa_kernel
	.section	.text._ZN5aiter35fused_qk_rmsnorm_group_quant_kernelItDB8_Li128ELi16ELi8ELb0ELb1ELb0ELb1ELb0ELb0EEEvPT0_PvPT_S6_S6_PKS5_S8_S8_S8_S8_ffiiiiiiiiiiiii,"axG",@progbits,_ZN5aiter35fused_qk_rmsnorm_group_quant_kernelItDB8_Li128ELi16ELi8ELb0ELb1ELb0ELb1ELb0ELb0EEEvPT0_PvPT_S6_S6_PKS5_S8_S8_S8_S8_ffiiiiiiiiiiiii,comdat
.Lfunc_end614:
	.size	_ZN5aiter35fused_qk_rmsnorm_group_quant_kernelItDB8_Li128ELi16ELi8ELb0ELb1ELb0ELb1ELb0ELb0EEEvPT0_PvPT_S6_S6_PKS5_S8_S8_S8_S8_ffiiiiiiiiiiiii, .Lfunc_end614-_ZN5aiter35fused_qk_rmsnorm_group_quant_kernelItDB8_Li128ELi16ELi8ELb0ELb1ELb0ELb1ELb0ELb0EEEvPT0_PvPT_S6_S6_PKS5_S8_S8_S8_S8_ffiiiiiiiiiiiii
                                        ; -- End function
	.section	.AMDGPU.csdata,"",@progbits
; Kernel info:
; codeLenInByte = 2780
; NumSgprs: 36
; NumVgprs: 35
; NumAgprs: 0
; TotalNumVgprs: 35
; ScratchSize: 0
; MemoryBound: 0
; FloatMode: 240
; IeeeMode: 1
; LDSByteSize: 16 bytes/workgroup (compile time only)
; SGPRBlocks: 4
; VGPRBlocks: 4
; NumSGPRsForWavesPerEU: 36
; NumVGPRsForWavesPerEU: 35
; AccumOffset: 36
; Occupancy: 8
; WaveLimiterHint : 0
; COMPUTE_PGM_RSRC2:SCRATCH_EN: 0
; COMPUTE_PGM_RSRC2:USER_SGPR: 6
; COMPUTE_PGM_RSRC2:TRAP_HANDLER: 0
; COMPUTE_PGM_RSRC2:TGID_X_EN: 1
; COMPUTE_PGM_RSRC2:TGID_Y_EN: 1
; COMPUTE_PGM_RSRC2:TGID_Z_EN: 0
; COMPUTE_PGM_RSRC2:TIDIG_COMP_CNT: 0
; COMPUTE_PGM_RSRC3_GFX90A:ACCUM_OFFSET: 8
; COMPUTE_PGM_RSRC3_GFX90A:TG_SPLIT: 0
	.section	.text._ZN5aiter35fused_qk_rmsnorm_group_quant_kernelIDF16_N4opus5fp4_tELi128ELi16ELi8ELb0ELb1ELb0ELb1ELb0ELb0EEEvPT0_PvPT_S7_S7_PKS6_S9_S9_S9_S9_ffiiiiiiiiiiiii,"axG",@progbits,_ZN5aiter35fused_qk_rmsnorm_group_quant_kernelIDF16_N4opus5fp4_tELi128ELi16ELi8ELb0ELb1ELb0ELb1ELb0ELb0EEEvPT0_PvPT_S7_S7_PKS6_S9_S9_S9_S9_ffiiiiiiiiiiiii,comdat
	.protected	_ZN5aiter35fused_qk_rmsnorm_group_quant_kernelIDF16_N4opus5fp4_tELi128ELi16ELi8ELb0ELb1ELb0ELb1ELb0ELb0EEEvPT0_PvPT_S7_S7_PKS6_S9_S9_S9_S9_ffiiiiiiiiiiiii ; -- Begin function _ZN5aiter35fused_qk_rmsnorm_group_quant_kernelIDF16_N4opus5fp4_tELi128ELi16ELi8ELb0ELb1ELb0ELb1ELb0ELb0EEEvPT0_PvPT_S7_S7_PKS6_S9_S9_S9_S9_ffiiiiiiiiiiiii
	.globl	_ZN5aiter35fused_qk_rmsnorm_group_quant_kernelIDF16_N4opus5fp4_tELi128ELi16ELi8ELb0ELb1ELb0ELb1ELb0ELb0EEEvPT0_PvPT_S7_S7_PKS6_S9_S9_S9_S9_ffiiiiiiiiiiiii
	.p2align	8
	.type	_ZN5aiter35fused_qk_rmsnorm_group_quant_kernelIDF16_N4opus5fp4_tELi128ELi16ELi8ELb0ELb1ELb0ELb1ELb0ELb0EEEvPT0_PvPT_S7_S7_PKS6_S9_S9_S9_S9_ffiiiiiiiiiiiii,@function
_ZN5aiter35fused_qk_rmsnorm_group_quant_kernelIDF16_N4opus5fp4_tELi128ELi16ELi8ELb0ELb1ELb0ELb1ELb0ELb0EEEvPT0_PvPT_S7_S7_PKS6_S9_S9_S9_S9_ffiiiiiiiiiiiii: ; @_ZN5aiter35fused_qk_rmsnorm_group_quant_kernelIDF16_N4opus5fp4_tELi128ELi16ELi8ELb0ELb1ELb0ELb1ELb0ELb0EEEvPT0_PvPT_S7_S7_PKS6_S9_S9_S9_S9_ffiiiiiiiiiiiii
; %bb.0:
	s_load_dwordx4 s[12:15], s[4:5], 0x50
	s_waitcnt lgkmcnt(0)
	s_cmp_ge_i32 s6, s14
	s_cbranch_scc1 .LBB615_12
; %bb.1:
	s_load_dwordx2 s[24:25], s[4:5], 0x30
	s_load_dwordx2 s[8:9], s[4:5], 0x48
	s_load_dwordx4 s[16:19], s[4:5], 0x60
	s_cmp_lg_u32 s7, 0
	s_cselect_b64 s[10:11], -1, 0
	s_cmp_eq_u32 s7, 0
	s_cselect_b64 vcc, -1, 0
	s_and_b64 s[0:1], vcc, exec
	s_waitcnt lgkmcnt(0)
	s_cselect_b32 s7, s15, s16
	s_add_i32 s0, s7, 1
	s_lshr_b32 s1, s0, 31
	s_add_i32 s0, s0, s1
	s_lshl_b32 s0, s0, 1
	v_lshlrev_b32_e32 v1, 4, v0
	s_and_b32 s22, s0, -4
	v_cmp_gt_i32_e64 s[2:3], s7, v1
	v_mov_b32_e32 v18, 0
	v_mov_b32_e32 v6, 0
	;; [unrolled: 1-line block ×17, first 2 shown]
	s_and_saveexec_b64 s[0:1], s[2:3]
	s_cbranch_execz .LBB615_3
; %bb.2:
	s_load_dwordx2 s[14:15], s[4:5], 0x28
	s_load_dwordx2 s[20:21], s[4:5], 0x40
	s_and_b64 s[26:27], vcc, exec
	s_cselect_b32 s17, s17, s18
	s_mov_b32 s30, s22
	s_waitcnt lgkmcnt(0)
	s_cselect_b32 s19, s15, s25
	s_cselect_b32 s23, s14, s24
	s_mul_hi_i32 s15, s17, s6
	s_mul_i32 s14, s17, s6
	s_lshl_b64 s[14:15], s[14:15], 1
	s_add_u32 s28, s23, s14
	s_addc_u32 s17, s19, s15
	s_and_b64 s[14:15], vcc, exec
	s_mov_b32 s23, 0x20000
	s_cselect_b32 s20, s20, s8
	s_cselect_b32 s14, s21, s9
	s_and_b32 s29, s17, 0xffff
	s_mov_b32 s31, s23
	v_lshlrev_b32_e32 v19, 5, v0
	s_and_b32 s21, s14, 0xffff
	buffer_load_dwordx4 v[14:17], v19, s[28:31], 0 offen
	buffer_load_dwordx4 v[10:13], v19, s[28:31], 16 offen
	;; [unrolled: 1-line block ×4, first 2 shown]
.LBB615_3:
	s_or_b64 exec, exec, s[0:1]
	v_mov_b32_e32 v19, 0
	v_mov_b32_e32 v20, 0
	;; [unrolled: 1-line block ×15, first 2 shown]
	s_and_saveexec_b64 s[0:1], s[2:3]
	s_cbranch_execz .LBB615_5
; %bb.4:
	s_waitcnt vmcnt(3)
	v_cvt_f32_f16_sdwa v19, v14 dst_sel:DWORD dst_unused:UNUSED_PAD src0_sel:WORD_1
	v_cvt_f32_f16_e32 v18, v14
	v_cvt_f32_f16_sdwa v21, v15 dst_sel:DWORD dst_unused:UNUSED_PAD src0_sel:WORD_1
	v_cvt_f32_f16_e32 v20, v15
	;; [unrolled: 2-line block ×4, first 2 shown]
	s_waitcnt vmcnt(2)
	v_cvt_f32_f16_sdwa v25, v10 dst_sel:DWORD dst_unused:UNUSED_PAD src0_sel:WORD_1
	v_cvt_f32_f16_e32 v24, v10
	v_cvt_f32_f16_sdwa v29, v11 dst_sel:DWORD dst_unused:UNUSED_PAD src0_sel:WORD_1
	v_cvt_f32_f16_e32 v28, v11
	;; [unrolled: 2-line block ×4, first 2 shown]
.LBB615_5:
	s_or_b64 exec, exec, s[0:1]
	s_waitcnt vmcnt(2)
	v_mul_f32_e32 v10, v19, v19
	v_fmac_f32_e32 v10, v18, v18
	v_fmac_f32_e32 v10, v20, v20
	;; [unrolled: 1-line block ×15, first 2 shown]
	v_and_b32_e32 v12, 63, v0
	v_cmp_eq_u32_e64 s[0:1], 63, v12
	v_mov_b32_dpp v11, v10 quad_perm:[1,0,3,2] row_mask:0xf bank_mask:0xf
	v_add_f32_e32 v10, v10, v11
	s_nop 1
	v_mov_b32_dpp v11, v10 quad_perm:[2,3,0,1] row_mask:0xf bank_mask:0xf
	v_add_f32_e32 v10, v10, v11
	s_nop 1
	v_mov_b32_dpp v11, v10 row_half_mirror row_mask:0xf bank_mask:0xf
	v_add_f32_e32 v10, v10, v11
	s_nop 1
	v_mov_b32_dpp v11, v10 row_mirror row_mask:0xf bank_mask:0xf
	v_add_f32_e32 v10, v10, v11
	s_nop 1
	v_mov_b32_dpp v11, v10 row_bcast:15 row_mask:0xf bank_mask:0xf
	v_add_f32_e32 v10, v10, v11
	s_nop 1
	v_mov_b32_dpp v11, v10 row_bcast:31 row_mask:0xf bank_mask:0xf
	s_and_saveexec_b64 s[14:15], s[0:1]
	s_cbranch_execz .LBB615_7
; %bb.6:
	v_add_f32_e32 v10, v10, v11
	v_lshrrev_b32_e32 v11, 4, v0
	v_and_b32_e32 v11, 60, v11
	ds_write_b32 v11, v10 offset:8
.LBB615_7:
	s_or_b64 exec, exec, s[14:15]
	v_and_b32_e32 v10, 1, v0
	v_lshlrev_b32_e32 v34, 2, v10
	s_waitcnt lgkmcnt(0)
	s_barrier
	ds_read_b32 v10, v34 offset:8
	s_load_dwordx2 s[14:15], s[4:5], 0x18
	s_waitcnt lgkmcnt(0)
	v_mov_b32_dpp v11, v10 quad_perm:[1,0,3,2] row_mask:0xf bank_mask:0xf
	s_and_saveexec_b64 s[20:21], s[2:3]
	s_cbranch_execz .LBB615_9
; %bb.8:
	v_cvt_f32_u32_e32 v12, s7
	v_add_f32_e32 v10, v10, v11
	v_mov_b32_e32 v14, s13
	v_mov_b32_e32 v15, s12
	v_div_scale_f32 v11, s[26:27], v12, v12, v10
	v_rcp_f32_e32 v13, v11
	v_cndmask_b32_e32 v14, v14, v15, vcc
	s_mov_b32 s7, 0x800000
	v_fma_f32 v15, -v11, v13, 1.0
	v_fmac_f32_e32 v13, v15, v13
	v_div_scale_f32 v15, vcc, v10, v12, v10
	v_mul_f32_e32 v16, v15, v13
	v_fma_f32 v17, -v11, v16, v15
	v_fmac_f32_e32 v16, v17, v13
	v_fma_f32 v11, -v11, v16, v15
	v_div_fmas_f32 v11, v11, v13, v16
	v_div_fixup_f32 v10, v11, v12, v10
	v_add_f32_e32 v10, v14, v10
	v_mul_f32_e32 v11, 0x4b800000, v10
	v_cmp_gt_f32_e32 vcc, s7, v10
	v_cndmask_b32_e32 v10, v10, v11, vcc
	v_rsq_f32_e32 v10, v10
	v_mul_f32_e32 v11, 0x45800000, v10
	v_cndmask_b32_e32 v10, v10, v11, vcc
	v_mov_b32_e32 v11, v10
	;;#ASMSTART
	v_pk_mul_f32 v[12:13], v[18:19], v[10:11]
	;;#ASMEND
	;;#ASMSTART
	v_pk_mul_f32 v[14:15], v[20:21], v[10:11]
	;;#ASMEND
	;; [unrolled: 3-line block ×8, first 2 shown]
	s_waitcnt vmcnt(1)
	v_cvt_f32_f16_sdwa v19, v6 dst_sel:DWORD dst_unused:UNUSED_PAD src0_sel:WORD_1
	v_cvt_f32_f16_e32 v18, v6
	v_cvt_f32_f16_sdwa v21, v7 dst_sel:DWORD dst_unused:UNUSED_PAD src0_sel:WORD_1
	v_cvt_f32_f16_e32 v20, v7
	;; [unrolled: 2-line block ×4, first 2 shown]
	;;#ASMSTART
	v_pk_mul_f32 v[18:19], v[12:13], v[18:19]
	;;#ASMEND
	;;#ASMSTART
	v_pk_mul_f32 v[20:21], v[14:15], v[20:21]
	;;#ASMEND
	;; [unrolled: 3-line block ×4, first 2 shown]
	s_waitcnt vmcnt(0)
	v_cvt_f32_f16_sdwa v7, v2 dst_sel:DWORD dst_unused:UNUSED_PAD src0_sel:WORD_1
	v_cvt_f32_f16_e32 v6, v2
	v_cvt_f32_f16_sdwa v9, v3 dst_sel:DWORD dst_unused:UNUSED_PAD src0_sel:WORD_1
	v_cvt_f32_f16_e32 v8, v3
	;; [unrolled: 2-line block ×4, first 2 shown]
	;;#ASMSTART
	v_pk_mul_f32 v[24:25], v[24:25], v[6:7]
	;;#ASMEND
	;;#ASMSTART
	v_pk_mul_f32 v[28:29], v[28:29], v[8:9]
	;;#ASMEND
	;; [unrolled: 3-line block ×4, first 2 shown]
.LBB615_9:
	s_or_b64 exec, exec, s[20:21]
	s_load_dwordx2 s[26:27], s[4:5], 0x7c
	s_mov_b64 s[20:21], -1
	s_and_b64 vcc, exec, s[10:11]
	s_cbranch_vccnz .LBB615_13
; %bb.10:
	s_andn2_b64 vcc, exec, s[20:21]
	s_cbranch_vccz .LBB615_16
.LBB615_11:
	s_cmp_lt_i32 s16, 1
	s_cbranch_scc0 .LBB615_19
.LBB615_12:
	s_endpgm
.LBB615_13:
	s_and_saveexec_b64 s[10:11], s[2:3]
	s_cbranch_execz .LBB615_15
; %bb.14:
	s_waitcnt lgkmcnt(0)
	s_mul_hi_i32 s21, s27, s6
	s_mul_i32 s20, s27, s6
	s_waitcnt vmcnt(0)
	v_cvt_f16_f32_e32 v2, v18
	v_cvt_f16_f32_e32 v3, v20
	;; [unrolled: 1-line block ×8, first 2 shown]
	s_lshl_b64 s[20:21], s[20:21], 1
	s_add_u32 s20, s14, s20
	s_addc_u32 s7, s15, s21
	s_and_b32 s21, s7, 0xffff
	s_mov_b32 s23, 0x20000
	v_pack_b32_f16 v5, v5, v6
	v_pack_b32_f16 v4, v4, v7
	;; [unrolled: 1-line block ×4, first 2 shown]
	v_lshlrev_b32_e32 v6, 5, v0
	buffer_store_dwordx4 v[2:5], v6, s[20:23], 0 offen
	v_cvt_f16_f32_e32 v7, v33
	v_cvt_f16_f32_e32 v2, v24
	;; [unrolled: 1-line block ×8, first 2 shown]
	v_pack_b32_f16 v5, v5, v7
	v_pack_b32_f16 v4, v4, v8
	;; [unrolled: 1-line block ×4, first 2 shown]
	;;#ASMSTART
	s_nop 0
	;;#ASMEND
	buffer_store_dwordx4 v[2:5], v6, s[20:23], 16 offen
	;;#ASMSTART
	s_nop 0
	;;#ASMEND
.LBB615_15:
	s_or_b64 exec, exec, s[10:11]
	s_cbranch_execnz .LBB615_11
.LBB615_16:
	s_and_saveexec_b64 s[10:11], s[2:3]
	s_cbranch_execz .LBB615_18
; %bb.17:
	s_load_dwordx2 s[2:3], s[4:5], 0x10
	s_waitcnt lgkmcnt(0)
	s_mul_hi_i32 s21, s26, s6
	s_mul_i32 s20, s26, s6
	s_waitcnt vmcnt(0)
	v_cvt_f16_f32_e32 v2, v18
	v_cvt_f16_f32_e32 v3, v20
	;; [unrolled: 1-line block ×8, first 2 shown]
	s_lshl_b64 s[20:21], s[20:21], 1
	s_add_u32 s20, s2, s20
	s_addc_u32 s2, s3, s21
	s_mov_b32 s23, 0x20000
	s_and_b32 s21, s2, 0xffff
	v_pack_b32_f16 v5, v5, v6
	v_pack_b32_f16 v4, v4, v7
	;; [unrolled: 1-line block ×4, first 2 shown]
	v_lshlrev_b32_e32 v6, 5, v0
	buffer_store_dwordx4 v[2:5], v6, s[20:23], 0 offen
	v_cvt_f16_f32_e32 v7, v33
	v_cvt_f16_f32_e32 v2, v24
	v_cvt_f16_f32_e32 v3, v28
	v_cvt_f16_f32_e32 v4, v30
	v_cvt_f16_f32_e32 v5, v32
	v_cvt_f16_f32_e32 v8, v31
	v_cvt_f16_f32_e32 v9, v29
	v_cvt_f16_f32_e32 v10, v25
	v_pack_b32_f16 v5, v5, v7
	v_pack_b32_f16 v4, v4, v8
	;; [unrolled: 1-line block ×4, first 2 shown]
	;;#ASMSTART
	s_nop 0
	;;#ASMEND
	buffer_store_dwordx4 v[2:5], v6, s[20:23], 16 offen
	;;#ASMSTART
	s_nop 0
	;;#ASMEND
.LBB615_18:
	s_or_b64 exec, exec, s[10:11]
	s_cmp_lt_i32 s16, 1
	s_cbranch_scc1 .LBB615_12
.LBB615_19:
	s_load_dword s2, s[4:5], 0x94
	s_waitcnt lgkmcnt(0)
	s_cmp_lg_u32 s2, 1
	s_cbranch_scc1 .LBB615_12
; %bb.20:
	s_lshl_b32 s2, s16, 1
	s_add_i32 s2, s2, 2
	v_cmp_gt_u32_e32 vcc, s16, v1
	s_and_b32 s10, s2, -4
	v_mov_b32_e32 v18, 0
	v_lshlrev_b32_e32 v1, 5, v0
	v_mov_b32_e32 v14, 0
	v_mov_b32_e32 v15, 0
	v_mov_b32_e32 v16, 0
	v_mov_b32_e32 v17, 0
	v_mov_b32_e32 v10, 0
	v_mov_b32_e32 v11, 0
	v_mov_b32_e32 v12, 0
	v_mov_b32_e32 v13, 0
	s_waitcnt vmcnt(1)
	v_mov_b32_e32 v6, 0
	v_mov_b32_e32 v7, 0
	;; [unrolled: 1-line block ×4, first 2 shown]
	s_waitcnt vmcnt(0)
	v_mov_b32_e32 v2, 0
	v_mov_b32_e32 v3, 0
	;; [unrolled: 1-line block ×4, first 2 shown]
	s_barrier
	s_and_saveexec_b64 s[2:3], vcc
	s_cbranch_execz .LBB615_22
; %bb.21:
	s_mul_hi_i32 s5, s18, s6
	s_mul_i32 s4, s18, s6
	s_and_b32 s9, s9, 0xffff
	s_lshl_b64 s[4:5], s[4:5], 1
	s_add_u32 s20, s24, s4
	s_mov_b32 s11, 0x20000
	s_addc_u32 s4, s25, s5
	s_and_b32 s21, s4, 0xffff
	s_mov_b32 s22, s10
	s_mov_b32 s23, s11
	buffer_load_dwordx4 v[14:17], v1, s[20:23], 0 offen
	buffer_load_dwordx4 v[10:13], v1, s[20:23], 16 offen
	buffer_load_dwordx4 v[6:9], v1, s[8:11], 0 offen
	buffer_load_dwordx4 v[2:5], v1, s[8:11], 16 offen
.LBB615_22:
	s_or_b64 exec, exec, s[2:3]
	v_mov_b32_e32 v19, 0
	v_mov_b32_e32 v32, 0
	;; [unrolled: 1-line block ×15, first 2 shown]
	s_and_saveexec_b64 s[2:3], vcc
	s_cbranch_execz .LBB615_24
; %bb.23:
	s_waitcnt vmcnt(3)
	v_cvt_f32_f16_sdwa v19, v14 dst_sel:DWORD dst_unused:UNUSED_PAD src0_sel:WORD_1
	v_cvt_f32_f16_e32 v18, v14
	v_cvt_f32_f16_sdwa v33, v15 dst_sel:DWORD dst_unused:UNUSED_PAD src0_sel:WORD_1
	v_cvt_f32_f16_e32 v32, v15
	;; [unrolled: 2-line block ×4, first 2 shown]
	s_waitcnt vmcnt(2)
	v_cvt_f32_f16_sdwa v27, v10 dst_sel:DWORD dst_unused:UNUSED_PAD src0_sel:WORD_1
	v_cvt_f32_f16_e32 v26, v10
	v_cvt_f32_f16_sdwa v25, v11 dst_sel:DWORD dst_unused:UNUSED_PAD src0_sel:WORD_1
	v_cvt_f32_f16_e32 v24, v11
	;; [unrolled: 2-line block ×4, first 2 shown]
.LBB615_24:
	s_or_b64 exec, exec, s[2:3]
	s_waitcnt vmcnt(2)
	v_mul_f32_e32 v10, v19, v19
	v_fmac_f32_e32 v10, v18, v18
	v_fmac_f32_e32 v10, v32, v32
	;; [unrolled: 1-line block ×15, first 2 shown]
	s_nop 1
	v_mov_b32_dpp v11, v10 quad_perm:[1,0,3,2] row_mask:0xf bank_mask:0xf
	v_add_f32_e32 v10, v10, v11
	s_nop 1
	v_mov_b32_dpp v11, v10 quad_perm:[2,3,0,1] row_mask:0xf bank_mask:0xf
	v_add_f32_e32 v10, v10, v11
	s_nop 1
	v_mov_b32_dpp v11, v10 row_half_mirror row_mask:0xf bank_mask:0xf
	v_add_f32_e32 v10, v10, v11
	s_nop 1
	v_mov_b32_dpp v11, v10 row_mirror row_mask:0xf bank_mask:0xf
	v_add_f32_e32 v10, v10, v11
	s_nop 1
	v_mov_b32_dpp v11, v10 row_bcast:15 row_mask:0xf bank_mask:0xf
	v_add_f32_e32 v10, v10, v11
	s_nop 1
	v_mov_b32_dpp v11, v10 row_bcast:31 row_mask:0xf bank_mask:0xf
	s_and_saveexec_b64 s[2:3], s[0:1]
	s_cbranch_execz .LBB615_26
; %bb.25:
	v_lshrrev_b32_e32 v0, 4, v0
	v_add_f32_e32 v10, v10, v11
	v_and_b32_e32 v0, 60, v0
	ds_write_b32 v0, v10
.LBB615_26:
	s_or_b64 exec, exec, s[2:3]
	s_waitcnt lgkmcnt(0)
	s_barrier
	ds_read_b32 v0, v34
	s_waitcnt lgkmcnt(0)
	s_nop 0
	v_mov_b32_dpp v10, v0 quad_perm:[1,0,3,2] row_mask:0xf bank_mask:0xf
	s_and_saveexec_b64 s[0:1], vcc
	s_cbranch_execz .LBB615_12
; %bb.27:
	v_cvt_f32_u32_e32 v11, s16
	v_add_f32_e32 v0, v0, v10
	s_mov_b32 s11, 0x20000
	v_div_scale_f32 v10, s[0:1], v11, v11, v0
	v_rcp_f32_e32 v12, v10
	v_div_scale_f32 v13, vcc, v0, v11, v0
	s_mov_b32 s0, 0x800000
	v_fma_f32 v14, -v10, v12, 1.0
	v_fmac_f32_e32 v12, v14, v12
	v_mul_f32_e32 v14, v13, v12
	v_fma_f32 v15, -v10, v14, v13
	v_fmac_f32_e32 v14, v15, v12
	v_fma_f32 v10, -v10, v14, v13
	v_div_fmas_f32 v10, v10, v12, v14
	v_div_fixup_f32 v0, v10, v11, v0
	v_add_f32_e32 v0, s13, v0
	v_mul_f32_e32 v10, 0x4b800000, v0
	v_cmp_gt_f32_e32 vcc, s0, v0
	v_cndmask_b32_e32 v0, v0, v10, vcc
	v_rsq_f32_e32 v0, v0
	s_mul_hi_i32 s1, s27, s6
	s_mul_i32 s0, s27, s6
	s_lshl_b64 s[0:1], s[0:1], 1
	v_mul_f32_e32 v10, 0x45800000, v0
	v_cndmask_b32_e32 v10, v0, v10, vcc
	v_mov_b32_e32 v11, v10
	;;#ASMSTART
	v_pk_mul_f32 v[12:13], v[18:19], v[10:11]
	;;#ASMEND
	;;#ASMSTART
	v_pk_mul_f32 v[14:15], v[32:33], v[10:11]
	;;#ASMEND
	;; [unrolled: 3-line block ×8, first 2 shown]
	s_waitcnt vmcnt(1)
	v_cvt_f32_f16_sdwa v21, v6 dst_sel:DWORD dst_unused:UNUSED_PAD src0_sel:WORD_1
	v_cvt_f32_f16_e32 v20, v6
	v_cvt_f32_f16_sdwa v29, v7 dst_sel:DWORD dst_unused:UNUSED_PAD src0_sel:WORD_1
	v_cvt_f32_f16_e32 v28, v7
	;; [unrolled: 2-line block ×4, first 2 shown]
	;;#ASMSTART
	v_pk_mul_f32 v[8:9], v[12:13], v[20:21]
	;;#ASMEND
	;;#ASMSTART
	v_pk_mul_f32 v[12:13], v[14:15], v[28:29]
	;;#ASMEND
	;; [unrolled: 3-line block ×4, first 2 shown]
	s_waitcnt vmcnt(0)
	v_cvt_f32_f16_sdwa v17, v2 dst_sel:DWORD dst_unused:UNUSED_PAD src0_sel:WORD_1
	v_cvt_f32_f16_e32 v16, v2
	v_cvt_f32_f16_sdwa v19, v3 dst_sel:DWORD dst_unused:UNUSED_PAD src0_sel:WORD_1
	v_cvt_f32_f16_e32 v18, v3
	;; [unrolled: 2-line block ×4, first 2 shown]
	;;#ASMSTART
	v_pk_mul_f32 v[16:17], v[26:27], v[16:17]
	;;#ASMEND
	;;#ASMSTART
	v_pk_mul_f32 v[18:19], v[24:25], v[18:19]
	;;#ASMEND
	;; [unrolled: 3-line block ×3, first 2 shown]
	v_cvt_f16_f32_e32 v0, v8
	v_cvt_f16_f32_e32 v2, v9
	;; [unrolled: 1-line block ×8, first 2 shown]
	s_add_u32 s8, s14, s0
	s_addc_u32 s0, s15, s1
	s_and_b32 s9, s0, 0xffff
	v_pack_b32_f16 v2, v0, v2
	v_pack_b32_f16 v3, v3, v4
	;; [unrolled: 1-line block ×4, first 2 shown]
	;;#ASMSTART
	v_pk_mul_f32 v[10:11], v[10:11], v[20:21]
	;;#ASMEND
	buffer_store_dwordx4 v[2:5], v1, s[8:11], 0 offen
	v_cvt_f16_f32_e32 v0, v16
	v_cvt_f16_f32_e32 v2, v17
	;; [unrolled: 1-line block ×8, first 2 shown]
	v_pack_b32_f16 v2, v0, v2
	v_pack_b32_f16 v3, v3, v4
	;; [unrolled: 1-line block ×4, first 2 shown]
	;;#ASMSTART
	s_nop 0
	;;#ASMEND
	buffer_store_dwordx4 v[2:5], v1, s[8:11], 16 offen
	;;#ASMSTART
	s_nop 0
	;;#ASMEND
	s_endpgm
	.section	.rodata,"a",@progbits
	.p2align	6, 0x0
	.amdhsa_kernel _ZN5aiter35fused_qk_rmsnorm_group_quant_kernelIDF16_N4opus5fp4_tELi128ELi16ELi8ELb0ELb1ELb0ELb1ELb0ELb0EEEvPT0_PvPT_S7_S7_PKS6_S9_S9_S9_S9_ffiiiiiiiiiiiii
		.amdhsa_group_segment_fixed_size 16
		.amdhsa_private_segment_fixed_size 0
		.amdhsa_kernarg_size 400
		.amdhsa_user_sgpr_count 6
		.amdhsa_user_sgpr_private_segment_buffer 1
		.amdhsa_user_sgpr_dispatch_ptr 0
		.amdhsa_user_sgpr_queue_ptr 0
		.amdhsa_user_sgpr_kernarg_segment_ptr 1
		.amdhsa_user_sgpr_dispatch_id 0
		.amdhsa_user_sgpr_flat_scratch_init 0
		.amdhsa_user_sgpr_kernarg_preload_length 0
		.amdhsa_user_sgpr_kernarg_preload_offset 0
		.amdhsa_user_sgpr_private_segment_size 0
		.amdhsa_uses_dynamic_stack 0
		.amdhsa_system_sgpr_private_segment_wavefront_offset 0
		.amdhsa_system_sgpr_workgroup_id_x 1
		.amdhsa_system_sgpr_workgroup_id_y 1
		.amdhsa_system_sgpr_workgroup_id_z 0
		.amdhsa_system_sgpr_workgroup_info 0
		.amdhsa_system_vgpr_workitem_id 0
		.amdhsa_next_free_vgpr 35
		.amdhsa_next_free_sgpr 32
		.amdhsa_accum_offset 36
		.amdhsa_reserve_vcc 1
		.amdhsa_reserve_flat_scratch 0
		.amdhsa_float_round_mode_32 0
		.amdhsa_float_round_mode_16_64 0
		.amdhsa_float_denorm_mode_32 3
		.amdhsa_float_denorm_mode_16_64 3
		.amdhsa_dx10_clamp 1
		.amdhsa_ieee_mode 1
		.amdhsa_fp16_overflow 0
		.amdhsa_tg_split 0
		.amdhsa_exception_fp_ieee_invalid_op 0
		.amdhsa_exception_fp_denorm_src 0
		.amdhsa_exception_fp_ieee_div_zero 0
		.amdhsa_exception_fp_ieee_overflow 0
		.amdhsa_exception_fp_ieee_underflow 0
		.amdhsa_exception_fp_ieee_inexact 0
		.amdhsa_exception_int_div_zero 0
	.end_amdhsa_kernel
	.section	.text._ZN5aiter35fused_qk_rmsnorm_group_quant_kernelIDF16_N4opus5fp4_tELi128ELi16ELi8ELb0ELb1ELb0ELb1ELb0ELb0EEEvPT0_PvPT_S7_S7_PKS6_S9_S9_S9_S9_ffiiiiiiiiiiiii,"axG",@progbits,_ZN5aiter35fused_qk_rmsnorm_group_quant_kernelIDF16_N4opus5fp4_tELi128ELi16ELi8ELb0ELb1ELb0ELb1ELb0ELb0EEEvPT0_PvPT_S7_S7_PKS6_S9_S9_S9_S9_ffiiiiiiiiiiiii,comdat
.Lfunc_end615:
	.size	_ZN5aiter35fused_qk_rmsnorm_group_quant_kernelIDF16_N4opus5fp4_tELi128ELi16ELi8ELb0ELb1ELb0ELb1ELb0ELb0EEEvPT0_PvPT_S7_S7_PKS6_S9_S9_S9_S9_ffiiiiiiiiiiiii, .Lfunc_end615-_ZN5aiter35fused_qk_rmsnorm_group_quant_kernelIDF16_N4opus5fp4_tELi128ELi16ELi8ELb0ELb1ELb0ELb1ELb0ELb0EEEvPT0_PvPT_S7_S7_PKS6_S9_S9_S9_S9_ffiiiiiiiiiiiii
                                        ; -- End function
	.section	.AMDGPU.csdata,"",@progbits
; Kernel info:
; codeLenInByte = 2808
; NumSgprs: 36
; NumVgprs: 35
; NumAgprs: 0
; TotalNumVgprs: 35
; ScratchSize: 0
; MemoryBound: 0
; FloatMode: 240
; IeeeMode: 1
; LDSByteSize: 16 bytes/workgroup (compile time only)
; SGPRBlocks: 4
; VGPRBlocks: 4
; NumSGPRsForWavesPerEU: 36
; NumVGPRsForWavesPerEU: 35
; AccumOffset: 36
; Occupancy: 8
; WaveLimiterHint : 0
; COMPUTE_PGM_RSRC2:SCRATCH_EN: 0
; COMPUTE_PGM_RSRC2:USER_SGPR: 6
; COMPUTE_PGM_RSRC2:TRAP_HANDLER: 0
; COMPUTE_PGM_RSRC2:TGID_X_EN: 1
; COMPUTE_PGM_RSRC2:TGID_Y_EN: 1
; COMPUTE_PGM_RSRC2:TGID_Z_EN: 0
; COMPUTE_PGM_RSRC2:TIDIG_COMP_CNT: 0
; COMPUTE_PGM_RSRC3_GFX90A:ACCUM_OFFSET: 8
; COMPUTE_PGM_RSRC3_GFX90A:TG_SPLIT: 0
	.section	.text._ZN5aiter35fused_qk_rmsnorm_group_quant_kernelItN4opus5fp4_tELi128ELi16ELi8ELb0ELb1ELb0ELb1ELb0ELb0EEEvPT0_PvPT_S7_S7_PKS6_S9_S9_S9_S9_ffiiiiiiiiiiiii,"axG",@progbits,_ZN5aiter35fused_qk_rmsnorm_group_quant_kernelItN4opus5fp4_tELi128ELi16ELi8ELb0ELb1ELb0ELb1ELb0ELb0EEEvPT0_PvPT_S7_S7_PKS6_S9_S9_S9_S9_ffiiiiiiiiiiiii,comdat
	.protected	_ZN5aiter35fused_qk_rmsnorm_group_quant_kernelItN4opus5fp4_tELi128ELi16ELi8ELb0ELb1ELb0ELb1ELb0ELb0EEEvPT0_PvPT_S7_S7_PKS6_S9_S9_S9_S9_ffiiiiiiiiiiiii ; -- Begin function _ZN5aiter35fused_qk_rmsnorm_group_quant_kernelItN4opus5fp4_tELi128ELi16ELi8ELb0ELb1ELb0ELb1ELb0ELb0EEEvPT0_PvPT_S7_S7_PKS6_S9_S9_S9_S9_ffiiiiiiiiiiiii
	.globl	_ZN5aiter35fused_qk_rmsnorm_group_quant_kernelItN4opus5fp4_tELi128ELi16ELi8ELb0ELb1ELb0ELb1ELb0ELb0EEEvPT0_PvPT_S7_S7_PKS6_S9_S9_S9_S9_ffiiiiiiiiiiiii
	.p2align	8
	.type	_ZN5aiter35fused_qk_rmsnorm_group_quant_kernelItN4opus5fp4_tELi128ELi16ELi8ELb0ELb1ELb0ELb1ELb0ELb0EEEvPT0_PvPT_S7_S7_PKS6_S9_S9_S9_S9_ffiiiiiiiiiiiii,@function
_ZN5aiter35fused_qk_rmsnorm_group_quant_kernelItN4opus5fp4_tELi128ELi16ELi8ELb0ELb1ELb0ELb1ELb0ELb0EEEvPT0_PvPT_S7_S7_PKS6_S9_S9_S9_S9_ffiiiiiiiiiiiii: ; @_ZN5aiter35fused_qk_rmsnorm_group_quant_kernelItN4opus5fp4_tELi128ELi16ELi8ELb0ELb1ELb0ELb1ELb0ELb0EEEvPT0_PvPT_S7_S7_PKS6_S9_S9_S9_S9_ffiiiiiiiiiiiii
; %bb.0:
	s_load_dwordx4 s[12:15], s[4:5], 0x50
	s_waitcnt lgkmcnt(0)
	s_cmp_ge_i32 s6, s14
	s_cbranch_scc1 .LBB616_12
; %bb.1:
	s_load_dwordx2 s[24:25], s[4:5], 0x30
	s_load_dwordx2 s[8:9], s[4:5], 0x48
	s_load_dwordx4 s[16:19], s[4:5], 0x60
	s_cmp_lg_u32 s7, 0
	s_cselect_b64 s[10:11], -1, 0
	s_cmp_eq_u32 s7, 0
	s_cselect_b64 vcc, -1, 0
	s_and_b64 s[0:1], vcc, exec
	s_waitcnt lgkmcnt(0)
	s_cselect_b32 s7, s15, s16
	s_add_i32 s0, s7, 1
	s_lshr_b32 s1, s0, 31
	s_add_i32 s0, s0, s1
	s_lshl_b32 s0, s0, 1
	v_lshlrev_b32_e32 v1, 4, v0
	s_and_b32 s22, s0, -4
	v_cmp_gt_i32_e64 s[2:3], s7, v1
	v_mov_b32_e32 v18, 0
	v_mov_b32_e32 v6, 0
	;; [unrolled: 1-line block ×17, first 2 shown]
	s_and_saveexec_b64 s[0:1], s[2:3]
	s_cbranch_execz .LBB616_3
; %bb.2:
	s_load_dwordx2 s[14:15], s[4:5], 0x28
	s_load_dwordx2 s[20:21], s[4:5], 0x40
	s_and_b64 s[26:27], vcc, exec
	s_cselect_b32 s17, s17, s18
	s_mov_b32 s30, s22
	s_waitcnt lgkmcnt(0)
	s_cselect_b32 s19, s15, s25
	s_cselect_b32 s23, s14, s24
	s_mul_hi_i32 s15, s17, s6
	s_mul_i32 s14, s17, s6
	s_lshl_b64 s[14:15], s[14:15], 1
	s_add_u32 s28, s23, s14
	s_addc_u32 s17, s19, s15
	s_and_b64 s[14:15], vcc, exec
	s_mov_b32 s23, 0x20000
	s_cselect_b32 s20, s20, s8
	s_cselect_b32 s14, s21, s9
	s_and_b32 s29, s17, 0xffff
	s_mov_b32 s31, s23
	v_lshlrev_b32_e32 v19, 5, v0
	s_and_b32 s21, s14, 0xffff
	buffer_load_dwordx4 v[14:17], v19, s[28:31], 0 offen
	buffer_load_dwordx4 v[10:13], v19, s[28:31], 16 offen
	;; [unrolled: 1-line block ×4, first 2 shown]
.LBB616_3:
	s_or_b64 exec, exec, s[0:1]
	v_mov_b32_e32 v19, 0
	v_mov_b32_e32 v20, 0
	;; [unrolled: 1-line block ×15, first 2 shown]
	s_and_saveexec_b64 s[0:1], s[2:3]
	s_cbranch_execz .LBB616_5
; %bb.4:
	s_waitcnt vmcnt(3)
	v_cvt_f32_u32_sdwa v18, v14 dst_sel:DWORD dst_unused:UNUSED_PAD src0_sel:WORD_0
	v_cvt_f32_u32_sdwa v19, v14 dst_sel:DWORD dst_unused:UNUSED_PAD src0_sel:WORD_1
	v_cvt_f32_u32_sdwa v20, v15 dst_sel:DWORD dst_unused:UNUSED_PAD src0_sel:WORD_0
	v_cvt_f32_u32_sdwa v21, v15 dst_sel:DWORD dst_unused:UNUSED_PAD src0_sel:WORD_1
	;; [unrolled: 2-line block ×4, first 2 shown]
	s_waitcnt vmcnt(2)
	v_cvt_f32_u32_sdwa v26, v10 dst_sel:DWORD dst_unused:UNUSED_PAD src0_sel:WORD_0
	v_cvt_f32_u32_sdwa v27, v10 dst_sel:DWORD dst_unused:UNUSED_PAD src0_sel:WORD_1
	v_cvt_f32_u32_sdwa v28, v11 dst_sel:DWORD dst_unused:UNUSED_PAD src0_sel:WORD_0
	v_cvt_f32_u32_sdwa v29, v11 dst_sel:DWORD dst_unused:UNUSED_PAD src0_sel:WORD_1
	;; [unrolled: 2-line block ×4, first 2 shown]
.LBB616_5:
	s_or_b64 exec, exec, s[0:1]
	s_waitcnt vmcnt(2)
	v_mul_f32_e32 v10, v19, v19
	v_fmac_f32_e32 v10, v18, v18
	v_fmac_f32_e32 v10, v20, v20
	;; [unrolled: 1-line block ×15, first 2 shown]
	v_and_b32_e32 v12, 63, v0
	v_cmp_eq_u32_e64 s[0:1], 63, v12
	v_mov_b32_dpp v11, v10 quad_perm:[1,0,3,2] row_mask:0xf bank_mask:0xf
	v_add_f32_e32 v10, v10, v11
	s_nop 1
	v_mov_b32_dpp v11, v10 quad_perm:[2,3,0,1] row_mask:0xf bank_mask:0xf
	v_add_f32_e32 v10, v10, v11
	s_nop 1
	v_mov_b32_dpp v11, v10 row_half_mirror row_mask:0xf bank_mask:0xf
	v_add_f32_e32 v10, v10, v11
	s_nop 1
	v_mov_b32_dpp v11, v10 row_mirror row_mask:0xf bank_mask:0xf
	v_add_f32_e32 v10, v10, v11
	s_nop 1
	v_mov_b32_dpp v11, v10 row_bcast:15 row_mask:0xf bank_mask:0xf
	v_add_f32_e32 v10, v10, v11
	s_nop 1
	v_mov_b32_dpp v11, v10 row_bcast:31 row_mask:0xf bank_mask:0xf
	s_and_saveexec_b64 s[14:15], s[0:1]
	s_cbranch_execz .LBB616_7
; %bb.6:
	v_add_f32_e32 v10, v10, v11
	v_lshrrev_b32_e32 v11, 4, v0
	v_and_b32_e32 v11, 60, v11
	ds_write_b32 v11, v10 offset:8
.LBB616_7:
	s_or_b64 exec, exec, s[14:15]
	v_and_b32_e32 v10, 1, v0
	v_lshlrev_b32_e32 v34, 2, v10
	s_waitcnt lgkmcnt(0)
	s_barrier
	ds_read_b32 v10, v34 offset:8
	s_load_dwordx2 s[14:15], s[4:5], 0x18
	s_waitcnt lgkmcnt(0)
	v_mov_b32_dpp v11, v10 quad_perm:[1,0,3,2] row_mask:0xf bank_mask:0xf
	s_and_saveexec_b64 s[20:21], s[2:3]
	s_cbranch_execz .LBB616_9
; %bb.8:
	v_cvt_f32_u32_e32 v12, s7
	v_add_f32_e32 v10, v10, v11
	v_mov_b32_e32 v14, s13
	v_mov_b32_e32 v15, s12
	v_div_scale_f32 v11, s[26:27], v12, v12, v10
	v_rcp_f32_e32 v13, v11
	v_cndmask_b32_e32 v14, v14, v15, vcc
	s_mov_b32 s7, 0x800000
	v_fma_f32 v15, -v11, v13, 1.0
	v_fmac_f32_e32 v13, v15, v13
	v_div_scale_f32 v15, vcc, v10, v12, v10
	v_mul_f32_e32 v16, v15, v13
	v_fma_f32 v17, -v11, v16, v15
	v_fmac_f32_e32 v16, v17, v13
	v_fma_f32 v11, -v11, v16, v15
	v_div_fmas_f32 v11, v11, v13, v16
	v_div_fixup_f32 v10, v11, v12, v10
	v_add_f32_e32 v10, v14, v10
	v_mul_f32_e32 v11, 0x4b800000, v10
	v_cmp_gt_f32_e32 vcc, s7, v10
	v_cndmask_b32_e32 v10, v10, v11, vcc
	v_rsq_f32_e32 v10, v10
	v_mul_f32_e32 v11, 0x45800000, v10
	v_cndmask_b32_e32 v10, v10, v11, vcc
	v_mov_b32_e32 v11, v10
	;;#ASMSTART
	v_pk_mul_f32 v[12:13], v[18:19], v[10:11]
	;;#ASMEND
	;;#ASMSTART
	v_pk_mul_f32 v[14:15], v[20:21], v[10:11]
	;;#ASMEND
	;; [unrolled: 3-line block ×8, first 2 shown]
	s_waitcnt vmcnt(1)
	v_cvt_f32_u32_sdwa v19, v6 dst_sel:DWORD dst_unused:UNUSED_PAD src0_sel:WORD_1
	v_cvt_f32_u32_sdwa v18, v6 dst_sel:DWORD dst_unused:UNUSED_PAD src0_sel:WORD_0
	v_cvt_f32_u32_sdwa v21, v7 dst_sel:DWORD dst_unused:UNUSED_PAD src0_sel:WORD_1
	v_cvt_f32_u32_sdwa v20, v7 dst_sel:DWORD dst_unused:UNUSED_PAD src0_sel:WORD_0
	;; [unrolled: 2-line block ×4, first 2 shown]
	;;#ASMSTART
	v_pk_mul_f32 v[18:19], v[12:13], v[18:19]
	;;#ASMEND
	;;#ASMSTART
	v_pk_mul_f32 v[20:21], v[14:15], v[20:21]
	;;#ASMEND
	;; [unrolled: 3-line block ×4, first 2 shown]
	s_waitcnt vmcnt(0)
	v_cvt_f32_u32_sdwa v7, v2 dst_sel:DWORD dst_unused:UNUSED_PAD src0_sel:WORD_1
	v_cvt_f32_u32_sdwa v6, v2 dst_sel:DWORD dst_unused:UNUSED_PAD src0_sel:WORD_0
	v_cvt_f32_u32_sdwa v9, v3 dst_sel:DWORD dst_unused:UNUSED_PAD src0_sel:WORD_1
	v_cvt_f32_u32_sdwa v8, v3 dst_sel:DWORD dst_unused:UNUSED_PAD src0_sel:WORD_0
	;; [unrolled: 2-line block ×4, first 2 shown]
	;;#ASMSTART
	v_pk_mul_f32 v[26:27], v[26:27], v[6:7]
	;;#ASMEND
	;;#ASMSTART
	v_pk_mul_f32 v[28:29], v[28:29], v[8:9]
	;;#ASMEND
	;; [unrolled: 3-line block ×4, first 2 shown]
.LBB616_9:
	s_or_b64 exec, exec, s[20:21]
	s_load_dwordx2 s[26:27], s[4:5], 0x7c
	s_mov_b64 s[20:21], -1
	s_and_b64 vcc, exec, s[10:11]
	s_cbranch_vccnz .LBB616_13
; %bb.10:
	s_andn2_b64 vcc, exec, s[20:21]
	s_cbranch_vccz .LBB616_16
.LBB616_11:
	s_cmp_lt_i32 s16, 1
	s_cbranch_scc0 .LBB616_19
.LBB616_12:
	s_endpgm
.LBB616_13:
	s_and_saveexec_b64 s[10:11], s[2:3]
	s_cbranch_execz .LBB616_15
; %bb.14:
	s_waitcnt lgkmcnt(0)
	s_mul_hi_i32 s21, s27, s6
	s_mul_i32 s20, s27, s6
	s_lshl_b64 s[20:21], s[20:21], 1
	s_add_u32 s20, s14, s20
	s_addc_u32 s7, s15, s21
	s_and_b32 s21, s7, 0xffff
	s_mov_b32 s7, 0x7060302
	s_mov_b32 s23, 0x20000
	s_waitcnt vmcnt(0)
	v_perm_b32 v5, v25, v24, s7
	v_perm_b32 v4, v23, v22, s7
	;; [unrolled: 1-line block ×4, first 2 shown]
	v_lshlrev_b32_e32 v6, 5, v0
	buffer_store_dwordx4 v[2:5], v6, s[20:23], 0 offen
	;;#ASMSTART
	s_nop 0
	;;#ASMEND
	s_nop 0
	v_perm_b32 v5, v33, v32, s7
	v_perm_b32 v4, v31, v30, s7
	;; [unrolled: 1-line block ×4, first 2 shown]
	buffer_store_dwordx4 v[2:5], v6, s[20:23], 16 offen
	;;#ASMSTART
	s_nop 0
	;;#ASMEND
.LBB616_15:
	s_or_b64 exec, exec, s[10:11]
	s_cbranch_execnz .LBB616_11
.LBB616_16:
	s_and_saveexec_b64 s[10:11], s[2:3]
	s_cbranch_execz .LBB616_18
; %bb.17:
	s_load_dwordx2 s[2:3], s[4:5], 0x10
	s_waitcnt lgkmcnt(0)
	s_mul_hi_i32 s21, s26, s6
	s_mul_i32 s20, s26, s6
	s_lshl_b64 s[20:21], s[20:21], 1
	s_mov_b32 s23, 0x20000
	s_add_u32 s20, s2, s20
	s_addc_u32 s2, s3, s21
	s_and_b32 s21, s2, 0xffff
	s_mov_b32 s2, 0x7060302
	s_waitcnt vmcnt(0)
	v_perm_b32 v5, v25, v24, s2
	v_perm_b32 v4, v23, v22, s2
	;; [unrolled: 1-line block ×4, first 2 shown]
	v_lshlrev_b32_e32 v6, 5, v0
	buffer_store_dwordx4 v[2:5], v6, s[20:23], 0 offen
	;;#ASMSTART
	s_nop 0
	;;#ASMEND
	s_nop 0
	v_perm_b32 v5, v33, v32, s2
	v_perm_b32 v4, v31, v30, s2
	;; [unrolled: 1-line block ×4, first 2 shown]
	buffer_store_dwordx4 v[2:5], v6, s[20:23], 16 offen
	;;#ASMSTART
	s_nop 0
	;;#ASMEND
.LBB616_18:
	s_or_b64 exec, exec, s[10:11]
	s_cmp_lt_i32 s16, 1
	s_cbranch_scc1 .LBB616_12
.LBB616_19:
	s_load_dword s2, s[4:5], 0x94
	s_waitcnt lgkmcnt(0)
	s_cmp_lg_u32 s2, 1
	s_cbranch_scc1 .LBB616_12
; %bb.20:
	s_lshl_b32 s2, s16, 1
	s_add_i32 s2, s2, 2
	v_cmp_gt_u32_e32 vcc, s16, v1
	s_and_b32 s10, s2, -4
	v_mov_b32_e32 v18, 0
	v_lshlrev_b32_e32 v1, 5, v0
	v_mov_b32_e32 v14, 0
	v_mov_b32_e32 v15, 0
	;; [unrolled: 1-line block ×8, first 2 shown]
	s_waitcnt vmcnt(1)
	v_mov_b32_e32 v6, 0
	v_mov_b32_e32 v7, 0
	v_mov_b32_e32 v8, 0
	v_mov_b32_e32 v9, 0
	s_waitcnt vmcnt(0)
	v_mov_b32_e32 v2, 0
	v_mov_b32_e32 v3, 0
	;; [unrolled: 1-line block ×4, first 2 shown]
	s_barrier
	s_and_saveexec_b64 s[2:3], vcc
	s_cbranch_execz .LBB616_22
; %bb.21:
	s_mul_hi_i32 s5, s18, s6
	s_mul_i32 s4, s18, s6
	s_and_b32 s9, s9, 0xffff
	s_lshl_b64 s[4:5], s[4:5], 1
	s_add_u32 s20, s24, s4
	s_mov_b32 s11, 0x20000
	s_addc_u32 s4, s25, s5
	s_and_b32 s21, s4, 0xffff
	s_mov_b32 s22, s10
	s_mov_b32 s23, s11
	buffer_load_dwordx4 v[14:17], v1, s[20:23], 0 offen
	buffer_load_dwordx4 v[10:13], v1, s[20:23], 16 offen
	;; [unrolled: 1-line block ×4, first 2 shown]
.LBB616_22:
	s_or_b64 exec, exec, s[2:3]
	v_mov_b32_e32 v19, 0
	v_mov_b32_e32 v32, 0
	;; [unrolled: 1-line block ×15, first 2 shown]
	s_and_saveexec_b64 s[2:3], vcc
	s_cbranch_execz .LBB616_24
; %bb.23:
	s_waitcnt vmcnt(3)
	v_cvt_f32_u32_sdwa v18, v14 dst_sel:DWORD dst_unused:UNUSED_PAD src0_sel:WORD_0
	v_cvt_f32_u32_sdwa v19, v14 dst_sel:DWORD dst_unused:UNUSED_PAD src0_sel:WORD_1
	v_cvt_f32_u32_sdwa v32, v15 dst_sel:DWORD dst_unused:UNUSED_PAD src0_sel:WORD_0
	v_cvt_f32_u32_sdwa v33, v15 dst_sel:DWORD dst_unused:UNUSED_PAD src0_sel:WORD_1
	;; [unrolled: 2-line block ×4, first 2 shown]
	s_waitcnt vmcnt(2)
	v_cvt_f32_u32_sdwa v26, v10 dst_sel:DWORD dst_unused:UNUSED_PAD src0_sel:WORD_0
	v_cvt_f32_u32_sdwa v27, v10 dst_sel:DWORD dst_unused:UNUSED_PAD src0_sel:WORD_1
	v_cvt_f32_u32_sdwa v24, v11 dst_sel:DWORD dst_unused:UNUSED_PAD src0_sel:WORD_0
	v_cvt_f32_u32_sdwa v25, v11 dst_sel:DWORD dst_unused:UNUSED_PAD src0_sel:WORD_1
	;; [unrolled: 2-line block ×4, first 2 shown]
.LBB616_24:
	s_or_b64 exec, exec, s[2:3]
	s_waitcnt vmcnt(2)
	v_mul_f32_e32 v10, v19, v19
	v_fmac_f32_e32 v10, v18, v18
	v_fmac_f32_e32 v10, v32, v32
	;; [unrolled: 1-line block ×15, first 2 shown]
	s_nop 1
	v_mov_b32_dpp v11, v10 quad_perm:[1,0,3,2] row_mask:0xf bank_mask:0xf
	v_add_f32_e32 v10, v10, v11
	s_nop 1
	v_mov_b32_dpp v11, v10 quad_perm:[2,3,0,1] row_mask:0xf bank_mask:0xf
	v_add_f32_e32 v10, v10, v11
	s_nop 1
	v_mov_b32_dpp v11, v10 row_half_mirror row_mask:0xf bank_mask:0xf
	v_add_f32_e32 v10, v10, v11
	s_nop 1
	v_mov_b32_dpp v11, v10 row_mirror row_mask:0xf bank_mask:0xf
	v_add_f32_e32 v10, v10, v11
	s_nop 1
	v_mov_b32_dpp v11, v10 row_bcast:15 row_mask:0xf bank_mask:0xf
	v_add_f32_e32 v10, v10, v11
	s_nop 1
	v_mov_b32_dpp v11, v10 row_bcast:31 row_mask:0xf bank_mask:0xf
	s_and_saveexec_b64 s[2:3], s[0:1]
	s_cbranch_execz .LBB616_26
; %bb.25:
	v_lshrrev_b32_e32 v0, 4, v0
	v_add_f32_e32 v10, v10, v11
	v_and_b32_e32 v0, 60, v0
	ds_write_b32 v0, v10
.LBB616_26:
	s_or_b64 exec, exec, s[2:3]
	s_waitcnt lgkmcnt(0)
	s_barrier
	ds_read_b32 v0, v34
	s_waitcnt lgkmcnt(0)
	s_nop 0
	v_mov_b32_dpp v10, v0 quad_perm:[1,0,3,2] row_mask:0xf bank_mask:0xf
	s_and_saveexec_b64 s[0:1], vcc
	s_cbranch_execz .LBB616_12
; %bb.27:
	v_cvt_f32_u32_e32 v11, s16
	v_add_f32_e32 v0, v0, v10
	s_mov_b32 s11, 0x20000
	v_div_scale_f32 v10, s[0:1], v11, v11, v0
	v_rcp_f32_e32 v12, v10
	v_div_scale_f32 v13, vcc, v0, v11, v0
	s_mov_b32 s0, 0x800000
	v_fma_f32 v14, -v10, v12, 1.0
	v_fmac_f32_e32 v12, v14, v12
	v_mul_f32_e32 v14, v13, v12
	v_fma_f32 v15, -v10, v14, v13
	v_fmac_f32_e32 v14, v15, v12
	v_fma_f32 v10, -v10, v14, v13
	v_div_fmas_f32 v10, v10, v12, v14
	v_div_fixup_f32 v0, v10, v11, v0
	v_add_f32_e32 v0, s13, v0
	v_mul_f32_e32 v10, 0x4b800000, v0
	v_cmp_gt_f32_e32 vcc, s0, v0
	v_cndmask_b32_e32 v0, v0, v10, vcc
	v_rsq_f32_e32 v0, v0
	s_mul_hi_i32 s1, s27, s6
	s_mul_i32 s0, s27, s6
	s_lshl_b64 s[0:1], s[0:1], 1
	v_mul_f32_e32 v10, 0x45800000, v0
	v_cndmask_b32_e32 v10, v0, v10, vcc
	v_mov_b32_e32 v11, v10
	s_add_u32 s8, s14, s0
	;;#ASMSTART
	v_pk_mul_f32 v[12:13], v[18:19], v[10:11]
	;;#ASMEND
	;;#ASMSTART
	v_pk_mul_f32 v[14:15], v[32:33], v[10:11]
	;;#ASMEND
	;; [unrolled: 3-line block ×8, first 2 shown]
	s_waitcnt vmcnt(1)
	v_cvt_f32_u32_sdwa v21, v6 dst_sel:DWORD dst_unused:UNUSED_PAD src0_sel:WORD_1
	v_cvt_f32_u32_sdwa v20, v6 dst_sel:DWORD dst_unused:UNUSED_PAD src0_sel:WORD_0
	v_cvt_f32_u32_sdwa v29, v7 dst_sel:DWORD dst_unused:UNUSED_PAD src0_sel:WORD_1
	v_cvt_f32_u32_sdwa v28, v7 dst_sel:DWORD dst_unused:UNUSED_PAD src0_sel:WORD_0
	;; [unrolled: 2-line block ×3, first 2 shown]
	s_addc_u32 s0, s15, s1
	v_cvt_f32_u32_sdwa v31, v9 dst_sel:DWORD dst_unused:UNUSED_PAD src0_sel:WORD_1
	v_cvt_f32_u32_sdwa v30, v9 dst_sel:DWORD dst_unused:UNUSED_PAD src0_sel:WORD_0
	;;#ASMSTART
	v_pk_mul_f32 v[8:9], v[12:13], v[20:21]
	;;#ASMEND
	;;#ASMSTART
	v_pk_mul_f32 v[12:13], v[14:15], v[28:29]
	;;#ASMEND
	;; [unrolled: 3-line block ×4, first 2 shown]
	s_waitcnt vmcnt(0)
	v_cvt_f32_u32_sdwa v17, v2 dst_sel:DWORD dst_unused:UNUSED_PAD src0_sel:WORD_1
	v_cvt_f32_u32_sdwa v16, v2 dst_sel:DWORD dst_unused:UNUSED_PAD src0_sel:WORD_0
	v_cvt_f32_u32_sdwa v19, v3 dst_sel:DWORD dst_unused:UNUSED_PAD src0_sel:WORD_1
	v_cvt_f32_u32_sdwa v18, v3 dst_sel:DWORD dst_unused:UNUSED_PAD src0_sel:WORD_0
	;; [unrolled: 2-line block ×3, first 2 shown]
	s_and_b32 s9, s0, 0xffff
	s_mov_b32 s0, 0x7060302
	v_cvt_f32_u32_sdwa v21, v5 dst_sel:DWORD dst_unused:UNUSED_PAD src0_sel:WORD_1
	v_cvt_f32_u32_sdwa v20, v5 dst_sel:DWORD dst_unused:UNUSED_PAD src0_sel:WORD_0
	;;#ASMSTART
	v_pk_mul_f32 v[16:17], v[26:27], v[16:17]
	;;#ASMEND
	;;#ASMSTART
	v_pk_mul_f32 v[18:19], v[24:25], v[18:19]
	;;#ASMEND
	;; [unrolled: 3-line block ×3, first 2 shown]
	v_perm_b32 v2, v9, v8, s0
	v_perm_b32 v3, v13, v12, s0
	;; [unrolled: 1-line block ×4, first 2 shown]
	;;#ASMSTART
	v_pk_mul_f32 v[10:11], v[10:11], v[20:21]
	;;#ASMEND
	buffer_store_dwordx4 v[2:5], v1, s[8:11], 0 offen
	;;#ASMSTART
	s_nop 0
	;;#ASMEND
	s_nop 0
	v_perm_b32 v2, v17, v16, s0
	v_perm_b32 v3, v19, v18, s0
	;; [unrolled: 1-line block ×4, first 2 shown]
	buffer_store_dwordx4 v[2:5], v1, s[8:11], 16 offen
	;;#ASMSTART
	s_nop 0
	;;#ASMEND
	s_endpgm
	.section	.rodata,"a",@progbits
	.p2align	6, 0x0
	.amdhsa_kernel _ZN5aiter35fused_qk_rmsnorm_group_quant_kernelItN4opus5fp4_tELi128ELi16ELi8ELb0ELb1ELb0ELb1ELb0ELb0EEEvPT0_PvPT_S7_S7_PKS6_S9_S9_S9_S9_ffiiiiiiiiiiiii
		.amdhsa_group_segment_fixed_size 16
		.amdhsa_private_segment_fixed_size 0
		.amdhsa_kernarg_size 400
		.amdhsa_user_sgpr_count 6
		.amdhsa_user_sgpr_private_segment_buffer 1
		.amdhsa_user_sgpr_dispatch_ptr 0
		.amdhsa_user_sgpr_queue_ptr 0
		.amdhsa_user_sgpr_kernarg_segment_ptr 1
		.amdhsa_user_sgpr_dispatch_id 0
		.amdhsa_user_sgpr_flat_scratch_init 0
		.amdhsa_user_sgpr_kernarg_preload_length 0
		.amdhsa_user_sgpr_kernarg_preload_offset 0
		.amdhsa_user_sgpr_private_segment_size 0
		.amdhsa_uses_dynamic_stack 0
		.amdhsa_system_sgpr_private_segment_wavefront_offset 0
		.amdhsa_system_sgpr_workgroup_id_x 1
		.amdhsa_system_sgpr_workgroup_id_y 1
		.amdhsa_system_sgpr_workgroup_id_z 0
		.amdhsa_system_sgpr_workgroup_info 0
		.amdhsa_system_vgpr_workitem_id 0
		.amdhsa_next_free_vgpr 35
		.amdhsa_next_free_sgpr 32
		.amdhsa_accum_offset 36
		.amdhsa_reserve_vcc 1
		.amdhsa_reserve_flat_scratch 0
		.amdhsa_float_round_mode_32 0
		.amdhsa_float_round_mode_16_64 0
		.amdhsa_float_denorm_mode_32 3
		.amdhsa_float_denorm_mode_16_64 3
		.amdhsa_dx10_clamp 1
		.amdhsa_ieee_mode 1
		.amdhsa_fp16_overflow 0
		.amdhsa_tg_split 0
		.amdhsa_exception_fp_ieee_invalid_op 0
		.amdhsa_exception_fp_denorm_src 0
		.amdhsa_exception_fp_ieee_div_zero 0
		.amdhsa_exception_fp_ieee_overflow 0
		.amdhsa_exception_fp_ieee_underflow 0
		.amdhsa_exception_fp_ieee_inexact 0
		.amdhsa_exception_int_div_zero 0
	.end_amdhsa_kernel
	.section	.text._ZN5aiter35fused_qk_rmsnorm_group_quant_kernelItN4opus5fp4_tELi128ELi16ELi8ELb0ELb1ELb0ELb1ELb0ELb0EEEvPT0_PvPT_S7_S7_PKS6_S9_S9_S9_S9_ffiiiiiiiiiiiii,"axG",@progbits,_ZN5aiter35fused_qk_rmsnorm_group_quant_kernelItN4opus5fp4_tELi128ELi16ELi8ELb0ELb1ELb0ELb1ELb0ELb0EEEvPT0_PvPT_S7_S7_PKS6_S9_S9_S9_S9_ffiiiiiiiiiiiii,comdat
.Lfunc_end616:
	.size	_ZN5aiter35fused_qk_rmsnorm_group_quant_kernelItN4opus5fp4_tELi128ELi16ELi8ELb0ELb1ELb0ELb1ELb0ELb0EEEvPT0_PvPT_S7_S7_PKS6_S9_S9_S9_S9_ffiiiiiiiiiiiii, .Lfunc_end616-_ZN5aiter35fused_qk_rmsnorm_group_quant_kernelItN4opus5fp4_tELi128ELi16ELi8ELb0ELb1ELb0ELb1ELb0ELb0EEEvPT0_PvPT_S7_S7_PKS6_S9_S9_S9_S9_ffiiiiiiiiiiiii
                                        ; -- End function
	.section	.AMDGPU.csdata,"",@progbits
; Kernel info:
; codeLenInByte = 2780
; NumSgprs: 36
; NumVgprs: 35
; NumAgprs: 0
; TotalNumVgprs: 35
; ScratchSize: 0
; MemoryBound: 0
; FloatMode: 240
; IeeeMode: 1
; LDSByteSize: 16 bytes/workgroup (compile time only)
; SGPRBlocks: 4
; VGPRBlocks: 4
; NumSGPRsForWavesPerEU: 36
; NumVGPRsForWavesPerEU: 35
; AccumOffset: 36
; Occupancy: 8
; WaveLimiterHint : 0
; COMPUTE_PGM_RSRC2:SCRATCH_EN: 0
; COMPUTE_PGM_RSRC2:USER_SGPR: 6
; COMPUTE_PGM_RSRC2:TRAP_HANDLER: 0
; COMPUTE_PGM_RSRC2:TGID_X_EN: 1
; COMPUTE_PGM_RSRC2:TGID_Y_EN: 1
; COMPUTE_PGM_RSRC2:TGID_Z_EN: 0
; COMPUTE_PGM_RSRC2:TIDIG_COMP_CNT: 0
; COMPUTE_PGM_RSRC3_GFX90A:ACCUM_OFFSET: 8
; COMPUTE_PGM_RSRC3_GFX90A:TG_SPLIT: 0
	.section	.text._ZN5aiter35fused_qk_rmsnorm_group_quant_kernelIDF16_DB8_Li128ELi16ELi8ELb1ELb1ELb1ELb0ELb0ELb0EEEvPT0_PvPT_S6_S6_PKS5_S8_S8_S8_S8_ffiiiiiiiiiiiii,"axG",@progbits,_ZN5aiter35fused_qk_rmsnorm_group_quant_kernelIDF16_DB8_Li128ELi16ELi8ELb1ELb1ELb1ELb0ELb0ELb0EEEvPT0_PvPT_S6_S6_PKS5_S8_S8_S8_S8_ffiiiiiiiiiiiii,comdat
	.protected	_ZN5aiter35fused_qk_rmsnorm_group_quant_kernelIDF16_DB8_Li128ELi16ELi8ELb1ELb1ELb1ELb0ELb0ELb0EEEvPT0_PvPT_S6_S6_PKS5_S8_S8_S8_S8_ffiiiiiiiiiiiii ; -- Begin function _ZN5aiter35fused_qk_rmsnorm_group_quant_kernelIDF16_DB8_Li128ELi16ELi8ELb1ELb1ELb1ELb0ELb0ELb0EEEvPT0_PvPT_S6_S6_PKS5_S8_S8_S8_S8_ffiiiiiiiiiiiii
	.globl	_ZN5aiter35fused_qk_rmsnorm_group_quant_kernelIDF16_DB8_Li128ELi16ELi8ELb1ELb1ELb1ELb0ELb0ELb0EEEvPT0_PvPT_S6_S6_PKS5_S8_S8_S8_S8_ffiiiiiiiiiiiii
	.p2align	8
	.type	_ZN5aiter35fused_qk_rmsnorm_group_quant_kernelIDF16_DB8_Li128ELi16ELi8ELb1ELb1ELb1ELb0ELb0ELb0EEEvPT0_PvPT_S6_S6_PKS5_S8_S8_S8_S8_ffiiiiiiiiiiiii,@function
_ZN5aiter35fused_qk_rmsnorm_group_quant_kernelIDF16_DB8_Li128ELi16ELi8ELb1ELb1ELb1ELb0ELb0ELb0EEEvPT0_PvPT_S6_S6_PKS5_S8_S8_S8_S8_ffiiiiiiiiiiiii: ; @_ZN5aiter35fused_qk_rmsnorm_group_quant_kernelIDF16_DB8_Li128ELi16ELi8ELb1ELb1ELb1ELb0ELb0ELb0EEEvPT0_PvPT_S6_S6_PKS5_S8_S8_S8_S8_ffiiiiiiiiiiiii
; %bb.0:
	s_load_dwordx8 s[20:27], s[4:5], 0x50
	s_waitcnt lgkmcnt(0)
	s_cmp_ge_i32 s6, s22
	s_cbranch_scc1 .LBB617_17
; %bb.1:
	s_cmp_lg_u32 s7, 0
	s_cselect_b64 s[10:11], -1, 0
	s_cmp_eq_u32 s7, 0
	s_cselect_b64 s[8:9], -1, 0
	s_and_b64 s[0:1], s[8:9], exec
	s_load_dwordx2 s[28:29], s[4:5], 0x48
	s_load_dwordx2 s[34:35], s[4:5], 0x30
	s_load_dwordx8 s[12:19], s[4:5], 0x70
	s_cselect_b32 s7, s23, s24
	s_add_i32 s0, s7, 1
	s_lshr_b32 s1, s0, 31
	s_add_i32 s0, s0, s1
	s_lshl_b32 s0, s0, 1
	v_lshlrev_b32_e32 v1, 4, v0
	s_and_b32 s38, s0, -4
	v_cmp_gt_i32_e64 s[0:1], s7, v1
	v_mov_b32_e32 v76, 0
	v_mov_b32_e32 v77, 0
	;; [unrolled: 1-line block ×16, first 2 shown]
	s_and_saveexec_b64 s[2:3], s[0:1]
	s_cbranch_execz .LBB617_3
; %bb.2:
	s_waitcnt lgkmcnt(0)
	s_load_dwordx2 s[18:19], s[4:5], 0x28
	s_load_dwordx2 s[30:31], s[4:5], 0x40
	s_and_b64 s[36:37], s[8:9], exec
	s_cselect_b32 s22, s25, s26
	s_mov_b32 s39, 0x20000
	s_waitcnt lgkmcnt(0)
	s_cselect_b32 s25, s19, s35
	s_cselect_b32 s33, s18, s34
	s_mul_hi_i32 s19, s22, s6
	s_mul_i32 s18, s22, s6
	s_lshl_b64 s[18:19], s[18:19], 1
	s_add_u32 s40, s33, s18
	s_addc_u32 s22, s25, s19
	s_and_b64 s[18:19], s[8:9], exec
	s_cselect_b32 s36, s30, s28
	s_cselect_b32 s18, s31, s29
	s_and_b32 s41, s22, 0xffff
	s_mov_b32 s42, s38
	s_mov_b32 s43, s39
	v_lshlrev_b32_e32 v2, 5, v0
	s_and_b32 s37, s18, 0xffff
	buffer_load_dwordx4 v[80:83], v2, s[40:43], 0 offen
	buffer_load_dwordx4 v[84:87], v2, s[40:43], 16 offen
	;; [unrolled: 1-line block ×4, first 2 shown]
.LBB617_3:
	s_or_b64 exec, exec, s[2:3]
	s_and_b64 vcc, exec, s[10:11]
	s_cbranch_vccz .LBB617_7
; %bb.4:
	v_mov_b32_e32 v89, 0
	v_mov_b32_e32 v88, 0
	;; [unrolled: 1-line block ×16, first 2 shown]
	s_and_saveexec_b64 s[2:3], s[0:1]
	s_cbranch_execz .LBB617_6
; %bb.5:
	s_waitcnt vmcnt(3)
	v_cvt_f32_f16_sdwa v49, v80 dst_sel:DWORD dst_unused:UNUSED_PAD src0_sel:WORD_1
	v_cvt_f32_f16_e32 v48, v80
	v_cvt_f32_f16_sdwa v35, v81 dst_sel:DWORD dst_unused:UNUSED_PAD src0_sel:WORD_1
	v_cvt_f32_f16_e32 v34, v81
	;; [unrolled: 2-line block ×4, first 2 shown]
	s_waitcnt vmcnt(2)
	v_cvt_f32_f16_sdwa v65, v84 dst_sel:DWORD dst_unused:UNUSED_PAD src0_sel:WORD_1
	v_cvt_f32_f16_e32 v64, v84
	v_cvt_f32_f16_sdwa v19, v85 dst_sel:DWORD dst_unused:UNUSED_PAD src0_sel:WORD_1
	v_cvt_f32_f16_e32 v18, v85
	;; [unrolled: 2-line block ×4, first 2 shown]
.LBB617_6:
	s_or_b64 exec, exec, s[2:3]
	s_cbranch_execz .LBB617_8
	s_branch .LBB617_11
.LBB617_7:
                                        ; implicit-def: $vgpr32_vgpr33_vgpr34_vgpr35_vgpr36_vgpr37_vgpr38_vgpr39_vgpr40_vgpr41_vgpr42_vgpr43_vgpr44_vgpr45_vgpr46_vgpr47
                                        ; implicit-def: $vgpr48_vgpr49_vgpr50_vgpr51_vgpr52_vgpr53_vgpr54_vgpr55_vgpr56_vgpr57_vgpr58_vgpr59_vgpr60_vgpr61_vgpr62_vgpr63
                                        ; implicit-def: $vgpr18_vgpr19_vgpr20_vgpr21_vgpr22_vgpr23_vgpr24_vgpr25_vgpr26_vgpr27_vgpr28_vgpr29_vgpr30_vgpr31_vgpr32_vgpr33
                                        ; implicit-def: $vgpr50_vgpr51_vgpr52_vgpr53_vgpr54_vgpr55_vgpr56_vgpr57_vgpr58_vgpr59_vgpr60_vgpr61_vgpr62_vgpr63_vgpr64_vgpr65
                                        ; implicit-def: $vgpr89
                                        ; implicit-def: $vgpr8_vgpr9_vgpr10_vgpr11_vgpr12_vgpr13_vgpr14_vgpr15_vgpr16_vgpr17_vgpr18_vgpr19_vgpr20_vgpr21_vgpr22_vgpr23
                                        ; implicit-def: $vgpr56_vgpr57_vgpr58_vgpr59_vgpr60_vgpr61_vgpr62_vgpr63_vgpr64_vgpr65_vgpr66_vgpr67_vgpr68_vgpr69_vgpr70_vgpr71
                                        ; implicit-def: $vgpr2_vgpr3_vgpr4_vgpr5_vgpr6_vgpr7_vgpr8_vgpr9_vgpr10_vgpr11_vgpr12_vgpr13_vgpr14_vgpr15_vgpr16_vgpr17
.LBB617_8:
	v_mov_b32_e32 v89, 0
	v_mov_b32_e32 v88, 0
	;; [unrolled: 1-line block ×16, first 2 shown]
	s_and_saveexec_b64 s[2:3], s[0:1]
	s_cbranch_execz .LBB617_10
; %bb.9:
	s_waitcnt lgkmcnt(0)
	s_load_dwordx2 s[18:19], s[4:5], 0x38
	s_mul_hi_i32 s31, s27, s6
	s_mul_i32 s30, s27, s6
	s_lshl_b64 s[30:31], s[30:31], 1
	s_mov_b32 s39, 0x20000
	s_waitcnt lgkmcnt(0)
	s_add_u32 s36, s18, s30
	s_addc_u32 s18, s19, s31
	s_and_b32 s37, s18, 0xffff
	v_lshlrev_b32_e32 v38, 5, v0
	buffer_load_dwordx4 v[6:9], v38, s[36:39], 16 offen
	buffer_load_dwordx4 v[10:13], v38, s[36:39], 0 offen
	s_waitcnt vmcnt(5)
	v_cvt_f32_f16_sdwa v23, v82 dst_sel:DWORD dst_unused:UNUSED_PAD src0_sel:WORD_1
	v_cvt_f32_f16_e32 v22, v82
	v_cvt_f32_f16_sdwa v25, v83 dst_sel:DWORD dst_unused:UNUSED_PAD src0_sel:WORD_1
	v_cvt_f32_f16_e32 v24, v83
	;; [unrolled: 2-line block ×4, first 2 shown]
	s_load_dwordx2 s[18:19], s[4:5], 0x20
	s_waitcnt vmcnt(4)
	v_cvt_f32_f16_sdwa v3, v84 dst_sel:DWORD dst_unused:UNUSED_PAD src0_sel:WORD_1
	v_cvt_f32_f16_e32 v2, v84
	v_cvt_f32_f16_sdwa v5, v85 dst_sel:DWORD dst_unused:UNUSED_PAD src0_sel:WORD_1
	v_cvt_f32_f16_e32 v4, v85
	v_cvt_f32_f16_sdwa v15, v86 dst_sel:DWORD dst_unused:UNUSED_PAD src0_sel:WORD_1
	v_cvt_f32_f16_e32 v14, v86
	v_cvt_f32_f16_sdwa v17, v87 dst_sel:DWORD dst_unused:UNUSED_PAD src0_sel:WORD_1
	v_cvt_f32_f16_e32 v16, v87
	s_mul_hi_i32 s31, s17, s6
	s_mul_i32 s30, s17, s6
	s_lshl_b64 s[30:31], s[30:31], 1
	s_waitcnt lgkmcnt(0)
	s_add_u32 s36, s18, s30
	s_addc_u32 s17, s19, s31
	s_and_b32 s37, s17, 0xffff
	s_waitcnt vmcnt(1)
	v_cvt_f32_f16_e32 v26, v6
	v_cvt_f32_f16_sdwa v27, v6 dst_sel:DWORD dst_unused:UNUSED_PAD src0_sel:WORD_1
	v_cvt_f32_f16_e32 v28, v7
	v_cvt_f32_f16_sdwa v29, v7 dst_sel:DWORD dst_unused:UNUSED_PAD src0_sel:WORD_1
	;; [unrolled: 2-line block ×4, first 2 shown]
	s_waitcnt vmcnt(0)
	v_cvt_f32_f16_e32 v6, v12
	v_cvt_f32_f16_sdwa v7, v12 dst_sel:DWORD dst_unused:UNUSED_PAD src0_sel:WORD_1
	v_cvt_f32_f16_e32 v8, v13
	v_cvt_f32_f16_sdwa v9, v13 dst_sel:DWORD dst_unused:UNUSED_PAD src0_sel:WORD_1
	;; [unrolled: 2-line block ×4, first 2 shown]
	v_pk_add_f32 v[54:55], v[22:23], v[6:7]
	v_pk_add_f32 v[24:25], v[24:25], v[8:9]
	v_cvt_f16_f32_e32 v6, v55
	v_cvt_f16_f32_e32 v7, v25
	;; [unrolled: 1-line block ×4, first 2 shown]
	v_pk_add_f32 v[34:35], v[20:21], v[10:11]
	v_pk_add_f32 v[48:49], v[18:19], v[36:37]
	v_pack_b32_f16 v9, v8, v7
	v_pack_b32_f16 v8, v12, v6
	v_cvt_f16_f32_e32 v6, v35
	v_cvt_f16_f32_e32 v7, v34
	;; [unrolled: 1-line block ×3, first 2 shown]
	v_pk_add_f32 v[88:89], v[16:17], v[32:33]
	v_pk_add_f32 v[14:15], v[14:15], v[30:31]
	v_pack_b32_f16 v7, v7, v6
	v_cvt_f16_f32_e32 v6, v49
	v_pk_add_f32 v[18:19], v[4:5], v[28:29]
	v_pk_add_f32 v[64:65], v[2:3], v[26:27]
	v_cvt_f16_f32_e32 v4, v18
	v_pack_b32_f16 v6, v10, v6
	buffer_store_dwordx4 v[6:9], v38, s[36:39], 0 offen
	v_cvt_f16_f32_e32 v5, v19
	v_cvt_f16_f32_e32 v6, v14
	;; [unrolled: 1-line block ×7, first 2 shown]
	v_pack_b32_f16 v7, v7, v8
	v_pack_b32_f16 v6, v6, v9
	;; [unrolled: 1-line block ×4, first 2 shown]
	;;#ASMSTART
	s_nop 0
	;;#ASMEND
	buffer_store_dwordx4 v[4:7], v38, s[36:39], 16 offen
	;;#ASMSTART
	s_nop 0
	;;#ASMEND
.LBB617_10:
	s_or_b64 exec, exec, s[2:3]
.LBB617_11:
	v_mul_f32_e32 v2, v49, v49
	v_fmac_f32_e32 v2, v48, v48
	v_fmac_f32_e32 v2, v34, v34
	v_fmac_f32_e32 v2, v35, v35
	v_fmac_f32_e32 v2, v54, v54
	v_fmac_f32_e32 v2, v55, v55
	v_fmac_f32_e32 v2, v24, v24
	v_fmac_f32_e32 v2, v25, v25
	v_fmac_f32_e32 v2, v64, v64
	v_fmac_f32_e32 v2, v65, v65
	v_fmac_f32_e32 v2, v18, v18
	v_fmac_f32_e32 v2, v19, v19
	v_fmac_f32_e32 v2, v14, v14
	v_fmac_f32_e32 v2, v15, v15
	v_fmac_f32_e32 v2, v88, v88
	v_fmac_f32_e32 v2, v89, v89
	s_nop 1
	v_mov_b32_dpp v3, v2 quad_perm:[1,0,3,2] row_mask:0xf bank_mask:0xf
	v_add_f32_e32 v2, v2, v3
	s_nop 1
	v_mov_b32_dpp v3, v2 quad_perm:[2,3,0,1] row_mask:0xf bank_mask:0xf
	v_add_f32_e32 v2, v2, v3
	s_nop 1
	v_mov_b32_dpp v3, v2 row_half_mirror row_mask:0xf bank_mask:0xf
	v_add_f32_e32 v2, v2, v3
	s_nop 1
	v_mov_b32_dpp v3, v2 row_mirror row_mask:0xf bank_mask:0xf
	v_add_f32_e32 v2, v2, v3
	s_nop 1
	v_mov_b32_dpp v3, v2 row_bcast:15 row_mask:0xf bank_mask:0xf
	v_add_f32_e32 v2, v2, v3
	v_and_b32_e32 v3, 63, v0
	v_cmp_eq_u32_e64 s[2:3], 63, v3
	s_nop 0
	v_mov_b32_dpp v3, v2 row_bcast:31 row_mask:0xf bank_mask:0xf
	s_waitcnt lgkmcnt(0)
	s_and_saveexec_b64 s[18:19], s[2:3]
	s_cbranch_execz .LBB617_13
; %bb.12:
	v_add_f32_e32 v2, v2, v3
	v_lshrrev_b32_e32 v3, 4, v0
	v_and_b32_e32 v3, 60, v3
	ds_write_b32 v3, v2 offset:8
.LBB617_13:
	s_or_b64 exec, exec, s[18:19]
	v_and_b32_e32 v2, 1, v0
	v_lshlrev_b32_e32 v36, 2, v2
	s_waitcnt lgkmcnt(0)
	s_barrier
	ds_read_b32 v2, v36 offset:8
	s_load_dwordx2 s[18:19], s[4:5], 0x18
	s_waitcnt lgkmcnt(0)
	v_mov_b32_dpp v3, v2 quad_perm:[1,0,3,2] row_mask:0xf bank_mask:0xf
	s_and_saveexec_b64 s[30:31], s[0:1]
	s_cbranch_execnz .LBB617_18
; %bb.14:
	s_or_b64 exec, exec, s[30:31]
	s_mov_b64 s[8:9], -1
	s_and_b64 vcc, exec, s[10:11]
	s_cbranch_vccnz .LBB617_19
.LBB617_15:
	s_andn2_b64 vcc, exec, s[8:9]
	s_cbranch_vccz .LBB617_22
.LBB617_16:
	s_cmp_lt_i32 s24, 1
	s_cbranch_scc0 .LBB617_31
.LBB617_17:
	s_endpgm
.LBB617_18:
	v_add_f32_e32 v2, v2, v3
	v_cvt_f32_u32_e32 v3, s7
	s_mov_b32 s7, 0x800000
	s_waitcnt vmcnt(1)
	v_cvt_f32_f16_sdwa v17, v76 dst_sel:DWORD dst_unused:UNUSED_PAD src0_sel:WORD_1
	v_cvt_f32_f16_e32 v16, v76
	v_div_scale_f32 v4, s[36:37], v3, v3, v2
	v_rcp_f32_e32 v5, v4
	v_pk_add_f32 v[16:17], v[16:17], 1.0 op_sel_hi:[1,0]
	v_cvt_f32_f16_sdwa v21, v79 dst_sel:DWORD dst_unused:UNUSED_PAD src0_sel:WORD_1
	v_cvt_f32_f16_e32 v20, v79
	v_fma_f32 v6, -v4, v5, 1.0
	v_fmac_f32_e32 v5, v6, v5
	v_div_scale_f32 v6, vcc, v2, v3, v2
	v_mul_f32_e32 v7, v6, v5
	v_fma_f32 v8, -v4, v7, v6
	v_fmac_f32_e32 v7, v8, v5
	v_fma_f32 v4, -v4, v7, v6
	v_div_fmas_f32 v4, v4, v5, v7
	v_div_fixup_f32 v2, v4, v3, v2
	v_mov_b32_e32 v3, s21
	v_mov_b32_e32 v4, s20
	v_cndmask_b32_e64 v3, v3, v4, s[8:9]
	v_add_f32_e32 v2, v3, v2
	v_mul_f32_e32 v3, 0x4b800000, v2
	v_cmp_gt_f32_e32 vcc, s7, v2
	v_cndmask_b32_e32 v2, v2, v3, vcc
	v_rsq_f32_e32 v2, v2
	s_waitcnt vmcnt(0)
	v_cvt_f32_f16_sdwa v23, v74 dst_sel:DWORD dst_unused:UNUSED_PAD src0_sel:WORD_1
	v_cvt_f32_f16_e32 v22, v74
	v_mul_f32_e32 v3, 0x45800000, v2
	v_cndmask_b32_e32 v2, v2, v3, vcc
	v_mov_b32_e32 v3, v2
	;;#ASMSTART
	v_pk_mul_f32 v[4:5], v[48:49], v[2:3]
	;;#ASMEND
	;;#ASMSTART
	v_pk_mul_f32 v[6:7], v[34:35], v[2:3]
	;;#ASMEND
	;; [unrolled: 3-line block ×9, first 2 shown]
	v_cvt_f32_f16_sdwa v5, v77 dst_sel:DWORD dst_unused:UNUSED_PAD src0_sel:WORD_1
	v_cvt_f32_f16_e32 v4, v77
	v_cvt_f32_f16_sdwa v17, v78 dst_sel:DWORD dst_unused:UNUSED_PAD src0_sel:WORD_1
	v_cvt_f32_f16_e32 v16, v78
	v_cvt_f32_f16_sdwa v25, v75 dst_sel:DWORD dst_unused:UNUSED_PAD src0_sel:WORD_1
	v_pk_add_f32 v[4:5], v[4:5], 1.0 op_sel_hi:[1,0]
	;;#ASMSTART
	v_pk_mul_f32 v[34:35], v[6:7], v[4:5]
	;;#ASMEND
	v_pk_add_f32 v[4:5], v[16:17], 1.0 op_sel_hi:[1,0]
	v_pk_add_f32 v[6:7], v[20:21], 1.0 op_sel_hi:[1,0]
	v_cvt_f32_f16_sdwa v17, v72 dst_sel:DWORD dst_unused:UNUSED_PAD src0_sel:WORD_1
	v_cvt_f32_f16_e32 v16, v72
	v_cvt_f32_f16_sdwa v21, v73 dst_sel:DWORD dst_unused:UNUSED_PAD src0_sel:WORD_1
	v_cvt_f32_f16_e32 v20, v73
	v_cvt_f32_f16_e32 v24, v75
	v_pk_add_f32 v[16:17], v[16:17], 1.0 op_sel_hi:[1,0]
	v_pk_add_f32 v[22:23], v[22:23], 1.0 op_sel_hi:[1,0]
	;; [unrolled: 1-line block ×4, first 2 shown]
	;;#ASMSTART
	v_pk_mul_f32 v[54:55], v[8:9], v[4:5]
	;;#ASMEND
	;;#ASMSTART
	v_pk_mul_f32 v[24:25], v[10:11], v[6:7]
	;;#ASMEND
	;; [unrolled: 3-line block ×6, first 2 shown]
	s_or_b64 exec, exec, s[30:31]
	s_mov_b64 s[8:9], -1
	s_and_b64 vcc, exec, s[10:11]
	s_cbranch_vccz .LBB617_15
.LBB617_19:
	s_and_saveexec_b64 s[8:9], s[0:1]
	s_cbranch_execz .LBB617_21
; %bb.20:
	v_cvt_f16_f32_e32 v2, v54
	v_cvt_f16_f32_e32 v3, v24
	;; [unrolled: 1-line block ×4, first 2 shown]
	s_mul_hi_i32 s11, s16, s6
	s_mul_i32 s10, s16, s6
	v_pack_b32_f16 v5, v3, v4
	v_pack_b32_f16 v4, v2, v6
	v_cvt_f16_f32_e32 v2, v34
	v_cvt_f16_f32_e32 v3, v35
	;; [unrolled: 1-line block ×3, first 2 shown]
	s_lshl_b64 s[10:11], s[10:11], 1
	s_add_u32 s36, s18, s10
	v_pack_b32_f16 v3, v2, v3
	v_cvt_f16_f32_e32 v2, v48
	s_addc_u32 s7, s19, s11
	s_and_b32 s37, s7, 0xffff
	s_mov_b32 s39, 0x20000
	v_pack_b32_f16 v2, v2, v6
	v_lshlrev_b32_e32 v6, 5, v0
	buffer_store_dwordx4 v[2:5], v6, s[36:39], 0 offen
	v_cvt_f16_f32_e32 v7, v15
	v_cvt_f16_f32_e32 v2, v14
	;; [unrolled: 1-line block ×4, first 2 shown]
	;;#ASMSTART
	s_nop 0
	;;#ASMEND
	v_pack_b32_f16 v5, v3, v4
	v_pack_b32_f16 v4, v2, v7
	v_cvt_f16_f32_e32 v2, v18
	v_cvt_f16_f32_e32 v3, v19
	;; [unrolled: 1-line block ×3, first 2 shown]
	v_pack_b32_f16 v3, v2, v3
	v_cvt_f16_f32_e32 v2, v64
	v_pack_b32_f16 v2, v2, v7
	buffer_store_dwordx4 v[2:5], v6, s[36:39], 16 offen
	;;#ASMSTART
	s_nop 0
	;;#ASMEND
.LBB617_21:
	s_or_b64 exec, exec, s[8:9]
	s_cbranch_execnz .LBB617_16
.LBB617_22:
	v_mov_b32_e32 v2, 0
	s_and_saveexec_b64 s[8:9], s[0:1]
	s_cbranch_execz .LBB617_24
; %bb.23:
	v_cvt_f16_f32_e32 v2, v54
	v_cvt_f16_f32_e32 v3, v24
	;; [unrolled: 1-line block ×4, first 2 shown]
	s_load_dwordx2 s[10:11], s[4:5], 0x10
	s_mul_hi_i32 s31, s15, s6
	v_pack_b32_f16 v5, v3, v4
	v_pack_b32_f16 v4, v2, v6
	v_cvt_f16_f32_e32 v2, v34
	v_cvt_f16_f32_e32 v3, v35
	;; [unrolled: 1-line block ×3, first 2 shown]
	s_mul_i32 s30, s15, s6
	s_lshl_b64 s[30:31], s[30:31], 1
	v_pack_b32_f16 v3, v2, v3
	v_cvt_f16_f32_e32 v2, v48
	s_waitcnt lgkmcnt(0)
	s_add_u32 s36, s10, s30
	s_addc_u32 s7, s11, s31
	s_and_b32 s37, s7, 0xffff
	v_pack_b32_f16 v2, v2, v6
	s_mov_b32 s39, 0x20000
	v_lshlrev_b32_e32 v6, 5, v0
	buffer_store_dwordx4 v[2:5], v6, s[36:39], 0 offen
	v_cvt_f16_f32_e32 v7, v15
	v_cvt_f16_f32_e32 v2, v14
	;; [unrolled: 1-line block ×4, first 2 shown]
	;;#ASMSTART
	s_nop 0
	;;#ASMEND
	v_pack_b32_f16 v5, v3, v4
	v_pack_b32_f16 v4, v2, v7
	v_cvt_f16_f32_e32 v2, v18
	v_cvt_f16_f32_e32 v3, v19
	v_cvt_f16_f32_e32 v7, v65
	v_pack_b32_f16 v3, v2, v3
	v_cvt_f16_f32_e32 v2, v64
	v_pack_b32_f16 v2, v2, v7
	buffer_store_dwordx4 v[2:5], v6, s[36:39], 16 offen
	;;#ASMSTART
	s_nop 0
	;;#ASMEND
	s_nop 0
	v_mov_b32_e32 v2, 0x2edbe6ff
.LBB617_24:
	s_or_b64 exec, exec, s[8:9]
	s_and_saveexec_b64 s[8:9], s[0:1]
	s_cbranch_execz .LBB617_26
; %bb.25:
	v_and_b32_e32 v3, 0x7fffffff, v48
	v_and_b32_e32 v4, 0x7fffffff, v49
	;;#ASMSTART
	v_max3_f32 v2, v2, v3, v4

	;;#ASMEND
	v_and_b32_e32 v3, 0x7fffffff, v34
	v_and_b32_e32 v4, 0x7fffffff, v35
	;;#ASMSTART
	v_max3_f32 v2, v2, v3, v4

	;;#ASMEND
	;; [unrolled: 6-line block ×8, first 2 shown]
.LBB617_26:
	s_or_b64 exec, exec, s[8:9]
	;;#ASMSTART
	v_max_f32 v3, v2, v2 quad_perm:[1,0,3,2] row_mask:0xf bank_mask:0xf bound_ctrl:1
	;;#ASMEND
	;;#ASMSTART
	v_max_f32 v2, v3, v3 quad_perm:[2,3,0,1] row_mask:0xf bank_mask:0xf bound_ctrl:1
	;;#ASMEND
	;;#ASMSTART
	v_max_f32 v3, v2, v2 row_half_mirror row_mask:0xf bank_mask:0xf bound_ctrl:1
	;;#ASMEND
	v_mul_f32_e32 v2, 0x3b124925, v3
	v_and_b32_e32 v3, 7, v0
	v_cmp_eq_u32_e32 vcc, 0, v3
	v_cmp_gt_i32_e64 s[8:9], s23, v1
	s_and_b64 s[10:11], vcc, s[8:9]
	s_and_saveexec_b64 s[8:9], s[10:11]
	s_cbranch_execz .LBB617_28
; %bb.27:
	s_load_dwordx2 s[10:11], s[4:5], 0x8
	v_lshrrev_b32_e32 v3, 3, v0
	s_mul_hi_i32 s31, s13, s6
	s_mul_i32 s30, s13, s6
	v_mad_i64_i32 v[4:5], s[14:15], s14, v3, 0
	s_lshl_b64 s[14:15], s[30:31], 2
	s_waitcnt lgkmcnt(0)
	s_add_u32 s7, s10, s14
	s_addc_u32 s10, s11, s15
	v_lshlrev_b64 v[4:5], 2, v[4:5]
	v_mov_b32_e32 v3, s10
	v_add_co_u32_e32 v4, vcc, s7, v4
	v_addc_co_u32_e32 v5, vcc, v3, v5, vcc
	global_store_dword v[4:5], v2, off
.LBB617_28:
	s_or_b64 exec, exec, s[8:9]
	;;#ASMSTART
	v_rcp_f32 v2, v2
	;;#ASMEND
	s_and_saveexec_b64 s[14:15], s[0:1]
	s_cbranch_execz .LBB617_30
; %bb.29:
	v_mov_b32_e32 v3, v2
	;;#ASMSTART
	v_pk_mul_f32 v[4:5], v[48:49], v[2:3]
	;;#ASMEND
	v_mov_b32_e32 v10, 0xc3e00000
	v_mov_b32_e32 v11, 0x43e00000
	;;#ASMSTART
	v_med3_f32 v4, v4, v10, v11
v_med3_f32 v5, v5, v10, v11
v_cvt_pk_fp8_f32 v6, v4, v5
	;;#ASMEND
	;;#ASMSTART
	v_pk_mul_f32 v[4:5], v[34:35], v[2:3]
	;;#ASMEND
	;;#ASMSTART
	v_med3_f32 v4, v4, v10, v11
v_med3_f32 v5, v5, v10, v11
v_cvt_pk_fp8_f32 v7, v4, v5
	;;#ASMEND
	;;#ASMSTART
	v_pk_mul_f32 v[4:5], v[54:55], v[2:3]
	;;#ASMEND
	;; [unrolled: 8-line block ×3, first 2 shown]
	;;#ASMSTART
	v_med3_f32 v4, v4, v10, v11
v_med3_f32 v5, v5, v10, v11
v_cvt_pk_fp8_f32 v9, v4, v5
	;;#ASMEND
	s_mov_b32 s0, 0x5040100
	v_perm_b32 v4, v7, v6, s0
	s_mov_b32 s0, 0x1060504
	v_perm_b32 v4, v4, v7, s0
	s_load_dwordx2 s[0:1], s[4:5], 0x0
	s_mov_b32 s7, 0x1000504
	;;#ASMSTART
	v_pk_mul_f32 v[6:7], v[64:65], v[2:3]
	;;#ASMEND
	v_perm_b32 v5, v8, v9, s7
	s_mul_i32 s8, s12, s6
	;;#ASMSTART
	v_med3_f32 v6, v6, v10, v11
v_med3_f32 v7, v7, v10, v11
v_cvt_pk_fp8_f32 v8, v6, v7
	;;#ASMEND
	s_mul_hi_i32 s9, s12, s6
	s_waitcnt lgkmcnt(0)
	s_add_u32 s8, s0, s8
	;;#ASMSTART
	v_pk_mul_f32 v[6:7], v[18:19], v[2:3]
	;;#ASMEND
	s_addc_u32 s0, s1, s9
	s_add_i32 s1, s23, 3
	;;#ASMSTART
	v_med3_f32 v6, v6, v10, v11
v_med3_f32 v7, v7, v10, v11
v_cvt_pk_fp8_f32 v9, v6, v7
	;;#ASMEND
	s_ashr_i32 s9, s1, 31
	v_perm_b32 v6, v8, v9, s7
	;;#ASMSTART
	v_pk_mul_f32 v[8:9], v[14:15], v[2:3]
	;;#ASMEND
	v_mov_b32_e32 v7, v9
	s_lshr_b32 s9, s9, 30
	;;#ASMSTART
	v_med3_f32 v8, v8, v10, v11
v_med3_f32 v7, v7, v10, v11
v_cvt_pk_fp8_f32 v9, v8, v7
	;;#ASMEND
	;;#ASMSTART
	v_pk_mul_f32 v[2:3], v[88:89], v[2:3]
	;;#ASMEND
	s_add_i32 s1, s1, s9
	;;#ASMSTART
	v_med3_f32 v2, v2, v10, v11
v_med3_f32 v3, v3, v10, v11
v_cvt_pk_fp8_f32 v7, v2, v3
	;;#ASMEND
	s_and_b32 s10, s1, -4
	s_and_b32 s9, s0, 0xffff
	s_mov_b32 s11, 0x20000
	v_perm_b32 v7, v9, v7, s7
	buffer_store_dwordx4 v[4:7], v1, s[8:11], 0 offen
	;;#ASMSTART
	s_nop 0
	;;#ASMEND
.LBB617_30:
	s_or_b64 exec, exec, s[14:15]
	s_cmp_lt_i32 s24, 1
	s_cbranch_scc1 .LBB617_17
.LBB617_31:
	s_load_dword s0, s[4:5], 0x94
	s_waitcnt lgkmcnt(0)
	s_cmp_lg_u32 s0, 1
	s_cbranch_scc1 .LBB617_17
; %bb.32:
	s_lshl_b32 s0, s24, 1
	s_add_i32 s0, s0, 2
	v_cmp_gt_u32_e32 vcc, s24, v1
	s_and_b32 s30, s0, -4
	v_mov_b32_e32 v18, 0
	v_lshlrev_b32_e32 v1, 5, v0
	v_mov_b32_e32 v14, 0
	v_mov_b32_e32 v15, 0
	;; [unrolled: 1-line block ×16, first 2 shown]
	s_barrier
	s_and_saveexec_b64 s[0:1], vcc
	s_cbranch_execz .LBB617_34
; %bb.33:
	s_mul_hi_i32 s5, s26, s6
	s_mul_i32 s4, s26, s6
	s_and_b32 s29, s29, 0xffff
	s_lshl_b64 s[4:5], s[4:5], 1
	s_add_u32 s8, s34, s4
	s_mov_b32 s31, 0x20000
	s_addc_u32 s4, s35, s5
	s_and_b32 s9, s4, 0xffff
	s_mov_b32 s10, s30
	s_mov_b32 s11, s31
	buffer_load_dwordx4 v[14:17], v1, s[8:11], 0 offen
	buffer_load_dwordx4 v[10:13], v1, s[8:11], 16 offen
	;; [unrolled: 1-line block ×4, first 2 shown]
.LBB617_34:
	s_or_b64 exec, exec, s[0:1]
	v_mov_b32_e32 v19, 0
	v_mov_b32_e32 v32, 0
	;; [unrolled: 1-line block ×15, first 2 shown]
	s_and_saveexec_b64 s[0:1], vcc
	s_cbranch_execz .LBB617_36
; %bb.35:
	s_waitcnt vmcnt(3)
	v_cvt_f32_f16_sdwa v19, v14 dst_sel:DWORD dst_unused:UNUSED_PAD src0_sel:WORD_1
	v_cvt_f32_f16_e32 v18, v14
	v_cvt_f32_f16_sdwa v33, v15 dst_sel:DWORD dst_unused:UNUSED_PAD src0_sel:WORD_1
	v_cvt_f32_f16_e32 v32, v15
	;; [unrolled: 2-line block ×4, first 2 shown]
	s_waitcnt vmcnt(2)
	v_cvt_f32_f16_sdwa v27, v10 dst_sel:DWORD dst_unused:UNUSED_PAD src0_sel:WORD_1
	v_cvt_f32_f16_e32 v26, v10
	v_cvt_f32_f16_sdwa v25, v11 dst_sel:DWORD dst_unused:UNUSED_PAD src0_sel:WORD_1
	v_cvt_f32_f16_e32 v24, v11
	;; [unrolled: 2-line block ×4, first 2 shown]
.LBB617_36:
	s_or_b64 exec, exec, s[0:1]
	s_waitcnt vmcnt(2)
	v_mul_f32_e32 v10, v19, v19
	v_fmac_f32_e32 v10, v18, v18
	v_fmac_f32_e32 v10, v32, v32
	;; [unrolled: 1-line block ×15, first 2 shown]
	s_nop 1
	v_mov_b32_dpp v11, v10 quad_perm:[1,0,3,2] row_mask:0xf bank_mask:0xf
	v_add_f32_e32 v10, v10, v11
	s_nop 1
	v_mov_b32_dpp v11, v10 quad_perm:[2,3,0,1] row_mask:0xf bank_mask:0xf
	v_add_f32_e32 v10, v10, v11
	s_nop 1
	v_mov_b32_dpp v11, v10 row_half_mirror row_mask:0xf bank_mask:0xf
	v_add_f32_e32 v10, v10, v11
	s_nop 1
	v_mov_b32_dpp v11, v10 row_mirror row_mask:0xf bank_mask:0xf
	v_add_f32_e32 v10, v10, v11
	s_nop 1
	v_mov_b32_dpp v11, v10 row_bcast:15 row_mask:0xf bank_mask:0xf
	v_add_f32_e32 v10, v10, v11
	s_nop 1
	v_mov_b32_dpp v11, v10 row_bcast:31 row_mask:0xf bank_mask:0xf
	s_and_saveexec_b64 s[0:1], s[2:3]
	s_cbranch_execz .LBB617_38
; %bb.37:
	v_lshrrev_b32_e32 v0, 4, v0
	v_add_f32_e32 v10, v10, v11
	v_and_b32_e32 v0, 60, v0
	ds_write_b32 v0, v10
.LBB617_38:
	s_or_b64 exec, exec, s[0:1]
	s_waitcnt lgkmcnt(0)
	s_barrier
	ds_read_b32 v0, v36
	s_waitcnt lgkmcnt(0)
	s_nop 0
	v_mov_b32_dpp v10, v0 quad_perm:[1,0,3,2] row_mask:0xf bank_mask:0xf
	s_and_saveexec_b64 s[0:1], vcc
	s_cbranch_execz .LBB617_17
; %bb.39:
	v_cvt_f32_u32_e32 v11, s24
	v_add_f32_e32 v0, v0, v10
	s_mov_b32 s31, 0x20000
	v_div_scale_f32 v10, s[0:1], v11, v11, v0
	v_rcp_f32_e32 v12, v10
	v_div_scale_f32 v13, vcc, v0, v11, v0
	s_mov_b32 s0, 0x800000
	v_fma_f32 v14, -v10, v12, 1.0
	v_fmac_f32_e32 v12, v14, v12
	v_mul_f32_e32 v14, v13, v12
	v_fma_f32 v15, -v10, v14, v13
	v_fmac_f32_e32 v14, v15, v12
	v_fma_f32 v10, -v10, v14, v13
	v_div_fmas_f32 v10, v10, v12, v14
	v_div_fixup_f32 v0, v10, v11, v0
	v_add_f32_e32 v0, s21, v0
	v_mul_f32_e32 v10, 0x4b800000, v0
	v_cmp_gt_f32_e32 vcc, s0, v0
	v_cndmask_b32_e32 v0, v0, v10, vcc
	v_rsq_f32_e32 v0, v0
	s_mul_hi_i32 s1, s16, s6
	s_mul_i32 s0, s16, s6
	s_lshl_b64 s[0:1], s[0:1], 1
	v_mul_f32_e32 v10, 0x45800000, v0
	v_cndmask_b32_e32 v10, v0, v10, vcc
	v_mov_b32_e32 v11, v10
	;;#ASMSTART
	v_pk_mul_f32 v[12:13], v[18:19], v[10:11]
	;;#ASMEND
	;;#ASMSTART
	v_pk_mul_f32 v[14:15], v[32:33], v[10:11]
	;;#ASMEND
	;; [unrolled: 3-line block ×4, first 2 shown]
	s_waitcnt vmcnt(1)
	v_cvt_f32_f16_sdwa v29, v6 dst_sel:DWORD dst_unused:UNUSED_PAD src0_sel:WORD_1
	v_cvt_f32_f16_e32 v28, v6
	v_cvt_f32_f16_sdwa v31, v7 dst_sel:DWORD dst_unused:UNUSED_PAD src0_sel:WORD_1
	v_cvt_f32_f16_e32 v30, v7
	;;#ASMSTART
	v_pk_mul_f32 v[26:27], v[26:27], v[10:11]
	;;#ASMEND
	;;#ASMSTART
	v_pk_mul_f32 v[24:25], v[24:25], v[10:11]
	;;#ASMEND
	;; [unrolled: 3-line block ×4, first 2 shown]
	v_cvt_f32_f16_sdwa v21, v8 dst_sel:DWORD dst_unused:UNUSED_PAD src0_sel:WORD_1
	v_cvt_f32_f16_e32 v20, v8
	v_pk_add_f32 v[10:11], v[28:29], 1.0 op_sel_hi:[1,0]
	;;#ASMSTART
	v_pk_mul_f32 v[10:11], v[12:13], v[10:11]
	;;#ASMEND
	v_pk_add_f32 v[12:13], v[30:31], 1.0 op_sel_hi:[1,0]
	v_cvt_f32_f16_sdwa v29, v9 dst_sel:DWORD dst_unused:UNUSED_PAD src0_sel:WORD_1
	v_cvt_f32_f16_e32 v28, v9
	;;#ASMSTART
	v_pk_mul_f32 v[8:9], v[14:15], v[12:13]
	;;#ASMEND
	v_pk_add_f32 v[12:13], v[20:21], 1.0 op_sel_hi:[1,0]
	;;#ASMSTART
	v_pk_mul_f32 v[12:13], v[16:17], v[12:13]
	;;#ASMEND
	s_waitcnt vmcnt(0)
	v_cvt_f32_f16_sdwa v17, v2 dst_sel:DWORD dst_unused:UNUSED_PAD src0_sel:WORD_1
	v_cvt_f32_f16_e32 v16, v2
	v_cvt_f32_f16_sdwa v21, v3 dst_sel:DWORD dst_unused:UNUSED_PAD src0_sel:WORD_1
	v_cvt_f32_f16_e32 v20, v3
	v_pk_add_f32 v[14:15], v[28:29], 1.0 op_sel_hi:[1,0]
	;;#ASMSTART
	v_pk_mul_f32 v[2:3], v[18:19], v[14:15]
	;;#ASMEND
	v_cvt_f32_f16_sdwa v19, v4 dst_sel:DWORD dst_unused:UNUSED_PAD src0_sel:WORD_1
	v_cvt_f32_f16_e32 v18, v4
	v_pk_add_f32 v[14:15], v[16:17], 1.0 op_sel_hi:[1,0]
	v_pk_add_f32 v[16:17], v[20:21], 1.0 op_sel_hi:[1,0]
	v_cvt_f32_f16_sdwa v21, v5 dst_sel:DWORD dst_unused:UNUSED_PAD src0_sel:WORD_1
	v_cvt_f32_f16_e32 v20, v5
	v_pk_add_f32 v[4:5], v[18:19], 1.0 op_sel_hi:[1,0]
	;;#ASMSTART
	v_pk_mul_f32 v[14:15], v[26:27], v[14:15]
	;;#ASMEND
	;;#ASMSTART
	v_pk_mul_f32 v[16:17], v[24:25], v[16:17]
	;;#ASMEND
	;; [unrolled: 3-line block ×3, first 2 shown]
	v_pk_add_f32 v[4:5], v[20:21], 1.0 op_sel_hi:[1,0]
	;;#ASMSTART
	v_pk_mul_f32 v[6:7], v[6:7], v[4:5]
	;;#ASMEND
	v_cvt_f16_f32_e32 v0, v10
	v_cvt_f16_f32_e32 v4, v11
	;; [unrolled: 1-line block ×8, first 2 shown]
	s_add_u32 s28, s18, s0
	s_addc_u32 s0, s19, s1
	s_and_b32 s29, s0, 0xffff
	v_pack_b32_f16 v2, v0, v4
	v_pack_b32_f16 v3, v5, v8
	v_pack_b32_f16 v4, v9, v10
	v_pack_b32_f16 v5, v11, v12
	buffer_store_dwordx4 v[2:5], v1, s[28:31], 0 offen
	v_cvt_f16_f32_e32 v0, v14
	v_cvt_f16_f32_e32 v2, v15
	;; [unrolled: 1-line block ×8, first 2 shown]
	v_pack_b32_f16 v2, v0, v2
	v_pack_b32_f16 v3, v3, v4
	v_pack_b32_f16 v4, v5, v8
	v_pack_b32_f16 v5, v6, v7
	;;#ASMSTART
	s_nop 0
	;;#ASMEND
	buffer_store_dwordx4 v[2:5], v1, s[28:31], 16 offen
	;;#ASMSTART
	s_nop 0
	;;#ASMEND
	s_endpgm
	.section	.rodata,"a",@progbits
	.p2align	6, 0x0
	.amdhsa_kernel _ZN5aiter35fused_qk_rmsnorm_group_quant_kernelIDF16_DB8_Li128ELi16ELi8ELb1ELb1ELb1ELb0ELb0ELb0EEEvPT0_PvPT_S6_S6_PKS5_S8_S8_S8_S8_ffiiiiiiiiiiiii
		.amdhsa_group_segment_fixed_size 16
		.amdhsa_private_segment_fixed_size 0
		.amdhsa_kernarg_size 400
		.amdhsa_user_sgpr_count 6
		.amdhsa_user_sgpr_private_segment_buffer 1
		.amdhsa_user_sgpr_dispatch_ptr 0
		.amdhsa_user_sgpr_queue_ptr 0
		.amdhsa_user_sgpr_kernarg_segment_ptr 1
		.amdhsa_user_sgpr_dispatch_id 0
		.amdhsa_user_sgpr_flat_scratch_init 0
		.amdhsa_user_sgpr_kernarg_preload_length 0
		.amdhsa_user_sgpr_kernarg_preload_offset 0
		.amdhsa_user_sgpr_private_segment_size 0
		.amdhsa_uses_dynamic_stack 0
		.amdhsa_system_sgpr_private_segment_wavefront_offset 0
		.amdhsa_system_sgpr_workgroup_id_x 1
		.amdhsa_system_sgpr_workgroup_id_y 1
		.amdhsa_system_sgpr_workgroup_id_z 0
		.amdhsa_system_sgpr_workgroup_info 0
		.amdhsa_system_vgpr_workitem_id 0
		.amdhsa_next_free_vgpr 90
		.amdhsa_next_free_sgpr 44
		.amdhsa_accum_offset 92
		.amdhsa_reserve_vcc 1
		.amdhsa_reserve_flat_scratch 0
		.amdhsa_float_round_mode_32 0
		.amdhsa_float_round_mode_16_64 0
		.amdhsa_float_denorm_mode_32 3
		.amdhsa_float_denorm_mode_16_64 3
		.amdhsa_dx10_clamp 1
		.amdhsa_ieee_mode 1
		.amdhsa_fp16_overflow 0
		.amdhsa_tg_split 0
		.amdhsa_exception_fp_ieee_invalid_op 0
		.amdhsa_exception_fp_denorm_src 0
		.amdhsa_exception_fp_ieee_div_zero 0
		.amdhsa_exception_fp_ieee_overflow 0
		.amdhsa_exception_fp_ieee_underflow 0
		.amdhsa_exception_fp_ieee_inexact 0
		.amdhsa_exception_int_div_zero 0
	.end_amdhsa_kernel
	.section	.text._ZN5aiter35fused_qk_rmsnorm_group_quant_kernelIDF16_DB8_Li128ELi16ELi8ELb1ELb1ELb1ELb0ELb0ELb0EEEvPT0_PvPT_S6_S6_PKS5_S8_S8_S8_S8_ffiiiiiiiiiiiii,"axG",@progbits,_ZN5aiter35fused_qk_rmsnorm_group_quant_kernelIDF16_DB8_Li128ELi16ELi8ELb1ELb1ELb1ELb0ELb0ELb0EEEvPT0_PvPT_S6_S6_PKS5_S8_S8_S8_S8_ffiiiiiiiiiiiii,comdat
.Lfunc_end617:
	.size	_ZN5aiter35fused_qk_rmsnorm_group_quant_kernelIDF16_DB8_Li128ELi16ELi8ELb1ELb1ELb1ELb0ELb0ELb0EEEvPT0_PvPT_S6_S6_PKS5_S8_S8_S8_S8_ffiiiiiiiiiiiii, .Lfunc_end617-_ZN5aiter35fused_qk_rmsnorm_group_quant_kernelIDF16_DB8_Li128ELi16ELi8ELb1ELb1ELb1ELb0ELb0ELb0EEEvPT0_PvPT_S6_S6_PKS5_S8_S8_S8_S8_ffiiiiiiiiiiiii
                                        ; -- End function
	.section	.AMDGPU.csdata,"",@progbits
; Kernel info:
; codeLenInByte = 4368
; NumSgprs: 48
; NumVgprs: 90
; NumAgprs: 0
; TotalNumVgprs: 90
; ScratchSize: 0
; MemoryBound: 0
; FloatMode: 240
; IeeeMode: 1
; LDSByteSize: 16 bytes/workgroup (compile time only)
; SGPRBlocks: 5
; VGPRBlocks: 11
; NumSGPRsForWavesPerEU: 48
; NumVGPRsForWavesPerEU: 90
; AccumOffset: 92
; Occupancy: 5
; WaveLimiterHint : 0
; COMPUTE_PGM_RSRC2:SCRATCH_EN: 0
; COMPUTE_PGM_RSRC2:USER_SGPR: 6
; COMPUTE_PGM_RSRC2:TRAP_HANDLER: 0
; COMPUTE_PGM_RSRC2:TGID_X_EN: 1
; COMPUTE_PGM_RSRC2:TGID_Y_EN: 1
; COMPUTE_PGM_RSRC2:TGID_Z_EN: 0
; COMPUTE_PGM_RSRC2:TIDIG_COMP_CNT: 0
; COMPUTE_PGM_RSRC3_GFX90A:ACCUM_OFFSET: 22
; COMPUTE_PGM_RSRC3_GFX90A:TG_SPLIT: 0
	.section	.text._ZN5aiter35fused_qk_rmsnorm_group_quant_kernelItDB8_Li128ELi16ELi8ELb1ELb1ELb1ELb0ELb0ELb0EEEvPT0_PvPT_S6_S6_PKS5_S8_S8_S8_S8_ffiiiiiiiiiiiii,"axG",@progbits,_ZN5aiter35fused_qk_rmsnorm_group_quant_kernelItDB8_Li128ELi16ELi8ELb1ELb1ELb1ELb0ELb0ELb0EEEvPT0_PvPT_S6_S6_PKS5_S8_S8_S8_S8_ffiiiiiiiiiiiii,comdat
	.protected	_ZN5aiter35fused_qk_rmsnorm_group_quant_kernelItDB8_Li128ELi16ELi8ELb1ELb1ELb1ELb0ELb0ELb0EEEvPT0_PvPT_S6_S6_PKS5_S8_S8_S8_S8_ffiiiiiiiiiiiii ; -- Begin function _ZN5aiter35fused_qk_rmsnorm_group_quant_kernelItDB8_Li128ELi16ELi8ELb1ELb1ELb1ELb0ELb0ELb0EEEvPT0_PvPT_S6_S6_PKS5_S8_S8_S8_S8_ffiiiiiiiiiiiii
	.globl	_ZN5aiter35fused_qk_rmsnorm_group_quant_kernelItDB8_Li128ELi16ELi8ELb1ELb1ELb1ELb0ELb0ELb0EEEvPT0_PvPT_S6_S6_PKS5_S8_S8_S8_S8_ffiiiiiiiiiiiii
	.p2align	8
	.type	_ZN5aiter35fused_qk_rmsnorm_group_quant_kernelItDB8_Li128ELi16ELi8ELb1ELb1ELb1ELb0ELb0ELb0EEEvPT0_PvPT_S6_S6_PKS5_S8_S8_S8_S8_ffiiiiiiiiiiiii,@function
_ZN5aiter35fused_qk_rmsnorm_group_quant_kernelItDB8_Li128ELi16ELi8ELb1ELb1ELb1ELb0ELb0ELb0EEEvPT0_PvPT_S6_S6_PKS5_S8_S8_S8_S8_ffiiiiiiiiiiiii: ; @_ZN5aiter35fused_qk_rmsnorm_group_quant_kernelItDB8_Li128ELi16ELi8ELb1ELb1ELb1ELb0ELb0ELb0EEEvPT0_PvPT_S6_S6_PKS5_S8_S8_S8_S8_ffiiiiiiiiiiiii
; %bb.0:
	s_load_dwordx8 s[20:27], s[4:5], 0x50
	s_waitcnt lgkmcnt(0)
	s_cmp_ge_i32 s6, s22
	s_cbranch_scc1 .LBB618_17
; %bb.1:
	s_cmp_lg_u32 s7, 0
	s_cselect_b64 s[10:11], -1, 0
	s_cmp_eq_u32 s7, 0
	s_cselect_b64 s[8:9], -1, 0
	s_and_b64 s[0:1], s[8:9], exec
	s_load_dwordx2 s[28:29], s[4:5], 0x48
	s_load_dwordx2 s[34:35], s[4:5], 0x30
	s_load_dwordx8 s[12:19], s[4:5], 0x70
	s_cselect_b32 s7, s23, s24
	s_add_i32 s0, s7, 1
	s_lshr_b32 s1, s0, 31
	s_add_i32 s0, s0, s1
	s_lshl_b32 s0, s0, 1
	v_lshlrev_b32_e32 v1, 4, v0
	s_and_b32 s38, s0, -4
	v_cmp_gt_i32_e64 s[0:1], s7, v1
	v_mov_b32_e32 v74, 0
	v_mov_b32_e32 v75, 0
	;; [unrolled: 1-line block ×16, first 2 shown]
	s_and_saveexec_b64 s[2:3], s[0:1]
	s_cbranch_execz .LBB618_3
; %bb.2:
	s_waitcnt lgkmcnt(0)
	s_load_dwordx2 s[18:19], s[4:5], 0x28
	s_load_dwordx2 s[30:31], s[4:5], 0x40
	s_and_b64 s[36:37], s[8:9], exec
	s_cselect_b32 s22, s25, s26
	s_mov_b32 s39, 0x20000
	s_waitcnt lgkmcnt(0)
	s_cselect_b32 s25, s19, s35
	s_cselect_b32 s33, s18, s34
	s_mul_hi_i32 s19, s22, s6
	s_mul_i32 s18, s22, s6
	s_lshl_b64 s[18:19], s[18:19], 1
	s_add_u32 s40, s33, s18
	s_addc_u32 s22, s25, s19
	s_and_b64 s[18:19], s[8:9], exec
	s_cselect_b32 s36, s30, s28
	s_cselect_b32 s18, s31, s29
	s_and_b32 s41, s22, 0xffff
	s_mov_b32 s42, s38
	s_mov_b32 s43, s39
	v_lshlrev_b32_e32 v2, 5, v0
	s_and_b32 s37, s18, 0xffff
	buffer_load_dwordx4 v[78:81], v2, s[40:43], 0 offen
	buffer_load_dwordx4 v[82:85], v2, s[40:43], 16 offen
	;; [unrolled: 1-line block ×4, first 2 shown]
.LBB618_3:
	s_or_b64 exec, exec, s[2:3]
	s_and_b64 vcc, exec, s[10:11]
	s_cbranch_vccz .LBB618_7
; %bb.4:
	v_mov_b32_e32 v87, 0
	v_mov_b32_e32 v86, 0
	;; [unrolled: 1-line block ×16, first 2 shown]
	s_and_saveexec_b64 s[2:3], s[0:1]
	s_cbranch_execz .LBB618_6
; %bb.5:
	s_waitcnt vmcnt(3)
	v_cvt_f32_u32_sdwa v52, v78 dst_sel:DWORD dst_unused:UNUSED_PAD src0_sel:WORD_0
	v_cvt_f32_u32_sdwa v53, v78 dst_sel:DWORD dst_unused:UNUSED_PAD src0_sel:WORD_1
	v_cvt_f32_u32_sdwa v34, v79 dst_sel:DWORD dst_unused:UNUSED_PAD src0_sel:WORD_0
	v_cvt_f32_u32_sdwa v35, v79 dst_sel:DWORD dst_unused:UNUSED_PAD src0_sel:WORD_1
	;; [unrolled: 2-line block ×4, first 2 shown]
	s_waitcnt vmcnt(2)
	v_cvt_f32_u32_sdwa v44, v82 dst_sel:DWORD dst_unused:UNUSED_PAD src0_sel:WORD_0
	v_cvt_f32_u32_sdwa v45, v82 dst_sel:DWORD dst_unused:UNUSED_PAD src0_sel:WORD_1
	v_cvt_f32_u32_sdwa v18, v83 dst_sel:DWORD dst_unused:UNUSED_PAD src0_sel:WORD_0
	v_cvt_f32_u32_sdwa v19, v83 dst_sel:DWORD dst_unused:UNUSED_PAD src0_sel:WORD_1
	;; [unrolled: 2-line block ×4, first 2 shown]
.LBB618_6:
	s_or_b64 exec, exec, s[2:3]
	s_cbranch_execz .LBB618_8
	s_branch .LBB618_11
.LBB618_7:
                                        ; implicit-def: $vgpr32_vgpr33_vgpr34_vgpr35_vgpr36_vgpr37_vgpr38_vgpr39_vgpr40_vgpr41_vgpr42_vgpr43_vgpr44_vgpr45_vgpr46_vgpr47
                                        ; implicit-def: $vgpr18_vgpr19_vgpr20_vgpr21_vgpr22_vgpr23_vgpr24_vgpr25_vgpr26_vgpr27_vgpr28_vgpr29_vgpr30_vgpr31_vgpr32_vgpr33
                                        ; implicit-def: $vgpr52_vgpr53_vgpr54_vgpr55_vgpr56_vgpr57_vgpr58_vgpr59_vgpr60_vgpr61_vgpr62_vgpr63_vgpr64_vgpr65_vgpr66_vgpr67
                                        ; implicit-def: $vgpr87
                                        ; implicit-def: $vgpr54_vgpr55_vgpr56_vgpr57_vgpr58_vgpr59_vgpr60_vgpr61_vgpr62_vgpr63_vgpr64_vgpr65_vgpr66_vgpr67_vgpr68_vgpr69
                                        ; implicit-def: $vgpr8_vgpr9_vgpr10_vgpr11_vgpr12_vgpr13_vgpr14_vgpr15_vgpr16_vgpr17_vgpr18_vgpr19_vgpr20_vgpr21_vgpr22_vgpr23
                                        ; implicit-def: $vgpr36_vgpr37_vgpr38_vgpr39_vgpr40_vgpr41_vgpr42_vgpr43_vgpr44_vgpr45_vgpr46_vgpr47_vgpr48_vgpr49_vgpr50_vgpr51
                                        ; implicit-def: $vgpr2_vgpr3_vgpr4_vgpr5_vgpr6_vgpr7_vgpr8_vgpr9_vgpr10_vgpr11_vgpr12_vgpr13_vgpr14_vgpr15_vgpr16_vgpr17
.LBB618_8:
	v_mov_b32_e32 v87, 0
	v_mov_b32_e32 v86, 0
	;; [unrolled: 1-line block ×16, first 2 shown]
	s_and_saveexec_b64 s[2:3], s[0:1]
	s_cbranch_execz .LBB618_10
; %bb.9:
	s_waitcnt lgkmcnt(0)
	s_load_dwordx2 s[18:19], s[4:5], 0x38
	s_mul_hi_i32 s31, s27, s6
	s_mul_i32 s30, s27, s6
	s_lshl_b64 s[30:31], s[30:31], 1
	s_mov_b32 s39, 0x20000
	s_waitcnt lgkmcnt(0)
	s_add_u32 s36, s18, s30
	s_addc_u32 s18, s19, s31
	s_and_b32 s37, s18, 0xffff
	v_lshlrev_b32_e32 v38, 5, v0
	buffer_load_dwordx4 v[4:7], v38, s[36:39], 16 offen
	buffer_load_dwordx4 v[8:11], v38, s[36:39], 0 offen
	s_load_dwordx2 s[18:19], s[4:5], 0x20
	s_waitcnt vmcnt(5)
	v_cvt_f32_u32_sdwa v19, v78 dst_sel:DWORD dst_unused:UNUSED_PAD src0_sel:WORD_1
	v_cvt_f32_u32_sdwa v18, v78 dst_sel:DWORD dst_unused:UNUSED_PAD src0_sel:WORD_0
	v_cvt_f32_u32_sdwa v21, v79 dst_sel:DWORD dst_unused:UNUSED_PAD src0_sel:WORD_1
	v_cvt_f32_u32_sdwa v20, v79 dst_sel:DWORD dst_unused:UNUSED_PAD src0_sel:WORD_0
	;; [unrolled: 2-line block ×4, first 2 shown]
	s_waitcnt vmcnt(4)
	v_cvt_f32_u32_sdwa v3, v82 dst_sel:DWORD dst_unused:UNUSED_PAD src0_sel:WORD_1
	v_cvt_f32_u32_sdwa v2, v82 dst_sel:DWORD dst_unused:UNUSED_PAD src0_sel:WORD_0
	v_cvt_f32_u32_sdwa v13, v83 dst_sel:DWORD dst_unused:UNUSED_PAD src0_sel:WORD_1
	v_cvt_f32_u32_sdwa v12, v83 dst_sel:DWORD dst_unused:UNUSED_PAD src0_sel:WORD_0
	;; [unrolled: 2-line block ×3, first 2 shown]
	v_cvt_f32_u32_sdwa v16, v85 dst_sel:DWORD dst_unused:UNUSED_PAD src0_sel:WORD_0
	v_cvt_f32_u32_sdwa v17, v85 dst_sel:DWORD dst_unused:UNUSED_PAD src0_sel:WORD_1
	s_mul_hi_i32 s31, s17, s6
	s_mul_i32 s30, s17, s6
	s_lshl_b64 s[30:31], s[30:31], 1
	s_waitcnt lgkmcnt(0)
	s_add_u32 s36, s18, s30
	s_mov_b32 s17, 0x7060302
	s_addc_u32 s18, s19, s31
	s_and_b32 s37, s18, 0xffff
	s_waitcnt vmcnt(1)
	v_cvt_f32_u32_sdwa v27, v4 dst_sel:DWORD dst_unused:UNUSED_PAD src0_sel:WORD_1
	v_cvt_f32_u32_sdwa v26, v4 dst_sel:DWORD dst_unused:UNUSED_PAD src0_sel:WORD_0
	v_cvt_f32_u32_sdwa v29, v5 dst_sel:DWORD dst_unused:UNUSED_PAD src0_sel:WORD_1
	v_cvt_f32_u32_sdwa v28, v5 dst_sel:DWORD dst_unused:UNUSED_PAD src0_sel:WORD_0
	v_cvt_f32_u32_sdwa v31, v6 dst_sel:DWORD dst_unused:UNUSED_PAD src0_sel:WORD_1
	v_cvt_f32_u32_sdwa v30, v6 dst_sel:DWORD dst_unused:UNUSED_PAD src0_sel:WORD_0
	v_cvt_f32_u32_sdwa v32, v7 dst_sel:DWORD dst_unused:UNUSED_PAD src0_sel:WORD_0
	v_cvt_f32_u32_sdwa v33, v7 dst_sel:DWORD dst_unused:UNUSED_PAD src0_sel:WORD_1
	s_waitcnt vmcnt(0)
	v_cvt_f32_u32_sdwa v37, v8 dst_sel:DWORD dst_unused:UNUSED_PAD src0_sel:WORD_1
	v_cvt_f32_u32_sdwa v36, v8 dst_sel:DWORD dst_unused:UNUSED_PAD src0_sel:WORD_0
	v_cvt_f32_u32_sdwa v5, v10 dst_sel:DWORD dst_unused:UNUSED_PAD src0_sel:WORD_1
	v_cvt_f32_u32_sdwa v4, v10 dst_sel:DWORD dst_unused:UNUSED_PAD src0_sel:WORD_0
	;; [unrolled: 2-line block ×4, first 2 shown]
	v_pk_add_f32 v[58:59], v[22:23], v[4:5]
	v_pk_add_f32 v[24:25], v[24:25], v[6:7]
	;; [unrolled: 1-line block ×4, first 2 shown]
	v_perm_b32 v7, v25, v24, s17
	v_perm_b32 v6, v59, v58, s17
	;; [unrolled: 1-line block ×4, first 2 shown]
	v_pk_add_f32 v[86:87], v[16:17], v[32:33]
	v_pk_add_f32 v[14:15], v[14:15], v[30:31]
	;; [unrolled: 1-line block ×4, first 2 shown]
	buffer_store_dwordx4 v[4:7], v38, s[36:39], 0 offen
	;;#ASMSTART
	s_nop 0
	;;#ASMEND
	s_nop 0
	v_perm_b32 v7, v87, v86, s17
	v_perm_b32 v6, v15, v14, s17
	;; [unrolled: 1-line block ×4, first 2 shown]
	buffer_store_dwordx4 v[4:7], v38, s[36:39], 16 offen
	;;#ASMSTART
	s_nop 0
	;;#ASMEND
.LBB618_10:
	s_or_b64 exec, exec, s[2:3]
.LBB618_11:
	v_mul_f32_e32 v2, v53, v53
	v_fmac_f32_e32 v2, v52, v52
	v_fmac_f32_e32 v2, v34, v34
	;; [unrolled: 1-line block ×15, first 2 shown]
	s_nop 1
	v_mov_b32_dpp v3, v2 quad_perm:[1,0,3,2] row_mask:0xf bank_mask:0xf
	v_add_f32_e32 v2, v2, v3
	s_nop 1
	v_mov_b32_dpp v3, v2 quad_perm:[2,3,0,1] row_mask:0xf bank_mask:0xf
	v_add_f32_e32 v2, v2, v3
	s_nop 1
	v_mov_b32_dpp v3, v2 row_half_mirror row_mask:0xf bank_mask:0xf
	v_add_f32_e32 v2, v2, v3
	s_nop 1
	v_mov_b32_dpp v3, v2 row_mirror row_mask:0xf bank_mask:0xf
	v_add_f32_e32 v2, v2, v3
	s_nop 1
	v_mov_b32_dpp v3, v2 row_bcast:15 row_mask:0xf bank_mask:0xf
	v_add_f32_e32 v2, v2, v3
	v_and_b32_e32 v3, 63, v0
	v_cmp_eq_u32_e64 s[2:3], 63, v3
	s_nop 0
	v_mov_b32_dpp v3, v2 row_bcast:31 row_mask:0xf bank_mask:0xf
	s_waitcnt lgkmcnt(0)
	s_and_saveexec_b64 s[18:19], s[2:3]
	s_cbranch_execz .LBB618_13
; %bb.12:
	v_add_f32_e32 v2, v2, v3
	v_lshrrev_b32_e32 v3, 4, v0
	v_and_b32_e32 v3, 60, v3
	ds_write_b32 v3, v2 offset:8
.LBB618_13:
	s_or_b64 exec, exec, s[18:19]
	v_and_b32_e32 v2, 1, v0
	v_lshlrev_b32_e32 v36, 2, v2
	s_waitcnt lgkmcnt(0)
	s_barrier
	ds_read_b32 v2, v36 offset:8
	s_load_dwordx2 s[18:19], s[4:5], 0x18
	s_waitcnt lgkmcnt(0)
	v_mov_b32_dpp v3, v2 quad_perm:[1,0,3,2] row_mask:0xf bank_mask:0xf
	s_and_saveexec_b64 s[30:31], s[0:1]
	s_cbranch_execnz .LBB618_18
; %bb.14:
	s_or_b64 exec, exec, s[30:31]
	s_mov_b64 s[8:9], -1
	s_and_b64 vcc, exec, s[10:11]
	s_cbranch_vccnz .LBB618_19
.LBB618_15:
	s_andn2_b64 vcc, exec, s[8:9]
	s_cbranch_vccz .LBB618_22
.LBB618_16:
	s_cmp_lt_i32 s24, 1
	s_cbranch_scc0 .LBB618_31
.LBB618_17:
	s_endpgm
.LBB618_18:
	v_add_f32_e32 v2, v2, v3
	v_cvt_f32_u32_e32 v3, s7
	s_mov_b32 s7, 0x800000
	s_waitcnt vmcnt(1)
	v_cvt_f32_u32_sdwa v17, v74 dst_sel:DWORD dst_unused:UNUSED_PAD src0_sel:WORD_1
	v_cvt_f32_u32_sdwa v16, v74 dst_sel:DWORD dst_unused:UNUSED_PAD src0_sel:WORD_0
	v_div_scale_f32 v4, s[36:37], v3, v3, v2
	v_rcp_f32_e32 v5, v4
	v_pk_add_f32 v[16:17], v[16:17], 1.0 op_sel_hi:[1,0]
	v_cvt_f32_u32_sdwa v21, v77 dst_sel:DWORD dst_unused:UNUSED_PAD src0_sel:WORD_1
	v_cvt_f32_u32_sdwa v20, v77 dst_sel:DWORD dst_unused:UNUSED_PAD src0_sel:WORD_0
	v_fma_f32 v6, -v4, v5, 1.0
	v_fmac_f32_e32 v5, v6, v5
	v_div_scale_f32 v6, vcc, v2, v3, v2
	v_mul_f32_e32 v7, v6, v5
	v_fma_f32 v8, -v4, v7, v6
	v_fmac_f32_e32 v7, v8, v5
	v_fma_f32 v4, -v4, v7, v6
	v_div_fmas_f32 v4, v4, v5, v7
	v_div_fixup_f32 v2, v4, v3, v2
	v_mov_b32_e32 v3, s21
	v_mov_b32_e32 v4, s20
	v_cndmask_b32_e64 v3, v3, v4, s[8:9]
	v_add_f32_e32 v2, v3, v2
	v_mul_f32_e32 v3, 0x4b800000, v2
	v_cmp_gt_f32_e32 vcc, s7, v2
	v_cndmask_b32_e32 v2, v2, v3, vcc
	v_rsq_f32_e32 v2, v2
	s_waitcnt vmcnt(0)
	v_cvt_f32_u32_sdwa v23, v72 dst_sel:DWORD dst_unused:UNUSED_PAD src0_sel:WORD_1
	v_cvt_f32_u32_sdwa v22, v72 dst_sel:DWORD dst_unused:UNUSED_PAD src0_sel:WORD_0
	v_mul_f32_e32 v3, 0x45800000, v2
	v_cndmask_b32_e32 v2, v2, v3, vcc
	v_mov_b32_e32 v3, v2
	;;#ASMSTART
	v_pk_mul_f32 v[4:5], v[52:53], v[2:3]
	;;#ASMEND
	;;#ASMSTART
	v_pk_mul_f32 v[6:7], v[34:35], v[2:3]
	;;#ASMEND
	;; [unrolled: 3-line block ×9, first 2 shown]
	v_cvt_f32_u32_sdwa v5, v75 dst_sel:DWORD dst_unused:UNUSED_PAD src0_sel:WORD_1
	v_cvt_f32_u32_sdwa v4, v75 dst_sel:DWORD dst_unused:UNUSED_PAD src0_sel:WORD_0
	v_cvt_f32_u32_sdwa v17, v76 dst_sel:DWORD dst_unused:UNUSED_PAD src0_sel:WORD_1
	v_cvt_f32_u32_sdwa v16, v76 dst_sel:DWORD dst_unused:UNUSED_PAD src0_sel:WORD_0
	v_cvt_f32_u32_sdwa v25, v73 dst_sel:DWORD dst_unused:UNUSED_PAD src0_sel:WORD_1
	v_pk_add_f32 v[4:5], v[4:5], 1.0 op_sel_hi:[1,0]
	;;#ASMSTART
	v_pk_mul_f32 v[34:35], v[6:7], v[4:5]
	;;#ASMEND
	v_pk_add_f32 v[4:5], v[16:17], 1.0 op_sel_hi:[1,0]
	v_pk_add_f32 v[6:7], v[20:21], 1.0 op_sel_hi:[1,0]
	v_cvt_f32_u32_sdwa v17, v70 dst_sel:DWORD dst_unused:UNUSED_PAD src0_sel:WORD_1
	v_cvt_f32_u32_sdwa v16, v70 dst_sel:DWORD dst_unused:UNUSED_PAD src0_sel:WORD_0
	v_cvt_f32_u32_sdwa v21, v71 dst_sel:DWORD dst_unused:UNUSED_PAD src0_sel:WORD_1
	v_cvt_f32_u32_sdwa v20, v71 dst_sel:DWORD dst_unused:UNUSED_PAD src0_sel:WORD_0
	v_cvt_f32_u32_sdwa v24, v73 dst_sel:DWORD dst_unused:UNUSED_PAD src0_sel:WORD_0
	v_pk_add_f32 v[16:17], v[16:17], 1.0 op_sel_hi:[1,0]
	v_pk_add_f32 v[22:23], v[22:23], 1.0 op_sel_hi:[1,0]
	;; [unrolled: 1-line block ×4, first 2 shown]
	;;#ASMSTART
	v_pk_mul_f32 v[58:59], v[8:9], v[4:5]
	;;#ASMEND
	;;#ASMSTART
	v_pk_mul_f32 v[24:25], v[10:11], v[6:7]
	;;#ASMEND
	;; [unrolled: 3-line block ×6, first 2 shown]
	s_or_b64 exec, exec, s[30:31]
	s_mov_b64 s[8:9], -1
	s_and_b64 vcc, exec, s[10:11]
	s_cbranch_vccz .LBB618_15
.LBB618_19:
	s_and_saveexec_b64 s[8:9], s[0:1]
	s_cbranch_execz .LBB618_21
; %bb.20:
	s_mul_hi_i32 s11, s16, s6
	s_mul_i32 s10, s16, s6
	s_lshl_b64 s[10:11], s[10:11], 1
	s_add_u32 s36, s18, s10
	s_addc_u32 s7, s19, s11
	s_and_b32 s37, s7, 0xffff
	s_mov_b32 s7, 0x7060302
	s_mov_b32 s39, 0x20000
	v_perm_b32 v5, v25, v24, s7
	v_perm_b32 v4, v59, v58, s7
	;; [unrolled: 1-line block ×4, first 2 shown]
	v_lshlrev_b32_e32 v6, 5, v0
	buffer_store_dwordx4 v[2:5], v6, s[36:39], 0 offen
	;;#ASMSTART
	s_nop 0
	;;#ASMEND
	s_nop 0
	v_perm_b32 v5, v87, v86, s7
	v_perm_b32 v4, v15, v14, s7
	;; [unrolled: 1-line block ×4, first 2 shown]
	buffer_store_dwordx4 v[2:5], v6, s[36:39], 16 offen
	;;#ASMSTART
	s_nop 0
	;;#ASMEND
.LBB618_21:
	s_or_b64 exec, exec, s[8:9]
	s_cbranch_execnz .LBB618_16
.LBB618_22:
	v_mov_b32_e32 v2, 0
	s_and_saveexec_b64 s[8:9], s[0:1]
	s_cbranch_execz .LBB618_24
; %bb.23:
	s_load_dwordx2 s[10:11], s[4:5], 0x10
	s_mul_hi_i32 s31, s15, s6
	s_mul_i32 s30, s15, s6
	s_lshl_b64 s[30:31], s[30:31], 1
	s_mov_b32 s39, 0x20000
	s_waitcnt lgkmcnt(0)
	s_add_u32 s36, s10, s30
	s_addc_u32 s7, s11, s31
	s_and_b32 s37, s7, 0xffff
	s_mov_b32 s7, 0x7060302
	v_perm_b32 v5, v25, v24, s7
	v_perm_b32 v4, v59, v58, s7
	;; [unrolled: 1-line block ×4, first 2 shown]
	v_lshlrev_b32_e32 v6, 5, v0
	buffer_store_dwordx4 v[2:5], v6, s[36:39], 0 offen
	;;#ASMSTART
	s_nop 0
	;;#ASMEND
	s_nop 0
	v_perm_b32 v5, v87, v86, s7
	v_perm_b32 v4, v15, v14, s7
	;; [unrolled: 1-line block ×4, first 2 shown]
	buffer_store_dwordx4 v[2:5], v6, s[36:39], 16 offen
	;;#ASMSTART
	s_nop 0
	;;#ASMEND
	s_nop 0
	v_mov_b32_e32 v2, 0x2edbe6ff
.LBB618_24:
	s_or_b64 exec, exec, s[8:9]
	s_and_saveexec_b64 s[8:9], s[0:1]
	s_cbranch_execz .LBB618_26
; %bb.25:
	v_and_b32_e32 v3, 0x7fffffff, v52
	v_and_b32_e32 v4, 0x7fffffff, v53
	;;#ASMSTART
	v_max3_f32 v2, v2, v3, v4

	;;#ASMEND
	v_and_b32_e32 v3, 0x7fffffff, v34
	v_and_b32_e32 v4, 0x7fffffff, v35
	;;#ASMSTART
	v_max3_f32 v2, v2, v3, v4

	;;#ASMEND
	;; [unrolled: 6-line block ×8, first 2 shown]
.LBB618_26:
	s_or_b64 exec, exec, s[8:9]
	;;#ASMSTART
	v_max_f32 v3, v2, v2 quad_perm:[1,0,3,2] row_mask:0xf bank_mask:0xf bound_ctrl:1
	;;#ASMEND
	;;#ASMSTART
	v_max_f32 v2, v3, v3 quad_perm:[2,3,0,1] row_mask:0xf bank_mask:0xf bound_ctrl:1
	;;#ASMEND
	;;#ASMSTART
	v_max_f32 v3, v2, v2 row_half_mirror row_mask:0xf bank_mask:0xf bound_ctrl:1
	;;#ASMEND
	v_mul_f32_e32 v2, 0x3b124925, v3
	v_and_b32_e32 v3, 7, v0
	v_cmp_eq_u32_e32 vcc, 0, v3
	v_cmp_gt_i32_e64 s[8:9], s23, v1
	s_and_b64 s[10:11], vcc, s[8:9]
	s_and_saveexec_b64 s[8:9], s[10:11]
	s_cbranch_execz .LBB618_28
; %bb.27:
	s_load_dwordx2 s[10:11], s[4:5], 0x8
	v_lshrrev_b32_e32 v3, 3, v0
	s_mul_hi_i32 s31, s13, s6
	s_mul_i32 s30, s13, s6
	v_mad_i64_i32 v[4:5], s[14:15], s14, v3, 0
	s_lshl_b64 s[14:15], s[30:31], 2
	s_waitcnt lgkmcnt(0)
	s_add_u32 s7, s10, s14
	s_addc_u32 s10, s11, s15
	v_lshlrev_b64 v[4:5], 2, v[4:5]
	v_mov_b32_e32 v3, s10
	v_add_co_u32_e32 v4, vcc, s7, v4
	v_addc_co_u32_e32 v5, vcc, v3, v5, vcc
	global_store_dword v[4:5], v2, off
.LBB618_28:
	s_or_b64 exec, exec, s[8:9]
	;;#ASMSTART
	v_rcp_f32 v2, v2
	;;#ASMEND
	s_and_saveexec_b64 s[14:15], s[0:1]
	s_cbranch_execz .LBB618_30
; %bb.29:
	v_mov_b32_e32 v3, v2
	;;#ASMSTART
	v_pk_mul_f32 v[4:5], v[52:53], v[2:3]
	;;#ASMEND
	v_mov_b32_e32 v10, 0xc3e00000
	v_mov_b32_e32 v11, 0x43e00000
	;;#ASMSTART
	v_med3_f32 v4, v4, v10, v11
v_med3_f32 v5, v5, v10, v11
v_cvt_pk_fp8_f32 v6, v4, v5
	;;#ASMEND
	;;#ASMSTART
	v_pk_mul_f32 v[4:5], v[34:35], v[2:3]
	;;#ASMEND
	;;#ASMSTART
	v_med3_f32 v4, v4, v10, v11
v_med3_f32 v5, v5, v10, v11
v_cvt_pk_fp8_f32 v7, v4, v5
	;;#ASMEND
	;;#ASMSTART
	v_pk_mul_f32 v[4:5], v[58:59], v[2:3]
	;;#ASMEND
	;;#ASMSTART
	v_med3_f32 v4, v4, v10, v11
v_med3_f32 v5, v5, v10, v11
v_cvt_pk_fp8_f32 v8, v4, v5
	;;#ASMEND
	;;#ASMSTART
	v_pk_mul_f32 v[4:5], v[24:25], v[2:3]
	;;#ASMEND
	;;#ASMSTART
	v_med3_f32 v4, v4, v10, v11
v_med3_f32 v5, v5, v10, v11
v_cvt_pk_fp8_f32 v9, v4, v5
	;;#ASMEND
	s_mov_b32 s0, 0x5040100
	v_perm_b32 v4, v7, v6, s0
	s_mov_b32 s0, 0x1060504
	v_perm_b32 v4, v4, v7, s0
	s_load_dwordx2 s[0:1], s[4:5], 0x0
	s_mov_b32 s7, 0x1000504
	;;#ASMSTART
	v_pk_mul_f32 v[6:7], v[44:45], v[2:3]
	;;#ASMEND
	v_perm_b32 v5, v8, v9, s7
	s_mul_i32 s8, s12, s6
	;;#ASMSTART
	v_med3_f32 v6, v6, v10, v11
v_med3_f32 v7, v7, v10, v11
v_cvt_pk_fp8_f32 v8, v6, v7
	;;#ASMEND
	s_mul_hi_i32 s9, s12, s6
	s_waitcnt lgkmcnt(0)
	s_add_u32 s8, s0, s8
	;;#ASMSTART
	v_pk_mul_f32 v[6:7], v[18:19], v[2:3]
	;;#ASMEND
	s_addc_u32 s0, s1, s9
	s_add_i32 s1, s23, 3
	;;#ASMSTART
	v_med3_f32 v6, v6, v10, v11
v_med3_f32 v7, v7, v10, v11
v_cvt_pk_fp8_f32 v9, v6, v7
	;;#ASMEND
	s_ashr_i32 s9, s1, 31
	v_perm_b32 v6, v8, v9, s7
	;;#ASMSTART
	v_pk_mul_f32 v[8:9], v[14:15], v[2:3]
	;;#ASMEND
	v_mov_b32_e32 v7, v9
	s_lshr_b32 s9, s9, 30
	;;#ASMSTART
	v_med3_f32 v8, v8, v10, v11
v_med3_f32 v7, v7, v10, v11
v_cvt_pk_fp8_f32 v9, v8, v7
	;;#ASMEND
	;;#ASMSTART
	v_pk_mul_f32 v[2:3], v[86:87], v[2:3]
	;;#ASMEND
	s_add_i32 s1, s1, s9
	;;#ASMSTART
	v_med3_f32 v2, v2, v10, v11
v_med3_f32 v3, v3, v10, v11
v_cvt_pk_fp8_f32 v7, v2, v3
	;;#ASMEND
	s_and_b32 s10, s1, -4
	s_and_b32 s9, s0, 0xffff
	s_mov_b32 s11, 0x20000
	v_perm_b32 v7, v9, v7, s7
	buffer_store_dwordx4 v[4:7], v1, s[8:11], 0 offen
	;;#ASMSTART
	s_nop 0
	;;#ASMEND
.LBB618_30:
	s_or_b64 exec, exec, s[14:15]
	s_cmp_lt_i32 s24, 1
	s_cbranch_scc1 .LBB618_17
.LBB618_31:
	s_load_dword s0, s[4:5], 0x94
	s_waitcnt lgkmcnt(0)
	s_cmp_lg_u32 s0, 1
	s_cbranch_scc1 .LBB618_17
; %bb.32:
	s_lshl_b32 s0, s24, 1
	s_add_i32 s0, s0, 2
	v_cmp_gt_u32_e32 vcc, s24, v1
	s_and_b32 s30, s0, -4
	v_mov_b32_e32 v18, 0
	v_lshlrev_b32_e32 v1, 5, v0
	v_mov_b32_e32 v14, 0
	v_mov_b32_e32 v15, 0
	;; [unrolled: 1-line block ×16, first 2 shown]
	s_barrier
	s_and_saveexec_b64 s[0:1], vcc
	s_cbranch_execz .LBB618_34
; %bb.33:
	s_mul_hi_i32 s5, s26, s6
	s_mul_i32 s4, s26, s6
	s_and_b32 s29, s29, 0xffff
	s_lshl_b64 s[4:5], s[4:5], 1
	s_add_u32 s8, s34, s4
	s_mov_b32 s31, 0x20000
	s_addc_u32 s4, s35, s5
	s_and_b32 s9, s4, 0xffff
	s_mov_b32 s10, s30
	s_mov_b32 s11, s31
	buffer_load_dwordx4 v[14:17], v1, s[8:11], 0 offen
	buffer_load_dwordx4 v[10:13], v1, s[8:11], 16 offen
	;; [unrolled: 1-line block ×4, first 2 shown]
.LBB618_34:
	s_or_b64 exec, exec, s[0:1]
	v_mov_b32_e32 v19, 0
	v_mov_b32_e32 v32, 0
	;; [unrolled: 1-line block ×15, first 2 shown]
	s_and_saveexec_b64 s[0:1], vcc
	s_cbranch_execz .LBB618_36
; %bb.35:
	s_waitcnt vmcnt(3)
	v_cvt_f32_u32_sdwa v18, v14 dst_sel:DWORD dst_unused:UNUSED_PAD src0_sel:WORD_0
	v_cvt_f32_u32_sdwa v19, v14 dst_sel:DWORD dst_unused:UNUSED_PAD src0_sel:WORD_1
	v_cvt_f32_u32_sdwa v32, v15 dst_sel:DWORD dst_unused:UNUSED_PAD src0_sel:WORD_0
	v_cvt_f32_u32_sdwa v33, v15 dst_sel:DWORD dst_unused:UNUSED_PAD src0_sel:WORD_1
	;; [unrolled: 2-line block ×4, first 2 shown]
	s_waitcnt vmcnt(2)
	v_cvt_f32_u32_sdwa v26, v10 dst_sel:DWORD dst_unused:UNUSED_PAD src0_sel:WORD_0
	v_cvt_f32_u32_sdwa v27, v10 dst_sel:DWORD dst_unused:UNUSED_PAD src0_sel:WORD_1
	v_cvt_f32_u32_sdwa v24, v11 dst_sel:DWORD dst_unused:UNUSED_PAD src0_sel:WORD_0
	v_cvt_f32_u32_sdwa v25, v11 dst_sel:DWORD dst_unused:UNUSED_PAD src0_sel:WORD_1
	;; [unrolled: 2-line block ×4, first 2 shown]
.LBB618_36:
	s_or_b64 exec, exec, s[0:1]
	s_waitcnt vmcnt(2)
	v_mul_f32_e32 v10, v19, v19
	v_fmac_f32_e32 v10, v18, v18
	v_fmac_f32_e32 v10, v32, v32
	;; [unrolled: 1-line block ×15, first 2 shown]
	s_nop 1
	v_mov_b32_dpp v11, v10 quad_perm:[1,0,3,2] row_mask:0xf bank_mask:0xf
	v_add_f32_e32 v10, v10, v11
	s_nop 1
	v_mov_b32_dpp v11, v10 quad_perm:[2,3,0,1] row_mask:0xf bank_mask:0xf
	v_add_f32_e32 v10, v10, v11
	s_nop 1
	v_mov_b32_dpp v11, v10 row_half_mirror row_mask:0xf bank_mask:0xf
	v_add_f32_e32 v10, v10, v11
	s_nop 1
	v_mov_b32_dpp v11, v10 row_mirror row_mask:0xf bank_mask:0xf
	v_add_f32_e32 v10, v10, v11
	s_nop 1
	v_mov_b32_dpp v11, v10 row_bcast:15 row_mask:0xf bank_mask:0xf
	v_add_f32_e32 v10, v10, v11
	s_nop 1
	v_mov_b32_dpp v11, v10 row_bcast:31 row_mask:0xf bank_mask:0xf
	s_and_saveexec_b64 s[0:1], s[2:3]
	s_cbranch_execz .LBB618_38
; %bb.37:
	v_lshrrev_b32_e32 v0, 4, v0
	v_add_f32_e32 v10, v10, v11
	v_and_b32_e32 v0, 60, v0
	ds_write_b32 v0, v10
.LBB618_38:
	s_or_b64 exec, exec, s[0:1]
	s_waitcnt lgkmcnt(0)
	s_barrier
	ds_read_b32 v0, v36
	s_waitcnt lgkmcnt(0)
	s_nop 0
	v_mov_b32_dpp v10, v0 quad_perm:[1,0,3,2] row_mask:0xf bank_mask:0xf
	s_and_saveexec_b64 s[0:1], vcc
	s_cbranch_execz .LBB618_17
; %bb.39:
	v_cvt_f32_u32_e32 v11, s24
	v_add_f32_e32 v0, v0, v10
	s_mov_b32 s31, 0x20000
	v_div_scale_f32 v10, s[0:1], v11, v11, v0
	v_rcp_f32_e32 v12, v10
	v_div_scale_f32 v13, vcc, v0, v11, v0
	s_mov_b32 s0, 0x800000
	v_fma_f32 v14, -v10, v12, 1.0
	v_fmac_f32_e32 v12, v14, v12
	v_mul_f32_e32 v14, v13, v12
	v_fma_f32 v15, -v10, v14, v13
	v_fmac_f32_e32 v14, v15, v12
	v_fma_f32 v10, -v10, v14, v13
	v_div_fmas_f32 v10, v10, v12, v14
	v_div_fixup_f32 v0, v10, v11, v0
	v_add_f32_e32 v0, s21, v0
	v_mul_f32_e32 v10, 0x4b800000, v0
	v_cmp_gt_f32_e32 vcc, s0, v0
	v_cndmask_b32_e32 v0, v0, v10, vcc
	v_rsq_f32_e32 v0, v0
	s_mul_hi_i32 s1, s16, s6
	s_mul_i32 s0, s16, s6
	s_lshl_b64 s[0:1], s[0:1], 1
	v_mul_f32_e32 v10, 0x45800000, v0
	v_cndmask_b32_e32 v10, v0, v10, vcc
	v_mov_b32_e32 v11, v10
	;;#ASMSTART
	v_pk_mul_f32 v[12:13], v[18:19], v[10:11]
	;;#ASMEND
	;;#ASMSTART
	v_pk_mul_f32 v[14:15], v[32:33], v[10:11]
	;;#ASMEND
	;; [unrolled: 3-line block ×4, first 2 shown]
	s_waitcnt vmcnt(1)
	v_cvt_f32_u32_sdwa v29, v6 dst_sel:DWORD dst_unused:UNUSED_PAD src0_sel:WORD_1
	v_cvt_f32_u32_sdwa v28, v6 dst_sel:DWORD dst_unused:UNUSED_PAD src0_sel:WORD_0
	v_cvt_f32_u32_sdwa v31, v7 dst_sel:DWORD dst_unused:UNUSED_PAD src0_sel:WORD_1
	v_cvt_f32_u32_sdwa v30, v7 dst_sel:DWORD dst_unused:UNUSED_PAD src0_sel:WORD_0
	;;#ASMSTART
	v_pk_mul_f32 v[26:27], v[26:27], v[10:11]
	;;#ASMEND
	;;#ASMSTART
	v_pk_mul_f32 v[24:25], v[24:25], v[10:11]
	;;#ASMEND
	;; [unrolled: 3-line block ×4, first 2 shown]
	v_cvt_f32_u32_sdwa v21, v8 dst_sel:DWORD dst_unused:UNUSED_PAD src0_sel:WORD_1
	v_cvt_f32_u32_sdwa v20, v8 dst_sel:DWORD dst_unused:UNUSED_PAD src0_sel:WORD_0
	v_pk_add_f32 v[10:11], v[28:29], 1.0 op_sel_hi:[1,0]
	;;#ASMSTART
	v_pk_mul_f32 v[10:11], v[12:13], v[10:11]
	;;#ASMEND
	v_pk_add_f32 v[12:13], v[30:31], 1.0 op_sel_hi:[1,0]
	v_cvt_f32_u32_sdwa v29, v9 dst_sel:DWORD dst_unused:UNUSED_PAD src0_sel:WORD_1
	v_cvt_f32_u32_sdwa v28, v9 dst_sel:DWORD dst_unused:UNUSED_PAD src0_sel:WORD_0
	;;#ASMSTART
	v_pk_mul_f32 v[8:9], v[14:15], v[12:13]
	;;#ASMEND
	v_pk_add_f32 v[12:13], v[20:21], 1.0 op_sel_hi:[1,0]
	;;#ASMSTART
	v_pk_mul_f32 v[12:13], v[16:17], v[12:13]
	;;#ASMEND
	s_waitcnt vmcnt(0)
	v_cvt_f32_u32_sdwa v17, v2 dst_sel:DWORD dst_unused:UNUSED_PAD src0_sel:WORD_1
	v_cvt_f32_u32_sdwa v16, v2 dst_sel:DWORD dst_unused:UNUSED_PAD src0_sel:WORD_0
	v_cvt_f32_u32_sdwa v21, v3 dst_sel:DWORD dst_unused:UNUSED_PAD src0_sel:WORD_1
	v_cvt_f32_u32_sdwa v20, v3 dst_sel:DWORD dst_unused:UNUSED_PAD src0_sel:WORD_0
	v_pk_add_f32 v[14:15], v[28:29], 1.0 op_sel_hi:[1,0]
	;;#ASMSTART
	v_pk_mul_f32 v[14:15], v[18:19], v[14:15]
	;;#ASMEND
	v_pk_add_f32 v[2:3], v[16:17], 1.0 op_sel_hi:[1,0]
	v_cvt_f32_u32_sdwa v19, v4 dst_sel:DWORD dst_unused:UNUSED_PAD src0_sel:WORD_1
	v_cvt_f32_u32_sdwa v18, v4 dst_sel:DWORD dst_unused:UNUSED_PAD src0_sel:WORD_0
	;;#ASMSTART
	v_pk_mul_f32 v[16:17], v[26:27], v[2:3]
	;;#ASMEND
	v_pk_add_f32 v[2:3], v[20:21], 1.0 op_sel_hi:[1,0]
	v_cvt_f32_u32_sdwa v21, v5 dst_sel:DWORD dst_unused:UNUSED_PAD src0_sel:WORD_1
	v_cvt_f32_u32_sdwa v20, v5 dst_sel:DWORD dst_unused:UNUSED_PAD src0_sel:WORD_0
	s_add_u32 s28, s18, s0
	;;#ASMSTART
	v_pk_mul_f32 v[24:25], v[24:25], v[2:3]
	;;#ASMEND
	v_pk_add_f32 v[2:3], v[18:19], 1.0 op_sel_hi:[1,0]
	s_addc_u32 s0, s19, s1
	;;#ASMSTART
	v_pk_mul_f32 v[18:19], v[22:23], v[2:3]
	;;#ASMEND
	v_pk_add_f32 v[2:3], v[20:21], 1.0 op_sel_hi:[1,0]
	s_and_b32 s29, s0, 0xffff
	s_mov_b32 s0, 0x7060302
	;;#ASMSTART
	v_pk_mul_f32 v[6:7], v[6:7], v[2:3]
	;;#ASMEND
	v_perm_b32 v2, v11, v10, s0
	v_perm_b32 v3, v9, v8, s0
	;; [unrolled: 1-line block ×4, first 2 shown]
	buffer_store_dwordx4 v[2:5], v1, s[28:31], 0 offen
	;;#ASMSTART
	s_nop 0
	;;#ASMEND
	s_nop 0
	v_perm_b32 v2, v17, v16, s0
	v_perm_b32 v3, v25, v24, s0
	;; [unrolled: 1-line block ×4, first 2 shown]
	buffer_store_dwordx4 v[2:5], v1, s[28:31], 16 offen
	;;#ASMSTART
	s_nop 0
	;;#ASMEND
	s_endpgm
	.section	.rodata,"a",@progbits
	.p2align	6, 0x0
	.amdhsa_kernel _ZN5aiter35fused_qk_rmsnorm_group_quant_kernelItDB8_Li128ELi16ELi8ELb1ELb1ELb1ELb0ELb0ELb0EEEvPT0_PvPT_S6_S6_PKS5_S8_S8_S8_S8_ffiiiiiiiiiiiii
		.amdhsa_group_segment_fixed_size 16
		.amdhsa_private_segment_fixed_size 0
		.amdhsa_kernarg_size 400
		.amdhsa_user_sgpr_count 6
		.amdhsa_user_sgpr_private_segment_buffer 1
		.amdhsa_user_sgpr_dispatch_ptr 0
		.amdhsa_user_sgpr_queue_ptr 0
		.amdhsa_user_sgpr_kernarg_segment_ptr 1
		.amdhsa_user_sgpr_dispatch_id 0
		.amdhsa_user_sgpr_flat_scratch_init 0
		.amdhsa_user_sgpr_kernarg_preload_length 0
		.amdhsa_user_sgpr_kernarg_preload_offset 0
		.amdhsa_user_sgpr_private_segment_size 0
		.amdhsa_uses_dynamic_stack 0
		.amdhsa_system_sgpr_private_segment_wavefront_offset 0
		.amdhsa_system_sgpr_workgroup_id_x 1
		.amdhsa_system_sgpr_workgroup_id_y 1
		.amdhsa_system_sgpr_workgroup_id_z 0
		.amdhsa_system_sgpr_workgroup_info 0
		.amdhsa_system_vgpr_workitem_id 0
		.amdhsa_next_free_vgpr 88
		.amdhsa_next_free_sgpr 44
		.amdhsa_accum_offset 88
		.amdhsa_reserve_vcc 1
		.amdhsa_reserve_flat_scratch 0
		.amdhsa_float_round_mode_32 0
		.amdhsa_float_round_mode_16_64 0
		.amdhsa_float_denorm_mode_32 3
		.amdhsa_float_denorm_mode_16_64 3
		.amdhsa_dx10_clamp 1
		.amdhsa_ieee_mode 1
		.amdhsa_fp16_overflow 0
		.amdhsa_tg_split 0
		.amdhsa_exception_fp_ieee_invalid_op 0
		.amdhsa_exception_fp_denorm_src 0
		.amdhsa_exception_fp_ieee_div_zero 0
		.amdhsa_exception_fp_ieee_overflow 0
		.amdhsa_exception_fp_ieee_underflow 0
		.amdhsa_exception_fp_ieee_inexact 0
		.amdhsa_exception_int_div_zero 0
	.end_amdhsa_kernel
	.section	.text._ZN5aiter35fused_qk_rmsnorm_group_quant_kernelItDB8_Li128ELi16ELi8ELb1ELb1ELb1ELb0ELb0ELb0EEEvPT0_PvPT_S6_S6_PKS5_S8_S8_S8_S8_ffiiiiiiiiiiiii,"axG",@progbits,_ZN5aiter35fused_qk_rmsnorm_group_quant_kernelItDB8_Li128ELi16ELi8ELb1ELb1ELb1ELb0ELb0ELb0EEEvPT0_PvPT_S6_S6_PKS5_S8_S8_S8_S8_ffiiiiiiiiiiiii,comdat
.Lfunc_end618:
	.size	_ZN5aiter35fused_qk_rmsnorm_group_quant_kernelItDB8_Li128ELi16ELi8ELb1ELb1ELb1ELb0ELb0ELb0EEEvPT0_PvPT_S6_S6_PKS5_S8_S8_S8_S8_ffiiiiiiiiiiiii, .Lfunc_end618-_ZN5aiter35fused_qk_rmsnorm_group_quant_kernelItDB8_Li128ELi16ELi8ELb1ELb1ELb1ELb0ELb0ELb0EEEvPT0_PvPT_S6_S6_PKS5_S8_S8_S8_S8_ffiiiiiiiiiiiii
                                        ; -- End function
	.section	.AMDGPU.csdata,"",@progbits
; Kernel info:
; codeLenInByte = 4352
; NumSgprs: 48
; NumVgprs: 88
; NumAgprs: 0
; TotalNumVgprs: 88
; ScratchSize: 0
; MemoryBound: 0
; FloatMode: 240
; IeeeMode: 1
; LDSByteSize: 16 bytes/workgroup (compile time only)
; SGPRBlocks: 5
; VGPRBlocks: 10
; NumSGPRsForWavesPerEU: 48
; NumVGPRsForWavesPerEU: 88
; AccumOffset: 88
; Occupancy: 5
; WaveLimiterHint : 0
; COMPUTE_PGM_RSRC2:SCRATCH_EN: 0
; COMPUTE_PGM_RSRC2:USER_SGPR: 6
; COMPUTE_PGM_RSRC2:TRAP_HANDLER: 0
; COMPUTE_PGM_RSRC2:TGID_X_EN: 1
; COMPUTE_PGM_RSRC2:TGID_Y_EN: 1
; COMPUTE_PGM_RSRC2:TGID_Z_EN: 0
; COMPUTE_PGM_RSRC2:TIDIG_COMP_CNT: 0
; COMPUTE_PGM_RSRC3_GFX90A:ACCUM_OFFSET: 21
; COMPUTE_PGM_RSRC3_GFX90A:TG_SPLIT: 0
	.section	.text._ZN5aiter35fused_qk_rmsnorm_group_quant_kernelIDF16_N4opus5fp4_tELi128ELi16ELi8ELb1ELb1ELb1ELb0ELb0ELb0EEEvPT0_PvPT_S7_S7_PKS6_S9_S9_S9_S9_ffiiiiiiiiiiiii,"axG",@progbits,_ZN5aiter35fused_qk_rmsnorm_group_quant_kernelIDF16_N4opus5fp4_tELi128ELi16ELi8ELb1ELb1ELb1ELb0ELb0ELb0EEEvPT0_PvPT_S7_S7_PKS6_S9_S9_S9_S9_ffiiiiiiiiiiiii,comdat
	.protected	_ZN5aiter35fused_qk_rmsnorm_group_quant_kernelIDF16_N4opus5fp4_tELi128ELi16ELi8ELb1ELb1ELb1ELb0ELb0ELb0EEEvPT0_PvPT_S7_S7_PKS6_S9_S9_S9_S9_ffiiiiiiiiiiiii ; -- Begin function _ZN5aiter35fused_qk_rmsnorm_group_quant_kernelIDF16_N4opus5fp4_tELi128ELi16ELi8ELb1ELb1ELb1ELb0ELb0ELb0EEEvPT0_PvPT_S7_S7_PKS6_S9_S9_S9_S9_ffiiiiiiiiiiiii
	.globl	_ZN5aiter35fused_qk_rmsnorm_group_quant_kernelIDF16_N4opus5fp4_tELi128ELi16ELi8ELb1ELb1ELb1ELb0ELb0ELb0EEEvPT0_PvPT_S7_S7_PKS6_S9_S9_S9_S9_ffiiiiiiiiiiiii
	.p2align	8
	.type	_ZN5aiter35fused_qk_rmsnorm_group_quant_kernelIDF16_N4opus5fp4_tELi128ELi16ELi8ELb1ELb1ELb1ELb0ELb0ELb0EEEvPT0_PvPT_S7_S7_PKS6_S9_S9_S9_S9_ffiiiiiiiiiiiii,@function
_ZN5aiter35fused_qk_rmsnorm_group_quant_kernelIDF16_N4opus5fp4_tELi128ELi16ELi8ELb1ELb1ELb1ELb0ELb0ELb0EEEvPT0_PvPT_S7_S7_PKS6_S9_S9_S9_S9_ffiiiiiiiiiiiii: ; @_ZN5aiter35fused_qk_rmsnorm_group_quant_kernelIDF16_N4opus5fp4_tELi128ELi16ELi8ELb1ELb1ELb1ELb0ELb0ELb0EEEvPT0_PvPT_S7_S7_PKS6_S9_S9_S9_S9_ffiiiiiiiiiiiii
; %bb.0:
	s_load_dwordx8 s[20:27], s[4:5], 0x50
	s_waitcnt lgkmcnt(0)
	s_cmp_ge_i32 s6, s22
	s_cbranch_scc1 .LBB619_17
; %bb.1:
	s_cmp_lg_u32 s7, 0
	s_cselect_b64 s[30:31], -1, 0
	s_cmp_eq_u32 s7, 0
	s_cselect_b64 s[8:9], -1, 0
	s_and_b64 s[0:1], s[8:9], exec
	s_load_dwordx2 s[28:29], s[4:5], 0x48
	s_load_dwordx2 s[10:11], s[4:5], 0x30
	s_load_dwordx8 s[12:19], s[4:5], 0x70
	s_cselect_b32 s7, s23, s24
	s_add_i32 s0, s7, 1
	s_lshr_b32 s1, s0, 31
	s_add_i32 s0, s0, s1
	s_lshl_b32 s0, s0, 1
	v_lshlrev_b32_e32 v1, 4, v0
	s_and_b32 s38, s0, -4
	v_cmp_gt_i32_e64 s[0:1], s7, v1
	v_mov_b32_e32 v6, 0
	v_mov_b32_e32 v7, 0
	;; [unrolled: 1-line block ×16, first 2 shown]
	s_and_saveexec_b64 s[2:3], s[0:1]
	s_cbranch_execz .LBB619_3
; %bb.2:
	s_waitcnt lgkmcnt(0)
	s_load_dwordx2 s[18:19], s[4:5], 0x28
	s_load_dwordx2 s[34:35], s[4:5], 0x40
	s_and_b64 s[36:37], s[8:9], exec
	s_cselect_b32 s22, s25, s26
	s_mov_b32 s39, 0x20000
	s_waitcnt lgkmcnt(0)
	s_cselect_b32 s25, s19, s11
	s_cselect_b32 s33, s18, s10
	s_mul_hi_i32 s19, s22, s6
	s_mul_i32 s18, s22, s6
	s_lshl_b64 s[18:19], s[18:19], 1
	s_add_u32 s40, s33, s18
	s_addc_u32 s22, s25, s19
	s_and_b64 s[18:19], s[8:9], exec
	s_cselect_b32 s36, s34, s28
	s_cselect_b32 s18, s35, s29
	s_and_b32 s41, s22, 0xffff
	s_mov_b32 s42, s38
	s_mov_b32 s43, s39
	v_lshlrev_b32_e32 v18, 5, v0
	s_and_b32 s37, s18, 0xffff
	buffer_load_dwordx4 v[10:13], v18, s[40:43], 0 offen
	buffer_load_dwordx4 v[14:17], v18, s[40:43], 16 offen
	;; [unrolled: 1-line block ×4, first 2 shown]
.LBB619_3:
	s_or_b64 exec, exec, s[2:3]
	s_and_b64 vcc, exec, s[30:31]
	s_cbranch_vccz .LBB619_7
; %bb.4:
	v_mov_b32_e32 v19, 0
	v_mov_b32_e32 v18, 0
	;; [unrolled: 1-line block ×16, first 2 shown]
	s_and_saveexec_b64 s[2:3], s[0:1]
	s_cbranch_execz .LBB619_6
; %bb.5:
	s_waitcnt vmcnt(3)
	v_cvt_f32_f16_sdwa v29, v10 dst_sel:DWORD dst_unused:UNUSED_PAD src0_sel:WORD_1
	v_cvt_f32_f16_e32 v28, v10
	v_cvt_f32_f16_sdwa v33, v11 dst_sel:DWORD dst_unused:UNUSED_PAD src0_sel:WORD_1
	v_cvt_f32_f16_e32 v32, v11
	;; [unrolled: 2-line block ×4, first 2 shown]
	s_waitcnt vmcnt(2)
	v_cvt_f32_f16_sdwa v23, v14 dst_sel:DWORD dst_unused:UNUSED_PAD src0_sel:WORD_1
	v_cvt_f32_f16_e32 v22, v14
	v_cvt_f32_f16_sdwa v25, v15 dst_sel:DWORD dst_unused:UNUSED_PAD src0_sel:WORD_1
	v_cvt_f32_f16_e32 v24, v15
	;; [unrolled: 2-line block ×4, first 2 shown]
.LBB619_6:
	s_or_b64 exec, exec, s[2:3]
	s_cbranch_execz .LBB619_8
	s_branch .LBB619_11
.LBB619_7:
                                        ; implicit-def: $vgpr19
                                        ; implicit-def: $vgpr21
                                        ; implicit-def: $vgpr25
                                        ; implicit-def: $vgpr23
                                        ; implicit-def: $vgpr31
                                        ; implicit-def: $vgpr27
                                        ; implicit-def: $vgpr33
                                        ; implicit-def: $vgpr29
.LBB619_8:
	v_mov_b32_e32 v19, 0
	v_mov_b32_e32 v18, 0
	;; [unrolled: 1-line block ×16, first 2 shown]
	s_and_saveexec_b64 s[2:3], s[0:1]
	s_cbranch_execz .LBB619_10
; %bb.9:
	s_waitcnt lgkmcnt(0)
	s_load_dwordx2 s[18:19], s[4:5], 0x38
	s_mul_hi_i32 s35, s27, s6
	s_mul_i32 s34, s27, s6
	s_lshl_b64 s[34:35], s[34:35], 1
	s_mov_b32 s39, 0x20000
	s_waitcnt lgkmcnt(0)
	s_add_u32 s36, s18, s34
	s_addc_u32 s18, s19, s35
	s_and_b32 s37, s18, 0xffff
	v_lshlrev_b32_e32 v48, 5, v0
	buffer_load_dwordx4 v[18:21], v48, s[36:39], 16 offen
	buffer_load_dwordx4 v[22:25], v48, s[36:39], 0 offen
	s_waitcnt vmcnt(4)
	v_cvt_f32_f16_sdwa v27, v14 dst_sel:DWORD dst_unused:UNUSED_PAD src0_sel:WORD_1
	v_cvt_f32_f16_e32 v26, v14
	v_cvt_f32_f16_sdwa v29, v15 dst_sel:DWORD dst_unused:UNUSED_PAD src0_sel:WORD_1
	v_cvt_f32_f16_e32 v28, v15
	;; [unrolled: 2-line block ×8, first 2 shown]
	s_load_dwordx2 s[18:19], s[4:5], 0x20
	s_mul_hi_i32 s35, s17, s6
	s_mul_i32 s34, s17, s6
	s_lshl_b64 s[34:35], s[34:35], 1
	s_waitcnt lgkmcnt(0)
	s_add_u32 s36, s18, s34
	s_addc_u32 s17, s19, s35
	s_and_b32 s37, s17, 0xffff
	s_waitcnt vmcnt(1)
	v_cvt_f32_f16_e32 v12, v18
	v_cvt_f32_f16_sdwa v13, v18 dst_sel:DWORD dst_unused:UNUSED_PAD src0_sel:WORD_1
	v_cvt_f32_f16_e32 v18, v19
	v_cvt_f32_f16_sdwa v19, v19 dst_sel:DWORD dst_unused:UNUSED_PAD src0_sel:WORD_1
	;; [unrolled: 2-line block ×4, first 2 shown]
	s_waitcnt vmcnt(0)
	v_cvt_f32_f16_e32 v40, v22
	v_cvt_f32_f16_sdwa v41, v22 dst_sel:DWORD dst_unused:UNUSED_PAD src0_sel:WORD_1
	v_cvt_f32_f16_e32 v42, v23
	v_cvt_f32_f16_sdwa v43, v23 dst_sel:DWORD dst_unused:UNUSED_PAD src0_sel:WORD_1
	;; [unrolled: 2-line block ×4, first 2 shown]
	v_pk_add_f32 v[22:23], v[26:27], v[12:13]
	v_pk_add_f32 v[24:25], v[28:29], v[18:19]
	;; [unrolled: 1-line block ×8, first 2 shown]
	v_cvt_f16_f32_e32 v10, v29
	v_cvt_f16_f32_e32 v14, v28
	;; [unrolled: 1-line block ×16, first 2 shown]
	v_pack_b32_f16 v13, v17, v13
	v_pack_b32_f16 v12, v16, v12
	;; [unrolled: 1-line block ×8, first 2 shown]
	buffer_store_dwordx4 v[10:13], v48, s[36:39], 0 offen
	;;#ASMSTART
	s_nop 0
	;;#ASMEND
	buffer_store_dwordx4 v[14:17], v48, s[36:39], 16 offen
	;;#ASMSTART
	s_nop 0
	;;#ASMEND
.LBB619_10:
	s_or_b64 exec, exec, s[2:3]
.LBB619_11:
	s_waitcnt vmcnt(3)
	v_mul_f32_e32 v10, v29, v29
	v_fmac_f32_e32 v10, v28, v28
	v_fmac_f32_e32 v10, v32, v32
	;; [unrolled: 1-line block ×15, first 2 shown]
	v_and_b32_e32 v12, 63, v0
	v_cmp_eq_u32_e64 s[2:3], 63, v12
	v_mov_b32_dpp v11, v10 quad_perm:[1,0,3,2] row_mask:0xf bank_mask:0xf
	v_add_f32_e32 v10, v10, v11
	s_nop 1
	v_mov_b32_dpp v11, v10 quad_perm:[2,3,0,1] row_mask:0xf bank_mask:0xf
	v_add_f32_e32 v10, v10, v11
	s_nop 1
	v_mov_b32_dpp v11, v10 row_half_mirror row_mask:0xf bank_mask:0xf
	v_add_f32_e32 v10, v10, v11
	s_nop 1
	v_mov_b32_dpp v11, v10 row_mirror row_mask:0xf bank_mask:0xf
	v_add_f32_e32 v10, v10, v11
	s_nop 1
	v_mov_b32_dpp v11, v10 row_bcast:15 row_mask:0xf bank_mask:0xf
	v_add_f32_e32 v10, v10, v11
	s_nop 1
	v_mov_b32_dpp v11, v10 row_bcast:31 row_mask:0xf bank_mask:0xf
	s_waitcnt lgkmcnt(0)
	s_and_saveexec_b64 s[18:19], s[2:3]
	s_cbranch_execz .LBB619_13
; %bb.12:
	v_add_f32_e32 v10, v10, v11
	v_lshrrev_b32_e32 v11, 4, v0
	v_and_b32_e32 v11, 60, v11
	ds_write_b32 v11, v10 offset:8
.LBB619_13:
	s_or_b64 exec, exec, s[18:19]
	v_and_b32_e32 v10, 1, v0
	v_lshlrev_b32_e32 v34, 2, v10
	s_waitcnt lgkmcnt(0)
	s_barrier
	ds_read_b32 v10, v34 offset:8
	s_load_dwordx2 s[18:19], s[4:5], 0x18
	s_waitcnt lgkmcnt(0)
	v_mov_b32_dpp v11, v10 quad_perm:[1,0,3,2] row_mask:0xf bank_mask:0xf
	s_and_saveexec_b64 s[34:35], s[0:1]
	s_cbranch_execnz .LBB619_18
; %bb.14:
	s_or_b64 exec, exec, s[34:35]
	s_mov_b64 s[8:9], -1
	s_and_b64 vcc, exec, s[30:31]
	s_cbranch_vccnz .LBB619_19
.LBB619_15:
	s_andn2_b64 vcc, exec, s[8:9]
	s_cbranch_vccz .LBB619_22
.LBB619_16:
	s_cmp_lt_i32 s24, 1
	s_cbranch_scc0 .LBB619_31
.LBB619_17:
	s_endpgm
.LBB619_18:
	v_cvt_f32_u32_e32 v12, s7
	v_add_f32_e32 v10, v10, v11
	s_waitcnt vmcnt(2)
	v_mov_b32_e32 v14, s21
	v_mov_b32_e32 v15, s20
	v_div_scale_f32 v11, s[36:37], v12, v12, v10
	v_rcp_f32_e32 v13, v11
	v_cndmask_b32_e64 v14, v14, v15, s[8:9]
	s_mov_b32 s7, 0x800000
	v_fma_f32 v15, -v11, v13, 1.0
	v_fmac_f32_e32 v13, v15, v13
	v_div_scale_f32 v15, vcc, v10, v12, v10
	v_mul_f32_e32 v16, v15, v13
	v_fma_f32 v17, -v11, v16, v15
	v_fmac_f32_e32 v16, v17, v13
	v_fma_f32 v11, -v11, v16, v15
	v_div_fmas_f32 v11, v11, v13, v16
	v_div_fixup_f32 v10, v11, v12, v10
	v_add_f32_e32 v10, v14, v10
	v_mul_f32_e32 v11, 0x4b800000, v10
	v_cmp_gt_f32_e32 vcc, s7, v10
	v_cndmask_b32_e32 v10, v10, v11, vcc
	v_rsq_f32_e32 v10, v10
	v_mul_f32_e32 v11, 0x45800000, v10
	v_cndmask_b32_e32 v10, v10, v11, vcc
	v_mov_b32_e32 v11, v10
	;;#ASMSTART
	v_pk_mul_f32 v[12:13], v[28:29], v[10:11]
	;;#ASMEND
	;;#ASMSTART
	v_pk_mul_f32 v[14:15], v[32:33], v[10:11]
	;;#ASMEND
	;; [unrolled: 3-line block ×3, first 2 shown]
	s_waitcnt vmcnt(1)
	v_cvt_f32_f16_sdwa v27, v6 dst_sel:DWORD dst_unused:UNUSED_PAD src0_sel:WORD_1
	v_cvt_f32_f16_e32 v26, v6
	v_cvt_f32_f16_sdwa v33, v7 dst_sel:DWORD dst_unused:UNUSED_PAD src0_sel:WORD_1
	v_cvt_f32_f16_e32 v32, v7
	;;#ASMSTART
	v_pk_mul_f32 v[30:31], v[30:31], v[10:11]
	;;#ASMEND
	;;#ASMSTART
	v_pk_mul_f32 v[22:23], v[22:23], v[10:11]
	;;#ASMEND
	;; [unrolled: 3-line block ×5, first 2 shown]
	v_pk_add_f32 v[10:11], v[26:27], 1.0 op_sel_hi:[1,0]
	;;#ASMSTART
	v_pk_mul_f32 v[28:29], v[12:13], v[10:11]
	;;#ASMEND
	v_cvt_f32_f16_sdwa v13, v8 dst_sel:DWORD dst_unused:UNUSED_PAD src0_sel:WORD_1
	v_cvt_f32_f16_e32 v12, v8
	v_cvt_f32_f16_sdwa v19, v9 dst_sel:DWORD dst_unused:UNUSED_PAD src0_sel:WORD_1
	v_cvt_f32_f16_e32 v18, v9
	v_pk_add_f32 v[10:11], v[32:33], 1.0 op_sel_hi:[1,0]
	;;#ASMSTART
	v_pk_mul_f32 v[32:33], v[14:15], v[10:11]
	;;#ASMEND
	s_waitcnt vmcnt(0)
	v_cvt_f32_f16_sdwa v11, v2 dst_sel:DWORD dst_unused:UNUSED_PAD src0_sel:WORD_1
	v_cvt_f32_f16_e32 v10, v2
	v_pk_add_f32 v[8:9], v[12:13], 1.0 op_sel_hi:[1,0]
	;;#ASMSTART
	v_pk_mul_f32 v[26:27], v[16:17], v[8:9]
	;;#ASMEND
	v_pk_add_f32 v[8:9], v[18:19], 1.0 op_sel_hi:[1,0]
	v_cvt_f32_f16_sdwa v13, v3 dst_sel:DWORD dst_unused:UNUSED_PAD src0_sel:WORD_1
	v_cvt_f32_f16_e32 v12, v3
	;;#ASMSTART
	v_pk_mul_f32 v[30:31], v[30:31], v[8:9]
	;;#ASMEND
	v_cvt_f32_f16_sdwa v9, v4 dst_sel:DWORD dst_unused:UNUSED_PAD src0_sel:WORD_1
	v_cvt_f32_f16_e32 v8, v4
	v_pk_add_f32 v[2:3], v[10:11], 1.0 op_sel_hi:[1,0]
	v_cvt_f32_f16_sdwa v11, v5 dst_sel:DWORD dst_unused:UNUSED_PAD src0_sel:WORD_1
	v_cvt_f32_f16_e32 v10, v5
	;;#ASMSTART
	v_pk_mul_f32 v[22:23], v[22:23], v[2:3]
	;;#ASMEND
	v_pk_add_f32 v[2:3], v[12:13], 1.0 op_sel_hi:[1,0]
	;;#ASMSTART
	v_pk_mul_f32 v[24:25], v[24:25], v[2:3]
	;;#ASMEND
	v_pk_add_f32 v[2:3], v[8:9], 1.0 op_sel_hi:[1,0]
	;; [unrolled: 4-line block ×3, first 2 shown]
	;;#ASMSTART
	v_pk_mul_f32 v[18:19], v[6:7], v[2:3]
	;;#ASMEND
	s_or_b64 exec, exec, s[34:35]
	s_mov_b64 s[8:9], -1
	s_and_b64 vcc, exec, s[30:31]
	s_cbranch_vccz .LBB619_15
.LBB619_19:
	s_and_saveexec_b64 s[8:9], s[0:1]
	s_cbranch_execz .LBB619_21
; %bb.20:
	s_mul_hi_i32 s31, s16, s6
	s_mul_i32 s30, s16, s6
	s_waitcnt vmcnt(0)
	v_cvt_f16_f32_e32 v2, v28
	v_cvt_f16_f32_e32 v3, v32
	;; [unrolled: 1-line block ×8, first 2 shown]
	s_lshl_b64 s[30:31], s[30:31], 1
	s_add_u32 s36, s18, s30
	s_addc_u32 s7, s19, s31
	s_and_b32 s37, s7, 0xffff
	s_mov_b32 s39, 0x20000
	v_pack_b32_f16 v5, v5, v6
	v_pack_b32_f16 v4, v4, v7
	;; [unrolled: 1-line block ×4, first 2 shown]
	v_lshlrev_b32_e32 v6, 5, v0
	buffer_store_dwordx4 v[2:5], v6, s[36:39], 0 offen
	v_cvt_f16_f32_e32 v7, v19
	v_cvt_f16_f32_e32 v2, v22
	;; [unrolled: 1-line block ×8, first 2 shown]
	v_pack_b32_f16 v5, v5, v7
	v_pack_b32_f16 v4, v4, v8
	;; [unrolled: 1-line block ×4, first 2 shown]
	;;#ASMSTART
	s_nop 0
	;;#ASMEND
	buffer_store_dwordx4 v[2:5], v6, s[36:39], 16 offen
	;;#ASMSTART
	s_nop 0
	;;#ASMEND
.LBB619_21:
	s_or_b64 exec, exec, s[8:9]
	s_cbranch_execnz .LBB619_16
.LBB619_22:
	s_waitcnt vmcnt(0)
	v_mov_b32_e32 v2, 0
	s_and_saveexec_b64 s[8:9], s[0:1]
	s_cbranch_execz .LBB619_24
; %bb.23:
	s_load_dwordx2 s[30:31], s[4:5], 0x10
	s_mul_hi_i32 s35, s15, s6
	s_mul_i32 s34, s15, s6
	v_cvt_f16_f32_e32 v2, v28
	v_cvt_f16_f32_e32 v3, v32
	v_cvt_f16_f32_e32 v4, v26
	v_cvt_f16_f32_e32 v5, v30
	v_cvt_f16_f32_e32 v6, v31
	v_cvt_f16_f32_e32 v7, v27
	v_cvt_f16_f32_e32 v8, v33
	v_cvt_f16_f32_e32 v9, v29
	s_lshl_b64 s[34:35], s[34:35], 1
	s_waitcnt lgkmcnt(0)
	s_add_u32 s36, s30, s34
	s_addc_u32 s7, s31, s35
	s_mov_b32 s39, 0x20000
	s_and_b32 s37, s7, 0xffff
	v_pack_b32_f16 v5, v5, v6
	v_pack_b32_f16 v4, v4, v7
	;; [unrolled: 1-line block ×4, first 2 shown]
	v_lshlrev_b32_e32 v6, 5, v0
	buffer_store_dwordx4 v[2:5], v6, s[36:39], 0 offen
	v_cvt_f16_f32_e32 v7, v19
	v_cvt_f16_f32_e32 v2, v22
	;; [unrolled: 1-line block ×8, first 2 shown]
	v_pack_b32_f16 v5, v5, v7
	v_pack_b32_f16 v4, v4, v8
	v_pack_b32_f16 v3, v3, v9
	v_pack_b32_f16 v2, v2, v10
	;;#ASMSTART
	s_nop 0
	;;#ASMEND
	buffer_store_dwordx4 v[2:5], v6, s[36:39], 16 offen
	;;#ASMSTART
	s_nop 0
	;;#ASMEND
	s_nop 0
	v_mov_b32_e32 v2, 0x2edbe6ff
.LBB619_24:
	s_or_b64 exec, exec, s[8:9]
	s_and_saveexec_b64 s[8:9], s[0:1]
	s_cbranch_execz .LBB619_26
; %bb.25:
	v_and_b32_e32 v3, 0x7fffffff, v28
	v_and_b32_e32 v4, 0x7fffffff, v29
	;;#ASMSTART
	v_max3_f32 v2, v2, v3, v4

	;;#ASMEND
	v_and_b32_e32 v3, 0x7fffffff, v32
	v_and_b32_e32 v4, 0x7fffffff, v33
	;;#ASMSTART
	v_max3_f32 v2, v2, v3, v4

	;;#ASMEND
	;; [unrolled: 6-line block ×8, first 2 shown]
.LBB619_26:
	s_or_b64 exec, exec, s[8:9]
	;;#ASMSTART
	v_max_f32 v3, v2, v2 quad_perm:[1,0,3,2] row_mask:0xf bank_mask:0xf bound_ctrl:1
	;;#ASMEND
	;;#ASMSTART
	v_max_f32 v4, v3, v3 quad_perm:[2,3,0,1] row_mask:0xf bank_mask:0xf bound_ctrl:1
	;;#ASMEND
	v_and_b32_e32 v3, 7, v0
	v_cmp_eq_u32_e32 vcc, 0, v3
	v_cmp_gt_i32_e64 s[8:9], s23, v1
	s_and_b64 s[30:31], vcc, s[8:9]
	;;#ASMSTART
	v_max_f32 v2, v4, v4 row_half_mirror row_mask:0xf bank_mask:0xf bound_ctrl:1
	;;#ASMEND
	s_and_saveexec_b64 s[8:9], s[30:31]
	s_cbranch_execz .LBB619_28
; %bb.27:
	s_load_dwordx2 s[30:31], s[4:5], 0x8
	v_mul_f32_e32 v2, 0x3e2aaaab, v2
	v_lshrrev_b32_e32 v3, 23, v2
	v_and_b32_e32 v4, 0x7f800000, v2
	v_and_b32_e32 v2, 0x7fffff, v2
	v_cmp_ne_u32_e32 vcc, 0, v2
	s_mul_hi_i32 s15, s13, s6
	s_mul_i32 s13, s13, s6
	s_mov_b32 s7, 0x7f800000
	v_addc_co_u32_e32 v2, vcc, 0, v3, vcc
	s_waitcnt lgkmcnt(0)
	s_add_u32 s30, s30, s13
	v_cmp_ne_u32_e32 vcc, s7, v4
	s_addc_u32 s31, s31, s15
	v_lshrrev_b32_e32 v5, 3, v0
	v_cndmask_b32_e32 v4, -1, v2, vcc
	v_pk_mov_b32 v[2:3], s[30:31], s[30:31] op_sel:[0,1]
	v_mad_i64_i32 v[2:3], s[14:15], s14, v5, v[2:3]
	global_store_byte v[2:3], v4, off
.LBB619_28:
	s_or_b64 exec, exec, s[8:9]
	s_and_saveexec_b64 s[8:9], s[0:1]
	s_cbranch_execz .LBB619_30
; %bb.29:
	s_load_dwordx2 s[0:1], s[4:5], 0x0
	s_mul_hi_i32 s7, s12, s6
	s_mul_i32 s12, s12, s6
	v_mov_b32_e32 v2, 0
	v_lshlrev_b32_e32 v4, 3, v0
	s_waitcnt lgkmcnt(0)
	s_add_u32 s12, s0, s12
	s_addc_u32 s0, s1, s7
	s_lshr_b32 s1, s23, 31
	s_add_i32 s1, s23, s1
	s_ashr_i32 s1, s1, 1
	s_add_i32 s1, s1, 3
	s_ashr_i32 s7, s1, 31
	s_lshr_b32 s7, s7, 30
	s_add_i32 s1, s1, s7
	s_and_b32 s14, s1, -4
	s_and_b32 s13, s0, 0xffff
	s_mov_b32 s15, 0x20000
	v_mov_b32_e32 v3, v2
	buffer_store_dwordx2 v[2:3], v4, s[12:15], 0 offen
	;;#ASMSTART
	s_nop 0
	;;#ASMEND
.LBB619_30:
	s_or_b64 exec, exec, s[8:9]
	s_cmp_lt_i32 s24, 1
	s_cbranch_scc1 .LBB619_17
.LBB619_31:
	s_load_dword s0, s[4:5], 0x94
	s_waitcnt lgkmcnt(0)
	s_cmp_lg_u32 s0, 1
	s_cbranch_scc1 .LBB619_17
; %bb.32:
	s_lshl_b32 s0, s24, 1
	s_add_i32 s0, s0, 2
	v_cmp_gt_u32_e32 vcc, s24, v1
	s_and_b32 s30, s0, -4
	v_mov_b32_e32 v18, 0
	v_lshlrev_b32_e32 v1, 5, v0
	s_waitcnt vmcnt(2)
	v_mov_b32_e32 v14, 0
	v_mov_b32_e32 v15, 0
	;; [unrolled: 1-line block ×8, first 2 shown]
	s_waitcnt vmcnt(1)
	v_mov_b32_e32 v6, 0
	v_mov_b32_e32 v7, 0
	;; [unrolled: 1-line block ×4, first 2 shown]
	s_waitcnt vmcnt(0)
	v_mov_b32_e32 v2, 0
	v_mov_b32_e32 v3, 0
	v_mov_b32_e32 v4, 0
	v_mov_b32_e32 v5, 0
	s_barrier
	s_and_saveexec_b64 s[0:1], vcc
	s_cbranch_execz .LBB619_34
; %bb.33:
	s_mul_hi_i32 s5, s26, s6
	s_mul_i32 s4, s26, s6
	s_and_b32 s29, s29, 0xffff
	s_lshl_b64 s[4:5], s[4:5], 1
	s_add_u32 s8, s10, s4
	s_mov_b32 s31, 0x20000
	s_addc_u32 s4, s11, s5
	s_and_b32 s9, s4, 0xffff
	s_mov_b32 s10, s30
	s_mov_b32 s11, s31
	buffer_load_dwordx4 v[14:17], v1, s[8:11], 0 offen
	buffer_load_dwordx4 v[10:13], v1, s[8:11], 16 offen
	;; [unrolled: 1-line block ×4, first 2 shown]
.LBB619_34:
	s_or_b64 exec, exec, s[0:1]
	v_mov_b32_e32 v19, 0
	v_mov_b32_e32 v32, 0
	;; [unrolled: 1-line block ×15, first 2 shown]
	s_and_saveexec_b64 s[0:1], vcc
	s_cbranch_execz .LBB619_36
; %bb.35:
	s_waitcnt vmcnt(3)
	v_cvt_f32_f16_sdwa v19, v14 dst_sel:DWORD dst_unused:UNUSED_PAD src0_sel:WORD_1
	v_cvt_f32_f16_e32 v18, v14
	v_cvt_f32_f16_sdwa v33, v15 dst_sel:DWORD dst_unused:UNUSED_PAD src0_sel:WORD_1
	v_cvt_f32_f16_e32 v32, v15
	;; [unrolled: 2-line block ×4, first 2 shown]
	s_waitcnt vmcnt(2)
	v_cvt_f32_f16_sdwa v27, v10 dst_sel:DWORD dst_unused:UNUSED_PAD src0_sel:WORD_1
	v_cvt_f32_f16_e32 v26, v10
	v_cvt_f32_f16_sdwa v25, v11 dst_sel:DWORD dst_unused:UNUSED_PAD src0_sel:WORD_1
	v_cvt_f32_f16_e32 v24, v11
	;; [unrolled: 2-line block ×4, first 2 shown]
.LBB619_36:
	s_or_b64 exec, exec, s[0:1]
	s_waitcnt vmcnt(2)
	v_mul_f32_e32 v10, v19, v19
	v_fmac_f32_e32 v10, v18, v18
	v_fmac_f32_e32 v10, v32, v32
	;; [unrolled: 1-line block ×15, first 2 shown]
	s_nop 1
	v_mov_b32_dpp v11, v10 quad_perm:[1,0,3,2] row_mask:0xf bank_mask:0xf
	v_add_f32_e32 v10, v10, v11
	s_nop 1
	v_mov_b32_dpp v11, v10 quad_perm:[2,3,0,1] row_mask:0xf bank_mask:0xf
	v_add_f32_e32 v10, v10, v11
	s_nop 1
	v_mov_b32_dpp v11, v10 row_half_mirror row_mask:0xf bank_mask:0xf
	v_add_f32_e32 v10, v10, v11
	s_nop 1
	v_mov_b32_dpp v11, v10 row_mirror row_mask:0xf bank_mask:0xf
	v_add_f32_e32 v10, v10, v11
	s_nop 1
	v_mov_b32_dpp v11, v10 row_bcast:15 row_mask:0xf bank_mask:0xf
	v_add_f32_e32 v10, v10, v11
	s_nop 1
	v_mov_b32_dpp v11, v10 row_bcast:31 row_mask:0xf bank_mask:0xf
	s_and_saveexec_b64 s[0:1], s[2:3]
	s_cbranch_execz .LBB619_38
; %bb.37:
	v_lshrrev_b32_e32 v0, 4, v0
	v_add_f32_e32 v10, v10, v11
	v_and_b32_e32 v0, 60, v0
	ds_write_b32 v0, v10
.LBB619_38:
	s_or_b64 exec, exec, s[0:1]
	s_waitcnt lgkmcnt(0)
	s_barrier
	ds_read_b32 v0, v34
	s_waitcnt lgkmcnt(0)
	s_nop 0
	v_mov_b32_dpp v10, v0 quad_perm:[1,0,3,2] row_mask:0xf bank_mask:0xf
	s_and_saveexec_b64 s[0:1], vcc
	s_cbranch_execz .LBB619_17
; %bb.39:
	v_cvt_f32_u32_e32 v11, s24
	v_add_f32_e32 v0, v0, v10
	s_mov_b32 s31, 0x20000
	v_div_scale_f32 v10, s[0:1], v11, v11, v0
	v_rcp_f32_e32 v12, v10
	v_div_scale_f32 v13, vcc, v0, v11, v0
	s_mov_b32 s0, 0x800000
	v_fma_f32 v14, -v10, v12, 1.0
	v_fmac_f32_e32 v12, v14, v12
	v_mul_f32_e32 v14, v13, v12
	v_fma_f32 v15, -v10, v14, v13
	v_fmac_f32_e32 v14, v15, v12
	v_fma_f32 v10, -v10, v14, v13
	v_div_fmas_f32 v10, v10, v12, v14
	v_div_fixup_f32 v0, v10, v11, v0
	v_add_f32_e32 v0, s21, v0
	v_mul_f32_e32 v10, 0x4b800000, v0
	v_cmp_gt_f32_e32 vcc, s0, v0
	v_cndmask_b32_e32 v0, v0, v10, vcc
	v_rsq_f32_e32 v0, v0
	s_mul_hi_i32 s1, s16, s6
	s_mul_i32 s0, s16, s6
	s_lshl_b64 s[0:1], s[0:1], 1
	v_mul_f32_e32 v10, 0x45800000, v0
	v_cndmask_b32_e32 v10, v0, v10, vcc
	v_mov_b32_e32 v11, v10
	;;#ASMSTART
	v_pk_mul_f32 v[12:13], v[18:19], v[10:11]
	;;#ASMEND
	;;#ASMSTART
	v_pk_mul_f32 v[14:15], v[32:33], v[10:11]
	;;#ASMEND
	;;#ASMSTART
	v_pk_mul_f32 v[16:17], v[30:31], v[10:11]
	;;#ASMEND
	;;#ASMSTART
	v_pk_mul_f32 v[18:19], v[28:29], v[10:11]
	;;#ASMEND
	s_waitcnt vmcnt(1)
	v_cvt_f32_f16_sdwa v29, v6 dst_sel:DWORD dst_unused:UNUSED_PAD src0_sel:WORD_1
	v_cvt_f32_f16_e32 v28, v6
	v_cvt_f32_f16_sdwa v31, v7 dst_sel:DWORD dst_unused:UNUSED_PAD src0_sel:WORD_1
	v_cvt_f32_f16_e32 v30, v7
	;;#ASMSTART
	v_pk_mul_f32 v[26:27], v[26:27], v[10:11]
	;;#ASMEND
	;;#ASMSTART
	v_pk_mul_f32 v[24:25], v[24:25], v[10:11]
	;;#ASMEND
	;; [unrolled: 3-line block ×4, first 2 shown]
	v_cvt_f32_f16_sdwa v21, v8 dst_sel:DWORD dst_unused:UNUSED_PAD src0_sel:WORD_1
	v_cvt_f32_f16_e32 v20, v8
	v_pk_add_f32 v[10:11], v[28:29], 1.0 op_sel_hi:[1,0]
	;;#ASMSTART
	v_pk_mul_f32 v[10:11], v[12:13], v[10:11]
	;;#ASMEND
	v_pk_add_f32 v[12:13], v[30:31], 1.0 op_sel_hi:[1,0]
	v_cvt_f32_f16_sdwa v29, v9 dst_sel:DWORD dst_unused:UNUSED_PAD src0_sel:WORD_1
	v_cvt_f32_f16_e32 v28, v9
	;;#ASMSTART
	v_pk_mul_f32 v[8:9], v[14:15], v[12:13]
	;;#ASMEND
	v_pk_add_f32 v[12:13], v[20:21], 1.0 op_sel_hi:[1,0]
	;;#ASMSTART
	v_pk_mul_f32 v[12:13], v[16:17], v[12:13]
	;;#ASMEND
	s_waitcnt vmcnt(0)
	v_cvt_f32_f16_sdwa v17, v2 dst_sel:DWORD dst_unused:UNUSED_PAD src0_sel:WORD_1
	v_cvt_f32_f16_e32 v16, v2
	v_cvt_f32_f16_sdwa v21, v3 dst_sel:DWORD dst_unused:UNUSED_PAD src0_sel:WORD_1
	v_cvt_f32_f16_e32 v20, v3
	v_pk_add_f32 v[14:15], v[28:29], 1.0 op_sel_hi:[1,0]
	;;#ASMSTART
	v_pk_mul_f32 v[2:3], v[18:19], v[14:15]
	;;#ASMEND
	v_cvt_f32_f16_sdwa v19, v4 dst_sel:DWORD dst_unused:UNUSED_PAD src0_sel:WORD_1
	v_cvt_f32_f16_e32 v18, v4
	v_pk_add_f32 v[14:15], v[16:17], 1.0 op_sel_hi:[1,0]
	v_pk_add_f32 v[16:17], v[20:21], 1.0 op_sel_hi:[1,0]
	v_cvt_f32_f16_sdwa v21, v5 dst_sel:DWORD dst_unused:UNUSED_PAD src0_sel:WORD_1
	v_cvt_f32_f16_e32 v20, v5
	v_pk_add_f32 v[4:5], v[18:19], 1.0 op_sel_hi:[1,0]
	;;#ASMSTART
	v_pk_mul_f32 v[14:15], v[26:27], v[14:15]
	;;#ASMEND
	;;#ASMSTART
	v_pk_mul_f32 v[16:17], v[24:25], v[16:17]
	;;#ASMEND
	;; [unrolled: 3-line block ×3, first 2 shown]
	v_pk_add_f32 v[4:5], v[20:21], 1.0 op_sel_hi:[1,0]
	;;#ASMSTART
	v_pk_mul_f32 v[6:7], v[6:7], v[4:5]
	;;#ASMEND
	v_cvt_f16_f32_e32 v0, v10
	v_cvt_f16_f32_e32 v4, v11
	;; [unrolled: 1-line block ×8, first 2 shown]
	s_add_u32 s28, s18, s0
	s_addc_u32 s0, s19, s1
	s_and_b32 s29, s0, 0xffff
	v_pack_b32_f16 v2, v0, v4
	v_pack_b32_f16 v3, v5, v8
	;; [unrolled: 1-line block ×4, first 2 shown]
	buffer_store_dwordx4 v[2:5], v1, s[28:31], 0 offen
	v_cvt_f16_f32_e32 v0, v14
	v_cvt_f16_f32_e32 v2, v15
	;; [unrolled: 1-line block ×8, first 2 shown]
	v_pack_b32_f16 v2, v0, v2
	v_pack_b32_f16 v3, v3, v4
	;; [unrolled: 1-line block ×4, first 2 shown]
	;;#ASMSTART
	s_nop 0
	;;#ASMEND
	buffer_store_dwordx4 v[2:5], v1, s[28:31], 16 offen
	;;#ASMSTART
	s_nop 0
	;;#ASMEND
	s_endpgm
	.section	.rodata,"a",@progbits
	.p2align	6, 0x0
	.amdhsa_kernel _ZN5aiter35fused_qk_rmsnorm_group_quant_kernelIDF16_N4opus5fp4_tELi128ELi16ELi8ELb1ELb1ELb1ELb0ELb0ELb0EEEvPT0_PvPT_S7_S7_PKS6_S9_S9_S9_S9_ffiiiiiiiiiiiii
		.amdhsa_group_segment_fixed_size 16
		.amdhsa_private_segment_fixed_size 0
		.amdhsa_kernarg_size 400
		.amdhsa_user_sgpr_count 6
		.amdhsa_user_sgpr_private_segment_buffer 1
		.amdhsa_user_sgpr_dispatch_ptr 0
		.amdhsa_user_sgpr_queue_ptr 0
		.amdhsa_user_sgpr_kernarg_segment_ptr 1
		.amdhsa_user_sgpr_dispatch_id 0
		.amdhsa_user_sgpr_flat_scratch_init 0
		.amdhsa_user_sgpr_kernarg_preload_length 0
		.amdhsa_user_sgpr_kernarg_preload_offset 0
		.amdhsa_user_sgpr_private_segment_size 0
		.amdhsa_uses_dynamic_stack 0
		.amdhsa_system_sgpr_private_segment_wavefront_offset 0
		.amdhsa_system_sgpr_workgroup_id_x 1
		.amdhsa_system_sgpr_workgroup_id_y 1
		.amdhsa_system_sgpr_workgroup_id_z 0
		.amdhsa_system_sgpr_workgroup_info 0
		.amdhsa_system_vgpr_workitem_id 0
		.amdhsa_next_free_vgpr 49
		.amdhsa_next_free_sgpr 44
		.amdhsa_accum_offset 52
		.amdhsa_reserve_vcc 1
		.amdhsa_reserve_flat_scratch 0
		.amdhsa_float_round_mode_32 0
		.amdhsa_float_round_mode_16_64 0
		.amdhsa_float_denorm_mode_32 3
		.amdhsa_float_denorm_mode_16_64 3
		.amdhsa_dx10_clamp 1
		.amdhsa_ieee_mode 1
		.amdhsa_fp16_overflow 0
		.amdhsa_tg_split 0
		.amdhsa_exception_fp_ieee_invalid_op 0
		.amdhsa_exception_fp_denorm_src 0
		.amdhsa_exception_fp_ieee_div_zero 0
		.amdhsa_exception_fp_ieee_overflow 0
		.amdhsa_exception_fp_ieee_underflow 0
		.amdhsa_exception_fp_ieee_inexact 0
		.amdhsa_exception_int_div_zero 0
	.end_amdhsa_kernel
	.section	.text._ZN5aiter35fused_qk_rmsnorm_group_quant_kernelIDF16_N4opus5fp4_tELi128ELi16ELi8ELb1ELb1ELb1ELb0ELb0ELb0EEEvPT0_PvPT_S7_S7_PKS6_S9_S9_S9_S9_ffiiiiiiiiiiiii,"axG",@progbits,_ZN5aiter35fused_qk_rmsnorm_group_quant_kernelIDF16_N4opus5fp4_tELi128ELi16ELi8ELb1ELb1ELb1ELb0ELb0ELb0EEEvPT0_PvPT_S7_S7_PKS6_S9_S9_S9_S9_ffiiiiiiiiiiiii,comdat
.Lfunc_end619:
	.size	_ZN5aiter35fused_qk_rmsnorm_group_quant_kernelIDF16_N4opus5fp4_tELi128ELi16ELi8ELb1ELb1ELb1ELb0ELb0ELb0EEEvPT0_PvPT_S7_S7_PKS6_S9_S9_S9_S9_ffiiiiiiiiiiiii, .Lfunc_end619-_ZN5aiter35fused_qk_rmsnorm_group_quant_kernelIDF16_N4opus5fp4_tELi128ELi16ELi8ELb1ELb1ELb1ELb0ELb0ELb0EEEvPT0_PvPT_S7_S7_PKS6_S9_S9_S9_S9_ffiiiiiiiiiiiii
                                        ; -- End function
	.section	.AMDGPU.csdata,"",@progbits
; Kernel info:
; codeLenInByte = 4088
; NumSgprs: 48
; NumVgprs: 49
; NumAgprs: 0
; TotalNumVgprs: 49
; ScratchSize: 0
; MemoryBound: 0
; FloatMode: 240
; IeeeMode: 1
; LDSByteSize: 16 bytes/workgroup (compile time only)
; SGPRBlocks: 5
; VGPRBlocks: 6
; NumSGPRsForWavesPerEU: 48
; NumVGPRsForWavesPerEU: 49
; AccumOffset: 52
; Occupancy: 8
; WaveLimiterHint : 0
; COMPUTE_PGM_RSRC2:SCRATCH_EN: 0
; COMPUTE_PGM_RSRC2:USER_SGPR: 6
; COMPUTE_PGM_RSRC2:TRAP_HANDLER: 0
; COMPUTE_PGM_RSRC2:TGID_X_EN: 1
; COMPUTE_PGM_RSRC2:TGID_Y_EN: 1
; COMPUTE_PGM_RSRC2:TGID_Z_EN: 0
; COMPUTE_PGM_RSRC2:TIDIG_COMP_CNT: 0
; COMPUTE_PGM_RSRC3_GFX90A:ACCUM_OFFSET: 12
; COMPUTE_PGM_RSRC3_GFX90A:TG_SPLIT: 0
	.section	.text._ZN5aiter35fused_qk_rmsnorm_group_quant_kernelItN4opus5fp4_tELi128ELi16ELi8ELb1ELb1ELb1ELb0ELb0ELb0EEEvPT0_PvPT_S7_S7_PKS6_S9_S9_S9_S9_ffiiiiiiiiiiiii,"axG",@progbits,_ZN5aiter35fused_qk_rmsnorm_group_quant_kernelItN4opus5fp4_tELi128ELi16ELi8ELb1ELb1ELb1ELb0ELb0ELb0EEEvPT0_PvPT_S7_S7_PKS6_S9_S9_S9_S9_ffiiiiiiiiiiiii,comdat
	.protected	_ZN5aiter35fused_qk_rmsnorm_group_quant_kernelItN4opus5fp4_tELi128ELi16ELi8ELb1ELb1ELb1ELb0ELb0ELb0EEEvPT0_PvPT_S7_S7_PKS6_S9_S9_S9_S9_ffiiiiiiiiiiiii ; -- Begin function _ZN5aiter35fused_qk_rmsnorm_group_quant_kernelItN4opus5fp4_tELi128ELi16ELi8ELb1ELb1ELb1ELb0ELb0ELb0EEEvPT0_PvPT_S7_S7_PKS6_S9_S9_S9_S9_ffiiiiiiiiiiiii
	.globl	_ZN5aiter35fused_qk_rmsnorm_group_quant_kernelItN4opus5fp4_tELi128ELi16ELi8ELb1ELb1ELb1ELb0ELb0ELb0EEEvPT0_PvPT_S7_S7_PKS6_S9_S9_S9_S9_ffiiiiiiiiiiiii
	.p2align	8
	.type	_ZN5aiter35fused_qk_rmsnorm_group_quant_kernelItN4opus5fp4_tELi128ELi16ELi8ELb1ELb1ELb1ELb0ELb0ELb0EEEvPT0_PvPT_S7_S7_PKS6_S9_S9_S9_S9_ffiiiiiiiiiiiii,@function
_ZN5aiter35fused_qk_rmsnorm_group_quant_kernelItN4opus5fp4_tELi128ELi16ELi8ELb1ELb1ELb1ELb0ELb0ELb0EEEvPT0_PvPT_S7_S7_PKS6_S9_S9_S9_S9_ffiiiiiiiiiiiii: ; @_ZN5aiter35fused_qk_rmsnorm_group_quant_kernelItN4opus5fp4_tELi128ELi16ELi8ELb1ELb1ELb1ELb0ELb0ELb0EEEvPT0_PvPT_S7_S7_PKS6_S9_S9_S9_S9_ffiiiiiiiiiiiii
; %bb.0:
	s_load_dwordx8 s[20:27], s[4:5], 0x50
	s_waitcnt lgkmcnt(0)
	s_cmp_ge_i32 s6, s22
	s_cbranch_scc1 .LBB620_17
; %bb.1:
	s_load_dwordx2 s[28:29], s[4:5], 0x48
	s_load_dwordx2 s[10:11], s[4:5], 0x30
	s_load_dwordx8 s[12:19], s[4:5], 0x70
	s_cmp_lg_u32 s7, 0
	s_waitcnt lgkmcnt(0)
	s_cselect_b64 s[18:19], -1, 0
	s_cmp_eq_u32 s7, 0
	s_cselect_b64 s[8:9], -1, 0
	s_and_b64 s[0:1], s[8:9], exec
	s_cselect_b32 s7, s23, s24
	s_add_i32 s0, s7, 1
	s_lshr_b32 s1, s0, 31
	s_add_i32 s0, s0, s1
	s_lshl_b32 s0, s0, 1
	v_lshlrev_b32_e32 v1, 4, v0
	s_and_b32 s38, s0, -4
	v_cmp_gt_i32_e64 s[0:1], s7, v1
	v_mov_b32_e32 v62, 0
	v_mov_b32_e32 v63, 0
	;; [unrolled: 1-line block ×16, first 2 shown]
	s_and_saveexec_b64 s[2:3], s[0:1]
	s_cbranch_execz .LBB620_3
; %bb.2:
	s_load_dwordx2 s[30:31], s[4:5], 0x28
	s_load_dwordx2 s[34:35], s[4:5], 0x40
	s_and_b64 s[36:37], s[8:9], exec
	s_cselect_b32 s22, s25, s26
	s_mov_b32 s39, 0x20000
	s_waitcnt lgkmcnt(0)
	s_cselect_b32 s25, s31, s11
	s_cselect_b32 s33, s30, s10
	s_mul_hi_i32 s31, s22, s6
	s_mul_i32 s30, s22, s6
	s_lshl_b64 s[30:31], s[30:31], 1
	s_add_u32 s40, s33, s30
	s_addc_u32 s22, s25, s31
	s_and_b64 s[30:31], s[8:9], exec
	s_cselect_b32 s36, s34, s28
	s_cselect_b32 s25, s35, s29
	s_and_b32 s41, s22, 0xffff
	s_mov_b32 s42, s38
	s_mov_b32 s43, s39
	v_lshlrev_b32_e32 v2, 5, v0
	s_and_b32 s37, s25, 0xffff
	buffer_load_dwordx4 v[66:69], v2, s[40:43], 0 offen
	buffer_load_dwordx4 v[70:73], v2, s[40:43], 16 offen
	;; [unrolled: 1-line block ×4, first 2 shown]
.LBB620_3:
	s_or_b64 exec, exec, s[2:3]
	s_and_b64 vcc, exec, s[18:19]
	s_cbranch_vccz .LBB620_7
; %bb.4:
	v_mov_b32_e32 v75, 0
	v_mov_b32_e32 v74, 0
	;; [unrolled: 1-line block ×16, first 2 shown]
	s_and_saveexec_b64 s[2:3], s[0:1]
	s_cbranch_execz .LBB620_6
; %bb.5:
	s_waitcnt vmcnt(3)
	v_cvt_f32_u32_sdwa v2, v66 dst_sel:DWORD dst_unused:UNUSED_PAD src0_sel:WORD_0
	v_cvt_f32_u32_sdwa v3, v66 dst_sel:DWORD dst_unused:UNUSED_PAD src0_sel:WORD_1
	v_cvt_f32_u32_sdwa v6, v67 dst_sel:DWORD dst_unused:UNUSED_PAD src0_sel:WORD_0
	v_cvt_f32_u32_sdwa v7, v67 dst_sel:DWORD dst_unused:UNUSED_PAD src0_sel:WORD_1
	;; [unrolled: 2-line block ×4, first 2 shown]
	s_waitcnt vmcnt(2)
	v_cvt_f32_u32_sdwa v50, v70 dst_sel:DWORD dst_unused:UNUSED_PAD src0_sel:WORD_0
	v_cvt_f32_u32_sdwa v51, v70 dst_sel:DWORD dst_unused:UNUSED_PAD src0_sel:WORD_1
	v_cvt_f32_u32_sdwa v24, v71 dst_sel:DWORD dst_unused:UNUSED_PAD src0_sel:WORD_0
	v_cvt_f32_u32_sdwa v25, v71 dst_sel:DWORD dst_unused:UNUSED_PAD src0_sel:WORD_1
	;; [unrolled: 2-line block ×4, first 2 shown]
.LBB620_6:
	s_or_b64 exec, exec, s[2:3]
	s_cbranch_execz .LBB620_8
	s_branch .LBB620_11
.LBB620_7:
                                        ; implicit-def: $vgpr2_vgpr3_vgpr4_vgpr5_vgpr6_vgpr7_vgpr8_vgpr9_vgpr10_vgpr11_vgpr12_vgpr13_vgpr14_vgpr15_vgpr16_vgpr17
                                        ; implicit-def: $vgpr36_vgpr37_vgpr38_vgpr39_vgpr40_vgpr41_vgpr42_vgpr43_vgpr44_vgpr45_vgpr46_vgpr47_vgpr48_vgpr49_vgpr50_vgpr51
                                        ; implicit-def: $vgpr4_vgpr5_vgpr6_vgpr7_vgpr8_vgpr9_vgpr10_vgpr11_vgpr12_vgpr13_vgpr14_vgpr15_vgpr16_vgpr17_vgpr18_vgpr19
                                        ; implicit-def: $vgpr24_vgpr25_vgpr26_vgpr27_vgpr28_vgpr29_vgpr30_vgpr31_vgpr32_vgpr33_vgpr34_vgpr35_vgpr36_vgpr37_vgpr38_vgpr39
                                        ; implicit-def: $vgpr75
                                        ; implicit-def: $vgpr42_vgpr43_vgpr44_vgpr45_vgpr46_vgpr47_vgpr48_vgpr49_vgpr50_vgpr51_vgpr52_vgpr53_vgpr54_vgpr55_vgpr56_vgpr57
                                        ; implicit-def: $vgpr14_vgpr15_vgpr16_vgpr17_vgpr18_vgpr19_vgpr20_vgpr21_vgpr22_vgpr23_vgpr24_vgpr25_vgpr26_vgpr27_vgpr28_vgpr29
                                        ; implicit-def: $vgpr8_vgpr9_vgpr10_vgpr11_vgpr12_vgpr13_vgpr14_vgpr15_vgpr16_vgpr17_vgpr18_vgpr19_vgpr20_vgpr21_vgpr22_vgpr23
.LBB620_8:
	v_mov_b32_e32 v75, 0
	v_mov_b32_e32 v74, 0
	;; [unrolled: 1-line block ×16, first 2 shown]
	s_and_saveexec_b64 s[2:3], s[0:1]
	s_cbranch_execz .LBB620_10
; %bb.9:
	s_load_dwordx2 s[30:31], s[4:5], 0x38
	s_mul_hi_i32 s35, s27, s6
	s_mul_i32 s34, s27, s6
	s_lshl_b64 s[34:35], s[34:35], 1
	s_mov_b32 s39, 0x20000
	s_waitcnt lgkmcnt(0)
	s_add_u32 s36, s30, s34
	s_addc_u32 s22, s31, s35
	s_and_b32 s37, s22, 0xffff
	v_lshlrev_b32_e32 v38, 5, v0
	buffer_load_dwordx4 v[6:9], v38, s[36:39], 16 offen
	buffer_load_dwordx4 v[10:13], v38, s[36:39], 0 offen
	s_load_dwordx2 s[30:31], s[4:5], 0x20
	s_waitcnt vmcnt(5)
	v_cvt_f32_u32_sdwa v3, v66 dst_sel:DWORD dst_unused:UNUSED_PAD src0_sel:WORD_1
	v_cvt_f32_u32_sdwa v2, v66 dst_sel:DWORD dst_unused:UNUSED_PAD src0_sel:WORD_0
	v_cvt_f32_u32_sdwa v21, v67 dst_sel:DWORD dst_unused:UNUSED_PAD src0_sel:WORD_1
	v_cvt_f32_u32_sdwa v20, v67 dst_sel:DWORD dst_unused:UNUSED_PAD src0_sel:WORD_0
	;; [unrolled: 2-line block ×4, first 2 shown]
	s_waitcnt vmcnt(4)
	v_cvt_f32_u32_sdwa v5, v70 dst_sel:DWORD dst_unused:UNUSED_PAD src0_sel:WORD_1
	v_cvt_f32_u32_sdwa v4, v70 dst_sel:DWORD dst_unused:UNUSED_PAD src0_sel:WORD_0
	v_cvt_f32_u32_sdwa v15, v71 dst_sel:DWORD dst_unused:UNUSED_PAD src0_sel:WORD_1
	v_cvt_f32_u32_sdwa v14, v71 dst_sel:DWORD dst_unused:UNUSED_PAD src0_sel:WORD_0
	;; [unrolled: 2-line block ×3, first 2 shown]
	v_cvt_f32_u32_sdwa v18, v73 dst_sel:DWORD dst_unused:UNUSED_PAD src0_sel:WORD_0
	v_cvt_f32_u32_sdwa v19, v73 dst_sel:DWORD dst_unused:UNUSED_PAD src0_sel:WORD_1
	s_mul_hi_i32 s35, s17, s6
	s_mul_i32 s34, s17, s6
	s_lshl_b64 s[34:35], s[34:35], 1
	s_waitcnt lgkmcnt(0)
	s_add_u32 s36, s30, s34
	s_mov_b32 s17, 0x7060302
	s_addc_u32 s22, s31, s35
	s_and_b32 s37, s22, 0xffff
	s_waitcnt vmcnt(1)
	v_cvt_f32_u32_sdwa v27, v6 dst_sel:DWORD dst_unused:UNUSED_PAD src0_sel:WORD_1
	v_cvt_f32_u32_sdwa v26, v6 dst_sel:DWORD dst_unused:UNUSED_PAD src0_sel:WORD_0
	v_cvt_f32_u32_sdwa v29, v7 dst_sel:DWORD dst_unused:UNUSED_PAD src0_sel:WORD_1
	v_cvt_f32_u32_sdwa v28, v7 dst_sel:DWORD dst_unused:UNUSED_PAD src0_sel:WORD_0
	;; [unrolled: 2-line block ×3, first 2 shown]
	v_cvt_f32_u32_sdwa v34, v9 dst_sel:DWORD dst_unused:UNUSED_PAD src0_sel:WORD_0
	v_cvt_f32_u32_sdwa v35, v9 dst_sel:DWORD dst_unused:UNUSED_PAD src0_sel:WORD_1
	s_waitcnt vmcnt(0)
	v_cvt_f32_u32_sdwa v37, v10 dst_sel:DWORD dst_unused:UNUSED_PAD src0_sel:WORD_1
	v_cvt_f32_u32_sdwa v36, v10 dst_sel:DWORD dst_unused:UNUSED_PAD src0_sel:WORD_0
	v_cvt_f32_u32_sdwa v7, v12 dst_sel:DWORD dst_unused:UNUSED_PAD src0_sel:WORD_1
	v_cvt_f32_u32_sdwa v6, v12 dst_sel:DWORD dst_unused:UNUSED_PAD src0_sel:WORD_0
	;; [unrolled: 2-line block ×4, first 2 shown]
	v_pk_add_f32 v[40:41], v[22:23], v[6:7]
	v_pk_add_f32 v[30:31], v[24:25], v[8:9]
	;; [unrolled: 1-line block ×4, first 2 shown]
	v_perm_b32 v11, v31, v30, s17
	v_perm_b32 v10, v41, v40, s17
	;; [unrolled: 1-line block ×4, first 2 shown]
	v_pk_add_f32 v[74:75], v[18:19], v[34:35]
	v_pk_add_f32 v[20:21], v[16:17], v[32:33]
	;; [unrolled: 1-line block ×4, first 2 shown]
	buffer_store_dwordx4 v[8:11], v38, s[36:39], 0 offen
	;;#ASMSTART
	s_nop 0
	;;#ASMEND
	s_nop 0
	v_perm_b32 v11, v75, v74, s17
	v_perm_b32 v10, v21, v20, s17
	;; [unrolled: 1-line block ×4, first 2 shown]
	buffer_store_dwordx4 v[8:11], v38, s[36:39], 16 offen
	;;#ASMSTART
	s_nop 0
	;;#ASMEND
.LBB620_10:
	s_or_b64 exec, exec, s[2:3]
.LBB620_11:
	v_mul_f32_e32 v4, v3, v3
	v_fmac_f32_e32 v4, v2, v2
	v_fmac_f32_e32 v4, v6, v6
	v_fmac_f32_e32 v4, v7, v7
	v_fmac_f32_e32 v4, v40, v40
	v_fmac_f32_e32 v4, v41, v41
	v_fmac_f32_e32 v4, v30, v30
	v_fmac_f32_e32 v4, v31, v31
	v_fmac_f32_e32 v4, v50, v50
	v_fmac_f32_e32 v4, v51, v51
	v_fmac_f32_e32 v4, v24, v24
	v_fmac_f32_e32 v4, v25, v25
	v_fmac_f32_e32 v4, v20, v20
	v_fmac_f32_e32 v4, v21, v21
	v_fmac_f32_e32 v4, v74, v74
	v_fmac_f32_e32 v4, v75, v75
	s_nop 1
	v_mov_b32_dpp v5, v4 quad_perm:[1,0,3,2] row_mask:0xf bank_mask:0xf
	v_add_f32_e32 v4, v4, v5
	s_nop 1
	v_mov_b32_dpp v5, v4 quad_perm:[2,3,0,1] row_mask:0xf bank_mask:0xf
	v_add_f32_e32 v4, v4, v5
	s_nop 1
	v_mov_b32_dpp v5, v4 row_half_mirror row_mask:0xf bank_mask:0xf
	v_add_f32_e32 v4, v4, v5
	s_nop 1
	v_mov_b32_dpp v5, v4 row_mirror row_mask:0xf bank_mask:0xf
	v_add_f32_e32 v4, v4, v5
	s_nop 1
	v_mov_b32_dpp v5, v4 row_bcast:15 row_mask:0xf bank_mask:0xf
	v_add_f32_e32 v4, v4, v5
	v_and_b32_e32 v5, 63, v0
	v_cmp_eq_u32_e64 s[2:3], 63, v5
	s_nop 0
	v_mov_b32_dpp v5, v4 row_bcast:31 row_mask:0xf bank_mask:0xf
	s_and_saveexec_b64 s[30:31], s[2:3]
	s_cbranch_execz .LBB620_13
; %bb.12:
	v_add_f32_e32 v4, v4, v5
	v_lshrrev_b32_e32 v5, 4, v0
	v_and_b32_e32 v5, 60, v5
	ds_write_b32 v5, v4 offset:8
.LBB620_13:
	s_or_b64 exec, exec, s[30:31]
	v_and_b32_e32 v4, 1, v0
	v_lshlrev_b32_e32 v34, 2, v4
	s_waitcnt lgkmcnt(0)
	s_barrier
	ds_read_b32 v4, v34 offset:8
	s_load_dwordx2 s[34:35], s[4:5], 0x18
	s_waitcnt lgkmcnt(0)
	v_mov_b32_dpp v5, v4 quad_perm:[1,0,3,2] row_mask:0xf bank_mask:0xf
	s_and_saveexec_b64 s[30:31], s[0:1]
	s_cbranch_execnz .LBB620_18
; %bb.14:
	s_or_b64 exec, exec, s[30:31]
	s_mov_b64 s[8:9], -1
	s_and_b64 vcc, exec, s[18:19]
	s_cbranch_vccnz .LBB620_19
.LBB620_15:
	s_andn2_b64 vcc, exec, s[8:9]
	s_cbranch_vccz .LBB620_22
.LBB620_16:
	s_cmp_lt_i32 s24, 1
	s_cbranch_scc0 .LBB620_31
.LBB620_17:
	s_endpgm
.LBB620_18:
	v_add_f32_e32 v4, v4, v5
	v_cvt_f32_u32_e32 v5, s7
	s_mov_b32 s7, 0x800000
	s_waitcnt vmcnt(1)
	v_cvt_f32_u32_sdwa v15, v62 dst_sel:DWORD dst_unused:UNUSED_PAD src0_sel:WORD_1
	v_cvt_f32_u32_sdwa v14, v62 dst_sel:DWORD dst_unused:UNUSED_PAD src0_sel:WORD_0
	v_div_scale_f32 v8, s[36:37], v5, v5, v4
	v_rcp_f32_e32 v9, v8
	v_pk_add_f32 v[14:15], v[14:15], 1.0 op_sel_hi:[1,0]
	v_cvt_f32_u32_sdwa v23, v65 dst_sel:DWORD dst_unused:UNUSED_PAD src0_sel:WORD_1
	v_cvt_f32_u32_sdwa v22, v65 dst_sel:DWORD dst_unused:UNUSED_PAD src0_sel:WORD_0
	v_fma_f32 v10, -v8, v9, 1.0
	v_fmac_f32_e32 v9, v10, v9
	v_div_scale_f32 v10, vcc, v4, v5, v4
	v_mul_f32_e32 v11, v10, v9
	v_fma_f32 v12, -v8, v11, v10
	v_fmac_f32_e32 v11, v12, v9
	v_fma_f32 v8, -v8, v11, v10
	v_div_fmas_f32 v8, v8, v9, v11
	v_div_fixup_f32 v4, v8, v5, v4
	v_mov_b32_e32 v5, s21
	v_mov_b32_e32 v8, s20
	v_cndmask_b32_e64 v5, v5, v8, s[8:9]
	v_add_f32_e32 v4, v5, v4
	v_mul_f32_e32 v5, 0x4b800000, v4
	v_cmp_gt_f32_e32 vcc, s7, v4
	v_cndmask_b32_e32 v4, v4, v5, vcc
	v_rsq_f32_e32 v4, v4
	s_waitcnt vmcnt(0)
	v_cvt_f32_u32_sdwa v27, v60 dst_sel:DWORD dst_unused:UNUSED_PAD src0_sel:WORD_1
	v_cvt_f32_u32_sdwa v26, v60 dst_sel:DWORD dst_unused:UNUSED_PAD src0_sel:WORD_0
	v_cvt_f32_u32_sdwa v29, v61 dst_sel:DWORD dst_unused:UNUSED_PAD src0_sel:WORD_1
	v_mul_f32_e32 v5, 0x45800000, v4
	v_cndmask_b32_e32 v4, v4, v5, vcc
	v_mov_b32_e32 v5, v4
	;;#ASMSTART
	v_pk_mul_f32 v[2:3], v[2:3], v[4:5]
	;;#ASMEND
	;;#ASMSTART
	v_pk_mul_f32 v[6:7], v[6:7], v[4:5]
	;;#ASMEND
	;; [unrolled: 3-line block ×9, first 2 shown]
	v_cvt_f32_u32_sdwa v15, v63 dst_sel:DWORD dst_unused:UNUSED_PAD src0_sel:WORD_1
	v_cvt_f32_u32_sdwa v14, v63 dst_sel:DWORD dst_unused:UNUSED_PAD src0_sel:WORD_0
	v_cvt_f32_u32_sdwa v21, v64 dst_sel:DWORD dst_unused:UNUSED_PAD src0_sel:WORD_1
	v_cvt_f32_u32_sdwa v20, v64 dst_sel:DWORD dst_unused:UNUSED_PAD src0_sel:WORD_0
	v_cvt_f32_u32_sdwa v25, v59 dst_sel:DWORD dst_unused:UNUSED_PAD src0_sel:WORD_1
	v_pk_add_f32 v[14:15], v[14:15], 1.0 op_sel_hi:[1,0]
	v_cvt_f32_u32_sdwa v24, v59 dst_sel:DWORD dst_unused:UNUSED_PAD src0_sel:WORD_0
	;;#ASMSTART
	v_pk_mul_f32 v[6:7], v[6:7], v[14:15]
	;;#ASMEND
	v_pk_add_f32 v[14:15], v[20:21], 1.0 op_sel_hi:[1,0]
	v_pk_add_f32 v[20:21], v[22:23], 1.0 op_sel_hi:[1,0]
	v_cvt_f32_u32_sdwa v23, v58 dst_sel:DWORD dst_unused:UNUSED_PAD src0_sel:WORD_1
	v_cvt_f32_u32_sdwa v22, v58 dst_sel:DWORD dst_unused:UNUSED_PAD src0_sel:WORD_0
	v_cvt_f32_u32_sdwa v28, v61 dst_sel:DWORD dst_unused:UNUSED_PAD src0_sel:WORD_0
	v_pk_add_f32 v[24:25], v[24:25], 1.0 op_sel_hi:[1,0]
	v_pk_add_f32 v[26:27], v[26:27], 1.0 op_sel_hi:[1,0]
	;; [unrolled: 1-line block ×4, first 2 shown]
	;;#ASMSTART
	v_pk_mul_f32 v[40:41], v[8:9], v[14:15]
	;;#ASMEND
	;;#ASMSTART
	v_pk_mul_f32 v[30:31], v[10:11], v[20:21]
	;;#ASMEND
	;; [unrolled: 3-line block ×6, first 2 shown]
	s_or_b64 exec, exec, s[30:31]
	s_mov_b64 s[8:9], -1
	s_and_b64 vcc, exec, s[18:19]
	s_cbranch_vccz .LBB620_15
.LBB620_19:
	s_and_saveexec_b64 s[8:9], s[0:1]
	s_cbranch_execz .LBB620_21
; %bb.20:
	s_mul_hi_i32 s19, s16, s6
	s_mul_i32 s18, s16, s6
	s_lshl_b64 s[18:19], s[18:19], 1
	s_add_u32 s36, s34, s18
	s_addc_u32 s7, s35, s19
	s_and_b32 s37, s7, 0xffff
	s_mov_b32 s7, 0x7060302
	s_mov_b32 s39, 0x20000
	v_perm_b32 v11, v31, v30, s7
	v_perm_b32 v10, v41, v40, s7
	;; [unrolled: 1-line block ×4, first 2 shown]
	v_lshlrev_b32_e32 v4, 5, v0
	buffer_store_dwordx4 v[8:11], v4, s[36:39], 0 offen
	;;#ASMSTART
	s_nop 0
	;;#ASMEND
	s_nop 0
	v_perm_b32 v11, v75, v74, s7
	v_perm_b32 v10, v21, v20, s7
	;; [unrolled: 1-line block ×4, first 2 shown]
	buffer_store_dwordx4 v[8:11], v4, s[36:39], 16 offen
	;;#ASMSTART
	s_nop 0
	;;#ASMEND
.LBB620_21:
	s_or_b64 exec, exec, s[8:9]
	s_cbranch_execnz .LBB620_16
.LBB620_22:
	v_mov_b32_e32 v4, 0
	s_and_saveexec_b64 s[8:9], s[0:1]
	s_cbranch_execz .LBB620_24
; %bb.23:
	s_load_dwordx2 s[18:19], s[4:5], 0x10
	s_mul_hi_i32 s31, s15, s6
	s_mul_i32 s30, s15, s6
	s_lshl_b64 s[30:31], s[30:31], 1
	s_mov_b32 s39, 0x20000
	s_waitcnt lgkmcnt(0)
	s_add_u32 s36, s18, s30
	s_addc_u32 s7, s19, s31
	s_and_b32 s37, s7, 0xffff
	s_mov_b32 s7, 0x7060302
	v_perm_b32 v11, v31, v30, s7
	v_perm_b32 v10, v41, v40, s7
	;; [unrolled: 1-line block ×4, first 2 shown]
	v_lshlrev_b32_e32 v4, 5, v0
	buffer_store_dwordx4 v[8:11], v4, s[36:39], 0 offen
	;;#ASMSTART
	s_nop 0
	;;#ASMEND
	s_nop 0
	v_perm_b32 v11, v75, v74, s7
	v_perm_b32 v10, v21, v20, s7
	;; [unrolled: 1-line block ×4, first 2 shown]
	buffer_store_dwordx4 v[8:11], v4, s[36:39], 16 offen
	v_mov_b32_e32 v4, 0x2edbe6ff
	;;#ASMSTART
	s_nop 0
	;;#ASMEND
.LBB620_24:
	s_or_b64 exec, exec, s[8:9]
	s_and_saveexec_b64 s[8:9], s[0:1]
	s_cbranch_execz .LBB620_26
; %bb.25:
	v_and_b32_e32 v2, 0x7fffffff, v2
	v_and_b32_e32 v3, 0x7fffffff, v3
	;;#ASMSTART
	v_max3_f32 v2, v4, v2, v3

	;;#ASMEND
	v_and_b32_e32 v5, 0x7fffffff, v6
	v_and_b32_e32 v6, 0x7fffffff, v7
	;;#ASMSTART
	v_max3_f32 v2, v2, v5, v6

	;;#ASMEND
	;; [unrolled: 6-line block ×8, first 2 shown]
.LBB620_26:
	s_or_b64 exec, exec, s[8:9]
	;;#ASMSTART
	v_max_f32 v2, v4, v4 quad_perm:[1,0,3,2] row_mask:0xf bank_mask:0xf bound_ctrl:1
	;;#ASMEND
	;;#ASMSTART
	v_max_f32 v3, v2, v2 quad_perm:[2,3,0,1] row_mask:0xf bank_mask:0xf bound_ctrl:1
	;;#ASMEND
	;;#ASMSTART
	v_max_f32 v2, v3, v3 row_half_mirror row_mask:0xf bank_mask:0xf bound_ctrl:1
	;;#ASMEND
	v_and_b32_e32 v3, 7, v0
	v_cmp_eq_u32_e32 vcc, 0, v3
	v_cmp_gt_i32_e64 s[8:9], s23, v1
	s_and_b64 s[18:19], vcc, s[8:9]
	s_and_saveexec_b64 s[8:9], s[18:19]
	s_cbranch_execz .LBB620_28
; %bb.27:
	s_load_dwordx2 s[18:19], s[4:5], 0x8
	v_mul_f32_e32 v2, 0x3e2aaaab, v2
	v_lshrrev_b32_e32 v3, 23, v2
	v_and_b32_e32 v4, 0x7f800000, v2
	v_and_b32_e32 v2, 0x7fffff, v2
	v_cmp_ne_u32_e32 vcc, 0, v2
	s_mul_hi_i32 s15, s13, s6
	s_mul_i32 s13, s13, s6
	s_mov_b32 s7, 0x7f800000
	v_addc_co_u32_e32 v2, vcc, 0, v3, vcc
	s_waitcnt lgkmcnt(0)
	s_add_u32 s18, s18, s13
	v_cmp_ne_u32_e32 vcc, s7, v4
	s_addc_u32 s19, s19, s15
	v_lshrrev_b32_e32 v5, 3, v0
	v_cndmask_b32_e32 v4, -1, v2, vcc
	v_pk_mov_b32 v[2:3], s[18:19], s[18:19] op_sel:[0,1]
	v_mad_i64_i32 v[2:3], s[14:15], s14, v5, v[2:3]
	global_store_byte v[2:3], v4, off
.LBB620_28:
	s_or_b64 exec, exec, s[8:9]
	s_and_saveexec_b64 s[8:9], s[0:1]
	s_cbranch_execz .LBB620_30
; %bb.29:
	s_load_dwordx2 s[0:1], s[4:5], 0x0
	s_mul_hi_i32 s7, s12, s6
	s_mul_i32 s12, s12, s6
	v_mov_b32_e32 v2, 0
	v_lshlrev_b32_e32 v4, 3, v0
	s_waitcnt lgkmcnt(0)
	s_add_u32 s12, s0, s12
	s_addc_u32 s0, s1, s7
	s_lshr_b32 s1, s23, 31
	s_add_i32 s1, s23, s1
	s_ashr_i32 s1, s1, 1
	s_add_i32 s1, s1, 3
	s_ashr_i32 s7, s1, 31
	s_lshr_b32 s7, s7, 30
	s_add_i32 s1, s1, s7
	s_and_b32 s14, s1, -4
	s_and_b32 s13, s0, 0xffff
	s_mov_b32 s15, 0x20000
	v_mov_b32_e32 v3, v2
	buffer_store_dwordx2 v[2:3], v4, s[12:15], 0 offen
	;;#ASMSTART
	s_nop 0
	;;#ASMEND
.LBB620_30:
	s_or_b64 exec, exec, s[8:9]
	s_cmp_lt_i32 s24, 1
	s_cbranch_scc1 .LBB620_17
.LBB620_31:
	s_load_dword s0, s[4:5], 0x94
	s_waitcnt lgkmcnt(0)
	s_cmp_lg_u32 s0, 1
	s_cbranch_scc1 .LBB620_17
; %bb.32:
	s_lshl_b32 s0, s24, 1
	s_add_i32 s0, s0, 2
	v_cmp_gt_u32_e32 vcc, s24, v1
	s_and_b32 s30, s0, -4
	v_mov_b32_e32 v18, 0
	v_lshlrev_b32_e32 v1, 5, v0
	v_mov_b32_e32 v14, 0
	v_mov_b32_e32 v15, 0
	;; [unrolled: 1-line block ×16, first 2 shown]
	s_barrier
	s_and_saveexec_b64 s[0:1], vcc
	s_cbranch_execz .LBB620_34
; %bb.33:
	s_mul_hi_i32 s5, s26, s6
	s_mul_i32 s4, s26, s6
	s_and_b32 s29, s29, 0xffff
	s_lshl_b64 s[4:5], s[4:5], 1
	s_add_u32 s8, s10, s4
	s_mov_b32 s31, 0x20000
	s_addc_u32 s4, s11, s5
	s_and_b32 s9, s4, 0xffff
	s_mov_b32 s10, s30
	s_mov_b32 s11, s31
	buffer_load_dwordx4 v[14:17], v1, s[8:11], 0 offen
	buffer_load_dwordx4 v[10:13], v1, s[8:11], 16 offen
	;; [unrolled: 1-line block ×4, first 2 shown]
.LBB620_34:
	s_or_b64 exec, exec, s[0:1]
	v_mov_b32_e32 v19, 0
	v_mov_b32_e32 v32, 0
	;; [unrolled: 1-line block ×15, first 2 shown]
	s_and_saveexec_b64 s[0:1], vcc
	s_cbranch_execz .LBB620_36
; %bb.35:
	s_waitcnt vmcnt(3)
	v_cvt_f32_u32_sdwa v18, v14 dst_sel:DWORD dst_unused:UNUSED_PAD src0_sel:WORD_0
	v_cvt_f32_u32_sdwa v19, v14 dst_sel:DWORD dst_unused:UNUSED_PAD src0_sel:WORD_1
	v_cvt_f32_u32_sdwa v32, v15 dst_sel:DWORD dst_unused:UNUSED_PAD src0_sel:WORD_0
	v_cvt_f32_u32_sdwa v33, v15 dst_sel:DWORD dst_unused:UNUSED_PAD src0_sel:WORD_1
	v_cvt_f32_u32_sdwa v30, v16 dst_sel:DWORD dst_unused:UNUSED_PAD src0_sel:WORD_0
	v_cvt_f32_u32_sdwa v31, v16 dst_sel:DWORD dst_unused:UNUSED_PAD src0_sel:WORD_1
	v_cvt_f32_u32_sdwa v28, v17 dst_sel:DWORD dst_unused:UNUSED_PAD src0_sel:WORD_0
	v_cvt_f32_u32_sdwa v29, v17 dst_sel:DWORD dst_unused:UNUSED_PAD src0_sel:WORD_1
	s_waitcnt vmcnt(2)
	v_cvt_f32_u32_sdwa v26, v10 dst_sel:DWORD dst_unused:UNUSED_PAD src0_sel:WORD_0
	v_cvt_f32_u32_sdwa v27, v10 dst_sel:DWORD dst_unused:UNUSED_PAD src0_sel:WORD_1
	v_cvt_f32_u32_sdwa v24, v11 dst_sel:DWORD dst_unused:UNUSED_PAD src0_sel:WORD_0
	v_cvt_f32_u32_sdwa v25, v11 dst_sel:DWORD dst_unused:UNUSED_PAD src0_sel:WORD_1
	;; [unrolled: 2-line block ×4, first 2 shown]
.LBB620_36:
	s_or_b64 exec, exec, s[0:1]
	s_waitcnt vmcnt(2)
	v_mul_f32_e32 v10, v19, v19
	v_fmac_f32_e32 v10, v18, v18
	v_fmac_f32_e32 v10, v32, v32
	;; [unrolled: 1-line block ×15, first 2 shown]
	s_nop 1
	v_mov_b32_dpp v11, v10 quad_perm:[1,0,3,2] row_mask:0xf bank_mask:0xf
	v_add_f32_e32 v10, v10, v11
	s_nop 1
	v_mov_b32_dpp v11, v10 quad_perm:[2,3,0,1] row_mask:0xf bank_mask:0xf
	v_add_f32_e32 v10, v10, v11
	s_nop 1
	v_mov_b32_dpp v11, v10 row_half_mirror row_mask:0xf bank_mask:0xf
	v_add_f32_e32 v10, v10, v11
	s_nop 1
	v_mov_b32_dpp v11, v10 row_mirror row_mask:0xf bank_mask:0xf
	v_add_f32_e32 v10, v10, v11
	s_nop 1
	v_mov_b32_dpp v11, v10 row_bcast:15 row_mask:0xf bank_mask:0xf
	v_add_f32_e32 v10, v10, v11
	s_nop 1
	v_mov_b32_dpp v11, v10 row_bcast:31 row_mask:0xf bank_mask:0xf
	s_and_saveexec_b64 s[0:1], s[2:3]
	s_cbranch_execz .LBB620_38
; %bb.37:
	v_lshrrev_b32_e32 v0, 4, v0
	v_add_f32_e32 v10, v10, v11
	v_and_b32_e32 v0, 60, v0
	ds_write_b32 v0, v10
.LBB620_38:
	s_or_b64 exec, exec, s[0:1]
	s_waitcnt lgkmcnt(0)
	s_barrier
	ds_read_b32 v0, v34
	s_waitcnt lgkmcnt(0)
	s_nop 0
	v_mov_b32_dpp v10, v0 quad_perm:[1,0,3,2] row_mask:0xf bank_mask:0xf
	s_and_saveexec_b64 s[0:1], vcc
	s_cbranch_execz .LBB620_17
; %bb.39:
	v_cvt_f32_u32_e32 v11, s24
	v_add_f32_e32 v0, v0, v10
	s_mov_b32 s31, 0x20000
	v_div_scale_f32 v10, s[0:1], v11, v11, v0
	v_rcp_f32_e32 v12, v10
	v_div_scale_f32 v13, vcc, v0, v11, v0
	s_mov_b32 s0, 0x800000
	v_fma_f32 v14, -v10, v12, 1.0
	v_fmac_f32_e32 v12, v14, v12
	v_mul_f32_e32 v14, v13, v12
	v_fma_f32 v15, -v10, v14, v13
	v_fmac_f32_e32 v14, v15, v12
	v_fma_f32 v10, -v10, v14, v13
	v_div_fmas_f32 v10, v10, v12, v14
	v_div_fixup_f32 v0, v10, v11, v0
	v_add_f32_e32 v0, s21, v0
	v_mul_f32_e32 v10, 0x4b800000, v0
	v_cmp_gt_f32_e32 vcc, s0, v0
	v_cndmask_b32_e32 v0, v0, v10, vcc
	v_rsq_f32_e32 v0, v0
	s_mul_hi_i32 s1, s16, s6
	s_mul_i32 s0, s16, s6
	s_lshl_b64 s[0:1], s[0:1], 1
	v_mul_f32_e32 v10, 0x45800000, v0
	v_cndmask_b32_e32 v10, v0, v10, vcc
	v_mov_b32_e32 v11, v10
	;;#ASMSTART
	v_pk_mul_f32 v[12:13], v[18:19], v[10:11]
	;;#ASMEND
	;;#ASMSTART
	v_pk_mul_f32 v[14:15], v[32:33], v[10:11]
	;;#ASMEND
	;; [unrolled: 3-line block ×4, first 2 shown]
	s_waitcnt vmcnt(1)
	v_cvt_f32_u32_sdwa v29, v6 dst_sel:DWORD dst_unused:UNUSED_PAD src0_sel:WORD_1
	v_cvt_f32_u32_sdwa v28, v6 dst_sel:DWORD dst_unused:UNUSED_PAD src0_sel:WORD_0
	v_cvt_f32_u32_sdwa v31, v7 dst_sel:DWORD dst_unused:UNUSED_PAD src0_sel:WORD_1
	v_cvt_f32_u32_sdwa v30, v7 dst_sel:DWORD dst_unused:UNUSED_PAD src0_sel:WORD_0
	;;#ASMSTART
	v_pk_mul_f32 v[26:27], v[26:27], v[10:11]
	;;#ASMEND
	;;#ASMSTART
	v_pk_mul_f32 v[24:25], v[24:25], v[10:11]
	;;#ASMEND
	;; [unrolled: 3-line block ×4, first 2 shown]
	v_cvt_f32_u32_sdwa v21, v8 dst_sel:DWORD dst_unused:UNUSED_PAD src0_sel:WORD_1
	v_cvt_f32_u32_sdwa v20, v8 dst_sel:DWORD dst_unused:UNUSED_PAD src0_sel:WORD_0
	v_pk_add_f32 v[10:11], v[28:29], 1.0 op_sel_hi:[1,0]
	;;#ASMSTART
	v_pk_mul_f32 v[10:11], v[12:13], v[10:11]
	;;#ASMEND
	v_pk_add_f32 v[12:13], v[30:31], 1.0 op_sel_hi:[1,0]
	v_cvt_f32_u32_sdwa v29, v9 dst_sel:DWORD dst_unused:UNUSED_PAD src0_sel:WORD_1
	v_cvt_f32_u32_sdwa v28, v9 dst_sel:DWORD dst_unused:UNUSED_PAD src0_sel:WORD_0
	;;#ASMSTART
	v_pk_mul_f32 v[8:9], v[14:15], v[12:13]
	;;#ASMEND
	v_pk_add_f32 v[12:13], v[20:21], 1.0 op_sel_hi:[1,0]
	;;#ASMSTART
	v_pk_mul_f32 v[12:13], v[16:17], v[12:13]
	;;#ASMEND
	s_waitcnt vmcnt(0)
	v_cvt_f32_u32_sdwa v17, v2 dst_sel:DWORD dst_unused:UNUSED_PAD src0_sel:WORD_1
	v_cvt_f32_u32_sdwa v16, v2 dst_sel:DWORD dst_unused:UNUSED_PAD src0_sel:WORD_0
	v_cvt_f32_u32_sdwa v21, v3 dst_sel:DWORD dst_unused:UNUSED_PAD src0_sel:WORD_1
	v_cvt_f32_u32_sdwa v20, v3 dst_sel:DWORD dst_unused:UNUSED_PAD src0_sel:WORD_0
	v_pk_add_f32 v[14:15], v[28:29], 1.0 op_sel_hi:[1,0]
	;;#ASMSTART
	v_pk_mul_f32 v[14:15], v[18:19], v[14:15]
	;;#ASMEND
	v_pk_add_f32 v[2:3], v[16:17], 1.0 op_sel_hi:[1,0]
	v_cvt_f32_u32_sdwa v19, v4 dst_sel:DWORD dst_unused:UNUSED_PAD src0_sel:WORD_1
	v_cvt_f32_u32_sdwa v18, v4 dst_sel:DWORD dst_unused:UNUSED_PAD src0_sel:WORD_0
	;;#ASMSTART
	v_pk_mul_f32 v[16:17], v[26:27], v[2:3]
	;;#ASMEND
	v_pk_add_f32 v[2:3], v[20:21], 1.0 op_sel_hi:[1,0]
	v_cvt_f32_u32_sdwa v21, v5 dst_sel:DWORD dst_unused:UNUSED_PAD src0_sel:WORD_1
	v_cvt_f32_u32_sdwa v20, v5 dst_sel:DWORD dst_unused:UNUSED_PAD src0_sel:WORD_0
	s_add_u32 s28, s34, s0
	;;#ASMSTART
	v_pk_mul_f32 v[24:25], v[24:25], v[2:3]
	;;#ASMEND
	v_pk_add_f32 v[2:3], v[18:19], 1.0 op_sel_hi:[1,0]
	s_addc_u32 s0, s35, s1
	;;#ASMSTART
	v_pk_mul_f32 v[18:19], v[22:23], v[2:3]
	;;#ASMEND
	v_pk_add_f32 v[2:3], v[20:21], 1.0 op_sel_hi:[1,0]
	s_and_b32 s29, s0, 0xffff
	s_mov_b32 s0, 0x7060302
	;;#ASMSTART
	v_pk_mul_f32 v[6:7], v[6:7], v[2:3]
	;;#ASMEND
	v_perm_b32 v2, v11, v10, s0
	v_perm_b32 v3, v9, v8, s0
	;; [unrolled: 1-line block ×4, first 2 shown]
	buffer_store_dwordx4 v[2:5], v1, s[28:31], 0 offen
	;;#ASMSTART
	s_nop 0
	;;#ASMEND
	s_nop 0
	v_perm_b32 v2, v17, v16, s0
	v_perm_b32 v3, v25, v24, s0
	;; [unrolled: 1-line block ×4, first 2 shown]
	buffer_store_dwordx4 v[2:5], v1, s[28:31], 16 offen
	;;#ASMSTART
	s_nop 0
	;;#ASMEND
	s_endpgm
	.section	.rodata,"a",@progbits
	.p2align	6, 0x0
	.amdhsa_kernel _ZN5aiter35fused_qk_rmsnorm_group_quant_kernelItN4opus5fp4_tELi128ELi16ELi8ELb1ELb1ELb1ELb0ELb0ELb0EEEvPT0_PvPT_S7_S7_PKS6_S9_S9_S9_S9_ffiiiiiiiiiiiii
		.amdhsa_group_segment_fixed_size 16
		.amdhsa_private_segment_fixed_size 0
		.amdhsa_kernarg_size 400
		.amdhsa_user_sgpr_count 6
		.amdhsa_user_sgpr_private_segment_buffer 1
		.amdhsa_user_sgpr_dispatch_ptr 0
		.amdhsa_user_sgpr_queue_ptr 0
		.amdhsa_user_sgpr_kernarg_segment_ptr 1
		.amdhsa_user_sgpr_dispatch_id 0
		.amdhsa_user_sgpr_flat_scratch_init 0
		.amdhsa_user_sgpr_kernarg_preload_length 0
		.amdhsa_user_sgpr_kernarg_preload_offset 0
		.amdhsa_user_sgpr_private_segment_size 0
		.amdhsa_uses_dynamic_stack 0
		.amdhsa_system_sgpr_private_segment_wavefront_offset 0
		.amdhsa_system_sgpr_workgroup_id_x 1
		.amdhsa_system_sgpr_workgroup_id_y 1
		.amdhsa_system_sgpr_workgroup_id_z 0
		.amdhsa_system_sgpr_workgroup_info 0
		.amdhsa_system_vgpr_workitem_id 0
		.amdhsa_next_free_vgpr 76
		.amdhsa_next_free_sgpr 44
		.amdhsa_accum_offset 76
		.amdhsa_reserve_vcc 1
		.amdhsa_reserve_flat_scratch 0
		.amdhsa_float_round_mode_32 0
		.amdhsa_float_round_mode_16_64 0
		.amdhsa_float_denorm_mode_32 3
		.amdhsa_float_denorm_mode_16_64 3
		.amdhsa_dx10_clamp 1
		.amdhsa_ieee_mode 1
		.amdhsa_fp16_overflow 0
		.amdhsa_tg_split 0
		.amdhsa_exception_fp_ieee_invalid_op 0
		.amdhsa_exception_fp_denorm_src 0
		.amdhsa_exception_fp_ieee_div_zero 0
		.amdhsa_exception_fp_ieee_overflow 0
		.amdhsa_exception_fp_ieee_underflow 0
		.amdhsa_exception_fp_ieee_inexact 0
		.amdhsa_exception_int_div_zero 0
	.end_amdhsa_kernel
	.section	.text._ZN5aiter35fused_qk_rmsnorm_group_quant_kernelItN4opus5fp4_tELi128ELi16ELi8ELb1ELb1ELb1ELb0ELb0ELb0EEEvPT0_PvPT_S7_S7_PKS6_S9_S9_S9_S9_ffiiiiiiiiiiiii,"axG",@progbits,_ZN5aiter35fused_qk_rmsnorm_group_quant_kernelItN4opus5fp4_tELi128ELi16ELi8ELb1ELb1ELb1ELb0ELb0ELb0EEEvPT0_PvPT_S7_S7_PKS6_S9_S9_S9_S9_ffiiiiiiiiiiiii,comdat
.Lfunc_end620:
	.size	_ZN5aiter35fused_qk_rmsnorm_group_quant_kernelItN4opus5fp4_tELi128ELi16ELi8ELb1ELb1ELb1ELb0ELb0ELb0EEEvPT0_PvPT_S7_S7_PKS6_S9_S9_S9_S9_ffiiiiiiiiiiiii, .Lfunc_end620-_ZN5aiter35fused_qk_rmsnorm_group_quant_kernelItN4opus5fp4_tELi128ELi16ELi8ELb1ELb1ELb1ELb0ELb0ELb0EEEvPT0_PvPT_S7_S7_PKS6_S9_S9_S9_S9_ffiiiiiiiiiiiii
                                        ; -- End function
	.section	.AMDGPU.csdata,"",@progbits
; Kernel info:
; codeLenInByte = 4040
; NumSgprs: 48
; NumVgprs: 76
; NumAgprs: 0
; TotalNumVgprs: 76
; ScratchSize: 0
; MemoryBound: 0
; FloatMode: 240
; IeeeMode: 1
; LDSByteSize: 16 bytes/workgroup (compile time only)
; SGPRBlocks: 5
; VGPRBlocks: 9
; NumSGPRsForWavesPerEU: 48
; NumVGPRsForWavesPerEU: 76
; AccumOffset: 76
; Occupancy: 6
; WaveLimiterHint : 0
; COMPUTE_PGM_RSRC2:SCRATCH_EN: 0
; COMPUTE_PGM_RSRC2:USER_SGPR: 6
; COMPUTE_PGM_RSRC2:TRAP_HANDLER: 0
; COMPUTE_PGM_RSRC2:TGID_X_EN: 1
; COMPUTE_PGM_RSRC2:TGID_Y_EN: 1
; COMPUTE_PGM_RSRC2:TGID_Z_EN: 0
; COMPUTE_PGM_RSRC2:TIDIG_COMP_CNT: 0
; COMPUTE_PGM_RSRC3_GFX90A:ACCUM_OFFSET: 18
; COMPUTE_PGM_RSRC3_GFX90A:TG_SPLIT: 0
	.section	.text._ZN5aiter35fused_qk_rmsnorm_group_quant_kernelIDF16_DB8_Li128ELi16ELi8ELb1ELb1ELb0ELb0ELb0ELb0EEEvPT0_PvPT_S6_S6_PKS5_S8_S8_S8_S8_ffiiiiiiiiiiiii,"axG",@progbits,_ZN5aiter35fused_qk_rmsnorm_group_quant_kernelIDF16_DB8_Li128ELi16ELi8ELb1ELb1ELb0ELb0ELb0ELb0EEEvPT0_PvPT_S6_S6_PKS5_S8_S8_S8_S8_ffiiiiiiiiiiiii,comdat
	.protected	_ZN5aiter35fused_qk_rmsnorm_group_quant_kernelIDF16_DB8_Li128ELi16ELi8ELb1ELb1ELb0ELb0ELb0ELb0EEEvPT0_PvPT_S6_S6_PKS5_S8_S8_S8_S8_ffiiiiiiiiiiiii ; -- Begin function _ZN5aiter35fused_qk_rmsnorm_group_quant_kernelIDF16_DB8_Li128ELi16ELi8ELb1ELb1ELb0ELb0ELb0ELb0EEEvPT0_PvPT_S6_S6_PKS5_S8_S8_S8_S8_ffiiiiiiiiiiiii
	.globl	_ZN5aiter35fused_qk_rmsnorm_group_quant_kernelIDF16_DB8_Li128ELi16ELi8ELb1ELb1ELb0ELb0ELb0ELb0EEEvPT0_PvPT_S6_S6_PKS5_S8_S8_S8_S8_ffiiiiiiiiiiiii
	.p2align	8
	.type	_ZN5aiter35fused_qk_rmsnorm_group_quant_kernelIDF16_DB8_Li128ELi16ELi8ELb1ELb1ELb0ELb0ELb0ELb0EEEvPT0_PvPT_S6_S6_PKS5_S8_S8_S8_S8_ffiiiiiiiiiiiii,@function
_ZN5aiter35fused_qk_rmsnorm_group_quant_kernelIDF16_DB8_Li128ELi16ELi8ELb1ELb1ELb0ELb0ELb0ELb0EEEvPT0_PvPT_S6_S6_PKS5_S8_S8_S8_S8_ffiiiiiiiiiiiii: ; @_ZN5aiter35fused_qk_rmsnorm_group_quant_kernelIDF16_DB8_Li128ELi16ELi8ELb1ELb1ELb0ELb0ELb0ELb0EEEvPT0_PvPT_S6_S6_PKS5_S8_S8_S8_S8_ffiiiiiiiiiiiii
; %bb.0:
	s_load_dwordx8 s[20:27], s[4:5], 0x50
	s_waitcnt lgkmcnt(0)
	s_cmp_ge_i32 s6, s22
	s_cbranch_scc1 .LBB621_17
; %bb.1:
	s_cmp_lg_u32 s7, 0
	s_cselect_b64 s[10:11], -1, 0
	s_cmp_eq_u32 s7, 0
	s_cselect_b64 s[8:9], -1, 0
	s_and_b64 s[0:1], s[8:9], exec
	s_load_dwordx2 s[28:29], s[4:5], 0x48
	s_load_dwordx2 s[34:35], s[4:5], 0x30
	s_load_dwordx8 s[12:19], s[4:5], 0x70
	s_cselect_b32 s7, s23, s24
	s_add_i32 s0, s7, 1
	s_lshr_b32 s1, s0, 31
	s_add_i32 s0, s0, s1
	s_lshl_b32 s0, s0, 1
	v_lshlrev_b32_e32 v1, 4, v0
	s_and_b32 s38, s0, -4
	v_cmp_gt_i32_e64 s[0:1], s7, v1
	v_mov_b32_e32 v80, 0
	v_mov_b32_e32 v81, 0
	;; [unrolled: 1-line block ×16, first 2 shown]
	s_and_saveexec_b64 s[2:3], s[0:1]
	s_cbranch_execz .LBB621_3
; %bb.2:
	s_waitcnt lgkmcnt(0)
	s_load_dwordx2 s[18:19], s[4:5], 0x28
	s_load_dwordx2 s[30:31], s[4:5], 0x40
	s_and_b64 s[36:37], s[8:9], exec
	s_cselect_b32 s22, s25, s26
	s_mov_b32 s39, 0x20000
	s_waitcnt lgkmcnt(0)
	s_cselect_b32 s25, s19, s35
	s_cselect_b32 s33, s18, s34
	s_mul_hi_i32 s19, s22, s6
	s_mul_i32 s18, s22, s6
	s_lshl_b64 s[18:19], s[18:19], 1
	s_add_u32 s40, s33, s18
	s_addc_u32 s22, s25, s19
	s_and_b64 s[18:19], s[8:9], exec
	s_cselect_b32 s36, s30, s28
	s_cselect_b32 s18, s31, s29
	s_and_b32 s41, s22, 0xffff
	s_mov_b32 s42, s38
	s_mov_b32 s43, s39
	v_lshlrev_b32_e32 v2, 5, v0
	s_and_b32 s37, s18, 0xffff
	buffer_load_dwordx4 v[84:87], v2, s[40:43], 0 offen
	buffer_load_dwordx4 v[88:91], v2, s[40:43], 16 offen
	;; [unrolled: 1-line block ×4, first 2 shown]
.LBB621_3:
	s_or_b64 exec, exec, s[2:3]
	s_and_b64 vcc, exec, s[10:11]
	s_cbranch_vccz .LBB621_7
; %bb.4:
	v_mov_b32_e32 v93, 0
	v_mov_b32_e32 v92, 0
	;; [unrolled: 1-line block ×16, first 2 shown]
	s_and_saveexec_b64 s[2:3], s[0:1]
	s_cbranch_execz .LBB621_6
; %bb.5:
	s_waitcnt vmcnt(3)
	v_cvt_f32_f16_sdwa v59, v84 dst_sel:DWORD dst_unused:UNUSED_PAD src0_sel:WORD_1
	v_cvt_f32_f16_e32 v58, v84
	v_cvt_f32_f16_sdwa v29, v85 dst_sel:DWORD dst_unused:UNUSED_PAD src0_sel:WORD_1
	v_cvt_f32_f16_e32 v28, v85
	;; [unrolled: 2-line block ×4, first 2 shown]
	s_waitcnt vmcnt(2)
	v_cvt_f32_f16_sdwa v69, v88 dst_sel:DWORD dst_unused:UNUSED_PAD src0_sel:WORD_1
	v_cvt_f32_f16_e32 v68, v88
	v_cvt_f32_f16_sdwa v41, v89 dst_sel:DWORD dst_unused:UNUSED_PAD src0_sel:WORD_1
	v_cvt_f32_f16_e32 v40, v89
	;; [unrolled: 2-line block ×4, first 2 shown]
.LBB621_6:
	s_or_b64 exec, exec, s[2:3]
	s_cbranch_execz .LBB621_8
	s_branch .LBB621_11
.LBB621_7:
                                        ; implicit-def: $vgpr26_vgpr27_vgpr28_vgpr29_vgpr30_vgpr31_vgpr32_vgpr33_vgpr34_vgpr35_vgpr36_vgpr37_vgpr38_vgpr39_vgpr40_vgpr41
                                        ; implicit-def: $vgpr58_vgpr59_vgpr60_vgpr61_vgpr62_vgpr63_vgpr64_vgpr65_vgpr66_vgpr67_vgpr68_vgpr69_vgpr70_vgpr71_vgpr72_vgpr73
                                        ; implicit-def: $vgpr42_vgpr43_vgpr44_vgpr45_vgpr46_vgpr47_vgpr48_vgpr49_vgpr50_vgpr51_vgpr52_vgpr53_vgpr54_vgpr55_vgpr56_vgpr57
                                        ; implicit-def: $vgpr12_vgpr13_vgpr14_vgpr15_vgpr16_vgpr17_vgpr18_vgpr19_vgpr20_vgpr21_vgpr22_vgpr23_vgpr24_vgpr25_vgpr26_vgpr27
                                        ; implicit-def: $vgpr93
                                        ; implicit-def: $vgpr60_vgpr61_vgpr62_vgpr63_vgpr64_vgpr65_vgpr66_vgpr67_vgpr68_vgpr69_vgpr70_vgpr71_vgpr72_vgpr73_vgpr74_vgpr75
                                        ; implicit-def: $vgpr30_vgpr31_vgpr32_vgpr33_vgpr34_vgpr35_vgpr36_vgpr37_vgpr38_vgpr39_vgpr40_vgpr41_vgpr42_vgpr43_vgpr44_vgpr45
                                        ; implicit-def: $vgpr2_vgpr3_vgpr4_vgpr5_vgpr6_vgpr7_vgpr8_vgpr9_vgpr10_vgpr11_vgpr12_vgpr13_vgpr14_vgpr15_vgpr16_vgpr17
.LBB621_8:
	v_mov_b32_e32 v93, 0
	v_mov_b32_e32 v92, 0
	;; [unrolled: 1-line block ×16, first 2 shown]
	s_and_saveexec_b64 s[2:3], s[0:1]
	s_cbranch_execz .LBB621_10
; %bb.9:
	s_waitcnt lgkmcnt(0)
	s_load_dwordx2 s[18:19], s[4:5], 0x38
	s_mul_hi_i32 s31, s27, s6
	s_mul_i32 s30, s27, s6
	s_lshl_b64 s[30:31], s[30:31], 1
	s_mov_b32 s39, 0x20000
	s_waitcnt lgkmcnt(0)
	s_add_u32 s36, s18, s30
	s_addc_u32 s18, s19, s31
	s_and_b32 s37, s18, 0xffff
	v_lshlrev_b32_e32 v38, 5, v0
	buffer_load_dwordx4 v[6:9], v38, s[36:39], 16 offen
	buffer_load_dwordx4 v[10:13], v38, s[36:39], 0 offen
	s_waitcnt vmcnt(5)
	v_cvt_f32_f16_sdwa v19, v86 dst_sel:DWORD dst_unused:UNUSED_PAD src0_sel:WORD_1
	v_cvt_f32_f16_e32 v18, v86
	v_cvt_f32_f16_sdwa v25, v87 dst_sel:DWORD dst_unused:UNUSED_PAD src0_sel:WORD_1
	v_cvt_f32_f16_e32 v24, v87
	;; [unrolled: 2-line block ×4, first 2 shown]
	s_load_dwordx2 s[18:19], s[4:5], 0x20
	s_waitcnt vmcnt(4)
	v_cvt_f32_f16_sdwa v3, v88 dst_sel:DWORD dst_unused:UNUSED_PAD src0_sel:WORD_1
	v_cvt_f32_f16_e32 v2, v88
	v_cvt_f32_f16_sdwa v5, v89 dst_sel:DWORD dst_unused:UNUSED_PAD src0_sel:WORD_1
	v_cvt_f32_f16_e32 v4, v89
	;; [unrolled: 2-line block ×4, first 2 shown]
	s_mul_hi_i32 s31, s17, s6
	s_mul_i32 s30, s17, s6
	s_lshl_b64 s[30:31], s[30:31], 1
	s_waitcnt lgkmcnt(0)
	s_add_u32 s36, s18, s30
	s_addc_u32 s17, s19, s31
	s_and_b32 s37, s17, 0xffff
	s_waitcnt vmcnt(1)
	v_cvt_f32_f16_e32 v26, v6
	v_cvt_f32_f16_sdwa v27, v6 dst_sel:DWORD dst_unused:UNUSED_PAD src0_sel:WORD_1
	v_cvt_f32_f16_e32 v30, v7
	v_cvt_f32_f16_sdwa v31, v7 dst_sel:DWORD dst_unused:UNUSED_PAD src0_sel:WORD_1
	;; [unrolled: 2-line block ×4, first 2 shown]
	s_waitcnt vmcnt(0)
	v_cvt_f32_f16_e32 v6, v12
	v_cvt_f32_f16_sdwa v7, v12 dst_sel:DWORD dst_unused:UNUSED_PAD src0_sel:WORD_1
	v_cvt_f32_f16_e32 v8, v13
	v_cvt_f32_f16_sdwa v9, v13 dst_sel:DWORD dst_unused:UNUSED_PAD src0_sel:WORD_1
	;; [unrolled: 2-line block ×4, first 2 shown]
	v_pk_add_f32 v[46:47], v[18:19], v[6:7]
	v_pk_add_f32 v[18:19], v[24:25], v[8:9]
	v_cvt_f16_f32_e32 v6, v47
	v_cvt_f16_f32_e32 v7, v19
	;; [unrolled: 1-line block ×4, first 2 shown]
	v_pk_add_f32 v[28:29], v[22:23], v[10:11]
	v_pk_add_f32 v[58:59], v[20:21], v[36:37]
	v_pack_b32_f16 v9, v8, v7
	v_pack_b32_f16 v8, v12, v6
	v_cvt_f16_f32_e32 v6, v29
	v_cvt_f16_f32_e32 v7, v28
	;; [unrolled: 1-line block ×3, first 2 shown]
	v_pk_add_f32 v[92:93], v[16:17], v[34:35]
	v_pk_add_f32 v[14:15], v[14:15], v[32:33]
	v_pack_b32_f16 v7, v7, v6
	v_cvt_f16_f32_e32 v6, v59
	v_pk_add_f32 v[40:41], v[4:5], v[30:31]
	v_pk_add_f32 v[68:69], v[2:3], v[26:27]
	v_cvt_f16_f32_e32 v4, v40
	v_pack_b32_f16 v6, v10, v6
	buffer_store_dwordx4 v[6:9], v38, s[36:39], 0 offen
	v_cvt_f16_f32_e32 v5, v41
	v_cvt_f16_f32_e32 v6, v14
	;; [unrolled: 1-line block ×7, first 2 shown]
	v_pack_b32_f16 v7, v7, v8
	v_pack_b32_f16 v6, v6, v9
	v_pack_b32_f16 v5, v4, v5
	v_pack_b32_f16 v4, v2, v3
	;;#ASMSTART
	s_nop 0
	;;#ASMEND
	buffer_store_dwordx4 v[4:7], v38, s[36:39], 16 offen
	;;#ASMSTART
	s_nop 0
	;;#ASMEND
.LBB621_10:
	s_or_b64 exec, exec, s[2:3]
.LBB621_11:
	v_mul_f32_e32 v2, v59, v59
	v_fmac_f32_e32 v2, v58, v58
	v_fmac_f32_e32 v2, v28, v28
	;; [unrolled: 1-line block ×15, first 2 shown]
	s_nop 1
	v_mov_b32_dpp v3, v2 quad_perm:[1,0,3,2] row_mask:0xf bank_mask:0xf
	v_add_f32_e32 v2, v2, v3
	s_nop 1
	v_mov_b32_dpp v3, v2 quad_perm:[2,3,0,1] row_mask:0xf bank_mask:0xf
	v_add_f32_e32 v2, v2, v3
	s_nop 1
	v_mov_b32_dpp v3, v2 row_half_mirror row_mask:0xf bank_mask:0xf
	v_add_f32_e32 v2, v2, v3
	s_nop 1
	v_mov_b32_dpp v3, v2 row_mirror row_mask:0xf bank_mask:0xf
	v_add_f32_e32 v2, v2, v3
	s_nop 1
	v_mov_b32_dpp v3, v2 row_bcast:15 row_mask:0xf bank_mask:0xf
	v_add_f32_e32 v2, v2, v3
	v_and_b32_e32 v3, 63, v0
	v_cmp_eq_u32_e64 s[2:3], 63, v3
	s_nop 0
	v_mov_b32_dpp v3, v2 row_bcast:31 row_mask:0xf bank_mask:0xf
	s_waitcnt lgkmcnt(0)
	s_and_saveexec_b64 s[18:19], s[2:3]
	s_cbranch_execz .LBB621_13
; %bb.12:
	v_add_f32_e32 v2, v2, v3
	v_lshrrev_b32_e32 v3, 4, v0
	v_and_b32_e32 v3, 60, v3
	ds_write_b32 v3, v2 offset:8
.LBB621_13:
	s_or_b64 exec, exec, s[18:19]
	v_and_b32_e32 v2, 1, v0
	v_lshlrev_b32_e32 v34, 2, v2
	s_waitcnt lgkmcnt(0)
	s_barrier
	ds_read_b32 v2, v34 offset:8
	s_load_dwordx2 s[18:19], s[4:5], 0x18
	s_waitcnt lgkmcnt(0)
	v_mov_b32_dpp v3, v2 quad_perm:[1,0,3,2] row_mask:0xf bank_mask:0xf
	s_and_saveexec_b64 s[30:31], s[0:1]
	s_cbranch_execnz .LBB621_18
; %bb.14:
	s_or_b64 exec, exec, s[30:31]
	s_mov_b64 s[8:9], -1
	s_and_b64 vcc, exec, s[10:11]
	s_cbranch_vccnz .LBB621_19
.LBB621_15:
	s_andn2_b64 vcc, exec, s[8:9]
	s_cbranch_vccz .LBB621_22
.LBB621_16:
	s_cmp_lt_i32 s24, 1
	s_cbranch_scc0 .LBB621_31
.LBB621_17:
	s_endpgm
.LBB621_18:
	v_add_f32_e32 v2, v2, v3
	v_cvt_f32_u32_e32 v3, s7
	s_mov_b32 s7, 0x800000
	s_waitcnt vmcnt(1)
	v_cvt_f32_f16_sdwa v21, v81 dst_sel:DWORD dst_unused:UNUSED_PAD src0_sel:WORD_1
	v_cvt_f32_f16_e32 v20, v81
	v_div_scale_f32 v4, s[36:37], v3, v3, v2
	v_rcp_f32_e32 v5, v4
	s_waitcnt vmcnt(0)
	v_cvt_f32_f16_sdwa v23, v77 dst_sel:DWORD dst_unused:UNUSED_PAD src0_sel:WORD_1
	v_cvt_f32_f16_e32 v22, v77
	v_cvt_f32_f16_sdwa v25, v78 dst_sel:DWORD dst_unused:UNUSED_PAD src0_sel:WORD_1
	v_fma_f32 v6, -v4, v5, 1.0
	v_fmac_f32_e32 v5, v6, v5
	v_div_scale_f32 v6, vcc, v2, v3, v2
	v_mul_f32_e32 v7, v6, v5
	v_fma_f32 v8, -v4, v7, v6
	v_fmac_f32_e32 v7, v8, v5
	v_fma_f32 v4, -v4, v7, v6
	v_div_fmas_f32 v4, v4, v5, v7
	v_div_fixup_f32 v2, v4, v3, v2
	v_mov_b32_e32 v3, s21
	v_mov_b32_e32 v4, s20
	v_cndmask_b32_e64 v3, v3, v4, s[8:9]
	v_add_f32_e32 v2, v3, v2
	v_mul_f32_e32 v3, 0x4b800000, v2
	v_cmp_gt_f32_e32 vcc, s7, v2
	v_cndmask_b32_e32 v2, v2, v3, vcc
	v_rsq_f32_e32 v2, v2
	v_cvt_f32_f16_e32 v24, v78
	v_cvt_f32_f16_sdwa v27, v79 dst_sel:DWORD dst_unused:UNUSED_PAD src0_sel:WORD_1
	v_cvt_f32_f16_e32 v26, v79
	v_mul_f32_e32 v3, 0x45800000, v2
	v_cndmask_b32_e32 v2, v2, v3, vcc
	v_mov_b32_e32 v3, v2
	;;#ASMSTART
	v_pk_mul_f32 v[4:5], v[58:59], v[2:3]
	;;#ASMEND
	;;#ASMSTART
	v_pk_mul_f32 v[6:7], v[28:29], v[2:3]
	;;#ASMEND
	;; [unrolled: 3-line block ×6, first 2 shown]
	v_cvt_f32_f16_sdwa v19, v80 dst_sel:DWORD dst_unused:UNUSED_PAD src0_sel:WORD_1
	v_cvt_f32_f16_e32 v18, v80
	;;#ASMSTART
	v_pk_mul_f32 v[14:15], v[14:15], v[2:3]
	;;#ASMEND
	;;#ASMSTART
	v_pk_mul_f32 v[2:3], v[92:93], v[2:3]
	;;#ASMEND
	;; [unrolled: 3-line block ×4, first 2 shown]
	v_cvt_f32_f16_sdwa v5, v82 dst_sel:DWORD dst_unused:UNUSED_PAD src0_sel:WORD_1
	v_cvt_f32_f16_e32 v4, v82
	v_cvt_f32_f16_sdwa v7, v83 dst_sel:DWORD dst_unused:UNUSED_PAD src0_sel:WORD_1
	v_cvt_f32_f16_e32 v6, v83
	;; [unrolled: 2-line block ×3, first 2 shown]
	;;#ASMSTART
	v_pk_mul_f32 v[46:47], v[8:9], v[4:5]
	;;#ASMEND
	;;#ASMSTART
	v_pk_mul_f32 v[18:19], v[10:11], v[6:7]
	;;#ASMEND
	;; [unrolled: 3-line block ×6, first 2 shown]
	s_or_b64 exec, exec, s[30:31]
	s_mov_b64 s[8:9], -1
	s_and_b64 vcc, exec, s[10:11]
	s_cbranch_vccz .LBB621_15
.LBB621_19:
	s_and_saveexec_b64 s[8:9], s[0:1]
	s_cbranch_execz .LBB621_21
; %bb.20:
	v_cvt_f16_f32_e32 v2, v46
	v_cvt_f16_f32_e32 v3, v18
	;; [unrolled: 1-line block ×4, first 2 shown]
	s_mul_hi_i32 s11, s16, s6
	s_mul_i32 s10, s16, s6
	v_pack_b32_f16 v5, v3, v4
	v_pack_b32_f16 v4, v2, v6
	v_cvt_f16_f32_e32 v2, v28
	v_cvt_f16_f32_e32 v3, v29
	;; [unrolled: 1-line block ×3, first 2 shown]
	s_lshl_b64 s[10:11], s[10:11], 1
	s_add_u32 s36, s18, s10
	v_pack_b32_f16 v3, v2, v3
	v_cvt_f16_f32_e32 v2, v58
	s_addc_u32 s7, s19, s11
	s_and_b32 s37, s7, 0xffff
	s_mov_b32 s39, 0x20000
	v_pack_b32_f16 v2, v2, v6
	v_lshlrev_b32_e32 v6, 5, v0
	buffer_store_dwordx4 v[2:5], v6, s[36:39], 0 offen
	v_cvt_f16_f32_e32 v7, v15
	v_cvt_f16_f32_e32 v2, v14
	;; [unrolled: 1-line block ×4, first 2 shown]
	;;#ASMSTART
	s_nop 0
	;;#ASMEND
	v_pack_b32_f16 v5, v3, v4
	v_pack_b32_f16 v4, v2, v7
	v_cvt_f16_f32_e32 v2, v40
	v_cvt_f16_f32_e32 v3, v41
	;; [unrolled: 1-line block ×3, first 2 shown]
	v_pack_b32_f16 v3, v2, v3
	v_cvt_f16_f32_e32 v2, v68
	v_pack_b32_f16 v2, v2, v7
	buffer_store_dwordx4 v[2:5], v6, s[36:39], 16 offen
	;;#ASMSTART
	s_nop 0
	;;#ASMEND
.LBB621_21:
	s_or_b64 exec, exec, s[8:9]
	s_cbranch_execnz .LBB621_16
.LBB621_22:
	v_mov_b32_e32 v2, 0
	s_and_saveexec_b64 s[8:9], s[0:1]
	s_cbranch_execz .LBB621_24
; %bb.23:
	v_cvt_f16_f32_e32 v2, v46
	v_cvt_f16_f32_e32 v3, v18
	;; [unrolled: 1-line block ×4, first 2 shown]
	s_load_dwordx2 s[10:11], s[4:5], 0x10
	s_mul_hi_i32 s31, s15, s6
	v_pack_b32_f16 v5, v3, v4
	v_pack_b32_f16 v4, v2, v6
	v_cvt_f16_f32_e32 v2, v28
	v_cvt_f16_f32_e32 v3, v29
	;; [unrolled: 1-line block ×3, first 2 shown]
	s_mul_i32 s30, s15, s6
	s_lshl_b64 s[30:31], s[30:31], 1
	v_pack_b32_f16 v3, v2, v3
	v_cvt_f16_f32_e32 v2, v58
	s_waitcnt lgkmcnt(0)
	s_add_u32 s36, s10, s30
	s_addc_u32 s7, s11, s31
	s_and_b32 s37, s7, 0xffff
	v_pack_b32_f16 v2, v2, v6
	s_mov_b32 s39, 0x20000
	v_lshlrev_b32_e32 v6, 5, v0
	buffer_store_dwordx4 v[2:5], v6, s[36:39], 0 offen
	v_cvt_f16_f32_e32 v7, v15
	v_cvt_f16_f32_e32 v2, v14
	;; [unrolled: 1-line block ×4, first 2 shown]
	;;#ASMSTART
	s_nop 0
	;;#ASMEND
	v_pack_b32_f16 v5, v3, v4
	v_pack_b32_f16 v4, v2, v7
	v_cvt_f16_f32_e32 v2, v40
	v_cvt_f16_f32_e32 v3, v41
	;; [unrolled: 1-line block ×3, first 2 shown]
	v_pack_b32_f16 v3, v2, v3
	v_cvt_f16_f32_e32 v2, v68
	v_pack_b32_f16 v2, v2, v7
	buffer_store_dwordx4 v[2:5], v6, s[36:39], 16 offen
	;;#ASMSTART
	s_nop 0
	;;#ASMEND
	s_nop 0
	v_mov_b32_e32 v2, 0x2edbe6ff
.LBB621_24:
	s_or_b64 exec, exec, s[8:9]
	s_and_saveexec_b64 s[8:9], s[0:1]
	s_cbranch_execz .LBB621_26
; %bb.25:
	v_and_b32_e32 v3, 0x7fffffff, v58
	v_and_b32_e32 v4, 0x7fffffff, v59
	;;#ASMSTART
	v_max3_f32 v2, v2, v3, v4

	;;#ASMEND
	v_and_b32_e32 v3, 0x7fffffff, v28
	v_and_b32_e32 v4, 0x7fffffff, v29
	;;#ASMSTART
	v_max3_f32 v2, v2, v3, v4

	;;#ASMEND
	;; [unrolled: 6-line block ×8, first 2 shown]
.LBB621_26:
	s_or_b64 exec, exec, s[8:9]
	;;#ASMSTART
	v_max_f32 v3, v2, v2 quad_perm:[1,0,3,2] row_mask:0xf bank_mask:0xf bound_ctrl:1
	;;#ASMEND
	;;#ASMSTART
	v_max_f32 v2, v3, v3 quad_perm:[2,3,0,1] row_mask:0xf bank_mask:0xf bound_ctrl:1
	;;#ASMEND
	;;#ASMSTART
	v_max_f32 v3, v2, v2 row_half_mirror row_mask:0xf bank_mask:0xf bound_ctrl:1
	;;#ASMEND
	v_mul_f32_e32 v2, 0x3b124925, v3
	v_and_b32_e32 v3, 7, v0
	v_cmp_eq_u32_e32 vcc, 0, v3
	v_cmp_gt_i32_e64 s[8:9], s23, v1
	s_and_b64 s[10:11], vcc, s[8:9]
	s_and_saveexec_b64 s[8:9], s[10:11]
	s_cbranch_execz .LBB621_28
; %bb.27:
	s_load_dwordx2 s[10:11], s[4:5], 0x8
	v_lshrrev_b32_e32 v3, 3, v0
	s_mul_hi_i32 s31, s13, s6
	s_mul_i32 s30, s13, s6
	v_mad_i64_i32 v[4:5], s[14:15], s14, v3, 0
	s_lshl_b64 s[14:15], s[30:31], 2
	s_waitcnt lgkmcnt(0)
	s_add_u32 s7, s10, s14
	s_addc_u32 s10, s11, s15
	v_lshlrev_b64 v[4:5], 2, v[4:5]
	v_mov_b32_e32 v3, s10
	v_add_co_u32_e32 v4, vcc, s7, v4
	v_addc_co_u32_e32 v5, vcc, v3, v5, vcc
	global_store_dword v[4:5], v2, off
.LBB621_28:
	s_or_b64 exec, exec, s[8:9]
	;;#ASMSTART
	v_rcp_f32 v2, v2
	;;#ASMEND
	s_and_saveexec_b64 s[14:15], s[0:1]
	s_cbranch_execz .LBB621_30
; %bb.29:
	v_mov_b32_e32 v3, v2
	;;#ASMSTART
	v_pk_mul_f32 v[4:5], v[58:59], v[2:3]
	;;#ASMEND
	v_mov_b32_e32 v10, 0xc3e00000
	v_mov_b32_e32 v11, 0x43e00000
	;;#ASMSTART
	v_med3_f32 v4, v4, v10, v11
v_med3_f32 v5, v5, v10, v11
v_cvt_pk_fp8_f32 v6, v4, v5
	;;#ASMEND
	;;#ASMSTART
	v_pk_mul_f32 v[4:5], v[28:29], v[2:3]
	;;#ASMEND
	;;#ASMSTART
	v_med3_f32 v4, v4, v10, v11
v_med3_f32 v5, v5, v10, v11
v_cvt_pk_fp8_f32 v7, v4, v5
	;;#ASMEND
	;;#ASMSTART
	v_pk_mul_f32 v[4:5], v[46:47], v[2:3]
	;;#ASMEND
	;; [unrolled: 8-line block ×3, first 2 shown]
	;;#ASMSTART
	v_med3_f32 v4, v4, v10, v11
v_med3_f32 v5, v5, v10, v11
v_cvt_pk_fp8_f32 v9, v4, v5
	;;#ASMEND
	s_mov_b32 s0, 0x5040100
	v_perm_b32 v4, v7, v6, s0
	s_mov_b32 s0, 0x1060504
	v_perm_b32 v4, v4, v7, s0
	s_load_dwordx2 s[0:1], s[4:5], 0x0
	s_mov_b32 s7, 0x1000504
	;;#ASMSTART
	v_pk_mul_f32 v[6:7], v[68:69], v[2:3]
	;;#ASMEND
	v_perm_b32 v5, v8, v9, s7
	s_mul_i32 s8, s12, s6
	;;#ASMSTART
	v_med3_f32 v6, v6, v10, v11
v_med3_f32 v7, v7, v10, v11
v_cvt_pk_fp8_f32 v8, v6, v7
	;;#ASMEND
	s_mul_hi_i32 s9, s12, s6
	s_waitcnt lgkmcnt(0)
	s_add_u32 s8, s0, s8
	;;#ASMSTART
	v_pk_mul_f32 v[6:7], v[40:41], v[2:3]
	;;#ASMEND
	s_addc_u32 s0, s1, s9
	s_add_i32 s1, s23, 3
	;;#ASMSTART
	v_med3_f32 v6, v6, v10, v11
v_med3_f32 v7, v7, v10, v11
v_cvt_pk_fp8_f32 v9, v6, v7
	;;#ASMEND
	s_ashr_i32 s9, s1, 31
	v_perm_b32 v6, v8, v9, s7
	;;#ASMSTART
	v_pk_mul_f32 v[8:9], v[14:15], v[2:3]
	;;#ASMEND
	v_mov_b32_e32 v7, v9
	s_lshr_b32 s9, s9, 30
	;;#ASMSTART
	v_med3_f32 v8, v8, v10, v11
v_med3_f32 v7, v7, v10, v11
v_cvt_pk_fp8_f32 v9, v8, v7
	;;#ASMEND
	;;#ASMSTART
	v_pk_mul_f32 v[2:3], v[92:93], v[2:3]
	;;#ASMEND
	s_add_i32 s1, s1, s9
	;;#ASMSTART
	v_med3_f32 v2, v2, v10, v11
v_med3_f32 v3, v3, v10, v11
v_cvt_pk_fp8_f32 v7, v2, v3
	;;#ASMEND
	s_and_b32 s10, s1, -4
	s_and_b32 s9, s0, 0xffff
	s_mov_b32 s11, 0x20000
	v_perm_b32 v7, v9, v7, s7
	buffer_store_dwordx4 v[4:7], v1, s[8:11], 0 offen
	;;#ASMSTART
	s_nop 0
	;;#ASMEND
.LBB621_30:
	s_or_b64 exec, exec, s[14:15]
	s_cmp_lt_i32 s24, 1
	s_cbranch_scc1 .LBB621_17
.LBB621_31:
	s_load_dword s0, s[4:5], 0x94
	s_waitcnt lgkmcnt(0)
	s_cmp_lg_u32 s0, 1
	s_cbranch_scc1 .LBB621_17
; %bb.32:
	s_lshl_b32 s0, s24, 1
	s_add_i32 s0, s0, 2
	v_cmp_gt_u32_e32 vcc, s24, v1
	s_and_b32 s30, s0, -4
	v_mov_b32_e32 v18, 0
	v_lshlrev_b32_e32 v1, 5, v0
	v_mov_b32_e32 v14, 0
	v_mov_b32_e32 v15, 0
	;; [unrolled: 1-line block ×16, first 2 shown]
	s_barrier
	s_and_saveexec_b64 s[0:1], vcc
	s_cbranch_execz .LBB621_34
; %bb.33:
	s_mul_hi_i32 s5, s26, s6
	s_mul_i32 s4, s26, s6
	s_and_b32 s29, s29, 0xffff
	s_lshl_b64 s[4:5], s[4:5], 1
	s_add_u32 s8, s34, s4
	s_mov_b32 s31, 0x20000
	s_addc_u32 s4, s35, s5
	s_and_b32 s9, s4, 0xffff
	s_mov_b32 s10, s30
	s_mov_b32 s11, s31
	buffer_load_dwordx4 v[14:17], v1, s[8:11], 0 offen
	buffer_load_dwordx4 v[10:13], v1, s[8:11], 16 offen
	;; [unrolled: 1-line block ×4, first 2 shown]
.LBB621_34:
	s_or_b64 exec, exec, s[0:1]
	v_mov_b32_e32 v19, 0
	v_mov_b32_e32 v32, 0
	;; [unrolled: 1-line block ×15, first 2 shown]
	s_and_saveexec_b64 s[0:1], vcc
	s_cbranch_execz .LBB621_36
; %bb.35:
	s_waitcnt vmcnt(3)
	v_cvt_f32_f16_sdwa v19, v14 dst_sel:DWORD dst_unused:UNUSED_PAD src0_sel:WORD_1
	v_cvt_f32_f16_e32 v18, v14
	v_cvt_f32_f16_sdwa v33, v15 dst_sel:DWORD dst_unused:UNUSED_PAD src0_sel:WORD_1
	v_cvt_f32_f16_e32 v32, v15
	;; [unrolled: 2-line block ×4, first 2 shown]
	s_waitcnt vmcnt(2)
	v_cvt_f32_f16_sdwa v27, v10 dst_sel:DWORD dst_unused:UNUSED_PAD src0_sel:WORD_1
	v_cvt_f32_f16_e32 v26, v10
	v_cvt_f32_f16_sdwa v25, v11 dst_sel:DWORD dst_unused:UNUSED_PAD src0_sel:WORD_1
	v_cvt_f32_f16_e32 v24, v11
	;; [unrolled: 2-line block ×4, first 2 shown]
.LBB621_36:
	s_or_b64 exec, exec, s[0:1]
	s_waitcnt vmcnt(2)
	v_mul_f32_e32 v10, v19, v19
	v_fmac_f32_e32 v10, v18, v18
	v_fmac_f32_e32 v10, v32, v32
	;; [unrolled: 1-line block ×15, first 2 shown]
	s_nop 1
	v_mov_b32_dpp v11, v10 quad_perm:[1,0,3,2] row_mask:0xf bank_mask:0xf
	v_add_f32_e32 v10, v10, v11
	s_nop 1
	v_mov_b32_dpp v11, v10 quad_perm:[2,3,0,1] row_mask:0xf bank_mask:0xf
	v_add_f32_e32 v10, v10, v11
	s_nop 1
	v_mov_b32_dpp v11, v10 row_half_mirror row_mask:0xf bank_mask:0xf
	v_add_f32_e32 v10, v10, v11
	s_nop 1
	v_mov_b32_dpp v11, v10 row_mirror row_mask:0xf bank_mask:0xf
	v_add_f32_e32 v10, v10, v11
	s_nop 1
	v_mov_b32_dpp v11, v10 row_bcast:15 row_mask:0xf bank_mask:0xf
	v_add_f32_e32 v10, v10, v11
	s_nop 1
	v_mov_b32_dpp v11, v10 row_bcast:31 row_mask:0xf bank_mask:0xf
	s_and_saveexec_b64 s[0:1], s[2:3]
	s_cbranch_execz .LBB621_38
; %bb.37:
	v_lshrrev_b32_e32 v0, 4, v0
	v_add_f32_e32 v10, v10, v11
	v_and_b32_e32 v0, 60, v0
	ds_write_b32 v0, v10
.LBB621_38:
	s_or_b64 exec, exec, s[0:1]
	s_waitcnt lgkmcnt(0)
	s_barrier
	ds_read_b32 v0, v34
	s_waitcnt lgkmcnt(0)
	s_nop 0
	v_mov_b32_dpp v10, v0 quad_perm:[1,0,3,2] row_mask:0xf bank_mask:0xf
	s_and_saveexec_b64 s[0:1], vcc
	s_cbranch_execz .LBB621_17
; %bb.39:
	v_cvt_f32_u32_e32 v11, s24
	v_add_f32_e32 v0, v0, v10
	s_mov_b32 s31, 0x20000
	v_div_scale_f32 v10, s[0:1], v11, v11, v0
	v_rcp_f32_e32 v12, v10
	v_div_scale_f32 v13, vcc, v0, v11, v0
	s_mov_b32 s0, 0x800000
	v_fma_f32 v14, -v10, v12, 1.0
	v_fmac_f32_e32 v12, v14, v12
	v_mul_f32_e32 v14, v13, v12
	v_fma_f32 v15, -v10, v14, v13
	v_fmac_f32_e32 v14, v15, v12
	v_fma_f32 v10, -v10, v14, v13
	v_div_fmas_f32 v10, v10, v12, v14
	v_div_fixup_f32 v0, v10, v11, v0
	v_add_f32_e32 v0, s21, v0
	v_mul_f32_e32 v10, 0x4b800000, v0
	v_cmp_gt_f32_e32 vcc, s0, v0
	v_cndmask_b32_e32 v0, v0, v10, vcc
	v_rsq_f32_e32 v0, v0
	s_mul_hi_i32 s1, s16, s6
	s_mul_i32 s0, s16, s6
	s_lshl_b64 s[0:1], s[0:1], 1
	v_mul_f32_e32 v10, 0x45800000, v0
	v_cndmask_b32_e32 v10, v0, v10, vcc
	v_mov_b32_e32 v11, v10
	;;#ASMSTART
	v_pk_mul_f32 v[12:13], v[18:19], v[10:11]
	;;#ASMEND
	;;#ASMSTART
	v_pk_mul_f32 v[14:15], v[32:33], v[10:11]
	;;#ASMEND
	;; [unrolled: 3-line block ×8, first 2 shown]
	s_waitcnt vmcnt(1)
	v_cvt_f32_f16_sdwa v21, v6 dst_sel:DWORD dst_unused:UNUSED_PAD src0_sel:WORD_1
	v_cvt_f32_f16_e32 v20, v6
	v_cvt_f32_f16_sdwa v29, v7 dst_sel:DWORD dst_unused:UNUSED_PAD src0_sel:WORD_1
	v_cvt_f32_f16_e32 v28, v7
	;; [unrolled: 2-line block ×4, first 2 shown]
	;;#ASMSTART
	v_pk_mul_f32 v[8:9], v[12:13], v[20:21]
	;;#ASMEND
	;;#ASMSTART
	v_pk_mul_f32 v[12:13], v[14:15], v[28:29]
	;;#ASMEND
	;; [unrolled: 3-line block ×4, first 2 shown]
	s_waitcnt vmcnt(0)
	v_cvt_f32_f16_sdwa v17, v2 dst_sel:DWORD dst_unused:UNUSED_PAD src0_sel:WORD_1
	v_cvt_f32_f16_e32 v16, v2
	v_cvt_f32_f16_sdwa v19, v3 dst_sel:DWORD dst_unused:UNUSED_PAD src0_sel:WORD_1
	v_cvt_f32_f16_e32 v18, v3
	;; [unrolled: 2-line block ×4, first 2 shown]
	;;#ASMSTART
	v_pk_mul_f32 v[16:17], v[26:27], v[16:17]
	;;#ASMEND
	;;#ASMSTART
	v_pk_mul_f32 v[18:19], v[24:25], v[18:19]
	;;#ASMEND
	;; [unrolled: 3-line block ×3, first 2 shown]
	v_cvt_f16_f32_e32 v0, v8
	v_cvt_f16_f32_e32 v2, v9
	;; [unrolled: 1-line block ×8, first 2 shown]
	s_add_u32 s28, s18, s0
	s_addc_u32 s0, s19, s1
	s_and_b32 s29, s0, 0xffff
	v_pack_b32_f16 v2, v0, v2
	v_pack_b32_f16 v3, v3, v4
	;; [unrolled: 1-line block ×4, first 2 shown]
	;;#ASMSTART
	v_pk_mul_f32 v[10:11], v[10:11], v[20:21]
	;;#ASMEND
	buffer_store_dwordx4 v[2:5], v1, s[28:31], 0 offen
	v_cvt_f16_f32_e32 v0, v16
	v_cvt_f16_f32_e32 v2, v17
	v_cvt_f16_f32_e32 v3, v18
	v_cvt_f16_f32_e32 v4, v19
	v_cvt_f16_f32_e32 v5, v22
	v_cvt_f16_f32_e32 v6, v23
	v_cvt_f16_f32_e32 v7, v10
	v_cvt_f16_f32_e32 v8, v11
	v_pack_b32_f16 v2, v0, v2
	v_pack_b32_f16 v3, v3, v4
	;; [unrolled: 1-line block ×4, first 2 shown]
	;;#ASMSTART
	s_nop 0
	;;#ASMEND
	buffer_store_dwordx4 v[2:5], v1, s[28:31], 16 offen
	;;#ASMSTART
	s_nop 0
	;;#ASMEND
	s_endpgm
	.section	.rodata,"a",@progbits
	.p2align	6, 0x0
	.amdhsa_kernel _ZN5aiter35fused_qk_rmsnorm_group_quant_kernelIDF16_DB8_Li128ELi16ELi8ELb1ELb1ELb0ELb0ELb0ELb0EEEvPT0_PvPT_S6_S6_PKS5_S8_S8_S8_S8_ffiiiiiiiiiiiii
		.amdhsa_group_segment_fixed_size 16
		.amdhsa_private_segment_fixed_size 0
		.amdhsa_kernarg_size 400
		.amdhsa_user_sgpr_count 6
		.amdhsa_user_sgpr_private_segment_buffer 1
		.amdhsa_user_sgpr_dispatch_ptr 0
		.amdhsa_user_sgpr_queue_ptr 0
		.amdhsa_user_sgpr_kernarg_segment_ptr 1
		.amdhsa_user_sgpr_dispatch_id 0
		.amdhsa_user_sgpr_flat_scratch_init 0
		.amdhsa_user_sgpr_kernarg_preload_length 0
		.amdhsa_user_sgpr_kernarg_preload_offset 0
		.amdhsa_user_sgpr_private_segment_size 0
		.amdhsa_uses_dynamic_stack 0
		.amdhsa_system_sgpr_private_segment_wavefront_offset 0
		.amdhsa_system_sgpr_workgroup_id_x 1
		.amdhsa_system_sgpr_workgroup_id_y 1
		.amdhsa_system_sgpr_workgroup_id_z 0
		.amdhsa_system_sgpr_workgroup_info 0
		.amdhsa_system_vgpr_workitem_id 0
		.amdhsa_next_free_vgpr 94
		.amdhsa_next_free_sgpr 44
		.amdhsa_accum_offset 96
		.amdhsa_reserve_vcc 1
		.amdhsa_reserve_flat_scratch 0
		.amdhsa_float_round_mode_32 0
		.amdhsa_float_round_mode_16_64 0
		.amdhsa_float_denorm_mode_32 3
		.amdhsa_float_denorm_mode_16_64 3
		.amdhsa_dx10_clamp 1
		.amdhsa_ieee_mode 1
		.amdhsa_fp16_overflow 0
		.amdhsa_tg_split 0
		.amdhsa_exception_fp_ieee_invalid_op 0
		.amdhsa_exception_fp_denorm_src 0
		.amdhsa_exception_fp_ieee_div_zero 0
		.amdhsa_exception_fp_ieee_overflow 0
		.amdhsa_exception_fp_ieee_underflow 0
		.amdhsa_exception_fp_ieee_inexact 0
		.amdhsa_exception_int_div_zero 0
	.end_amdhsa_kernel
	.section	.text._ZN5aiter35fused_qk_rmsnorm_group_quant_kernelIDF16_DB8_Li128ELi16ELi8ELb1ELb1ELb0ELb0ELb0ELb0EEEvPT0_PvPT_S6_S6_PKS5_S8_S8_S8_S8_ffiiiiiiiiiiiii,"axG",@progbits,_ZN5aiter35fused_qk_rmsnorm_group_quant_kernelIDF16_DB8_Li128ELi16ELi8ELb1ELb1ELb0ELb0ELb0ELb0EEEvPT0_PvPT_S6_S6_PKS5_S8_S8_S8_S8_ffiiiiiiiiiiiii,comdat
.Lfunc_end621:
	.size	_ZN5aiter35fused_qk_rmsnorm_group_quant_kernelIDF16_DB8_Li128ELi16ELi8ELb1ELb1ELb0ELb0ELb0ELb0EEEvPT0_PvPT_S6_S6_PKS5_S8_S8_S8_S8_ffiiiiiiiiiiiii, .Lfunc_end621-_ZN5aiter35fused_qk_rmsnorm_group_quant_kernelIDF16_DB8_Li128ELi16ELi8ELb1ELb1ELb0ELb0ELb0ELb0EEEvPT0_PvPT_S6_S6_PKS5_S8_S8_S8_S8_ffiiiiiiiiiiiii
                                        ; -- End function
	.section	.AMDGPU.csdata,"",@progbits
; Kernel info:
; codeLenInByte = 4240
; NumSgprs: 48
; NumVgprs: 94
; NumAgprs: 0
; TotalNumVgprs: 94
; ScratchSize: 0
; MemoryBound: 0
; FloatMode: 240
; IeeeMode: 1
; LDSByteSize: 16 bytes/workgroup (compile time only)
; SGPRBlocks: 5
; VGPRBlocks: 11
; NumSGPRsForWavesPerEU: 48
; NumVGPRsForWavesPerEU: 94
; AccumOffset: 96
; Occupancy: 5
; WaveLimiterHint : 0
; COMPUTE_PGM_RSRC2:SCRATCH_EN: 0
; COMPUTE_PGM_RSRC2:USER_SGPR: 6
; COMPUTE_PGM_RSRC2:TRAP_HANDLER: 0
; COMPUTE_PGM_RSRC2:TGID_X_EN: 1
; COMPUTE_PGM_RSRC2:TGID_Y_EN: 1
; COMPUTE_PGM_RSRC2:TGID_Z_EN: 0
; COMPUTE_PGM_RSRC2:TIDIG_COMP_CNT: 0
; COMPUTE_PGM_RSRC3_GFX90A:ACCUM_OFFSET: 23
; COMPUTE_PGM_RSRC3_GFX90A:TG_SPLIT: 0
	.section	.text._ZN5aiter35fused_qk_rmsnorm_group_quant_kernelItDB8_Li128ELi16ELi8ELb1ELb1ELb0ELb0ELb0ELb0EEEvPT0_PvPT_S6_S6_PKS5_S8_S8_S8_S8_ffiiiiiiiiiiiii,"axG",@progbits,_ZN5aiter35fused_qk_rmsnorm_group_quant_kernelItDB8_Li128ELi16ELi8ELb1ELb1ELb0ELb0ELb0ELb0EEEvPT0_PvPT_S6_S6_PKS5_S8_S8_S8_S8_ffiiiiiiiiiiiii,comdat
	.protected	_ZN5aiter35fused_qk_rmsnorm_group_quant_kernelItDB8_Li128ELi16ELi8ELb1ELb1ELb0ELb0ELb0ELb0EEEvPT0_PvPT_S6_S6_PKS5_S8_S8_S8_S8_ffiiiiiiiiiiiii ; -- Begin function _ZN5aiter35fused_qk_rmsnorm_group_quant_kernelItDB8_Li128ELi16ELi8ELb1ELb1ELb0ELb0ELb0ELb0EEEvPT0_PvPT_S6_S6_PKS5_S8_S8_S8_S8_ffiiiiiiiiiiiii
	.globl	_ZN5aiter35fused_qk_rmsnorm_group_quant_kernelItDB8_Li128ELi16ELi8ELb1ELb1ELb0ELb0ELb0ELb0EEEvPT0_PvPT_S6_S6_PKS5_S8_S8_S8_S8_ffiiiiiiiiiiiii
	.p2align	8
	.type	_ZN5aiter35fused_qk_rmsnorm_group_quant_kernelItDB8_Li128ELi16ELi8ELb1ELb1ELb0ELb0ELb0ELb0EEEvPT0_PvPT_S6_S6_PKS5_S8_S8_S8_S8_ffiiiiiiiiiiiii,@function
_ZN5aiter35fused_qk_rmsnorm_group_quant_kernelItDB8_Li128ELi16ELi8ELb1ELb1ELb0ELb0ELb0ELb0EEEvPT0_PvPT_S6_S6_PKS5_S8_S8_S8_S8_ffiiiiiiiiiiiii: ; @_ZN5aiter35fused_qk_rmsnorm_group_quant_kernelItDB8_Li128ELi16ELi8ELb1ELb1ELb0ELb0ELb0ELb0EEEvPT0_PvPT_S6_S6_PKS5_S8_S8_S8_S8_ffiiiiiiiiiiiii
; %bb.0:
	s_load_dwordx8 s[20:27], s[4:5], 0x50
	s_waitcnt lgkmcnt(0)
	s_cmp_ge_i32 s6, s22
	s_cbranch_scc1 .LBB622_17
; %bb.1:
	s_cmp_lg_u32 s7, 0
	s_cselect_b64 s[10:11], -1, 0
	s_cmp_eq_u32 s7, 0
	s_cselect_b64 s[8:9], -1, 0
	s_and_b64 s[0:1], s[8:9], exec
	s_load_dwordx2 s[28:29], s[4:5], 0x48
	s_load_dwordx2 s[34:35], s[4:5], 0x30
	s_load_dwordx8 s[12:19], s[4:5], 0x70
	s_cselect_b32 s7, s23, s24
	s_add_i32 s0, s7, 1
	s_lshr_b32 s1, s0, 31
	s_add_i32 s0, s0, s1
	s_lshl_b32 s0, s0, 1
	v_lshlrev_b32_e32 v1, 4, v0
	s_and_b32 s38, s0, -4
	v_cmp_gt_i32_e64 s[0:1], s7, v1
	v_mov_b32_e32 v82, 0
	v_mov_b32_e32 v83, 0
	;; [unrolled: 1-line block ×16, first 2 shown]
	s_and_saveexec_b64 s[2:3], s[0:1]
	s_cbranch_execz .LBB622_3
; %bb.2:
	s_waitcnt lgkmcnt(0)
	s_load_dwordx2 s[18:19], s[4:5], 0x28
	s_load_dwordx2 s[30:31], s[4:5], 0x40
	s_and_b64 s[36:37], s[8:9], exec
	s_cselect_b32 s22, s25, s26
	s_mov_b32 s39, 0x20000
	s_waitcnt lgkmcnt(0)
	s_cselect_b32 s25, s19, s35
	s_cselect_b32 s33, s18, s34
	s_mul_hi_i32 s19, s22, s6
	s_mul_i32 s18, s22, s6
	s_lshl_b64 s[18:19], s[18:19], 1
	s_add_u32 s40, s33, s18
	s_addc_u32 s22, s25, s19
	s_and_b64 s[18:19], s[8:9], exec
	s_cselect_b32 s36, s30, s28
	s_cselect_b32 s18, s31, s29
	s_and_b32 s41, s22, 0xffff
	s_mov_b32 s42, s38
	s_mov_b32 s43, s39
	v_lshlrev_b32_e32 v2, 5, v0
	s_and_b32 s37, s18, 0xffff
	buffer_load_dwordx4 v[86:89], v2, s[40:43], 0 offen
	buffer_load_dwordx4 v[90:93], v2, s[40:43], 16 offen
	;; [unrolled: 1-line block ×4, first 2 shown]
.LBB622_3:
	s_or_b64 exec, exec, s[2:3]
	s_and_b64 vcc, exec, s[10:11]
	s_cbranch_vccz .LBB622_7
; %bb.4:
	v_mov_b32_e32 v95, 0
	v_mov_b32_e32 v94, 0
	v_mov_b32_e32 v15, 0
	v_mov_b32_e32 v14, 0
	v_mov_b32_e32 v19, 0
	v_mov_b32_e32 v18, 0
	v_mov_b32_e32 v43, 0
	v_mov_b32_e32 v42, 0
	v_mov_b32_e32 v33, 0
	v_mov_b32_e32 v32, 0
	v_mov_b32_e32 v51, 0
	v_mov_b32_e32 v50, 0
	v_mov_b32_e32 v25, 0
	v_mov_b32_e32 v24, 0
	v_mov_b32_e32 v63, 0
	v_mov_b32_e32 v62, 0
	s_and_saveexec_b64 s[2:3], s[0:1]
	s_cbranch_execz .LBB622_6
; %bb.5:
	s_waitcnt vmcnt(3)
	v_cvt_f32_u32_sdwa v62, v86 dst_sel:DWORD dst_unused:UNUSED_PAD src0_sel:WORD_0
	v_cvt_f32_u32_sdwa v63, v86 dst_sel:DWORD dst_unused:UNUSED_PAD src0_sel:WORD_1
	v_cvt_f32_u32_sdwa v24, v87 dst_sel:DWORD dst_unused:UNUSED_PAD src0_sel:WORD_0
	v_cvt_f32_u32_sdwa v25, v87 dst_sel:DWORD dst_unused:UNUSED_PAD src0_sel:WORD_1
	;; [unrolled: 2-line block ×4, first 2 shown]
	s_waitcnt vmcnt(2)
	v_cvt_f32_u32_sdwa v42, v90 dst_sel:DWORD dst_unused:UNUSED_PAD src0_sel:WORD_0
	v_cvt_f32_u32_sdwa v43, v90 dst_sel:DWORD dst_unused:UNUSED_PAD src0_sel:WORD_1
	v_cvt_f32_u32_sdwa v18, v91 dst_sel:DWORD dst_unused:UNUSED_PAD src0_sel:WORD_0
	v_cvt_f32_u32_sdwa v19, v91 dst_sel:DWORD dst_unused:UNUSED_PAD src0_sel:WORD_1
	;; [unrolled: 2-line block ×4, first 2 shown]
.LBB622_6:
	s_or_b64 exec, exec, s[2:3]
	s_cbranch_execz .LBB622_8
	s_branch .LBB622_11
.LBB622_7:
                                        ; implicit-def: $vgpr22_vgpr23_vgpr24_vgpr25_vgpr26_vgpr27_vgpr28_vgpr29_vgpr30_vgpr31_vgpr32_vgpr33_vgpr34_vgpr35_vgpr36_vgpr37
                                        ; implicit-def: $vgpr46_vgpr47_vgpr48_vgpr49_vgpr50_vgpr51_vgpr52_vgpr53_vgpr54_vgpr55_vgpr56_vgpr57_vgpr58_vgpr59_vgpr60_vgpr61
                                        ; implicit-def: $vgpr26_vgpr27_vgpr28_vgpr29_vgpr30_vgpr31_vgpr32_vgpr33_vgpr34_vgpr35_vgpr36_vgpr37_vgpr38_vgpr39_vgpr40_vgpr41
                                        ; implicit-def: $vgpr8_vgpr9_vgpr10_vgpr11_vgpr12_vgpr13_vgpr14_vgpr15_vgpr16_vgpr17_vgpr18_vgpr19_vgpr20_vgpr21_vgpr22_vgpr23
                                        ; implicit-def: $vgpr95
                                        ; implicit-def: $vgpr62_vgpr63_vgpr64_vgpr65_vgpr66_vgpr67_vgpr68_vgpr69_vgpr70_vgpr71_vgpr72_vgpr73_vgpr74_vgpr75_vgpr76_vgpr77
                                        ; implicit-def: $vgpr34_vgpr35_vgpr36_vgpr37_vgpr38_vgpr39_vgpr40_vgpr41_vgpr42_vgpr43_vgpr44_vgpr45_vgpr46_vgpr47_vgpr48_vgpr49
                                        ; implicit-def: $vgpr2_vgpr3_vgpr4_vgpr5_vgpr6_vgpr7_vgpr8_vgpr9_vgpr10_vgpr11_vgpr12_vgpr13_vgpr14_vgpr15_vgpr16_vgpr17
.LBB622_8:
	v_mov_b32_e32 v95, 0
	v_mov_b32_e32 v94, 0
	;; [unrolled: 1-line block ×16, first 2 shown]
	s_and_saveexec_b64 s[2:3], s[0:1]
	s_cbranch_execz .LBB622_10
; %bb.9:
	s_waitcnt lgkmcnt(0)
	s_load_dwordx2 s[18:19], s[4:5], 0x38
	s_mul_hi_i32 s31, s27, s6
	s_mul_i32 s30, s27, s6
	s_lshl_b64 s[30:31], s[30:31], 1
	s_mov_b32 s39, 0x20000
	s_waitcnt lgkmcnt(0)
	s_add_u32 s36, s18, s30
	s_addc_u32 s18, s19, s31
	s_and_b32 s37, s18, 0xffff
	v_lshlrev_b32_e32 v38, 5, v0
	buffer_load_dwordx4 v[4:7], v38, s[36:39], 16 offen
	buffer_load_dwordx4 v[8:11], v38, s[36:39], 0 offen
	s_load_dwordx2 s[18:19], s[4:5], 0x20
	s_waitcnt vmcnt(5)
	v_cvt_f32_u32_sdwa v19, v86 dst_sel:DWORD dst_unused:UNUSED_PAD src0_sel:WORD_1
	v_cvt_f32_u32_sdwa v18, v86 dst_sel:DWORD dst_unused:UNUSED_PAD src0_sel:WORD_0
	v_cvt_f32_u32_sdwa v21, v87 dst_sel:DWORD dst_unused:UNUSED_PAD src0_sel:WORD_1
	v_cvt_f32_u32_sdwa v20, v87 dst_sel:DWORD dst_unused:UNUSED_PAD src0_sel:WORD_0
	v_cvt_f32_u32_sdwa v23, v88 dst_sel:DWORD dst_unused:UNUSED_PAD src0_sel:WORD_1
	v_cvt_f32_u32_sdwa v22, v88 dst_sel:DWORD dst_unused:UNUSED_PAD src0_sel:WORD_0
	v_cvt_f32_u32_sdwa v25, v89 dst_sel:DWORD dst_unused:UNUSED_PAD src0_sel:WORD_1
	v_cvt_f32_u32_sdwa v24, v89 dst_sel:DWORD dst_unused:UNUSED_PAD src0_sel:WORD_0
	s_waitcnt vmcnt(4)
	v_cvt_f32_u32_sdwa v3, v90 dst_sel:DWORD dst_unused:UNUSED_PAD src0_sel:WORD_1
	v_cvt_f32_u32_sdwa v2, v90 dst_sel:DWORD dst_unused:UNUSED_PAD src0_sel:WORD_0
	v_cvt_f32_u32_sdwa v13, v91 dst_sel:DWORD dst_unused:UNUSED_PAD src0_sel:WORD_1
	v_cvt_f32_u32_sdwa v12, v91 dst_sel:DWORD dst_unused:UNUSED_PAD src0_sel:WORD_0
	;; [unrolled: 2-line block ×3, first 2 shown]
	v_cvt_f32_u32_sdwa v16, v93 dst_sel:DWORD dst_unused:UNUSED_PAD src0_sel:WORD_0
	v_cvt_f32_u32_sdwa v17, v93 dst_sel:DWORD dst_unused:UNUSED_PAD src0_sel:WORD_1
	s_mul_hi_i32 s31, s17, s6
	s_mul_i32 s30, s17, s6
	s_lshl_b64 s[30:31], s[30:31], 1
	s_waitcnt lgkmcnt(0)
	s_add_u32 s36, s18, s30
	s_mov_b32 s17, 0x7060302
	s_addc_u32 s18, s19, s31
	s_and_b32 s37, s18, 0xffff
	s_waitcnt vmcnt(1)
	v_cvt_f32_u32_sdwa v27, v4 dst_sel:DWORD dst_unused:UNUSED_PAD src0_sel:WORD_1
	v_cvt_f32_u32_sdwa v26, v4 dst_sel:DWORD dst_unused:UNUSED_PAD src0_sel:WORD_0
	v_cvt_f32_u32_sdwa v29, v5 dst_sel:DWORD dst_unused:UNUSED_PAD src0_sel:WORD_1
	v_cvt_f32_u32_sdwa v28, v5 dst_sel:DWORD dst_unused:UNUSED_PAD src0_sel:WORD_0
	;; [unrolled: 2-line block ×3, first 2 shown]
	v_cvt_f32_u32_sdwa v34, v7 dst_sel:DWORD dst_unused:UNUSED_PAD src0_sel:WORD_0
	v_cvt_f32_u32_sdwa v35, v7 dst_sel:DWORD dst_unused:UNUSED_PAD src0_sel:WORD_1
	s_waitcnt vmcnt(0)
	v_cvt_f32_u32_sdwa v37, v8 dst_sel:DWORD dst_unused:UNUSED_PAD src0_sel:WORD_1
	v_cvt_f32_u32_sdwa v36, v8 dst_sel:DWORD dst_unused:UNUSED_PAD src0_sel:WORD_0
	v_cvt_f32_u32_sdwa v5, v10 dst_sel:DWORD dst_unused:UNUSED_PAD src0_sel:WORD_1
	v_cvt_f32_u32_sdwa v4, v10 dst_sel:DWORD dst_unused:UNUSED_PAD src0_sel:WORD_0
	;; [unrolled: 2-line block ×4, first 2 shown]
	v_pk_add_f32 v[50:51], v[22:23], v[4:5]
	v_pk_add_f32 v[32:33], v[24:25], v[6:7]
	;; [unrolled: 1-line block ×4, first 2 shown]
	v_perm_b32 v7, v33, v32, s17
	v_perm_b32 v6, v51, v50, s17
	;; [unrolled: 1-line block ×4, first 2 shown]
	v_pk_add_f32 v[94:95], v[16:17], v[34:35]
	v_pk_add_f32 v[14:15], v[14:15], v[30:31]
	;; [unrolled: 1-line block ×4, first 2 shown]
	buffer_store_dwordx4 v[4:7], v38, s[36:39], 0 offen
	;;#ASMSTART
	s_nop 0
	;;#ASMEND
	s_nop 0
	v_perm_b32 v7, v95, v94, s17
	v_perm_b32 v6, v15, v14, s17
	;; [unrolled: 1-line block ×4, first 2 shown]
	buffer_store_dwordx4 v[4:7], v38, s[36:39], 16 offen
	;;#ASMSTART
	s_nop 0
	;;#ASMEND
.LBB622_10:
	s_or_b64 exec, exec, s[2:3]
.LBB622_11:
	v_mul_f32_e32 v2, v63, v63
	v_fmac_f32_e32 v2, v62, v62
	v_fmac_f32_e32 v2, v24, v24
	;; [unrolled: 1-line block ×15, first 2 shown]
	s_nop 1
	v_mov_b32_dpp v3, v2 quad_perm:[1,0,3,2] row_mask:0xf bank_mask:0xf
	v_add_f32_e32 v2, v2, v3
	s_nop 1
	v_mov_b32_dpp v3, v2 quad_perm:[2,3,0,1] row_mask:0xf bank_mask:0xf
	v_add_f32_e32 v2, v2, v3
	s_nop 1
	v_mov_b32_dpp v3, v2 row_half_mirror row_mask:0xf bank_mask:0xf
	v_add_f32_e32 v2, v2, v3
	s_nop 1
	v_mov_b32_dpp v3, v2 row_mirror row_mask:0xf bank_mask:0xf
	v_add_f32_e32 v2, v2, v3
	s_nop 1
	v_mov_b32_dpp v3, v2 row_bcast:15 row_mask:0xf bank_mask:0xf
	v_add_f32_e32 v2, v2, v3
	v_and_b32_e32 v3, 63, v0
	v_cmp_eq_u32_e64 s[2:3], 63, v3
	s_nop 0
	v_mov_b32_dpp v3, v2 row_bcast:31 row_mask:0xf bank_mask:0xf
	s_waitcnt lgkmcnt(0)
	s_and_saveexec_b64 s[18:19], s[2:3]
	s_cbranch_execz .LBB622_13
; %bb.12:
	v_add_f32_e32 v2, v2, v3
	v_lshrrev_b32_e32 v3, 4, v0
	v_and_b32_e32 v3, 60, v3
	ds_write_b32 v3, v2 offset:8
.LBB622_13:
	s_or_b64 exec, exec, s[18:19]
	v_and_b32_e32 v2, 1, v0
	v_lshlrev_b32_e32 v34, 2, v2
	s_waitcnt lgkmcnt(0)
	s_barrier
	ds_read_b32 v2, v34 offset:8
	s_load_dwordx2 s[18:19], s[4:5], 0x18
	s_waitcnt lgkmcnt(0)
	v_mov_b32_dpp v3, v2 quad_perm:[1,0,3,2] row_mask:0xf bank_mask:0xf
	s_and_saveexec_b64 s[30:31], s[0:1]
	s_cbranch_execnz .LBB622_18
; %bb.14:
	s_or_b64 exec, exec, s[30:31]
	s_mov_b64 s[8:9], -1
	s_and_b64 vcc, exec, s[10:11]
	s_cbranch_vccnz .LBB622_19
.LBB622_15:
	s_andn2_b64 vcc, exec, s[8:9]
	s_cbranch_vccz .LBB622_22
.LBB622_16:
	s_cmp_lt_i32 s24, 1
	s_cbranch_scc0 .LBB622_31
.LBB622_17:
	s_endpgm
.LBB622_18:
	v_add_f32_e32 v2, v2, v3
	v_cvt_f32_u32_e32 v3, s7
	s_mov_b32 s7, 0x800000
	s_waitcnt vmcnt(1)
	v_cvt_f32_u32_sdwa v21, v83 dst_sel:DWORD dst_unused:UNUSED_PAD src0_sel:WORD_1
	v_cvt_f32_u32_sdwa v20, v83 dst_sel:DWORD dst_unused:UNUSED_PAD src0_sel:WORD_0
	v_div_scale_f32 v4, s[36:37], v3, v3, v2
	v_rcp_f32_e32 v5, v4
	s_waitcnt vmcnt(0)
	v_cvt_f32_u32_sdwa v23, v80 dst_sel:DWORD dst_unused:UNUSED_PAD src0_sel:WORD_1
	v_cvt_f32_u32_sdwa v22, v80 dst_sel:DWORD dst_unused:UNUSED_PAD src0_sel:WORD_0
	v_cvt_f32_u32_sdwa v27, v81 dst_sel:DWORD dst_unused:UNUSED_PAD src0_sel:WORD_1
	v_fma_f32 v6, -v4, v5, 1.0
	v_fmac_f32_e32 v5, v6, v5
	v_div_scale_f32 v6, vcc, v2, v3, v2
	v_mul_f32_e32 v7, v6, v5
	v_fma_f32 v8, -v4, v7, v6
	v_fmac_f32_e32 v7, v8, v5
	v_fma_f32 v4, -v4, v7, v6
	v_div_fmas_f32 v4, v4, v5, v7
	v_div_fixup_f32 v2, v4, v3, v2
	v_mov_b32_e32 v3, s21
	v_mov_b32_e32 v4, s20
	v_cndmask_b32_e64 v3, v3, v4, s[8:9]
	v_add_f32_e32 v2, v3, v2
	v_mul_f32_e32 v3, 0x4b800000, v2
	v_cmp_gt_f32_e32 vcc, s7, v2
	v_cndmask_b32_e32 v2, v2, v3, vcc
	v_rsq_f32_e32 v2, v2
	v_cvt_f32_u32_sdwa v26, v81 dst_sel:DWORD dst_unused:UNUSED_PAD src0_sel:WORD_0
	v_mul_f32_e32 v3, 0x45800000, v2
	v_cndmask_b32_e32 v2, v2, v3, vcc
	v_mov_b32_e32 v3, v2
	;;#ASMSTART
	v_pk_mul_f32 v[4:5], v[62:63], v[2:3]
	;;#ASMEND
	;;#ASMSTART
	v_pk_mul_f32 v[6:7], v[24:25], v[2:3]
	;;#ASMEND
	;; [unrolled: 3-line block ×6, first 2 shown]
	v_cvt_f32_u32_sdwa v19, v82 dst_sel:DWORD dst_unused:UNUSED_PAD src0_sel:WORD_1
	v_cvt_f32_u32_sdwa v18, v82 dst_sel:DWORD dst_unused:UNUSED_PAD src0_sel:WORD_0
	;;#ASMSTART
	v_pk_mul_f32 v[14:15], v[14:15], v[2:3]
	;;#ASMEND
	;;#ASMSTART
	v_pk_mul_f32 v[2:3], v[94:95], v[2:3]
	;;#ASMEND
	;; [unrolled: 3-line block ×3, first 2 shown]
	v_cvt_f32_u32_sdwa v19, v78 dst_sel:DWORD dst_unused:UNUSED_PAD src0_sel:WORD_1
	v_cvt_f32_u32_sdwa v18, v78 dst_sel:DWORD dst_unused:UNUSED_PAD src0_sel:WORD_0
	;;#ASMSTART
	v_pk_mul_f32 v[24:25], v[6:7], v[20:21]
	;;#ASMEND
	v_cvt_f32_u32_sdwa v5, v84 dst_sel:DWORD dst_unused:UNUSED_PAD src0_sel:WORD_1
	v_cvt_f32_u32_sdwa v4, v84 dst_sel:DWORD dst_unused:UNUSED_PAD src0_sel:WORD_0
	v_cvt_f32_u32_sdwa v7, v85 dst_sel:DWORD dst_unused:UNUSED_PAD src0_sel:WORD_1
	v_cvt_f32_u32_sdwa v6, v85 dst_sel:DWORD dst_unused:UNUSED_PAD src0_sel:WORD_0
	;; [unrolled: 2-line block ×3, first 2 shown]
	;;#ASMSTART
	v_pk_mul_f32 v[50:51], v[8:9], v[4:5]
	;;#ASMEND
	;;#ASMSTART
	v_pk_mul_f32 v[32:33], v[10:11], v[6:7]
	;;#ASMEND
	;; [unrolled: 3-line block ×6, first 2 shown]
	s_or_b64 exec, exec, s[30:31]
	s_mov_b64 s[8:9], -1
	s_and_b64 vcc, exec, s[10:11]
	s_cbranch_vccz .LBB622_15
.LBB622_19:
	s_and_saveexec_b64 s[8:9], s[0:1]
	s_cbranch_execz .LBB622_21
; %bb.20:
	s_mul_hi_i32 s11, s16, s6
	s_mul_i32 s10, s16, s6
	s_lshl_b64 s[10:11], s[10:11], 1
	s_add_u32 s36, s18, s10
	s_addc_u32 s7, s19, s11
	s_and_b32 s37, s7, 0xffff
	s_mov_b32 s7, 0x7060302
	s_mov_b32 s39, 0x20000
	v_perm_b32 v5, v33, v32, s7
	v_perm_b32 v4, v51, v50, s7
	;; [unrolled: 1-line block ×4, first 2 shown]
	v_lshlrev_b32_e32 v6, 5, v0
	buffer_store_dwordx4 v[2:5], v6, s[36:39], 0 offen
	;;#ASMSTART
	s_nop 0
	;;#ASMEND
	s_nop 0
	v_perm_b32 v5, v95, v94, s7
	v_perm_b32 v4, v15, v14, s7
	v_perm_b32 v3, v19, v18, s7
	v_perm_b32 v2, v43, v42, s7
	buffer_store_dwordx4 v[2:5], v6, s[36:39], 16 offen
	;;#ASMSTART
	s_nop 0
	;;#ASMEND
.LBB622_21:
	s_or_b64 exec, exec, s[8:9]
	s_cbranch_execnz .LBB622_16
.LBB622_22:
	v_mov_b32_e32 v2, 0
	s_and_saveexec_b64 s[8:9], s[0:1]
	s_cbranch_execz .LBB622_24
; %bb.23:
	s_load_dwordx2 s[10:11], s[4:5], 0x10
	s_mul_hi_i32 s31, s15, s6
	s_mul_i32 s30, s15, s6
	s_lshl_b64 s[30:31], s[30:31], 1
	s_mov_b32 s39, 0x20000
	s_waitcnt lgkmcnt(0)
	s_add_u32 s36, s10, s30
	s_addc_u32 s7, s11, s31
	s_and_b32 s37, s7, 0xffff
	s_mov_b32 s7, 0x7060302
	v_perm_b32 v5, v33, v32, s7
	v_perm_b32 v4, v51, v50, s7
	;; [unrolled: 1-line block ×4, first 2 shown]
	v_lshlrev_b32_e32 v6, 5, v0
	buffer_store_dwordx4 v[2:5], v6, s[36:39], 0 offen
	;;#ASMSTART
	s_nop 0
	;;#ASMEND
	s_nop 0
	v_perm_b32 v5, v95, v94, s7
	v_perm_b32 v4, v15, v14, s7
	v_perm_b32 v3, v19, v18, s7
	v_perm_b32 v2, v43, v42, s7
	buffer_store_dwordx4 v[2:5], v6, s[36:39], 16 offen
	;;#ASMSTART
	s_nop 0
	;;#ASMEND
	s_nop 0
	v_mov_b32_e32 v2, 0x2edbe6ff
.LBB622_24:
	s_or_b64 exec, exec, s[8:9]
	s_and_saveexec_b64 s[8:9], s[0:1]
	s_cbranch_execz .LBB622_26
; %bb.25:
	v_and_b32_e32 v3, 0x7fffffff, v62
	v_and_b32_e32 v4, 0x7fffffff, v63
	;;#ASMSTART
	v_max3_f32 v2, v2, v3, v4

	;;#ASMEND
	v_and_b32_e32 v3, 0x7fffffff, v24
	v_and_b32_e32 v4, 0x7fffffff, v25
	;;#ASMSTART
	v_max3_f32 v2, v2, v3, v4

	;;#ASMEND
	;; [unrolled: 6-line block ×8, first 2 shown]
.LBB622_26:
	s_or_b64 exec, exec, s[8:9]
	;;#ASMSTART
	v_max_f32 v3, v2, v2 quad_perm:[1,0,3,2] row_mask:0xf bank_mask:0xf bound_ctrl:1
	;;#ASMEND
	;;#ASMSTART
	v_max_f32 v2, v3, v3 quad_perm:[2,3,0,1] row_mask:0xf bank_mask:0xf bound_ctrl:1
	;;#ASMEND
	;;#ASMSTART
	v_max_f32 v3, v2, v2 row_half_mirror row_mask:0xf bank_mask:0xf bound_ctrl:1
	;;#ASMEND
	v_mul_f32_e32 v2, 0x3b124925, v3
	v_and_b32_e32 v3, 7, v0
	v_cmp_eq_u32_e32 vcc, 0, v3
	v_cmp_gt_i32_e64 s[8:9], s23, v1
	s_and_b64 s[10:11], vcc, s[8:9]
	s_and_saveexec_b64 s[8:9], s[10:11]
	s_cbranch_execz .LBB622_28
; %bb.27:
	s_load_dwordx2 s[10:11], s[4:5], 0x8
	v_lshrrev_b32_e32 v3, 3, v0
	s_mul_hi_i32 s31, s13, s6
	s_mul_i32 s30, s13, s6
	v_mad_i64_i32 v[4:5], s[14:15], s14, v3, 0
	s_lshl_b64 s[14:15], s[30:31], 2
	s_waitcnt lgkmcnt(0)
	s_add_u32 s7, s10, s14
	s_addc_u32 s10, s11, s15
	v_lshlrev_b64 v[4:5], 2, v[4:5]
	v_mov_b32_e32 v3, s10
	v_add_co_u32_e32 v4, vcc, s7, v4
	v_addc_co_u32_e32 v5, vcc, v3, v5, vcc
	global_store_dword v[4:5], v2, off
.LBB622_28:
	s_or_b64 exec, exec, s[8:9]
	;;#ASMSTART
	v_rcp_f32 v2, v2
	;;#ASMEND
	s_and_saveexec_b64 s[14:15], s[0:1]
	s_cbranch_execz .LBB622_30
; %bb.29:
	v_mov_b32_e32 v3, v2
	;;#ASMSTART
	v_pk_mul_f32 v[4:5], v[62:63], v[2:3]
	;;#ASMEND
	v_mov_b32_e32 v10, 0xc3e00000
	v_mov_b32_e32 v11, 0x43e00000
	;;#ASMSTART
	v_med3_f32 v4, v4, v10, v11
v_med3_f32 v5, v5, v10, v11
v_cvt_pk_fp8_f32 v6, v4, v5
	;;#ASMEND
	;;#ASMSTART
	v_pk_mul_f32 v[4:5], v[24:25], v[2:3]
	;;#ASMEND
	;;#ASMSTART
	v_med3_f32 v4, v4, v10, v11
v_med3_f32 v5, v5, v10, v11
v_cvt_pk_fp8_f32 v7, v4, v5
	;;#ASMEND
	;;#ASMSTART
	v_pk_mul_f32 v[4:5], v[50:51], v[2:3]
	;;#ASMEND
	;; [unrolled: 8-line block ×3, first 2 shown]
	;;#ASMSTART
	v_med3_f32 v4, v4, v10, v11
v_med3_f32 v5, v5, v10, v11
v_cvt_pk_fp8_f32 v9, v4, v5
	;;#ASMEND
	s_mov_b32 s0, 0x5040100
	v_perm_b32 v4, v7, v6, s0
	s_mov_b32 s0, 0x1060504
	v_perm_b32 v4, v4, v7, s0
	s_load_dwordx2 s[0:1], s[4:5], 0x0
	s_mov_b32 s7, 0x1000504
	;;#ASMSTART
	v_pk_mul_f32 v[6:7], v[42:43], v[2:3]
	;;#ASMEND
	v_perm_b32 v5, v8, v9, s7
	s_mul_i32 s8, s12, s6
	;;#ASMSTART
	v_med3_f32 v6, v6, v10, v11
v_med3_f32 v7, v7, v10, v11
v_cvt_pk_fp8_f32 v8, v6, v7
	;;#ASMEND
	s_mul_hi_i32 s9, s12, s6
	s_waitcnt lgkmcnt(0)
	s_add_u32 s8, s0, s8
	;;#ASMSTART
	v_pk_mul_f32 v[6:7], v[18:19], v[2:3]
	;;#ASMEND
	s_addc_u32 s0, s1, s9
	s_add_i32 s1, s23, 3
	;;#ASMSTART
	v_med3_f32 v6, v6, v10, v11
v_med3_f32 v7, v7, v10, v11
v_cvt_pk_fp8_f32 v9, v6, v7
	;;#ASMEND
	s_ashr_i32 s9, s1, 31
	v_perm_b32 v6, v8, v9, s7
	;;#ASMSTART
	v_pk_mul_f32 v[8:9], v[14:15], v[2:3]
	;;#ASMEND
	v_mov_b32_e32 v7, v9
	s_lshr_b32 s9, s9, 30
	;;#ASMSTART
	v_med3_f32 v8, v8, v10, v11
v_med3_f32 v7, v7, v10, v11
v_cvt_pk_fp8_f32 v9, v8, v7
	;;#ASMEND
	;;#ASMSTART
	v_pk_mul_f32 v[2:3], v[94:95], v[2:3]
	;;#ASMEND
	s_add_i32 s1, s1, s9
	;;#ASMSTART
	v_med3_f32 v2, v2, v10, v11
v_med3_f32 v3, v3, v10, v11
v_cvt_pk_fp8_f32 v7, v2, v3
	;;#ASMEND
	s_and_b32 s10, s1, -4
	s_and_b32 s9, s0, 0xffff
	s_mov_b32 s11, 0x20000
	v_perm_b32 v7, v9, v7, s7
	buffer_store_dwordx4 v[4:7], v1, s[8:11], 0 offen
	;;#ASMSTART
	s_nop 0
	;;#ASMEND
.LBB622_30:
	s_or_b64 exec, exec, s[14:15]
	s_cmp_lt_i32 s24, 1
	s_cbranch_scc1 .LBB622_17
.LBB622_31:
	s_load_dword s0, s[4:5], 0x94
	s_waitcnt lgkmcnt(0)
	s_cmp_lg_u32 s0, 1
	s_cbranch_scc1 .LBB622_17
; %bb.32:
	s_lshl_b32 s0, s24, 1
	s_add_i32 s0, s0, 2
	v_cmp_gt_u32_e32 vcc, s24, v1
	s_and_b32 s30, s0, -4
	v_mov_b32_e32 v18, 0
	v_lshlrev_b32_e32 v1, 5, v0
	v_mov_b32_e32 v14, 0
	v_mov_b32_e32 v15, 0
	;; [unrolled: 1-line block ×16, first 2 shown]
	s_barrier
	s_and_saveexec_b64 s[0:1], vcc
	s_cbranch_execz .LBB622_34
; %bb.33:
	s_mul_hi_i32 s5, s26, s6
	s_mul_i32 s4, s26, s6
	s_and_b32 s29, s29, 0xffff
	s_lshl_b64 s[4:5], s[4:5], 1
	s_add_u32 s8, s34, s4
	s_mov_b32 s31, 0x20000
	s_addc_u32 s4, s35, s5
	s_and_b32 s9, s4, 0xffff
	s_mov_b32 s10, s30
	s_mov_b32 s11, s31
	buffer_load_dwordx4 v[14:17], v1, s[8:11], 0 offen
	buffer_load_dwordx4 v[10:13], v1, s[8:11], 16 offen
	;; [unrolled: 1-line block ×4, first 2 shown]
.LBB622_34:
	s_or_b64 exec, exec, s[0:1]
	v_mov_b32_e32 v19, 0
	v_mov_b32_e32 v32, 0
	;; [unrolled: 1-line block ×15, first 2 shown]
	s_and_saveexec_b64 s[0:1], vcc
	s_cbranch_execz .LBB622_36
; %bb.35:
	s_waitcnt vmcnt(3)
	v_cvt_f32_u32_sdwa v18, v14 dst_sel:DWORD dst_unused:UNUSED_PAD src0_sel:WORD_0
	v_cvt_f32_u32_sdwa v19, v14 dst_sel:DWORD dst_unused:UNUSED_PAD src0_sel:WORD_1
	v_cvt_f32_u32_sdwa v32, v15 dst_sel:DWORD dst_unused:UNUSED_PAD src0_sel:WORD_0
	v_cvt_f32_u32_sdwa v33, v15 dst_sel:DWORD dst_unused:UNUSED_PAD src0_sel:WORD_1
	;; [unrolled: 2-line block ×4, first 2 shown]
	s_waitcnt vmcnt(2)
	v_cvt_f32_u32_sdwa v26, v10 dst_sel:DWORD dst_unused:UNUSED_PAD src0_sel:WORD_0
	v_cvt_f32_u32_sdwa v27, v10 dst_sel:DWORD dst_unused:UNUSED_PAD src0_sel:WORD_1
	v_cvt_f32_u32_sdwa v24, v11 dst_sel:DWORD dst_unused:UNUSED_PAD src0_sel:WORD_0
	v_cvt_f32_u32_sdwa v25, v11 dst_sel:DWORD dst_unused:UNUSED_PAD src0_sel:WORD_1
	;; [unrolled: 2-line block ×4, first 2 shown]
.LBB622_36:
	s_or_b64 exec, exec, s[0:1]
	s_waitcnt vmcnt(2)
	v_mul_f32_e32 v10, v19, v19
	v_fmac_f32_e32 v10, v18, v18
	v_fmac_f32_e32 v10, v32, v32
	;; [unrolled: 1-line block ×15, first 2 shown]
	s_nop 1
	v_mov_b32_dpp v11, v10 quad_perm:[1,0,3,2] row_mask:0xf bank_mask:0xf
	v_add_f32_e32 v10, v10, v11
	s_nop 1
	v_mov_b32_dpp v11, v10 quad_perm:[2,3,0,1] row_mask:0xf bank_mask:0xf
	v_add_f32_e32 v10, v10, v11
	s_nop 1
	v_mov_b32_dpp v11, v10 row_half_mirror row_mask:0xf bank_mask:0xf
	v_add_f32_e32 v10, v10, v11
	s_nop 1
	v_mov_b32_dpp v11, v10 row_mirror row_mask:0xf bank_mask:0xf
	v_add_f32_e32 v10, v10, v11
	s_nop 1
	v_mov_b32_dpp v11, v10 row_bcast:15 row_mask:0xf bank_mask:0xf
	v_add_f32_e32 v10, v10, v11
	s_nop 1
	v_mov_b32_dpp v11, v10 row_bcast:31 row_mask:0xf bank_mask:0xf
	s_and_saveexec_b64 s[0:1], s[2:3]
	s_cbranch_execz .LBB622_38
; %bb.37:
	v_lshrrev_b32_e32 v0, 4, v0
	v_add_f32_e32 v10, v10, v11
	v_and_b32_e32 v0, 60, v0
	ds_write_b32 v0, v10
.LBB622_38:
	s_or_b64 exec, exec, s[0:1]
	s_waitcnt lgkmcnt(0)
	s_barrier
	ds_read_b32 v0, v34
	s_waitcnt lgkmcnt(0)
	s_nop 0
	v_mov_b32_dpp v10, v0 quad_perm:[1,0,3,2] row_mask:0xf bank_mask:0xf
	s_and_saveexec_b64 s[0:1], vcc
	s_cbranch_execz .LBB622_17
; %bb.39:
	v_cvt_f32_u32_e32 v11, s24
	v_add_f32_e32 v0, v0, v10
	s_mov_b32 s31, 0x20000
	v_div_scale_f32 v10, s[0:1], v11, v11, v0
	v_rcp_f32_e32 v12, v10
	v_div_scale_f32 v13, vcc, v0, v11, v0
	s_mov_b32 s0, 0x800000
	v_fma_f32 v14, -v10, v12, 1.0
	v_fmac_f32_e32 v12, v14, v12
	v_mul_f32_e32 v14, v13, v12
	v_fma_f32 v15, -v10, v14, v13
	v_fmac_f32_e32 v14, v15, v12
	v_fma_f32 v10, -v10, v14, v13
	v_div_fmas_f32 v10, v10, v12, v14
	v_div_fixup_f32 v0, v10, v11, v0
	v_add_f32_e32 v0, s21, v0
	v_mul_f32_e32 v10, 0x4b800000, v0
	v_cmp_gt_f32_e32 vcc, s0, v0
	v_cndmask_b32_e32 v0, v0, v10, vcc
	v_rsq_f32_e32 v0, v0
	s_mul_hi_i32 s1, s16, s6
	s_mul_i32 s0, s16, s6
	s_lshl_b64 s[0:1], s[0:1], 1
	v_mul_f32_e32 v10, 0x45800000, v0
	v_cndmask_b32_e32 v10, v0, v10, vcc
	v_mov_b32_e32 v11, v10
	s_add_u32 s28, s18, s0
	;;#ASMSTART
	v_pk_mul_f32 v[12:13], v[18:19], v[10:11]
	;;#ASMEND
	;;#ASMSTART
	v_pk_mul_f32 v[14:15], v[32:33], v[10:11]
	;;#ASMEND
	;; [unrolled: 3-line block ×8, first 2 shown]
	s_waitcnt vmcnt(1)
	v_cvt_f32_u32_sdwa v21, v6 dst_sel:DWORD dst_unused:UNUSED_PAD src0_sel:WORD_1
	v_cvt_f32_u32_sdwa v20, v6 dst_sel:DWORD dst_unused:UNUSED_PAD src0_sel:WORD_0
	v_cvt_f32_u32_sdwa v29, v7 dst_sel:DWORD dst_unused:UNUSED_PAD src0_sel:WORD_1
	v_cvt_f32_u32_sdwa v28, v7 dst_sel:DWORD dst_unused:UNUSED_PAD src0_sel:WORD_0
	;; [unrolled: 2-line block ×3, first 2 shown]
	s_addc_u32 s0, s19, s1
	v_cvt_f32_u32_sdwa v31, v9 dst_sel:DWORD dst_unused:UNUSED_PAD src0_sel:WORD_1
	v_cvt_f32_u32_sdwa v30, v9 dst_sel:DWORD dst_unused:UNUSED_PAD src0_sel:WORD_0
	;;#ASMSTART
	v_pk_mul_f32 v[8:9], v[12:13], v[20:21]
	;;#ASMEND
	;;#ASMSTART
	v_pk_mul_f32 v[12:13], v[14:15], v[28:29]
	;;#ASMEND
	;; [unrolled: 3-line block ×4, first 2 shown]
	s_waitcnt vmcnt(0)
	v_cvt_f32_u32_sdwa v17, v2 dst_sel:DWORD dst_unused:UNUSED_PAD src0_sel:WORD_1
	v_cvt_f32_u32_sdwa v16, v2 dst_sel:DWORD dst_unused:UNUSED_PAD src0_sel:WORD_0
	v_cvt_f32_u32_sdwa v19, v3 dst_sel:DWORD dst_unused:UNUSED_PAD src0_sel:WORD_1
	v_cvt_f32_u32_sdwa v18, v3 dst_sel:DWORD dst_unused:UNUSED_PAD src0_sel:WORD_0
	;; [unrolled: 2-line block ×3, first 2 shown]
	s_and_b32 s29, s0, 0xffff
	s_mov_b32 s0, 0x7060302
	v_cvt_f32_u32_sdwa v21, v5 dst_sel:DWORD dst_unused:UNUSED_PAD src0_sel:WORD_1
	v_cvt_f32_u32_sdwa v20, v5 dst_sel:DWORD dst_unused:UNUSED_PAD src0_sel:WORD_0
	;;#ASMSTART
	v_pk_mul_f32 v[16:17], v[26:27], v[16:17]
	;;#ASMEND
	;;#ASMSTART
	v_pk_mul_f32 v[18:19], v[24:25], v[18:19]
	;;#ASMEND
	;; [unrolled: 3-line block ×3, first 2 shown]
	v_perm_b32 v2, v9, v8, s0
	v_perm_b32 v3, v13, v12, s0
	;; [unrolled: 1-line block ×4, first 2 shown]
	;;#ASMSTART
	v_pk_mul_f32 v[10:11], v[10:11], v[20:21]
	;;#ASMEND
	buffer_store_dwordx4 v[2:5], v1, s[28:31], 0 offen
	;;#ASMSTART
	s_nop 0
	;;#ASMEND
	s_nop 0
	v_perm_b32 v2, v17, v16, s0
	v_perm_b32 v3, v19, v18, s0
	v_perm_b32 v4, v23, v22, s0
	v_perm_b32 v5, v11, v10, s0
	buffer_store_dwordx4 v[2:5], v1, s[28:31], 16 offen
	;;#ASMSTART
	s_nop 0
	;;#ASMEND
	s_endpgm
	.section	.rodata,"a",@progbits
	.p2align	6, 0x0
	.amdhsa_kernel _ZN5aiter35fused_qk_rmsnorm_group_quant_kernelItDB8_Li128ELi16ELi8ELb1ELb1ELb0ELb0ELb0ELb0EEEvPT0_PvPT_S6_S6_PKS5_S8_S8_S8_S8_ffiiiiiiiiiiiii
		.amdhsa_group_segment_fixed_size 16
		.amdhsa_private_segment_fixed_size 0
		.amdhsa_kernarg_size 400
		.amdhsa_user_sgpr_count 6
		.amdhsa_user_sgpr_private_segment_buffer 1
		.amdhsa_user_sgpr_dispatch_ptr 0
		.amdhsa_user_sgpr_queue_ptr 0
		.amdhsa_user_sgpr_kernarg_segment_ptr 1
		.amdhsa_user_sgpr_dispatch_id 0
		.amdhsa_user_sgpr_flat_scratch_init 0
		.amdhsa_user_sgpr_kernarg_preload_length 0
		.amdhsa_user_sgpr_kernarg_preload_offset 0
		.amdhsa_user_sgpr_private_segment_size 0
		.amdhsa_uses_dynamic_stack 0
		.amdhsa_system_sgpr_private_segment_wavefront_offset 0
		.amdhsa_system_sgpr_workgroup_id_x 1
		.amdhsa_system_sgpr_workgroup_id_y 1
		.amdhsa_system_sgpr_workgroup_id_z 0
		.amdhsa_system_sgpr_workgroup_info 0
		.amdhsa_system_vgpr_workitem_id 0
		.amdhsa_next_free_vgpr 96
		.amdhsa_next_free_sgpr 44
		.amdhsa_accum_offset 96
		.amdhsa_reserve_vcc 1
		.amdhsa_reserve_flat_scratch 0
		.amdhsa_float_round_mode_32 0
		.amdhsa_float_round_mode_16_64 0
		.amdhsa_float_denorm_mode_32 3
		.amdhsa_float_denorm_mode_16_64 3
		.amdhsa_dx10_clamp 1
		.amdhsa_ieee_mode 1
		.amdhsa_fp16_overflow 0
		.amdhsa_tg_split 0
		.amdhsa_exception_fp_ieee_invalid_op 0
		.amdhsa_exception_fp_denorm_src 0
		.amdhsa_exception_fp_ieee_div_zero 0
		.amdhsa_exception_fp_ieee_overflow 0
		.amdhsa_exception_fp_ieee_underflow 0
		.amdhsa_exception_fp_ieee_inexact 0
		.amdhsa_exception_int_div_zero 0
	.end_amdhsa_kernel
	.section	.text._ZN5aiter35fused_qk_rmsnorm_group_quant_kernelItDB8_Li128ELi16ELi8ELb1ELb1ELb0ELb0ELb0ELb0EEEvPT0_PvPT_S6_S6_PKS5_S8_S8_S8_S8_ffiiiiiiiiiiiii,"axG",@progbits,_ZN5aiter35fused_qk_rmsnorm_group_quant_kernelItDB8_Li128ELi16ELi8ELb1ELb1ELb0ELb0ELb0ELb0EEEvPT0_PvPT_S6_S6_PKS5_S8_S8_S8_S8_ffiiiiiiiiiiiii,comdat
.Lfunc_end622:
	.size	_ZN5aiter35fused_qk_rmsnorm_group_quant_kernelItDB8_Li128ELi16ELi8ELb1ELb1ELb0ELb0ELb0ELb0EEEvPT0_PvPT_S6_S6_PKS5_S8_S8_S8_S8_ffiiiiiiiiiiiii, .Lfunc_end622-_ZN5aiter35fused_qk_rmsnorm_group_quant_kernelItDB8_Li128ELi16ELi8ELb1ELb1ELb0ELb0ELb0ELb0EEEvPT0_PvPT_S6_S6_PKS5_S8_S8_S8_S8_ffiiiiiiiiiiiii
                                        ; -- End function
	.section	.AMDGPU.csdata,"",@progbits
; Kernel info:
; codeLenInByte = 4224
; NumSgprs: 48
; NumVgprs: 96
; NumAgprs: 0
; TotalNumVgprs: 96
; ScratchSize: 0
; MemoryBound: 0
; FloatMode: 240
; IeeeMode: 1
; LDSByteSize: 16 bytes/workgroup (compile time only)
; SGPRBlocks: 5
; VGPRBlocks: 11
; NumSGPRsForWavesPerEU: 48
; NumVGPRsForWavesPerEU: 96
; AccumOffset: 96
; Occupancy: 5
; WaveLimiterHint : 0
; COMPUTE_PGM_RSRC2:SCRATCH_EN: 0
; COMPUTE_PGM_RSRC2:USER_SGPR: 6
; COMPUTE_PGM_RSRC2:TRAP_HANDLER: 0
; COMPUTE_PGM_RSRC2:TGID_X_EN: 1
; COMPUTE_PGM_RSRC2:TGID_Y_EN: 1
; COMPUTE_PGM_RSRC2:TGID_Z_EN: 0
; COMPUTE_PGM_RSRC2:TIDIG_COMP_CNT: 0
; COMPUTE_PGM_RSRC3_GFX90A:ACCUM_OFFSET: 23
; COMPUTE_PGM_RSRC3_GFX90A:TG_SPLIT: 0
	.section	.text._ZN5aiter35fused_qk_rmsnorm_group_quant_kernelIDF16_N4opus5fp4_tELi128ELi16ELi8ELb1ELb1ELb0ELb0ELb0ELb0EEEvPT0_PvPT_S7_S7_PKS6_S9_S9_S9_S9_ffiiiiiiiiiiiii,"axG",@progbits,_ZN5aiter35fused_qk_rmsnorm_group_quant_kernelIDF16_N4opus5fp4_tELi128ELi16ELi8ELb1ELb1ELb0ELb0ELb0ELb0EEEvPT0_PvPT_S7_S7_PKS6_S9_S9_S9_S9_ffiiiiiiiiiiiii,comdat
	.protected	_ZN5aiter35fused_qk_rmsnorm_group_quant_kernelIDF16_N4opus5fp4_tELi128ELi16ELi8ELb1ELb1ELb0ELb0ELb0ELb0EEEvPT0_PvPT_S7_S7_PKS6_S9_S9_S9_S9_ffiiiiiiiiiiiii ; -- Begin function _ZN5aiter35fused_qk_rmsnorm_group_quant_kernelIDF16_N4opus5fp4_tELi128ELi16ELi8ELb1ELb1ELb0ELb0ELb0ELb0EEEvPT0_PvPT_S7_S7_PKS6_S9_S9_S9_S9_ffiiiiiiiiiiiii
	.globl	_ZN5aiter35fused_qk_rmsnorm_group_quant_kernelIDF16_N4opus5fp4_tELi128ELi16ELi8ELb1ELb1ELb0ELb0ELb0ELb0EEEvPT0_PvPT_S7_S7_PKS6_S9_S9_S9_S9_ffiiiiiiiiiiiii
	.p2align	8
	.type	_ZN5aiter35fused_qk_rmsnorm_group_quant_kernelIDF16_N4opus5fp4_tELi128ELi16ELi8ELb1ELb1ELb0ELb0ELb0ELb0EEEvPT0_PvPT_S7_S7_PKS6_S9_S9_S9_S9_ffiiiiiiiiiiiii,@function
_ZN5aiter35fused_qk_rmsnorm_group_quant_kernelIDF16_N4opus5fp4_tELi128ELi16ELi8ELb1ELb1ELb0ELb0ELb0ELb0EEEvPT0_PvPT_S7_S7_PKS6_S9_S9_S9_S9_ffiiiiiiiiiiiii: ; @_ZN5aiter35fused_qk_rmsnorm_group_quant_kernelIDF16_N4opus5fp4_tELi128ELi16ELi8ELb1ELb1ELb0ELb0ELb0ELb0EEEvPT0_PvPT_S7_S7_PKS6_S9_S9_S9_S9_ffiiiiiiiiiiiii
; %bb.0:
	s_load_dwordx8 s[20:27], s[4:5], 0x50
	s_waitcnt lgkmcnt(0)
	s_cmp_ge_i32 s6, s22
	s_cbranch_scc1 .LBB623_17
; %bb.1:
	s_cmp_lg_u32 s7, 0
	s_cselect_b64 s[30:31], -1, 0
	s_cmp_eq_u32 s7, 0
	s_cselect_b64 s[8:9], -1, 0
	s_and_b64 s[0:1], s[8:9], exec
	s_load_dwordx2 s[28:29], s[4:5], 0x48
	s_load_dwordx2 s[10:11], s[4:5], 0x30
	s_load_dwordx8 s[12:19], s[4:5], 0x70
	s_cselect_b32 s7, s23, s24
	s_add_i32 s0, s7, 1
	s_lshr_b32 s1, s0, 31
	s_add_i32 s0, s0, s1
	s_lshl_b32 s0, s0, 1
	v_lshlrev_b32_e32 v1, 4, v0
	s_and_b32 s38, s0, -4
	v_cmp_gt_i32_e64 s[0:1], s7, v1
	v_mov_b32_e32 v6, 0
	v_mov_b32_e32 v7, 0
	;; [unrolled: 1-line block ×16, first 2 shown]
	s_and_saveexec_b64 s[2:3], s[0:1]
	s_cbranch_execz .LBB623_3
; %bb.2:
	s_waitcnt lgkmcnt(0)
	s_load_dwordx2 s[18:19], s[4:5], 0x28
	s_load_dwordx2 s[34:35], s[4:5], 0x40
	s_and_b64 s[36:37], s[8:9], exec
	s_cselect_b32 s22, s25, s26
	s_mov_b32 s39, 0x20000
	s_waitcnt lgkmcnt(0)
	s_cselect_b32 s25, s19, s11
	s_cselect_b32 s33, s18, s10
	s_mul_hi_i32 s19, s22, s6
	s_mul_i32 s18, s22, s6
	s_lshl_b64 s[18:19], s[18:19], 1
	s_add_u32 s40, s33, s18
	s_addc_u32 s22, s25, s19
	s_and_b64 s[18:19], s[8:9], exec
	s_cselect_b32 s36, s34, s28
	s_cselect_b32 s18, s35, s29
	s_and_b32 s41, s22, 0xffff
	s_mov_b32 s42, s38
	s_mov_b32 s43, s39
	v_lshlrev_b32_e32 v18, 5, v0
	s_and_b32 s37, s18, 0xffff
	buffer_load_dwordx4 v[10:13], v18, s[40:43], 0 offen
	buffer_load_dwordx4 v[14:17], v18, s[40:43], 16 offen
	;; [unrolled: 1-line block ×4, first 2 shown]
.LBB623_3:
	s_or_b64 exec, exec, s[2:3]
	s_and_b64 vcc, exec, s[30:31]
	s_cbranch_vccz .LBB623_7
; %bb.4:
	v_mov_b32_e32 v19, 0
	v_mov_b32_e32 v18, 0
	;; [unrolled: 1-line block ×16, first 2 shown]
	s_and_saveexec_b64 s[2:3], s[0:1]
	s_cbranch_execz .LBB623_6
; %bb.5:
	s_waitcnt vmcnt(3)
	v_cvt_f32_f16_sdwa v33, v10 dst_sel:DWORD dst_unused:UNUSED_PAD src0_sel:WORD_1
	v_cvt_f32_f16_e32 v32, v10
	v_cvt_f32_f16_sdwa v31, v11 dst_sel:DWORD dst_unused:UNUSED_PAD src0_sel:WORD_1
	v_cvt_f32_f16_e32 v30, v11
	;; [unrolled: 2-line block ×4, first 2 shown]
	s_waitcnt vmcnt(2)
	v_cvt_f32_f16_sdwa v27, v14 dst_sel:DWORD dst_unused:UNUSED_PAD src0_sel:WORD_1
	v_cvt_f32_f16_e32 v26, v14
	v_cvt_f32_f16_sdwa v23, v15 dst_sel:DWORD dst_unused:UNUSED_PAD src0_sel:WORD_1
	v_cvt_f32_f16_e32 v22, v15
	;; [unrolled: 2-line block ×4, first 2 shown]
.LBB623_6:
	s_or_b64 exec, exec, s[2:3]
	s_cbranch_execz .LBB623_8
	s_branch .LBB623_11
.LBB623_7:
                                        ; implicit-def: $vgpr19
                                        ; implicit-def: $vgpr21
                                        ; implicit-def: $vgpr23
                                        ; implicit-def: $vgpr27
                                        ; implicit-def: $vgpr25
                                        ; implicit-def: $vgpr29
                                        ; implicit-def: $vgpr31
                                        ; implicit-def: $vgpr33
.LBB623_8:
	v_mov_b32_e32 v19, 0
	v_mov_b32_e32 v18, 0
	;; [unrolled: 1-line block ×16, first 2 shown]
	s_and_saveexec_b64 s[2:3], s[0:1]
	s_cbranch_execz .LBB623_10
; %bb.9:
	s_waitcnt lgkmcnt(0)
	s_load_dwordx2 s[18:19], s[4:5], 0x38
	s_mul_hi_i32 s35, s27, s6
	s_mul_i32 s34, s27, s6
	s_lshl_b64 s[34:35], s[34:35], 1
	s_mov_b32 s39, 0x20000
	s_waitcnt lgkmcnt(0)
	s_add_u32 s36, s18, s34
	s_addc_u32 s18, s19, s35
	s_and_b32 s37, s18, 0xffff
	v_lshlrev_b32_e32 v46, 5, v0
	buffer_load_dwordx4 v[18:21], v46, s[36:39], 16 offen
	buffer_load_dwordx4 v[22:25], v46, s[36:39], 0 offen
	s_waitcnt vmcnt(4)
	v_cvt_f32_f16_sdwa v27, v14 dst_sel:DWORD dst_unused:UNUSED_PAD src0_sel:WORD_1
	v_cvt_f32_f16_e32 v26, v14
	v_cvt_f32_f16_sdwa v29, v15 dst_sel:DWORD dst_unused:UNUSED_PAD src0_sel:WORD_1
	v_cvt_f32_f16_e32 v28, v15
	;; [unrolled: 2-line block ×8, first 2 shown]
	s_load_dwordx2 s[18:19], s[4:5], 0x20
	s_mul_hi_i32 s35, s17, s6
	s_mul_i32 s34, s17, s6
	s_lshl_b64 s[34:35], s[34:35], 1
	s_waitcnt lgkmcnt(0)
	s_add_u32 s36, s18, s34
	s_addc_u32 s17, s19, s35
	s_and_b32 s37, s17, 0xffff
	s_waitcnt vmcnt(1)
	v_cvt_f32_f16_e32 v12, v18
	v_cvt_f32_f16_sdwa v13, v18 dst_sel:DWORD dst_unused:UNUSED_PAD src0_sel:WORD_1
	v_cvt_f32_f16_e32 v18, v19
	v_cvt_f32_f16_sdwa v19, v19 dst_sel:DWORD dst_unused:UNUSED_PAD src0_sel:WORD_1
	;; [unrolled: 2-line block ×4, first 2 shown]
	s_waitcnt vmcnt(0)
	v_cvt_f32_f16_e32 v40, v22
	v_cvt_f32_f16_sdwa v41, v22 dst_sel:DWORD dst_unused:UNUSED_PAD src0_sel:WORD_1
	v_cvt_f32_f16_e32 v42, v23
	v_cvt_f32_f16_sdwa v43, v23 dst_sel:DWORD dst_unused:UNUSED_PAD src0_sel:WORD_1
	;; [unrolled: 2-line block ×4, first 2 shown]
	v_pk_add_f32 v[26:27], v[26:27], v[12:13]
	v_pk_add_f32 v[22:23], v[28:29], v[18:19]
	;; [unrolled: 1-line block ×8, first 2 shown]
	v_cvt_f16_f32_e32 v10, v33
	v_cvt_f16_f32_e32 v14, v32
	;; [unrolled: 1-line block ×16, first 2 shown]
	v_pack_b32_f16 v13, v17, v13
	v_pack_b32_f16 v12, v16, v12
	;; [unrolled: 1-line block ×8, first 2 shown]
	buffer_store_dwordx4 v[10:13], v46, s[36:39], 0 offen
	;;#ASMSTART
	s_nop 0
	;;#ASMEND
	buffer_store_dwordx4 v[14:17], v46, s[36:39], 16 offen
	;;#ASMSTART
	s_nop 0
	;;#ASMEND
.LBB623_10:
	s_or_b64 exec, exec, s[2:3]
.LBB623_11:
	s_waitcnt vmcnt(3)
	v_mul_f32_e32 v10, v33, v33
	v_fmac_f32_e32 v10, v32, v32
	v_fmac_f32_e32 v10, v30, v30
	;; [unrolled: 1-line block ×15, first 2 shown]
	v_and_b32_e32 v12, 63, v0
	v_cmp_eq_u32_e64 s[2:3], 63, v12
	v_mov_b32_dpp v11, v10 quad_perm:[1,0,3,2] row_mask:0xf bank_mask:0xf
	v_add_f32_e32 v10, v10, v11
	s_nop 1
	v_mov_b32_dpp v11, v10 quad_perm:[2,3,0,1] row_mask:0xf bank_mask:0xf
	v_add_f32_e32 v10, v10, v11
	s_nop 1
	v_mov_b32_dpp v11, v10 row_half_mirror row_mask:0xf bank_mask:0xf
	v_add_f32_e32 v10, v10, v11
	s_nop 1
	v_mov_b32_dpp v11, v10 row_mirror row_mask:0xf bank_mask:0xf
	v_add_f32_e32 v10, v10, v11
	s_nop 1
	v_mov_b32_dpp v11, v10 row_bcast:15 row_mask:0xf bank_mask:0xf
	v_add_f32_e32 v10, v10, v11
	s_nop 1
	v_mov_b32_dpp v11, v10 row_bcast:31 row_mask:0xf bank_mask:0xf
	s_waitcnt lgkmcnt(0)
	s_and_saveexec_b64 s[18:19], s[2:3]
	s_cbranch_execz .LBB623_13
; %bb.12:
	v_add_f32_e32 v10, v10, v11
	v_lshrrev_b32_e32 v11, 4, v0
	v_and_b32_e32 v11, 60, v11
	ds_write_b32 v11, v10 offset:8
.LBB623_13:
	s_or_b64 exec, exec, s[18:19]
	v_and_b32_e32 v10, 1, v0
	v_lshlrev_b32_e32 v34, 2, v10
	s_waitcnt lgkmcnt(0)
	s_barrier
	ds_read_b32 v10, v34 offset:8
	s_load_dwordx2 s[18:19], s[4:5], 0x18
	s_waitcnt lgkmcnt(0)
	v_mov_b32_dpp v11, v10 quad_perm:[1,0,3,2] row_mask:0xf bank_mask:0xf
	s_and_saveexec_b64 s[34:35], s[0:1]
	s_cbranch_execnz .LBB623_18
; %bb.14:
	s_or_b64 exec, exec, s[34:35]
	s_mov_b64 s[8:9], -1
	s_and_b64 vcc, exec, s[30:31]
	s_cbranch_vccnz .LBB623_19
.LBB623_15:
	s_andn2_b64 vcc, exec, s[8:9]
	s_cbranch_vccz .LBB623_22
.LBB623_16:
	s_cmp_lt_i32 s24, 1
	s_cbranch_scc0 .LBB623_31
.LBB623_17:
	s_endpgm
.LBB623_18:
	v_cvt_f32_u32_e32 v12, s7
	v_add_f32_e32 v10, v10, v11
	s_waitcnt vmcnt(2)
	v_mov_b32_e32 v14, s21
	v_mov_b32_e32 v15, s20
	v_div_scale_f32 v11, s[36:37], v12, v12, v10
	v_rcp_f32_e32 v13, v11
	v_cndmask_b32_e64 v14, v14, v15, s[8:9]
	s_mov_b32 s7, 0x800000
	s_waitcnt vmcnt(1)
	v_cvt_f32_f16_sdwa v37, v9 dst_sel:DWORD dst_unused:UNUSED_PAD src0_sel:WORD_1
	v_fma_f32 v15, -v11, v13, 1.0
	v_fmac_f32_e32 v13, v15, v13
	v_div_scale_f32 v15, vcc, v10, v12, v10
	v_mul_f32_e32 v16, v15, v13
	v_fma_f32 v17, -v11, v16, v15
	v_fmac_f32_e32 v16, v17, v13
	v_fma_f32 v11, -v11, v16, v15
	v_div_fmas_f32 v11, v11, v13, v16
	v_div_fixup_f32 v10, v11, v12, v10
	v_add_f32_e32 v10, v14, v10
	v_mul_f32_e32 v11, 0x4b800000, v10
	v_cmp_gt_f32_e32 vcc, s7, v10
	v_cndmask_b32_e32 v10, v10, v11, vcc
	v_rsq_f32_e32 v10, v10
	v_cvt_f32_f16_e32 v36, v9
	s_waitcnt vmcnt(0)
	v_cvt_f32_f16_sdwa v9, v3 dst_sel:DWORD dst_unused:UNUSED_PAD src0_sel:WORD_1
	v_mul_f32_e32 v11, 0x45800000, v10
	v_cndmask_b32_e32 v10, v10, v11, vcc
	v_mov_b32_e32 v11, v10
	;;#ASMSTART
	v_pk_mul_f32 v[12:13], v[32:33], v[10:11]
	;;#ASMEND
	;;#ASMSTART
	v_pk_mul_f32 v[14:15], v[30:31], v[10:11]
	;;#ASMEND
	;; [unrolled: 3-line block ×8, first 2 shown]
	v_cvt_f32_f16_sdwa v19, v6 dst_sel:DWORD dst_unused:UNUSED_PAD src0_sel:WORD_1
	v_cvt_f32_f16_e32 v18, v6
	v_cvt_f32_f16_sdwa v29, v7 dst_sel:DWORD dst_unused:UNUSED_PAD src0_sel:WORD_1
	v_cvt_f32_f16_e32 v28, v7
	;; [unrolled: 2-line block ×3, first 2 shown]
	;;#ASMSTART
	v_pk_mul_f32 v[32:33], v[12:13], v[18:19]
	;;#ASMEND
	;;#ASMSTART
	v_pk_mul_f32 v[30:31], v[14:15], v[28:29]
	;;#ASMEND
	;;#ASMSTART
	v_pk_mul_f32 v[28:29], v[16:17], v[6:7]
	;;#ASMEND
	;;#ASMSTART
	v_pk_mul_f32 v[24:25], v[24:25], v[36:37]
	;;#ASMEND
	v_cvt_f32_f16_sdwa v7, v2 dst_sel:DWORD dst_unused:UNUSED_PAD src0_sel:WORD_1
	v_cvt_f32_f16_e32 v6, v2
	v_cvt_f32_f16_e32 v8, v3
	v_cvt_f32_f16_sdwa v3, v4 dst_sel:DWORD dst_unused:UNUSED_PAD src0_sel:WORD_1
	v_cvt_f32_f16_e32 v2, v4
	v_cvt_f32_f16_sdwa v13, v5 dst_sel:DWORD dst_unused:UNUSED_PAD src0_sel:WORD_1
	v_cvt_f32_f16_e32 v12, v5
	;;#ASMSTART
	v_pk_mul_f32 v[26:27], v[26:27], v[6:7]
	;;#ASMEND
	;;#ASMSTART
	v_pk_mul_f32 v[22:23], v[22:23], v[8:9]
	;;#ASMEND
	;; [unrolled: 3-line block ×4, first 2 shown]
	s_or_b64 exec, exec, s[34:35]
	s_mov_b64 s[8:9], -1
	s_and_b64 vcc, exec, s[30:31]
	s_cbranch_vccz .LBB623_15
.LBB623_19:
	s_and_saveexec_b64 s[8:9], s[0:1]
	s_cbranch_execz .LBB623_21
; %bb.20:
	s_mul_hi_i32 s31, s16, s6
	s_mul_i32 s30, s16, s6
	s_waitcnt vmcnt(0)
	v_cvt_f16_f32_e32 v2, v32
	v_cvt_f16_f32_e32 v3, v30
	;; [unrolled: 1-line block ×8, first 2 shown]
	s_lshl_b64 s[30:31], s[30:31], 1
	s_add_u32 s36, s18, s30
	s_addc_u32 s7, s19, s31
	s_and_b32 s37, s7, 0xffff
	s_mov_b32 s39, 0x20000
	v_pack_b32_f16 v5, v5, v6
	v_pack_b32_f16 v4, v4, v7
	;; [unrolled: 1-line block ×4, first 2 shown]
	v_lshlrev_b32_e32 v6, 5, v0
	buffer_store_dwordx4 v[2:5], v6, s[36:39], 0 offen
	v_cvt_f16_f32_e32 v7, v19
	v_cvt_f16_f32_e32 v2, v26
	;; [unrolled: 1-line block ×8, first 2 shown]
	v_pack_b32_f16 v5, v5, v7
	v_pack_b32_f16 v4, v4, v8
	;; [unrolled: 1-line block ×4, first 2 shown]
	;;#ASMSTART
	s_nop 0
	;;#ASMEND
	buffer_store_dwordx4 v[2:5], v6, s[36:39], 16 offen
	;;#ASMSTART
	s_nop 0
	;;#ASMEND
.LBB623_21:
	s_or_b64 exec, exec, s[8:9]
	s_cbranch_execnz .LBB623_16
.LBB623_22:
	s_waitcnt vmcnt(0)
	v_mov_b32_e32 v2, 0
	s_and_saveexec_b64 s[8:9], s[0:1]
	s_cbranch_execz .LBB623_24
; %bb.23:
	s_load_dwordx2 s[30:31], s[4:5], 0x10
	s_mul_hi_i32 s35, s15, s6
	s_mul_i32 s34, s15, s6
	v_cvt_f16_f32_e32 v2, v32
	v_cvt_f16_f32_e32 v3, v30
	;; [unrolled: 1-line block ×8, first 2 shown]
	s_lshl_b64 s[34:35], s[34:35], 1
	s_waitcnt lgkmcnt(0)
	s_add_u32 s36, s30, s34
	s_addc_u32 s7, s31, s35
	s_mov_b32 s39, 0x20000
	s_and_b32 s37, s7, 0xffff
	v_pack_b32_f16 v5, v5, v6
	v_pack_b32_f16 v4, v4, v7
	;; [unrolled: 1-line block ×4, first 2 shown]
	v_lshlrev_b32_e32 v6, 5, v0
	buffer_store_dwordx4 v[2:5], v6, s[36:39], 0 offen
	v_cvt_f16_f32_e32 v7, v19
	v_cvt_f16_f32_e32 v2, v26
	;; [unrolled: 1-line block ×8, first 2 shown]
	v_pack_b32_f16 v5, v5, v7
	v_pack_b32_f16 v4, v4, v8
	;; [unrolled: 1-line block ×4, first 2 shown]
	;;#ASMSTART
	s_nop 0
	;;#ASMEND
	buffer_store_dwordx4 v[2:5], v6, s[36:39], 16 offen
	;;#ASMSTART
	s_nop 0
	;;#ASMEND
	s_nop 0
	v_mov_b32_e32 v2, 0x2edbe6ff
.LBB623_24:
	s_or_b64 exec, exec, s[8:9]
	s_and_saveexec_b64 s[8:9], s[0:1]
	s_cbranch_execz .LBB623_26
; %bb.25:
	v_and_b32_e32 v3, 0x7fffffff, v32
	v_and_b32_e32 v4, 0x7fffffff, v33
	;;#ASMSTART
	v_max3_f32 v2, v2, v3, v4

	;;#ASMEND
	v_and_b32_e32 v3, 0x7fffffff, v30
	v_and_b32_e32 v4, 0x7fffffff, v31
	;;#ASMSTART
	v_max3_f32 v2, v2, v3, v4

	;;#ASMEND
	;; [unrolled: 6-line block ×8, first 2 shown]
.LBB623_26:
	s_or_b64 exec, exec, s[8:9]
	;;#ASMSTART
	v_max_f32 v3, v2, v2 quad_perm:[1,0,3,2] row_mask:0xf bank_mask:0xf bound_ctrl:1
	;;#ASMEND
	;;#ASMSTART
	v_max_f32 v4, v3, v3 quad_perm:[2,3,0,1] row_mask:0xf bank_mask:0xf bound_ctrl:1
	;;#ASMEND
	v_and_b32_e32 v3, 7, v0
	v_cmp_eq_u32_e32 vcc, 0, v3
	v_cmp_gt_i32_e64 s[8:9], s23, v1
	s_and_b64 s[30:31], vcc, s[8:9]
	;;#ASMSTART
	v_max_f32 v2, v4, v4 row_half_mirror row_mask:0xf bank_mask:0xf bound_ctrl:1
	;;#ASMEND
	s_and_saveexec_b64 s[8:9], s[30:31]
	s_cbranch_execz .LBB623_28
; %bb.27:
	s_load_dwordx2 s[30:31], s[4:5], 0x8
	v_mul_f32_e32 v2, 0x3e2aaaab, v2
	v_lshrrev_b32_e32 v3, 23, v2
	v_and_b32_e32 v4, 0x7f800000, v2
	v_and_b32_e32 v2, 0x7fffff, v2
	v_cmp_ne_u32_e32 vcc, 0, v2
	s_mul_hi_i32 s15, s13, s6
	s_mul_i32 s13, s13, s6
	s_mov_b32 s7, 0x7f800000
	v_addc_co_u32_e32 v2, vcc, 0, v3, vcc
	s_waitcnt lgkmcnt(0)
	s_add_u32 s30, s30, s13
	v_cmp_ne_u32_e32 vcc, s7, v4
	s_addc_u32 s31, s31, s15
	v_lshrrev_b32_e32 v5, 3, v0
	v_cndmask_b32_e32 v4, -1, v2, vcc
	v_pk_mov_b32 v[2:3], s[30:31], s[30:31] op_sel:[0,1]
	v_mad_i64_i32 v[2:3], s[14:15], s14, v5, v[2:3]
	global_store_byte v[2:3], v4, off
.LBB623_28:
	s_or_b64 exec, exec, s[8:9]
	s_and_saveexec_b64 s[8:9], s[0:1]
	s_cbranch_execz .LBB623_30
; %bb.29:
	s_load_dwordx2 s[0:1], s[4:5], 0x0
	s_mul_hi_i32 s7, s12, s6
	s_mul_i32 s12, s12, s6
	v_mov_b32_e32 v2, 0
	v_lshlrev_b32_e32 v4, 3, v0
	s_waitcnt lgkmcnt(0)
	s_add_u32 s12, s0, s12
	s_addc_u32 s0, s1, s7
	s_lshr_b32 s1, s23, 31
	s_add_i32 s1, s23, s1
	s_ashr_i32 s1, s1, 1
	s_add_i32 s1, s1, 3
	s_ashr_i32 s7, s1, 31
	s_lshr_b32 s7, s7, 30
	s_add_i32 s1, s1, s7
	s_and_b32 s14, s1, -4
	s_and_b32 s13, s0, 0xffff
	s_mov_b32 s15, 0x20000
	v_mov_b32_e32 v3, v2
	buffer_store_dwordx2 v[2:3], v4, s[12:15], 0 offen
	;;#ASMSTART
	s_nop 0
	;;#ASMEND
.LBB623_30:
	s_or_b64 exec, exec, s[8:9]
	s_cmp_lt_i32 s24, 1
	s_cbranch_scc1 .LBB623_17
.LBB623_31:
	s_load_dword s0, s[4:5], 0x94
	s_waitcnt lgkmcnt(0)
	s_cmp_lg_u32 s0, 1
	s_cbranch_scc1 .LBB623_17
; %bb.32:
	s_lshl_b32 s0, s24, 1
	s_add_i32 s0, s0, 2
	v_cmp_gt_u32_e32 vcc, s24, v1
	s_and_b32 s30, s0, -4
	v_mov_b32_e32 v18, 0
	v_lshlrev_b32_e32 v1, 5, v0
	s_waitcnt vmcnt(2)
	v_mov_b32_e32 v14, 0
	v_mov_b32_e32 v15, 0
	;; [unrolled: 1-line block ×8, first 2 shown]
	s_waitcnt vmcnt(1)
	v_mov_b32_e32 v6, 0
	v_mov_b32_e32 v7, 0
	;; [unrolled: 1-line block ×4, first 2 shown]
	s_waitcnt vmcnt(0)
	v_mov_b32_e32 v2, 0
	v_mov_b32_e32 v3, 0
	;; [unrolled: 1-line block ×4, first 2 shown]
	s_barrier
	s_and_saveexec_b64 s[0:1], vcc
	s_cbranch_execz .LBB623_34
; %bb.33:
	s_mul_hi_i32 s5, s26, s6
	s_mul_i32 s4, s26, s6
	s_and_b32 s29, s29, 0xffff
	s_lshl_b64 s[4:5], s[4:5], 1
	s_add_u32 s8, s10, s4
	s_mov_b32 s31, 0x20000
	s_addc_u32 s4, s11, s5
	s_and_b32 s9, s4, 0xffff
	s_mov_b32 s10, s30
	s_mov_b32 s11, s31
	buffer_load_dwordx4 v[14:17], v1, s[8:11], 0 offen
	buffer_load_dwordx4 v[10:13], v1, s[8:11], 16 offen
	;; [unrolled: 1-line block ×4, first 2 shown]
.LBB623_34:
	s_or_b64 exec, exec, s[0:1]
	v_mov_b32_e32 v19, 0
	v_mov_b32_e32 v32, 0
	;; [unrolled: 1-line block ×15, first 2 shown]
	s_and_saveexec_b64 s[0:1], vcc
	s_cbranch_execz .LBB623_36
; %bb.35:
	s_waitcnt vmcnt(3)
	v_cvt_f32_f16_sdwa v19, v14 dst_sel:DWORD dst_unused:UNUSED_PAD src0_sel:WORD_1
	v_cvt_f32_f16_e32 v18, v14
	v_cvt_f32_f16_sdwa v33, v15 dst_sel:DWORD dst_unused:UNUSED_PAD src0_sel:WORD_1
	v_cvt_f32_f16_e32 v32, v15
	;; [unrolled: 2-line block ×4, first 2 shown]
	s_waitcnt vmcnt(2)
	v_cvt_f32_f16_sdwa v27, v10 dst_sel:DWORD dst_unused:UNUSED_PAD src0_sel:WORD_1
	v_cvt_f32_f16_e32 v26, v10
	v_cvt_f32_f16_sdwa v25, v11 dst_sel:DWORD dst_unused:UNUSED_PAD src0_sel:WORD_1
	v_cvt_f32_f16_e32 v24, v11
	;; [unrolled: 2-line block ×4, first 2 shown]
.LBB623_36:
	s_or_b64 exec, exec, s[0:1]
	s_waitcnt vmcnt(2)
	v_mul_f32_e32 v10, v19, v19
	v_fmac_f32_e32 v10, v18, v18
	v_fmac_f32_e32 v10, v32, v32
	;; [unrolled: 1-line block ×15, first 2 shown]
	s_nop 1
	v_mov_b32_dpp v11, v10 quad_perm:[1,0,3,2] row_mask:0xf bank_mask:0xf
	v_add_f32_e32 v10, v10, v11
	s_nop 1
	v_mov_b32_dpp v11, v10 quad_perm:[2,3,0,1] row_mask:0xf bank_mask:0xf
	v_add_f32_e32 v10, v10, v11
	s_nop 1
	v_mov_b32_dpp v11, v10 row_half_mirror row_mask:0xf bank_mask:0xf
	v_add_f32_e32 v10, v10, v11
	s_nop 1
	v_mov_b32_dpp v11, v10 row_mirror row_mask:0xf bank_mask:0xf
	v_add_f32_e32 v10, v10, v11
	s_nop 1
	v_mov_b32_dpp v11, v10 row_bcast:15 row_mask:0xf bank_mask:0xf
	v_add_f32_e32 v10, v10, v11
	s_nop 1
	v_mov_b32_dpp v11, v10 row_bcast:31 row_mask:0xf bank_mask:0xf
	s_and_saveexec_b64 s[0:1], s[2:3]
	s_cbranch_execz .LBB623_38
; %bb.37:
	v_lshrrev_b32_e32 v0, 4, v0
	v_add_f32_e32 v10, v10, v11
	v_and_b32_e32 v0, 60, v0
	ds_write_b32 v0, v10
.LBB623_38:
	s_or_b64 exec, exec, s[0:1]
	s_waitcnt lgkmcnt(0)
	s_barrier
	ds_read_b32 v0, v34
	s_waitcnt lgkmcnt(0)
	s_nop 0
	v_mov_b32_dpp v10, v0 quad_perm:[1,0,3,2] row_mask:0xf bank_mask:0xf
	s_and_saveexec_b64 s[0:1], vcc
	s_cbranch_execz .LBB623_17
; %bb.39:
	v_cvt_f32_u32_e32 v11, s24
	v_add_f32_e32 v0, v0, v10
	s_mov_b32 s31, 0x20000
	v_div_scale_f32 v10, s[0:1], v11, v11, v0
	v_rcp_f32_e32 v12, v10
	v_div_scale_f32 v13, vcc, v0, v11, v0
	s_mov_b32 s0, 0x800000
	v_fma_f32 v14, -v10, v12, 1.0
	v_fmac_f32_e32 v12, v14, v12
	v_mul_f32_e32 v14, v13, v12
	v_fma_f32 v15, -v10, v14, v13
	v_fmac_f32_e32 v14, v15, v12
	v_fma_f32 v10, -v10, v14, v13
	v_div_fmas_f32 v10, v10, v12, v14
	v_div_fixup_f32 v0, v10, v11, v0
	v_add_f32_e32 v0, s21, v0
	v_mul_f32_e32 v10, 0x4b800000, v0
	v_cmp_gt_f32_e32 vcc, s0, v0
	v_cndmask_b32_e32 v0, v0, v10, vcc
	v_rsq_f32_e32 v0, v0
	s_mul_hi_i32 s1, s16, s6
	s_mul_i32 s0, s16, s6
	s_lshl_b64 s[0:1], s[0:1], 1
	v_mul_f32_e32 v10, 0x45800000, v0
	v_cndmask_b32_e32 v10, v0, v10, vcc
	v_mov_b32_e32 v11, v10
	;;#ASMSTART
	v_pk_mul_f32 v[12:13], v[18:19], v[10:11]
	;;#ASMEND
	;;#ASMSTART
	v_pk_mul_f32 v[14:15], v[32:33], v[10:11]
	;;#ASMEND
	;; [unrolled: 3-line block ×8, first 2 shown]
	s_waitcnt vmcnt(1)
	v_cvt_f32_f16_sdwa v21, v6 dst_sel:DWORD dst_unused:UNUSED_PAD src0_sel:WORD_1
	v_cvt_f32_f16_e32 v20, v6
	v_cvt_f32_f16_sdwa v29, v7 dst_sel:DWORD dst_unused:UNUSED_PAD src0_sel:WORD_1
	v_cvt_f32_f16_e32 v28, v7
	;; [unrolled: 2-line block ×4, first 2 shown]
	;;#ASMSTART
	v_pk_mul_f32 v[8:9], v[12:13], v[20:21]
	;;#ASMEND
	;;#ASMSTART
	v_pk_mul_f32 v[12:13], v[14:15], v[28:29]
	;;#ASMEND
	;; [unrolled: 3-line block ×4, first 2 shown]
	s_waitcnt vmcnt(0)
	v_cvt_f32_f16_sdwa v17, v2 dst_sel:DWORD dst_unused:UNUSED_PAD src0_sel:WORD_1
	v_cvt_f32_f16_e32 v16, v2
	v_cvt_f32_f16_sdwa v19, v3 dst_sel:DWORD dst_unused:UNUSED_PAD src0_sel:WORD_1
	v_cvt_f32_f16_e32 v18, v3
	v_cvt_f32_f16_sdwa v3, v4 dst_sel:DWORD dst_unused:UNUSED_PAD src0_sel:WORD_1
	v_cvt_f32_f16_e32 v2, v4
	v_cvt_f32_f16_sdwa v21, v5 dst_sel:DWORD dst_unused:UNUSED_PAD src0_sel:WORD_1
	v_cvt_f32_f16_e32 v20, v5
	;;#ASMSTART
	v_pk_mul_f32 v[16:17], v[26:27], v[16:17]
	;;#ASMEND
	;;#ASMSTART
	v_pk_mul_f32 v[18:19], v[24:25], v[18:19]
	;;#ASMEND
	;; [unrolled: 3-line block ×3, first 2 shown]
	v_cvt_f16_f32_e32 v0, v8
	v_cvt_f16_f32_e32 v2, v9
	;; [unrolled: 1-line block ×8, first 2 shown]
	s_add_u32 s28, s18, s0
	s_addc_u32 s0, s19, s1
	s_and_b32 s29, s0, 0xffff
	v_pack_b32_f16 v2, v0, v2
	v_pack_b32_f16 v3, v3, v4
	;; [unrolled: 1-line block ×4, first 2 shown]
	;;#ASMSTART
	v_pk_mul_f32 v[10:11], v[10:11], v[20:21]
	;;#ASMEND
	buffer_store_dwordx4 v[2:5], v1, s[28:31], 0 offen
	v_cvt_f16_f32_e32 v0, v16
	v_cvt_f16_f32_e32 v2, v17
	;; [unrolled: 1-line block ×8, first 2 shown]
	v_pack_b32_f16 v2, v0, v2
	v_pack_b32_f16 v3, v3, v4
	;; [unrolled: 1-line block ×4, first 2 shown]
	;;#ASMSTART
	s_nop 0
	;;#ASMEND
	buffer_store_dwordx4 v[2:5], v1, s[28:31], 16 offen
	;;#ASMSTART
	s_nop 0
	;;#ASMEND
	s_endpgm
	.section	.rodata,"a",@progbits
	.p2align	6, 0x0
	.amdhsa_kernel _ZN5aiter35fused_qk_rmsnorm_group_quant_kernelIDF16_N4opus5fp4_tELi128ELi16ELi8ELb1ELb1ELb0ELb0ELb0ELb0EEEvPT0_PvPT_S7_S7_PKS6_S9_S9_S9_S9_ffiiiiiiiiiiiii
		.amdhsa_group_segment_fixed_size 16
		.amdhsa_private_segment_fixed_size 0
		.amdhsa_kernarg_size 400
		.amdhsa_user_sgpr_count 6
		.amdhsa_user_sgpr_private_segment_buffer 1
		.amdhsa_user_sgpr_dispatch_ptr 0
		.amdhsa_user_sgpr_queue_ptr 0
		.amdhsa_user_sgpr_kernarg_segment_ptr 1
		.amdhsa_user_sgpr_dispatch_id 0
		.amdhsa_user_sgpr_flat_scratch_init 0
		.amdhsa_user_sgpr_kernarg_preload_length 0
		.amdhsa_user_sgpr_kernarg_preload_offset 0
		.amdhsa_user_sgpr_private_segment_size 0
		.amdhsa_uses_dynamic_stack 0
		.amdhsa_system_sgpr_private_segment_wavefront_offset 0
		.amdhsa_system_sgpr_workgroup_id_x 1
		.amdhsa_system_sgpr_workgroup_id_y 1
		.amdhsa_system_sgpr_workgroup_id_z 0
		.amdhsa_system_sgpr_workgroup_info 0
		.amdhsa_system_vgpr_workitem_id 0
		.amdhsa_next_free_vgpr 47
		.amdhsa_next_free_sgpr 44
		.amdhsa_accum_offset 48
		.amdhsa_reserve_vcc 1
		.amdhsa_reserve_flat_scratch 0
		.amdhsa_float_round_mode_32 0
		.amdhsa_float_round_mode_16_64 0
		.amdhsa_float_denorm_mode_32 3
		.amdhsa_float_denorm_mode_16_64 3
		.amdhsa_dx10_clamp 1
		.amdhsa_ieee_mode 1
		.amdhsa_fp16_overflow 0
		.amdhsa_tg_split 0
		.amdhsa_exception_fp_ieee_invalid_op 0
		.amdhsa_exception_fp_denorm_src 0
		.amdhsa_exception_fp_ieee_div_zero 0
		.amdhsa_exception_fp_ieee_overflow 0
		.amdhsa_exception_fp_ieee_underflow 0
		.amdhsa_exception_fp_ieee_inexact 0
		.amdhsa_exception_int_div_zero 0
	.end_amdhsa_kernel
	.section	.text._ZN5aiter35fused_qk_rmsnorm_group_quant_kernelIDF16_N4opus5fp4_tELi128ELi16ELi8ELb1ELb1ELb0ELb0ELb0ELb0EEEvPT0_PvPT_S7_S7_PKS6_S9_S9_S9_S9_ffiiiiiiiiiiiii,"axG",@progbits,_ZN5aiter35fused_qk_rmsnorm_group_quant_kernelIDF16_N4opus5fp4_tELi128ELi16ELi8ELb1ELb1ELb0ELb0ELb0ELb0EEEvPT0_PvPT_S7_S7_PKS6_S9_S9_S9_S9_ffiiiiiiiiiiiii,comdat
.Lfunc_end623:
	.size	_ZN5aiter35fused_qk_rmsnorm_group_quant_kernelIDF16_N4opus5fp4_tELi128ELi16ELi8ELb1ELb1ELb0ELb0ELb0ELb0EEEvPT0_PvPT_S7_S7_PKS6_S9_S9_S9_S9_ffiiiiiiiiiiiii, .Lfunc_end623-_ZN5aiter35fused_qk_rmsnorm_group_quant_kernelIDF16_N4opus5fp4_tELi128ELi16ELi8ELb1ELb1ELb0ELb0ELb0ELb0EEEvPT0_PvPT_S7_S7_PKS6_S9_S9_S9_S9_ffiiiiiiiiiiiii
                                        ; -- End function
	.section	.AMDGPU.csdata,"",@progbits
; Kernel info:
; codeLenInByte = 3960
; NumSgprs: 48
; NumVgprs: 47
; NumAgprs: 0
; TotalNumVgprs: 47
; ScratchSize: 0
; MemoryBound: 0
; FloatMode: 240
; IeeeMode: 1
; LDSByteSize: 16 bytes/workgroup (compile time only)
; SGPRBlocks: 5
; VGPRBlocks: 5
; NumSGPRsForWavesPerEU: 48
; NumVGPRsForWavesPerEU: 47
; AccumOffset: 48
; Occupancy: 8
; WaveLimiterHint : 0
; COMPUTE_PGM_RSRC2:SCRATCH_EN: 0
; COMPUTE_PGM_RSRC2:USER_SGPR: 6
; COMPUTE_PGM_RSRC2:TRAP_HANDLER: 0
; COMPUTE_PGM_RSRC2:TGID_X_EN: 1
; COMPUTE_PGM_RSRC2:TGID_Y_EN: 1
; COMPUTE_PGM_RSRC2:TGID_Z_EN: 0
; COMPUTE_PGM_RSRC2:TIDIG_COMP_CNT: 0
; COMPUTE_PGM_RSRC3_GFX90A:ACCUM_OFFSET: 11
; COMPUTE_PGM_RSRC3_GFX90A:TG_SPLIT: 0
	.section	.text._ZN5aiter35fused_qk_rmsnorm_group_quant_kernelItN4opus5fp4_tELi128ELi16ELi8ELb1ELb1ELb0ELb0ELb0ELb0EEEvPT0_PvPT_S7_S7_PKS6_S9_S9_S9_S9_ffiiiiiiiiiiiii,"axG",@progbits,_ZN5aiter35fused_qk_rmsnorm_group_quant_kernelItN4opus5fp4_tELi128ELi16ELi8ELb1ELb1ELb0ELb0ELb0ELb0EEEvPT0_PvPT_S7_S7_PKS6_S9_S9_S9_S9_ffiiiiiiiiiiiii,comdat
	.protected	_ZN5aiter35fused_qk_rmsnorm_group_quant_kernelItN4opus5fp4_tELi128ELi16ELi8ELb1ELb1ELb0ELb0ELb0ELb0EEEvPT0_PvPT_S7_S7_PKS6_S9_S9_S9_S9_ffiiiiiiiiiiiii ; -- Begin function _ZN5aiter35fused_qk_rmsnorm_group_quant_kernelItN4opus5fp4_tELi128ELi16ELi8ELb1ELb1ELb0ELb0ELb0ELb0EEEvPT0_PvPT_S7_S7_PKS6_S9_S9_S9_S9_ffiiiiiiiiiiiii
	.globl	_ZN5aiter35fused_qk_rmsnorm_group_quant_kernelItN4opus5fp4_tELi128ELi16ELi8ELb1ELb1ELb0ELb0ELb0ELb0EEEvPT0_PvPT_S7_S7_PKS6_S9_S9_S9_S9_ffiiiiiiiiiiiii
	.p2align	8
	.type	_ZN5aiter35fused_qk_rmsnorm_group_quant_kernelItN4opus5fp4_tELi128ELi16ELi8ELb1ELb1ELb0ELb0ELb0ELb0EEEvPT0_PvPT_S7_S7_PKS6_S9_S9_S9_S9_ffiiiiiiiiiiiii,@function
_ZN5aiter35fused_qk_rmsnorm_group_quant_kernelItN4opus5fp4_tELi128ELi16ELi8ELb1ELb1ELb0ELb0ELb0ELb0EEEvPT0_PvPT_S7_S7_PKS6_S9_S9_S9_S9_ffiiiiiiiiiiiii: ; @_ZN5aiter35fused_qk_rmsnorm_group_quant_kernelItN4opus5fp4_tELi128ELi16ELi8ELb1ELb1ELb0ELb0ELb0ELb0EEEvPT0_PvPT_S7_S7_PKS6_S9_S9_S9_S9_ffiiiiiiiiiiiii
; %bb.0:
	s_load_dwordx8 s[20:27], s[4:5], 0x50
	s_waitcnt lgkmcnt(0)
	s_cmp_ge_i32 s6, s22
	s_cbranch_scc1 .LBB624_17
; %bb.1:
	s_load_dwordx2 s[28:29], s[4:5], 0x48
	s_load_dwordx2 s[10:11], s[4:5], 0x30
	s_load_dwordx8 s[12:19], s[4:5], 0x70
	s_cmp_lg_u32 s7, 0
	s_waitcnt lgkmcnt(0)
	s_cselect_b64 s[18:19], -1, 0
	s_cmp_eq_u32 s7, 0
	s_cselect_b64 s[8:9], -1, 0
	s_and_b64 s[0:1], s[8:9], exec
	s_cselect_b32 s7, s23, s24
	s_add_i32 s0, s7, 1
	s_lshr_b32 s1, s0, 31
	s_add_i32 s0, s0, s1
	s_lshl_b32 s0, s0, 1
	v_lshlrev_b32_e32 v1, 4, v0
	s_and_b32 s38, s0, -4
	v_cmp_gt_i32_e64 s[0:1], s7, v1
	v_mov_b32_e32 v80, 0
	v_mov_b32_e32 v81, 0
	;; [unrolled: 1-line block ×16, first 2 shown]
	s_and_saveexec_b64 s[2:3], s[0:1]
	s_cbranch_execz .LBB624_3
; %bb.2:
	s_load_dwordx2 s[30:31], s[4:5], 0x28
	s_load_dwordx2 s[34:35], s[4:5], 0x40
	s_and_b64 s[36:37], s[8:9], exec
	s_cselect_b32 s22, s25, s26
	s_mov_b32 s39, 0x20000
	s_waitcnt lgkmcnt(0)
	s_cselect_b32 s25, s31, s11
	s_cselect_b32 s33, s30, s10
	s_mul_hi_i32 s31, s22, s6
	s_mul_i32 s30, s22, s6
	s_lshl_b64 s[30:31], s[30:31], 1
	s_add_u32 s40, s33, s30
	s_addc_u32 s22, s25, s31
	s_and_b64 s[30:31], s[8:9], exec
	s_cselect_b32 s36, s34, s28
	s_cselect_b32 s25, s35, s29
	s_and_b32 s41, s22, 0xffff
	s_mov_b32 s42, s38
	s_mov_b32 s43, s39
	v_lshlrev_b32_e32 v2, 5, v0
	s_and_b32 s37, s25, 0xffff
	buffer_load_dwordx4 v[84:87], v2, s[40:43], 0 offen
	buffer_load_dwordx4 v[88:91], v2, s[40:43], 16 offen
	;; [unrolled: 1-line block ×4, first 2 shown]
.LBB624_3:
	s_or_b64 exec, exec, s[2:3]
	s_and_b64 vcc, exec, s[18:19]
	s_cbranch_vccz .LBB624_7
; %bb.4:
	v_mov_b32_e32 v93, 0
	v_mov_b32_e32 v92, 0
	;; [unrolled: 1-line block ×16, first 2 shown]
	s_and_saveexec_b64 s[2:3], s[0:1]
	s_cbranch_execz .LBB624_6
; %bb.5:
	s_waitcnt vmcnt(3)
	v_cvt_f32_u32_sdwa v32, v84 dst_sel:DWORD dst_unused:UNUSED_PAD src0_sel:WORD_0
	v_cvt_f32_u32_sdwa v33, v84 dst_sel:DWORD dst_unused:UNUSED_PAD src0_sel:WORD_1
	v_cvt_f32_u32_sdwa v18, v85 dst_sel:DWORD dst_unused:UNUSED_PAD src0_sel:WORD_0
	v_cvt_f32_u32_sdwa v19, v85 dst_sel:DWORD dst_unused:UNUSED_PAD src0_sel:WORD_1
	;; [unrolled: 2-line block ×4, first 2 shown]
	s_waitcnt vmcnt(2)
	v_cvt_f32_u32_sdwa v68, v88 dst_sel:DWORD dst_unused:UNUSED_PAD src0_sel:WORD_0
	v_cvt_f32_u32_sdwa v69, v88 dst_sel:DWORD dst_unused:UNUSED_PAD src0_sel:WORD_1
	v_cvt_f32_u32_sdwa v62, v89 dst_sel:DWORD dst_unused:UNUSED_PAD src0_sel:WORD_0
	v_cvt_f32_u32_sdwa v63, v89 dst_sel:DWORD dst_unused:UNUSED_PAD src0_sel:WORD_1
	;; [unrolled: 2-line block ×4, first 2 shown]
.LBB624_6:
	s_or_b64 exec, exec, s[2:3]
	s_cbranch_execz .LBB624_8
	s_branch .LBB624_11
.LBB624_7:
                                        ; implicit-def: $vgpr32_vgpr33_vgpr34_vgpr35_vgpr36_vgpr37_vgpr38_vgpr39_vgpr40_vgpr41_vgpr42_vgpr43_vgpr44_vgpr45_vgpr46_vgpr47
                                        ; implicit-def: $vgpr46_vgpr47_vgpr48_vgpr49_vgpr50_vgpr51_vgpr52_vgpr53_vgpr54_vgpr55_vgpr56_vgpr57_vgpr58_vgpr59_vgpr60_vgpr61
                                        ; implicit-def: $vgpr16_vgpr17_vgpr18_vgpr19_vgpr20_vgpr21_vgpr22_vgpr23_vgpr24_vgpr25_vgpr26_vgpr27_vgpr28_vgpr29_vgpr30_vgpr31
                                        ; implicit-def: $vgpr93
                                        ; implicit-def: $vgpr2_vgpr3_vgpr4_vgpr5_vgpr6_vgpr7_vgpr8_vgpr9_vgpr10_vgpr11_vgpr12_vgpr13_vgpr14_vgpr15_vgpr16_vgpr17
                                        ; implicit-def: $vgpr60_vgpr61_vgpr62_vgpr63_vgpr64_vgpr65_vgpr66_vgpr67_vgpr68_vgpr69_vgpr70_vgpr71_vgpr72_vgpr73_vgpr74_vgpr75
                                        ; implicit-def: $vgpr34_vgpr35_vgpr36_vgpr37_vgpr38_vgpr39_vgpr40_vgpr41_vgpr42_vgpr43_vgpr44_vgpr45_vgpr46_vgpr47_vgpr48_vgpr49
                                        ; implicit-def: $vgpr52_vgpr53_vgpr54_vgpr55_vgpr56_vgpr57_vgpr58_vgpr59_vgpr60_vgpr61_vgpr62_vgpr63_vgpr64_vgpr65_vgpr66_vgpr67
.LBB624_8:
	v_mov_b32_e32 v93, 0
	v_mov_b32_e32 v92, 0
	v_mov_b32_e32 v15, 0
	v_mov_b32_e32 v14, 0
	v_mov_b32_e32 v63, 0
	v_mov_b32_e32 v62, 0
	v_mov_b32_e32 v69, 0
	v_mov_b32_e32 v68, 0
	v_mov_b32_e32 v41, 0
	v_mov_b32_e32 v40, 0
	v_mov_b32_e32 v51, 0
	v_mov_b32_e32 v50, 0
	v_mov_b32_e32 v19, 0
	v_mov_b32_e32 v18, 0
	v_mov_b32_e32 v33, 0
	v_mov_b32_e32 v32, 0
	s_and_saveexec_b64 s[2:3], s[0:1]
	s_cbranch_execz .LBB624_10
; %bb.9:
	s_load_dwordx2 s[30:31], s[4:5], 0x38
	s_mul_hi_i32 s35, s27, s6
	s_mul_i32 s34, s27, s6
	s_lshl_b64 s[34:35], s[34:35], 1
	s_mov_b32 s39, 0x20000
	s_waitcnt lgkmcnt(0)
	s_add_u32 s36, s30, s34
	s_addc_u32 s22, s31, s35
	s_and_b32 s37, s22, 0xffff
	v_lshlrev_b32_e32 v36, 5, v0
	buffer_load_dwordx4 v[4:7], v36, s[36:39], 16 offen
	buffer_load_dwordx4 v[8:11], v36, s[36:39], 0 offen
	s_load_dwordx2 s[30:31], s[4:5], 0x20
	s_waitcnt vmcnt(5)
	v_cvt_f32_u32_sdwa v21, v84 dst_sel:DWORD dst_unused:UNUSED_PAD src0_sel:WORD_1
	v_cvt_f32_u32_sdwa v20, v84 dst_sel:DWORD dst_unused:UNUSED_PAD src0_sel:WORD_0
	v_cvt_f32_u32_sdwa v19, v85 dst_sel:DWORD dst_unused:UNUSED_PAD src0_sel:WORD_1
	v_cvt_f32_u32_sdwa v18, v85 dst_sel:DWORD dst_unused:UNUSED_PAD src0_sel:WORD_0
	;; [unrolled: 2-line block ×4, first 2 shown]
	s_waitcnt vmcnt(4)
	v_cvt_f32_u32_sdwa v3, v88 dst_sel:DWORD dst_unused:UNUSED_PAD src0_sel:WORD_1
	v_cvt_f32_u32_sdwa v2, v88 dst_sel:DWORD dst_unused:UNUSED_PAD src0_sel:WORD_0
	v_cvt_f32_u32_sdwa v13, v89 dst_sel:DWORD dst_unused:UNUSED_PAD src0_sel:WORD_1
	v_cvt_f32_u32_sdwa v12, v89 dst_sel:DWORD dst_unused:UNUSED_PAD src0_sel:WORD_0
	;; [unrolled: 2-line block ×3, first 2 shown]
	v_cvt_f32_u32_sdwa v16, v91 dst_sel:DWORD dst_unused:UNUSED_PAD src0_sel:WORD_0
	v_cvt_f32_u32_sdwa v17, v91 dst_sel:DWORD dst_unused:UNUSED_PAD src0_sel:WORD_1
	s_mul_hi_i32 s35, s17, s6
	s_mul_i32 s34, s17, s6
	s_lshl_b64 s[34:35], s[34:35], 1
	s_waitcnt lgkmcnt(0)
	s_add_u32 s36, s30, s34
	s_mov_b32 s17, 0x7060302
	s_addc_u32 s22, s31, s35
	s_and_b32 s37, s22, 0xffff
	s_waitcnt vmcnt(1)
	v_cvt_f32_u32_sdwa v27, v4 dst_sel:DWORD dst_unused:UNUSED_PAD src0_sel:WORD_1
	v_cvt_f32_u32_sdwa v26, v4 dst_sel:DWORD dst_unused:UNUSED_PAD src0_sel:WORD_0
	v_cvt_f32_u32_sdwa v29, v5 dst_sel:DWORD dst_unused:UNUSED_PAD src0_sel:WORD_1
	v_cvt_f32_u32_sdwa v28, v5 dst_sel:DWORD dst_unused:UNUSED_PAD src0_sel:WORD_0
	;; [unrolled: 2-line block ×3, first 2 shown]
	v_cvt_f32_u32_sdwa v34, v7 dst_sel:DWORD dst_unused:UNUSED_PAD src0_sel:WORD_0
	v_cvt_f32_u32_sdwa v35, v7 dst_sel:DWORD dst_unused:UNUSED_PAD src0_sel:WORD_1
	s_waitcnt vmcnt(0)
	v_cvt_f32_u32_sdwa v33, v8 dst_sel:DWORD dst_unused:UNUSED_PAD src0_sel:WORD_1
	v_cvt_f32_u32_sdwa v32, v8 dst_sel:DWORD dst_unused:UNUSED_PAD src0_sel:WORD_0
	v_cvt_f32_u32_sdwa v5, v10 dst_sel:DWORD dst_unused:UNUSED_PAD src0_sel:WORD_1
	v_cvt_f32_u32_sdwa v4, v10 dst_sel:DWORD dst_unused:UNUSED_PAD src0_sel:WORD_0
	;; [unrolled: 2-line block ×4, first 2 shown]
	v_pk_add_f32 v[50:51], v[22:23], v[4:5]
	v_pk_add_f32 v[40:41], v[24:25], v[6:7]
	;; [unrolled: 1-line block ×4, first 2 shown]
	v_perm_b32 v7, v41, v40, s17
	v_perm_b32 v6, v51, v50, s17
	;; [unrolled: 1-line block ×4, first 2 shown]
	v_pk_add_f32 v[92:93], v[16:17], v[34:35]
	v_pk_add_f32 v[14:15], v[14:15], v[30:31]
	;; [unrolled: 1-line block ×4, first 2 shown]
	buffer_store_dwordx4 v[4:7], v36, s[36:39], 0 offen
	;;#ASMSTART
	s_nop 0
	;;#ASMEND
	s_nop 0
	v_perm_b32 v7, v93, v92, s17
	v_perm_b32 v6, v15, v14, s17
	;; [unrolled: 1-line block ×4, first 2 shown]
	buffer_store_dwordx4 v[4:7], v36, s[36:39], 16 offen
	;;#ASMSTART
	s_nop 0
	;;#ASMEND
.LBB624_10:
	s_or_b64 exec, exec, s[2:3]
.LBB624_11:
	v_mul_f32_e32 v2, v33, v33
	v_fmac_f32_e32 v2, v32, v32
	v_fmac_f32_e32 v2, v18, v18
	;; [unrolled: 1-line block ×15, first 2 shown]
	s_nop 1
	v_mov_b32_dpp v3, v2 quad_perm:[1,0,3,2] row_mask:0xf bank_mask:0xf
	v_add_f32_e32 v2, v2, v3
	s_nop 1
	v_mov_b32_dpp v3, v2 quad_perm:[2,3,0,1] row_mask:0xf bank_mask:0xf
	v_add_f32_e32 v2, v2, v3
	s_nop 1
	v_mov_b32_dpp v3, v2 row_half_mirror row_mask:0xf bank_mask:0xf
	v_add_f32_e32 v2, v2, v3
	s_nop 1
	v_mov_b32_dpp v3, v2 row_mirror row_mask:0xf bank_mask:0xf
	v_add_f32_e32 v2, v2, v3
	s_nop 1
	v_mov_b32_dpp v3, v2 row_bcast:15 row_mask:0xf bank_mask:0xf
	v_add_f32_e32 v2, v2, v3
	v_and_b32_e32 v3, 63, v0
	v_cmp_eq_u32_e64 s[2:3], 63, v3
	s_nop 0
	v_mov_b32_dpp v3, v2 row_bcast:31 row_mask:0xf bank_mask:0xf
	s_and_saveexec_b64 s[30:31], s[2:3]
	s_cbranch_execz .LBB624_13
; %bb.12:
	v_add_f32_e32 v2, v2, v3
	v_lshrrev_b32_e32 v3, 4, v0
	v_and_b32_e32 v3, 60, v3
	ds_write_b32 v3, v2 offset:8
.LBB624_13:
	s_or_b64 exec, exec, s[30:31]
	v_and_b32_e32 v2, 1, v0
	v_lshlrev_b32_e32 v34, 2, v2
	s_waitcnt lgkmcnt(0)
	s_barrier
	ds_read_b32 v2, v34 offset:8
	s_load_dwordx2 s[34:35], s[4:5], 0x18
	s_waitcnt lgkmcnt(0)
	v_mov_b32_dpp v3, v2 quad_perm:[1,0,3,2] row_mask:0xf bank_mask:0xf
	s_and_saveexec_b64 s[30:31], s[0:1]
	s_cbranch_execnz .LBB624_18
; %bb.14:
	s_or_b64 exec, exec, s[30:31]
	s_mov_b64 s[8:9], -1
	s_and_b64 vcc, exec, s[18:19]
	s_cbranch_vccnz .LBB624_19
.LBB624_15:
	s_andn2_b64 vcc, exec, s[8:9]
	s_cbranch_vccz .LBB624_22
.LBB624_16:
	s_cmp_lt_i32 s24, 1
	s_cbranch_scc0 .LBB624_31
.LBB624_17:
	s_endpgm
.LBB624_18:
	v_add_f32_e32 v2, v2, v3
	v_cvt_f32_u32_e32 v3, s7
	s_mov_b32 s7, 0x800000
	s_waitcnt vmcnt(1)
	v_cvt_f32_u32_sdwa v21, v81 dst_sel:DWORD dst_unused:UNUSED_PAD src0_sel:WORD_1
	v_cvt_f32_u32_sdwa v20, v81 dst_sel:DWORD dst_unused:UNUSED_PAD src0_sel:WORD_0
	v_div_scale_f32 v4, s[36:37], v3, v3, v2
	v_rcp_f32_e32 v5, v4
	s_waitcnt vmcnt(0)
	v_cvt_f32_u32_sdwa v23, v77 dst_sel:DWORD dst_unused:UNUSED_PAD src0_sel:WORD_1
	v_cvt_f32_u32_sdwa v22, v77 dst_sel:DWORD dst_unused:UNUSED_PAD src0_sel:WORD_0
	v_cvt_f32_u32_sdwa v25, v78 dst_sel:DWORD dst_unused:UNUSED_PAD src0_sel:WORD_1
	v_fma_f32 v6, -v4, v5, 1.0
	v_fmac_f32_e32 v5, v6, v5
	v_div_scale_f32 v6, vcc, v2, v3, v2
	v_mul_f32_e32 v7, v6, v5
	v_fma_f32 v8, -v4, v7, v6
	v_fmac_f32_e32 v7, v8, v5
	v_fma_f32 v4, -v4, v7, v6
	v_div_fmas_f32 v4, v4, v5, v7
	v_div_fixup_f32 v2, v4, v3, v2
	v_mov_b32_e32 v3, s21
	v_mov_b32_e32 v4, s20
	v_cndmask_b32_e64 v3, v3, v4, s[8:9]
	v_add_f32_e32 v2, v3, v2
	v_mul_f32_e32 v3, 0x4b800000, v2
	v_cmp_gt_f32_e32 vcc, s7, v2
	v_cndmask_b32_e32 v2, v2, v3, vcc
	v_rsq_f32_e32 v2, v2
	v_cvt_f32_u32_sdwa v24, v78 dst_sel:DWORD dst_unused:UNUSED_PAD src0_sel:WORD_0
	v_cvt_f32_u32_sdwa v27, v79 dst_sel:DWORD dst_unused:UNUSED_PAD src0_sel:WORD_1
	v_cvt_f32_u32_sdwa v26, v79 dst_sel:DWORD dst_unused:UNUSED_PAD src0_sel:WORD_0
	v_mul_f32_e32 v3, 0x45800000, v2
	v_cndmask_b32_e32 v2, v2, v3, vcc
	v_mov_b32_e32 v3, v2
	;;#ASMSTART
	v_pk_mul_f32 v[4:5], v[32:33], v[2:3]
	;;#ASMEND
	;;#ASMSTART
	v_pk_mul_f32 v[6:7], v[18:19], v[2:3]
	;;#ASMEND
	;;#ASMSTART
	v_pk_mul_f32 v[8:9], v[50:51], v[2:3]
	;;#ASMEND
	;;#ASMSTART
	v_pk_mul_f32 v[10:11], v[40:41], v[2:3]
	;;#ASMEND
	;;#ASMSTART
	v_pk_mul_f32 v[12:13], v[68:69], v[2:3]
	;;#ASMEND
	;;#ASMSTART
	v_pk_mul_f32 v[16:17], v[62:63], v[2:3]
	;;#ASMEND
	v_cvt_f32_u32_sdwa v19, v80 dst_sel:DWORD dst_unused:UNUSED_PAD src0_sel:WORD_1
	v_cvt_f32_u32_sdwa v18, v80 dst_sel:DWORD dst_unused:UNUSED_PAD src0_sel:WORD_0
	;;#ASMSTART
	v_pk_mul_f32 v[14:15], v[14:15], v[2:3]
	;;#ASMEND
	;;#ASMSTART
	v_pk_mul_f32 v[2:3], v[92:93], v[2:3]
	;;#ASMEND
	;; [unrolled: 3-line block ×4, first 2 shown]
	v_cvt_f32_u32_sdwa v5, v82 dst_sel:DWORD dst_unused:UNUSED_PAD src0_sel:WORD_1
	v_cvt_f32_u32_sdwa v4, v82 dst_sel:DWORD dst_unused:UNUSED_PAD src0_sel:WORD_0
	v_cvt_f32_u32_sdwa v7, v83 dst_sel:DWORD dst_unused:UNUSED_PAD src0_sel:WORD_1
	v_cvt_f32_u32_sdwa v6, v83 dst_sel:DWORD dst_unused:UNUSED_PAD src0_sel:WORD_0
	;; [unrolled: 2-line block ×3, first 2 shown]
	;;#ASMSTART
	v_pk_mul_f32 v[50:51], v[8:9], v[4:5]
	;;#ASMEND
	;;#ASMSTART
	v_pk_mul_f32 v[40:41], v[10:11], v[6:7]
	;;#ASMEND
	;; [unrolled: 3-line block ×6, first 2 shown]
	s_or_b64 exec, exec, s[30:31]
	s_mov_b64 s[8:9], -1
	s_and_b64 vcc, exec, s[18:19]
	s_cbranch_vccz .LBB624_15
.LBB624_19:
	s_and_saveexec_b64 s[8:9], s[0:1]
	s_cbranch_execz .LBB624_21
; %bb.20:
	s_mul_hi_i32 s19, s16, s6
	s_mul_i32 s18, s16, s6
	s_lshl_b64 s[18:19], s[18:19], 1
	s_add_u32 s36, s34, s18
	s_addc_u32 s7, s35, s19
	s_and_b32 s37, s7, 0xffff
	s_mov_b32 s7, 0x7060302
	s_mov_b32 s39, 0x20000
	v_perm_b32 v5, v41, v40, s7
	v_perm_b32 v4, v51, v50, s7
	;; [unrolled: 1-line block ×4, first 2 shown]
	v_lshlrev_b32_e32 v6, 5, v0
	buffer_store_dwordx4 v[2:5], v6, s[36:39], 0 offen
	;;#ASMSTART
	s_nop 0
	;;#ASMEND
	s_nop 0
	v_perm_b32 v5, v93, v92, s7
	v_perm_b32 v4, v15, v14, s7
	;; [unrolled: 1-line block ×4, first 2 shown]
	buffer_store_dwordx4 v[2:5], v6, s[36:39], 16 offen
	;;#ASMSTART
	s_nop 0
	;;#ASMEND
.LBB624_21:
	s_or_b64 exec, exec, s[8:9]
	s_cbranch_execnz .LBB624_16
.LBB624_22:
	v_mov_b32_e32 v2, 0
	s_and_saveexec_b64 s[8:9], s[0:1]
	s_cbranch_execz .LBB624_24
; %bb.23:
	s_load_dwordx2 s[18:19], s[4:5], 0x10
	s_mul_hi_i32 s31, s15, s6
	s_mul_i32 s30, s15, s6
	s_lshl_b64 s[30:31], s[30:31], 1
	s_mov_b32 s39, 0x20000
	s_waitcnt lgkmcnt(0)
	s_add_u32 s36, s18, s30
	s_addc_u32 s7, s19, s31
	s_and_b32 s37, s7, 0xffff
	s_mov_b32 s7, 0x7060302
	v_perm_b32 v5, v41, v40, s7
	v_perm_b32 v4, v51, v50, s7
	;; [unrolled: 1-line block ×4, first 2 shown]
	v_lshlrev_b32_e32 v6, 5, v0
	buffer_store_dwordx4 v[2:5], v6, s[36:39], 0 offen
	;;#ASMSTART
	s_nop 0
	;;#ASMEND
	s_nop 0
	v_perm_b32 v5, v93, v92, s7
	v_perm_b32 v4, v15, v14, s7
	;; [unrolled: 1-line block ×4, first 2 shown]
	buffer_store_dwordx4 v[2:5], v6, s[36:39], 16 offen
	;;#ASMSTART
	s_nop 0
	;;#ASMEND
	s_nop 0
	v_mov_b32_e32 v2, 0x2edbe6ff
.LBB624_24:
	s_or_b64 exec, exec, s[8:9]
	s_and_saveexec_b64 s[8:9], s[0:1]
	s_cbranch_execz .LBB624_26
; %bb.25:
	v_and_b32_e32 v3, 0x7fffffff, v32
	v_and_b32_e32 v4, 0x7fffffff, v33
	;;#ASMSTART
	v_max3_f32 v2, v2, v3, v4

	;;#ASMEND
	v_and_b32_e32 v5, 0x7fffffff, v18
	v_and_b32_e32 v6, 0x7fffffff, v19
	;;#ASMSTART
	v_max3_f32 v2, v2, v5, v6

	;;#ASMEND
	v_and_b32_e32 v7, 0x7fffffff, v50
	v_and_b32_e32 v8, 0x7fffffff, v51
	;;#ASMSTART
	v_max3_f32 v2, v2, v7, v8

	;;#ASMEND
	v_and_b32_e32 v9, 0x7fffffff, v40
	v_and_b32_e32 v10, 0x7fffffff, v41
	;;#ASMSTART
	v_max3_f32 v2, v2, v9, v10

	;;#ASMEND
	v_and_b32_e32 v3, 0x7fffffff, v68
	v_and_b32_e32 v4, 0x7fffffff, v69
	;;#ASMSTART
	v_max3_f32 v2, v2, v3, v4

	;;#ASMEND
	v_and_b32_e32 v3, 0x7fffffff, v62
	v_and_b32_e32 v4, 0x7fffffff, v63
	;;#ASMSTART
	v_max3_f32 v2, v2, v3, v4

	;;#ASMEND
	v_and_b32_e32 v3, 0x7fffffff, v14
	v_and_b32_e32 v4, 0x7fffffff, v15
	;;#ASMSTART
	v_max3_f32 v2, v2, v3, v4

	;;#ASMEND
	v_and_b32_e32 v3, 0x7fffffff, v92
	v_and_b32_e32 v4, 0x7fffffff, v93
	;;#ASMSTART
	v_max3_f32 v2, v2, v3, v4

	;;#ASMEND
.LBB624_26:
	s_or_b64 exec, exec, s[8:9]
	;;#ASMSTART
	v_max_f32 v3, v2, v2 quad_perm:[1,0,3,2] row_mask:0xf bank_mask:0xf bound_ctrl:1
	;;#ASMEND
	;;#ASMSTART
	v_max_f32 v4, v3, v3 quad_perm:[2,3,0,1] row_mask:0xf bank_mask:0xf bound_ctrl:1
	;;#ASMEND
	v_and_b32_e32 v3, 7, v0
	v_cmp_eq_u32_e32 vcc, 0, v3
	v_cmp_gt_i32_e64 s[8:9], s23, v1
	s_and_b64 s[18:19], vcc, s[8:9]
	;;#ASMSTART
	v_max_f32 v2, v4, v4 row_half_mirror row_mask:0xf bank_mask:0xf bound_ctrl:1
	;;#ASMEND
	s_and_saveexec_b64 s[8:9], s[18:19]
	s_cbranch_execz .LBB624_28
; %bb.27:
	s_load_dwordx2 s[18:19], s[4:5], 0x8
	v_mul_f32_e32 v2, 0x3e2aaaab, v2
	v_lshrrev_b32_e32 v3, 23, v2
	v_and_b32_e32 v4, 0x7f800000, v2
	v_and_b32_e32 v2, 0x7fffff, v2
	v_cmp_ne_u32_e32 vcc, 0, v2
	s_mul_hi_i32 s15, s13, s6
	s_mul_i32 s13, s13, s6
	s_mov_b32 s7, 0x7f800000
	v_addc_co_u32_e32 v2, vcc, 0, v3, vcc
	s_waitcnt lgkmcnt(0)
	s_add_u32 s18, s18, s13
	v_cmp_ne_u32_e32 vcc, s7, v4
	s_addc_u32 s19, s19, s15
	v_lshrrev_b32_e32 v5, 3, v0
	v_cndmask_b32_e32 v4, -1, v2, vcc
	v_pk_mov_b32 v[2:3], s[18:19], s[18:19] op_sel:[0,1]
	v_mad_i64_i32 v[2:3], s[14:15], s14, v5, v[2:3]
	global_store_byte v[2:3], v4, off
.LBB624_28:
	s_or_b64 exec, exec, s[8:9]
	s_and_saveexec_b64 s[8:9], s[0:1]
	s_cbranch_execz .LBB624_30
; %bb.29:
	s_load_dwordx2 s[0:1], s[4:5], 0x0
	s_mul_hi_i32 s7, s12, s6
	s_mul_i32 s12, s12, s6
	v_mov_b32_e32 v2, 0
	v_lshlrev_b32_e32 v4, 3, v0
	s_waitcnt lgkmcnt(0)
	s_add_u32 s12, s0, s12
	s_addc_u32 s0, s1, s7
	s_lshr_b32 s1, s23, 31
	s_add_i32 s1, s23, s1
	s_ashr_i32 s1, s1, 1
	s_add_i32 s1, s1, 3
	s_ashr_i32 s7, s1, 31
	s_lshr_b32 s7, s7, 30
	s_add_i32 s1, s1, s7
	s_and_b32 s14, s1, -4
	s_and_b32 s13, s0, 0xffff
	s_mov_b32 s15, 0x20000
	v_mov_b32_e32 v3, v2
	buffer_store_dwordx2 v[2:3], v4, s[12:15], 0 offen
	;;#ASMSTART
	s_nop 0
	;;#ASMEND
.LBB624_30:
	s_or_b64 exec, exec, s[8:9]
	s_cmp_lt_i32 s24, 1
	s_cbranch_scc1 .LBB624_17
.LBB624_31:
	s_load_dword s0, s[4:5], 0x94
	s_waitcnt lgkmcnt(0)
	s_cmp_lg_u32 s0, 1
	s_cbranch_scc1 .LBB624_17
; %bb.32:
	s_lshl_b32 s0, s24, 1
	s_add_i32 s0, s0, 2
	v_cmp_gt_u32_e32 vcc, s24, v1
	s_and_b32 s30, s0, -4
	v_mov_b32_e32 v18, 0
	v_lshlrev_b32_e32 v1, 5, v0
	v_mov_b32_e32 v14, 0
	v_mov_b32_e32 v15, 0
	;; [unrolled: 1-line block ×16, first 2 shown]
	s_barrier
	s_and_saveexec_b64 s[0:1], vcc
	s_cbranch_execz .LBB624_34
; %bb.33:
	s_mul_hi_i32 s5, s26, s6
	s_mul_i32 s4, s26, s6
	s_and_b32 s29, s29, 0xffff
	s_lshl_b64 s[4:5], s[4:5], 1
	s_add_u32 s8, s10, s4
	s_mov_b32 s31, 0x20000
	s_addc_u32 s4, s11, s5
	s_and_b32 s9, s4, 0xffff
	s_mov_b32 s10, s30
	s_mov_b32 s11, s31
	buffer_load_dwordx4 v[14:17], v1, s[8:11], 0 offen
	buffer_load_dwordx4 v[10:13], v1, s[8:11], 16 offen
	;; [unrolled: 1-line block ×4, first 2 shown]
.LBB624_34:
	s_or_b64 exec, exec, s[0:1]
	v_mov_b32_e32 v19, 0
	v_mov_b32_e32 v32, 0
	;; [unrolled: 1-line block ×15, first 2 shown]
	s_and_saveexec_b64 s[0:1], vcc
	s_cbranch_execz .LBB624_36
; %bb.35:
	s_waitcnt vmcnt(3)
	v_cvt_f32_u32_sdwa v18, v14 dst_sel:DWORD dst_unused:UNUSED_PAD src0_sel:WORD_0
	v_cvt_f32_u32_sdwa v19, v14 dst_sel:DWORD dst_unused:UNUSED_PAD src0_sel:WORD_1
	v_cvt_f32_u32_sdwa v32, v15 dst_sel:DWORD dst_unused:UNUSED_PAD src0_sel:WORD_0
	v_cvt_f32_u32_sdwa v33, v15 dst_sel:DWORD dst_unused:UNUSED_PAD src0_sel:WORD_1
	;; [unrolled: 2-line block ×4, first 2 shown]
	s_waitcnt vmcnt(2)
	v_cvt_f32_u32_sdwa v26, v10 dst_sel:DWORD dst_unused:UNUSED_PAD src0_sel:WORD_0
	v_cvt_f32_u32_sdwa v27, v10 dst_sel:DWORD dst_unused:UNUSED_PAD src0_sel:WORD_1
	v_cvt_f32_u32_sdwa v24, v11 dst_sel:DWORD dst_unused:UNUSED_PAD src0_sel:WORD_0
	v_cvt_f32_u32_sdwa v25, v11 dst_sel:DWORD dst_unused:UNUSED_PAD src0_sel:WORD_1
	;; [unrolled: 2-line block ×4, first 2 shown]
.LBB624_36:
	s_or_b64 exec, exec, s[0:1]
	s_waitcnt vmcnt(2)
	v_mul_f32_e32 v10, v19, v19
	v_fmac_f32_e32 v10, v18, v18
	v_fmac_f32_e32 v10, v32, v32
	;; [unrolled: 1-line block ×15, first 2 shown]
	s_nop 1
	v_mov_b32_dpp v11, v10 quad_perm:[1,0,3,2] row_mask:0xf bank_mask:0xf
	v_add_f32_e32 v10, v10, v11
	s_nop 1
	v_mov_b32_dpp v11, v10 quad_perm:[2,3,0,1] row_mask:0xf bank_mask:0xf
	v_add_f32_e32 v10, v10, v11
	s_nop 1
	v_mov_b32_dpp v11, v10 row_half_mirror row_mask:0xf bank_mask:0xf
	v_add_f32_e32 v10, v10, v11
	s_nop 1
	v_mov_b32_dpp v11, v10 row_mirror row_mask:0xf bank_mask:0xf
	v_add_f32_e32 v10, v10, v11
	s_nop 1
	v_mov_b32_dpp v11, v10 row_bcast:15 row_mask:0xf bank_mask:0xf
	v_add_f32_e32 v10, v10, v11
	s_nop 1
	v_mov_b32_dpp v11, v10 row_bcast:31 row_mask:0xf bank_mask:0xf
	s_and_saveexec_b64 s[0:1], s[2:3]
	s_cbranch_execz .LBB624_38
; %bb.37:
	v_lshrrev_b32_e32 v0, 4, v0
	v_add_f32_e32 v10, v10, v11
	v_and_b32_e32 v0, 60, v0
	ds_write_b32 v0, v10
.LBB624_38:
	s_or_b64 exec, exec, s[0:1]
	s_waitcnt lgkmcnt(0)
	s_barrier
	ds_read_b32 v0, v34
	s_waitcnt lgkmcnt(0)
	s_nop 0
	v_mov_b32_dpp v10, v0 quad_perm:[1,0,3,2] row_mask:0xf bank_mask:0xf
	s_and_saveexec_b64 s[0:1], vcc
	s_cbranch_execz .LBB624_17
; %bb.39:
	v_cvt_f32_u32_e32 v11, s24
	v_add_f32_e32 v0, v0, v10
	s_mov_b32 s31, 0x20000
	v_div_scale_f32 v10, s[0:1], v11, v11, v0
	v_rcp_f32_e32 v12, v10
	v_div_scale_f32 v13, vcc, v0, v11, v0
	s_mov_b32 s0, 0x800000
	v_fma_f32 v14, -v10, v12, 1.0
	v_fmac_f32_e32 v12, v14, v12
	v_mul_f32_e32 v14, v13, v12
	v_fma_f32 v15, -v10, v14, v13
	v_fmac_f32_e32 v14, v15, v12
	v_fma_f32 v10, -v10, v14, v13
	v_div_fmas_f32 v10, v10, v12, v14
	v_div_fixup_f32 v0, v10, v11, v0
	v_add_f32_e32 v0, s21, v0
	v_mul_f32_e32 v10, 0x4b800000, v0
	v_cmp_gt_f32_e32 vcc, s0, v0
	v_cndmask_b32_e32 v0, v0, v10, vcc
	v_rsq_f32_e32 v0, v0
	s_mul_hi_i32 s1, s16, s6
	s_mul_i32 s0, s16, s6
	s_lshl_b64 s[0:1], s[0:1], 1
	v_mul_f32_e32 v10, 0x45800000, v0
	v_cndmask_b32_e32 v10, v0, v10, vcc
	v_mov_b32_e32 v11, v10
	s_add_u32 s28, s34, s0
	;;#ASMSTART
	v_pk_mul_f32 v[12:13], v[18:19], v[10:11]
	;;#ASMEND
	;;#ASMSTART
	v_pk_mul_f32 v[14:15], v[32:33], v[10:11]
	;;#ASMEND
	;; [unrolled: 3-line block ×8, first 2 shown]
	s_waitcnt vmcnt(1)
	v_cvt_f32_u32_sdwa v21, v6 dst_sel:DWORD dst_unused:UNUSED_PAD src0_sel:WORD_1
	v_cvt_f32_u32_sdwa v20, v6 dst_sel:DWORD dst_unused:UNUSED_PAD src0_sel:WORD_0
	v_cvt_f32_u32_sdwa v29, v7 dst_sel:DWORD dst_unused:UNUSED_PAD src0_sel:WORD_1
	v_cvt_f32_u32_sdwa v28, v7 dst_sel:DWORD dst_unused:UNUSED_PAD src0_sel:WORD_0
	;; [unrolled: 2-line block ×3, first 2 shown]
	s_addc_u32 s0, s35, s1
	v_cvt_f32_u32_sdwa v31, v9 dst_sel:DWORD dst_unused:UNUSED_PAD src0_sel:WORD_1
	v_cvt_f32_u32_sdwa v30, v9 dst_sel:DWORD dst_unused:UNUSED_PAD src0_sel:WORD_0
	;;#ASMSTART
	v_pk_mul_f32 v[8:9], v[12:13], v[20:21]
	;;#ASMEND
	;;#ASMSTART
	v_pk_mul_f32 v[12:13], v[14:15], v[28:29]
	;;#ASMEND
	;; [unrolled: 3-line block ×4, first 2 shown]
	s_waitcnt vmcnt(0)
	v_cvt_f32_u32_sdwa v17, v2 dst_sel:DWORD dst_unused:UNUSED_PAD src0_sel:WORD_1
	v_cvt_f32_u32_sdwa v16, v2 dst_sel:DWORD dst_unused:UNUSED_PAD src0_sel:WORD_0
	v_cvt_f32_u32_sdwa v19, v3 dst_sel:DWORD dst_unused:UNUSED_PAD src0_sel:WORD_1
	v_cvt_f32_u32_sdwa v18, v3 dst_sel:DWORD dst_unused:UNUSED_PAD src0_sel:WORD_0
	;; [unrolled: 2-line block ×3, first 2 shown]
	s_and_b32 s29, s0, 0xffff
	s_mov_b32 s0, 0x7060302
	v_cvt_f32_u32_sdwa v21, v5 dst_sel:DWORD dst_unused:UNUSED_PAD src0_sel:WORD_1
	v_cvt_f32_u32_sdwa v20, v5 dst_sel:DWORD dst_unused:UNUSED_PAD src0_sel:WORD_0
	;;#ASMSTART
	v_pk_mul_f32 v[16:17], v[26:27], v[16:17]
	;;#ASMEND
	;;#ASMSTART
	v_pk_mul_f32 v[18:19], v[24:25], v[18:19]
	;;#ASMEND
	;; [unrolled: 3-line block ×3, first 2 shown]
	v_perm_b32 v2, v9, v8, s0
	v_perm_b32 v3, v13, v12, s0
	;; [unrolled: 1-line block ×4, first 2 shown]
	;;#ASMSTART
	v_pk_mul_f32 v[10:11], v[10:11], v[20:21]
	;;#ASMEND
	buffer_store_dwordx4 v[2:5], v1, s[28:31], 0 offen
	;;#ASMSTART
	s_nop 0
	;;#ASMEND
	s_nop 0
	v_perm_b32 v2, v17, v16, s0
	v_perm_b32 v3, v19, v18, s0
	;; [unrolled: 1-line block ×4, first 2 shown]
	buffer_store_dwordx4 v[2:5], v1, s[28:31], 16 offen
	;;#ASMSTART
	s_nop 0
	;;#ASMEND
	s_endpgm
	.section	.rodata,"a",@progbits
	.p2align	6, 0x0
	.amdhsa_kernel _ZN5aiter35fused_qk_rmsnorm_group_quant_kernelItN4opus5fp4_tELi128ELi16ELi8ELb1ELb1ELb0ELb0ELb0ELb0EEEvPT0_PvPT_S7_S7_PKS6_S9_S9_S9_S9_ffiiiiiiiiiiiii
		.amdhsa_group_segment_fixed_size 16
		.amdhsa_private_segment_fixed_size 0
		.amdhsa_kernarg_size 400
		.amdhsa_user_sgpr_count 6
		.amdhsa_user_sgpr_private_segment_buffer 1
		.amdhsa_user_sgpr_dispatch_ptr 0
		.amdhsa_user_sgpr_queue_ptr 0
		.amdhsa_user_sgpr_kernarg_segment_ptr 1
		.amdhsa_user_sgpr_dispatch_id 0
		.amdhsa_user_sgpr_flat_scratch_init 0
		.amdhsa_user_sgpr_kernarg_preload_length 0
		.amdhsa_user_sgpr_kernarg_preload_offset 0
		.amdhsa_user_sgpr_private_segment_size 0
		.amdhsa_uses_dynamic_stack 0
		.amdhsa_system_sgpr_private_segment_wavefront_offset 0
		.amdhsa_system_sgpr_workgroup_id_x 1
		.amdhsa_system_sgpr_workgroup_id_y 1
		.amdhsa_system_sgpr_workgroup_id_z 0
		.amdhsa_system_sgpr_workgroup_info 0
		.amdhsa_system_vgpr_workitem_id 0
		.amdhsa_next_free_vgpr 94
		.amdhsa_next_free_sgpr 44
		.amdhsa_accum_offset 96
		.amdhsa_reserve_vcc 1
		.amdhsa_reserve_flat_scratch 0
		.amdhsa_float_round_mode_32 0
		.amdhsa_float_round_mode_16_64 0
		.amdhsa_float_denorm_mode_32 3
		.amdhsa_float_denorm_mode_16_64 3
		.amdhsa_dx10_clamp 1
		.amdhsa_ieee_mode 1
		.amdhsa_fp16_overflow 0
		.amdhsa_tg_split 0
		.amdhsa_exception_fp_ieee_invalid_op 0
		.amdhsa_exception_fp_denorm_src 0
		.amdhsa_exception_fp_ieee_div_zero 0
		.amdhsa_exception_fp_ieee_overflow 0
		.amdhsa_exception_fp_ieee_underflow 0
		.amdhsa_exception_fp_ieee_inexact 0
		.amdhsa_exception_int_div_zero 0
	.end_amdhsa_kernel
	.section	.text._ZN5aiter35fused_qk_rmsnorm_group_quant_kernelItN4opus5fp4_tELi128ELi16ELi8ELb1ELb1ELb0ELb0ELb0ELb0EEEvPT0_PvPT_S7_S7_PKS6_S9_S9_S9_S9_ffiiiiiiiiiiiii,"axG",@progbits,_ZN5aiter35fused_qk_rmsnorm_group_quant_kernelItN4opus5fp4_tELi128ELi16ELi8ELb1ELb1ELb0ELb0ELb0ELb0EEEvPT0_PvPT_S7_S7_PKS6_S9_S9_S9_S9_ffiiiiiiiiiiiii,comdat
.Lfunc_end624:
	.size	_ZN5aiter35fused_qk_rmsnorm_group_quant_kernelItN4opus5fp4_tELi128ELi16ELi8ELb1ELb1ELb0ELb0ELb0ELb0EEEvPT0_PvPT_S7_S7_PKS6_S9_S9_S9_S9_ffiiiiiiiiiiiii, .Lfunc_end624-_ZN5aiter35fused_qk_rmsnorm_group_quant_kernelItN4opus5fp4_tELi128ELi16ELi8ELb1ELb1ELb0ELb0ELb0ELb0EEEvPT0_PvPT_S7_S7_PKS6_S9_S9_S9_S9_ffiiiiiiiiiiiii
                                        ; -- End function
	.section	.AMDGPU.csdata,"",@progbits
; Kernel info:
; codeLenInByte = 3916
; NumSgprs: 48
; NumVgprs: 94
; NumAgprs: 0
; TotalNumVgprs: 94
; ScratchSize: 0
; MemoryBound: 0
; FloatMode: 240
; IeeeMode: 1
; LDSByteSize: 16 bytes/workgroup (compile time only)
; SGPRBlocks: 5
; VGPRBlocks: 11
; NumSGPRsForWavesPerEU: 48
; NumVGPRsForWavesPerEU: 94
; AccumOffset: 96
; Occupancy: 5
; WaveLimiterHint : 0
; COMPUTE_PGM_RSRC2:SCRATCH_EN: 0
; COMPUTE_PGM_RSRC2:USER_SGPR: 6
; COMPUTE_PGM_RSRC2:TRAP_HANDLER: 0
; COMPUTE_PGM_RSRC2:TGID_X_EN: 1
; COMPUTE_PGM_RSRC2:TGID_Y_EN: 1
; COMPUTE_PGM_RSRC2:TGID_Z_EN: 0
; COMPUTE_PGM_RSRC2:TIDIG_COMP_CNT: 0
; COMPUTE_PGM_RSRC3_GFX90A:ACCUM_OFFSET: 23
; COMPUTE_PGM_RSRC3_GFX90A:TG_SPLIT: 0
	.section	.text._ZN5aiter35fused_qk_rmsnorm_group_quant_kernelIDF16_DB8_Li128ELi16ELi8ELb1ELb0ELb1ELb0ELb0ELb0EEEvPT0_PvPT_S6_S6_PKS5_S8_S8_S8_S8_ffiiiiiiiiiiiii,"axG",@progbits,_ZN5aiter35fused_qk_rmsnorm_group_quant_kernelIDF16_DB8_Li128ELi16ELi8ELb1ELb0ELb1ELb0ELb0ELb0EEEvPT0_PvPT_S6_S6_PKS5_S8_S8_S8_S8_ffiiiiiiiiiiiii,comdat
	.protected	_ZN5aiter35fused_qk_rmsnorm_group_quant_kernelIDF16_DB8_Li128ELi16ELi8ELb1ELb0ELb1ELb0ELb0ELb0EEEvPT0_PvPT_S6_S6_PKS5_S8_S8_S8_S8_ffiiiiiiiiiiiii ; -- Begin function _ZN5aiter35fused_qk_rmsnorm_group_quant_kernelIDF16_DB8_Li128ELi16ELi8ELb1ELb0ELb1ELb0ELb0ELb0EEEvPT0_PvPT_S6_S6_PKS5_S8_S8_S8_S8_ffiiiiiiiiiiiii
	.globl	_ZN5aiter35fused_qk_rmsnorm_group_quant_kernelIDF16_DB8_Li128ELi16ELi8ELb1ELb0ELb1ELb0ELb0ELb0EEEvPT0_PvPT_S6_S6_PKS5_S8_S8_S8_S8_ffiiiiiiiiiiiii
	.p2align	8
	.type	_ZN5aiter35fused_qk_rmsnorm_group_quant_kernelIDF16_DB8_Li128ELi16ELi8ELb1ELb0ELb1ELb0ELb0ELb0EEEvPT0_PvPT_S6_S6_PKS5_S8_S8_S8_S8_ffiiiiiiiiiiiii,@function
_ZN5aiter35fused_qk_rmsnorm_group_quant_kernelIDF16_DB8_Li128ELi16ELi8ELb1ELb0ELb1ELb0ELb0ELb0EEEvPT0_PvPT_S6_S6_PKS5_S8_S8_S8_S8_ffiiiiiiiiiiiii: ; @_ZN5aiter35fused_qk_rmsnorm_group_quant_kernelIDF16_DB8_Li128ELi16ELi8ELb1ELb0ELb1ELb0ELb0ELb0EEEvPT0_PvPT_S6_S6_PKS5_S8_S8_S8_S8_ffiiiiiiiiiiiii
; %bb.0:
	s_load_dwordx8 s[12:19], s[4:5], 0x50
	s_waitcnt lgkmcnt(0)
	s_cmp_ge_i32 s6, s14
	s_cbranch_scc1 .LBB625_17
; %bb.1:
	s_cmp_lg_u32 s7, 0
	s_cselect_b64 s[10:11], -1, 0
	s_cmp_eq_u32 s7, 0
	s_cselect_b64 s[8:9], -1, 0
	s_and_b64 s[0:1], s[8:9], exec
	s_load_dwordx2 s[20:21], s[4:5], 0x48
	s_load_dwordx2 s[36:37], s[4:5], 0x30
	s_load_dwordx4 s[24:27], s[4:5], 0x70
	s_cselect_b32 s7, s15, s16
	s_add_i32 s0, s7, 1
	s_lshr_b32 s1, s0, 31
	s_add_i32 s0, s0, s1
	s_lshl_b32 s0, s0, 1
	v_lshlrev_b32_e32 v1, 4, v0
	s_and_b32 s30, s0, -4
	v_cmp_gt_i32_e64 s[0:1], s7, v1
	v_mov_b32_e32 v76, 0
	v_mov_b32_e32 v77, 0
	;; [unrolled: 1-line block ×16, first 2 shown]
	s_and_saveexec_b64 s[2:3], s[0:1]
	s_cbranch_execz .LBB625_3
; %bb.2:
	s_load_dwordx2 s[22:23], s[4:5], 0x28
	s_load_dwordx2 s[28:29], s[4:5], 0x40
	s_and_b64 s[34:35], s[8:9], exec
	s_cselect_b32 s14, s17, s18
	s_mov_b32 s31, 0x20000
	s_waitcnt lgkmcnt(0)
	s_cselect_b32 s17, s23, s37
	s_cselect_b32 s27, s22, s36
	s_mul_hi_i32 s23, s14, s6
	s_mul_i32 s22, s14, s6
	s_lshl_b64 s[22:23], s[22:23], 1
	s_add_u32 s40, s27, s22
	s_addc_u32 s14, s17, s23
	s_and_b64 s[22:23], s[8:9], exec
	s_cselect_b32 s28, s28, s20
	s_cselect_b32 s17, s29, s21
	s_and_b32 s41, s14, 0xffff
	s_mov_b32 s42, s30
	s_mov_b32 s43, s31
	v_lshlrev_b32_e32 v2, 5, v0
	s_and_b32 s29, s17, 0xffff
	buffer_load_dwordx4 v[80:83], v2, s[40:43], 0 offen
	buffer_load_dwordx4 v[84:87], v2, s[40:43], 16 offen
	buffer_load_dwordx4 v[76:79], v2, s[28:31], 0 offen
	buffer_load_dwordx4 v[72:75], v2, s[28:31], 16 offen
.LBB625_3:
	s_or_b64 exec, exec, s[2:3]
	s_load_dwordx2 s[34:35], s[4:5], 0x80
	s_and_b64 vcc, exec, s[10:11]
	s_cbranch_vccz .LBB625_7
; %bb.4:
	v_mov_b32_e32 v89, 0
	v_mov_b32_e32 v88, 0
	;; [unrolled: 1-line block ×16, first 2 shown]
	s_and_saveexec_b64 s[2:3], s[0:1]
	s_cbranch_execz .LBB625_6
; %bb.5:
	s_waitcnt vmcnt(3)
	v_cvt_f32_f16_sdwa v49, v80 dst_sel:DWORD dst_unused:UNUSED_PAD src0_sel:WORD_1
	v_cvt_f32_f16_e32 v48, v80
	v_cvt_f32_f16_sdwa v35, v81 dst_sel:DWORD dst_unused:UNUSED_PAD src0_sel:WORD_1
	v_cvt_f32_f16_e32 v34, v81
	;; [unrolled: 2-line block ×4, first 2 shown]
	s_waitcnt vmcnt(2)
	v_cvt_f32_f16_sdwa v65, v84 dst_sel:DWORD dst_unused:UNUSED_PAD src0_sel:WORD_1
	v_cvt_f32_f16_e32 v64, v84
	v_cvt_f32_f16_sdwa v19, v85 dst_sel:DWORD dst_unused:UNUSED_PAD src0_sel:WORD_1
	v_cvt_f32_f16_e32 v18, v85
	v_cvt_f32_f16_sdwa v15, v86 dst_sel:DWORD dst_unused:UNUSED_PAD src0_sel:WORD_1
	v_cvt_f32_f16_e32 v14, v86
	v_cvt_f32_f16_sdwa v89, v87 dst_sel:DWORD dst_unused:UNUSED_PAD src0_sel:WORD_1
	v_cvt_f32_f16_e32 v88, v87
.LBB625_6:
	s_or_b64 exec, exec, s[2:3]
	s_cbranch_execz .LBB625_8
	s_branch .LBB625_11
.LBB625_7:
                                        ; implicit-def: $vgpr32_vgpr33_vgpr34_vgpr35_vgpr36_vgpr37_vgpr38_vgpr39_vgpr40_vgpr41_vgpr42_vgpr43_vgpr44_vgpr45_vgpr46_vgpr47
                                        ; implicit-def: $vgpr48_vgpr49_vgpr50_vgpr51_vgpr52_vgpr53_vgpr54_vgpr55_vgpr56_vgpr57_vgpr58_vgpr59_vgpr60_vgpr61_vgpr62_vgpr63
                                        ; implicit-def: $vgpr18_vgpr19_vgpr20_vgpr21_vgpr22_vgpr23_vgpr24_vgpr25_vgpr26_vgpr27_vgpr28_vgpr29_vgpr30_vgpr31_vgpr32_vgpr33
                                        ; implicit-def: $vgpr50_vgpr51_vgpr52_vgpr53_vgpr54_vgpr55_vgpr56_vgpr57_vgpr58_vgpr59_vgpr60_vgpr61_vgpr62_vgpr63_vgpr64_vgpr65
                                        ; implicit-def: $vgpr89
                                        ; implicit-def: $vgpr8_vgpr9_vgpr10_vgpr11_vgpr12_vgpr13_vgpr14_vgpr15_vgpr16_vgpr17_vgpr18_vgpr19_vgpr20_vgpr21_vgpr22_vgpr23
                                        ; implicit-def: $vgpr56_vgpr57_vgpr58_vgpr59_vgpr60_vgpr61_vgpr62_vgpr63_vgpr64_vgpr65_vgpr66_vgpr67_vgpr68_vgpr69_vgpr70_vgpr71
                                        ; implicit-def: $vgpr2_vgpr3_vgpr4_vgpr5_vgpr6_vgpr7_vgpr8_vgpr9_vgpr10_vgpr11_vgpr12_vgpr13_vgpr14_vgpr15_vgpr16_vgpr17
.LBB625_8:
	v_mov_b32_e32 v89, 0
	v_mov_b32_e32 v88, 0
	;; [unrolled: 1-line block ×16, first 2 shown]
	s_and_saveexec_b64 s[2:3], s[0:1]
	s_cbranch_execz .LBB625_10
; %bb.9:
	s_load_dwordx2 s[22:23], s[4:5], 0x38
	s_mul_hi_i32 s29, s19, s6
	s_mul_i32 s28, s19, s6
	s_lshl_b64 s[28:29], s[28:29], 1
	s_mov_b32 s31, 0x20000
	s_waitcnt lgkmcnt(0)
	s_add_u32 s28, s22, s28
	s_addc_u32 s14, s23, s29
	s_and_b32 s29, s14, 0xffff
	v_lshlrev_b32_e32 v38, 5, v0
	buffer_load_dwordx4 v[6:9], v38, s[28:31], 16 offen
	buffer_load_dwordx4 v[10:13], v38, s[28:31], 0 offen
	s_waitcnt vmcnt(5)
	v_cvt_f32_f16_sdwa v23, v82 dst_sel:DWORD dst_unused:UNUSED_PAD src0_sel:WORD_1
	v_cvt_f32_f16_e32 v22, v82
	v_cvt_f32_f16_sdwa v25, v83 dst_sel:DWORD dst_unused:UNUSED_PAD src0_sel:WORD_1
	v_cvt_f32_f16_e32 v24, v83
	;; [unrolled: 2-line block ×4, first 2 shown]
	s_load_dwordx2 s[22:23], s[4:5], 0x20
	s_waitcnt vmcnt(4)
	v_cvt_f32_f16_sdwa v3, v84 dst_sel:DWORD dst_unused:UNUSED_PAD src0_sel:WORD_1
	v_cvt_f32_f16_e32 v2, v84
	v_cvt_f32_f16_sdwa v5, v85 dst_sel:DWORD dst_unused:UNUSED_PAD src0_sel:WORD_1
	v_cvt_f32_f16_e32 v4, v85
	;; [unrolled: 2-line block ×4, first 2 shown]
	s_mul_hi_i32 s29, s35, s6
	s_mul_i32 s28, s35, s6
	s_lshl_b64 s[28:29], s[28:29], 1
	s_waitcnt lgkmcnt(0)
	s_add_u32 s28, s22, s28
	s_addc_u32 s14, s23, s29
	s_and_b32 s29, s14, 0xffff
	s_waitcnt vmcnt(1)
	v_cvt_f32_f16_e32 v26, v6
	v_cvt_f32_f16_sdwa v27, v6 dst_sel:DWORD dst_unused:UNUSED_PAD src0_sel:WORD_1
	v_cvt_f32_f16_e32 v28, v7
	v_cvt_f32_f16_sdwa v29, v7 dst_sel:DWORD dst_unused:UNUSED_PAD src0_sel:WORD_1
	v_cvt_f32_f16_e32 v30, v8
	v_cvt_f32_f16_sdwa v31, v8 dst_sel:DWORD dst_unused:UNUSED_PAD src0_sel:WORD_1
	v_cvt_f32_f16_e32 v32, v9
	v_cvt_f32_f16_sdwa v33, v9 dst_sel:DWORD dst_unused:UNUSED_PAD src0_sel:WORD_1
	s_waitcnt vmcnt(0)
	v_cvt_f32_f16_e32 v6, v12
	v_cvt_f32_f16_sdwa v7, v12 dst_sel:DWORD dst_unused:UNUSED_PAD src0_sel:WORD_1
	v_cvt_f32_f16_e32 v8, v13
	v_cvt_f32_f16_sdwa v9, v13 dst_sel:DWORD dst_unused:UNUSED_PAD src0_sel:WORD_1
	;; [unrolled: 2-line block ×4, first 2 shown]
	v_pk_add_f32 v[54:55], v[22:23], v[6:7]
	v_pk_add_f32 v[24:25], v[24:25], v[8:9]
	v_cvt_f16_f32_e32 v6, v55
	v_cvt_f16_f32_e32 v7, v25
	;; [unrolled: 1-line block ×4, first 2 shown]
	v_pk_add_f32 v[34:35], v[20:21], v[10:11]
	v_pk_add_f32 v[48:49], v[18:19], v[36:37]
	v_pack_b32_f16 v9, v8, v7
	v_pack_b32_f16 v8, v12, v6
	v_cvt_f16_f32_e32 v6, v35
	v_cvt_f16_f32_e32 v7, v34
	;; [unrolled: 1-line block ×3, first 2 shown]
	v_pk_add_f32 v[88:89], v[16:17], v[32:33]
	v_pk_add_f32 v[14:15], v[14:15], v[30:31]
	v_pack_b32_f16 v7, v7, v6
	v_cvt_f16_f32_e32 v6, v49
	v_pk_add_f32 v[18:19], v[4:5], v[28:29]
	v_pk_add_f32 v[64:65], v[2:3], v[26:27]
	v_cvt_f16_f32_e32 v4, v18
	v_pack_b32_f16 v6, v10, v6
	buffer_store_dwordx4 v[6:9], v38, s[28:31], 0 offen
	v_cvt_f16_f32_e32 v5, v19
	v_cvt_f16_f32_e32 v6, v14
	v_cvt_f16_f32_e32 v7, v88
	v_cvt_f16_f32_e32 v8, v89
	v_cvt_f16_f32_e32 v9, v15
	v_cvt_f16_f32_e32 v2, v64
	v_cvt_f16_f32_e32 v3, v65
	v_pack_b32_f16 v7, v7, v8
	v_pack_b32_f16 v6, v6, v9
	;; [unrolled: 1-line block ×4, first 2 shown]
	;;#ASMSTART
	s_nop 0
	;;#ASMEND
	buffer_store_dwordx4 v[4:7], v38, s[28:31], 16 offen
	;;#ASMSTART
	s_nop 0
	;;#ASMEND
.LBB625_10:
	s_or_b64 exec, exec, s[2:3]
.LBB625_11:
	v_mul_f32_e32 v2, v49, v49
	v_fmac_f32_e32 v2, v48, v48
	v_fmac_f32_e32 v2, v34, v34
	;; [unrolled: 1-line block ×15, first 2 shown]
	s_nop 1
	v_mov_b32_dpp v3, v2 quad_perm:[1,0,3,2] row_mask:0xf bank_mask:0xf
	v_add_f32_e32 v2, v2, v3
	s_nop 1
	v_mov_b32_dpp v3, v2 quad_perm:[2,3,0,1] row_mask:0xf bank_mask:0xf
	v_add_f32_e32 v2, v2, v3
	s_nop 1
	v_mov_b32_dpp v3, v2 row_half_mirror row_mask:0xf bank_mask:0xf
	v_add_f32_e32 v2, v2, v3
	s_nop 1
	v_mov_b32_dpp v3, v2 row_mirror row_mask:0xf bank_mask:0xf
	v_add_f32_e32 v2, v2, v3
	s_nop 1
	v_mov_b32_dpp v3, v2 row_bcast:15 row_mask:0xf bank_mask:0xf
	v_add_f32_e32 v2, v2, v3
	v_and_b32_e32 v3, 63, v0
	v_cmp_eq_u32_e64 s[2:3], 63, v3
	s_nop 0
	v_mov_b32_dpp v3, v2 row_bcast:31 row_mask:0xf bank_mask:0xf
	s_and_saveexec_b64 s[22:23], s[2:3]
	s_cbranch_execz .LBB625_13
; %bb.12:
	v_add_f32_e32 v2, v2, v3
	v_lshrrev_b32_e32 v3, 4, v0
	v_and_b32_e32 v3, 60, v3
	ds_write_b32 v3, v2 offset:8
.LBB625_13:
	s_or_b64 exec, exec, s[22:23]
	v_and_b32_e32 v2, 1, v0
	v_lshlrev_b32_e32 v36, 2, v2
	s_waitcnt lgkmcnt(0)
	s_barrier
	ds_read_b32 v2, v36 offset:8
	s_load_dwordx2 s[38:39], s[4:5], 0x18
	s_waitcnt lgkmcnt(0)
	v_mov_b32_dpp v3, v2 quad_perm:[1,0,3,2] row_mask:0xf bank_mask:0xf
	s_and_saveexec_b64 s[22:23], s[0:1]
	s_cbranch_execnz .LBB625_18
; %bb.14:
	s_or_b64 exec, exec, s[22:23]
	s_mov_b64 s[8:9], -1
	s_and_b64 vcc, exec, s[10:11]
	s_cbranch_vccnz .LBB625_19
.LBB625_15:
	s_andn2_b64 vcc, exec, s[8:9]
	s_cbranch_vccz .LBB625_22
.LBB625_16:
	s_cmp_lt_i32 s16, 1
	s_cbranch_scc0 .LBB625_29
.LBB625_17:
	s_endpgm
.LBB625_18:
	v_add_f32_e32 v2, v2, v3
	v_cvt_f32_u32_e32 v3, s7
	s_mov_b32 s7, 0x800000
	s_waitcnt vmcnt(1)
	v_cvt_f32_f16_sdwa v17, v76 dst_sel:DWORD dst_unused:UNUSED_PAD src0_sel:WORD_1
	v_cvt_f32_f16_e32 v16, v76
	v_div_scale_f32 v4, s[28:29], v3, v3, v2
	v_rcp_f32_e32 v5, v4
	v_pk_add_f32 v[16:17], v[16:17], 1.0 op_sel_hi:[1,0]
	v_cvt_f32_f16_sdwa v21, v79 dst_sel:DWORD dst_unused:UNUSED_PAD src0_sel:WORD_1
	v_cvt_f32_f16_e32 v20, v79
	v_fma_f32 v6, -v4, v5, 1.0
	v_fmac_f32_e32 v5, v6, v5
	v_div_scale_f32 v6, vcc, v2, v3, v2
	v_mul_f32_e32 v7, v6, v5
	v_fma_f32 v8, -v4, v7, v6
	v_fmac_f32_e32 v7, v8, v5
	v_fma_f32 v4, -v4, v7, v6
	v_div_fmas_f32 v4, v4, v5, v7
	v_div_fixup_f32 v2, v4, v3, v2
	v_mov_b32_e32 v3, s13
	v_mov_b32_e32 v4, s12
	v_cndmask_b32_e64 v3, v3, v4, s[8:9]
	v_add_f32_e32 v2, v3, v2
	v_mul_f32_e32 v3, 0x4b800000, v2
	v_cmp_gt_f32_e32 vcc, s7, v2
	v_cndmask_b32_e32 v2, v2, v3, vcc
	v_rsq_f32_e32 v2, v2
	s_waitcnt vmcnt(0)
	v_cvt_f32_f16_sdwa v23, v74 dst_sel:DWORD dst_unused:UNUSED_PAD src0_sel:WORD_1
	v_cvt_f32_f16_e32 v22, v74
	v_mul_f32_e32 v3, 0x45800000, v2
	v_cndmask_b32_e32 v2, v2, v3, vcc
	v_mov_b32_e32 v3, v2
	;;#ASMSTART
	v_pk_mul_f32 v[4:5], v[48:49], v[2:3]
	;;#ASMEND
	;;#ASMSTART
	v_pk_mul_f32 v[6:7], v[34:35], v[2:3]
	;;#ASMEND
	;; [unrolled: 3-line block ×9, first 2 shown]
	v_cvt_f32_f16_sdwa v5, v77 dst_sel:DWORD dst_unused:UNUSED_PAD src0_sel:WORD_1
	v_cvt_f32_f16_e32 v4, v77
	v_cvt_f32_f16_sdwa v17, v78 dst_sel:DWORD dst_unused:UNUSED_PAD src0_sel:WORD_1
	v_cvt_f32_f16_e32 v16, v78
	v_cvt_f32_f16_sdwa v25, v75 dst_sel:DWORD dst_unused:UNUSED_PAD src0_sel:WORD_1
	v_pk_add_f32 v[4:5], v[4:5], 1.0 op_sel_hi:[1,0]
	;;#ASMSTART
	v_pk_mul_f32 v[34:35], v[6:7], v[4:5]
	;;#ASMEND
	v_pk_add_f32 v[4:5], v[16:17], 1.0 op_sel_hi:[1,0]
	v_pk_add_f32 v[6:7], v[20:21], 1.0 op_sel_hi:[1,0]
	v_cvt_f32_f16_sdwa v17, v72 dst_sel:DWORD dst_unused:UNUSED_PAD src0_sel:WORD_1
	v_cvt_f32_f16_e32 v16, v72
	v_cvt_f32_f16_sdwa v21, v73 dst_sel:DWORD dst_unused:UNUSED_PAD src0_sel:WORD_1
	v_cvt_f32_f16_e32 v20, v73
	v_cvt_f32_f16_e32 v24, v75
	v_pk_add_f32 v[16:17], v[16:17], 1.0 op_sel_hi:[1,0]
	v_pk_add_f32 v[22:23], v[22:23], 1.0 op_sel_hi:[1,0]
	;; [unrolled: 1-line block ×4, first 2 shown]
	;;#ASMSTART
	v_pk_mul_f32 v[54:55], v[8:9], v[4:5]
	;;#ASMEND
	;;#ASMSTART
	v_pk_mul_f32 v[24:25], v[10:11], v[6:7]
	;;#ASMEND
	;; [unrolled: 3-line block ×6, first 2 shown]
	s_or_b64 exec, exec, s[22:23]
	s_mov_b64 s[8:9], -1
	s_and_b64 vcc, exec, s[10:11]
	s_cbranch_vccz .LBB625_15
.LBB625_19:
	s_and_saveexec_b64 s[8:9], s[0:1]
	s_cbranch_execz .LBB625_21
; %bb.20:
	v_cvt_f16_f32_e32 v2, v54
	v_cvt_f16_f32_e32 v3, v24
	;; [unrolled: 1-line block ×4, first 2 shown]
	s_mul_hi_i32 s11, s34, s6
	s_mul_i32 s10, s34, s6
	v_pack_b32_f16 v5, v3, v4
	v_pack_b32_f16 v4, v2, v6
	v_cvt_f16_f32_e32 v2, v34
	v_cvt_f16_f32_e32 v3, v35
	;; [unrolled: 1-line block ×3, first 2 shown]
	s_lshl_b64 s[10:11], s[10:11], 1
	s_add_u32 s28, s38, s10
	v_pack_b32_f16 v3, v2, v3
	v_cvt_f16_f32_e32 v2, v48
	s_addc_u32 s7, s39, s11
	s_and_b32 s29, s7, 0xffff
	s_mov_b32 s31, 0x20000
	v_pack_b32_f16 v2, v2, v6
	v_lshlrev_b32_e32 v6, 5, v0
	buffer_store_dwordx4 v[2:5], v6, s[28:31], 0 offen
	v_cvt_f16_f32_e32 v7, v15
	v_cvt_f16_f32_e32 v2, v14
	;; [unrolled: 1-line block ×4, first 2 shown]
	;;#ASMSTART
	s_nop 0
	;;#ASMEND
	v_pack_b32_f16 v5, v3, v4
	v_pack_b32_f16 v4, v2, v7
	v_cvt_f16_f32_e32 v2, v18
	v_cvt_f16_f32_e32 v3, v19
	;; [unrolled: 1-line block ×3, first 2 shown]
	v_pack_b32_f16 v3, v2, v3
	v_cvt_f16_f32_e32 v2, v64
	v_pack_b32_f16 v2, v2, v7
	buffer_store_dwordx4 v[2:5], v6, s[28:31], 16 offen
	;;#ASMSTART
	s_nop 0
	;;#ASMEND
.LBB625_21:
	s_or_b64 exec, exec, s[8:9]
	s_cbranch_execnz .LBB625_16
.LBB625_22:
	v_mov_b32_e32 v2, 0
	s_and_saveexec_b64 s[8:9], s[0:1]
	s_cbranch_execz .LBB625_24
; %bb.23:
	v_and_b32_e32 v2, 0x7fffffff, v48
	v_and_b32_e32 v3, 0x7fffffff, v49
	v_mov_b32_e32 v4, 0x2edbe6ff
	;;#ASMSTART
	v_max3_f32 v2, v4, v2, v3

	;;#ASMEND
	v_and_b32_e32 v3, 0x7fffffff, v34
	v_and_b32_e32 v4, 0x7fffffff, v35
	;;#ASMSTART
	v_max3_f32 v2, v2, v3, v4

	;;#ASMEND
	v_and_b32_e32 v3, 0x7fffffff, v54
	v_and_b32_e32 v4, 0x7fffffff, v55
	;; [unrolled: 6-line block ×7, first 2 shown]
	;;#ASMSTART
	v_max3_f32 v2, v2, v3, v4

	;;#ASMEND
.LBB625_24:
	s_or_b64 exec, exec, s[8:9]
	;;#ASMSTART
	v_max_f32 v3, v2, v2 quad_perm:[1,0,3,2] row_mask:0xf bank_mask:0xf bound_ctrl:1
	;;#ASMEND
	;;#ASMSTART
	v_max_f32 v2, v3, v3 quad_perm:[2,3,0,1] row_mask:0xf bank_mask:0xf bound_ctrl:1
	;;#ASMEND
	;;#ASMSTART
	v_max_f32 v3, v2, v2 row_half_mirror row_mask:0xf bank_mask:0xf bound_ctrl:1
	;;#ASMEND
	v_mul_f32_e32 v2, 0x3b124925, v3
	v_and_b32_e32 v3, 7, v0
	v_cmp_eq_u32_e32 vcc, 0, v3
	v_cmp_gt_i32_e64 s[8:9], s15, v1
	s_and_b64 s[10:11], vcc, s[8:9]
	s_and_saveexec_b64 s[8:9], s[10:11]
	s_cbranch_execz .LBB625_26
; %bb.25:
	s_load_dwordx2 s[10:11], s[4:5], 0x8
	s_mul_hi_i32 s23, s25, s6
	s_mul_i32 s22, s25, s6
	v_lshrrev_b32_e32 v3, 3, v0
	s_lshl_b64 s[22:23], s[22:23], 2
	v_mad_i64_i32 v[4:5], s[26:27], s26, v3, 0
	s_waitcnt lgkmcnt(0)
	s_add_u32 s7, s10, s22
	s_addc_u32 s10, s11, s23
	v_lshlrev_b64 v[4:5], 2, v[4:5]
	v_mov_b32_e32 v3, s10
	v_add_co_u32_e32 v4, vcc, s7, v4
	v_addc_co_u32_e32 v5, vcc, v3, v5, vcc
	global_store_dword v[4:5], v2, off
.LBB625_26:
	s_or_b64 exec, exec, s[8:9]
	;;#ASMSTART
	v_rcp_f32 v2, v2
	;;#ASMEND
	s_and_saveexec_b64 s[22:23], s[0:1]
	s_cbranch_execz .LBB625_28
; %bb.27:
	v_mov_b32_e32 v3, v2
	;;#ASMSTART
	v_pk_mul_f32 v[4:5], v[48:49], v[2:3]
	;;#ASMEND
	v_mov_b32_e32 v10, 0xc3e00000
	v_mov_b32_e32 v11, 0x43e00000
	;;#ASMSTART
	v_med3_f32 v4, v4, v10, v11
v_med3_f32 v5, v5, v10, v11
v_cvt_pk_fp8_f32 v6, v4, v5
	;;#ASMEND
	;;#ASMSTART
	v_pk_mul_f32 v[4:5], v[34:35], v[2:3]
	;;#ASMEND
	;;#ASMSTART
	v_med3_f32 v4, v4, v10, v11
v_med3_f32 v5, v5, v10, v11
v_cvt_pk_fp8_f32 v7, v4, v5
	;;#ASMEND
	;;#ASMSTART
	v_pk_mul_f32 v[4:5], v[54:55], v[2:3]
	;;#ASMEND
	;; [unrolled: 8-line block ×3, first 2 shown]
	;;#ASMSTART
	v_med3_f32 v4, v4, v10, v11
v_med3_f32 v5, v5, v10, v11
v_cvt_pk_fp8_f32 v9, v4, v5
	;;#ASMEND
	s_mov_b32 s0, 0x5040100
	v_perm_b32 v4, v7, v6, s0
	s_mov_b32 s0, 0x1060504
	v_perm_b32 v4, v4, v7, s0
	s_load_dwordx2 s[0:1], s[4:5], 0x0
	s_mov_b32 s7, 0x1000504
	;;#ASMSTART
	v_pk_mul_f32 v[6:7], v[64:65], v[2:3]
	;;#ASMEND
	v_perm_b32 v5, v8, v9, s7
	s_mul_i32 s8, s24, s6
	;;#ASMSTART
	v_med3_f32 v6, v6, v10, v11
v_med3_f32 v7, v7, v10, v11
v_cvt_pk_fp8_f32 v8, v6, v7
	;;#ASMEND
	s_mul_hi_i32 s9, s24, s6
	s_waitcnt lgkmcnt(0)
	s_add_u32 s8, s0, s8
	;;#ASMSTART
	v_pk_mul_f32 v[6:7], v[18:19], v[2:3]
	;;#ASMEND
	s_addc_u32 s0, s1, s9
	s_add_i32 s1, s15, 3
	;;#ASMSTART
	v_med3_f32 v6, v6, v10, v11
v_med3_f32 v7, v7, v10, v11
v_cvt_pk_fp8_f32 v9, v6, v7
	;;#ASMEND
	s_ashr_i32 s9, s1, 31
	v_perm_b32 v6, v8, v9, s7
	;;#ASMSTART
	v_pk_mul_f32 v[8:9], v[14:15], v[2:3]
	;;#ASMEND
	v_mov_b32_e32 v7, v9
	s_lshr_b32 s9, s9, 30
	;;#ASMSTART
	v_med3_f32 v8, v8, v10, v11
v_med3_f32 v7, v7, v10, v11
v_cvt_pk_fp8_f32 v9, v8, v7
	;;#ASMEND
	;;#ASMSTART
	v_pk_mul_f32 v[2:3], v[88:89], v[2:3]
	;;#ASMEND
	s_add_i32 s1, s1, s9
	;;#ASMSTART
	v_med3_f32 v2, v2, v10, v11
v_med3_f32 v3, v3, v10, v11
v_cvt_pk_fp8_f32 v7, v2, v3
	;;#ASMEND
	s_and_b32 s10, s1, -4
	s_and_b32 s9, s0, 0xffff
	s_mov_b32 s11, 0x20000
	v_perm_b32 v7, v9, v7, s7
	buffer_store_dwordx4 v[4:7], v1, s[8:11], 0 offen
	;;#ASMSTART
	s_nop 0
	;;#ASMEND
.LBB625_28:
	s_or_b64 exec, exec, s[22:23]
	s_cmp_lt_i32 s16, 1
	s_cbranch_scc1 .LBB625_17
.LBB625_29:
	s_load_dword s0, s[4:5], 0x94
	s_waitcnt lgkmcnt(0)
	s_cmp_lg_u32 s0, 1
	s_cbranch_scc1 .LBB625_17
; %bb.30:
	s_lshl_b32 s0, s16, 1
	s_add_i32 s0, s0, 2
	v_cmp_gt_u32_e32 vcc, s16, v1
	s_and_b32 s22, s0, -4
	v_mov_b32_e32 v18, 0
	v_lshlrev_b32_e32 v1, 5, v0
	v_mov_b32_e32 v14, 0
	v_mov_b32_e32 v15, 0
	;; [unrolled: 1-line block ×16, first 2 shown]
	s_barrier
	s_and_saveexec_b64 s[0:1], vcc
	s_cbranch_execz .LBB625_32
; %bb.31:
	s_mul_hi_i32 s5, s18, s6
	s_mul_i32 s4, s18, s6
	s_and_b32 s21, s21, 0xffff
	s_lshl_b64 s[4:5], s[4:5], 1
	s_add_u32 s8, s36, s4
	s_mov_b32 s23, 0x20000
	s_addc_u32 s4, s37, s5
	s_and_b32 s9, s4, 0xffff
	s_mov_b32 s10, s22
	s_mov_b32 s11, s23
	buffer_load_dwordx4 v[14:17], v1, s[8:11], 0 offen
	buffer_load_dwordx4 v[10:13], v1, s[8:11], 16 offen
	;; [unrolled: 1-line block ×4, first 2 shown]
.LBB625_32:
	s_or_b64 exec, exec, s[0:1]
	v_mov_b32_e32 v19, 0
	v_mov_b32_e32 v32, 0
	v_mov_b32_e32 v33, 0
	v_mov_b32_e32 v30, 0
	v_mov_b32_e32 v31, 0
	v_mov_b32_e32 v28, 0
	v_mov_b32_e32 v29, 0
	v_mov_b32_e32 v26, 0
	v_mov_b32_e32 v27, 0
	v_mov_b32_e32 v24, 0
	v_mov_b32_e32 v25, 0
	v_mov_b32_e32 v22, 0
	v_mov_b32_e32 v23, 0
	v_mov_b32_e32 v20, 0
	v_mov_b32_e32 v21, 0
	s_and_saveexec_b64 s[0:1], vcc
	s_cbranch_execz .LBB625_34
; %bb.33:
	s_waitcnt vmcnt(3)
	v_cvt_f32_f16_sdwa v19, v14 dst_sel:DWORD dst_unused:UNUSED_PAD src0_sel:WORD_1
	v_cvt_f32_f16_e32 v18, v14
	v_cvt_f32_f16_sdwa v33, v15 dst_sel:DWORD dst_unused:UNUSED_PAD src0_sel:WORD_1
	v_cvt_f32_f16_e32 v32, v15
	v_cvt_f32_f16_sdwa v31, v16 dst_sel:DWORD dst_unused:UNUSED_PAD src0_sel:WORD_1
	v_cvt_f32_f16_e32 v30, v16
	v_cvt_f32_f16_sdwa v29, v17 dst_sel:DWORD dst_unused:UNUSED_PAD src0_sel:WORD_1
	v_cvt_f32_f16_e32 v28, v17
	s_waitcnt vmcnt(2)
	v_cvt_f32_f16_sdwa v27, v10 dst_sel:DWORD dst_unused:UNUSED_PAD src0_sel:WORD_1
	v_cvt_f32_f16_e32 v26, v10
	v_cvt_f32_f16_sdwa v25, v11 dst_sel:DWORD dst_unused:UNUSED_PAD src0_sel:WORD_1
	v_cvt_f32_f16_e32 v24, v11
	;; [unrolled: 2-line block ×4, first 2 shown]
.LBB625_34:
	s_or_b64 exec, exec, s[0:1]
	s_waitcnt vmcnt(2)
	v_mul_f32_e32 v10, v19, v19
	v_fmac_f32_e32 v10, v18, v18
	v_fmac_f32_e32 v10, v32, v32
	v_fmac_f32_e32 v10, v33, v33
	v_fmac_f32_e32 v10, v30, v30
	v_fmac_f32_e32 v10, v31, v31
	v_fmac_f32_e32 v10, v28, v28
	v_fmac_f32_e32 v10, v29, v29
	v_fmac_f32_e32 v10, v26, v26
	v_fmac_f32_e32 v10, v27, v27
	v_fmac_f32_e32 v10, v24, v24
	v_fmac_f32_e32 v10, v25, v25
	v_fmac_f32_e32 v10, v22, v22
	v_fmac_f32_e32 v10, v23, v23
	v_fmac_f32_e32 v10, v20, v20
	v_fmac_f32_e32 v10, v21, v21
	s_nop 1
	v_mov_b32_dpp v11, v10 quad_perm:[1,0,3,2] row_mask:0xf bank_mask:0xf
	v_add_f32_e32 v10, v10, v11
	s_nop 1
	v_mov_b32_dpp v11, v10 quad_perm:[2,3,0,1] row_mask:0xf bank_mask:0xf
	v_add_f32_e32 v10, v10, v11
	s_nop 1
	v_mov_b32_dpp v11, v10 row_half_mirror row_mask:0xf bank_mask:0xf
	v_add_f32_e32 v10, v10, v11
	s_nop 1
	v_mov_b32_dpp v11, v10 row_mirror row_mask:0xf bank_mask:0xf
	v_add_f32_e32 v10, v10, v11
	s_nop 1
	v_mov_b32_dpp v11, v10 row_bcast:15 row_mask:0xf bank_mask:0xf
	v_add_f32_e32 v10, v10, v11
	s_nop 1
	v_mov_b32_dpp v11, v10 row_bcast:31 row_mask:0xf bank_mask:0xf
	s_and_saveexec_b64 s[0:1], s[2:3]
	s_cbranch_execz .LBB625_36
; %bb.35:
	v_lshrrev_b32_e32 v0, 4, v0
	v_add_f32_e32 v10, v10, v11
	v_and_b32_e32 v0, 60, v0
	ds_write_b32 v0, v10
.LBB625_36:
	s_or_b64 exec, exec, s[0:1]
	s_waitcnt lgkmcnt(0)
	s_barrier
	ds_read_b32 v0, v36
	s_waitcnt lgkmcnt(0)
	s_nop 0
	v_mov_b32_dpp v10, v0 quad_perm:[1,0,3,2] row_mask:0xf bank_mask:0xf
	s_and_saveexec_b64 s[0:1], vcc
	s_cbranch_execz .LBB625_17
; %bb.37:
	v_cvt_f32_u32_e32 v11, s16
	v_add_f32_e32 v0, v0, v10
	s_mov_b32 s23, 0x20000
	v_div_scale_f32 v10, s[0:1], v11, v11, v0
	v_rcp_f32_e32 v12, v10
	v_div_scale_f32 v13, vcc, v0, v11, v0
	s_mov_b32 s0, 0x800000
	v_fma_f32 v14, -v10, v12, 1.0
	v_fmac_f32_e32 v12, v14, v12
	v_mul_f32_e32 v14, v13, v12
	v_fma_f32 v15, -v10, v14, v13
	v_fmac_f32_e32 v14, v15, v12
	v_fma_f32 v10, -v10, v14, v13
	v_div_fmas_f32 v10, v10, v12, v14
	v_div_fixup_f32 v0, v10, v11, v0
	v_add_f32_e32 v0, s13, v0
	v_mul_f32_e32 v10, 0x4b800000, v0
	v_cmp_gt_f32_e32 vcc, s0, v0
	v_cndmask_b32_e32 v0, v0, v10, vcc
	v_rsq_f32_e32 v0, v0
	s_mul_hi_i32 s1, s34, s6
	s_mul_i32 s0, s34, s6
	s_lshl_b64 s[0:1], s[0:1], 1
	v_mul_f32_e32 v10, 0x45800000, v0
	v_cndmask_b32_e32 v10, v0, v10, vcc
	v_mov_b32_e32 v11, v10
	;;#ASMSTART
	v_pk_mul_f32 v[12:13], v[18:19], v[10:11]
	;;#ASMEND
	;;#ASMSTART
	v_pk_mul_f32 v[14:15], v[32:33], v[10:11]
	;;#ASMEND
	;; [unrolled: 3-line block ×4, first 2 shown]
	s_waitcnt vmcnt(1)
	v_cvt_f32_f16_sdwa v29, v6 dst_sel:DWORD dst_unused:UNUSED_PAD src0_sel:WORD_1
	v_cvt_f32_f16_e32 v28, v6
	v_cvt_f32_f16_sdwa v31, v7 dst_sel:DWORD dst_unused:UNUSED_PAD src0_sel:WORD_1
	v_cvt_f32_f16_e32 v30, v7
	;;#ASMSTART
	v_pk_mul_f32 v[26:27], v[26:27], v[10:11]
	;;#ASMEND
	;;#ASMSTART
	v_pk_mul_f32 v[24:25], v[24:25], v[10:11]
	;;#ASMEND
	;; [unrolled: 3-line block ×4, first 2 shown]
	v_cvt_f32_f16_sdwa v21, v8 dst_sel:DWORD dst_unused:UNUSED_PAD src0_sel:WORD_1
	v_cvt_f32_f16_e32 v20, v8
	v_pk_add_f32 v[10:11], v[28:29], 1.0 op_sel_hi:[1,0]
	;;#ASMSTART
	v_pk_mul_f32 v[10:11], v[12:13], v[10:11]
	;;#ASMEND
	v_pk_add_f32 v[12:13], v[30:31], 1.0 op_sel_hi:[1,0]
	v_cvt_f32_f16_sdwa v29, v9 dst_sel:DWORD dst_unused:UNUSED_PAD src0_sel:WORD_1
	v_cvt_f32_f16_e32 v28, v9
	;;#ASMSTART
	v_pk_mul_f32 v[8:9], v[14:15], v[12:13]
	;;#ASMEND
	v_pk_add_f32 v[12:13], v[20:21], 1.0 op_sel_hi:[1,0]
	;;#ASMSTART
	v_pk_mul_f32 v[12:13], v[16:17], v[12:13]
	;;#ASMEND
	s_waitcnt vmcnt(0)
	v_cvt_f32_f16_sdwa v17, v2 dst_sel:DWORD dst_unused:UNUSED_PAD src0_sel:WORD_1
	v_cvt_f32_f16_e32 v16, v2
	v_cvt_f32_f16_sdwa v21, v3 dst_sel:DWORD dst_unused:UNUSED_PAD src0_sel:WORD_1
	v_cvt_f32_f16_e32 v20, v3
	v_pk_add_f32 v[14:15], v[28:29], 1.0 op_sel_hi:[1,0]
	;;#ASMSTART
	v_pk_mul_f32 v[2:3], v[18:19], v[14:15]
	;;#ASMEND
	v_cvt_f32_f16_sdwa v19, v4 dst_sel:DWORD dst_unused:UNUSED_PAD src0_sel:WORD_1
	v_cvt_f32_f16_e32 v18, v4
	v_pk_add_f32 v[14:15], v[16:17], 1.0 op_sel_hi:[1,0]
	v_pk_add_f32 v[16:17], v[20:21], 1.0 op_sel_hi:[1,0]
	v_cvt_f32_f16_sdwa v21, v5 dst_sel:DWORD dst_unused:UNUSED_PAD src0_sel:WORD_1
	v_cvt_f32_f16_e32 v20, v5
	v_pk_add_f32 v[4:5], v[18:19], 1.0 op_sel_hi:[1,0]
	;;#ASMSTART
	v_pk_mul_f32 v[14:15], v[26:27], v[14:15]
	;;#ASMEND
	;;#ASMSTART
	v_pk_mul_f32 v[16:17], v[24:25], v[16:17]
	;;#ASMEND
	;; [unrolled: 3-line block ×3, first 2 shown]
	v_pk_add_f32 v[4:5], v[20:21], 1.0 op_sel_hi:[1,0]
	;;#ASMSTART
	v_pk_mul_f32 v[6:7], v[6:7], v[4:5]
	;;#ASMEND
	v_cvt_f16_f32_e32 v0, v10
	v_cvt_f16_f32_e32 v4, v11
	;; [unrolled: 1-line block ×8, first 2 shown]
	s_add_u32 s20, s38, s0
	s_addc_u32 s0, s39, s1
	s_and_b32 s21, s0, 0xffff
	v_pack_b32_f16 v2, v0, v4
	v_pack_b32_f16 v3, v5, v8
	v_pack_b32_f16 v4, v9, v10
	v_pack_b32_f16 v5, v11, v12
	buffer_store_dwordx4 v[2:5], v1, s[20:23], 0 offen
	v_cvt_f16_f32_e32 v0, v14
	v_cvt_f16_f32_e32 v2, v15
	;; [unrolled: 1-line block ×8, first 2 shown]
	v_pack_b32_f16 v2, v0, v2
	v_pack_b32_f16 v3, v3, v4
	;; [unrolled: 1-line block ×4, first 2 shown]
	;;#ASMSTART
	s_nop 0
	;;#ASMEND
	buffer_store_dwordx4 v[2:5], v1, s[20:23], 16 offen
	;;#ASMSTART
	s_nop 0
	;;#ASMEND
	s_endpgm
	.section	.rodata,"a",@progbits
	.p2align	6, 0x0
	.amdhsa_kernel _ZN5aiter35fused_qk_rmsnorm_group_quant_kernelIDF16_DB8_Li128ELi16ELi8ELb1ELb0ELb1ELb0ELb0ELb0EEEvPT0_PvPT_S6_S6_PKS5_S8_S8_S8_S8_ffiiiiiiiiiiiii
		.amdhsa_group_segment_fixed_size 16
		.amdhsa_private_segment_fixed_size 0
		.amdhsa_kernarg_size 400
		.amdhsa_user_sgpr_count 6
		.amdhsa_user_sgpr_private_segment_buffer 1
		.amdhsa_user_sgpr_dispatch_ptr 0
		.amdhsa_user_sgpr_queue_ptr 0
		.amdhsa_user_sgpr_kernarg_segment_ptr 1
		.amdhsa_user_sgpr_dispatch_id 0
		.amdhsa_user_sgpr_flat_scratch_init 0
		.amdhsa_user_sgpr_kernarg_preload_length 0
		.amdhsa_user_sgpr_kernarg_preload_offset 0
		.amdhsa_user_sgpr_private_segment_size 0
		.amdhsa_uses_dynamic_stack 0
		.amdhsa_system_sgpr_private_segment_wavefront_offset 0
		.amdhsa_system_sgpr_workgroup_id_x 1
		.amdhsa_system_sgpr_workgroup_id_y 1
		.amdhsa_system_sgpr_workgroup_id_z 0
		.amdhsa_system_sgpr_workgroup_info 0
		.amdhsa_system_vgpr_workitem_id 0
		.amdhsa_next_free_vgpr 90
		.amdhsa_next_free_sgpr 44
		.amdhsa_accum_offset 92
		.amdhsa_reserve_vcc 1
		.amdhsa_reserve_flat_scratch 0
		.amdhsa_float_round_mode_32 0
		.amdhsa_float_round_mode_16_64 0
		.amdhsa_float_denorm_mode_32 3
		.amdhsa_float_denorm_mode_16_64 3
		.amdhsa_dx10_clamp 1
		.amdhsa_ieee_mode 1
		.amdhsa_fp16_overflow 0
		.amdhsa_tg_split 0
		.amdhsa_exception_fp_ieee_invalid_op 0
		.amdhsa_exception_fp_denorm_src 0
		.amdhsa_exception_fp_ieee_div_zero 0
		.amdhsa_exception_fp_ieee_overflow 0
		.amdhsa_exception_fp_ieee_underflow 0
		.amdhsa_exception_fp_ieee_inexact 0
		.amdhsa_exception_int_div_zero 0
	.end_amdhsa_kernel
	.section	.text._ZN5aiter35fused_qk_rmsnorm_group_quant_kernelIDF16_DB8_Li128ELi16ELi8ELb1ELb0ELb1ELb0ELb0ELb0EEEvPT0_PvPT_S6_S6_PKS5_S8_S8_S8_S8_ffiiiiiiiiiiiii,"axG",@progbits,_ZN5aiter35fused_qk_rmsnorm_group_quant_kernelIDF16_DB8_Li128ELi16ELi8ELb1ELb0ELb1ELb0ELb0ELb0EEEvPT0_PvPT_S6_S6_PKS5_S8_S8_S8_S8_ffiiiiiiiiiiiii,comdat
.Lfunc_end625:
	.size	_ZN5aiter35fused_qk_rmsnorm_group_quant_kernelIDF16_DB8_Li128ELi16ELi8ELb1ELb0ELb1ELb0ELb0ELb0EEEvPT0_PvPT_S6_S6_PKS5_S8_S8_S8_S8_ffiiiiiiiiiiiii, .Lfunc_end625-_ZN5aiter35fused_qk_rmsnorm_group_quant_kernelIDF16_DB8_Li128ELi16ELi8ELb1ELb0ELb1ELb0ELb0ELb0EEEvPT0_PvPT_S6_S6_PKS5_S8_S8_S8_S8_ffiiiiiiiiiiiii
                                        ; -- End function
	.section	.AMDGPU.csdata,"",@progbits
; Kernel info:
; codeLenInByte = 4136
; NumSgprs: 48
; NumVgprs: 90
; NumAgprs: 0
; TotalNumVgprs: 90
; ScratchSize: 0
; MemoryBound: 0
; FloatMode: 240
; IeeeMode: 1
; LDSByteSize: 16 bytes/workgroup (compile time only)
; SGPRBlocks: 5
; VGPRBlocks: 11
; NumSGPRsForWavesPerEU: 48
; NumVGPRsForWavesPerEU: 90
; AccumOffset: 92
; Occupancy: 5
; WaveLimiterHint : 0
; COMPUTE_PGM_RSRC2:SCRATCH_EN: 0
; COMPUTE_PGM_RSRC2:USER_SGPR: 6
; COMPUTE_PGM_RSRC2:TRAP_HANDLER: 0
; COMPUTE_PGM_RSRC2:TGID_X_EN: 1
; COMPUTE_PGM_RSRC2:TGID_Y_EN: 1
; COMPUTE_PGM_RSRC2:TGID_Z_EN: 0
; COMPUTE_PGM_RSRC2:TIDIG_COMP_CNT: 0
; COMPUTE_PGM_RSRC3_GFX90A:ACCUM_OFFSET: 22
; COMPUTE_PGM_RSRC3_GFX90A:TG_SPLIT: 0
	.section	.text._ZN5aiter35fused_qk_rmsnorm_group_quant_kernelItDB8_Li128ELi16ELi8ELb1ELb0ELb1ELb0ELb0ELb0EEEvPT0_PvPT_S6_S6_PKS5_S8_S8_S8_S8_ffiiiiiiiiiiiii,"axG",@progbits,_ZN5aiter35fused_qk_rmsnorm_group_quant_kernelItDB8_Li128ELi16ELi8ELb1ELb0ELb1ELb0ELb0ELb0EEEvPT0_PvPT_S6_S6_PKS5_S8_S8_S8_S8_ffiiiiiiiiiiiii,comdat
	.protected	_ZN5aiter35fused_qk_rmsnorm_group_quant_kernelItDB8_Li128ELi16ELi8ELb1ELb0ELb1ELb0ELb0ELb0EEEvPT0_PvPT_S6_S6_PKS5_S8_S8_S8_S8_ffiiiiiiiiiiiii ; -- Begin function _ZN5aiter35fused_qk_rmsnorm_group_quant_kernelItDB8_Li128ELi16ELi8ELb1ELb0ELb1ELb0ELb0ELb0EEEvPT0_PvPT_S6_S6_PKS5_S8_S8_S8_S8_ffiiiiiiiiiiiii
	.globl	_ZN5aiter35fused_qk_rmsnorm_group_quant_kernelItDB8_Li128ELi16ELi8ELb1ELb0ELb1ELb0ELb0ELb0EEEvPT0_PvPT_S6_S6_PKS5_S8_S8_S8_S8_ffiiiiiiiiiiiii
	.p2align	8
	.type	_ZN5aiter35fused_qk_rmsnorm_group_quant_kernelItDB8_Li128ELi16ELi8ELb1ELb0ELb1ELb0ELb0ELb0EEEvPT0_PvPT_S6_S6_PKS5_S8_S8_S8_S8_ffiiiiiiiiiiiii,@function
_ZN5aiter35fused_qk_rmsnorm_group_quant_kernelItDB8_Li128ELi16ELi8ELb1ELb0ELb1ELb0ELb0ELb0EEEvPT0_PvPT_S6_S6_PKS5_S8_S8_S8_S8_ffiiiiiiiiiiiii: ; @_ZN5aiter35fused_qk_rmsnorm_group_quant_kernelItDB8_Li128ELi16ELi8ELb1ELb0ELb1ELb0ELb0ELb0EEEvPT0_PvPT_S6_S6_PKS5_S8_S8_S8_S8_ffiiiiiiiiiiiii
; %bb.0:
	s_load_dwordx8 s[12:19], s[4:5], 0x50
	s_waitcnt lgkmcnt(0)
	s_cmp_ge_i32 s6, s14
	s_cbranch_scc1 .LBB626_17
; %bb.1:
	s_cmp_lg_u32 s7, 0
	s_cselect_b64 s[10:11], -1, 0
	s_cmp_eq_u32 s7, 0
	s_cselect_b64 s[8:9], -1, 0
	s_and_b64 s[0:1], s[8:9], exec
	s_load_dwordx2 s[20:21], s[4:5], 0x48
	s_load_dwordx2 s[36:37], s[4:5], 0x30
	s_load_dwordx4 s[24:27], s[4:5], 0x70
	s_cselect_b32 s7, s15, s16
	s_add_i32 s0, s7, 1
	s_lshr_b32 s1, s0, 31
	s_add_i32 s0, s0, s1
	s_lshl_b32 s0, s0, 1
	v_lshlrev_b32_e32 v1, 4, v0
	s_and_b32 s30, s0, -4
	v_cmp_gt_i32_e64 s[0:1], s7, v1
	v_mov_b32_e32 v74, 0
	v_mov_b32_e32 v75, 0
	;; [unrolled: 1-line block ×16, first 2 shown]
	s_and_saveexec_b64 s[2:3], s[0:1]
	s_cbranch_execz .LBB626_3
; %bb.2:
	s_load_dwordx2 s[22:23], s[4:5], 0x28
	s_load_dwordx2 s[28:29], s[4:5], 0x40
	s_and_b64 s[34:35], s[8:9], exec
	s_cselect_b32 s14, s17, s18
	s_mov_b32 s31, 0x20000
	s_waitcnt lgkmcnt(0)
	s_cselect_b32 s17, s23, s37
	s_cselect_b32 s27, s22, s36
	s_mul_hi_i32 s23, s14, s6
	s_mul_i32 s22, s14, s6
	s_lshl_b64 s[22:23], s[22:23], 1
	s_add_u32 s40, s27, s22
	s_addc_u32 s14, s17, s23
	s_and_b64 s[22:23], s[8:9], exec
	s_cselect_b32 s28, s28, s20
	s_cselect_b32 s17, s29, s21
	s_and_b32 s41, s14, 0xffff
	s_mov_b32 s42, s30
	s_mov_b32 s43, s31
	v_lshlrev_b32_e32 v2, 5, v0
	s_and_b32 s29, s17, 0xffff
	buffer_load_dwordx4 v[78:81], v2, s[40:43], 0 offen
	buffer_load_dwordx4 v[82:85], v2, s[40:43], 16 offen
	;; [unrolled: 1-line block ×4, first 2 shown]
.LBB626_3:
	s_or_b64 exec, exec, s[2:3]
	s_load_dwordx2 s[34:35], s[4:5], 0x80
	s_and_b64 vcc, exec, s[10:11]
	s_cbranch_vccz .LBB626_7
; %bb.4:
	v_mov_b32_e32 v87, 0
	v_mov_b32_e32 v86, 0
	;; [unrolled: 1-line block ×16, first 2 shown]
	s_and_saveexec_b64 s[2:3], s[0:1]
	s_cbranch_execz .LBB626_6
; %bb.5:
	s_waitcnt vmcnt(3)
	v_cvt_f32_u32_sdwa v52, v78 dst_sel:DWORD dst_unused:UNUSED_PAD src0_sel:WORD_0
	v_cvt_f32_u32_sdwa v53, v78 dst_sel:DWORD dst_unused:UNUSED_PAD src0_sel:WORD_1
	v_cvt_f32_u32_sdwa v34, v79 dst_sel:DWORD dst_unused:UNUSED_PAD src0_sel:WORD_0
	v_cvt_f32_u32_sdwa v35, v79 dst_sel:DWORD dst_unused:UNUSED_PAD src0_sel:WORD_1
	;; [unrolled: 2-line block ×4, first 2 shown]
	s_waitcnt vmcnt(2)
	v_cvt_f32_u32_sdwa v44, v82 dst_sel:DWORD dst_unused:UNUSED_PAD src0_sel:WORD_0
	v_cvt_f32_u32_sdwa v45, v82 dst_sel:DWORD dst_unused:UNUSED_PAD src0_sel:WORD_1
	v_cvt_f32_u32_sdwa v18, v83 dst_sel:DWORD dst_unused:UNUSED_PAD src0_sel:WORD_0
	v_cvt_f32_u32_sdwa v19, v83 dst_sel:DWORD dst_unused:UNUSED_PAD src0_sel:WORD_1
	;; [unrolled: 2-line block ×4, first 2 shown]
.LBB626_6:
	s_or_b64 exec, exec, s[2:3]
	s_cbranch_execz .LBB626_8
	s_branch .LBB626_11
.LBB626_7:
                                        ; implicit-def: $vgpr32_vgpr33_vgpr34_vgpr35_vgpr36_vgpr37_vgpr38_vgpr39_vgpr40_vgpr41_vgpr42_vgpr43_vgpr44_vgpr45_vgpr46_vgpr47
                                        ; implicit-def: $vgpr18_vgpr19_vgpr20_vgpr21_vgpr22_vgpr23_vgpr24_vgpr25_vgpr26_vgpr27_vgpr28_vgpr29_vgpr30_vgpr31_vgpr32_vgpr33
                                        ; implicit-def: $vgpr52_vgpr53_vgpr54_vgpr55_vgpr56_vgpr57_vgpr58_vgpr59_vgpr60_vgpr61_vgpr62_vgpr63_vgpr64_vgpr65_vgpr66_vgpr67
                                        ; implicit-def: $vgpr87
                                        ; implicit-def: $vgpr54_vgpr55_vgpr56_vgpr57_vgpr58_vgpr59_vgpr60_vgpr61_vgpr62_vgpr63_vgpr64_vgpr65_vgpr66_vgpr67_vgpr68_vgpr69
                                        ; implicit-def: $vgpr8_vgpr9_vgpr10_vgpr11_vgpr12_vgpr13_vgpr14_vgpr15_vgpr16_vgpr17_vgpr18_vgpr19_vgpr20_vgpr21_vgpr22_vgpr23
                                        ; implicit-def: $vgpr36_vgpr37_vgpr38_vgpr39_vgpr40_vgpr41_vgpr42_vgpr43_vgpr44_vgpr45_vgpr46_vgpr47_vgpr48_vgpr49_vgpr50_vgpr51
                                        ; implicit-def: $vgpr2_vgpr3_vgpr4_vgpr5_vgpr6_vgpr7_vgpr8_vgpr9_vgpr10_vgpr11_vgpr12_vgpr13_vgpr14_vgpr15_vgpr16_vgpr17
.LBB626_8:
	v_mov_b32_e32 v87, 0
	v_mov_b32_e32 v86, 0
	;; [unrolled: 1-line block ×16, first 2 shown]
	s_and_saveexec_b64 s[2:3], s[0:1]
	s_cbranch_execz .LBB626_10
; %bb.9:
	s_load_dwordx2 s[22:23], s[4:5], 0x38
	s_mul_hi_i32 s29, s19, s6
	s_mul_i32 s28, s19, s6
	s_lshl_b64 s[28:29], s[28:29], 1
	s_mov_b32 s31, 0x20000
	s_waitcnt lgkmcnt(0)
	s_add_u32 s28, s22, s28
	s_addc_u32 s14, s23, s29
	s_and_b32 s29, s14, 0xffff
	v_lshlrev_b32_e32 v38, 5, v0
	buffer_load_dwordx4 v[4:7], v38, s[28:31], 16 offen
	buffer_load_dwordx4 v[8:11], v38, s[28:31], 0 offen
	s_load_dwordx2 s[22:23], s[4:5], 0x20
	s_waitcnt vmcnt(5)
	v_cvt_f32_u32_sdwa v19, v78 dst_sel:DWORD dst_unused:UNUSED_PAD src0_sel:WORD_1
	v_cvt_f32_u32_sdwa v18, v78 dst_sel:DWORD dst_unused:UNUSED_PAD src0_sel:WORD_0
	v_cvt_f32_u32_sdwa v21, v79 dst_sel:DWORD dst_unused:UNUSED_PAD src0_sel:WORD_1
	v_cvt_f32_u32_sdwa v20, v79 dst_sel:DWORD dst_unused:UNUSED_PAD src0_sel:WORD_0
	;; [unrolled: 2-line block ×4, first 2 shown]
	s_waitcnt vmcnt(4)
	v_cvt_f32_u32_sdwa v3, v82 dst_sel:DWORD dst_unused:UNUSED_PAD src0_sel:WORD_1
	v_cvt_f32_u32_sdwa v2, v82 dst_sel:DWORD dst_unused:UNUSED_PAD src0_sel:WORD_0
	v_cvt_f32_u32_sdwa v13, v83 dst_sel:DWORD dst_unused:UNUSED_PAD src0_sel:WORD_1
	v_cvt_f32_u32_sdwa v12, v83 dst_sel:DWORD dst_unused:UNUSED_PAD src0_sel:WORD_0
	;; [unrolled: 2-line block ×3, first 2 shown]
	v_cvt_f32_u32_sdwa v16, v85 dst_sel:DWORD dst_unused:UNUSED_PAD src0_sel:WORD_0
	v_cvt_f32_u32_sdwa v17, v85 dst_sel:DWORD dst_unused:UNUSED_PAD src0_sel:WORD_1
	s_mul_hi_i32 s29, s35, s6
	s_mul_i32 s28, s35, s6
	s_lshl_b64 s[28:29], s[28:29], 1
	s_waitcnt lgkmcnt(0)
	s_add_u32 s28, s22, s28
	s_mov_b32 s14, 0x7060302
	s_addc_u32 s17, s23, s29
	s_and_b32 s29, s17, 0xffff
	s_waitcnt vmcnt(1)
	v_cvt_f32_u32_sdwa v27, v4 dst_sel:DWORD dst_unused:UNUSED_PAD src0_sel:WORD_1
	v_cvt_f32_u32_sdwa v26, v4 dst_sel:DWORD dst_unused:UNUSED_PAD src0_sel:WORD_0
	v_cvt_f32_u32_sdwa v29, v5 dst_sel:DWORD dst_unused:UNUSED_PAD src0_sel:WORD_1
	v_cvt_f32_u32_sdwa v28, v5 dst_sel:DWORD dst_unused:UNUSED_PAD src0_sel:WORD_0
	;; [unrolled: 2-line block ×3, first 2 shown]
	v_cvt_f32_u32_sdwa v32, v7 dst_sel:DWORD dst_unused:UNUSED_PAD src0_sel:WORD_0
	v_cvt_f32_u32_sdwa v33, v7 dst_sel:DWORD dst_unused:UNUSED_PAD src0_sel:WORD_1
	s_waitcnt vmcnt(0)
	v_cvt_f32_u32_sdwa v37, v8 dst_sel:DWORD dst_unused:UNUSED_PAD src0_sel:WORD_1
	v_cvt_f32_u32_sdwa v36, v8 dst_sel:DWORD dst_unused:UNUSED_PAD src0_sel:WORD_0
	v_cvt_f32_u32_sdwa v5, v10 dst_sel:DWORD dst_unused:UNUSED_PAD src0_sel:WORD_1
	v_cvt_f32_u32_sdwa v4, v10 dst_sel:DWORD dst_unused:UNUSED_PAD src0_sel:WORD_0
	;; [unrolled: 2-line block ×4, first 2 shown]
	v_pk_add_f32 v[58:59], v[22:23], v[4:5]
	v_pk_add_f32 v[24:25], v[24:25], v[6:7]
	;; [unrolled: 1-line block ×4, first 2 shown]
	v_perm_b32 v7, v25, v24, s14
	v_perm_b32 v6, v59, v58, s14
	;; [unrolled: 1-line block ×4, first 2 shown]
	v_pk_add_f32 v[86:87], v[16:17], v[32:33]
	v_pk_add_f32 v[14:15], v[14:15], v[30:31]
	;; [unrolled: 1-line block ×4, first 2 shown]
	buffer_store_dwordx4 v[4:7], v38, s[28:31], 0 offen
	;;#ASMSTART
	s_nop 0
	;;#ASMEND
	s_nop 0
	v_perm_b32 v7, v87, v86, s14
	v_perm_b32 v6, v15, v14, s14
	;; [unrolled: 1-line block ×4, first 2 shown]
	buffer_store_dwordx4 v[4:7], v38, s[28:31], 16 offen
	;;#ASMSTART
	s_nop 0
	;;#ASMEND
.LBB626_10:
	s_or_b64 exec, exec, s[2:3]
.LBB626_11:
	v_mul_f32_e32 v2, v53, v53
	v_fmac_f32_e32 v2, v52, v52
	v_fmac_f32_e32 v2, v34, v34
	;; [unrolled: 1-line block ×15, first 2 shown]
	s_nop 1
	v_mov_b32_dpp v3, v2 quad_perm:[1,0,3,2] row_mask:0xf bank_mask:0xf
	v_add_f32_e32 v2, v2, v3
	s_nop 1
	v_mov_b32_dpp v3, v2 quad_perm:[2,3,0,1] row_mask:0xf bank_mask:0xf
	v_add_f32_e32 v2, v2, v3
	s_nop 1
	v_mov_b32_dpp v3, v2 row_half_mirror row_mask:0xf bank_mask:0xf
	v_add_f32_e32 v2, v2, v3
	s_nop 1
	v_mov_b32_dpp v3, v2 row_mirror row_mask:0xf bank_mask:0xf
	v_add_f32_e32 v2, v2, v3
	s_nop 1
	v_mov_b32_dpp v3, v2 row_bcast:15 row_mask:0xf bank_mask:0xf
	v_add_f32_e32 v2, v2, v3
	v_and_b32_e32 v3, 63, v0
	v_cmp_eq_u32_e64 s[2:3], 63, v3
	s_nop 0
	v_mov_b32_dpp v3, v2 row_bcast:31 row_mask:0xf bank_mask:0xf
	s_and_saveexec_b64 s[22:23], s[2:3]
	s_cbranch_execz .LBB626_13
; %bb.12:
	v_add_f32_e32 v2, v2, v3
	v_lshrrev_b32_e32 v3, 4, v0
	v_and_b32_e32 v3, 60, v3
	ds_write_b32 v3, v2 offset:8
.LBB626_13:
	s_or_b64 exec, exec, s[22:23]
	v_and_b32_e32 v2, 1, v0
	v_lshlrev_b32_e32 v36, 2, v2
	s_waitcnt lgkmcnt(0)
	s_barrier
	ds_read_b32 v2, v36 offset:8
	s_load_dwordx2 s[38:39], s[4:5], 0x18
	s_waitcnt lgkmcnt(0)
	v_mov_b32_dpp v3, v2 quad_perm:[1,0,3,2] row_mask:0xf bank_mask:0xf
	s_and_saveexec_b64 s[22:23], s[0:1]
	s_cbranch_execnz .LBB626_18
; %bb.14:
	s_or_b64 exec, exec, s[22:23]
	s_mov_b64 s[8:9], -1
	s_and_b64 vcc, exec, s[10:11]
	s_cbranch_vccnz .LBB626_19
.LBB626_15:
	s_andn2_b64 vcc, exec, s[8:9]
	s_cbranch_vccz .LBB626_22
.LBB626_16:
	s_cmp_lt_i32 s16, 1
	s_cbranch_scc0 .LBB626_29
.LBB626_17:
	s_endpgm
.LBB626_18:
	v_add_f32_e32 v2, v2, v3
	v_cvt_f32_u32_e32 v3, s7
	s_mov_b32 s7, 0x800000
	s_waitcnt vmcnt(1)
	v_cvt_f32_u32_sdwa v17, v74 dst_sel:DWORD dst_unused:UNUSED_PAD src0_sel:WORD_1
	v_cvt_f32_u32_sdwa v16, v74 dst_sel:DWORD dst_unused:UNUSED_PAD src0_sel:WORD_0
	v_div_scale_f32 v4, s[28:29], v3, v3, v2
	v_rcp_f32_e32 v5, v4
	v_pk_add_f32 v[16:17], v[16:17], 1.0 op_sel_hi:[1,0]
	v_cvt_f32_u32_sdwa v21, v77 dst_sel:DWORD dst_unused:UNUSED_PAD src0_sel:WORD_1
	v_cvt_f32_u32_sdwa v20, v77 dst_sel:DWORD dst_unused:UNUSED_PAD src0_sel:WORD_0
	v_fma_f32 v6, -v4, v5, 1.0
	v_fmac_f32_e32 v5, v6, v5
	v_div_scale_f32 v6, vcc, v2, v3, v2
	v_mul_f32_e32 v7, v6, v5
	v_fma_f32 v8, -v4, v7, v6
	v_fmac_f32_e32 v7, v8, v5
	v_fma_f32 v4, -v4, v7, v6
	v_div_fmas_f32 v4, v4, v5, v7
	v_div_fixup_f32 v2, v4, v3, v2
	v_mov_b32_e32 v3, s13
	v_mov_b32_e32 v4, s12
	v_cndmask_b32_e64 v3, v3, v4, s[8:9]
	v_add_f32_e32 v2, v3, v2
	v_mul_f32_e32 v3, 0x4b800000, v2
	v_cmp_gt_f32_e32 vcc, s7, v2
	v_cndmask_b32_e32 v2, v2, v3, vcc
	v_rsq_f32_e32 v2, v2
	s_waitcnt vmcnt(0)
	v_cvt_f32_u32_sdwa v23, v72 dst_sel:DWORD dst_unused:UNUSED_PAD src0_sel:WORD_1
	v_cvt_f32_u32_sdwa v22, v72 dst_sel:DWORD dst_unused:UNUSED_PAD src0_sel:WORD_0
	v_mul_f32_e32 v3, 0x45800000, v2
	v_cndmask_b32_e32 v2, v2, v3, vcc
	v_mov_b32_e32 v3, v2
	;;#ASMSTART
	v_pk_mul_f32 v[4:5], v[52:53], v[2:3]
	;;#ASMEND
	;;#ASMSTART
	v_pk_mul_f32 v[6:7], v[34:35], v[2:3]
	;;#ASMEND
	;; [unrolled: 3-line block ×9, first 2 shown]
	v_cvt_f32_u32_sdwa v5, v75 dst_sel:DWORD dst_unused:UNUSED_PAD src0_sel:WORD_1
	v_cvt_f32_u32_sdwa v4, v75 dst_sel:DWORD dst_unused:UNUSED_PAD src0_sel:WORD_0
	v_cvt_f32_u32_sdwa v17, v76 dst_sel:DWORD dst_unused:UNUSED_PAD src0_sel:WORD_1
	v_cvt_f32_u32_sdwa v16, v76 dst_sel:DWORD dst_unused:UNUSED_PAD src0_sel:WORD_0
	v_cvt_f32_u32_sdwa v25, v73 dst_sel:DWORD dst_unused:UNUSED_PAD src0_sel:WORD_1
	v_pk_add_f32 v[4:5], v[4:5], 1.0 op_sel_hi:[1,0]
	;;#ASMSTART
	v_pk_mul_f32 v[34:35], v[6:7], v[4:5]
	;;#ASMEND
	v_pk_add_f32 v[4:5], v[16:17], 1.0 op_sel_hi:[1,0]
	v_pk_add_f32 v[6:7], v[20:21], 1.0 op_sel_hi:[1,0]
	v_cvt_f32_u32_sdwa v17, v70 dst_sel:DWORD dst_unused:UNUSED_PAD src0_sel:WORD_1
	v_cvt_f32_u32_sdwa v16, v70 dst_sel:DWORD dst_unused:UNUSED_PAD src0_sel:WORD_0
	v_cvt_f32_u32_sdwa v21, v71 dst_sel:DWORD dst_unused:UNUSED_PAD src0_sel:WORD_1
	v_cvt_f32_u32_sdwa v20, v71 dst_sel:DWORD dst_unused:UNUSED_PAD src0_sel:WORD_0
	v_cvt_f32_u32_sdwa v24, v73 dst_sel:DWORD dst_unused:UNUSED_PAD src0_sel:WORD_0
	v_pk_add_f32 v[16:17], v[16:17], 1.0 op_sel_hi:[1,0]
	v_pk_add_f32 v[22:23], v[22:23], 1.0 op_sel_hi:[1,0]
	;; [unrolled: 1-line block ×4, first 2 shown]
	;;#ASMSTART
	v_pk_mul_f32 v[58:59], v[8:9], v[4:5]
	;;#ASMEND
	;;#ASMSTART
	v_pk_mul_f32 v[24:25], v[10:11], v[6:7]
	;;#ASMEND
	;; [unrolled: 3-line block ×6, first 2 shown]
	s_or_b64 exec, exec, s[22:23]
	s_mov_b64 s[8:9], -1
	s_and_b64 vcc, exec, s[10:11]
	s_cbranch_vccz .LBB626_15
.LBB626_19:
	s_and_saveexec_b64 s[8:9], s[0:1]
	s_cbranch_execz .LBB626_21
; %bb.20:
	s_mul_hi_i32 s11, s34, s6
	s_mul_i32 s10, s34, s6
	s_lshl_b64 s[10:11], s[10:11], 1
	s_add_u32 s28, s38, s10
	s_addc_u32 s7, s39, s11
	s_and_b32 s29, s7, 0xffff
	s_mov_b32 s7, 0x7060302
	s_mov_b32 s31, 0x20000
	v_perm_b32 v5, v25, v24, s7
	v_perm_b32 v4, v59, v58, s7
	;; [unrolled: 1-line block ×4, first 2 shown]
	v_lshlrev_b32_e32 v6, 5, v0
	buffer_store_dwordx4 v[2:5], v6, s[28:31], 0 offen
	;;#ASMSTART
	s_nop 0
	;;#ASMEND
	s_nop 0
	v_perm_b32 v5, v87, v86, s7
	v_perm_b32 v4, v15, v14, s7
	v_perm_b32 v3, v19, v18, s7
	v_perm_b32 v2, v45, v44, s7
	buffer_store_dwordx4 v[2:5], v6, s[28:31], 16 offen
	;;#ASMSTART
	s_nop 0
	;;#ASMEND
.LBB626_21:
	s_or_b64 exec, exec, s[8:9]
	s_cbranch_execnz .LBB626_16
.LBB626_22:
	v_mov_b32_e32 v2, 0
	s_and_saveexec_b64 s[8:9], s[0:1]
	s_cbranch_execz .LBB626_24
; %bb.23:
	v_and_b32_e32 v2, 0x7fffffff, v52
	v_and_b32_e32 v3, 0x7fffffff, v53
	v_mov_b32_e32 v4, 0x2edbe6ff
	;;#ASMSTART
	v_max3_f32 v2, v4, v2, v3

	;;#ASMEND
	v_and_b32_e32 v3, 0x7fffffff, v34
	v_and_b32_e32 v4, 0x7fffffff, v35
	;;#ASMSTART
	v_max3_f32 v2, v2, v3, v4

	;;#ASMEND
	v_and_b32_e32 v3, 0x7fffffff, v58
	v_and_b32_e32 v4, 0x7fffffff, v59
	;; [unrolled: 6-line block ×7, first 2 shown]
	;;#ASMSTART
	v_max3_f32 v2, v2, v3, v4

	;;#ASMEND
.LBB626_24:
	s_or_b64 exec, exec, s[8:9]
	;;#ASMSTART
	v_max_f32 v3, v2, v2 quad_perm:[1,0,3,2] row_mask:0xf bank_mask:0xf bound_ctrl:1
	;;#ASMEND
	;;#ASMSTART
	v_max_f32 v2, v3, v3 quad_perm:[2,3,0,1] row_mask:0xf bank_mask:0xf bound_ctrl:1
	;;#ASMEND
	;;#ASMSTART
	v_max_f32 v3, v2, v2 row_half_mirror row_mask:0xf bank_mask:0xf bound_ctrl:1
	;;#ASMEND
	v_mul_f32_e32 v2, 0x3b124925, v3
	v_and_b32_e32 v3, 7, v0
	v_cmp_eq_u32_e32 vcc, 0, v3
	v_cmp_gt_i32_e64 s[8:9], s15, v1
	s_and_b64 s[10:11], vcc, s[8:9]
	s_and_saveexec_b64 s[8:9], s[10:11]
	s_cbranch_execz .LBB626_26
; %bb.25:
	s_load_dwordx2 s[10:11], s[4:5], 0x8
	s_mul_hi_i32 s23, s25, s6
	s_mul_i32 s22, s25, s6
	v_lshrrev_b32_e32 v3, 3, v0
	s_lshl_b64 s[22:23], s[22:23], 2
	v_mad_i64_i32 v[4:5], s[26:27], s26, v3, 0
	s_waitcnt lgkmcnt(0)
	s_add_u32 s7, s10, s22
	s_addc_u32 s10, s11, s23
	v_lshlrev_b64 v[4:5], 2, v[4:5]
	v_mov_b32_e32 v3, s10
	v_add_co_u32_e32 v4, vcc, s7, v4
	v_addc_co_u32_e32 v5, vcc, v3, v5, vcc
	global_store_dword v[4:5], v2, off
.LBB626_26:
	s_or_b64 exec, exec, s[8:9]
	;;#ASMSTART
	v_rcp_f32 v2, v2
	;;#ASMEND
	s_and_saveexec_b64 s[22:23], s[0:1]
	s_cbranch_execz .LBB626_28
; %bb.27:
	v_mov_b32_e32 v3, v2
	;;#ASMSTART
	v_pk_mul_f32 v[4:5], v[52:53], v[2:3]
	;;#ASMEND
	v_mov_b32_e32 v10, 0xc3e00000
	v_mov_b32_e32 v11, 0x43e00000
	;;#ASMSTART
	v_med3_f32 v4, v4, v10, v11
v_med3_f32 v5, v5, v10, v11
v_cvt_pk_fp8_f32 v6, v4, v5
	;;#ASMEND
	;;#ASMSTART
	v_pk_mul_f32 v[4:5], v[34:35], v[2:3]
	;;#ASMEND
	;;#ASMSTART
	v_med3_f32 v4, v4, v10, v11
v_med3_f32 v5, v5, v10, v11
v_cvt_pk_fp8_f32 v7, v4, v5
	;;#ASMEND
	;;#ASMSTART
	v_pk_mul_f32 v[4:5], v[58:59], v[2:3]
	;;#ASMEND
	;;#ASMSTART
	v_med3_f32 v4, v4, v10, v11
v_med3_f32 v5, v5, v10, v11
v_cvt_pk_fp8_f32 v8, v4, v5
	;;#ASMEND
	;;#ASMSTART
	v_pk_mul_f32 v[4:5], v[24:25], v[2:3]
	;;#ASMEND
	;;#ASMSTART
	v_med3_f32 v4, v4, v10, v11
v_med3_f32 v5, v5, v10, v11
v_cvt_pk_fp8_f32 v9, v4, v5
	;;#ASMEND
	s_mov_b32 s0, 0x5040100
	v_perm_b32 v4, v7, v6, s0
	s_mov_b32 s0, 0x1060504
	v_perm_b32 v4, v4, v7, s0
	s_load_dwordx2 s[0:1], s[4:5], 0x0
	s_mov_b32 s7, 0x1000504
	;;#ASMSTART
	v_pk_mul_f32 v[6:7], v[44:45], v[2:3]
	;;#ASMEND
	v_perm_b32 v5, v8, v9, s7
	s_mul_i32 s8, s24, s6
	;;#ASMSTART
	v_med3_f32 v6, v6, v10, v11
v_med3_f32 v7, v7, v10, v11
v_cvt_pk_fp8_f32 v8, v6, v7
	;;#ASMEND
	s_mul_hi_i32 s9, s24, s6
	s_waitcnt lgkmcnt(0)
	s_add_u32 s8, s0, s8
	;;#ASMSTART
	v_pk_mul_f32 v[6:7], v[18:19], v[2:3]
	;;#ASMEND
	s_addc_u32 s0, s1, s9
	s_add_i32 s1, s15, 3
	;;#ASMSTART
	v_med3_f32 v6, v6, v10, v11
v_med3_f32 v7, v7, v10, v11
v_cvt_pk_fp8_f32 v9, v6, v7
	;;#ASMEND
	s_ashr_i32 s9, s1, 31
	v_perm_b32 v6, v8, v9, s7
	;;#ASMSTART
	v_pk_mul_f32 v[8:9], v[14:15], v[2:3]
	;;#ASMEND
	v_mov_b32_e32 v7, v9
	s_lshr_b32 s9, s9, 30
	;;#ASMSTART
	v_med3_f32 v8, v8, v10, v11
v_med3_f32 v7, v7, v10, v11
v_cvt_pk_fp8_f32 v9, v8, v7
	;;#ASMEND
	;;#ASMSTART
	v_pk_mul_f32 v[2:3], v[86:87], v[2:3]
	;;#ASMEND
	s_add_i32 s1, s1, s9
	;;#ASMSTART
	v_med3_f32 v2, v2, v10, v11
v_med3_f32 v3, v3, v10, v11
v_cvt_pk_fp8_f32 v7, v2, v3
	;;#ASMEND
	s_and_b32 s10, s1, -4
	s_and_b32 s9, s0, 0xffff
	s_mov_b32 s11, 0x20000
	v_perm_b32 v7, v9, v7, s7
	buffer_store_dwordx4 v[4:7], v1, s[8:11], 0 offen
	;;#ASMSTART
	s_nop 0
	;;#ASMEND
.LBB626_28:
	s_or_b64 exec, exec, s[22:23]
	s_cmp_lt_i32 s16, 1
	s_cbranch_scc1 .LBB626_17
.LBB626_29:
	s_load_dword s0, s[4:5], 0x94
	s_waitcnt lgkmcnt(0)
	s_cmp_lg_u32 s0, 1
	s_cbranch_scc1 .LBB626_17
; %bb.30:
	s_lshl_b32 s0, s16, 1
	s_add_i32 s0, s0, 2
	v_cmp_gt_u32_e32 vcc, s16, v1
	s_and_b32 s22, s0, -4
	v_mov_b32_e32 v18, 0
	v_lshlrev_b32_e32 v1, 5, v0
	v_mov_b32_e32 v14, 0
	v_mov_b32_e32 v15, 0
	;; [unrolled: 1-line block ×16, first 2 shown]
	s_barrier
	s_and_saveexec_b64 s[0:1], vcc
	s_cbranch_execz .LBB626_32
; %bb.31:
	s_mul_hi_i32 s5, s18, s6
	s_mul_i32 s4, s18, s6
	s_and_b32 s21, s21, 0xffff
	s_lshl_b64 s[4:5], s[4:5], 1
	s_add_u32 s8, s36, s4
	s_mov_b32 s23, 0x20000
	s_addc_u32 s4, s37, s5
	s_and_b32 s9, s4, 0xffff
	s_mov_b32 s10, s22
	s_mov_b32 s11, s23
	buffer_load_dwordx4 v[14:17], v1, s[8:11], 0 offen
	buffer_load_dwordx4 v[10:13], v1, s[8:11], 16 offen
	;; [unrolled: 1-line block ×4, first 2 shown]
.LBB626_32:
	s_or_b64 exec, exec, s[0:1]
	v_mov_b32_e32 v19, 0
	v_mov_b32_e32 v32, 0
	;; [unrolled: 1-line block ×15, first 2 shown]
	s_and_saveexec_b64 s[0:1], vcc
	s_cbranch_execz .LBB626_34
; %bb.33:
	s_waitcnt vmcnt(3)
	v_cvt_f32_u32_sdwa v18, v14 dst_sel:DWORD dst_unused:UNUSED_PAD src0_sel:WORD_0
	v_cvt_f32_u32_sdwa v19, v14 dst_sel:DWORD dst_unused:UNUSED_PAD src0_sel:WORD_1
	v_cvt_f32_u32_sdwa v32, v15 dst_sel:DWORD dst_unused:UNUSED_PAD src0_sel:WORD_0
	v_cvt_f32_u32_sdwa v33, v15 dst_sel:DWORD dst_unused:UNUSED_PAD src0_sel:WORD_1
	v_cvt_f32_u32_sdwa v30, v16 dst_sel:DWORD dst_unused:UNUSED_PAD src0_sel:WORD_0
	v_cvt_f32_u32_sdwa v31, v16 dst_sel:DWORD dst_unused:UNUSED_PAD src0_sel:WORD_1
	v_cvt_f32_u32_sdwa v28, v17 dst_sel:DWORD dst_unused:UNUSED_PAD src0_sel:WORD_0
	v_cvt_f32_u32_sdwa v29, v17 dst_sel:DWORD dst_unused:UNUSED_PAD src0_sel:WORD_1
	s_waitcnt vmcnt(2)
	v_cvt_f32_u32_sdwa v26, v10 dst_sel:DWORD dst_unused:UNUSED_PAD src0_sel:WORD_0
	v_cvt_f32_u32_sdwa v27, v10 dst_sel:DWORD dst_unused:UNUSED_PAD src0_sel:WORD_1
	v_cvt_f32_u32_sdwa v24, v11 dst_sel:DWORD dst_unused:UNUSED_PAD src0_sel:WORD_0
	v_cvt_f32_u32_sdwa v25, v11 dst_sel:DWORD dst_unused:UNUSED_PAD src0_sel:WORD_1
	;; [unrolled: 2-line block ×4, first 2 shown]
.LBB626_34:
	s_or_b64 exec, exec, s[0:1]
	s_waitcnt vmcnt(2)
	v_mul_f32_e32 v10, v19, v19
	v_fmac_f32_e32 v10, v18, v18
	v_fmac_f32_e32 v10, v32, v32
	v_fmac_f32_e32 v10, v33, v33
	v_fmac_f32_e32 v10, v30, v30
	v_fmac_f32_e32 v10, v31, v31
	v_fmac_f32_e32 v10, v28, v28
	v_fmac_f32_e32 v10, v29, v29
	v_fmac_f32_e32 v10, v26, v26
	v_fmac_f32_e32 v10, v27, v27
	v_fmac_f32_e32 v10, v24, v24
	v_fmac_f32_e32 v10, v25, v25
	v_fmac_f32_e32 v10, v22, v22
	v_fmac_f32_e32 v10, v23, v23
	v_fmac_f32_e32 v10, v20, v20
	v_fmac_f32_e32 v10, v21, v21
	s_nop 1
	v_mov_b32_dpp v11, v10 quad_perm:[1,0,3,2] row_mask:0xf bank_mask:0xf
	v_add_f32_e32 v10, v10, v11
	s_nop 1
	v_mov_b32_dpp v11, v10 quad_perm:[2,3,0,1] row_mask:0xf bank_mask:0xf
	v_add_f32_e32 v10, v10, v11
	s_nop 1
	v_mov_b32_dpp v11, v10 row_half_mirror row_mask:0xf bank_mask:0xf
	v_add_f32_e32 v10, v10, v11
	s_nop 1
	v_mov_b32_dpp v11, v10 row_mirror row_mask:0xf bank_mask:0xf
	v_add_f32_e32 v10, v10, v11
	s_nop 1
	v_mov_b32_dpp v11, v10 row_bcast:15 row_mask:0xf bank_mask:0xf
	v_add_f32_e32 v10, v10, v11
	s_nop 1
	v_mov_b32_dpp v11, v10 row_bcast:31 row_mask:0xf bank_mask:0xf
	s_and_saveexec_b64 s[0:1], s[2:3]
	s_cbranch_execz .LBB626_36
; %bb.35:
	v_lshrrev_b32_e32 v0, 4, v0
	v_add_f32_e32 v10, v10, v11
	v_and_b32_e32 v0, 60, v0
	ds_write_b32 v0, v10
.LBB626_36:
	s_or_b64 exec, exec, s[0:1]
	s_waitcnt lgkmcnt(0)
	s_barrier
	ds_read_b32 v0, v36
	s_waitcnt lgkmcnt(0)
	s_nop 0
	v_mov_b32_dpp v10, v0 quad_perm:[1,0,3,2] row_mask:0xf bank_mask:0xf
	s_and_saveexec_b64 s[0:1], vcc
	s_cbranch_execz .LBB626_17
; %bb.37:
	v_cvt_f32_u32_e32 v11, s16
	v_add_f32_e32 v0, v0, v10
	s_mov_b32 s23, 0x20000
	v_div_scale_f32 v10, s[0:1], v11, v11, v0
	v_rcp_f32_e32 v12, v10
	v_div_scale_f32 v13, vcc, v0, v11, v0
	s_mov_b32 s0, 0x800000
	v_fma_f32 v14, -v10, v12, 1.0
	v_fmac_f32_e32 v12, v14, v12
	v_mul_f32_e32 v14, v13, v12
	v_fma_f32 v15, -v10, v14, v13
	v_fmac_f32_e32 v14, v15, v12
	v_fma_f32 v10, -v10, v14, v13
	v_div_fmas_f32 v10, v10, v12, v14
	v_div_fixup_f32 v0, v10, v11, v0
	v_add_f32_e32 v0, s13, v0
	v_mul_f32_e32 v10, 0x4b800000, v0
	v_cmp_gt_f32_e32 vcc, s0, v0
	v_cndmask_b32_e32 v0, v0, v10, vcc
	v_rsq_f32_e32 v0, v0
	s_mul_hi_i32 s1, s34, s6
	s_mul_i32 s0, s34, s6
	s_lshl_b64 s[0:1], s[0:1], 1
	v_mul_f32_e32 v10, 0x45800000, v0
	v_cndmask_b32_e32 v10, v0, v10, vcc
	v_mov_b32_e32 v11, v10
	;;#ASMSTART
	v_pk_mul_f32 v[12:13], v[18:19], v[10:11]
	;;#ASMEND
	;;#ASMSTART
	v_pk_mul_f32 v[14:15], v[32:33], v[10:11]
	;;#ASMEND
	;; [unrolled: 3-line block ×4, first 2 shown]
	s_waitcnt vmcnt(1)
	v_cvt_f32_u32_sdwa v29, v6 dst_sel:DWORD dst_unused:UNUSED_PAD src0_sel:WORD_1
	v_cvt_f32_u32_sdwa v28, v6 dst_sel:DWORD dst_unused:UNUSED_PAD src0_sel:WORD_0
	v_cvt_f32_u32_sdwa v31, v7 dst_sel:DWORD dst_unused:UNUSED_PAD src0_sel:WORD_1
	v_cvt_f32_u32_sdwa v30, v7 dst_sel:DWORD dst_unused:UNUSED_PAD src0_sel:WORD_0
	;;#ASMSTART
	v_pk_mul_f32 v[26:27], v[26:27], v[10:11]
	;;#ASMEND
	;;#ASMSTART
	v_pk_mul_f32 v[24:25], v[24:25], v[10:11]
	;;#ASMEND
	;;#ASMSTART
	v_pk_mul_f32 v[22:23], v[22:23], v[10:11]
	;;#ASMEND
	;;#ASMSTART
	v_pk_mul_f32 v[6:7], v[20:21], v[10:11]
	;;#ASMEND
	v_cvt_f32_u32_sdwa v21, v8 dst_sel:DWORD dst_unused:UNUSED_PAD src0_sel:WORD_1
	v_cvt_f32_u32_sdwa v20, v8 dst_sel:DWORD dst_unused:UNUSED_PAD src0_sel:WORD_0
	v_pk_add_f32 v[10:11], v[28:29], 1.0 op_sel_hi:[1,0]
	;;#ASMSTART
	v_pk_mul_f32 v[10:11], v[12:13], v[10:11]
	;;#ASMEND
	v_pk_add_f32 v[12:13], v[30:31], 1.0 op_sel_hi:[1,0]
	v_cvt_f32_u32_sdwa v29, v9 dst_sel:DWORD dst_unused:UNUSED_PAD src0_sel:WORD_1
	v_cvt_f32_u32_sdwa v28, v9 dst_sel:DWORD dst_unused:UNUSED_PAD src0_sel:WORD_0
	;;#ASMSTART
	v_pk_mul_f32 v[8:9], v[14:15], v[12:13]
	;;#ASMEND
	v_pk_add_f32 v[12:13], v[20:21], 1.0 op_sel_hi:[1,0]
	;;#ASMSTART
	v_pk_mul_f32 v[12:13], v[16:17], v[12:13]
	;;#ASMEND
	s_waitcnt vmcnt(0)
	v_cvt_f32_u32_sdwa v17, v2 dst_sel:DWORD dst_unused:UNUSED_PAD src0_sel:WORD_1
	v_cvt_f32_u32_sdwa v16, v2 dst_sel:DWORD dst_unused:UNUSED_PAD src0_sel:WORD_0
	v_cvt_f32_u32_sdwa v21, v3 dst_sel:DWORD dst_unused:UNUSED_PAD src0_sel:WORD_1
	v_cvt_f32_u32_sdwa v20, v3 dst_sel:DWORD dst_unused:UNUSED_PAD src0_sel:WORD_0
	v_pk_add_f32 v[14:15], v[28:29], 1.0 op_sel_hi:[1,0]
	;;#ASMSTART
	v_pk_mul_f32 v[14:15], v[18:19], v[14:15]
	;;#ASMEND
	v_pk_add_f32 v[2:3], v[16:17], 1.0 op_sel_hi:[1,0]
	v_cvt_f32_u32_sdwa v19, v4 dst_sel:DWORD dst_unused:UNUSED_PAD src0_sel:WORD_1
	v_cvt_f32_u32_sdwa v18, v4 dst_sel:DWORD dst_unused:UNUSED_PAD src0_sel:WORD_0
	;;#ASMSTART
	v_pk_mul_f32 v[16:17], v[26:27], v[2:3]
	;;#ASMEND
	v_pk_add_f32 v[2:3], v[20:21], 1.0 op_sel_hi:[1,0]
	v_cvt_f32_u32_sdwa v21, v5 dst_sel:DWORD dst_unused:UNUSED_PAD src0_sel:WORD_1
	v_cvt_f32_u32_sdwa v20, v5 dst_sel:DWORD dst_unused:UNUSED_PAD src0_sel:WORD_0
	s_add_u32 s20, s38, s0
	;;#ASMSTART
	v_pk_mul_f32 v[24:25], v[24:25], v[2:3]
	;;#ASMEND
	v_pk_add_f32 v[2:3], v[18:19], 1.0 op_sel_hi:[1,0]
	s_addc_u32 s0, s39, s1
	;;#ASMSTART
	v_pk_mul_f32 v[18:19], v[22:23], v[2:3]
	;;#ASMEND
	v_pk_add_f32 v[2:3], v[20:21], 1.0 op_sel_hi:[1,0]
	s_and_b32 s21, s0, 0xffff
	s_mov_b32 s0, 0x7060302
	;;#ASMSTART
	v_pk_mul_f32 v[6:7], v[6:7], v[2:3]
	;;#ASMEND
	v_perm_b32 v2, v11, v10, s0
	v_perm_b32 v3, v9, v8, s0
	;; [unrolled: 1-line block ×4, first 2 shown]
	buffer_store_dwordx4 v[2:5], v1, s[20:23], 0 offen
	;;#ASMSTART
	s_nop 0
	;;#ASMEND
	s_nop 0
	v_perm_b32 v2, v17, v16, s0
	v_perm_b32 v3, v25, v24, s0
	;; [unrolled: 1-line block ×4, first 2 shown]
	buffer_store_dwordx4 v[2:5], v1, s[20:23], 16 offen
	;;#ASMSTART
	s_nop 0
	;;#ASMEND
	s_endpgm
	.section	.rodata,"a",@progbits
	.p2align	6, 0x0
	.amdhsa_kernel _ZN5aiter35fused_qk_rmsnorm_group_quant_kernelItDB8_Li128ELi16ELi8ELb1ELb0ELb1ELb0ELb0ELb0EEEvPT0_PvPT_S6_S6_PKS5_S8_S8_S8_S8_ffiiiiiiiiiiiii
		.amdhsa_group_segment_fixed_size 16
		.amdhsa_private_segment_fixed_size 0
		.amdhsa_kernarg_size 400
		.amdhsa_user_sgpr_count 6
		.amdhsa_user_sgpr_private_segment_buffer 1
		.amdhsa_user_sgpr_dispatch_ptr 0
		.amdhsa_user_sgpr_queue_ptr 0
		.amdhsa_user_sgpr_kernarg_segment_ptr 1
		.amdhsa_user_sgpr_dispatch_id 0
		.amdhsa_user_sgpr_flat_scratch_init 0
		.amdhsa_user_sgpr_kernarg_preload_length 0
		.amdhsa_user_sgpr_kernarg_preload_offset 0
		.amdhsa_user_sgpr_private_segment_size 0
		.amdhsa_uses_dynamic_stack 0
		.amdhsa_system_sgpr_private_segment_wavefront_offset 0
		.amdhsa_system_sgpr_workgroup_id_x 1
		.amdhsa_system_sgpr_workgroup_id_y 1
		.amdhsa_system_sgpr_workgroup_id_z 0
		.amdhsa_system_sgpr_workgroup_info 0
		.amdhsa_system_vgpr_workitem_id 0
		.amdhsa_next_free_vgpr 88
		.amdhsa_next_free_sgpr 44
		.amdhsa_accum_offset 88
		.amdhsa_reserve_vcc 1
		.amdhsa_reserve_flat_scratch 0
		.amdhsa_float_round_mode_32 0
		.amdhsa_float_round_mode_16_64 0
		.amdhsa_float_denorm_mode_32 3
		.amdhsa_float_denorm_mode_16_64 3
		.amdhsa_dx10_clamp 1
		.amdhsa_ieee_mode 1
		.amdhsa_fp16_overflow 0
		.amdhsa_tg_split 0
		.amdhsa_exception_fp_ieee_invalid_op 0
		.amdhsa_exception_fp_denorm_src 0
		.amdhsa_exception_fp_ieee_div_zero 0
		.amdhsa_exception_fp_ieee_overflow 0
		.amdhsa_exception_fp_ieee_underflow 0
		.amdhsa_exception_fp_ieee_inexact 0
		.amdhsa_exception_int_div_zero 0
	.end_amdhsa_kernel
	.section	.text._ZN5aiter35fused_qk_rmsnorm_group_quant_kernelItDB8_Li128ELi16ELi8ELb1ELb0ELb1ELb0ELb0ELb0EEEvPT0_PvPT_S6_S6_PKS5_S8_S8_S8_S8_ffiiiiiiiiiiiii,"axG",@progbits,_ZN5aiter35fused_qk_rmsnorm_group_quant_kernelItDB8_Li128ELi16ELi8ELb1ELb0ELb1ELb0ELb0ELb0EEEvPT0_PvPT_S6_S6_PKS5_S8_S8_S8_S8_ffiiiiiiiiiiiii,comdat
.Lfunc_end626:
	.size	_ZN5aiter35fused_qk_rmsnorm_group_quant_kernelItDB8_Li128ELi16ELi8ELb1ELb0ELb1ELb0ELb0ELb0EEEvPT0_PvPT_S6_S6_PKS5_S8_S8_S8_S8_ffiiiiiiiiiiiii, .Lfunc_end626-_ZN5aiter35fused_qk_rmsnorm_group_quant_kernelItDB8_Li128ELi16ELi8ELb1ELb0ELb1ELb0ELb0ELb0EEEvPT0_PvPT_S6_S6_PKS5_S8_S8_S8_S8_ffiiiiiiiiiiiii
                                        ; -- End function
	.section	.AMDGPU.csdata,"",@progbits
; Kernel info:
; codeLenInByte = 4172
; NumSgprs: 48
; NumVgprs: 88
; NumAgprs: 0
; TotalNumVgprs: 88
; ScratchSize: 0
; MemoryBound: 0
; FloatMode: 240
; IeeeMode: 1
; LDSByteSize: 16 bytes/workgroup (compile time only)
; SGPRBlocks: 5
; VGPRBlocks: 10
; NumSGPRsForWavesPerEU: 48
; NumVGPRsForWavesPerEU: 88
; AccumOffset: 88
; Occupancy: 5
; WaveLimiterHint : 0
; COMPUTE_PGM_RSRC2:SCRATCH_EN: 0
; COMPUTE_PGM_RSRC2:USER_SGPR: 6
; COMPUTE_PGM_RSRC2:TRAP_HANDLER: 0
; COMPUTE_PGM_RSRC2:TGID_X_EN: 1
; COMPUTE_PGM_RSRC2:TGID_Y_EN: 1
; COMPUTE_PGM_RSRC2:TGID_Z_EN: 0
; COMPUTE_PGM_RSRC2:TIDIG_COMP_CNT: 0
; COMPUTE_PGM_RSRC3_GFX90A:ACCUM_OFFSET: 21
; COMPUTE_PGM_RSRC3_GFX90A:TG_SPLIT: 0
	.section	.text._ZN5aiter35fused_qk_rmsnorm_group_quant_kernelIDF16_N4opus5fp4_tELi128ELi16ELi8ELb1ELb0ELb1ELb0ELb0ELb0EEEvPT0_PvPT_S7_S7_PKS6_S9_S9_S9_S9_ffiiiiiiiiiiiii,"axG",@progbits,_ZN5aiter35fused_qk_rmsnorm_group_quant_kernelIDF16_N4opus5fp4_tELi128ELi16ELi8ELb1ELb0ELb1ELb0ELb0ELb0EEEvPT0_PvPT_S7_S7_PKS6_S9_S9_S9_S9_ffiiiiiiiiiiiii,comdat
	.protected	_ZN5aiter35fused_qk_rmsnorm_group_quant_kernelIDF16_N4opus5fp4_tELi128ELi16ELi8ELb1ELb0ELb1ELb0ELb0ELb0EEEvPT0_PvPT_S7_S7_PKS6_S9_S9_S9_S9_ffiiiiiiiiiiiii ; -- Begin function _ZN5aiter35fused_qk_rmsnorm_group_quant_kernelIDF16_N4opus5fp4_tELi128ELi16ELi8ELb1ELb0ELb1ELb0ELb0ELb0EEEvPT0_PvPT_S7_S7_PKS6_S9_S9_S9_S9_ffiiiiiiiiiiiii
	.globl	_ZN5aiter35fused_qk_rmsnorm_group_quant_kernelIDF16_N4opus5fp4_tELi128ELi16ELi8ELb1ELb0ELb1ELb0ELb0ELb0EEEvPT0_PvPT_S7_S7_PKS6_S9_S9_S9_S9_ffiiiiiiiiiiiii
	.p2align	8
	.type	_ZN5aiter35fused_qk_rmsnorm_group_quant_kernelIDF16_N4opus5fp4_tELi128ELi16ELi8ELb1ELb0ELb1ELb0ELb0ELb0EEEvPT0_PvPT_S7_S7_PKS6_S9_S9_S9_S9_ffiiiiiiiiiiiii,@function
_ZN5aiter35fused_qk_rmsnorm_group_quant_kernelIDF16_N4opus5fp4_tELi128ELi16ELi8ELb1ELb0ELb1ELb0ELb0ELb0EEEvPT0_PvPT_S7_S7_PKS6_S9_S9_S9_S9_ffiiiiiiiiiiiii: ; @_ZN5aiter35fused_qk_rmsnorm_group_quant_kernelIDF16_N4opus5fp4_tELi128ELi16ELi8ELb1ELb0ELb1ELb0ELb0ELb0EEEvPT0_PvPT_S7_S7_PKS6_S9_S9_S9_S9_ffiiiiiiiiiiiii
; %bb.0:
	s_load_dwordx8 s[12:19], s[4:5], 0x50
	s_waitcnt lgkmcnt(0)
	s_cmp_ge_i32 s6, s14
	s_cbranch_scc1 .LBB627_17
; %bb.1:
	s_cmp_lg_u32 s7, 0
	s_cselect_b64 s[22:23], -1, 0
	s_cmp_eq_u32 s7, 0
	s_cselect_b64 s[2:3], -1, 0
	s_and_b64 s[0:1], s[2:3], exec
	s_load_dwordx2 s[20:21], s[4:5], 0x48
	s_load_dwordx2 s[34:35], s[4:5], 0x30
	s_load_dwordx4 s[24:27], s[4:5], 0x70
	s_cselect_b32 s7, s15, s16
	s_add_i32 s0, s7, 1
	s_lshr_b32 s1, s0, 31
	s_add_i32 s0, s0, s1
	s_lshl_b32 s0, s0, 1
	v_lshlrev_b32_e32 v1, 4, v0
	s_and_b32 s30, s0, -4
	v_cmp_gt_i32_e64 s[0:1], s7, v1
	v_mov_b32_e32 v6, 0
	v_mov_b32_e32 v7, 0
	;; [unrolled: 1-line block ×16, first 2 shown]
	s_and_saveexec_b64 s[8:9], s[0:1]
	s_cbranch_execz .LBB627_3
; %bb.2:
	s_load_dwordx2 s[10:11], s[4:5], 0x28
	s_load_dwordx2 s[28:29], s[4:5], 0x40
	s_and_b64 s[36:37], s[2:3], exec
	s_cselect_b32 s14, s17, s18
	s_mov_b32 s31, 0x20000
	s_waitcnt lgkmcnt(0)
	s_cselect_b32 s17, s11, s35
	s_cselect_b32 s27, s10, s34
	s_mul_hi_i32 s11, s14, s6
	s_mul_i32 s10, s14, s6
	s_lshl_b64 s[10:11], s[10:11], 1
	s_add_u32 s36, s27, s10
	s_addc_u32 s14, s17, s11
	s_and_b64 s[10:11], s[2:3], exec
	s_cselect_b32 s28, s28, s20
	s_cselect_b32 s10, s29, s21
	s_and_b32 s37, s14, 0xffff
	s_mov_b32 s38, s30
	s_mov_b32 s39, s31
	v_lshlrev_b32_e32 v18, 5, v0
	s_and_b32 s29, s10, 0xffff
	buffer_load_dwordx4 v[10:13], v18, s[36:39], 0 offen
	buffer_load_dwordx4 v[14:17], v18, s[36:39], 16 offen
	;; [unrolled: 1-line block ×4, first 2 shown]
.LBB627_3:
	s_or_b64 exec, exec, s[8:9]
	s_load_dwordx2 s[10:11], s[4:5], 0x80
	s_and_b64 vcc, exec, s[22:23]
	s_cbranch_vccz .LBB627_7
; %bb.4:
	v_mov_b32_e32 v19, 0
	v_mov_b32_e32 v18, 0
	;; [unrolled: 1-line block ×16, first 2 shown]
	s_and_saveexec_b64 s[8:9], s[0:1]
	s_cbranch_execz .LBB627_6
; %bb.5:
	s_waitcnt vmcnt(3)
	v_cvt_f32_f16_sdwa v29, v10 dst_sel:DWORD dst_unused:UNUSED_PAD src0_sel:WORD_1
	v_cvt_f32_f16_e32 v28, v10
	v_cvt_f32_f16_sdwa v33, v11 dst_sel:DWORD dst_unused:UNUSED_PAD src0_sel:WORD_1
	v_cvt_f32_f16_e32 v32, v11
	;; [unrolled: 2-line block ×4, first 2 shown]
	s_waitcnt vmcnt(2)
	v_cvt_f32_f16_sdwa v23, v14 dst_sel:DWORD dst_unused:UNUSED_PAD src0_sel:WORD_1
	v_cvt_f32_f16_e32 v22, v14
	v_cvt_f32_f16_sdwa v25, v15 dst_sel:DWORD dst_unused:UNUSED_PAD src0_sel:WORD_1
	v_cvt_f32_f16_e32 v24, v15
	;; [unrolled: 2-line block ×4, first 2 shown]
.LBB627_6:
	s_or_b64 exec, exec, s[8:9]
	s_cbranch_execz .LBB627_8
	s_branch .LBB627_11
.LBB627_7:
                                        ; implicit-def: $vgpr19
                                        ; implicit-def: $vgpr21
                                        ; implicit-def: $vgpr25
                                        ; implicit-def: $vgpr23
                                        ; implicit-def: $vgpr31
                                        ; implicit-def: $vgpr27
                                        ; implicit-def: $vgpr33
                                        ; implicit-def: $vgpr29
.LBB627_8:
	v_mov_b32_e32 v19, 0
	v_mov_b32_e32 v18, 0
	;; [unrolled: 1-line block ×16, first 2 shown]
	s_and_saveexec_b64 s[8:9], s[0:1]
	s_cbranch_execz .LBB627_10
; %bb.9:
	s_load_dwordx2 s[28:29], s[4:5], 0x38
	s_mul_hi_i32 s37, s19, s6
	s_mul_i32 s36, s19, s6
	s_lshl_b64 s[36:37], s[36:37], 1
	s_mov_b32 s31, 0x20000
	s_waitcnt lgkmcnt(0)
	s_add_u32 s28, s28, s36
	s_addc_u32 s14, s29, s37
	s_and_b32 s29, s14, 0xffff
	v_lshlrev_b32_e32 v48, 5, v0
	buffer_load_dwordx4 v[18:21], v48, s[28:31], 16 offen
	buffer_load_dwordx4 v[22:25], v48, s[28:31], 0 offen
	s_waitcnt vmcnt(4)
	v_cvt_f32_f16_sdwa v27, v14 dst_sel:DWORD dst_unused:UNUSED_PAD src0_sel:WORD_1
	v_cvt_f32_f16_e32 v26, v14
	v_cvt_f32_f16_sdwa v29, v15 dst_sel:DWORD dst_unused:UNUSED_PAD src0_sel:WORD_1
	v_cvt_f32_f16_e32 v28, v15
	v_cvt_f32_f16_sdwa v15, v16 dst_sel:DWORD dst_unused:UNUSED_PAD src0_sel:WORD_1
	v_cvt_f32_f16_e32 v14, v16
	v_cvt_f32_f16_sdwa v31, v17 dst_sel:DWORD dst_unused:UNUSED_PAD src0_sel:WORD_1
	v_cvt_f32_f16_e32 v30, v17
	v_cvt_f32_f16_sdwa v17, v10 dst_sel:DWORD dst_unused:UNUSED_PAD src0_sel:WORD_1
	v_cvt_f32_f16_e32 v16, v10
	v_cvt_f32_f16_sdwa v33, v11 dst_sel:DWORD dst_unused:UNUSED_PAD src0_sel:WORD_1
	v_cvt_f32_f16_e32 v32, v11
	v_cvt_f32_f16_sdwa v11, v12 dst_sel:DWORD dst_unused:UNUSED_PAD src0_sel:WORD_1
	v_cvt_f32_f16_e32 v10, v12
	v_cvt_f32_f16_sdwa v35, v13 dst_sel:DWORD dst_unused:UNUSED_PAD src0_sel:WORD_1
	v_cvt_f32_f16_e32 v34, v13
	s_load_dwordx2 s[28:29], s[4:5], 0x20
	s_mul_hi_i32 s37, s11, s6
	s_mul_i32 s36, s11, s6
	s_lshl_b64 s[36:37], s[36:37], 1
	s_waitcnt lgkmcnt(0)
	s_add_u32 s28, s28, s36
	s_addc_u32 s11, s29, s37
	s_and_b32 s29, s11, 0xffff
	s_waitcnt vmcnt(1)
	v_cvt_f32_f16_e32 v12, v18
	v_cvt_f32_f16_sdwa v13, v18 dst_sel:DWORD dst_unused:UNUSED_PAD src0_sel:WORD_1
	v_cvt_f32_f16_e32 v18, v19
	v_cvt_f32_f16_sdwa v19, v19 dst_sel:DWORD dst_unused:UNUSED_PAD src0_sel:WORD_1
	;; [unrolled: 2-line block ×4, first 2 shown]
	s_waitcnt vmcnt(0)
	v_cvt_f32_f16_e32 v40, v22
	v_cvt_f32_f16_sdwa v41, v22 dst_sel:DWORD dst_unused:UNUSED_PAD src0_sel:WORD_1
	v_cvt_f32_f16_e32 v42, v23
	v_cvt_f32_f16_sdwa v43, v23 dst_sel:DWORD dst_unused:UNUSED_PAD src0_sel:WORD_1
	;; [unrolled: 2-line block ×4, first 2 shown]
	v_pk_add_f32 v[22:23], v[26:27], v[12:13]
	v_pk_add_f32 v[24:25], v[28:29], v[18:19]
	;; [unrolled: 1-line block ×8, first 2 shown]
	v_cvt_f16_f32_e32 v10, v29
	v_cvt_f16_f32_e32 v14, v28
	;; [unrolled: 1-line block ×16, first 2 shown]
	v_pack_b32_f16 v13, v17, v13
	v_pack_b32_f16 v12, v16, v12
	;; [unrolled: 1-line block ×8, first 2 shown]
	buffer_store_dwordx4 v[10:13], v48, s[28:31], 0 offen
	;;#ASMSTART
	s_nop 0
	;;#ASMEND
	buffer_store_dwordx4 v[14:17], v48, s[28:31], 16 offen
	;;#ASMSTART
	s_nop 0
	;;#ASMEND
.LBB627_10:
	s_or_b64 exec, exec, s[8:9]
.LBB627_11:
	s_waitcnt vmcnt(3)
	v_mul_f32_e32 v10, v29, v29
	v_fmac_f32_e32 v10, v28, v28
	v_fmac_f32_e32 v10, v32, v32
	;; [unrolled: 1-line block ×15, first 2 shown]
	v_and_b32_e32 v12, 63, v0
	v_cmp_eq_u32_e64 s[8:9], 63, v12
	v_mov_b32_dpp v11, v10 quad_perm:[1,0,3,2] row_mask:0xf bank_mask:0xf
	v_add_f32_e32 v10, v10, v11
	s_nop 1
	v_mov_b32_dpp v11, v10 quad_perm:[2,3,0,1] row_mask:0xf bank_mask:0xf
	v_add_f32_e32 v10, v10, v11
	s_nop 1
	v_mov_b32_dpp v11, v10 row_half_mirror row_mask:0xf bank_mask:0xf
	v_add_f32_e32 v10, v10, v11
	s_nop 1
	v_mov_b32_dpp v11, v10 row_mirror row_mask:0xf bank_mask:0xf
	v_add_f32_e32 v10, v10, v11
	s_nop 1
	v_mov_b32_dpp v11, v10 row_bcast:15 row_mask:0xf bank_mask:0xf
	v_add_f32_e32 v10, v10, v11
	s_nop 1
	v_mov_b32_dpp v11, v10 row_bcast:31 row_mask:0xf bank_mask:0xf
	s_and_saveexec_b64 s[28:29], s[8:9]
	s_cbranch_execz .LBB627_13
; %bb.12:
	v_add_f32_e32 v10, v10, v11
	v_lshrrev_b32_e32 v11, 4, v0
	v_and_b32_e32 v11, 60, v11
	ds_write_b32 v11, v10 offset:8
.LBB627_13:
	s_or_b64 exec, exec, s[28:29]
	v_and_b32_e32 v10, 1, v0
	v_lshlrev_b32_e32 v34, 2, v10
	s_waitcnt lgkmcnt(0)
	s_barrier
	ds_read_b32 v10, v34 offset:8
	s_load_dwordx2 s[36:37], s[4:5], 0x18
	s_waitcnt lgkmcnt(0)
	v_mov_b32_dpp v11, v10 quad_perm:[1,0,3,2] row_mask:0xf bank_mask:0xf
	s_and_saveexec_b64 s[28:29], s[0:1]
	s_cbranch_execnz .LBB627_18
; %bb.14:
	s_or_b64 exec, exec, s[28:29]
	s_mov_b64 s[2:3], -1
	s_and_b64 vcc, exec, s[22:23]
	s_cbranch_vccnz .LBB627_19
.LBB627_15:
	s_andn2_b64 vcc, exec, s[2:3]
	s_cbranch_vccz .LBB627_22
.LBB627_16:
	s_cmp_lt_i32 s16, 1
	s_cbranch_scc0 .LBB627_29
.LBB627_17:
	s_endpgm
.LBB627_18:
	v_cvt_f32_u32_e32 v12, s7
	v_add_f32_e32 v10, v10, v11
	s_waitcnt vmcnt(2)
	v_mov_b32_e32 v14, s13
	v_mov_b32_e32 v15, s12
	v_div_scale_f32 v11, s[38:39], v12, v12, v10
	v_rcp_f32_e32 v13, v11
	v_cndmask_b32_e64 v14, v14, v15, s[2:3]
	s_mov_b32 s2, 0x800000
	v_fma_f32 v15, -v11, v13, 1.0
	v_fmac_f32_e32 v13, v15, v13
	v_div_scale_f32 v15, vcc, v10, v12, v10
	v_mul_f32_e32 v16, v15, v13
	v_fma_f32 v17, -v11, v16, v15
	v_fmac_f32_e32 v16, v17, v13
	v_fma_f32 v11, -v11, v16, v15
	v_div_fmas_f32 v11, v11, v13, v16
	v_div_fixup_f32 v10, v11, v12, v10
	v_add_f32_e32 v10, v14, v10
	v_mul_f32_e32 v11, 0x4b800000, v10
	v_cmp_gt_f32_e32 vcc, s2, v10
	v_cndmask_b32_e32 v10, v10, v11, vcc
	v_rsq_f32_e32 v10, v10
	v_mul_f32_e32 v11, 0x45800000, v10
	v_cndmask_b32_e32 v10, v10, v11, vcc
	v_mov_b32_e32 v11, v10
	;;#ASMSTART
	v_pk_mul_f32 v[12:13], v[28:29], v[10:11]
	;;#ASMEND
	;;#ASMSTART
	v_pk_mul_f32 v[14:15], v[32:33], v[10:11]
	;;#ASMEND
	;; [unrolled: 3-line block ×3, first 2 shown]
	s_waitcnt vmcnt(1)
	v_cvt_f32_f16_sdwa v27, v6 dst_sel:DWORD dst_unused:UNUSED_PAD src0_sel:WORD_1
	v_cvt_f32_f16_e32 v26, v6
	v_cvt_f32_f16_sdwa v33, v7 dst_sel:DWORD dst_unused:UNUSED_PAD src0_sel:WORD_1
	v_cvt_f32_f16_e32 v32, v7
	;;#ASMSTART
	v_pk_mul_f32 v[30:31], v[30:31], v[10:11]
	;;#ASMEND
	;;#ASMSTART
	v_pk_mul_f32 v[22:23], v[22:23], v[10:11]
	;;#ASMEND
	;; [unrolled: 3-line block ×5, first 2 shown]
	v_pk_add_f32 v[10:11], v[26:27], 1.0 op_sel_hi:[1,0]
	;;#ASMSTART
	v_pk_mul_f32 v[28:29], v[12:13], v[10:11]
	;;#ASMEND
	v_cvt_f32_f16_sdwa v13, v8 dst_sel:DWORD dst_unused:UNUSED_PAD src0_sel:WORD_1
	v_cvt_f32_f16_e32 v12, v8
	v_cvt_f32_f16_sdwa v19, v9 dst_sel:DWORD dst_unused:UNUSED_PAD src0_sel:WORD_1
	v_cvt_f32_f16_e32 v18, v9
	v_pk_add_f32 v[10:11], v[32:33], 1.0 op_sel_hi:[1,0]
	;;#ASMSTART
	v_pk_mul_f32 v[32:33], v[14:15], v[10:11]
	;;#ASMEND
	s_waitcnt vmcnt(0)
	v_cvt_f32_f16_sdwa v11, v2 dst_sel:DWORD dst_unused:UNUSED_PAD src0_sel:WORD_1
	v_cvt_f32_f16_e32 v10, v2
	v_pk_add_f32 v[8:9], v[12:13], 1.0 op_sel_hi:[1,0]
	;;#ASMSTART
	v_pk_mul_f32 v[26:27], v[16:17], v[8:9]
	;;#ASMEND
	v_pk_add_f32 v[8:9], v[18:19], 1.0 op_sel_hi:[1,0]
	v_cvt_f32_f16_sdwa v13, v3 dst_sel:DWORD dst_unused:UNUSED_PAD src0_sel:WORD_1
	v_cvt_f32_f16_e32 v12, v3
	;;#ASMSTART
	v_pk_mul_f32 v[30:31], v[30:31], v[8:9]
	;;#ASMEND
	v_cvt_f32_f16_sdwa v9, v4 dst_sel:DWORD dst_unused:UNUSED_PAD src0_sel:WORD_1
	v_cvt_f32_f16_e32 v8, v4
	v_pk_add_f32 v[2:3], v[10:11], 1.0 op_sel_hi:[1,0]
	v_cvt_f32_f16_sdwa v11, v5 dst_sel:DWORD dst_unused:UNUSED_PAD src0_sel:WORD_1
	v_cvt_f32_f16_e32 v10, v5
	;;#ASMSTART
	v_pk_mul_f32 v[22:23], v[22:23], v[2:3]
	;;#ASMEND
	v_pk_add_f32 v[2:3], v[12:13], 1.0 op_sel_hi:[1,0]
	;;#ASMSTART
	v_pk_mul_f32 v[24:25], v[24:25], v[2:3]
	;;#ASMEND
	v_pk_add_f32 v[2:3], v[8:9], 1.0 op_sel_hi:[1,0]
	;; [unrolled: 4-line block ×3, first 2 shown]
	;;#ASMSTART
	v_pk_mul_f32 v[18:19], v[6:7], v[2:3]
	;;#ASMEND
	s_or_b64 exec, exec, s[28:29]
	s_mov_b64 s[2:3], -1
	s_and_b64 vcc, exec, s[22:23]
	s_cbranch_vccz .LBB627_15
.LBB627_19:
	s_and_saveexec_b64 s[2:3], s[0:1]
	s_cbranch_execz .LBB627_21
; %bb.20:
	s_mul_hi_i32 s23, s10, s6
	s_mul_i32 s22, s10, s6
	s_waitcnt vmcnt(0)
	v_cvt_f16_f32_e32 v2, v28
	v_cvt_f16_f32_e32 v3, v32
	;; [unrolled: 1-line block ×8, first 2 shown]
	s_lshl_b64 s[22:23], s[22:23], 1
	s_add_u32 s28, s36, s22
	s_addc_u32 s7, s37, s23
	s_and_b32 s29, s7, 0xffff
	s_mov_b32 s31, 0x20000
	v_pack_b32_f16 v5, v5, v6
	v_pack_b32_f16 v4, v4, v7
	;; [unrolled: 1-line block ×4, first 2 shown]
	v_lshlrev_b32_e32 v6, 5, v0
	buffer_store_dwordx4 v[2:5], v6, s[28:31], 0 offen
	v_cvt_f16_f32_e32 v7, v19
	v_cvt_f16_f32_e32 v2, v22
	;; [unrolled: 1-line block ×8, first 2 shown]
	v_pack_b32_f16 v5, v5, v7
	v_pack_b32_f16 v4, v4, v8
	;; [unrolled: 1-line block ×4, first 2 shown]
	;;#ASMSTART
	s_nop 0
	;;#ASMEND
	buffer_store_dwordx4 v[2:5], v6, s[28:31], 16 offen
	;;#ASMSTART
	s_nop 0
	;;#ASMEND
.LBB627_21:
	s_or_b64 exec, exec, s[2:3]
	s_cbranch_execnz .LBB627_16
.LBB627_22:
	s_waitcnt vmcnt(0)
	v_mov_b32_e32 v2, 0
	s_and_saveexec_b64 s[2:3], s[0:1]
	s_cbranch_execz .LBB627_24
; %bb.23:
	v_and_b32_e32 v2, 0x7fffffff, v28
	v_and_b32_e32 v3, 0x7fffffff, v29
	v_mov_b32_e32 v4, 0x2edbe6ff
	;;#ASMSTART
	v_max3_f32 v2, v4, v2, v3

	;;#ASMEND
	v_and_b32_e32 v3, 0x7fffffff, v32
	v_and_b32_e32 v4, 0x7fffffff, v33
	;;#ASMSTART
	v_max3_f32 v2, v2, v3, v4

	;;#ASMEND
	v_and_b32_e32 v3, 0x7fffffff, v26
	v_and_b32_e32 v4, 0x7fffffff, v27
	;; [unrolled: 6-line block ×7, first 2 shown]
	;;#ASMSTART
	v_max3_f32 v2, v2, v3, v4

	;;#ASMEND
.LBB627_24:
	s_or_b64 exec, exec, s[2:3]
	;;#ASMSTART
	v_max_f32 v3, v2, v2 quad_perm:[1,0,3,2] row_mask:0xf bank_mask:0xf bound_ctrl:1
	;;#ASMEND
	;;#ASMSTART
	v_max_f32 v4, v3, v3 quad_perm:[2,3,0,1] row_mask:0xf bank_mask:0xf bound_ctrl:1
	;;#ASMEND
	v_and_b32_e32 v3, 7, v0
	v_cmp_eq_u32_e32 vcc, 0, v3
	v_cmp_gt_i32_e64 s[2:3], s15, v1
	s_and_b64 s[22:23], vcc, s[2:3]
	;;#ASMSTART
	v_max_f32 v2, v4, v4 row_half_mirror row_mask:0xf bank_mask:0xf bound_ctrl:1
	;;#ASMEND
	s_and_saveexec_b64 s[2:3], s[22:23]
	s_cbranch_execz .LBB627_26
; %bb.25:
	s_load_dwordx2 s[22:23], s[4:5], 0x8
	v_mul_f32_e32 v2, 0x3e2aaaab, v2
	v_lshrrev_b32_e32 v3, 23, v2
	v_and_b32_e32 v4, 0x7f800000, v2
	v_and_b32_e32 v2, 0x7fffff, v2
	v_cmp_ne_u32_e32 vcc, 0, v2
	s_mul_i32 s12, s25, s6
	s_mov_b32 s7, 0x7f800000
	v_addc_co_u32_e32 v2, vcc, 0, v3, vcc
	s_mul_hi_i32 s11, s25, s6
	s_waitcnt lgkmcnt(0)
	s_add_u32 s22, s22, s12
	v_cmp_ne_u32_e32 vcc, s7, v4
	s_addc_u32 s23, s23, s11
	v_lshrrev_b32_e32 v5, 3, v0
	v_cndmask_b32_e32 v4, -1, v2, vcc
	v_pk_mov_b32 v[2:3], s[22:23], s[22:23] op_sel:[0,1]
	v_mad_i64_i32 v[2:3], s[22:23], s26, v5, v[2:3]
	global_store_byte v[2:3], v4, off
.LBB627_26:
	s_or_b64 exec, exec, s[2:3]
	s_and_saveexec_b64 s[2:3], s[0:1]
	s_cbranch_execz .LBB627_28
; %bb.27:
	s_load_dwordx2 s[0:1], s[4:5], 0x0
	s_mul_i32 s11, s24, s6
	s_mul_hi_i32 s7, s24, s6
	v_mov_b32_e32 v2, 0
	v_lshlrev_b32_e32 v4, 3, v0
	s_waitcnt lgkmcnt(0)
	s_add_u32 s24, s0, s11
	s_addc_u32 s0, s1, s7
	s_lshr_b32 s1, s15, 31
	s_add_i32 s1, s15, s1
	s_ashr_i32 s1, s1, 1
	s_add_i32 s1, s1, 3
	s_ashr_i32 s7, s1, 31
	s_lshr_b32 s7, s7, 30
	s_add_i32 s1, s1, s7
	s_and_b32 s26, s1, -4
	s_and_b32 s25, s0, 0xffff
	s_mov_b32 s27, 0x20000
	v_mov_b32_e32 v3, v2
	buffer_store_dwordx2 v[2:3], v4, s[24:27], 0 offen
	;;#ASMSTART
	s_nop 0
	;;#ASMEND
.LBB627_28:
	s_or_b64 exec, exec, s[2:3]
	s_cmp_lt_i32 s16, 1
	s_cbranch_scc1 .LBB627_17
.LBB627_29:
	s_load_dword s0, s[4:5], 0x94
	s_waitcnt lgkmcnt(0)
	s_cmp_lg_u32 s0, 1
	s_cbranch_scc1 .LBB627_17
; %bb.30:
	s_lshl_b32 s0, s16, 1
	s_add_i32 s0, s0, 2
	v_cmp_gt_u32_e32 vcc, s16, v1
	s_and_b32 s22, s0, -4
	v_mov_b32_e32 v18, 0
	v_lshlrev_b32_e32 v1, 5, v0
	s_waitcnt vmcnt(2)
	v_mov_b32_e32 v14, 0
	v_mov_b32_e32 v15, 0
	;; [unrolled: 1-line block ×8, first 2 shown]
	s_waitcnt vmcnt(1)
	v_mov_b32_e32 v6, 0
	v_mov_b32_e32 v7, 0
	;; [unrolled: 1-line block ×4, first 2 shown]
	s_waitcnt vmcnt(0)
	v_mov_b32_e32 v2, 0
	v_mov_b32_e32 v3, 0
	;; [unrolled: 1-line block ×4, first 2 shown]
	s_barrier
	s_and_saveexec_b64 s[0:1], vcc
	s_cbranch_execz .LBB627_32
; %bb.31:
	s_mul_hi_i32 s3, s18, s6
	s_mul_i32 s2, s18, s6
	s_and_b32 s21, s21, 0xffff
	s_lshl_b64 s[2:3], s[2:3], 1
	s_add_u32 s24, s34, s2
	s_mov_b32 s23, 0x20000
	s_addc_u32 s2, s35, s3
	s_and_b32 s25, s2, 0xffff
	s_mov_b32 s26, s22
	s_mov_b32 s27, s23
	buffer_load_dwordx4 v[14:17], v1, s[24:27], 0 offen
	buffer_load_dwordx4 v[10:13], v1, s[24:27], 16 offen
	;; [unrolled: 1-line block ×4, first 2 shown]
.LBB627_32:
	s_or_b64 exec, exec, s[0:1]
	v_mov_b32_e32 v19, 0
	v_mov_b32_e32 v32, 0
	;; [unrolled: 1-line block ×15, first 2 shown]
	s_and_saveexec_b64 s[0:1], vcc
	s_cbranch_execz .LBB627_34
; %bb.33:
	s_waitcnt vmcnt(3)
	v_cvt_f32_f16_sdwa v19, v14 dst_sel:DWORD dst_unused:UNUSED_PAD src0_sel:WORD_1
	v_cvt_f32_f16_e32 v18, v14
	v_cvt_f32_f16_sdwa v33, v15 dst_sel:DWORD dst_unused:UNUSED_PAD src0_sel:WORD_1
	v_cvt_f32_f16_e32 v32, v15
	;; [unrolled: 2-line block ×4, first 2 shown]
	s_waitcnt vmcnt(2)
	v_cvt_f32_f16_sdwa v27, v10 dst_sel:DWORD dst_unused:UNUSED_PAD src0_sel:WORD_1
	v_cvt_f32_f16_e32 v26, v10
	v_cvt_f32_f16_sdwa v25, v11 dst_sel:DWORD dst_unused:UNUSED_PAD src0_sel:WORD_1
	v_cvt_f32_f16_e32 v24, v11
	;; [unrolled: 2-line block ×4, first 2 shown]
.LBB627_34:
	s_or_b64 exec, exec, s[0:1]
	s_waitcnt vmcnt(2)
	v_mul_f32_e32 v10, v19, v19
	v_fmac_f32_e32 v10, v18, v18
	v_fmac_f32_e32 v10, v32, v32
	;; [unrolled: 1-line block ×15, first 2 shown]
	s_nop 1
	v_mov_b32_dpp v11, v10 quad_perm:[1,0,3,2] row_mask:0xf bank_mask:0xf
	v_add_f32_e32 v10, v10, v11
	s_nop 1
	v_mov_b32_dpp v11, v10 quad_perm:[2,3,0,1] row_mask:0xf bank_mask:0xf
	v_add_f32_e32 v10, v10, v11
	s_nop 1
	v_mov_b32_dpp v11, v10 row_half_mirror row_mask:0xf bank_mask:0xf
	v_add_f32_e32 v10, v10, v11
	s_nop 1
	v_mov_b32_dpp v11, v10 row_mirror row_mask:0xf bank_mask:0xf
	v_add_f32_e32 v10, v10, v11
	s_nop 1
	v_mov_b32_dpp v11, v10 row_bcast:15 row_mask:0xf bank_mask:0xf
	v_add_f32_e32 v10, v10, v11
	s_nop 1
	v_mov_b32_dpp v11, v10 row_bcast:31 row_mask:0xf bank_mask:0xf
	s_and_saveexec_b64 s[0:1], s[8:9]
	s_cbranch_execz .LBB627_36
; %bb.35:
	v_lshrrev_b32_e32 v0, 4, v0
	v_add_f32_e32 v10, v10, v11
	v_and_b32_e32 v0, 60, v0
	ds_write_b32 v0, v10
.LBB627_36:
	s_or_b64 exec, exec, s[0:1]
	s_waitcnt lgkmcnt(0)
	s_barrier
	ds_read_b32 v0, v34
	s_waitcnt lgkmcnt(0)
	s_nop 0
	v_mov_b32_dpp v10, v0 quad_perm:[1,0,3,2] row_mask:0xf bank_mask:0xf
	s_and_saveexec_b64 s[0:1], vcc
	s_cbranch_execz .LBB627_17
; %bb.37:
	v_cvt_f32_u32_e32 v11, s16
	v_add_f32_e32 v0, v0, v10
	s_mov_b32 s23, 0x20000
	v_div_scale_f32 v10, s[0:1], v11, v11, v0
	v_rcp_f32_e32 v12, v10
	v_div_scale_f32 v13, vcc, v0, v11, v0
	s_mov_b32 s0, 0x800000
	v_fma_f32 v14, -v10, v12, 1.0
	v_fmac_f32_e32 v12, v14, v12
	v_mul_f32_e32 v14, v13, v12
	v_fma_f32 v15, -v10, v14, v13
	v_fmac_f32_e32 v14, v15, v12
	v_fma_f32 v10, -v10, v14, v13
	v_div_fmas_f32 v10, v10, v12, v14
	v_div_fixup_f32 v0, v10, v11, v0
	v_add_f32_e32 v0, s13, v0
	v_mul_f32_e32 v10, 0x4b800000, v0
	v_cmp_gt_f32_e32 vcc, s0, v0
	v_cndmask_b32_e32 v0, v0, v10, vcc
	v_rsq_f32_e32 v0, v0
	s_mul_hi_i32 s1, s10, s6
	s_mul_i32 s0, s10, s6
	s_lshl_b64 s[0:1], s[0:1], 1
	v_mul_f32_e32 v10, 0x45800000, v0
	v_cndmask_b32_e32 v10, v0, v10, vcc
	v_mov_b32_e32 v11, v10
	;;#ASMSTART
	v_pk_mul_f32 v[12:13], v[18:19], v[10:11]
	;;#ASMEND
	;;#ASMSTART
	v_pk_mul_f32 v[14:15], v[32:33], v[10:11]
	;;#ASMEND
	;; [unrolled: 3-line block ×4, first 2 shown]
	s_waitcnt vmcnt(1)
	v_cvt_f32_f16_sdwa v29, v6 dst_sel:DWORD dst_unused:UNUSED_PAD src0_sel:WORD_1
	v_cvt_f32_f16_e32 v28, v6
	v_cvt_f32_f16_sdwa v31, v7 dst_sel:DWORD dst_unused:UNUSED_PAD src0_sel:WORD_1
	v_cvt_f32_f16_e32 v30, v7
	;;#ASMSTART
	v_pk_mul_f32 v[26:27], v[26:27], v[10:11]
	;;#ASMEND
	;;#ASMSTART
	v_pk_mul_f32 v[24:25], v[24:25], v[10:11]
	;;#ASMEND
	;; [unrolled: 3-line block ×4, first 2 shown]
	v_cvt_f32_f16_sdwa v21, v8 dst_sel:DWORD dst_unused:UNUSED_PAD src0_sel:WORD_1
	v_cvt_f32_f16_e32 v20, v8
	v_pk_add_f32 v[10:11], v[28:29], 1.0 op_sel_hi:[1,0]
	;;#ASMSTART
	v_pk_mul_f32 v[10:11], v[12:13], v[10:11]
	;;#ASMEND
	v_pk_add_f32 v[12:13], v[30:31], 1.0 op_sel_hi:[1,0]
	v_cvt_f32_f16_sdwa v29, v9 dst_sel:DWORD dst_unused:UNUSED_PAD src0_sel:WORD_1
	v_cvt_f32_f16_e32 v28, v9
	;;#ASMSTART
	v_pk_mul_f32 v[8:9], v[14:15], v[12:13]
	;;#ASMEND
	v_pk_add_f32 v[12:13], v[20:21], 1.0 op_sel_hi:[1,0]
	;;#ASMSTART
	v_pk_mul_f32 v[12:13], v[16:17], v[12:13]
	;;#ASMEND
	s_waitcnt vmcnt(0)
	v_cvt_f32_f16_sdwa v17, v2 dst_sel:DWORD dst_unused:UNUSED_PAD src0_sel:WORD_1
	v_cvt_f32_f16_e32 v16, v2
	v_cvt_f32_f16_sdwa v21, v3 dst_sel:DWORD dst_unused:UNUSED_PAD src0_sel:WORD_1
	v_cvt_f32_f16_e32 v20, v3
	v_pk_add_f32 v[14:15], v[28:29], 1.0 op_sel_hi:[1,0]
	;;#ASMSTART
	v_pk_mul_f32 v[2:3], v[18:19], v[14:15]
	;;#ASMEND
	v_cvt_f32_f16_sdwa v19, v4 dst_sel:DWORD dst_unused:UNUSED_PAD src0_sel:WORD_1
	v_cvt_f32_f16_e32 v18, v4
	v_pk_add_f32 v[14:15], v[16:17], 1.0 op_sel_hi:[1,0]
	v_pk_add_f32 v[16:17], v[20:21], 1.0 op_sel_hi:[1,0]
	v_cvt_f32_f16_sdwa v21, v5 dst_sel:DWORD dst_unused:UNUSED_PAD src0_sel:WORD_1
	v_cvt_f32_f16_e32 v20, v5
	v_pk_add_f32 v[4:5], v[18:19], 1.0 op_sel_hi:[1,0]
	;;#ASMSTART
	v_pk_mul_f32 v[14:15], v[26:27], v[14:15]
	;;#ASMEND
	;;#ASMSTART
	v_pk_mul_f32 v[16:17], v[24:25], v[16:17]
	;;#ASMEND
	;; [unrolled: 3-line block ×3, first 2 shown]
	v_pk_add_f32 v[4:5], v[20:21], 1.0 op_sel_hi:[1,0]
	;;#ASMSTART
	v_pk_mul_f32 v[6:7], v[6:7], v[4:5]
	;;#ASMEND
	v_cvt_f16_f32_e32 v0, v10
	v_cvt_f16_f32_e32 v4, v11
	;; [unrolled: 1-line block ×8, first 2 shown]
	s_add_u32 s20, s36, s0
	s_addc_u32 s0, s37, s1
	s_and_b32 s21, s0, 0xffff
	v_pack_b32_f16 v2, v0, v4
	v_pack_b32_f16 v3, v5, v8
	;; [unrolled: 1-line block ×4, first 2 shown]
	buffer_store_dwordx4 v[2:5], v1, s[20:23], 0 offen
	v_cvt_f16_f32_e32 v0, v14
	v_cvt_f16_f32_e32 v2, v15
	;; [unrolled: 1-line block ×8, first 2 shown]
	v_pack_b32_f16 v2, v0, v2
	v_pack_b32_f16 v3, v3, v4
	;; [unrolled: 1-line block ×4, first 2 shown]
	;;#ASMSTART
	s_nop 0
	;;#ASMEND
	buffer_store_dwordx4 v[2:5], v1, s[20:23], 16 offen
	;;#ASMSTART
	s_nop 0
	;;#ASMEND
	s_endpgm
	.section	.rodata,"a",@progbits
	.p2align	6, 0x0
	.amdhsa_kernel _ZN5aiter35fused_qk_rmsnorm_group_quant_kernelIDF16_N4opus5fp4_tELi128ELi16ELi8ELb1ELb0ELb1ELb0ELb0ELb0EEEvPT0_PvPT_S7_S7_PKS6_S9_S9_S9_S9_ffiiiiiiiiiiiii
		.amdhsa_group_segment_fixed_size 16
		.amdhsa_private_segment_fixed_size 0
		.amdhsa_kernarg_size 400
		.amdhsa_user_sgpr_count 6
		.amdhsa_user_sgpr_private_segment_buffer 1
		.amdhsa_user_sgpr_dispatch_ptr 0
		.amdhsa_user_sgpr_queue_ptr 0
		.amdhsa_user_sgpr_kernarg_segment_ptr 1
		.amdhsa_user_sgpr_dispatch_id 0
		.amdhsa_user_sgpr_flat_scratch_init 0
		.amdhsa_user_sgpr_kernarg_preload_length 0
		.amdhsa_user_sgpr_kernarg_preload_offset 0
		.amdhsa_user_sgpr_private_segment_size 0
		.amdhsa_uses_dynamic_stack 0
		.amdhsa_system_sgpr_private_segment_wavefront_offset 0
		.amdhsa_system_sgpr_workgroup_id_x 1
		.amdhsa_system_sgpr_workgroup_id_y 1
		.amdhsa_system_sgpr_workgroup_id_z 0
		.amdhsa_system_sgpr_workgroup_info 0
		.amdhsa_system_vgpr_workitem_id 0
		.amdhsa_next_free_vgpr 49
		.amdhsa_next_free_sgpr 40
		.amdhsa_accum_offset 52
		.amdhsa_reserve_vcc 1
		.amdhsa_reserve_flat_scratch 0
		.amdhsa_float_round_mode_32 0
		.amdhsa_float_round_mode_16_64 0
		.amdhsa_float_denorm_mode_32 3
		.amdhsa_float_denorm_mode_16_64 3
		.amdhsa_dx10_clamp 1
		.amdhsa_ieee_mode 1
		.amdhsa_fp16_overflow 0
		.amdhsa_tg_split 0
		.amdhsa_exception_fp_ieee_invalid_op 0
		.amdhsa_exception_fp_denorm_src 0
		.amdhsa_exception_fp_ieee_div_zero 0
		.amdhsa_exception_fp_ieee_overflow 0
		.amdhsa_exception_fp_ieee_underflow 0
		.amdhsa_exception_fp_ieee_inexact 0
		.amdhsa_exception_int_div_zero 0
	.end_amdhsa_kernel
	.section	.text._ZN5aiter35fused_qk_rmsnorm_group_quant_kernelIDF16_N4opus5fp4_tELi128ELi16ELi8ELb1ELb0ELb1ELb0ELb0ELb0EEEvPT0_PvPT_S7_S7_PKS6_S9_S9_S9_S9_ffiiiiiiiiiiiii,"axG",@progbits,_ZN5aiter35fused_qk_rmsnorm_group_quant_kernelIDF16_N4opus5fp4_tELi128ELi16ELi8ELb1ELb0ELb1ELb0ELb0ELb0EEEvPT0_PvPT_S7_S7_PKS6_S9_S9_S9_S9_ffiiiiiiiiiiiii,comdat
.Lfunc_end627:
	.size	_ZN5aiter35fused_qk_rmsnorm_group_quant_kernelIDF16_N4opus5fp4_tELi128ELi16ELi8ELb1ELb0ELb1ELb0ELb0ELb0EEEvPT0_PvPT_S7_S7_PKS6_S9_S9_S9_S9_ffiiiiiiiiiiiii, .Lfunc_end627-_ZN5aiter35fused_qk_rmsnorm_group_quant_kernelIDF16_N4opus5fp4_tELi128ELi16ELi8ELb1ELb0ELb1ELb0ELb0ELb0EEEvPT0_PvPT_S7_S7_PKS6_S9_S9_S9_S9_ffiiiiiiiiiiiii
                                        ; -- End function
	.section	.AMDGPU.csdata,"",@progbits
; Kernel info:
; codeLenInByte = 3856
; NumSgprs: 44
; NumVgprs: 49
; NumAgprs: 0
; TotalNumVgprs: 49
; ScratchSize: 0
; MemoryBound: 0
; FloatMode: 240
; IeeeMode: 1
; LDSByteSize: 16 bytes/workgroup (compile time only)
; SGPRBlocks: 5
; VGPRBlocks: 6
; NumSGPRsForWavesPerEU: 44
; NumVGPRsForWavesPerEU: 49
; AccumOffset: 52
; Occupancy: 8
; WaveLimiterHint : 0
; COMPUTE_PGM_RSRC2:SCRATCH_EN: 0
; COMPUTE_PGM_RSRC2:USER_SGPR: 6
; COMPUTE_PGM_RSRC2:TRAP_HANDLER: 0
; COMPUTE_PGM_RSRC2:TGID_X_EN: 1
; COMPUTE_PGM_RSRC2:TGID_Y_EN: 1
; COMPUTE_PGM_RSRC2:TGID_Z_EN: 0
; COMPUTE_PGM_RSRC2:TIDIG_COMP_CNT: 0
; COMPUTE_PGM_RSRC3_GFX90A:ACCUM_OFFSET: 12
; COMPUTE_PGM_RSRC3_GFX90A:TG_SPLIT: 0
	.section	.text._ZN5aiter35fused_qk_rmsnorm_group_quant_kernelItN4opus5fp4_tELi128ELi16ELi8ELb1ELb0ELb1ELb0ELb0ELb0EEEvPT0_PvPT_S7_S7_PKS6_S9_S9_S9_S9_ffiiiiiiiiiiiii,"axG",@progbits,_ZN5aiter35fused_qk_rmsnorm_group_quant_kernelItN4opus5fp4_tELi128ELi16ELi8ELb1ELb0ELb1ELb0ELb0ELb0EEEvPT0_PvPT_S7_S7_PKS6_S9_S9_S9_S9_ffiiiiiiiiiiiii,comdat
	.protected	_ZN5aiter35fused_qk_rmsnorm_group_quant_kernelItN4opus5fp4_tELi128ELi16ELi8ELb1ELb0ELb1ELb0ELb0ELb0EEEvPT0_PvPT_S7_S7_PKS6_S9_S9_S9_S9_ffiiiiiiiiiiiii ; -- Begin function _ZN5aiter35fused_qk_rmsnorm_group_quant_kernelItN4opus5fp4_tELi128ELi16ELi8ELb1ELb0ELb1ELb0ELb0ELb0EEEvPT0_PvPT_S7_S7_PKS6_S9_S9_S9_S9_ffiiiiiiiiiiiii
	.globl	_ZN5aiter35fused_qk_rmsnorm_group_quant_kernelItN4opus5fp4_tELi128ELi16ELi8ELb1ELb0ELb1ELb0ELb0ELb0EEEvPT0_PvPT_S7_S7_PKS6_S9_S9_S9_S9_ffiiiiiiiiiiiii
	.p2align	8
	.type	_ZN5aiter35fused_qk_rmsnorm_group_quant_kernelItN4opus5fp4_tELi128ELi16ELi8ELb1ELb0ELb1ELb0ELb0ELb0EEEvPT0_PvPT_S7_S7_PKS6_S9_S9_S9_S9_ffiiiiiiiiiiiii,@function
_ZN5aiter35fused_qk_rmsnorm_group_quant_kernelItN4opus5fp4_tELi128ELi16ELi8ELb1ELb0ELb1ELb0ELb0ELb0EEEvPT0_PvPT_S7_S7_PKS6_S9_S9_S9_S9_ffiiiiiiiiiiiii: ; @_ZN5aiter35fused_qk_rmsnorm_group_quant_kernelItN4opus5fp4_tELi128ELi16ELi8ELb1ELb0ELb1ELb0ELb0ELb0EEEvPT0_PvPT_S7_S7_PKS6_S9_S9_S9_S9_ffiiiiiiiiiiiii
; %bb.0:
	s_load_dwordx8 s[12:19], s[4:5], 0x50
	s_waitcnt lgkmcnt(0)
	s_cmp_ge_i32 s6, s14
	s_cbranch_scc1 .LBB628_17
; %bb.1:
	s_cmp_lg_u32 s7, 0
	s_cselect_b64 s[22:23], -1, 0
	s_cmp_eq_u32 s7, 0
	s_cselect_b64 s[2:3], -1, 0
	s_and_b64 s[0:1], s[2:3], exec
	s_load_dwordx2 s[20:21], s[4:5], 0x48
	s_load_dwordx2 s[34:35], s[4:5], 0x30
	s_load_dwordx4 s[24:27], s[4:5], 0x70
	s_cselect_b32 s7, s15, s16
	s_add_i32 s0, s7, 1
	s_lshr_b32 s1, s0, 31
	s_add_i32 s0, s0, s1
	s_lshl_b32 s0, s0, 1
	v_lshlrev_b32_e32 v1, 4, v0
	s_and_b32 s30, s0, -4
	v_cmp_gt_i32_e64 s[0:1], s7, v1
	v_mov_b32_e32 v62, 0
	v_mov_b32_e32 v63, 0
	;; [unrolled: 1-line block ×16, first 2 shown]
	s_and_saveexec_b64 s[8:9], s[0:1]
	s_cbranch_execz .LBB628_3
; %bb.2:
	s_load_dwordx2 s[10:11], s[4:5], 0x28
	s_load_dwordx2 s[28:29], s[4:5], 0x40
	s_and_b64 s[36:37], s[2:3], exec
	s_cselect_b32 s14, s17, s18
	s_mov_b32 s31, 0x20000
	s_waitcnt lgkmcnt(0)
	s_cselect_b32 s17, s11, s35
	s_cselect_b32 s27, s10, s34
	s_mul_hi_i32 s11, s14, s6
	s_mul_i32 s10, s14, s6
	s_lshl_b64 s[10:11], s[10:11], 1
	s_add_u32 s36, s27, s10
	s_addc_u32 s14, s17, s11
	s_and_b64 s[10:11], s[2:3], exec
	s_cselect_b32 s28, s28, s20
	s_cselect_b32 s10, s29, s21
	s_and_b32 s37, s14, 0xffff
	s_mov_b32 s38, s30
	s_mov_b32 s39, s31
	v_lshlrev_b32_e32 v2, 5, v0
	s_and_b32 s29, s10, 0xffff
	buffer_load_dwordx4 v[66:69], v2, s[36:39], 0 offen
	buffer_load_dwordx4 v[70:73], v2, s[36:39], 16 offen
	;; [unrolled: 1-line block ×4, first 2 shown]
.LBB628_3:
	s_or_b64 exec, exec, s[8:9]
	s_load_dwordx2 s[10:11], s[4:5], 0x80
	s_and_b64 vcc, exec, s[22:23]
	s_cbranch_vccz .LBB628_7
; %bb.4:
	v_mov_b32_e32 v75, 0
	v_mov_b32_e32 v74, 0
	;; [unrolled: 1-line block ×16, first 2 shown]
	s_and_saveexec_b64 s[8:9], s[0:1]
	s_cbranch_execz .LBB628_6
; %bb.5:
	s_waitcnt vmcnt(3)
	v_cvt_f32_u32_sdwa v2, v66 dst_sel:DWORD dst_unused:UNUSED_PAD src0_sel:WORD_0
	v_cvt_f32_u32_sdwa v3, v66 dst_sel:DWORD dst_unused:UNUSED_PAD src0_sel:WORD_1
	v_cvt_f32_u32_sdwa v6, v67 dst_sel:DWORD dst_unused:UNUSED_PAD src0_sel:WORD_0
	v_cvt_f32_u32_sdwa v7, v67 dst_sel:DWORD dst_unused:UNUSED_PAD src0_sel:WORD_1
	;; [unrolled: 2-line block ×4, first 2 shown]
	s_waitcnt vmcnt(2)
	v_cvt_f32_u32_sdwa v50, v70 dst_sel:DWORD dst_unused:UNUSED_PAD src0_sel:WORD_0
	v_cvt_f32_u32_sdwa v51, v70 dst_sel:DWORD dst_unused:UNUSED_PAD src0_sel:WORD_1
	v_cvt_f32_u32_sdwa v24, v71 dst_sel:DWORD dst_unused:UNUSED_PAD src0_sel:WORD_0
	v_cvt_f32_u32_sdwa v25, v71 dst_sel:DWORD dst_unused:UNUSED_PAD src0_sel:WORD_1
	;; [unrolled: 2-line block ×4, first 2 shown]
.LBB628_6:
	s_or_b64 exec, exec, s[8:9]
	s_cbranch_execz .LBB628_8
	s_branch .LBB628_11
.LBB628_7:
                                        ; implicit-def: $vgpr2_vgpr3_vgpr4_vgpr5_vgpr6_vgpr7_vgpr8_vgpr9_vgpr10_vgpr11_vgpr12_vgpr13_vgpr14_vgpr15_vgpr16_vgpr17
                                        ; implicit-def: $vgpr36_vgpr37_vgpr38_vgpr39_vgpr40_vgpr41_vgpr42_vgpr43_vgpr44_vgpr45_vgpr46_vgpr47_vgpr48_vgpr49_vgpr50_vgpr51
                                        ; implicit-def: $vgpr4_vgpr5_vgpr6_vgpr7_vgpr8_vgpr9_vgpr10_vgpr11_vgpr12_vgpr13_vgpr14_vgpr15_vgpr16_vgpr17_vgpr18_vgpr19
                                        ; implicit-def: $vgpr24_vgpr25_vgpr26_vgpr27_vgpr28_vgpr29_vgpr30_vgpr31_vgpr32_vgpr33_vgpr34_vgpr35_vgpr36_vgpr37_vgpr38_vgpr39
                                        ; implicit-def: $vgpr75
                                        ; implicit-def: $vgpr42_vgpr43_vgpr44_vgpr45_vgpr46_vgpr47_vgpr48_vgpr49_vgpr50_vgpr51_vgpr52_vgpr53_vgpr54_vgpr55_vgpr56_vgpr57
                                        ; implicit-def: $vgpr14_vgpr15_vgpr16_vgpr17_vgpr18_vgpr19_vgpr20_vgpr21_vgpr22_vgpr23_vgpr24_vgpr25_vgpr26_vgpr27_vgpr28_vgpr29
                                        ; implicit-def: $vgpr8_vgpr9_vgpr10_vgpr11_vgpr12_vgpr13_vgpr14_vgpr15_vgpr16_vgpr17_vgpr18_vgpr19_vgpr20_vgpr21_vgpr22_vgpr23
.LBB628_8:
	v_mov_b32_e32 v75, 0
	v_mov_b32_e32 v74, 0
	;; [unrolled: 1-line block ×16, first 2 shown]
	s_and_saveexec_b64 s[8:9], s[0:1]
	s_cbranch_execz .LBB628_10
; %bb.9:
	s_load_dwordx2 s[28:29], s[4:5], 0x38
	s_mul_hi_i32 s37, s19, s6
	s_mul_i32 s36, s19, s6
	s_lshl_b64 s[36:37], s[36:37], 1
	s_mov_b32 s31, 0x20000
	s_waitcnt lgkmcnt(0)
	s_add_u32 s28, s28, s36
	s_addc_u32 s14, s29, s37
	s_and_b32 s29, s14, 0xffff
	v_lshlrev_b32_e32 v38, 5, v0
	buffer_load_dwordx4 v[6:9], v38, s[28:31], 16 offen
	buffer_load_dwordx4 v[10:13], v38, s[28:31], 0 offen
	s_load_dwordx2 s[28:29], s[4:5], 0x20
	s_waitcnt vmcnt(5)
	v_cvt_f32_u32_sdwa v3, v66 dst_sel:DWORD dst_unused:UNUSED_PAD src0_sel:WORD_1
	v_cvt_f32_u32_sdwa v2, v66 dst_sel:DWORD dst_unused:UNUSED_PAD src0_sel:WORD_0
	v_cvt_f32_u32_sdwa v21, v67 dst_sel:DWORD dst_unused:UNUSED_PAD src0_sel:WORD_1
	v_cvt_f32_u32_sdwa v20, v67 dst_sel:DWORD dst_unused:UNUSED_PAD src0_sel:WORD_0
	;; [unrolled: 2-line block ×4, first 2 shown]
	s_waitcnt vmcnt(4)
	v_cvt_f32_u32_sdwa v5, v70 dst_sel:DWORD dst_unused:UNUSED_PAD src0_sel:WORD_1
	v_cvt_f32_u32_sdwa v4, v70 dst_sel:DWORD dst_unused:UNUSED_PAD src0_sel:WORD_0
	v_cvt_f32_u32_sdwa v15, v71 dst_sel:DWORD dst_unused:UNUSED_PAD src0_sel:WORD_1
	v_cvt_f32_u32_sdwa v14, v71 dst_sel:DWORD dst_unused:UNUSED_PAD src0_sel:WORD_0
	;; [unrolled: 2-line block ×3, first 2 shown]
	v_cvt_f32_u32_sdwa v18, v73 dst_sel:DWORD dst_unused:UNUSED_PAD src0_sel:WORD_0
	v_cvt_f32_u32_sdwa v19, v73 dst_sel:DWORD dst_unused:UNUSED_PAD src0_sel:WORD_1
	s_mul_hi_i32 s37, s11, s6
	s_mul_i32 s36, s11, s6
	s_lshl_b64 s[36:37], s[36:37], 1
	s_waitcnt lgkmcnt(0)
	s_add_u32 s28, s28, s36
	s_mov_b32 s11, 0x7060302
	s_addc_u32 s14, s29, s37
	s_and_b32 s29, s14, 0xffff
	s_waitcnt vmcnt(1)
	v_cvt_f32_u32_sdwa v27, v6 dst_sel:DWORD dst_unused:UNUSED_PAD src0_sel:WORD_1
	v_cvt_f32_u32_sdwa v26, v6 dst_sel:DWORD dst_unused:UNUSED_PAD src0_sel:WORD_0
	v_cvt_f32_u32_sdwa v29, v7 dst_sel:DWORD dst_unused:UNUSED_PAD src0_sel:WORD_1
	v_cvt_f32_u32_sdwa v28, v7 dst_sel:DWORD dst_unused:UNUSED_PAD src0_sel:WORD_0
	;; [unrolled: 2-line block ×3, first 2 shown]
	v_cvt_f32_u32_sdwa v34, v9 dst_sel:DWORD dst_unused:UNUSED_PAD src0_sel:WORD_0
	v_cvt_f32_u32_sdwa v35, v9 dst_sel:DWORD dst_unused:UNUSED_PAD src0_sel:WORD_1
	s_waitcnt vmcnt(0)
	v_cvt_f32_u32_sdwa v37, v10 dst_sel:DWORD dst_unused:UNUSED_PAD src0_sel:WORD_1
	v_cvt_f32_u32_sdwa v36, v10 dst_sel:DWORD dst_unused:UNUSED_PAD src0_sel:WORD_0
	v_cvt_f32_u32_sdwa v7, v12 dst_sel:DWORD dst_unused:UNUSED_PAD src0_sel:WORD_1
	v_cvt_f32_u32_sdwa v6, v12 dst_sel:DWORD dst_unused:UNUSED_PAD src0_sel:WORD_0
	;; [unrolled: 2-line block ×4, first 2 shown]
	v_pk_add_f32 v[40:41], v[22:23], v[6:7]
	v_pk_add_f32 v[30:31], v[24:25], v[8:9]
	;; [unrolled: 1-line block ×4, first 2 shown]
	v_perm_b32 v11, v31, v30, s11
	v_perm_b32 v10, v41, v40, s11
	;; [unrolled: 1-line block ×4, first 2 shown]
	v_pk_add_f32 v[74:75], v[18:19], v[34:35]
	v_pk_add_f32 v[20:21], v[16:17], v[32:33]
	;; [unrolled: 1-line block ×4, first 2 shown]
	buffer_store_dwordx4 v[8:11], v38, s[28:31], 0 offen
	;;#ASMSTART
	s_nop 0
	;;#ASMEND
	s_nop 0
	v_perm_b32 v11, v75, v74, s11
	v_perm_b32 v10, v21, v20, s11
	;; [unrolled: 1-line block ×4, first 2 shown]
	buffer_store_dwordx4 v[8:11], v38, s[28:31], 16 offen
	;;#ASMSTART
	s_nop 0
	;;#ASMEND
.LBB628_10:
	s_or_b64 exec, exec, s[8:9]
.LBB628_11:
	v_mul_f32_e32 v4, v3, v3
	v_fmac_f32_e32 v4, v2, v2
	v_fmac_f32_e32 v4, v6, v6
	;; [unrolled: 1-line block ×15, first 2 shown]
	s_nop 1
	v_mov_b32_dpp v5, v4 quad_perm:[1,0,3,2] row_mask:0xf bank_mask:0xf
	v_add_f32_e32 v4, v4, v5
	s_nop 1
	v_mov_b32_dpp v5, v4 quad_perm:[2,3,0,1] row_mask:0xf bank_mask:0xf
	v_add_f32_e32 v4, v4, v5
	s_nop 1
	v_mov_b32_dpp v5, v4 row_half_mirror row_mask:0xf bank_mask:0xf
	v_add_f32_e32 v4, v4, v5
	s_nop 1
	v_mov_b32_dpp v5, v4 row_mirror row_mask:0xf bank_mask:0xf
	v_add_f32_e32 v4, v4, v5
	s_nop 1
	v_mov_b32_dpp v5, v4 row_bcast:15 row_mask:0xf bank_mask:0xf
	v_add_f32_e32 v4, v4, v5
	v_and_b32_e32 v5, 63, v0
	v_cmp_eq_u32_e64 s[8:9], 63, v5
	s_nop 0
	v_mov_b32_dpp v5, v4 row_bcast:31 row_mask:0xf bank_mask:0xf
	s_and_saveexec_b64 s[28:29], s[8:9]
	s_cbranch_execz .LBB628_13
; %bb.12:
	v_add_f32_e32 v4, v4, v5
	v_lshrrev_b32_e32 v5, 4, v0
	v_and_b32_e32 v5, 60, v5
	ds_write_b32 v5, v4 offset:8
.LBB628_13:
	s_or_b64 exec, exec, s[28:29]
	v_and_b32_e32 v4, 1, v0
	v_lshlrev_b32_e32 v34, 2, v4
	s_waitcnt lgkmcnt(0)
	s_barrier
	ds_read_b32 v4, v34 offset:8
	s_load_dwordx2 s[36:37], s[4:5], 0x18
	s_waitcnt lgkmcnt(0)
	v_mov_b32_dpp v5, v4 quad_perm:[1,0,3,2] row_mask:0xf bank_mask:0xf
	s_and_saveexec_b64 s[28:29], s[0:1]
	s_cbranch_execnz .LBB628_18
; %bb.14:
	s_or_b64 exec, exec, s[28:29]
	s_mov_b64 s[2:3], -1
	s_and_b64 vcc, exec, s[22:23]
	s_cbranch_vccnz .LBB628_19
.LBB628_15:
	s_andn2_b64 vcc, exec, s[2:3]
	s_cbranch_vccz .LBB628_22
.LBB628_16:
	s_cmp_lt_i32 s16, 1
	s_cbranch_scc0 .LBB628_29
.LBB628_17:
	s_endpgm
.LBB628_18:
	v_add_f32_e32 v4, v4, v5
	v_cvt_f32_u32_e32 v5, s7
	s_waitcnt vmcnt(1)
	v_cvt_f32_u32_sdwa v15, v62 dst_sel:DWORD dst_unused:UNUSED_PAD src0_sel:WORD_1
	v_cvt_f32_u32_sdwa v14, v62 dst_sel:DWORD dst_unused:UNUSED_PAD src0_sel:WORD_0
	v_cvt_f32_u32_sdwa v23, v65 dst_sel:DWORD dst_unused:UNUSED_PAD src0_sel:WORD_1
	v_div_scale_f32 v8, s[38:39], v5, v5, v4
	v_rcp_f32_e32 v9, v8
	v_pk_add_f32 v[14:15], v[14:15], 1.0 op_sel_hi:[1,0]
	v_cvt_f32_u32_sdwa v22, v65 dst_sel:DWORD dst_unused:UNUSED_PAD src0_sel:WORD_0
	s_waitcnt vmcnt(0)
	v_cvt_f32_u32_sdwa v27, v60 dst_sel:DWORD dst_unused:UNUSED_PAD src0_sel:WORD_1
	v_fma_f32 v10, -v8, v9, 1.0
	v_fmac_f32_e32 v9, v10, v9
	v_div_scale_f32 v10, vcc, v4, v5, v4
	v_mul_f32_e32 v11, v10, v9
	v_fma_f32 v12, -v8, v11, v10
	v_fmac_f32_e32 v11, v12, v9
	v_fma_f32 v8, -v8, v11, v10
	v_div_fmas_f32 v8, v8, v9, v11
	v_div_fixup_f32 v4, v8, v5, v4
	v_mov_b32_e32 v5, s13
	v_mov_b32_e32 v8, s12
	v_cndmask_b32_e64 v5, v5, v8, s[2:3]
	v_add_f32_e32 v4, v5, v4
	s_mov_b32 s2, 0x800000
	v_mul_f32_e32 v5, 0x4b800000, v4
	v_cmp_gt_f32_e32 vcc, s2, v4
	v_cndmask_b32_e32 v4, v4, v5, vcc
	v_rsq_f32_e32 v4, v4
	v_cvt_f32_u32_sdwa v26, v60 dst_sel:DWORD dst_unused:UNUSED_PAD src0_sel:WORD_0
	v_cvt_f32_u32_sdwa v29, v61 dst_sel:DWORD dst_unused:UNUSED_PAD src0_sel:WORD_1
	v_cvt_f32_u32_sdwa v28, v61 dst_sel:DWORD dst_unused:UNUSED_PAD src0_sel:WORD_0
	v_mul_f32_e32 v5, 0x45800000, v4
	v_cndmask_b32_e32 v4, v4, v5, vcc
	v_mov_b32_e32 v5, v4
	;;#ASMSTART
	v_pk_mul_f32 v[2:3], v[2:3], v[4:5]
	;;#ASMEND
	;;#ASMSTART
	v_pk_mul_f32 v[6:7], v[6:7], v[4:5]
	;;#ASMEND
	;; [unrolled: 3-line block ×9, first 2 shown]
	v_cvt_f32_u32_sdwa v15, v63 dst_sel:DWORD dst_unused:UNUSED_PAD src0_sel:WORD_1
	v_cvt_f32_u32_sdwa v14, v63 dst_sel:DWORD dst_unused:UNUSED_PAD src0_sel:WORD_0
	v_cvt_f32_u32_sdwa v21, v64 dst_sel:DWORD dst_unused:UNUSED_PAD src0_sel:WORD_1
	v_cvt_f32_u32_sdwa v20, v64 dst_sel:DWORD dst_unused:UNUSED_PAD src0_sel:WORD_0
	v_cvt_f32_u32_sdwa v25, v59 dst_sel:DWORD dst_unused:UNUSED_PAD src0_sel:WORD_1
	v_pk_add_f32 v[14:15], v[14:15], 1.0 op_sel_hi:[1,0]
	v_cvt_f32_u32_sdwa v24, v59 dst_sel:DWORD dst_unused:UNUSED_PAD src0_sel:WORD_0
	;;#ASMSTART
	v_pk_mul_f32 v[6:7], v[6:7], v[14:15]
	;;#ASMEND
	v_pk_add_f32 v[14:15], v[20:21], 1.0 op_sel_hi:[1,0]
	v_pk_add_f32 v[20:21], v[22:23], 1.0 op_sel_hi:[1,0]
	v_cvt_f32_u32_sdwa v23, v58 dst_sel:DWORD dst_unused:UNUSED_PAD src0_sel:WORD_1
	v_cvt_f32_u32_sdwa v22, v58 dst_sel:DWORD dst_unused:UNUSED_PAD src0_sel:WORD_0
	v_pk_add_f32 v[24:25], v[24:25], 1.0 op_sel_hi:[1,0]
	v_pk_add_f32 v[26:27], v[26:27], 1.0 op_sel_hi:[1,0]
	;; [unrolled: 1-line block ×4, first 2 shown]
	;;#ASMSTART
	v_pk_mul_f32 v[40:41], v[8:9], v[14:15]
	;;#ASMEND
	;;#ASMSTART
	v_pk_mul_f32 v[30:31], v[10:11], v[20:21]
	;;#ASMEND
	;;#ASMSTART
	v_pk_mul_f32 v[50:51], v[12:13], v[22:23]
	;;#ASMEND
	;;#ASMSTART
	v_pk_mul_f32 v[24:25], v[16:17], v[24:25]
	;;#ASMEND
	;;#ASMSTART
	v_pk_mul_f32 v[20:21], v[18:19], v[26:27]
	;;#ASMEND
	;;#ASMSTART
	v_pk_mul_f32 v[74:75], v[4:5], v[28:29]
	;;#ASMEND
	s_or_b64 exec, exec, s[28:29]
	s_mov_b64 s[2:3], -1
	s_and_b64 vcc, exec, s[22:23]
	s_cbranch_vccz .LBB628_15
.LBB628_19:
	s_and_saveexec_b64 s[2:3], s[0:1]
	s_cbranch_execz .LBB628_21
; %bb.20:
	s_mul_hi_i32 s23, s10, s6
	s_mul_i32 s22, s10, s6
	s_lshl_b64 s[22:23], s[22:23], 1
	s_add_u32 s28, s36, s22
	s_addc_u32 s7, s37, s23
	s_and_b32 s29, s7, 0xffff
	s_mov_b32 s7, 0x7060302
	s_mov_b32 s31, 0x20000
	v_perm_b32 v11, v31, v30, s7
	v_perm_b32 v10, v41, v40, s7
	;; [unrolled: 1-line block ×4, first 2 shown]
	v_lshlrev_b32_e32 v4, 5, v0
	buffer_store_dwordx4 v[8:11], v4, s[28:31], 0 offen
	;;#ASMSTART
	s_nop 0
	;;#ASMEND
	s_nop 0
	v_perm_b32 v11, v75, v74, s7
	v_perm_b32 v10, v21, v20, s7
	;; [unrolled: 1-line block ×4, first 2 shown]
	buffer_store_dwordx4 v[8:11], v4, s[28:31], 16 offen
	;;#ASMSTART
	s_nop 0
	;;#ASMEND
.LBB628_21:
	s_or_b64 exec, exec, s[2:3]
	s_cbranch_execnz .LBB628_16
.LBB628_22:
	v_mov_b32_e32 v4, 0
	s_and_saveexec_b64 s[2:3], s[0:1]
	s_cbranch_execz .LBB628_24
; %bb.23:
	v_and_b32_e32 v2, 0x7fffffff, v2
	v_and_b32_e32 v3, 0x7fffffff, v3
	v_mov_b32_e32 v10, 0x2edbe6ff
	;;#ASMSTART
	v_max3_f32 v2, v10, v2, v3

	;;#ASMEND
	v_and_b32_e32 v4, 0x7fffffff, v6
	v_and_b32_e32 v5, 0x7fffffff, v7
	;;#ASMSTART
	v_max3_f32 v2, v2, v4, v5

	;;#ASMEND
	v_and_b32_e32 v6, 0x7fffffff, v40
	v_and_b32_e32 v7, 0x7fffffff, v41
	;; [unrolled: 6-line block ×7, first 2 shown]
	;;#ASMSTART
	v_max3_f32 v4, v2, v3, v4

	;;#ASMEND
.LBB628_24:
	s_or_b64 exec, exec, s[2:3]
	;;#ASMSTART
	v_max_f32 v2, v4, v4 quad_perm:[1,0,3,2] row_mask:0xf bank_mask:0xf bound_ctrl:1
	;;#ASMEND
	;;#ASMSTART
	v_max_f32 v3, v2, v2 quad_perm:[2,3,0,1] row_mask:0xf bank_mask:0xf bound_ctrl:1
	;;#ASMEND
	;;#ASMSTART
	v_max_f32 v2, v3, v3 row_half_mirror row_mask:0xf bank_mask:0xf bound_ctrl:1
	;;#ASMEND
	v_and_b32_e32 v3, 7, v0
	v_cmp_eq_u32_e32 vcc, 0, v3
	v_cmp_gt_i32_e64 s[2:3], s15, v1
	s_and_b64 s[22:23], vcc, s[2:3]
	s_and_saveexec_b64 s[2:3], s[22:23]
	s_cbranch_execz .LBB628_26
; %bb.25:
	s_load_dwordx2 s[22:23], s[4:5], 0x8
	v_mul_f32_e32 v2, 0x3e2aaaab, v2
	v_lshrrev_b32_e32 v3, 23, v2
	v_and_b32_e32 v4, 0x7f800000, v2
	v_and_b32_e32 v2, 0x7fffff, v2
	v_cmp_ne_u32_e32 vcc, 0, v2
	s_mul_i32 s12, s25, s6
	s_mov_b32 s7, 0x7f800000
	v_addc_co_u32_e32 v2, vcc, 0, v3, vcc
	s_mul_hi_i32 s11, s25, s6
	s_waitcnt lgkmcnt(0)
	s_add_u32 s22, s22, s12
	v_cmp_ne_u32_e32 vcc, s7, v4
	s_addc_u32 s23, s23, s11
	v_lshrrev_b32_e32 v5, 3, v0
	v_cndmask_b32_e32 v4, -1, v2, vcc
	v_pk_mov_b32 v[2:3], s[22:23], s[22:23] op_sel:[0,1]
	v_mad_i64_i32 v[2:3], s[22:23], s26, v5, v[2:3]
	global_store_byte v[2:3], v4, off
.LBB628_26:
	s_or_b64 exec, exec, s[2:3]
	s_and_saveexec_b64 s[2:3], s[0:1]
	s_cbranch_execz .LBB628_28
; %bb.27:
	s_load_dwordx2 s[0:1], s[4:5], 0x0
	s_mul_i32 s11, s24, s6
	s_mul_hi_i32 s7, s24, s6
	v_mov_b32_e32 v2, 0
	v_lshlrev_b32_e32 v4, 3, v0
	s_waitcnt lgkmcnt(0)
	s_add_u32 s24, s0, s11
	s_addc_u32 s0, s1, s7
	s_lshr_b32 s1, s15, 31
	s_add_i32 s1, s15, s1
	s_ashr_i32 s1, s1, 1
	s_add_i32 s1, s1, 3
	s_ashr_i32 s7, s1, 31
	s_lshr_b32 s7, s7, 30
	s_add_i32 s1, s1, s7
	s_and_b32 s26, s1, -4
	s_and_b32 s25, s0, 0xffff
	s_mov_b32 s27, 0x20000
	v_mov_b32_e32 v3, v2
	buffer_store_dwordx2 v[2:3], v4, s[24:27], 0 offen
	;;#ASMSTART
	s_nop 0
	;;#ASMEND
.LBB628_28:
	s_or_b64 exec, exec, s[2:3]
	s_cmp_lt_i32 s16, 1
	s_cbranch_scc1 .LBB628_17
.LBB628_29:
	s_load_dword s0, s[4:5], 0x94
	s_waitcnt lgkmcnt(0)
	s_cmp_lg_u32 s0, 1
	s_cbranch_scc1 .LBB628_17
; %bb.30:
	s_lshl_b32 s0, s16, 1
	s_add_i32 s0, s0, 2
	v_cmp_gt_u32_e32 vcc, s16, v1
	s_and_b32 s22, s0, -4
	v_mov_b32_e32 v18, 0
	v_lshlrev_b32_e32 v1, 5, v0
	v_mov_b32_e32 v14, 0
	v_mov_b32_e32 v15, 0
	;; [unrolled: 1-line block ×16, first 2 shown]
	s_barrier
	s_and_saveexec_b64 s[0:1], vcc
	s_cbranch_execz .LBB628_32
; %bb.31:
	s_mul_hi_i32 s3, s18, s6
	s_mul_i32 s2, s18, s6
	s_and_b32 s21, s21, 0xffff
	s_lshl_b64 s[2:3], s[2:3], 1
	s_add_u32 s24, s34, s2
	s_mov_b32 s23, 0x20000
	s_addc_u32 s2, s35, s3
	s_and_b32 s25, s2, 0xffff
	s_mov_b32 s26, s22
	s_mov_b32 s27, s23
	buffer_load_dwordx4 v[14:17], v1, s[24:27], 0 offen
	buffer_load_dwordx4 v[10:13], v1, s[24:27], 16 offen
	;; [unrolled: 1-line block ×4, first 2 shown]
.LBB628_32:
	s_or_b64 exec, exec, s[0:1]
	v_mov_b32_e32 v19, 0
	v_mov_b32_e32 v32, 0
	;; [unrolled: 1-line block ×15, first 2 shown]
	s_and_saveexec_b64 s[0:1], vcc
	s_cbranch_execz .LBB628_34
; %bb.33:
	s_waitcnt vmcnt(3)
	v_cvt_f32_u32_sdwa v18, v14 dst_sel:DWORD dst_unused:UNUSED_PAD src0_sel:WORD_0
	v_cvt_f32_u32_sdwa v19, v14 dst_sel:DWORD dst_unused:UNUSED_PAD src0_sel:WORD_1
	v_cvt_f32_u32_sdwa v32, v15 dst_sel:DWORD dst_unused:UNUSED_PAD src0_sel:WORD_0
	v_cvt_f32_u32_sdwa v33, v15 dst_sel:DWORD dst_unused:UNUSED_PAD src0_sel:WORD_1
	;; [unrolled: 2-line block ×4, first 2 shown]
	s_waitcnt vmcnt(2)
	v_cvt_f32_u32_sdwa v26, v10 dst_sel:DWORD dst_unused:UNUSED_PAD src0_sel:WORD_0
	v_cvt_f32_u32_sdwa v27, v10 dst_sel:DWORD dst_unused:UNUSED_PAD src0_sel:WORD_1
	v_cvt_f32_u32_sdwa v24, v11 dst_sel:DWORD dst_unused:UNUSED_PAD src0_sel:WORD_0
	v_cvt_f32_u32_sdwa v25, v11 dst_sel:DWORD dst_unused:UNUSED_PAD src0_sel:WORD_1
	;; [unrolled: 2-line block ×4, first 2 shown]
.LBB628_34:
	s_or_b64 exec, exec, s[0:1]
	s_waitcnt vmcnt(2)
	v_mul_f32_e32 v10, v19, v19
	v_fmac_f32_e32 v10, v18, v18
	v_fmac_f32_e32 v10, v32, v32
	;; [unrolled: 1-line block ×15, first 2 shown]
	s_nop 1
	v_mov_b32_dpp v11, v10 quad_perm:[1,0,3,2] row_mask:0xf bank_mask:0xf
	v_add_f32_e32 v10, v10, v11
	s_nop 1
	v_mov_b32_dpp v11, v10 quad_perm:[2,3,0,1] row_mask:0xf bank_mask:0xf
	v_add_f32_e32 v10, v10, v11
	s_nop 1
	v_mov_b32_dpp v11, v10 row_half_mirror row_mask:0xf bank_mask:0xf
	v_add_f32_e32 v10, v10, v11
	s_nop 1
	v_mov_b32_dpp v11, v10 row_mirror row_mask:0xf bank_mask:0xf
	v_add_f32_e32 v10, v10, v11
	s_nop 1
	v_mov_b32_dpp v11, v10 row_bcast:15 row_mask:0xf bank_mask:0xf
	v_add_f32_e32 v10, v10, v11
	s_nop 1
	v_mov_b32_dpp v11, v10 row_bcast:31 row_mask:0xf bank_mask:0xf
	s_and_saveexec_b64 s[0:1], s[8:9]
	s_cbranch_execz .LBB628_36
; %bb.35:
	v_lshrrev_b32_e32 v0, 4, v0
	v_add_f32_e32 v10, v10, v11
	v_and_b32_e32 v0, 60, v0
	ds_write_b32 v0, v10
.LBB628_36:
	s_or_b64 exec, exec, s[0:1]
	s_waitcnt lgkmcnt(0)
	s_barrier
	ds_read_b32 v0, v34
	s_waitcnt lgkmcnt(0)
	s_nop 0
	v_mov_b32_dpp v10, v0 quad_perm:[1,0,3,2] row_mask:0xf bank_mask:0xf
	s_and_saveexec_b64 s[0:1], vcc
	s_cbranch_execz .LBB628_17
; %bb.37:
	v_cvt_f32_u32_e32 v11, s16
	v_add_f32_e32 v0, v0, v10
	s_mov_b32 s23, 0x20000
	v_div_scale_f32 v10, s[0:1], v11, v11, v0
	v_rcp_f32_e32 v12, v10
	v_div_scale_f32 v13, vcc, v0, v11, v0
	s_mov_b32 s0, 0x800000
	v_fma_f32 v14, -v10, v12, 1.0
	v_fmac_f32_e32 v12, v14, v12
	v_mul_f32_e32 v14, v13, v12
	v_fma_f32 v15, -v10, v14, v13
	v_fmac_f32_e32 v14, v15, v12
	v_fma_f32 v10, -v10, v14, v13
	v_div_fmas_f32 v10, v10, v12, v14
	v_div_fixup_f32 v0, v10, v11, v0
	v_add_f32_e32 v0, s13, v0
	v_mul_f32_e32 v10, 0x4b800000, v0
	v_cmp_gt_f32_e32 vcc, s0, v0
	v_cndmask_b32_e32 v0, v0, v10, vcc
	v_rsq_f32_e32 v0, v0
	s_mul_hi_i32 s1, s10, s6
	s_mul_i32 s0, s10, s6
	s_lshl_b64 s[0:1], s[0:1], 1
	v_mul_f32_e32 v10, 0x45800000, v0
	v_cndmask_b32_e32 v10, v0, v10, vcc
	v_mov_b32_e32 v11, v10
	;;#ASMSTART
	v_pk_mul_f32 v[12:13], v[18:19], v[10:11]
	;;#ASMEND
	;;#ASMSTART
	v_pk_mul_f32 v[14:15], v[32:33], v[10:11]
	;;#ASMEND
	;; [unrolled: 3-line block ×4, first 2 shown]
	s_waitcnt vmcnt(1)
	v_cvt_f32_u32_sdwa v29, v6 dst_sel:DWORD dst_unused:UNUSED_PAD src0_sel:WORD_1
	v_cvt_f32_u32_sdwa v28, v6 dst_sel:DWORD dst_unused:UNUSED_PAD src0_sel:WORD_0
	v_cvt_f32_u32_sdwa v31, v7 dst_sel:DWORD dst_unused:UNUSED_PAD src0_sel:WORD_1
	v_cvt_f32_u32_sdwa v30, v7 dst_sel:DWORD dst_unused:UNUSED_PAD src0_sel:WORD_0
	;;#ASMSTART
	v_pk_mul_f32 v[26:27], v[26:27], v[10:11]
	;;#ASMEND
	;;#ASMSTART
	v_pk_mul_f32 v[24:25], v[24:25], v[10:11]
	;;#ASMEND
	;; [unrolled: 3-line block ×4, first 2 shown]
	v_cvt_f32_u32_sdwa v21, v8 dst_sel:DWORD dst_unused:UNUSED_PAD src0_sel:WORD_1
	v_cvt_f32_u32_sdwa v20, v8 dst_sel:DWORD dst_unused:UNUSED_PAD src0_sel:WORD_0
	v_pk_add_f32 v[10:11], v[28:29], 1.0 op_sel_hi:[1,0]
	;;#ASMSTART
	v_pk_mul_f32 v[10:11], v[12:13], v[10:11]
	;;#ASMEND
	v_pk_add_f32 v[12:13], v[30:31], 1.0 op_sel_hi:[1,0]
	v_cvt_f32_u32_sdwa v29, v9 dst_sel:DWORD dst_unused:UNUSED_PAD src0_sel:WORD_1
	v_cvt_f32_u32_sdwa v28, v9 dst_sel:DWORD dst_unused:UNUSED_PAD src0_sel:WORD_0
	;;#ASMSTART
	v_pk_mul_f32 v[8:9], v[14:15], v[12:13]
	;;#ASMEND
	v_pk_add_f32 v[12:13], v[20:21], 1.0 op_sel_hi:[1,0]
	;;#ASMSTART
	v_pk_mul_f32 v[12:13], v[16:17], v[12:13]
	;;#ASMEND
	s_waitcnt vmcnt(0)
	v_cvt_f32_u32_sdwa v17, v2 dst_sel:DWORD dst_unused:UNUSED_PAD src0_sel:WORD_1
	v_cvt_f32_u32_sdwa v16, v2 dst_sel:DWORD dst_unused:UNUSED_PAD src0_sel:WORD_0
	v_cvt_f32_u32_sdwa v21, v3 dst_sel:DWORD dst_unused:UNUSED_PAD src0_sel:WORD_1
	v_cvt_f32_u32_sdwa v20, v3 dst_sel:DWORD dst_unused:UNUSED_PAD src0_sel:WORD_0
	v_pk_add_f32 v[14:15], v[28:29], 1.0 op_sel_hi:[1,0]
	;;#ASMSTART
	v_pk_mul_f32 v[14:15], v[18:19], v[14:15]
	;;#ASMEND
	v_pk_add_f32 v[2:3], v[16:17], 1.0 op_sel_hi:[1,0]
	v_cvt_f32_u32_sdwa v19, v4 dst_sel:DWORD dst_unused:UNUSED_PAD src0_sel:WORD_1
	v_cvt_f32_u32_sdwa v18, v4 dst_sel:DWORD dst_unused:UNUSED_PAD src0_sel:WORD_0
	;;#ASMSTART
	v_pk_mul_f32 v[16:17], v[26:27], v[2:3]
	;;#ASMEND
	v_pk_add_f32 v[2:3], v[20:21], 1.0 op_sel_hi:[1,0]
	v_cvt_f32_u32_sdwa v21, v5 dst_sel:DWORD dst_unused:UNUSED_PAD src0_sel:WORD_1
	v_cvt_f32_u32_sdwa v20, v5 dst_sel:DWORD dst_unused:UNUSED_PAD src0_sel:WORD_0
	s_add_u32 s20, s36, s0
	;;#ASMSTART
	v_pk_mul_f32 v[24:25], v[24:25], v[2:3]
	;;#ASMEND
	v_pk_add_f32 v[2:3], v[18:19], 1.0 op_sel_hi:[1,0]
	s_addc_u32 s0, s37, s1
	;;#ASMSTART
	v_pk_mul_f32 v[18:19], v[22:23], v[2:3]
	;;#ASMEND
	v_pk_add_f32 v[2:3], v[20:21], 1.0 op_sel_hi:[1,0]
	s_and_b32 s21, s0, 0xffff
	s_mov_b32 s0, 0x7060302
	;;#ASMSTART
	v_pk_mul_f32 v[6:7], v[6:7], v[2:3]
	;;#ASMEND
	v_perm_b32 v2, v11, v10, s0
	v_perm_b32 v3, v9, v8, s0
	v_perm_b32 v4, v13, v12, s0
	v_perm_b32 v5, v15, v14, s0
	buffer_store_dwordx4 v[2:5], v1, s[20:23], 0 offen
	;;#ASMSTART
	s_nop 0
	;;#ASMEND
	s_nop 0
	v_perm_b32 v2, v17, v16, s0
	v_perm_b32 v3, v25, v24, s0
	;; [unrolled: 1-line block ×4, first 2 shown]
	buffer_store_dwordx4 v[2:5], v1, s[20:23], 16 offen
	;;#ASMSTART
	s_nop 0
	;;#ASMEND
	s_endpgm
	.section	.rodata,"a",@progbits
	.p2align	6, 0x0
	.amdhsa_kernel _ZN5aiter35fused_qk_rmsnorm_group_quant_kernelItN4opus5fp4_tELi128ELi16ELi8ELb1ELb0ELb1ELb0ELb0ELb0EEEvPT0_PvPT_S7_S7_PKS6_S9_S9_S9_S9_ffiiiiiiiiiiiii
		.amdhsa_group_segment_fixed_size 16
		.amdhsa_private_segment_fixed_size 0
		.amdhsa_kernarg_size 400
		.amdhsa_user_sgpr_count 6
		.amdhsa_user_sgpr_private_segment_buffer 1
		.amdhsa_user_sgpr_dispatch_ptr 0
		.amdhsa_user_sgpr_queue_ptr 0
		.amdhsa_user_sgpr_kernarg_segment_ptr 1
		.amdhsa_user_sgpr_dispatch_id 0
		.amdhsa_user_sgpr_flat_scratch_init 0
		.amdhsa_user_sgpr_kernarg_preload_length 0
		.amdhsa_user_sgpr_kernarg_preload_offset 0
		.amdhsa_user_sgpr_private_segment_size 0
		.amdhsa_uses_dynamic_stack 0
		.amdhsa_system_sgpr_private_segment_wavefront_offset 0
		.amdhsa_system_sgpr_workgroup_id_x 1
		.amdhsa_system_sgpr_workgroup_id_y 1
		.amdhsa_system_sgpr_workgroup_id_z 0
		.amdhsa_system_sgpr_workgroup_info 0
		.amdhsa_system_vgpr_workitem_id 0
		.amdhsa_next_free_vgpr 76
		.amdhsa_next_free_sgpr 40
		.amdhsa_accum_offset 76
		.amdhsa_reserve_vcc 1
		.amdhsa_reserve_flat_scratch 0
		.amdhsa_float_round_mode_32 0
		.amdhsa_float_round_mode_16_64 0
		.amdhsa_float_denorm_mode_32 3
		.amdhsa_float_denorm_mode_16_64 3
		.amdhsa_dx10_clamp 1
		.amdhsa_ieee_mode 1
		.amdhsa_fp16_overflow 0
		.amdhsa_tg_split 0
		.amdhsa_exception_fp_ieee_invalid_op 0
		.amdhsa_exception_fp_denorm_src 0
		.amdhsa_exception_fp_ieee_div_zero 0
		.amdhsa_exception_fp_ieee_overflow 0
		.amdhsa_exception_fp_ieee_underflow 0
		.amdhsa_exception_fp_ieee_inexact 0
		.amdhsa_exception_int_div_zero 0
	.end_amdhsa_kernel
	.section	.text._ZN5aiter35fused_qk_rmsnorm_group_quant_kernelItN4opus5fp4_tELi128ELi16ELi8ELb1ELb0ELb1ELb0ELb0ELb0EEEvPT0_PvPT_S7_S7_PKS6_S9_S9_S9_S9_ffiiiiiiiiiiiii,"axG",@progbits,_ZN5aiter35fused_qk_rmsnorm_group_quant_kernelItN4opus5fp4_tELi128ELi16ELi8ELb1ELb0ELb1ELb0ELb0ELb0EEEvPT0_PvPT_S7_S7_PKS6_S9_S9_S9_S9_ffiiiiiiiiiiiii,comdat
.Lfunc_end628:
	.size	_ZN5aiter35fused_qk_rmsnorm_group_quant_kernelItN4opus5fp4_tELi128ELi16ELi8ELb1ELb0ELb1ELb0ELb0ELb0EEEvPT0_PvPT_S7_S7_PKS6_S9_S9_S9_S9_ffiiiiiiiiiiiii, .Lfunc_end628-_ZN5aiter35fused_qk_rmsnorm_group_quant_kernelItN4opus5fp4_tELi128ELi16ELi8ELb1ELb0ELb1ELb0ELb0ELb0EEEvPT0_PvPT_S7_S7_PKS6_S9_S9_S9_S9_ffiiiiiiiiiiiii
                                        ; -- End function
	.section	.AMDGPU.csdata,"",@progbits
; Kernel info:
; codeLenInByte = 3872
; NumSgprs: 44
; NumVgprs: 76
; NumAgprs: 0
; TotalNumVgprs: 76
; ScratchSize: 0
; MemoryBound: 0
; FloatMode: 240
; IeeeMode: 1
; LDSByteSize: 16 bytes/workgroup (compile time only)
; SGPRBlocks: 5
; VGPRBlocks: 9
; NumSGPRsForWavesPerEU: 44
; NumVGPRsForWavesPerEU: 76
; AccumOffset: 76
; Occupancy: 6
; WaveLimiterHint : 0
; COMPUTE_PGM_RSRC2:SCRATCH_EN: 0
; COMPUTE_PGM_RSRC2:USER_SGPR: 6
; COMPUTE_PGM_RSRC2:TRAP_HANDLER: 0
; COMPUTE_PGM_RSRC2:TGID_X_EN: 1
; COMPUTE_PGM_RSRC2:TGID_Y_EN: 1
; COMPUTE_PGM_RSRC2:TGID_Z_EN: 0
; COMPUTE_PGM_RSRC2:TIDIG_COMP_CNT: 0
; COMPUTE_PGM_RSRC3_GFX90A:ACCUM_OFFSET: 18
; COMPUTE_PGM_RSRC3_GFX90A:TG_SPLIT: 0
	.section	.text._ZN5aiter35fused_qk_rmsnorm_group_quant_kernelIDF16_DB8_Li128ELi16ELi8ELb1ELb0ELb0ELb0ELb0ELb0EEEvPT0_PvPT_S6_S6_PKS5_S8_S8_S8_S8_ffiiiiiiiiiiiii,"axG",@progbits,_ZN5aiter35fused_qk_rmsnorm_group_quant_kernelIDF16_DB8_Li128ELi16ELi8ELb1ELb0ELb0ELb0ELb0ELb0EEEvPT0_PvPT_S6_S6_PKS5_S8_S8_S8_S8_ffiiiiiiiiiiiii,comdat
	.protected	_ZN5aiter35fused_qk_rmsnorm_group_quant_kernelIDF16_DB8_Li128ELi16ELi8ELb1ELb0ELb0ELb0ELb0ELb0EEEvPT0_PvPT_S6_S6_PKS5_S8_S8_S8_S8_ffiiiiiiiiiiiii ; -- Begin function _ZN5aiter35fused_qk_rmsnorm_group_quant_kernelIDF16_DB8_Li128ELi16ELi8ELb1ELb0ELb0ELb0ELb0ELb0EEEvPT0_PvPT_S6_S6_PKS5_S8_S8_S8_S8_ffiiiiiiiiiiiii
	.globl	_ZN5aiter35fused_qk_rmsnorm_group_quant_kernelIDF16_DB8_Li128ELi16ELi8ELb1ELb0ELb0ELb0ELb0ELb0EEEvPT0_PvPT_S6_S6_PKS5_S8_S8_S8_S8_ffiiiiiiiiiiiii
	.p2align	8
	.type	_ZN5aiter35fused_qk_rmsnorm_group_quant_kernelIDF16_DB8_Li128ELi16ELi8ELb1ELb0ELb0ELb0ELb0ELb0EEEvPT0_PvPT_S6_S6_PKS5_S8_S8_S8_S8_ffiiiiiiiiiiiii,@function
_ZN5aiter35fused_qk_rmsnorm_group_quant_kernelIDF16_DB8_Li128ELi16ELi8ELb1ELb0ELb0ELb0ELb0ELb0EEEvPT0_PvPT_S6_S6_PKS5_S8_S8_S8_S8_ffiiiiiiiiiiiii: ; @_ZN5aiter35fused_qk_rmsnorm_group_quant_kernelIDF16_DB8_Li128ELi16ELi8ELb1ELb0ELb0ELb0ELb0ELb0EEEvPT0_PvPT_S6_S6_PKS5_S8_S8_S8_S8_ffiiiiiiiiiiiii
; %bb.0:
	s_load_dwordx8 s[12:19], s[4:5], 0x50
	s_waitcnt lgkmcnt(0)
	s_cmp_ge_i32 s6, s14
	s_cbranch_scc1 .LBB629_17
; %bb.1:
	s_cmp_lg_u32 s7, 0
	s_cselect_b64 s[10:11], -1, 0
	s_cmp_eq_u32 s7, 0
	s_cselect_b64 s[8:9], -1, 0
	s_and_b64 s[0:1], s[8:9], exec
	s_load_dwordx2 s[20:21], s[4:5], 0x48
	s_load_dwordx2 s[36:37], s[4:5], 0x30
	s_load_dwordx4 s[24:27], s[4:5], 0x70
	s_cselect_b32 s7, s15, s16
	s_add_i32 s0, s7, 1
	s_lshr_b32 s1, s0, 31
	s_add_i32 s0, s0, s1
	s_lshl_b32 s0, s0, 1
	v_lshlrev_b32_e32 v1, 4, v0
	s_and_b32 s30, s0, -4
	v_cmp_gt_i32_e64 s[0:1], s7, v1
	v_mov_b32_e32 v80, 0
	v_mov_b32_e32 v81, 0
	v_mov_b32_e32 v82, 0
	v_mov_b32_e32 v83, 0
	v_mov_b32_e32 v76, 0
	v_mov_b32_e32 v77, 0
	v_mov_b32_e32 v78, 0
	v_mov_b32_e32 v79, 0
	v_mov_b32_e32 v84, 0
	v_mov_b32_e32 v85, 0
	v_mov_b32_e32 v86, 0
	v_mov_b32_e32 v87, 0
	v_mov_b32_e32 v88, 0
	v_mov_b32_e32 v89, 0
	v_mov_b32_e32 v90, 0
	v_mov_b32_e32 v91, 0
	s_and_saveexec_b64 s[2:3], s[0:1]
	s_cbranch_execz .LBB629_3
; %bb.2:
	s_load_dwordx2 s[22:23], s[4:5], 0x28
	s_load_dwordx2 s[28:29], s[4:5], 0x40
	s_and_b64 s[34:35], s[8:9], exec
	s_cselect_b32 s14, s17, s18
	s_mov_b32 s31, 0x20000
	s_waitcnt lgkmcnt(0)
	s_cselect_b32 s17, s23, s37
	s_cselect_b32 s27, s22, s36
	s_mul_hi_i32 s23, s14, s6
	s_mul_i32 s22, s14, s6
	s_lshl_b64 s[22:23], s[22:23], 1
	s_add_u32 s40, s27, s22
	s_addc_u32 s14, s17, s23
	s_and_b64 s[22:23], s[8:9], exec
	s_cselect_b32 s28, s28, s20
	s_cselect_b32 s17, s29, s21
	s_and_b32 s41, s14, 0xffff
	s_mov_b32 s42, s30
	s_mov_b32 s43, s31
	v_lshlrev_b32_e32 v2, 5, v0
	s_and_b32 s29, s17, 0xffff
	buffer_load_dwordx4 v[84:87], v2, s[40:43], 0 offen
	buffer_load_dwordx4 v[88:91], v2, s[40:43], 16 offen
	buffer_load_dwordx4 v[80:83], v2, s[28:31], 0 offen
	buffer_load_dwordx4 v[76:79], v2, s[28:31], 16 offen
.LBB629_3:
	s_or_b64 exec, exec, s[2:3]
	s_load_dwordx2 s[34:35], s[4:5], 0x80
	s_and_b64 vcc, exec, s[10:11]
	s_cbranch_vccz .LBB629_7
; %bb.4:
	v_mov_b32_e32 v93, 0
	v_mov_b32_e32 v92, 0
	;; [unrolled: 1-line block ×16, first 2 shown]
	s_and_saveexec_b64 s[2:3], s[0:1]
	s_cbranch_execz .LBB629_6
; %bb.5:
	s_waitcnt vmcnt(3)
	v_cvt_f32_f16_sdwa v59, v84 dst_sel:DWORD dst_unused:UNUSED_PAD src0_sel:WORD_1
	v_cvt_f32_f16_e32 v58, v84
	v_cvt_f32_f16_sdwa v29, v85 dst_sel:DWORD dst_unused:UNUSED_PAD src0_sel:WORD_1
	v_cvt_f32_f16_e32 v28, v85
	;; [unrolled: 2-line block ×4, first 2 shown]
	s_waitcnt vmcnt(2)
	v_cvt_f32_f16_sdwa v69, v88 dst_sel:DWORD dst_unused:UNUSED_PAD src0_sel:WORD_1
	v_cvt_f32_f16_e32 v68, v88
	v_cvt_f32_f16_sdwa v41, v89 dst_sel:DWORD dst_unused:UNUSED_PAD src0_sel:WORD_1
	v_cvt_f32_f16_e32 v40, v89
	;; [unrolled: 2-line block ×4, first 2 shown]
.LBB629_6:
	s_or_b64 exec, exec, s[2:3]
	s_cbranch_execz .LBB629_8
	s_branch .LBB629_11
.LBB629_7:
                                        ; implicit-def: $vgpr26_vgpr27_vgpr28_vgpr29_vgpr30_vgpr31_vgpr32_vgpr33_vgpr34_vgpr35_vgpr36_vgpr37_vgpr38_vgpr39_vgpr40_vgpr41
                                        ; implicit-def: $vgpr58_vgpr59_vgpr60_vgpr61_vgpr62_vgpr63_vgpr64_vgpr65_vgpr66_vgpr67_vgpr68_vgpr69_vgpr70_vgpr71_vgpr72_vgpr73
                                        ; implicit-def: $vgpr42_vgpr43_vgpr44_vgpr45_vgpr46_vgpr47_vgpr48_vgpr49_vgpr50_vgpr51_vgpr52_vgpr53_vgpr54_vgpr55_vgpr56_vgpr57
                                        ; implicit-def: $vgpr12_vgpr13_vgpr14_vgpr15_vgpr16_vgpr17_vgpr18_vgpr19_vgpr20_vgpr21_vgpr22_vgpr23_vgpr24_vgpr25_vgpr26_vgpr27
                                        ; implicit-def: $vgpr93
                                        ; implicit-def: $vgpr60_vgpr61_vgpr62_vgpr63_vgpr64_vgpr65_vgpr66_vgpr67_vgpr68_vgpr69_vgpr70_vgpr71_vgpr72_vgpr73_vgpr74_vgpr75
                                        ; implicit-def: $vgpr30_vgpr31_vgpr32_vgpr33_vgpr34_vgpr35_vgpr36_vgpr37_vgpr38_vgpr39_vgpr40_vgpr41_vgpr42_vgpr43_vgpr44_vgpr45
                                        ; implicit-def: $vgpr2_vgpr3_vgpr4_vgpr5_vgpr6_vgpr7_vgpr8_vgpr9_vgpr10_vgpr11_vgpr12_vgpr13_vgpr14_vgpr15_vgpr16_vgpr17
.LBB629_8:
	v_mov_b32_e32 v93, 0
	v_mov_b32_e32 v92, 0
	v_mov_b32_e32 v15, 0
	v_mov_b32_e32 v14, 0
	v_mov_b32_e32 v41, 0
	v_mov_b32_e32 v40, 0
	v_mov_b32_e32 v69, 0
	v_mov_b32_e32 v68, 0
	v_mov_b32_e32 v19, 0
	v_mov_b32_e32 v18, 0
	v_mov_b32_e32 v47, 0
	v_mov_b32_e32 v46, 0
	v_mov_b32_e32 v29, 0
	v_mov_b32_e32 v28, 0
	v_mov_b32_e32 v59, 0
	v_mov_b32_e32 v58, 0
	s_and_saveexec_b64 s[2:3], s[0:1]
	s_cbranch_execz .LBB629_10
; %bb.9:
	s_load_dwordx2 s[22:23], s[4:5], 0x38
	s_mul_hi_i32 s29, s19, s6
	s_mul_i32 s28, s19, s6
	s_lshl_b64 s[28:29], s[28:29], 1
	s_mov_b32 s31, 0x20000
	s_waitcnt lgkmcnt(0)
	s_add_u32 s28, s22, s28
	s_addc_u32 s14, s23, s29
	s_and_b32 s29, s14, 0xffff
	v_lshlrev_b32_e32 v38, 5, v0
	buffer_load_dwordx4 v[6:9], v38, s[28:31], 16 offen
	buffer_load_dwordx4 v[10:13], v38, s[28:31], 0 offen
	s_waitcnt vmcnt(5)
	v_cvt_f32_f16_sdwa v19, v86 dst_sel:DWORD dst_unused:UNUSED_PAD src0_sel:WORD_1
	v_cvt_f32_f16_e32 v18, v86
	v_cvt_f32_f16_sdwa v25, v87 dst_sel:DWORD dst_unused:UNUSED_PAD src0_sel:WORD_1
	v_cvt_f32_f16_e32 v24, v87
	;; [unrolled: 2-line block ×4, first 2 shown]
	s_load_dwordx2 s[22:23], s[4:5], 0x20
	s_waitcnt vmcnt(4)
	v_cvt_f32_f16_sdwa v3, v88 dst_sel:DWORD dst_unused:UNUSED_PAD src0_sel:WORD_1
	v_cvt_f32_f16_e32 v2, v88
	v_cvt_f32_f16_sdwa v5, v89 dst_sel:DWORD dst_unused:UNUSED_PAD src0_sel:WORD_1
	v_cvt_f32_f16_e32 v4, v89
	;; [unrolled: 2-line block ×4, first 2 shown]
	s_mul_hi_i32 s29, s35, s6
	s_mul_i32 s28, s35, s6
	s_lshl_b64 s[28:29], s[28:29], 1
	s_waitcnt lgkmcnt(0)
	s_add_u32 s28, s22, s28
	s_addc_u32 s14, s23, s29
	s_and_b32 s29, s14, 0xffff
	s_waitcnt vmcnt(1)
	v_cvt_f32_f16_e32 v26, v6
	v_cvt_f32_f16_sdwa v27, v6 dst_sel:DWORD dst_unused:UNUSED_PAD src0_sel:WORD_1
	v_cvt_f32_f16_e32 v30, v7
	v_cvt_f32_f16_sdwa v31, v7 dst_sel:DWORD dst_unused:UNUSED_PAD src0_sel:WORD_1
	;; [unrolled: 2-line block ×4, first 2 shown]
	s_waitcnt vmcnt(0)
	v_cvt_f32_f16_e32 v6, v12
	v_cvt_f32_f16_sdwa v7, v12 dst_sel:DWORD dst_unused:UNUSED_PAD src0_sel:WORD_1
	v_cvt_f32_f16_e32 v8, v13
	v_cvt_f32_f16_sdwa v9, v13 dst_sel:DWORD dst_unused:UNUSED_PAD src0_sel:WORD_1
	;; [unrolled: 2-line block ×4, first 2 shown]
	v_pk_add_f32 v[46:47], v[18:19], v[6:7]
	v_pk_add_f32 v[18:19], v[24:25], v[8:9]
	v_cvt_f16_f32_e32 v6, v47
	v_cvt_f16_f32_e32 v7, v19
	;; [unrolled: 1-line block ×4, first 2 shown]
	v_pk_add_f32 v[28:29], v[22:23], v[10:11]
	v_pk_add_f32 v[58:59], v[20:21], v[36:37]
	v_pack_b32_f16 v9, v8, v7
	v_pack_b32_f16 v8, v12, v6
	v_cvt_f16_f32_e32 v6, v29
	v_cvt_f16_f32_e32 v7, v28
	;; [unrolled: 1-line block ×3, first 2 shown]
	v_pk_add_f32 v[92:93], v[16:17], v[34:35]
	v_pk_add_f32 v[14:15], v[14:15], v[32:33]
	v_pack_b32_f16 v7, v7, v6
	v_cvt_f16_f32_e32 v6, v59
	v_pk_add_f32 v[40:41], v[4:5], v[30:31]
	v_pk_add_f32 v[68:69], v[2:3], v[26:27]
	v_cvt_f16_f32_e32 v4, v40
	v_pack_b32_f16 v6, v10, v6
	buffer_store_dwordx4 v[6:9], v38, s[28:31], 0 offen
	v_cvt_f16_f32_e32 v5, v41
	v_cvt_f16_f32_e32 v6, v14
	;; [unrolled: 1-line block ×7, first 2 shown]
	v_pack_b32_f16 v7, v7, v8
	v_pack_b32_f16 v6, v6, v9
	;; [unrolled: 1-line block ×4, first 2 shown]
	;;#ASMSTART
	s_nop 0
	;;#ASMEND
	buffer_store_dwordx4 v[4:7], v38, s[28:31], 16 offen
	;;#ASMSTART
	s_nop 0
	;;#ASMEND
.LBB629_10:
	s_or_b64 exec, exec, s[2:3]
.LBB629_11:
	v_mul_f32_e32 v2, v59, v59
	v_fmac_f32_e32 v2, v58, v58
	v_fmac_f32_e32 v2, v28, v28
	v_fmac_f32_e32 v2, v29, v29
	v_fmac_f32_e32 v2, v46, v46
	v_fmac_f32_e32 v2, v47, v47
	v_fmac_f32_e32 v2, v18, v18
	v_fmac_f32_e32 v2, v19, v19
	v_fmac_f32_e32 v2, v68, v68
	v_fmac_f32_e32 v2, v69, v69
	v_fmac_f32_e32 v2, v40, v40
	v_fmac_f32_e32 v2, v41, v41
	v_fmac_f32_e32 v2, v14, v14
	v_fmac_f32_e32 v2, v15, v15
	v_fmac_f32_e32 v2, v92, v92
	v_fmac_f32_e32 v2, v93, v93
	s_nop 1
	v_mov_b32_dpp v3, v2 quad_perm:[1,0,3,2] row_mask:0xf bank_mask:0xf
	v_add_f32_e32 v2, v2, v3
	s_nop 1
	v_mov_b32_dpp v3, v2 quad_perm:[2,3,0,1] row_mask:0xf bank_mask:0xf
	v_add_f32_e32 v2, v2, v3
	s_nop 1
	v_mov_b32_dpp v3, v2 row_half_mirror row_mask:0xf bank_mask:0xf
	v_add_f32_e32 v2, v2, v3
	s_nop 1
	v_mov_b32_dpp v3, v2 row_mirror row_mask:0xf bank_mask:0xf
	v_add_f32_e32 v2, v2, v3
	s_nop 1
	v_mov_b32_dpp v3, v2 row_bcast:15 row_mask:0xf bank_mask:0xf
	v_add_f32_e32 v2, v2, v3
	v_and_b32_e32 v3, 63, v0
	v_cmp_eq_u32_e64 s[2:3], 63, v3
	s_nop 0
	v_mov_b32_dpp v3, v2 row_bcast:31 row_mask:0xf bank_mask:0xf
	s_and_saveexec_b64 s[22:23], s[2:3]
	s_cbranch_execz .LBB629_13
; %bb.12:
	v_add_f32_e32 v2, v2, v3
	v_lshrrev_b32_e32 v3, 4, v0
	v_and_b32_e32 v3, 60, v3
	ds_write_b32 v3, v2 offset:8
.LBB629_13:
	s_or_b64 exec, exec, s[22:23]
	v_and_b32_e32 v2, 1, v0
	v_lshlrev_b32_e32 v34, 2, v2
	s_waitcnt lgkmcnt(0)
	s_barrier
	ds_read_b32 v2, v34 offset:8
	s_load_dwordx2 s[38:39], s[4:5], 0x18
	s_waitcnt lgkmcnt(0)
	v_mov_b32_dpp v3, v2 quad_perm:[1,0,3,2] row_mask:0xf bank_mask:0xf
	s_and_saveexec_b64 s[22:23], s[0:1]
	s_cbranch_execnz .LBB629_18
; %bb.14:
	s_or_b64 exec, exec, s[22:23]
	s_mov_b64 s[8:9], -1
	s_and_b64 vcc, exec, s[10:11]
	s_cbranch_vccnz .LBB629_19
.LBB629_15:
	s_andn2_b64 vcc, exec, s[8:9]
	s_cbranch_vccz .LBB629_22
.LBB629_16:
	s_cmp_lt_i32 s16, 1
	s_cbranch_scc0 .LBB629_29
.LBB629_17:
	s_endpgm
.LBB629_18:
	v_add_f32_e32 v2, v2, v3
	v_cvt_f32_u32_e32 v3, s7
	s_mov_b32 s7, 0x800000
	s_waitcnt vmcnt(1)
	v_cvt_f32_f16_sdwa v21, v81 dst_sel:DWORD dst_unused:UNUSED_PAD src0_sel:WORD_1
	v_cvt_f32_f16_e32 v20, v81
	v_div_scale_f32 v4, s[28:29], v3, v3, v2
	v_rcp_f32_e32 v5, v4
	s_waitcnt vmcnt(0)
	v_cvt_f32_f16_sdwa v23, v77 dst_sel:DWORD dst_unused:UNUSED_PAD src0_sel:WORD_1
	v_cvt_f32_f16_e32 v22, v77
	v_cvt_f32_f16_sdwa v25, v78 dst_sel:DWORD dst_unused:UNUSED_PAD src0_sel:WORD_1
	v_fma_f32 v6, -v4, v5, 1.0
	v_fmac_f32_e32 v5, v6, v5
	v_div_scale_f32 v6, vcc, v2, v3, v2
	v_mul_f32_e32 v7, v6, v5
	v_fma_f32 v8, -v4, v7, v6
	v_fmac_f32_e32 v7, v8, v5
	v_fma_f32 v4, -v4, v7, v6
	v_div_fmas_f32 v4, v4, v5, v7
	v_div_fixup_f32 v2, v4, v3, v2
	v_mov_b32_e32 v3, s13
	v_mov_b32_e32 v4, s12
	v_cndmask_b32_e64 v3, v3, v4, s[8:9]
	v_add_f32_e32 v2, v3, v2
	v_mul_f32_e32 v3, 0x4b800000, v2
	v_cmp_gt_f32_e32 vcc, s7, v2
	v_cndmask_b32_e32 v2, v2, v3, vcc
	v_rsq_f32_e32 v2, v2
	v_cvt_f32_f16_e32 v24, v78
	v_cvt_f32_f16_sdwa v27, v79 dst_sel:DWORD dst_unused:UNUSED_PAD src0_sel:WORD_1
	v_cvt_f32_f16_e32 v26, v79
	v_mul_f32_e32 v3, 0x45800000, v2
	v_cndmask_b32_e32 v2, v2, v3, vcc
	v_mov_b32_e32 v3, v2
	;;#ASMSTART
	v_pk_mul_f32 v[4:5], v[58:59], v[2:3]
	;;#ASMEND
	;;#ASMSTART
	v_pk_mul_f32 v[6:7], v[28:29], v[2:3]
	;;#ASMEND
	;; [unrolled: 3-line block ×6, first 2 shown]
	v_cvt_f32_f16_sdwa v19, v80 dst_sel:DWORD dst_unused:UNUSED_PAD src0_sel:WORD_1
	v_cvt_f32_f16_e32 v18, v80
	;;#ASMSTART
	v_pk_mul_f32 v[14:15], v[14:15], v[2:3]
	;;#ASMEND
	;;#ASMSTART
	v_pk_mul_f32 v[2:3], v[92:93], v[2:3]
	;;#ASMEND
	;; [unrolled: 3-line block ×4, first 2 shown]
	v_cvt_f32_f16_sdwa v5, v82 dst_sel:DWORD dst_unused:UNUSED_PAD src0_sel:WORD_1
	v_cvt_f32_f16_e32 v4, v82
	v_cvt_f32_f16_sdwa v7, v83 dst_sel:DWORD dst_unused:UNUSED_PAD src0_sel:WORD_1
	v_cvt_f32_f16_e32 v6, v83
	;; [unrolled: 2-line block ×3, first 2 shown]
	;;#ASMSTART
	v_pk_mul_f32 v[46:47], v[8:9], v[4:5]
	;;#ASMEND
	;;#ASMSTART
	v_pk_mul_f32 v[18:19], v[10:11], v[6:7]
	;;#ASMEND
	;; [unrolled: 3-line block ×6, first 2 shown]
	s_or_b64 exec, exec, s[22:23]
	s_mov_b64 s[8:9], -1
	s_and_b64 vcc, exec, s[10:11]
	s_cbranch_vccz .LBB629_15
.LBB629_19:
	s_and_saveexec_b64 s[8:9], s[0:1]
	s_cbranch_execz .LBB629_21
; %bb.20:
	v_cvt_f16_f32_e32 v2, v46
	v_cvt_f16_f32_e32 v3, v18
	;; [unrolled: 1-line block ×4, first 2 shown]
	s_mul_hi_i32 s11, s34, s6
	s_mul_i32 s10, s34, s6
	v_pack_b32_f16 v5, v3, v4
	v_pack_b32_f16 v4, v2, v6
	v_cvt_f16_f32_e32 v2, v28
	v_cvt_f16_f32_e32 v3, v29
	;; [unrolled: 1-line block ×3, first 2 shown]
	s_lshl_b64 s[10:11], s[10:11], 1
	s_add_u32 s28, s38, s10
	v_pack_b32_f16 v3, v2, v3
	v_cvt_f16_f32_e32 v2, v58
	s_addc_u32 s7, s39, s11
	s_and_b32 s29, s7, 0xffff
	s_mov_b32 s31, 0x20000
	v_pack_b32_f16 v2, v2, v6
	v_lshlrev_b32_e32 v6, 5, v0
	buffer_store_dwordx4 v[2:5], v6, s[28:31], 0 offen
	v_cvt_f16_f32_e32 v7, v15
	v_cvt_f16_f32_e32 v2, v14
	;; [unrolled: 1-line block ×4, first 2 shown]
	;;#ASMSTART
	s_nop 0
	;;#ASMEND
	v_pack_b32_f16 v5, v3, v4
	v_pack_b32_f16 v4, v2, v7
	v_cvt_f16_f32_e32 v2, v40
	v_cvt_f16_f32_e32 v3, v41
	;; [unrolled: 1-line block ×3, first 2 shown]
	v_pack_b32_f16 v3, v2, v3
	v_cvt_f16_f32_e32 v2, v68
	v_pack_b32_f16 v2, v2, v7
	buffer_store_dwordx4 v[2:5], v6, s[28:31], 16 offen
	;;#ASMSTART
	s_nop 0
	;;#ASMEND
.LBB629_21:
	s_or_b64 exec, exec, s[8:9]
	s_cbranch_execnz .LBB629_16
.LBB629_22:
	v_mov_b32_e32 v2, 0
	s_and_saveexec_b64 s[8:9], s[0:1]
	s_cbranch_execz .LBB629_24
; %bb.23:
	v_and_b32_e32 v2, 0x7fffffff, v58
	v_and_b32_e32 v3, 0x7fffffff, v59
	v_mov_b32_e32 v4, 0x2edbe6ff
	;;#ASMSTART
	v_max3_f32 v2, v4, v2, v3

	;;#ASMEND
	v_and_b32_e32 v3, 0x7fffffff, v28
	v_and_b32_e32 v4, 0x7fffffff, v29
	;;#ASMSTART
	v_max3_f32 v2, v2, v3, v4

	;;#ASMEND
	v_and_b32_e32 v3, 0x7fffffff, v46
	v_and_b32_e32 v4, 0x7fffffff, v47
	;; [unrolled: 6-line block ×7, first 2 shown]
	;;#ASMSTART
	v_max3_f32 v2, v2, v3, v4

	;;#ASMEND
.LBB629_24:
	s_or_b64 exec, exec, s[8:9]
	;;#ASMSTART
	v_max_f32 v3, v2, v2 quad_perm:[1,0,3,2] row_mask:0xf bank_mask:0xf bound_ctrl:1
	;;#ASMEND
	;;#ASMSTART
	v_max_f32 v2, v3, v3 quad_perm:[2,3,0,1] row_mask:0xf bank_mask:0xf bound_ctrl:1
	;;#ASMEND
	;;#ASMSTART
	v_max_f32 v3, v2, v2 row_half_mirror row_mask:0xf bank_mask:0xf bound_ctrl:1
	;;#ASMEND
	v_mul_f32_e32 v2, 0x3b124925, v3
	v_and_b32_e32 v3, 7, v0
	v_cmp_eq_u32_e32 vcc, 0, v3
	v_cmp_gt_i32_e64 s[8:9], s15, v1
	s_and_b64 s[10:11], vcc, s[8:9]
	s_and_saveexec_b64 s[8:9], s[10:11]
	s_cbranch_execz .LBB629_26
; %bb.25:
	s_load_dwordx2 s[10:11], s[4:5], 0x8
	s_mul_hi_i32 s23, s25, s6
	s_mul_i32 s22, s25, s6
	v_lshrrev_b32_e32 v3, 3, v0
	s_lshl_b64 s[22:23], s[22:23], 2
	v_mad_i64_i32 v[4:5], s[26:27], s26, v3, 0
	s_waitcnt lgkmcnt(0)
	s_add_u32 s7, s10, s22
	s_addc_u32 s10, s11, s23
	v_lshlrev_b64 v[4:5], 2, v[4:5]
	v_mov_b32_e32 v3, s10
	v_add_co_u32_e32 v4, vcc, s7, v4
	v_addc_co_u32_e32 v5, vcc, v3, v5, vcc
	global_store_dword v[4:5], v2, off
.LBB629_26:
	s_or_b64 exec, exec, s[8:9]
	;;#ASMSTART
	v_rcp_f32 v2, v2
	;;#ASMEND
	s_and_saveexec_b64 s[22:23], s[0:1]
	s_cbranch_execz .LBB629_28
; %bb.27:
	v_mov_b32_e32 v3, v2
	;;#ASMSTART
	v_pk_mul_f32 v[4:5], v[58:59], v[2:3]
	;;#ASMEND
	v_mov_b32_e32 v10, 0xc3e00000
	v_mov_b32_e32 v11, 0x43e00000
	;;#ASMSTART
	v_med3_f32 v4, v4, v10, v11
v_med3_f32 v5, v5, v10, v11
v_cvt_pk_fp8_f32 v6, v4, v5
	;;#ASMEND
	;;#ASMSTART
	v_pk_mul_f32 v[4:5], v[28:29], v[2:3]
	;;#ASMEND
	;;#ASMSTART
	v_med3_f32 v4, v4, v10, v11
v_med3_f32 v5, v5, v10, v11
v_cvt_pk_fp8_f32 v7, v4, v5
	;;#ASMEND
	;;#ASMSTART
	v_pk_mul_f32 v[4:5], v[46:47], v[2:3]
	;;#ASMEND
	;; [unrolled: 8-line block ×3, first 2 shown]
	;;#ASMSTART
	v_med3_f32 v4, v4, v10, v11
v_med3_f32 v5, v5, v10, v11
v_cvt_pk_fp8_f32 v9, v4, v5
	;;#ASMEND
	s_mov_b32 s0, 0x5040100
	v_perm_b32 v4, v7, v6, s0
	s_mov_b32 s0, 0x1060504
	v_perm_b32 v4, v4, v7, s0
	s_load_dwordx2 s[0:1], s[4:5], 0x0
	s_mov_b32 s7, 0x1000504
	;;#ASMSTART
	v_pk_mul_f32 v[6:7], v[68:69], v[2:3]
	;;#ASMEND
	v_perm_b32 v5, v8, v9, s7
	s_mul_i32 s8, s24, s6
	;;#ASMSTART
	v_med3_f32 v6, v6, v10, v11
v_med3_f32 v7, v7, v10, v11
v_cvt_pk_fp8_f32 v8, v6, v7
	;;#ASMEND
	s_mul_hi_i32 s9, s24, s6
	s_waitcnt lgkmcnt(0)
	s_add_u32 s8, s0, s8
	;;#ASMSTART
	v_pk_mul_f32 v[6:7], v[40:41], v[2:3]
	;;#ASMEND
	s_addc_u32 s0, s1, s9
	s_add_i32 s1, s15, 3
	;;#ASMSTART
	v_med3_f32 v6, v6, v10, v11
v_med3_f32 v7, v7, v10, v11
v_cvt_pk_fp8_f32 v9, v6, v7
	;;#ASMEND
	s_ashr_i32 s9, s1, 31
	v_perm_b32 v6, v8, v9, s7
	;;#ASMSTART
	v_pk_mul_f32 v[8:9], v[14:15], v[2:3]
	;;#ASMEND
	v_mov_b32_e32 v7, v9
	s_lshr_b32 s9, s9, 30
	;;#ASMSTART
	v_med3_f32 v8, v8, v10, v11
v_med3_f32 v7, v7, v10, v11
v_cvt_pk_fp8_f32 v9, v8, v7
	;;#ASMEND
	;;#ASMSTART
	v_pk_mul_f32 v[2:3], v[92:93], v[2:3]
	;;#ASMEND
	s_add_i32 s1, s1, s9
	;;#ASMSTART
	v_med3_f32 v2, v2, v10, v11
v_med3_f32 v3, v3, v10, v11
v_cvt_pk_fp8_f32 v7, v2, v3
	;;#ASMEND
	s_and_b32 s10, s1, -4
	s_and_b32 s9, s0, 0xffff
	s_mov_b32 s11, 0x20000
	v_perm_b32 v7, v9, v7, s7
	buffer_store_dwordx4 v[4:7], v1, s[8:11], 0 offen
	;;#ASMSTART
	s_nop 0
	;;#ASMEND
.LBB629_28:
	s_or_b64 exec, exec, s[22:23]
	s_cmp_lt_i32 s16, 1
	s_cbranch_scc1 .LBB629_17
.LBB629_29:
	s_load_dword s0, s[4:5], 0x94
	s_waitcnt lgkmcnt(0)
	s_cmp_lg_u32 s0, 1
	s_cbranch_scc1 .LBB629_17
; %bb.30:
	s_lshl_b32 s0, s16, 1
	s_add_i32 s0, s0, 2
	v_cmp_gt_u32_e32 vcc, s16, v1
	s_and_b32 s22, s0, -4
	v_mov_b32_e32 v18, 0
	v_lshlrev_b32_e32 v1, 5, v0
	v_mov_b32_e32 v14, 0
	v_mov_b32_e32 v15, 0
	;; [unrolled: 1-line block ×16, first 2 shown]
	s_barrier
	s_and_saveexec_b64 s[0:1], vcc
	s_cbranch_execz .LBB629_32
; %bb.31:
	s_mul_hi_i32 s5, s18, s6
	s_mul_i32 s4, s18, s6
	s_and_b32 s21, s21, 0xffff
	s_lshl_b64 s[4:5], s[4:5], 1
	s_add_u32 s8, s36, s4
	s_mov_b32 s23, 0x20000
	s_addc_u32 s4, s37, s5
	s_and_b32 s9, s4, 0xffff
	s_mov_b32 s10, s22
	s_mov_b32 s11, s23
	buffer_load_dwordx4 v[14:17], v1, s[8:11], 0 offen
	buffer_load_dwordx4 v[10:13], v1, s[8:11], 16 offen
	;; [unrolled: 1-line block ×4, first 2 shown]
.LBB629_32:
	s_or_b64 exec, exec, s[0:1]
	v_mov_b32_e32 v19, 0
	v_mov_b32_e32 v32, 0
	;; [unrolled: 1-line block ×15, first 2 shown]
	s_and_saveexec_b64 s[0:1], vcc
	s_cbranch_execz .LBB629_34
; %bb.33:
	s_waitcnt vmcnt(3)
	v_cvt_f32_f16_sdwa v19, v14 dst_sel:DWORD dst_unused:UNUSED_PAD src0_sel:WORD_1
	v_cvt_f32_f16_e32 v18, v14
	v_cvt_f32_f16_sdwa v33, v15 dst_sel:DWORD dst_unused:UNUSED_PAD src0_sel:WORD_1
	v_cvt_f32_f16_e32 v32, v15
	;; [unrolled: 2-line block ×4, first 2 shown]
	s_waitcnt vmcnt(2)
	v_cvt_f32_f16_sdwa v27, v10 dst_sel:DWORD dst_unused:UNUSED_PAD src0_sel:WORD_1
	v_cvt_f32_f16_e32 v26, v10
	v_cvt_f32_f16_sdwa v25, v11 dst_sel:DWORD dst_unused:UNUSED_PAD src0_sel:WORD_1
	v_cvt_f32_f16_e32 v24, v11
	v_cvt_f32_f16_sdwa v23, v12 dst_sel:DWORD dst_unused:UNUSED_PAD src0_sel:WORD_1
	v_cvt_f32_f16_e32 v22, v12
	v_cvt_f32_f16_sdwa v21, v13 dst_sel:DWORD dst_unused:UNUSED_PAD src0_sel:WORD_1
	v_cvt_f32_f16_e32 v20, v13
.LBB629_34:
	s_or_b64 exec, exec, s[0:1]
	s_waitcnt vmcnt(2)
	v_mul_f32_e32 v10, v19, v19
	v_fmac_f32_e32 v10, v18, v18
	v_fmac_f32_e32 v10, v32, v32
	v_fmac_f32_e32 v10, v33, v33
	v_fmac_f32_e32 v10, v30, v30
	v_fmac_f32_e32 v10, v31, v31
	v_fmac_f32_e32 v10, v28, v28
	v_fmac_f32_e32 v10, v29, v29
	v_fmac_f32_e32 v10, v26, v26
	v_fmac_f32_e32 v10, v27, v27
	v_fmac_f32_e32 v10, v24, v24
	v_fmac_f32_e32 v10, v25, v25
	v_fmac_f32_e32 v10, v22, v22
	v_fmac_f32_e32 v10, v23, v23
	v_fmac_f32_e32 v10, v20, v20
	v_fmac_f32_e32 v10, v21, v21
	s_nop 1
	v_mov_b32_dpp v11, v10 quad_perm:[1,0,3,2] row_mask:0xf bank_mask:0xf
	v_add_f32_e32 v10, v10, v11
	s_nop 1
	v_mov_b32_dpp v11, v10 quad_perm:[2,3,0,1] row_mask:0xf bank_mask:0xf
	v_add_f32_e32 v10, v10, v11
	s_nop 1
	v_mov_b32_dpp v11, v10 row_half_mirror row_mask:0xf bank_mask:0xf
	v_add_f32_e32 v10, v10, v11
	s_nop 1
	v_mov_b32_dpp v11, v10 row_mirror row_mask:0xf bank_mask:0xf
	v_add_f32_e32 v10, v10, v11
	s_nop 1
	v_mov_b32_dpp v11, v10 row_bcast:15 row_mask:0xf bank_mask:0xf
	v_add_f32_e32 v10, v10, v11
	s_nop 1
	v_mov_b32_dpp v11, v10 row_bcast:31 row_mask:0xf bank_mask:0xf
	s_and_saveexec_b64 s[0:1], s[2:3]
	s_cbranch_execz .LBB629_36
; %bb.35:
	v_lshrrev_b32_e32 v0, 4, v0
	v_add_f32_e32 v10, v10, v11
	v_and_b32_e32 v0, 60, v0
	ds_write_b32 v0, v10
.LBB629_36:
	s_or_b64 exec, exec, s[0:1]
	s_waitcnt lgkmcnt(0)
	s_barrier
	ds_read_b32 v0, v34
	s_waitcnt lgkmcnt(0)
	s_nop 0
	v_mov_b32_dpp v10, v0 quad_perm:[1,0,3,2] row_mask:0xf bank_mask:0xf
	s_and_saveexec_b64 s[0:1], vcc
	s_cbranch_execz .LBB629_17
; %bb.37:
	v_cvt_f32_u32_e32 v11, s16
	v_add_f32_e32 v0, v0, v10
	s_mov_b32 s23, 0x20000
	v_div_scale_f32 v10, s[0:1], v11, v11, v0
	v_rcp_f32_e32 v12, v10
	v_div_scale_f32 v13, vcc, v0, v11, v0
	s_mov_b32 s0, 0x800000
	v_fma_f32 v14, -v10, v12, 1.0
	v_fmac_f32_e32 v12, v14, v12
	v_mul_f32_e32 v14, v13, v12
	v_fma_f32 v15, -v10, v14, v13
	v_fmac_f32_e32 v14, v15, v12
	v_fma_f32 v10, -v10, v14, v13
	v_div_fmas_f32 v10, v10, v12, v14
	v_div_fixup_f32 v0, v10, v11, v0
	v_add_f32_e32 v0, s13, v0
	v_mul_f32_e32 v10, 0x4b800000, v0
	v_cmp_gt_f32_e32 vcc, s0, v0
	v_cndmask_b32_e32 v0, v0, v10, vcc
	v_rsq_f32_e32 v0, v0
	s_mul_hi_i32 s1, s34, s6
	s_mul_i32 s0, s34, s6
	s_lshl_b64 s[0:1], s[0:1], 1
	v_mul_f32_e32 v10, 0x45800000, v0
	v_cndmask_b32_e32 v10, v0, v10, vcc
	v_mov_b32_e32 v11, v10
	;;#ASMSTART
	v_pk_mul_f32 v[12:13], v[18:19], v[10:11]
	;;#ASMEND
	;;#ASMSTART
	v_pk_mul_f32 v[14:15], v[32:33], v[10:11]
	;;#ASMEND
	;; [unrolled: 3-line block ×8, first 2 shown]
	s_waitcnt vmcnt(1)
	v_cvt_f32_f16_sdwa v21, v6 dst_sel:DWORD dst_unused:UNUSED_PAD src0_sel:WORD_1
	v_cvt_f32_f16_e32 v20, v6
	v_cvt_f32_f16_sdwa v29, v7 dst_sel:DWORD dst_unused:UNUSED_PAD src0_sel:WORD_1
	v_cvt_f32_f16_e32 v28, v7
	;; [unrolled: 2-line block ×4, first 2 shown]
	;;#ASMSTART
	v_pk_mul_f32 v[8:9], v[12:13], v[20:21]
	;;#ASMEND
	;;#ASMSTART
	v_pk_mul_f32 v[12:13], v[14:15], v[28:29]
	;;#ASMEND
	;; [unrolled: 3-line block ×4, first 2 shown]
	s_waitcnt vmcnt(0)
	v_cvt_f32_f16_sdwa v17, v2 dst_sel:DWORD dst_unused:UNUSED_PAD src0_sel:WORD_1
	v_cvt_f32_f16_e32 v16, v2
	v_cvt_f32_f16_sdwa v19, v3 dst_sel:DWORD dst_unused:UNUSED_PAD src0_sel:WORD_1
	v_cvt_f32_f16_e32 v18, v3
	v_cvt_f32_f16_sdwa v3, v4 dst_sel:DWORD dst_unused:UNUSED_PAD src0_sel:WORD_1
	v_cvt_f32_f16_e32 v2, v4
	v_cvt_f32_f16_sdwa v21, v5 dst_sel:DWORD dst_unused:UNUSED_PAD src0_sel:WORD_1
	v_cvt_f32_f16_e32 v20, v5
	;;#ASMSTART
	v_pk_mul_f32 v[16:17], v[26:27], v[16:17]
	;;#ASMEND
	;;#ASMSTART
	v_pk_mul_f32 v[18:19], v[24:25], v[18:19]
	;;#ASMEND
	;; [unrolled: 3-line block ×3, first 2 shown]
	v_cvt_f16_f32_e32 v0, v8
	v_cvt_f16_f32_e32 v2, v9
	;; [unrolled: 1-line block ×8, first 2 shown]
	s_add_u32 s20, s38, s0
	s_addc_u32 s0, s39, s1
	s_and_b32 s21, s0, 0xffff
	v_pack_b32_f16 v2, v0, v2
	v_pack_b32_f16 v3, v3, v4
	;; [unrolled: 1-line block ×4, first 2 shown]
	;;#ASMSTART
	v_pk_mul_f32 v[10:11], v[10:11], v[20:21]
	;;#ASMEND
	buffer_store_dwordx4 v[2:5], v1, s[20:23], 0 offen
	v_cvt_f16_f32_e32 v0, v16
	v_cvt_f16_f32_e32 v2, v17
	;; [unrolled: 1-line block ×8, first 2 shown]
	v_pack_b32_f16 v2, v0, v2
	v_pack_b32_f16 v3, v3, v4
	;; [unrolled: 1-line block ×4, first 2 shown]
	;;#ASMSTART
	s_nop 0
	;;#ASMEND
	buffer_store_dwordx4 v[2:5], v1, s[20:23], 16 offen
	;;#ASMSTART
	s_nop 0
	;;#ASMEND
	s_endpgm
	.section	.rodata,"a",@progbits
	.p2align	6, 0x0
	.amdhsa_kernel _ZN5aiter35fused_qk_rmsnorm_group_quant_kernelIDF16_DB8_Li128ELi16ELi8ELb1ELb0ELb0ELb0ELb0ELb0EEEvPT0_PvPT_S6_S6_PKS5_S8_S8_S8_S8_ffiiiiiiiiiiiii
		.amdhsa_group_segment_fixed_size 16
		.amdhsa_private_segment_fixed_size 0
		.amdhsa_kernarg_size 400
		.amdhsa_user_sgpr_count 6
		.amdhsa_user_sgpr_private_segment_buffer 1
		.amdhsa_user_sgpr_dispatch_ptr 0
		.amdhsa_user_sgpr_queue_ptr 0
		.amdhsa_user_sgpr_kernarg_segment_ptr 1
		.amdhsa_user_sgpr_dispatch_id 0
		.amdhsa_user_sgpr_flat_scratch_init 0
		.amdhsa_user_sgpr_kernarg_preload_length 0
		.amdhsa_user_sgpr_kernarg_preload_offset 0
		.amdhsa_user_sgpr_private_segment_size 0
		.amdhsa_uses_dynamic_stack 0
		.amdhsa_system_sgpr_private_segment_wavefront_offset 0
		.amdhsa_system_sgpr_workgroup_id_x 1
		.amdhsa_system_sgpr_workgroup_id_y 1
		.amdhsa_system_sgpr_workgroup_id_z 0
		.amdhsa_system_sgpr_workgroup_info 0
		.amdhsa_system_vgpr_workitem_id 0
		.amdhsa_next_free_vgpr 94
		.amdhsa_next_free_sgpr 44
		.amdhsa_accum_offset 96
		.amdhsa_reserve_vcc 1
		.amdhsa_reserve_flat_scratch 0
		.amdhsa_float_round_mode_32 0
		.amdhsa_float_round_mode_16_64 0
		.amdhsa_float_denorm_mode_32 3
		.amdhsa_float_denorm_mode_16_64 3
		.amdhsa_dx10_clamp 1
		.amdhsa_ieee_mode 1
		.amdhsa_fp16_overflow 0
		.amdhsa_tg_split 0
		.amdhsa_exception_fp_ieee_invalid_op 0
		.amdhsa_exception_fp_denorm_src 0
		.amdhsa_exception_fp_ieee_div_zero 0
		.amdhsa_exception_fp_ieee_overflow 0
		.amdhsa_exception_fp_ieee_underflow 0
		.amdhsa_exception_fp_ieee_inexact 0
		.amdhsa_exception_int_div_zero 0
	.end_amdhsa_kernel
	.section	.text._ZN5aiter35fused_qk_rmsnorm_group_quant_kernelIDF16_DB8_Li128ELi16ELi8ELb1ELb0ELb0ELb0ELb0ELb0EEEvPT0_PvPT_S6_S6_PKS5_S8_S8_S8_S8_ffiiiiiiiiiiiii,"axG",@progbits,_ZN5aiter35fused_qk_rmsnorm_group_quant_kernelIDF16_DB8_Li128ELi16ELi8ELb1ELb0ELb0ELb0ELb0ELb0EEEvPT0_PvPT_S6_S6_PKS5_S8_S8_S8_S8_ffiiiiiiiiiiiii,comdat
.Lfunc_end629:
	.size	_ZN5aiter35fused_qk_rmsnorm_group_quant_kernelIDF16_DB8_Li128ELi16ELi8ELb1ELb0ELb0ELb0ELb0ELb0EEEvPT0_PvPT_S6_S6_PKS5_S8_S8_S8_S8_ffiiiiiiiiiiiii, .Lfunc_end629-_ZN5aiter35fused_qk_rmsnorm_group_quant_kernelIDF16_DB8_Li128ELi16ELi8ELb1ELb0ELb0ELb0ELb0ELb0EEEvPT0_PvPT_S6_S6_PKS5_S8_S8_S8_S8_ffiiiiiiiiiiiii
                                        ; -- End function
	.section	.AMDGPU.csdata,"",@progbits
; Kernel info:
; codeLenInByte = 4008
; NumSgprs: 48
; NumVgprs: 94
; NumAgprs: 0
; TotalNumVgprs: 94
; ScratchSize: 0
; MemoryBound: 0
; FloatMode: 240
; IeeeMode: 1
; LDSByteSize: 16 bytes/workgroup (compile time only)
; SGPRBlocks: 5
; VGPRBlocks: 11
; NumSGPRsForWavesPerEU: 48
; NumVGPRsForWavesPerEU: 94
; AccumOffset: 96
; Occupancy: 5
; WaveLimiterHint : 0
; COMPUTE_PGM_RSRC2:SCRATCH_EN: 0
; COMPUTE_PGM_RSRC2:USER_SGPR: 6
; COMPUTE_PGM_RSRC2:TRAP_HANDLER: 0
; COMPUTE_PGM_RSRC2:TGID_X_EN: 1
; COMPUTE_PGM_RSRC2:TGID_Y_EN: 1
; COMPUTE_PGM_RSRC2:TGID_Z_EN: 0
; COMPUTE_PGM_RSRC2:TIDIG_COMP_CNT: 0
; COMPUTE_PGM_RSRC3_GFX90A:ACCUM_OFFSET: 23
; COMPUTE_PGM_RSRC3_GFX90A:TG_SPLIT: 0
	.section	.text._ZN5aiter35fused_qk_rmsnorm_group_quant_kernelItDB8_Li128ELi16ELi8ELb1ELb0ELb0ELb0ELb0ELb0EEEvPT0_PvPT_S6_S6_PKS5_S8_S8_S8_S8_ffiiiiiiiiiiiii,"axG",@progbits,_ZN5aiter35fused_qk_rmsnorm_group_quant_kernelItDB8_Li128ELi16ELi8ELb1ELb0ELb0ELb0ELb0ELb0EEEvPT0_PvPT_S6_S6_PKS5_S8_S8_S8_S8_ffiiiiiiiiiiiii,comdat
	.protected	_ZN5aiter35fused_qk_rmsnorm_group_quant_kernelItDB8_Li128ELi16ELi8ELb1ELb0ELb0ELb0ELb0ELb0EEEvPT0_PvPT_S6_S6_PKS5_S8_S8_S8_S8_ffiiiiiiiiiiiii ; -- Begin function _ZN5aiter35fused_qk_rmsnorm_group_quant_kernelItDB8_Li128ELi16ELi8ELb1ELb0ELb0ELb0ELb0ELb0EEEvPT0_PvPT_S6_S6_PKS5_S8_S8_S8_S8_ffiiiiiiiiiiiii
	.globl	_ZN5aiter35fused_qk_rmsnorm_group_quant_kernelItDB8_Li128ELi16ELi8ELb1ELb0ELb0ELb0ELb0ELb0EEEvPT0_PvPT_S6_S6_PKS5_S8_S8_S8_S8_ffiiiiiiiiiiiii
	.p2align	8
	.type	_ZN5aiter35fused_qk_rmsnorm_group_quant_kernelItDB8_Li128ELi16ELi8ELb1ELb0ELb0ELb0ELb0ELb0EEEvPT0_PvPT_S6_S6_PKS5_S8_S8_S8_S8_ffiiiiiiiiiiiii,@function
_ZN5aiter35fused_qk_rmsnorm_group_quant_kernelItDB8_Li128ELi16ELi8ELb1ELb0ELb0ELb0ELb0ELb0EEEvPT0_PvPT_S6_S6_PKS5_S8_S8_S8_S8_ffiiiiiiiiiiiii: ; @_ZN5aiter35fused_qk_rmsnorm_group_quant_kernelItDB8_Li128ELi16ELi8ELb1ELb0ELb0ELb0ELb0ELb0EEEvPT0_PvPT_S6_S6_PKS5_S8_S8_S8_S8_ffiiiiiiiiiiiii
; %bb.0:
	s_load_dwordx8 s[12:19], s[4:5], 0x50
	s_waitcnt lgkmcnt(0)
	s_cmp_ge_i32 s6, s14
	s_cbranch_scc1 .LBB630_17
; %bb.1:
	s_cmp_lg_u32 s7, 0
	s_cselect_b64 s[10:11], -1, 0
	s_cmp_eq_u32 s7, 0
	s_cselect_b64 s[8:9], -1, 0
	s_and_b64 s[0:1], s[8:9], exec
	s_load_dwordx2 s[20:21], s[4:5], 0x48
	s_load_dwordx2 s[36:37], s[4:5], 0x30
	s_load_dwordx4 s[24:27], s[4:5], 0x70
	s_cselect_b32 s7, s15, s16
	s_add_i32 s0, s7, 1
	s_lshr_b32 s1, s0, 31
	s_add_i32 s0, s0, s1
	s_lshl_b32 s0, s0, 1
	v_lshlrev_b32_e32 v1, 4, v0
	s_and_b32 s30, s0, -4
	v_cmp_gt_i32_e64 s[0:1], s7, v1
	v_mov_b32_e32 v82, 0
	v_mov_b32_e32 v83, 0
	;; [unrolled: 1-line block ×16, first 2 shown]
	s_and_saveexec_b64 s[2:3], s[0:1]
	s_cbranch_execz .LBB630_3
; %bb.2:
	s_load_dwordx2 s[22:23], s[4:5], 0x28
	s_load_dwordx2 s[28:29], s[4:5], 0x40
	s_and_b64 s[34:35], s[8:9], exec
	s_cselect_b32 s14, s17, s18
	s_mov_b32 s31, 0x20000
	s_waitcnt lgkmcnt(0)
	s_cselect_b32 s17, s23, s37
	s_cselect_b32 s27, s22, s36
	s_mul_hi_i32 s23, s14, s6
	s_mul_i32 s22, s14, s6
	s_lshl_b64 s[22:23], s[22:23], 1
	s_add_u32 s40, s27, s22
	s_addc_u32 s14, s17, s23
	s_and_b64 s[22:23], s[8:9], exec
	s_cselect_b32 s28, s28, s20
	s_cselect_b32 s17, s29, s21
	s_and_b32 s41, s14, 0xffff
	s_mov_b32 s42, s30
	s_mov_b32 s43, s31
	v_lshlrev_b32_e32 v2, 5, v0
	s_and_b32 s29, s17, 0xffff
	buffer_load_dwordx4 v[86:89], v2, s[40:43], 0 offen
	buffer_load_dwordx4 v[90:93], v2, s[40:43], 16 offen
	;; [unrolled: 1-line block ×4, first 2 shown]
.LBB630_3:
	s_or_b64 exec, exec, s[2:3]
	s_load_dwordx2 s[34:35], s[4:5], 0x80
	s_and_b64 vcc, exec, s[10:11]
	s_cbranch_vccz .LBB630_7
; %bb.4:
	v_mov_b32_e32 v95, 0
	v_mov_b32_e32 v94, 0
	;; [unrolled: 1-line block ×16, first 2 shown]
	s_and_saveexec_b64 s[2:3], s[0:1]
	s_cbranch_execz .LBB630_6
; %bb.5:
	s_waitcnt vmcnt(3)
	v_cvt_f32_u32_sdwa v62, v86 dst_sel:DWORD dst_unused:UNUSED_PAD src0_sel:WORD_0
	v_cvt_f32_u32_sdwa v63, v86 dst_sel:DWORD dst_unused:UNUSED_PAD src0_sel:WORD_1
	v_cvt_f32_u32_sdwa v24, v87 dst_sel:DWORD dst_unused:UNUSED_PAD src0_sel:WORD_0
	v_cvt_f32_u32_sdwa v25, v87 dst_sel:DWORD dst_unused:UNUSED_PAD src0_sel:WORD_1
	;; [unrolled: 2-line block ×4, first 2 shown]
	s_waitcnt vmcnt(2)
	v_cvt_f32_u32_sdwa v42, v90 dst_sel:DWORD dst_unused:UNUSED_PAD src0_sel:WORD_0
	v_cvt_f32_u32_sdwa v43, v90 dst_sel:DWORD dst_unused:UNUSED_PAD src0_sel:WORD_1
	v_cvt_f32_u32_sdwa v18, v91 dst_sel:DWORD dst_unused:UNUSED_PAD src0_sel:WORD_0
	v_cvt_f32_u32_sdwa v19, v91 dst_sel:DWORD dst_unused:UNUSED_PAD src0_sel:WORD_1
	;; [unrolled: 2-line block ×4, first 2 shown]
.LBB630_6:
	s_or_b64 exec, exec, s[2:3]
	s_cbranch_execz .LBB630_8
	s_branch .LBB630_11
.LBB630_7:
                                        ; implicit-def: $vgpr22_vgpr23_vgpr24_vgpr25_vgpr26_vgpr27_vgpr28_vgpr29_vgpr30_vgpr31_vgpr32_vgpr33_vgpr34_vgpr35_vgpr36_vgpr37
                                        ; implicit-def: $vgpr46_vgpr47_vgpr48_vgpr49_vgpr50_vgpr51_vgpr52_vgpr53_vgpr54_vgpr55_vgpr56_vgpr57_vgpr58_vgpr59_vgpr60_vgpr61
                                        ; implicit-def: $vgpr26_vgpr27_vgpr28_vgpr29_vgpr30_vgpr31_vgpr32_vgpr33_vgpr34_vgpr35_vgpr36_vgpr37_vgpr38_vgpr39_vgpr40_vgpr41
                                        ; implicit-def: $vgpr8_vgpr9_vgpr10_vgpr11_vgpr12_vgpr13_vgpr14_vgpr15_vgpr16_vgpr17_vgpr18_vgpr19_vgpr20_vgpr21_vgpr22_vgpr23
                                        ; implicit-def: $vgpr95
                                        ; implicit-def: $vgpr62_vgpr63_vgpr64_vgpr65_vgpr66_vgpr67_vgpr68_vgpr69_vgpr70_vgpr71_vgpr72_vgpr73_vgpr74_vgpr75_vgpr76_vgpr77
                                        ; implicit-def: $vgpr34_vgpr35_vgpr36_vgpr37_vgpr38_vgpr39_vgpr40_vgpr41_vgpr42_vgpr43_vgpr44_vgpr45_vgpr46_vgpr47_vgpr48_vgpr49
                                        ; implicit-def: $vgpr2_vgpr3_vgpr4_vgpr5_vgpr6_vgpr7_vgpr8_vgpr9_vgpr10_vgpr11_vgpr12_vgpr13_vgpr14_vgpr15_vgpr16_vgpr17
.LBB630_8:
	v_mov_b32_e32 v95, 0
	v_mov_b32_e32 v94, 0
	;; [unrolled: 1-line block ×16, first 2 shown]
	s_and_saveexec_b64 s[2:3], s[0:1]
	s_cbranch_execz .LBB630_10
; %bb.9:
	s_load_dwordx2 s[22:23], s[4:5], 0x38
	s_mul_hi_i32 s29, s19, s6
	s_mul_i32 s28, s19, s6
	s_lshl_b64 s[28:29], s[28:29], 1
	s_mov_b32 s31, 0x20000
	s_waitcnt lgkmcnt(0)
	s_add_u32 s28, s22, s28
	s_addc_u32 s14, s23, s29
	s_and_b32 s29, s14, 0xffff
	v_lshlrev_b32_e32 v38, 5, v0
	buffer_load_dwordx4 v[4:7], v38, s[28:31], 16 offen
	buffer_load_dwordx4 v[8:11], v38, s[28:31], 0 offen
	s_load_dwordx2 s[22:23], s[4:5], 0x20
	s_waitcnt vmcnt(5)
	v_cvt_f32_u32_sdwa v19, v86 dst_sel:DWORD dst_unused:UNUSED_PAD src0_sel:WORD_1
	v_cvt_f32_u32_sdwa v18, v86 dst_sel:DWORD dst_unused:UNUSED_PAD src0_sel:WORD_0
	v_cvt_f32_u32_sdwa v21, v87 dst_sel:DWORD dst_unused:UNUSED_PAD src0_sel:WORD_1
	v_cvt_f32_u32_sdwa v20, v87 dst_sel:DWORD dst_unused:UNUSED_PAD src0_sel:WORD_0
	;; [unrolled: 2-line block ×4, first 2 shown]
	s_waitcnt vmcnt(4)
	v_cvt_f32_u32_sdwa v3, v90 dst_sel:DWORD dst_unused:UNUSED_PAD src0_sel:WORD_1
	v_cvt_f32_u32_sdwa v2, v90 dst_sel:DWORD dst_unused:UNUSED_PAD src0_sel:WORD_0
	v_cvt_f32_u32_sdwa v13, v91 dst_sel:DWORD dst_unused:UNUSED_PAD src0_sel:WORD_1
	v_cvt_f32_u32_sdwa v12, v91 dst_sel:DWORD dst_unused:UNUSED_PAD src0_sel:WORD_0
	;; [unrolled: 2-line block ×3, first 2 shown]
	v_cvt_f32_u32_sdwa v16, v93 dst_sel:DWORD dst_unused:UNUSED_PAD src0_sel:WORD_0
	v_cvt_f32_u32_sdwa v17, v93 dst_sel:DWORD dst_unused:UNUSED_PAD src0_sel:WORD_1
	s_mul_hi_i32 s29, s35, s6
	s_mul_i32 s28, s35, s6
	s_lshl_b64 s[28:29], s[28:29], 1
	s_waitcnt lgkmcnt(0)
	s_add_u32 s28, s22, s28
	s_mov_b32 s14, 0x7060302
	s_addc_u32 s17, s23, s29
	s_and_b32 s29, s17, 0xffff
	s_waitcnt vmcnt(1)
	v_cvt_f32_u32_sdwa v27, v4 dst_sel:DWORD dst_unused:UNUSED_PAD src0_sel:WORD_1
	v_cvt_f32_u32_sdwa v26, v4 dst_sel:DWORD dst_unused:UNUSED_PAD src0_sel:WORD_0
	v_cvt_f32_u32_sdwa v29, v5 dst_sel:DWORD dst_unused:UNUSED_PAD src0_sel:WORD_1
	v_cvt_f32_u32_sdwa v28, v5 dst_sel:DWORD dst_unused:UNUSED_PAD src0_sel:WORD_0
	;; [unrolled: 2-line block ×3, first 2 shown]
	v_cvt_f32_u32_sdwa v34, v7 dst_sel:DWORD dst_unused:UNUSED_PAD src0_sel:WORD_0
	v_cvt_f32_u32_sdwa v35, v7 dst_sel:DWORD dst_unused:UNUSED_PAD src0_sel:WORD_1
	s_waitcnt vmcnt(0)
	v_cvt_f32_u32_sdwa v37, v8 dst_sel:DWORD dst_unused:UNUSED_PAD src0_sel:WORD_1
	v_cvt_f32_u32_sdwa v36, v8 dst_sel:DWORD dst_unused:UNUSED_PAD src0_sel:WORD_0
	v_cvt_f32_u32_sdwa v5, v10 dst_sel:DWORD dst_unused:UNUSED_PAD src0_sel:WORD_1
	v_cvt_f32_u32_sdwa v4, v10 dst_sel:DWORD dst_unused:UNUSED_PAD src0_sel:WORD_0
	v_cvt_f32_u32_sdwa v7, v11 dst_sel:DWORD dst_unused:UNUSED_PAD src0_sel:WORD_1
	v_cvt_f32_u32_sdwa v6, v11 dst_sel:DWORD dst_unused:UNUSED_PAD src0_sel:WORD_0
	v_cvt_f32_u32_sdwa v11, v9 dst_sel:DWORD dst_unused:UNUSED_PAD src0_sel:WORD_1
	v_cvt_f32_u32_sdwa v10, v9 dst_sel:DWORD dst_unused:UNUSED_PAD src0_sel:WORD_0
	v_pk_add_f32 v[50:51], v[22:23], v[4:5]
	v_pk_add_f32 v[32:33], v[24:25], v[6:7]
	;; [unrolled: 1-line block ×4, first 2 shown]
	v_perm_b32 v7, v33, v32, s14
	v_perm_b32 v6, v51, v50, s14
	;; [unrolled: 1-line block ×4, first 2 shown]
	v_pk_add_f32 v[94:95], v[16:17], v[34:35]
	v_pk_add_f32 v[14:15], v[14:15], v[30:31]
	;; [unrolled: 1-line block ×4, first 2 shown]
	buffer_store_dwordx4 v[4:7], v38, s[28:31], 0 offen
	;;#ASMSTART
	s_nop 0
	;;#ASMEND
	s_nop 0
	v_perm_b32 v7, v95, v94, s14
	v_perm_b32 v6, v15, v14, s14
	;; [unrolled: 1-line block ×4, first 2 shown]
	buffer_store_dwordx4 v[4:7], v38, s[28:31], 16 offen
	;;#ASMSTART
	s_nop 0
	;;#ASMEND
.LBB630_10:
	s_or_b64 exec, exec, s[2:3]
.LBB630_11:
	v_mul_f32_e32 v2, v63, v63
	v_fmac_f32_e32 v2, v62, v62
	v_fmac_f32_e32 v2, v24, v24
	;; [unrolled: 1-line block ×15, first 2 shown]
	s_nop 1
	v_mov_b32_dpp v3, v2 quad_perm:[1,0,3,2] row_mask:0xf bank_mask:0xf
	v_add_f32_e32 v2, v2, v3
	s_nop 1
	v_mov_b32_dpp v3, v2 quad_perm:[2,3,0,1] row_mask:0xf bank_mask:0xf
	v_add_f32_e32 v2, v2, v3
	s_nop 1
	v_mov_b32_dpp v3, v2 row_half_mirror row_mask:0xf bank_mask:0xf
	v_add_f32_e32 v2, v2, v3
	s_nop 1
	v_mov_b32_dpp v3, v2 row_mirror row_mask:0xf bank_mask:0xf
	v_add_f32_e32 v2, v2, v3
	s_nop 1
	v_mov_b32_dpp v3, v2 row_bcast:15 row_mask:0xf bank_mask:0xf
	v_add_f32_e32 v2, v2, v3
	v_and_b32_e32 v3, 63, v0
	v_cmp_eq_u32_e64 s[2:3], 63, v3
	s_nop 0
	v_mov_b32_dpp v3, v2 row_bcast:31 row_mask:0xf bank_mask:0xf
	s_and_saveexec_b64 s[22:23], s[2:3]
	s_cbranch_execz .LBB630_13
; %bb.12:
	v_add_f32_e32 v2, v2, v3
	v_lshrrev_b32_e32 v3, 4, v0
	v_and_b32_e32 v3, 60, v3
	ds_write_b32 v3, v2 offset:8
.LBB630_13:
	s_or_b64 exec, exec, s[22:23]
	v_and_b32_e32 v2, 1, v0
	v_lshlrev_b32_e32 v34, 2, v2
	s_waitcnt lgkmcnt(0)
	s_barrier
	ds_read_b32 v2, v34 offset:8
	s_load_dwordx2 s[38:39], s[4:5], 0x18
	s_waitcnt lgkmcnt(0)
	v_mov_b32_dpp v3, v2 quad_perm:[1,0,3,2] row_mask:0xf bank_mask:0xf
	s_and_saveexec_b64 s[22:23], s[0:1]
	s_cbranch_execnz .LBB630_18
; %bb.14:
	s_or_b64 exec, exec, s[22:23]
	s_mov_b64 s[8:9], -1
	s_and_b64 vcc, exec, s[10:11]
	s_cbranch_vccnz .LBB630_19
.LBB630_15:
	s_andn2_b64 vcc, exec, s[8:9]
	s_cbranch_vccz .LBB630_22
.LBB630_16:
	s_cmp_lt_i32 s16, 1
	s_cbranch_scc0 .LBB630_29
.LBB630_17:
	s_endpgm
.LBB630_18:
	v_add_f32_e32 v2, v2, v3
	v_cvt_f32_u32_e32 v3, s7
	s_mov_b32 s7, 0x800000
	s_waitcnt vmcnt(1)
	v_cvt_f32_u32_sdwa v21, v83 dst_sel:DWORD dst_unused:UNUSED_PAD src0_sel:WORD_1
	v_cvt_f32_u32_sdwa v20, v83 dst_sel:DWORD dst_unused:UNUSED_PAD src0_sel:WORD_0
	v_div_scale_f32 v4, s[28:29], v3, v3, v2
	v_rcp_f32_e32 v5, v4
	s_waitcnt vmcnt(0)
	v_cvt_f32_u32_sdwa v23, v80 dst_sel:DWORD dst_unused:UNUSED_PAD src0_sel:WORD_1
	v_cvt_f32_u32_sdwa v22, v80 dst_sel:DWORD dst_unused:UNUSED_PAD src0_sel:WORD_0
	v_cvt_f32_u32_sdwa v27, v81 dst_sel:DWORD dst_unused:UNUSED_PAD src0_sel:WORD_1
	v_fma_f32 v6, -v4, v5, 1.0
	v_fmac_f32_e32 v5, v6, v5
	v_div_scale_f32 v6, vcc, v2, v3, v2
	v_mul_f32_e32 v7, v6, v5
	v_fma_f32 v8, -v4, v7, v6
	v_fmac_f32_e32 v7, v8, v5
	v_fma_f32 v4, -v4, v7, v6
	v_div_fmas_f32 v4, v4, v5, v7
	v_div_fixup_f32 v2, v4, v3, v2
	v_mov_b32_e32 v3, s13
	v_mov_b32_e32 v4, s12
	v_cndmask_b32_e64 v3, v3, v4, s[8:9]
	v_add_f32_e32 v2, v3, v2
	v_mul_f32_e32 v3, 0x4b800000, v2
	v_cmp_gt_f32_e32 vcc, s7, v2
	v_cndmask_b32_e32 v2, v2, v3, vcc
	v_rsq_f32_e32 v2, v2
	v_cvt_f32_u32_sdwa v26, v81 dst_sel:DWORD dst_unused:UNUSED_PAD src0_sel:WORD_0
	v_mul_f32_e32 v3, 0x45800000, v2
	v_cndmask_b32_e32 v2, v2, v3, vcc
	v_mov_b32_e32 v3, v2
	;;#ASMSTART
	v_pk_mul_f32 v[4:5], v[62:63], v[2:3]
	;;#ASMEND
	;;#ASMSTART
	v_pk_mul_f32 v[6:7], v[24:25], v[2:3]
	;;#ASMEND
	;; [unrolled: 3-line block ×6, first 2 shown]
	v_cvt_f32_u32_sdwa v19, v82 dst_sel:DWORD dst_unused:UNUSED_PAD src0_sel:WORD_1
	v_cvt_f32_u32_sdwa v18, v82 dst_sel:DWORD dst_unused:UNUSED_PAD src0_sel:WORD_0
	;;#ASMSTART
	v_pk_mul_f32 v[14:15], v[14:15], v[2:3]
	;;#ASMEND
	;;#ASMSTART
	v_pk_mul_f32 v[2:3], v[94:95], v[2:3]
	;;#ASMEND
	;; [unrolled: 3-line block ×3, first 2 shown]
	v_cvt_f32_u32_sdwa v19, v78 dst_sel:DWORD dst_unused:UNUSED_PAD src0_sel:WORD_1
	v_cvt_f32_u32_sdwa v18, v78 dst_sel:DWORD dst_unused:UNUSED_PAD src0_sel:WORD_0
	;;#ASMSTART
	v_pk_mul_f32 v[24:25], v[6:7], v[20:21]
	;;#ASMEND
	v_cvt_f32_u32_sdwa v5, v84 dst_sel:DWORD dst_unused:UNUSED_PAD src0_sel:WORD_1
	v_cvt_f32_u32_sdwa v4, v84 dst_sel:DWORD dst_unused:UNUSED_PAD src0_sel:WORD_0
	v_cvt_f32_u32_sdwa v7, v85 dst_sel:DWORD dst_unused:UNUSED_PAD src0_sel:WORD_1
	v_cvt_f32_u32_sdwa v6, v85 dst_sel:DWORD dst_unused:UNUSED_PAD src0_sel:WORD_0
	;; [unrolled: 2-line block ×3, first 2 shown]
	;;#ASMSTART
	v_pk_mul_f32 v[50:51], v[8:9], v[4:5]
	;;#ASMEND
	;;#ASMSTART
	v_pk_mul_f32 v[32:33], v[10:11], v[6:7]
	;;#ASMEND
	;; [unrolled: 3-line block ×6, first 2 shown]
	s_or_b64 exec, exec, s[22:23]
	s_mov_b64 s[8:9], -1
	s_and_b64 vcc, exec, s[10:11]
	s_cbranch_vccz .LBB630_15
.LBB630_19:
	s_and_saveexec_b64 s[8:9], s[0:1]
	s_cbranch_execz .LBB630_21
; %bb.20:
	s_mul_hi_i32 s11, s34, s6
	s_mul_i32 s10, s34, s6
	s_lshl_b64 s[10:11], s[10:11], 1
	s_add_u32 s28, s38, s10
	s_addc_u32 s7, s39, s11
	s_and_b32 s29, s7, 0xffff
	s_mov_b32 s7, 0x7060302
	s_mov_b32 s31, 0x20000
	v_perm_b32 v5, v33, v32, s7
	v_perm_b32 v4, v51, v50, s7
	;; [unrolled: 1-line block ×4, first 2 shown]
	v_lshlrev_b32_e32 v6, 5, v0
	buffer_store_dwordx4 v[2:5], v6, s[28:31], 0 offen
	;;#ASMSTART
	s_nop 0
	;;#ASMEND
	s_nop 0
	v_perm_b32 v5, v95, v94, s7
	v_perm_b32 v4, v15, v14, s7
	;; [unrolled: 1-line block ×4, first 2 shown]
	buffer_store_dwordx4 v[2:5], v6, s[28:31], 16 offen
	;;#ASMSTART
	s_nop 0
	;;#ASMEND
.LBB630_21:
	s_or_b64 exec, exec, s[8:9]
	s_cbranch_execnz .LBB630_16
.LBB630_22:
	v_mov_b32_e32 v2, 0
	s_and_saveexec_b64 s[8:9], s[0:1]
	s_cbranch_execz .LBB630_24
; %bb.23:
	v_and_b32_e32 v2, 0x7fffffff, v62
	v_and_b32_e32 v3, 0x7fffffff, v63
	v_mov_b32_e32 v4, 0x2edbe6ff
	;;#ASMSTART
	v_max3_f32 v2, v4, v2, v3

	;;#ASMEND
	v_and_b32_e32 v3, 0x7fffffff, v24
	v_and_b32_e32 v4, 0x7fffffff, v25
	;;#ASMSTART
	v_max3_f32 v2, v2, v3, v4

	;;#ASMEND
	v_and_b32_e32 v3, 0x7fffffff, v50
	v_and_b32_e32 v4, 0x7fffffff, v51
	;; [unrolled: 6-line block ×7, first 2 shown]
	;;#ASMSTART
	v_max3_f32 v2, v2, v3, v4

	;;#ASMEND
.LBB630_24:
	s_or_b64 exec, exec, s[8:9]
	;;#ASMSTART
	v_max_f32 v3, v2, v2 quad_perm:[1,0,3,2] row_mask:0xf bank_mask:0xf bound_ctrl:1
	;;#ASMEND
	;;#ASMSTART
	v_max_f32 v2, v3, v3 quad_perm:[2,3,0,1] row_mask:0xf bank_mask:0xf bound_ctrl:1
	;;#ASMEND
	;;#ASMSTART
	v_max_f32 v3, v2, v2 row_half_mirror row_mask:0xf bank_mask:0xf bound_ctrl:1
	;;#ASMEND
	v_mul_f32_e32 v2, 0x3b124925, v3
	v_and_b32_e32 v3, 7, v0
	v_cmp_eq_u32_e32 vcc, 0, v3
	v_cmp_gt_i32_e64 s[8:9], s15, v1
	s_and_b64 s[10:11], vcc, s[8:9]
	s_and_saveexec_b64 s[8:9], s[10:11]
	s_cbranch_execz .LBB630_26
; %bb.25:
	s_load_dwordx2 s[10:11], s[4:5], 0x8
	s_mul_hi_i32 s23, s25, s6
	s_mul_i32 s22, s25, s6
	v_lshrrev_b32_e32 v3, 3, v0
	s_lshl_b64 s[22:23], s[22:23], 2
	v_mad_i64_i32 v[4:5], s[26:27], s26, v3, 0
	s_waitcnt lgkmcnt(0)
	s_add_u32 s7, s10, s22
	s_addc_u32 s10, s11, s23
	v_lshlrev_b64 v[4:5], 2, v[4:5]
	v_mov_b32_e32 v3, s10
	v_add_co_u32_e32 v4, vcc, s7, v4
	v_addc_co_u32_e32 v5, vcc, v3, v5, vcc
	global_store_dword v[4:5], v2, off
.LBB630_26:
	s_or_b64 exec, exec, s[8:9]
	;;#ASMSTART
	v_rcp_f32 v2, v2
	;;#ASMEND
	s_and_saveexec_b64 s[22:23], s[0:1]
	s_cbranch_execz .LBB630_28
; %bb.27:
	v_mov_b32_e32 v3, v2
	;;#ASMSTART
	v_pk_mul_f32 v[4:5], v[62:63], v[2:3]
	;;#ASMEND
	v_mov_b32_e32 v10, 0xc3e00000
	v_mov_b32_e32 v11, 0x43e00000
	;;#ASMSTART
	v_med3_f32 v4, v4, v10, v11
v_med3_f32 v5, v5, v10, v11
v_cvt_pk_fp8_f32 v6, v4, v5
	;;#ASMEND
	;;#ASMSTART
	v_pk_mul_f32 v[4:5], v[24:25], v[2:3]
	;;#ASMEND
	;;#ASMSTART
	v_med3_f32 v4, v4, v10, v11
v_med3_f32 v5, v5, v10, v11
v_cvt_pk_fp8_f32 v7, v4, v5
	;;#ASMEND
	;;#ASMSTART
	v_pk_mul_f32 v[4:5], v[50:51], v[2:3]
	;;#ASMEND
	;; [unrolled: 8-line block ×3, first 2 shown]
	;;#ASMSTART
	v_med3_f32 v4, v4, v10, v11
v_med3_f32 v5, v5, v10, v11
v_cvt_pk_fp8_f32 v9, v4, v5
	;;#ASMEND
	s_mov_b32 s0, 0x5040100
	v_perm_b32 v4, v7, v6, s0
	s_mov_b32 s0, 0x1060504
	v_perm_b32 v4, v4, v7, s0
	s_load_dwordx2 s[0:1], s[4:5], 0x0
	s_mov_b32 s7, 0x1000504
	;;#ASMSTART
	v_pk_mul_f32 v[6:7], v[42:43], v[2:3]
	;;#ASMEND
	v_perm_b32 v5, v8, v9, s7
	s_mul_i32 s8, s24, s6
	;;#ASMSTART
	v_med3_f32 v6, v6, v10, v11
v_med3_f32 v7, v7, v10, v11
v_cvt_pk_fp8_f32 v8, v6, v7
	;;#ASMEND
	s_mul_hi_i32 s9, s24, s6
	s_waitcnt lgkmcnt(0)
	s_add_u32 s8, s0, s8
	;;#ASMSTART
	v_pk_mul_f32 v[6:7], v[18:19], v[2:3]
	;;#ASMEND
	s_addc_u32 s0, s1, s9
	s_add_i32 s1, s15, 3
	;;#ASMSTART
	v_med3_f32 v6, v6, v10, v11
v_med3_f32 v7, v7, v10, v11
v_cvt_pk_fp8_f32 v9, v6, v7
	;;#ASMEND
	s_ashr_i32 s9, s1, 31
	v_perm_b32 v6, v8, v9, s7
	;;#ASMSTART
	v_pk_mul_f32 v[8:9], v[14:15], v[2:3]
	;;#ASMEND
	v_mov_b32_e32 v7, v9
	s_lshr_b32 s9, s9, 30
	;;#ASMSTART
	v_med3_f32 v8, v8, v10, v11
v_med3_f32 v7, v7, v10, v11
v_cvt_pk_fp8_f32 v9, v8, v7
	;;#ASMEND
	;;#ASMSTART
	v_pk_mul_f32 v[2:3], v[94:95], v[2:3]
	;;#ASMEND
	s_add_i32 s1, s1, s9
	;;#ASMSTART
	v_med3_f32 v2, v2, v10, v11
v_med3_f32 v3, v3, v10, v11
v_cvt_pk_fp8_f32 v7, v2, v3
	;;#ASMEND
	s_and_b32 s10, s1, -4
	s_and_b32 s9, s0, 0xffff
	s_mov_b32 s11, 0x20000
	v_perm_b32 v7, v9, v7, s7
	buffer_store_dwordx4 v[4:7], v1, s[8:11], 0 offen
	;;#ASMSTART
	s_nop 0
	;;#ASMEND
.LBB630_28:
	s_or_b64 exec, exec, s[22:23]
	s_cmp_lt_i32 s16, 1
	s_cbranch_scc1 .LBB630_17
.LBB630_29:
	s_load_dword s0, s[4:5], 0x94
	s_waitcnt lgkmcnt(0)
	s_cmp_lg_u32 s0, 1
	s_cbranch_scc1 .LBB630_17
; %bb.30:
	s_lshl_b32 s0, s16, 1
	s_add_i32 s0, s0, 2
	v_cmp_gt_u32_e32 vcc, s16, v1
	s_and_b32 s22, s0, -4
	v_mov_b32_e32 v18, 0
	v_lshlrev_b32_e32 v1, 5, v0
	v_mov_b32_e32 v14, 0
	v_mov_b32_e32 v15, 0
	;; [unrolled: 1-line block ×16, first 2 shown]
	s_barrier
	s_and_saveexec_b64 s[0:1], vcc
	s_cbranch_execz .LBB630_32
; %bb.31:
	s_mul_hi_i32 s5, s18, s6
	s_mul_i32 s4, s18, s6
	s_and_b32 s21, s21, 0xffff
	s_lshl_b64 s[4:5], s[4:5], 1
	s_add_u32 s8, s36, s4
	s_mov_b32 s23, 0x20000
	s_addc_u32 s4, s37, s5
	s_and_b32 s9, s4, 0xffff
	s_mov_b32 s10, s22
	s_mov_b32 s11, s23
	buffer_load_dwordx4 v[14:17], v1, s[8:11], 0 offen
	buffer_load_dwordx4 v[10:13], v1, s[8:11], 16 offen
	;; [unrolled: 1-line block ×4, first 2 shown]
.LBB630_32:
	s_or_b64 exec, exec, s[0:1]
	v_mov_b32_e32 v19, 0
	v_mov_b32_e32 v32, 0
	;; [unrolled: 1-line block ×15, first 2 shown]
	s_and_saveexec_b64 s[0:1], vcc
	s_cbranch_execz .LBB630_34
; %bb.33:
	s_waitcnt vmcnt(3)
	v_cvt_f32_u32_sdwa v18, v14 dst_sel:DWORD dst_unused:UNUSED_PAD src0_sel:WORD_0
	v_cvt_f32_u32_sdwa v19, v14 dst_sel:DWORD dst_unused:UNUSED_PAD src0_sel:WORD_1
	v_cvt_f32_u32_sdwa v32, v15 dst_sel:DWORD dst_unused:UNUSED_PAD src0_sel:WORD_0
	v_cvt_f32_u32_sdwa v33, v15 dst_sel:DWORD dst_unused:UNUSED_PAD src0_sel:WORD_1
	;; [unrolled: 2-line block ×4, first 2 shown]
	s_waitcnt vmcnt(2)
	v_cvt_f32_u32_sdwa v26, v10 dst_sel:DWORD dst_unused:UNUSED_PAD src0_sel:WORD_0
	v_cvt_f32_u32_sdwa v27, v10 dst_sel:DWORD dst_unused:UNUSED_PAD src0_sel:WORD_1
	v_cvt_f32_u32_sdwa v24, v11 dst_sel:DWORD dst_unused:UNUSED_PAD src0_sel:WORD_0
	v_cvt_f32_u32_sdwa v25, v11 dst_sel:DWORD dst_unused:UNUSED_PAD src0_sel:WORD_1
	;; [unrolled: 2-line block ×4, first 2 shown]
.LBB630_34:
	s_or_b64 exec, exec, s[0:1]
	s_waitcnt vmcnt(2)
	v_mul_f32_e32 v10, v19, v19
	v_fmac_f32_e32 v10, v18, v18
	v_fmac_f32_e32 v10, v32, v32
	;; [unrolled: 1-line block ×15, first 2 shown]
	s_nop 1
	v_mov_b32_dpp v11, v10 quad_perm:[1,0,3,2] row_mask:0xf bank_mask:0xf
	v_add_f32_e32 v10, v10, v11
	s_nop 1
	v_mov_b32_dpp v11, v10 quad_perm:[2,3,0,1] row_mask:0xf bank_mask:0xf
	v_add_f32_e32 v10, v10, v11
	s_nop 1
	v_mov_b32_dpp v11, v10 row_half_mirror row_mask:0xf bank_mask:0xf
	v_add_f32_e32 v10, v10, v11
	s_nop 1
	v_mov_b32_dpp v11, v10 row_mirror row_mask:0xf bank_mask:0xf
	v_add_f32_e32 v10, v10, v11
	s_nop 1
	v_mov_b32_dpp v11, v10 row_bcast:15 row_mask:0xf bank_mask:0xf
	v_add_f32_e32 v10, v10, v11
	s_nop 1
	v_mov_b32_dpp v11, v10 row_bcast:31 row_mask:0xf bank_mask:0xf
	s_and_saveexec_b64 s[0:1], s[2:3]
	s_cbranch_execz .LBB630_36
; %bb.35:
	v_lshrrev_b32_e32 v0, 4, v0
	v_add_f32_e32 v10, v10, v11
	v_and_b32_e32 v0, 60, v0
	ds_write_b32 v0, v10
.LBB630_36:
	s_or_b64 exec, exec, s[0:1]
	s_waitcnt lgkmcnt(0)
	s_barrier
	ds_read_b32 v0, v34
	s_waitcnt lgkmcnt(0)
	s_nop 0
	v_mov_b32_dpp v10, v0 quad_perm:[1,0,3,2] row_mask:0xf bank_mask:0xf
	s_and_saveexec_b64 s[0:1], vcc
	s_cbranch_execz .LBB630_17
; %bb.37:
	v_cvt_f32_u32_e32 v11, s16
	v_add_f32_e32 v0, v0, v10
	s_mov_b32 s23, 0x20000
	v_div_scale_f32 v10, s[0:1], v11, v11, v0
	v_rcp_f32_e32 v12, v10
	v_div_scale_f32 v13, vcc, v0, v11, v0
	s_mov_b32 s0, 0x800000
	v_fma_f32 v14, -v10, v12, 1.0
	v_fmac_f32_e32 v12, v14, v12
	v_mul_f32_e32 v14, v13, v12
	v_fma_f32 v15, -v10, v14, v13
	v_fmac_f32_e32 v14, v15, v12
	v_fma_f32 v10, -v10, v14, v13
	v_div_fmas_f32 v10, v10, v12, v14
	v_div_fixup_f32 v0, v10, v11, v0
	v_add_f32_e32 v0, s13, v0
	v_mul_f32_e32 v10, 0x4b800000, v0
	v_cmp_gt_f32_e32 vcc, s0, v0
	v_cndmask_b32_e32 v0, v0, v10, vcc
	v_rsq_f32_e32 v0, v0
	s_mul_hi_i32 s1, s34, s6
	s_mul_i32 s0, s34, s6
	s_lshl_b64 s[0:1], s[0:1], 1
	v_mul_f32_e32 v10, 0x45800000, v0
	v_cndmask_b32_e32 v10, v0, v10, vcc
	v_mov_b32_e32 v11, v10
	s_add_u32 s20, s38, s0
	;;#ASMSTART
	v_pk_mul_f32 v[12:13], v[18:19], v[10:11]
	;;#ASMEND
	;;#ASMSTART
	v_pk_mul_f32 v[14:15], v[32:33], v[10:11]
	;;#ASMEND
	;; [unrolled: 3-line block ×8, first 2 shown]
	s_waitcnt vmcnt(1)
	v_cvt_f32_u32_sdwa v21, v6 dst_sel:DWORD dst_unused:UNUSED_PAD src0_sel:WORD_1
	v_cvt_f32_u32_sdwa v20, v6 dst_sel:DWORD dst_unused:UNUSED_PAD src0_sel:WORD_0
	v_cvt_f32_u32_sdwa v29, v7 dst_sel:DWORD dst_unused:UNUSED_PAD src0_sel:WORD_1
	v_cvt_f32_u32_sdwa v28, v7 dst_sel:DWORD dst_unused:UNUSED_PAD src0_sel:WORD_0
	;; [unrolled: 2-line block ×3, first 2 shown]
	s_addc_u32 s0, s39, s1
	v_cvt_f32_u32_sdwa v31, v9 dst_sel:DWORD dst_unused:UNUSED_PAD src0_sel:WORD_1
	v_cvt_f32_u32_sdwa v30, v9 dst_sel:DWORD dst_unused:UNUSED_PAD src0_sel:WORD_0
	;;#ASMSTART
	v_pk_mul_f32 v[8:9], v[12:13], v[20:21]
	;;#ASMEND
	;;#ASMSTART
	v_pk_mul_f32 v[12:13], v[14:15], v[28:29]
	;;#ASMEND
	;; [unrolled: 3-line block ×4, first 2 shown]
	s_waitcnt vmcnt(0)
	v_cvt_f32_u32_sdwa v17, v2 dst_sel:DWORD dst_unused:UNUSED_PAD src0_sel:WORD_1
	v_cvt_f32_u32_sdwa v16, v2 dst_sel:DWORD dst_unused:UNUSED_PAD src0_sel:WORD_0
	v_cvt_f32_u32_sdwa v19, v3 dst_sel:DWORD dst_unused:UNUSED_PAD src0_sel:WORD_1
	v_cvt_f32_u32_sdwa v18, v3 dst_sel:DWORD dst_unused:UNUSED_PAD src0_sel:WORD_0
	;; [unrolled: 2-line block ×3, first 2 shown]
	s_and_b32 s21, s0, 0xffff
	s_mov_b32 s0, 0x7060302
	v_cvt_f32_u32_sdwa v21, v5 dst_sel:DWORD dst_unused:UNUSED_PAD src0_sel:WORD_1
	v_cvt_f32_u32_sdwa v20, v5 dst_sel:DWORD dst_unused:UNUSED_PAD src0_sel:WORD_0
	;;#ASMSTART
	v_pk_mul_f32 v[16:17], v[26:27], v[16:17]
	;;#ASMEND
	;;#ASMSTART
	v_pk_mul_f32 v[18:19], v[24:25], v[18:19]
	;;#ASMEND
	;; [unrolled: 3-line block ×3, first 2 shown]
	v_perm_b32 v2, v9, v8, s0
	v_perm_b32 v3, v13, v12, s0
	v_perm_b32 v4, v7, v6, s0
	v_perm_b32 v5, v15, v14, s0
	;;#ASMSTART
	v_pk_mul_f32 v[10:11], v[10:11], v[20:21]
	;;#ASMEND
	buffer_store_dwordx4 v[2:5], v1, s[20:23], 0 offen
	;;#ASMSTART
	s_nop 0
	;;#ASMEND
	s_nop 0
	v_perm_b32 v2, v17, v16, s0
	v_perm_b32 v3, v19, v18, s0
	;; [unrolled: 1-line block ×4, first 2 shown]
	buffer_store_dwordx4 v[2:5], v1, s[20:23], 16 offen
	;;#ASMSTART
	s_nop 0
	;;#ASMEND
	s_endpgm
	.section	.rodata,"a",@progbits
	.p2align	6, 0x0
	.amdhsa_kernel _ZN5aiter35fused_qk_rmsnorm_group_quant_kernelItDB8_Li128ELi16ELi8ELb1ELb0ELb0ELb0ELb0ELb0EEEvPT0_PvPT_S6_S6_PKS5_S8_S8_S8_S8_ffiiiiiiiiiiiii
		.amdhsa_group_segment_fixed_size 16
		.amdhsa_private_segment_fixed_size 0
		.amdhsa_kernarg_size 400
		.amdhsa_user_sgpr_count 6
		.amdhsa_user_sgpr_private_segment_buffer 1
		.amdhsa_user_sgpr_dispatch_ptr 0
		.amdhsa_user_sgpr_queue_ptr 0
		.amdhsa_user_sgpr_kernarg_segment_ptr 1
		.amdhsa_user_sgpr_dispatch_id 0
		.amdhsa_user_sgpr_flat_scratch_init 0
		.amdhsa_user_sgpr_kernarg_preload_length 0
		.amdhsa_user_sgpr_kernarg_preload_offset 0
		.amdhsa_user_sgpr_private_segment_size 0
		.amdhsa_uses_dynamic_stack 0
		.amdhsa_system_sgpr_private_segment_wavefront_offset 0
		.amdhsa_system_sgpr_workgroup_id_x 1
		.amdhsa_system_sgpr_workgroup_id_y 1
		.amdhsa_system_sgpr_workgroup_id_z 0
		.amdhsa_system_sgpr_workgroup_info 0
		.amdhsa_system_vgpr_workitem_id 0
		.amdhsa_next_free_vgpr 96
		.amdhsa_next_free_sgpr 44
		.amdhsa_accum_offset 96
		.amdhsa_reserve_vcc 1
		.amdhsa_reserve_flat_scratch 0
		.amdhsa_float_round_mode_32 0
		.amdhsa_float_round_mode_16_64 0
		.amdhsa_float_denorm_mode_32 3
		.amdhsa_float_denorm_mode_16_64 3
		.amdhsa_dx10_clamp 1
		.amdhsa_ieee_mode 1
		.amdhsa_fp16_overflow 0
		.amdhsa_tg_split 0
		.amdhsa_exception_fp_ieee_invalid_op 0
		.amdhsa_exception_fp_denorm_src 0
		.amdhsa_exception_fp_ieee_div_zero 0
		.amdhsa_exception_fp_ieee_overflow 0
		.amdhsa_exception_fp_ieee_underflow 0
		.amdhsa_exception_fp_ieee_inexact 0
		.amdhsa_exception_int_div_zero 0
	.end_amdhsa_kernel
	.section	.text._ZN5aiter35fused_qk_rmsnorm_group_quant_kernelItDB8_Li128ELi16ELi8ELb1ELb0ELb0ELb0ELb0ELb0EEEvPT0_PvPT_S6_S6_PKS5_S8_S8_S8_S8_ffiiiiiiiiiiiii,"axG",@progbits,_ZN5aiter35fused_qk_rmsnorm_group_quant_kernelItDB8_Li128ELi16ELi8ELb1ELb0ELb0ELb0ELb0ELb0EEEvPT0_PvPT_S6_S6_PKS5_S8_S8_S8_S8_ffiiiiiiiiiiiii,comdat
.Lfunc_end630:
	.size	_ZN5aiter35fused_qk_rmsnorm_group_quant_kernelItDB8_Li128ELi16ELi8ELb1ELb0ELb0ELb0ELb0ELb0EEEvPT0_PvPT_S6_S6_PKS5_S8_S8_S8_S8_ffiiiiiiiiiiiii, .Lfunc_end630-_ZN5aiter35fused_qk_rmsnorm_group_quant_kernelItDB8_Li128ELi16ELi8ELb1ELb0ELb0ELb0ELb0ELb0EEEvPT0_PvPT_S6_S6_PKS5_S8_S8_S8_S8_ffiiiiiiiiiiiii
                                        ; -- End function
	.section	.AMDGPU.csdata,"",@progbits
; Kernel info:
; codeLenInByte = 4044
; NumSgprs: 48
; NumVgprs: 96
; NumAgprs: 0
; TotalNumVgprs: 96
; ScratchSize: 0
; MemoryBound: 0
; FloatMode: 240
; IeeeMode: 1
; LDSByteSize: 16 bytes/workgroup (compile time only)
; SGPRBlocks: 5
; VGPRBlocks: 11
; NumSGPRsForWavesPerEU: 48
; NumVGPRsForWavesPerEU: 96
; AccumOffset: 96
; Occupancy: 5
; WaveLimiterHint : 0
; COMPUTE_PGM_RSRC2:SCRATCH_EN: 0
; COMPUTE_PGM_RSRC2:USER_SGPR: 6
; COMPUTE_PGM_RSRC2:TRAP_HANDLER: 0
; COMPUTE_PGM_RSRC2:TGID_X_EN: 1
; COMPUTE_PGM_RSRC2:TGID_Y_EN: 1
; COMPUTE_PGM_RSRC2:TGID_Z_EN: 0
; COMPUTE_PGM_RSRC2:TIDIG_COMP_CNT: 0
; COMPUTE_PGM_RSRC3_GFX90A:ACCUM_OFFSET: 23
; COMPUTE_PGM_RSRC3_GFX90A:TG_SPLIT: 0
	.section	.text._ZN5aiter35fused_qk_rmsnorm_group_quant_kernelIDF16_N4opus5fp4_tELi128ELi16ELi8ELb1ELb0ELb0ELb0ELb0ELb0EEEvPT0_PvPT_S7_S7_PKS6_S9_S9_S9_S9_ffiiiiiiiiiiiii,"axG",@progbits,_ZN5aiter35fused_qk_rmsnorm_group_quant_kernelIDF16_N4opus5fp4_tELi128ELi16ELi8ELb1ELb0ELb0ELb0ELb0ELb0EEEvPT0_PvPT_S7_S7_PKS6_S9_S9_S9_S9_ffiiiiiiiiiiiii,comdat
	.protected	_ZN5aiter35fused_qk_rmsnorm_group_quant_kernelIDF16_N4opus5fp4_tELi128ELi16ELi8ELb1ELb0ELb0ELb0ELb0ELb0EEEvPT0_PvPT_S7_S7_PKS6_S9_S9_S9_S9_ffiiiiiiiiiiiii ; -- Begin function _ZN5aiter35fused_qk_rmsnorm_group_quant_kernelIDF16_N4opus5fp4_tELi128ELi16ELi8ELb1ELb0ELb0ELb0ELb0ELb0EEEvPT0_PvPT_S7_S7_PKS6_S9_S9_S9_S9_ffiiiiiiiiiiiii
	.globl	_ZN5aiter35fused_qk_rmsnorm_group_quant_kernelIDF16_N4opus5fp4_tELi128ELi16ELi8ELb1ELb0ELb0ELb0ELb0ELb0EEEvPT0_PvPT_S7_S7_PKS6_S9_S9_S9_S9_ffiiiiiiiiiiiii
	.p2align	8
	.type	_ZN5aiter35fused_qk_rmsnorm_group_quant_kernelIDF16_N4opus5fp4_tELi128ELi16ELi8ELb1ELb0ELb0ELb0ELb0ELb0EEEvPT0_PvPT_S7_S7_PKS6_S9_S9_S9_S9_ffiiiiiiiiiiiii,@function
_ZN5aiter35fused_qk_rmsnorm_group_quant_kernelIDF16_N4opus5fp4_tELi128ELi16ELi8ELb1ELb0ELb0ELb0ELb0ELb0EEEvPT0_PvPT_S7_S7_PKS6_S9_S9_S9_S9_ffiiiiiiiiiiiii: ; @_ZN5aiter35fused_qk_rmsnorm_group_quant_kernelIDF16_N4opus5fp4_tELi128ELi16ELi8ELb1ELb0ELb0ELb0ELb0ELb0EEEvPT0_PvPT_S7_S7_PKS6_S9_S9_S9_S9_ffiiiiiiiiiiiii
; %bb.0:
	s_load_dwordx8 s[12:19], s[4:5], 0x50
	s_waitcnt lgkmcnt(0)
	s_cmp_ge_i32 s6, s14
	s_cbranch_scc1 .LBB631_17
; %bb.1:
	s_cmp_lg_u32 s7, 0
	s_cselect_b64 s[22:23], -1, 0
	s_cmp_eq_u32 s7, 0
	s_cselect_b64 s[2:3], -1, 0
	s_and_b64 s[0:1], s[2:3], exec
	s_load_dwordx2 s[20:21], s[4:5], 0x48
	s_load_dwordx2 s[34:35], s[4:5], 0x30
	s_load_dwordx4 s[24:27], s[4:5], 0x70
	s_cselect_b32 s7, s15, s16
	s_add_i32 s0, s7, 1
	s_lshr_b32 s1, s0, 31
	s_add_i32 s0, s0, s1
	s_lshl_b32 s0, s0, 1
	v_lshlrev_b32_e32 v1, 4, v0
	s_and_b32 s30, s0, -4
	v_cmp_gt_i32_e64 s[0:1], s7, v1
	v_mov_b32_e32 v6, 0
	v_mov_b32_e32 v7, 0
	;; [unrolled: 1-line block ×16, first 2 shown]
	s_and_saveexec_b64 s[8:9], s[0:1]
	s_cbranch_execz .LBB631_3
; %bb.2:
	s_load_dwordx2 s[10:11], s[4:5], 0x28
	s_load_dwordx2 s[28:29], s[4:5], 0x40
	s_and_b64 s[36:37], s[2:3], exec
	s_cselect_b32 s14, s17, s18
	s_mov_b32 s31, 0x20000
	s_waitcnt lgkmcnt(0)
	s_cselect_b32 s17, s11, s35
	s_cselect_b32 s27, s10, s34
	s_mul_hi_i32 s11, s14, s6
	s_mul_i32 s10, s14, s6
	s_lshl_b64 s[10:11], s[10:11], 1
	s_add_u32 s36, s27, s10
	s_addc_u32 s14, s17, s11
	s_and_b64 s[10:11], s[2:3], exec
	s_cselect_b32 s28, s28, s20
	s_cselect_b32 s10, s29, s21
	s_and_b32 s37, s14, 0xffff
	s_mov_b32 s38, s30
	s_mov_b32 s39, s31
	v_lshlrev_b32_e32 v18, 5, v0
	s_and_b32 s29, s10, 0xffff
	buffer_load_dwordx4 v[10:13], v18, s[36:39], 0 offen
	buffer_load_dwordx4 v[14:17], v18, s[36:39], 16 offen
	;; [unrolled: 1-line block ×4, first 2 shown]
.LBB631_3:
	s_or_b64 exec, exec, s[8:9]
	s_load_dwordx2 s[10:11], s[4:5], 0x80
	s_and_b64 vcc, exec, s[22:23]
	s_cbranch_vccz .LBB631_7
; %bb.4:
	v_mov_b32_e32 v19, 0
	v_mov_b32_e32 v18, 0
	;; [unrolled: 1-line block ×16, first 2 shown]
	s_and_saveexec_b64 s[8:9], s[0:1]
	s_cbranch_execz .LBB631_6
; %bb.5:
	s_waitcnt vmcnt(3)
	v_cvt_f32_f16_sdwa v33, v10 dst_sel:DWORD dst_unused:UNUSED_PAD src0_sel:WORD_1
	v_cvt_f32_f16_e32 v32, v10
	v_cvt_f32_f16_sdwa v31, v11 dst_sel:DWORD dst_unused:UNUSED_PAD src0_sel:WORD_1
	v_cvt_f32_f16_e32 v30, v11
	;; [unrolled: 2-line block ×4, first 2 shown]
	s_waitcnt vmcnt(2)
	v_cvt_f32_f16_sdwa v27, v14 dst_sel:DWORD dst_unused:UNUSED_PAD src0_sel:WORD_1
	v_cvt_f32_f16_e32 v26, v14
	v_cvt_f32_f16_sdwa v23, v15 dst_sel:DWORD dst_unused:UNUSED_PAD src0_sel:WORD_1
	v_cvt_f32_f16_e32 v22, v15
	;; [unrolled: 2-line block ×4, first 2 shown]
.LBB631_6:
	s_or_b64 exec, exec, s[8:9]
	s_cbranch_execz .LBB631_8
	s_branch .LBB631_11
.LBB631_7:
                                        ; implicit-def: $vgpr19
                                        ; implicit-def: $vgpr21
                                        ; implicit-def: $vgpr23
                                        ; implicit-def: $vgpr27
                                        ; implicit-def: $vgpr25
                                        ; implicit-def: $vgpr29
                                        ; implicit-def: $vgpr31
                                        ; implicit-def: $vgpr33
.LBB631_8:
	v_mov_b32_e32 v19, 0
	v_mov_b32_e32 v18, 0
	;; [unrolled: 1-line block ×16, first 2 shown]
	s_and_saveexec_b64 s[8:9], s[0:1]
	s_cbranch_execz .LBB631_10
; %bb.9:
	s_load_dwordx2 s[28:29], s[4:5], 0x38
	s_mul_hi_i32 s37, s19, s6
	s_mul_i32 s36, s19, s6
	s_lshl_b64 s[36:37], s[36:37], 1
	s_mov_b32 s31, 0x20000
	s_waitcnt lgkmcnt(0)
	s_add_u32 s28, s28, s36
	s_addc_u32 s14, s29, s37
	s_and_b32 s29, s14, 0xffff
	v_lshlrev_b32_e32 v46, 5, v0
	buffer_load_dwordx4 v[18:21], v46, s[28:31], 16 offen
	buffer_load_dwordx4 v[22:25], v46, s[28:31], 0 offen
	s_waitcnt vmcnt(4)
	v_cvt_f32_f16_sdwa v27, v14 dst_sel:DWORD dst_unused:UNUSED_PAD src0_sel:WORD_1
	v_cvt_f32_f16_e32 v26, v14
	v_cvt_f32_f16_sdwa v29, v15 dst_sel:DWORD dst_unused:UNUSED_PAD src0_sel:WORD_1
	v_cvt_f32_f16_e32 v28, v15
	;; [unrolled: 2-line block ×8, first 2 shown]
	s_load_dwordx2 s[28:29], s[4:5], 0x20
	s_mul_hi_i32 s37, s11, s6
	s_mul_i32 s36, s11, s6
	s_lshl_b64 s[36:37], s[36:37], 1
	s_waitcnt lgkmcnt(0)
	s_add_u32 s28, s28, s36
	s_addc_u32 s11, s29, s37
	s_and_b32 s29, s11, 0xffff
	s_waitcnt vmcnt(1)
	v_cvt_f32_f16_e32 v12, v18
	v_cvt_f32_f16_sdwa v13, v18 dst_sel:DWORD dst_unused:UNUSED_PAD src0_sel:WORD_1
	v_cvt_f32_f16_e32 v18, v19
	v_cvt_f32_f16_sdwa v19, v19 dst_sel:DWORD dst_unused:UNUSED_PAD src0_sel:WORD_1
	;; [unrolled: 2-line block ×4, first 2 shown]
	s_waitcnt vmcnt(0)
	v_cvt_f32_f16_e32 v40, v22
	v_cvt_f32_f16_sdwa v41, v22 dst_sel:DWORD dst_unused:UNUSED_PAD src0_sel:WORD_1
	v_cvt_f32_f16_e32 v42, v23
	v_cvt_f32_f16_sdwa v43, v23 dst_sel:DWORD dst_unused:UNUSED_PAD src0_sel:WORD_1
	;; [unrolled: 2-line block ×4, first 2 shown]
	v_pk_add_f32 v[26:27], v[26:27], v[12:13]
	v_pk_add_f32 v[22:23], v[28:29], v[18:19]
	v_pk_add_f32 v[20:21], v[14:15], v[32:33]
	v_pk_add_f32 v[18:19], v[30:31], v[38:39]
	v_pk_add_f32 v[32:33], v[16:17], v[40:41]
	v_pk_add_f32 v[30:31], v[34:35], v[42:43]
	v_pk_add_f32 v[28:29], v[10:11], v[44:45]
	v_pk_add_f32 v[24:25], v[36:37], v[24:25]
	v_cvt_f16_f32_e32 v10, v33
	v_cvt_f16_f32_e32 v14, v32
	;; [unrolled: 1-line block ×16, first 2 shown]
	v_pack_b32_f16 v13, v17, v13
	v_pack_b32_f16 v12, v16, v12
	;; [unrolled: 1-line block ×8, first 2 shown]
	buffer_store_dwordx4 v[10:13], v46, s[28:31], 0 offen
	;;#ASMSTART
	s_nop 0
	;;#ASMEND
	buffer_store_dwordx4 v[14:17], v46, s[28:31], 16 offen
	;;#ASMSTART
	s_nop 0
	;;#ASMEND
.LBB631_10:
	s_or_b64 exec, exec, s[8:9]
.LBB631_11:
	s_waitcnt vmcnt(3)
	v_mul_f32_e32 v10, v33, v33
	v_fmac_f32_e32 v10, v32, v32
	v_fmac_f32_e32 v10, v30, v30
	v_fmac_f32_e32 v10, v31, v31
	v_fmac_f32_e32 v10, v28, v28
	v_fmac_f32_e32 v10, v29, v29
	v_fmac_f32_e32 v10, v24, v24
	v_fmac_f32_e32 v10, v25, v25
	v_fmac_f32_e32 v10, v26, v26
	v_fmac_f32_e32 v10, v27, v27
	v_fmac_f32_e32 v10, v22, v22
	v_fmac_f32_e32 v10, v23, v23
	v_fmac_f32_e32 v10, v20, v20
	v_fmac_f32_e32 v10, v21, v21
	v_fmac_f32_e32 v10, v18, v18
	v_fmac_f32_e32 v10, v19, v19
	v_and_b32_e32 v12, 63, v0
	v_cmp_eq_u32_e64 s[8:9], 63, v12
	v_mov_b32_dpp v11, v10 quad_perm:[1,0,3,2] row_mask:0xf bank_mask:0xf
	v_add_f32_e32 v10, v10, v11
	s_nop 1
	v_mov_b32_dpp v11, v10 quad_perm:[2,3,0,1] row_mask:0xf bank_mask:0xf
	v_add_f32_e32 v10, v10, v11
	s_nop 1
	v_mov_b32_dpp v11, v10 row_half_mirror row_mask:0xf bank_mask:0xf
	v_add_f32_e32 v10, v10, v11
	s_nop 1
	v_mov_b32_dpp v11, v10 row_mirror row_mask:0xf bank_mask:0xf
	v_add_f32_e32 v10, v10, v11
	s_nop 1
	v_mov_b32_dpp v11, v10 row_bcast:15 row_mask:0xf bank_mask:0xf
	v_add_f32_e32 v10, v10, v11
	s_nop 1
	v_mov_b32_dpp v11, v10 row_bcast:31 row_mask:0xf bank_mask:0xf
	s_and_saveexec_b64 s[28:29], s[8:9]
	s_cbranch_execz .LBB631_13
; %bb.12:
	v_add_f32_e32 v10, v10, v11
	v_lshrrev_b32_e32 v11, 4, v0
	v_and_b32_e32 v11, 60, v11
	ds_write_b32 v11, v10 offset:8
.LBB631_13:
	s_or_b64 exec, exec, s[28:29]
	v_and_b32_e32 v10, 1, v0
	v_lshlrev_b32_e32 v34, 2, v10
	s_waitcnt lgkmcnt(0)
	s_barrier
	ds_read_b32 v10, v34 offset:8
	s_load_dwordx2 s[36:37], s[4:5], 0x18
	s_waitcnt lgkmcnt(0)
	v_mov_b32_dpp v11, v10 quad_perm:[1,0,3,2] row_mask:0xf bank_mask:0xf
	s_and_saveexec_b64 s[28:29], s[0:1]
	s_cbranch_execnz .LBB631_18
; %bb.14:
	s_or_b64 exec, exec, s[28:29]
	s_mov_b64 s[2:3], -1
	s_and_b64 vcc, exec, s[22:23]
	s_cbranch_vccnz .LBB631_19
.LBB631_15:
	s_andn2_b64 vcc, exec, s[2:3]
	s_cbranch_vccz .LBB631_22
.LBB631_16:
	s_cmp_lt_i32 s16, 1
	s_cbranch_scc0 .LBB631_29
.LBB631_17:
	s_endpgm
.LBB631_18:
	v_cvt_f32_u32_e32 v12, s7
	v_add_f32_e32 v10, v10, v11
	s_waitcnt vmcnt(2)
	v_mov_b32_e32 v14, s13
	v_mov_b32_e32 v15, s12
	v_div_scale_f32 v11, s[38:39], v12, v12, v10
	v_rcp_f32_e32 v13, v11
	v_cndmask_b32_e64 v14, v14, v15, s[2:3]
	s_mov_b32 s2, 0x800000
	s_waitcnt vmcnt(1)
	v_cvt_f32_f16_sdwa v37, v9 dst_sel:DWORD dst_unused:UNUSED_PAD src0_sel:WORD_1
	v_fma_f32 v15, -v11, v13, 1.0
	v_fmac_f32_e32 v13, v15, v13
	v_div_scale_f32 v15, vcc, v10, v12, v10
	v_mul_f32_e32 v16, v15, v13
	v_fma_f32 v17, -v11, v16, v15
	v_fmac_f32_e32 v16, v17, v13
	v_fma_f32 v11, -v11, v16, v15
	v_div_fmas_f32 v11, v11, v13, v16
	v_div_fixup_f32 v10, v11, v12, v10
	v_add_f32_e32 v10, v14, v10
	v_mul_f32_e32 v11, 0x4b800000, v10
	v_cmp_gt_f32_e32 vcc, s2, v10
	v_cndmask_b32_e32 v10, v10, v11, vcc
	v_rsq_f32_e32 v10, v10
	v_cvt_f32_f16_e32 v36, v9
	s_waitcnt vmcnt(0)
	v_cvt_f32_f16_sdwa v9, v3 dst_sel:DWORD dst_unused:UNUSED_PAD src0_sel:WORD_1
	v_mul_f32_e32 v11, 0x45800000, v10
	v_cndmask_b32_e32 v10, v10, v11, vcc
	v_mov_b32_e32 v11, v10
	;;#ASMSTART
	v_pk_mul_f32 v[12:13], v[32:33], v[10:11]
	;;#ASMEND
	;;#ASMSTART
	v_pk_mul_f32 v[14:15], v[30:31], v[10:11]
	;;#ASMEND
	;;#ASMSTART
	v_pk_mul_f32 v[16:17], v[28:29], v[10:11]
	;;#ASMEND
	;;#ASMSTART
	v_pk_mul_f32 v[24:25], v[24:25], v[10:11]
	;;#ASMEND
	;;#ASMSTART
	v_pk_mul_f32 v[26:27], v[26:27], v[10:11]
	;;#ASMEND
	;;#ASMSTART
	v_pk_mul_f32 v[22:23], v[22:23], v[10:11]
	;;#ASMEND
	;;#ASMSTART
	v_pk_mul_f32 v[20:21], v[20:21], v[10:11]
	;;#ASMEND
	;;#ASMSTART
	v_pk_mul_f32 v[10:11], v[18:19], v[10:11]
	;;#ASMEND
	v_cvt_f32_f16_sdwa v19, v6 dst_sel:DWORD dst_unused:UNUSED_PAD src0_sel:WORD_1
	v_cvt_f32_f16_e32 v18, v6
	v_cvt_f32_f16_sdwa v29, v7 dst_sel:DWORD dst_unused:UNUSED_PAD src0_sel:WORD_1
	v_cvt_f32_f16_e32 v28, v7
	;; [unrolled: 2-line block ×3, first 2 shown]
	;;#ASMSTART
	v_pk_mul_f32 v[32:33], v[12:13], v[18:19]
	;;#ASMEND
	;;#ASMSTART
	v_pk_mul_f32 v[30:31], v[14:15], v[28:29]
	;;#ASMEND
	;; [unrolled: 3-line block ×4, first 2 shown]
	v_cvt_f32_f16_sdwa v7, v2 dst_sel:DWORD dst_unused:UNUSED_PAD src0_sel:WORD_1
	v_cvt_f32_f16_e32 v6, v2
	v_cvt_f32_f16_e32 v8, v3
	v_cvt_f32_f16_sdwa v3, v4 dst_sel:DWORD dst_unused:UNUSED_PAD src0_sel:WORD_1
	v_cvt_f32_f16_e32 v2, v4
	v_cvt_f32_f16_sdwa v13, v5 dst_sel:DWORD dst_unused:UNUSED_PAD src0_sel:WORD_1
	v_cvt_f32_f16_e32 v12, v5
	;;#ASMSTART
	v_pk_mul_f32 v[26:27], v[26:27], v[6:7]
	;;#ASMEND
	;;#ASMSTART
	v_pk_mul_f32 v[22:23], v[22:23], v[8:9]
	;;#ASMEND
	;; [unrolled: 3-line block ×4, first 2 shown]
	s_or_b64 exec, exec, s[28:29]
	s_mov_b64 s[2:3], -1
	s_and_b64 vcc, exec, s[22:23]
	s_cbranch_vccz .LBB631_15
.LBB631_19:
	s_and_saveexec_b64 s[2:3], s[0:1]
	s_cbranch_execz .LBB631_21
; %bb.20:
	s_mul_hi_i32 s23, s10, s6
	s_mul_i32 s22, s10, s6
	s_waitcnt vmcnt(0)
	v_cvt_f16_f32_e32 v2, v32
	v_cvt_f16_f32_e32 v3, v30
	;; [unrolled: 1-line block ×8, first 2 shown]
	s_lshl_b64 s[22:23], s[22:23], 1
	s_add_u32 s28, s36, s22
	s_addc_u32 s7, s37, s23
	s_and_b32 s29, s7, 0xffff
	s_mov_b32 s31, 0x20000
	v_pack_b32_f16 v5, v5, v6
	v_pack_b32_f16 v4, v4, v7
	;; [unrolled: 1-line block ×4, first 2 shown]
	v_lshlrev_b32_e32 v6, 5, v0
	buffer_store_dwordx4 v[2:5], v6, s[28:31], 0 offen
	v_cvt_f16_f32_e32 v7, v19
	v_cvt_f16_f32_e32 v2, v26
	;; [unrolled: 1-line block ×8, first 2 shown]
	v_pack_b32_f16 v5, v5, v7
	v_pack_b32_f16 v4, v4, v8
	;; [unrolled: 1-line block ×4, first 2 shown]
	;;#ASMSTART
	s_nop 0
	;;#ASMEND
	buffer_store_dwordx4 v[2:5], v6, s[28:31], 16 offen
	;;#ASMSTART
	s_nop 0
	;;#ASMEND
.LBB631_21:
	s_or_b64 exec, exec, s[2:3]
	s_cbranch_execnz .LBB631_16
.LBB631_22:
	s_waitcnt vmcnt(0)
	v_mov_b32_e32 v2, 0
	s_and_saveexec_b64 s[2:3], s[0:1]
	s_cbranch_execz .LBB631_24
; %bb.23:
	v_and_b32_e32 v2, 0x7fffffff, v32
	v_and_b32_e32 v3, 0x7fffffff, v33
	v_mov_b32_e32 v4, 0x2edbe6ff
	;;#ASMSTART
	v_max3_f32 v2, v4, v2, v3

	;;#ASMEND
	v_and_b32_e32 v3, 0x7fffffff, v30
	v_and_b32_e32 v4, 0x7fffffff, v31
	;;#ASMSTART
	v_max3_f32 v2, v2, v3, v4

	;;#ASMEND
	v_and_b32_e32 v3, 0x7fffffff, v28
	v_and_b32_e32 v4, 0x7fffffff, v29
	;;#ASMSTART
	v_max3_f32 v2, v2, v3, v4

	;;#ASMEND
	v_and_b32_e32 v3, 0x7fffffff, v24
	v_and_b32_e32 v4, 0x7fffffff, v25
	;;#ASMSTART
	v_max3_f32 v2, v2, v3, v4

	;;#ASMEND
	v_and_b32_e32 v3, 0x7fffffff, v26
	v_and_b32_e32 v4, 0x7fffffff, v27
	;;#ASMSTART
	v_max3_f32 v2, v2, v3, v4

	;;#ASMEND
	v_and_b32_e32 v3, 0x7fffffff, v22
	v_and_b32_e32 v4, 0x7fffffff, v23
	;;#ASMSTART
	v_max3_f32 v2, v2, v3, v4

	;;#ASMEND
	v_and_b32_e32 v3, 0x7fffffff, v20
	v_and_b32_e32 v4, 0x7fffffff, v21
	;;#ASMSTART
	v_max3_f32 v2, v2, v3, v4

	;;#ASMEND
	v_and_b32_e32 v3, 0x7fffffff, v18
	v_and_b32_e32 v4, 0x7fffffff, v19
	;;#ASMSTART
	v_max3_f32 v2, v2, v3, v4

	;;#ASMEND
.LBB631_24:
	s_or_b64 exec, exec, s[2:3]
	;;#ASMSTART
	v_max_f32 v3, v2, v2 quad_perm:[1,0,3,2] row_mask:0xf bank_mask:0xf bound_ctrl:1
	;;#ASMEND
	;;#ASMSTART
	v_max_f32 v4, v3, v3 quad_perm:[2,3,0,1] row_mask:0xf bank_mask:0xf bound_ctrl:1
	;;#ASMEND
	v_and_b32_e32 v3, 7, v0
	v_cmp_eq_u32_e32 vcc, 0, v3
	v_cmp_gt_i32_e64 s[2:3], s15, v1
	s_and_b64 s[22:23], vcc, s[2:3]
	;;#ASMSTART
	v_max_f32 v2, v4, v4 row_half_mirror row_mask:0xf bank_mask:0xf bound_ctrl:1
	;;#ASMEND
	s_and_saveexec_b64 s[2:3], s[22:23]
	s_cbranch_execz .LBB631_26
; %bb.25:
	s_load_dwordx2 s[22:23], s[4:5], 0x8
	v_mul_f32_e32 v2, 0x3e2aaaab, v2
	v_lshrrev_b32_e32 v3, 23, v2
	v_and_b32_e32 v4, 0x7f800000, v2
	v_and_b32_e32 v2, 0x7fffff, v2
	v_cmp_ne_u32_e32 vcc, 0, v2
	s_mul_i32 s12, s25, s6
	s_mov_b32 s7, 0x7f800000
	v_addc_co_u32_e32 v2, vcc, 0, v3, vcc
	s_mul_hi_i32 s11, s25, s6
	s_waitcnt lgkmcnt(0)
	s_add_u32 s22, s22, s12
	v_cmp_ne_u32_e32 vcc, s7, v4
	s_addc_u32 s23, s23, s11
	v_lshrrev_b32_e32 v5, 3, v0
	v_cndmask_b32_e32 v4, -1, v2, vcc
	v_pk_mov_b32 v[2:3], s[22:23], s[22:23] op_sel:[0,1]
	v_mad_i64_i32 v[2:3], s[22:23], s26, v5, v[2:3]
	global_store_byte v[2:3], v4, off
.LBB631_26:
	s_or_b64 exec, exec, s[2:3]
	s_and_saveexec_b64 s[2:3], s[0:1]
	s_cbranch_execz .LBB631_28
; %bb.27:
	s_load_dwordx2 s[0:1], s[4:5], 0x0
	s_mul_i32 s11, s24, s6
	s_mul_hi_i32 s7, s24, s6
	v_mov_b32_e32 v2, 0
	v_lshlrev_b32_e32 v4, 3, v0
	s_waitcnt lgkmcnt(0)
	s_add_u32 s24, s0, s11
	s_addc_u32 s0, s1, s7
	s_lshr_b32 s1, s15, 31
	s_add_i32 s1, s15, s1
	s_ashr_i32 s1, s1, 1
	s_add_i32 s1, s1, 3
	s_ashr_i32 s7, s1, 31
	s_lshr_b32 s7, s7, 30
	s_add_i32 s1, s1, s7
	s_and_b32 s26, s1, -4
	s_and_b32 s25, s0, 0xffff
	s_mov_b32 s27, 0x20000
	v_mov_b32_e32 v3, v2
	buffer_store_dwordx2 v[2:3], v4, s[24:27], 0 offen
	;;#ASMSTART
	s_nop 0
	;;#ASMEND
.LBB631_28:
	s_or_b64 exec, exec, s[2:3]
	s_cmp_lt_i32 s16, 1
	s_cbranch_scc1 .LBB631_17
.LBB631_29:
	s_load_dword s0, s[4:5], 0x94
	s_waitcnt lgkmcnt(0)
	s_cmp_lg_u32 s0, 1
	s_cbranch_scc1 .LBB631_17
; %bb.30:
	s_lshl_b32 s0, s16, 1
	s_add_i32 s0, s0, 2
	v_cmp_gt_u32_e32 vcc, s16, v1
	s_and_b32 s22, s0, -4
	v_mov_b32_e32 v18, 0
	v_lshlrev_b32_e32 v1, 5, v0
	s_waitcnt vmcnt(2)
	v_mov_b32_e32 v14, 0
	v_mov_b32_e32 v15, 0
	;; [unrolled: 1-line block ×8, first 2 shown]
	s_waitcnt vmcnt(1)
	v_mov_b32_e32 v6, 0
	v_mov_b32_e32 v7, 0
	;; [unrolled: 1-line block ×4, first 2 shown]
	s_waitcnt vmcnt(0)
	v_mov_b32_e32 v2, 0
	v_mov_b32_e32 v3, 0
	;; [unrolled: 1-line block ×4, first 2 shown]
	s_barrier
	s_and_saveexec_b64 s[0:1], vcc
	s_cbranch_execz .LBB631_32
; %bb.31:
	s_mul_hi_i32 s3, s18, s6
	s_mul_i32 s2, s18, s6
	s_and_b32 s21, s21, 0xffff
	s_lshl_b64 s[2:3], s[2:3], 1
	s_add_u32 s24, s34, s2
	s_mov_b32 s23, 0x20000
	s_addc_u32 s2, s35, s3
	s_and_b32 s25, s2, 0xffff
	s_mov_b32 s26, s22
	s_mov_b32 s27, s23
	buffer_load_dwordx4 v[14:17], v1, s[24:27], 0 offen
	buffer_load_dwordx4 v[10:13], v1, s[24:27], 16 offen
	;; [unrolled: 1-line block ×4, first 2 shown]
.LBB631_32:
	s_or_b64 exec, exec, s[0:1]
	v_mov_b32_e32 v19, 0
	v_mov_b32_e32 v32, 0
	;; [unrolled: 1-line block ×15, first 2 shown]
	s_and_saveexec_b64 s[0:1], vcc
	s_cbranch_execz .LBB631_34
; %bb.33:
	s_waitcnt vmcnt(3)
	v_cvt_f32_f16_sdwa v19, v14 dst_sel:DWORD dst_unused:UNUSED_PAD src0_sel:WORD_1
	v_cvt_f32_f16_e32 v18, v14
	v_cvt_f32_f16_sdwa v33, v15 dst_sel:DWORD dst_unused:UNUSED_PAD src0_sel:WORD_1
	v_cvt_f32_f16_e32 v32, v15
	;; [unrolled: 2-line block ×4, first 2 shown]
	s_waitcnt vmcnt(2)
	v_cvt_f32_f16_sdwa v27, v10 dst_sel:DWORD dst_unused:UNUSED_PAD src0_sel:WORD_1
	v_cvt_f32_f16_e32 v26, v10
	v_cvt_f32_f16_sdwa v25, v11 dst_sel:DWORD dst_unused:UNUSED_PAD src0_sel:WORD_1
	v_cvt_f32_f16_e32 v24, v11
	;; [unrolled: 2-line block ×4, first 2 shown]
.LBB631_34:
	s_or_b64 exec, exec, s[0:1]
	s_waitcnt vmcnt(2)
	v_mul_f32_e32 v10, v19, v19
	v_fmac_f32_e32 v10, v18, v18
	v_fmac_f32_e32 v10, v32, v32
	;; [unrolled: 1-line block ×15, first 2 shown]
	s_nop 1
	v_mov_b32_dpp v11, v10 quad_perm:[1,0,3,2] row_mask:0xf bank_mask:0xf
	v_add_f32_e32 v10, v10, v11
	s_nop 1
	v_mov_b32_dpp v11, v10 quad_perm:[2,3,0,1] row_mask:0xf bank_mask:0xf
	v_add_f32_e32 v10, v10, v11
	s_nop 1
	v_mov_b32_dpp v11, v10 row_half_mirror row_mask:0xf bank_mask:0xf
	v_add_f32_e32 v10, v10, v11
	s_nop 1
	v_mov_b32_dpp v11, v10 row_mirror row_mask:0xf bank_mask:0xf
	v_add_f32_e32 v10, v10, v11
	s_nop 1
	v_mov_b32_dpp v11, v10 row_bcast:15 row_mask:0xf bank_mask:0xf
	v_add_f32_e32 v10, v10, v11
	s_nop 1
	v_mov_b32_dpp v11, v10 row_bcast:31 row_mask:0xf bank_mask:0xf
	s_and_saveexec_b64 s[0:1], s[8:9]
	s_cbranch_execz .LBB631_36
; %bb.35:
	v_lshrrev_b32_e32 v0, 4, v0
	v_add_f32_e32 v10, v10, v11
	v_and_b32_e32 v0, 60, v0
	ds_write_b32 v0, v10
.LBB631_36:
	s_or_b64 exec, exec, s[0:1]
	s_waitcnt lgkmcnt(0)
	s_barrier
	ds_read_b32 v0, v34
	s_waitcnt lgkmcnt(0)
	s_nop 0
	v_mov_b32_dpp v10, v0 quad_perm:[1,0,3,2] row_mask:0xf bank_mask:0xf
	s_and_saveexec_b64 s[0:1], vcc
	s_cbranch_execz .LBB631_17
; %bb.37:
	v_cvt_f32_u32_e32 v11, s16
	v_add_f32_e32 v0, v0, v10
	s_mov_b32 s23, 0x20000
	v_div_scale_f32 v10, s[0:1], v11, v11, v0
	v_rcp_f32_e32 v12, v10
	v_div_scale_f32 v13, vcc, v0, v11, v0
	s_mov_b32 s0, 0x800000
	v_fma_f32 v14, -v10, v12, 1.0
	v_fmac_f32_e32 v12, v14, v12
	v_mul_f32_e32 v14, v13, v12
	v_fma_f32 v15, -v10, v14, v13
	v_fmac_f32_e32 v14, v15, v12
	v_fma_f32 v10, -v10, v14, v13
	v_div_fmas_f32 v10, v10, v12, v14
	v_div_fixup_f32 v0, v10, v11, v0
	v_add_f32_e32 v0, s13, v0
	v_mul_f32_e32 v10, 0x4b800000, v0
	v_cmp_gt_f32_e32 vcc, s0, v0
	v_cndmask_b32_e32 v0, v0, v10, vcc
	v_rsq_f32_e32 v0, v0
	s_mul_hi_i32 s1, s10, s6
	s_mul_i32 s0, s10, s6
	s_lshl_b64 s[0:1], s[0:1], 1
	v_mul_f32_e32 v10, 0x45800000, v0
	v_cndmask_b32_e32 v10, v0, v10, vcc
	v_mov_b32_e32 v11, v10
	;;#ASMSTART
	v_pk_mul_f32 v[12:13], v[18:19], v[10:11]
	;;#ASMEND
	;;#ASMSTART
	v_pk_mul_f32 v[14:15], v[32:33], v[10:11]
	;;#ASMEND
	;; [unrolled: 3-line block ×8, first 2 shown]
	s_waitcnt vmcnt(1)
	v_cvt_f32_f16_sdwa v21, v6 dst_sel:DWORD dst_unused:UNUSED_PAD src0_sel:WORD_1
	v_cvt_f32_f16_e32 v20, v6
	v_cvt_f32_f16_sdwa v29, v7 dst_sel:DWORD dst_unused:UNUSED_PAD src0_sel:WORD_1
	v_cvt_f32_f16_e32 v28, v7
	;; [unrolled: 2-line block ×4, first 2 shown]
	;;#ASMSTART
	v_pk_mul_f32 v[8:9], v[12:13], v[20:21]
	;;#ASMEND
	;;#ASMSTART
	v_pk_mul_f32 v[12:13], v[14:15], v[28:29]
	;;#ASMEND
	;; [unrolled: 3-line block ×4, first 2 shown]
	s_waitcnt vmcnt(0)
	v_cvt_f32_f16_sdwa v17, v2 dst_sel:DWORD dst_unused:UNUSED_PAD src0_sel:WORD_1
	v_cvt_f32_f16_e32 v16, v2
	v_cvt_f32_f16_sdwa v19, v3 dst_sel:DWORD dst_unused:UNUSED_PAD src0_sel:WORD_1
	v_cvt_f32_f16_e32 v18, v3
	v_cvt_f32_f16_sdwa v3, v4 dst_sel:DWORD dst_unused:UNUSED_PAD src0_sel:WORD_1
	v_cvt_f32_f16_e32 v2, v4
	v_cvt_f32_f16_sdwa v21, v5 dst_sel:DWORD dst_unused:UNUSED_PAD src0_sel:WORD_1
	v_cvt_f32_f16_e32 v20, v5
	;;#ASMSTART
	v_pk_mul_f32 v[16:17], v[26:27], v[16:17]
	;;#ASMEND
	;;#ASMSTART
	v_pk_mul_f32 v[18:19], v[24:25], v[18:19]
	;;#ASMEND
	;; [unrolled: 3-line block ×3, first 2 shown]
	v_cvt_f16_f32_e32 v0, v8
	v_cvt_f16_f32_e32 v2, v9
	;; [unrolled: 1-line block ×8, first 2 shown]
	s_add_u32 s20, s36, s0
	s_addc_u32 s0, s37, s1
	s_and_b32 s21, s0, 0xffff
	v_pack_b32_f16 v2, v0, v2
	v_pack_b32_f16 v3, v3, v4
	;; [unrolled: 1-line block ×4, first 2 shown]
	;;#ASMSTART
	v_pk_mul_f32 v[10:11], v[10:11], v[20:21]
	;;#ASMEND
	buffer_store_dwordx4 v[2:5], v1, s[20:23], 0 offen
	v_cvt_f16_f32_e32 v0, v16
	v_cvt_f16_f32_e32 v2, v17
	;; [unrolled: 1-line block ×8, first 2 shown]
	v_pack_b32_f16 v2, v0, v2
	v_pack_b32_f16 v3, v3, v4
	;; [unrolled: 1-line block ×4, first 2 shown]
	;;#ASMSTART
	s_nop 0
	;;#ASMEND
	buffer_store_dwordx4 v[2:5], v1, s[20:23], 16 offen
	;;#ASMSTART
	s_nop 0
	;;#ASMEND
	s_endpgm
	.section	.rodata,"a",@progbits
	.p2align	6, 0x0
	.amdhsa_kernel _ZN5aiter35fused_qk_rmsnorm_group_quant_kernelIDF16_N4opus5fp4_tELi128ELi16ELi8ELb1ELb0ELb0ELb0ELb0ELb0EEEvPT0_PvPT_S7_S7_PKS6_S9_S9_S9_S9_ffiiiiiiiiiiiii
		.amdhsa_group_segment_fixed_size 16
		.amdhsa_private_segment_fixed_size 0
		.amdhsa_kernarg_size 400
		.amdhsa_user_sgpr_count 6
		.amdhsa_user_sgpr_private_segment_buffer 1
		.amdhsa_user_sgpr_dispatch_ptr 0
		.amdhsa_user_sgpr_queue_ptr 0
		.amdhsa_user_sgpr_kernarg_segment_ptr 1
		.amdhsa_user_sgpr_dispatch_id 0
		.amdhsa_user_sgpr_flat_scratch_init 0
		.amdhsa_user_sgpr_kernarg_preload_length 0
		.amdhsa_user_sgpr_kernarg_preload_offset 0
		.amdhsa_user_sgpr_private_segment_size 0
		.amdhsa_uses_dynamic_stack 0
		.amdhsa_system_sgpr_private_segment_wavefront_offset 0
		.amdhsa_system_sgpr_workgroup_id_x 1
		.amdhsa_system_sgpr_workgroup_id_y 1
		.amdhsa_system_sgpr_workgroup_id_z 0
		.amdhsa_system_sgpr_workgroup_info 0
		.amdhsa_system_vgpr_workitem_id 0
		.amdhsa_next_free_vgpr 47
		.amdhsa_next_free_sgpr 40
		.amdhsa_accum_offset 48
		.amdhsa_reserve_vcc 1
		.amdhsa_reserve_flat_scratch 0
		.amdhsa_float_round_mode_32 0
		.amdhsa_float_round_mode_16_64 0
		.amdhsa_float_denorm_mode_32 3
		.amdhsa_float_denorm_mode_16_64 3
		.amdhsa_dx10_clamp 1
		.amdhsa_ieee_mode 1
		.amdhsa_fp16_overflow 0
		.amdhsa_tg_split 0
		.amdhsa_exception_fp_ieee_invalid_op 0
		.amdhsa_exception_fp_denorm_src 0
		.amdhsa_exception_fp_ieee_div_zero 0
		.amdhsa_exception_fp_ieee_overflow 0
		.amdhsa_exception_fp_ieee_underflow 0
		.amdhsa_exception_fp_ieee_inexact 0
		.amdhsa_exception_int_div_zero 0
	.end_amdhsa_kernel
	.section	.text._ZN5aiter35fused_qk_rmsnorm_group_quant_kernelIDF16_N4opus5fp4_tELi128ELi16ELi8ELb1ELb0ELb0ELb0ELb0ELb0EEEvPT0_PvPT_S7_S7_PKS6_S9_S9_S9_S9_ffiiiiiiiiiiiii,"axG",@progbits,_ZN5aiter35fused_qk_rmsnorm_group_quant_kernelIDF16_N4opus5fp4_tELi128ELi16ELi8ELb1ELb0ELb0ELb0ELb0ELb0EEEvPT0_PvPT_S7_S7_PKS6_S9_S9_S9_S9_ffiiiiiiiiiiiii,comdat
.Lfunc_end631:
	.size	_ZN5aiter35fused_qk_rmsnorm_group_quant_kernelIDF16_N4opus5fp4_tELi128ELi16ELi8ELb1ELb0ELb0ELb0ELb0ELb0EEEvPT0_PvPT_S7_S7_PKS6_S9_S9_S9_S9_ffiiiiiiiiiiiii, .Lfunc_end631-_ZN5aiter35fused_qk_rmsnorm_group_quant_kernelIDF16_N4opus5fp4_tELi128ELi16ELi8ELb1ELb0ELb0ELb0ELb0ELb0EEEvPT0_PvPT_S7_S7_PKS6_S9_S9_S9_S9_ffiiiiiiiiiiiii
                                        ; -- End function
	.section	.AMDGPU.csdata,"",@progbits
; Kernel info:
; codeLenInByte = 3728
; NumSgprs: 44
; NumVgprs: 47
; NumAgprs: 0
; TotalNumVgprs: 47
; ScratchSize: 0
; MemoryBound: 0
; FloatMode: 240
; IeeeMode: 1
; LDSByteSize: 16 bytes/workgroup (compile time only)
; SGPRBlocks: 5
; VGPRBlocks: 5
; NumSGPRsForWavesPerEU: 44
; NumVGPRsForWavesPerEU: 47
; AccumOffset: 48
; Occupancy: 8
; WaveLimiterHint : 0
; COMPUTE_PGM_RSRC2:SCRATCH_EN: 0
; COMPUTE_PGM_RSRC2:USER_SGPR: 6
; COMPUTE_PGM_RSRC2:TRAP_HANDLER: 0
; COMPUTE_PGM_RSRC2:TGID_X_EN: 1
; COMPUTE_PGM_RSRC2:TGID_Y_EN: 1
; COMPUTE_PGM_RSRC2:TGID_Z_EN: 0
; COMPUTE_PGM_RSRC2:TIDIG_COMP_CNT: 0
; COMPUTE_PGM_RSRC3_GFX90A:ACCUM_OFFSET: 11
; COMPUTE_PGM_RSRC3_GFX90A:TG_SPLIT: 0
	.section	.text._ZN5aiter35fused_qk_rmsnorm_group_quant_kernelItN4opus5fp4_tELi128ELi16ELi8ELb1ELb0ELb0ELb0ELb0ELb0EEEvPT0_PvPT_S7_S7_PKS6_S9_S9_S9_S9_ffiiiiiiiiiiiii,"axG",@progbits,_ZN5aiter35fused_qk_rmsnorm_group_quant_kernelItN4opus5fp4_tELi128ELi16ELi8ELb1ELb0ELb0ELb0ELb0ELb0EEEvPT0_PvPT_S7_S7_PKS6_S9_S9_S9_S9_ffiiiiiiiiiiiii,comdat
	.protected	_ZN5aiter35fused_qk_rmsnorm_group_quant_kernelItN4opus5fp4_tELi128ELi16ELi8ELb1ELb0ELb0ELb0ELb0ELb0EEEvPT0_PvPT_S7_S7_PKS6_S9_S9_S9_S9_ffiiiiiiiiiiiii ; -- Begin function _ZN5aiter35fused_qk_rmsnorm_group_quant_kernelItN4opus5fp4_tELi128ELi16ELi8ELb1ELb0ELb0ELb0ELb0ELb0EEEvPT0_PvPT_S7_S7_PKS6_S9_S9_S9_S9_ffiiiiiiiiiiiii
	.globl	_ZN5aiter35fused_qk_rmsnorm_group_quant_kernelItN4opus5fp4_tELi128ELi16ELi8ELb1ELb0ELb0ELb0ELb0ELb0EEEvPT0_PvPT_S7_S7_PKS6_S9_S9_S9_S9_ffiiiiiiiiiiiii
	.p2align	8
	.type	_ZN5aiter35fused_qk_rmsnorm_group_quant_kernelItN4opus5fp4_tELi128ELi16ELi8ELb1ELb0ELb0ELb0ELb0ELb0EEEvPT0_PvPT_S7_S7_PKS6_S9_S9_S9_S9_ffiiiiiiiiiiiii,@function
_ZN5aiter35fused_qk_rmsnorm_group_quant_kernelItN4opus5fp4_tELi128ELi16ELi8ELb1ELb0ELb0ELb0ELb0ELb0EEEvPT0_PvPT_S7_S7_PKS6_S9_S9_S9_S9_ffiiiiiiiiiiiii: ; @_ZN5aiter35fused_qk_rmsnorm_group_quant_kernelItN4opus5fp4_tELi128ELi16ELi8ELb1ELb0ELb0ELb0ELb0ELb0EEEvPT0_PvPT_S7_S7_PKS6_S9_S9_S9_S9_ffiiiiiiiiiiiii
; %bb.0:
	s_load_dwordx8 s[12:19], s[4:5], 0x50
	s_waitcnt lgkmcnt(0)
	s_cmp_ge_i32 s6, s14
	s_cbranch_scc1 .LBB632_17
; %bb.1:
	s_cmp_lg_u32 s7, 0
	s_cselect_b64 s[22:23], -1, 0
	s_cmp_eq_u32 s7, 0
	s_cselect_b64 s[2:3], -1, 0
	s_and_b64 s[0:1], s[2:3], exec
	s_load_dwordx2 s[20:21], s[4:5], 0x48
	s_load_dwordx2 s[34:35], s[4:5], 0x30
	s_load_dwordx4 s[24:27], s[4:5], 0x70
	s_cselect_b32 s7, s15, s16
	s_add_i32 s0, s7, 1
	s_lshr_b32 s1, s0, 31
	s_add_i32 s0, s0, s1
	s_lshl_b32 s0, s0, 1
	v_lshlrev_b32_e32 v1, 4, v0
	s_and_b32 s30, s0, -4
	v_cmp_gt_i32_e64 s[0:1], s7, v1
	v_mov_b32_e32 v80, 0
	v_mov_b32_e32 v81, 0
	;; [unrolled: 1-line block ×16, first 2 shown]
	s_and_saveexec_b64 s[8:9], s[0:1]
	s_cbranch_execz .LBB632_3
; %bb.2:
	s_load_dwordx2 s[10:11], s[4:5], 0x28
	s_load_dwordx2 s[28:29], s[4:5], 0x40
	s_and_b64 s[36:37], s[2:3], exec
	s_cselect_b32 s14, s17, s18
	s_mov_b32 s31, 0x20000
	s_waitcnt lgkmcnt(0)
	s_cselect_b32 s17, s11, s35
	s_cselect_b32 s27, s10, s34
	s_mul_hi_i32 s11, s14, s6
	s_mul_i32 s10, s14, s6
	s_lshl_b64 s[10:11], s[10:11], 1
	s_add_u32 s36, s27, s10
	s_addc_u32 s14, s17, s11
	s_and_b64 s[10:11], s[2:3], exec
	s_cselect_b32 s28, s28, s20
	s_cselect_b32 s10, s29, s21
	s_and_b32 s37, s14, 0xffff
	s_mov_b32 s38, s30
	s_mov_b32 s39, s31
	v_lshlrev_b32_e32 v2, 5, v0
	s_and_b32 s29, s10, 0xffff
	buffer_load_dwordx4 v[84:87], v2, s[36:39], 0 offen
	buffer_load_dwordx4 v[88:91], v2, s[36:39], 16 offen
	;; [unrolled: 1-line block ×4, first 2 shown]
.LBB632_3:
	s_or_b64 exec, exec, s[8:9]
	s_load_dwordx2 s[10:11], s[4:5], 0x80
	s_and_b64 vcc, exec, s[22:23]
	s_cbranch_vccz .LBB632_7
; %bb.4:
	v_mov_b32_e32 v93, 0
	v_mov_b32_e32 v92, 0
	;; [unrolled: 1-line block ×16, first 2 shown]
	s_and_saveexec_b64 s[8:9], s[0:1]
	s_cbranch_execz .LBB632_6
; %bb.5:
	s_waitcnt vmcnt(3)
	v_cvt_f32_u32_sdwa v32, v84 dst_sel:DWORD dst_unused:UNUSED_PAD src0_sel:WORD_0
	v_cvt_f32_u32_sdwa v33, v84 dst_sel:DWORD dst_unused:UNUSED_PAD src0_sel:WORD_1
	v_cvt_f32_u32_sdwa v18, v85 dst_sel:DWORD dst_unused:UNUSED_PAD src0_sel:WORD_0
	v_cvt_f32_u32_sdwa v19, v85 dst_sel:DWORD dst_unused:UNUSED_PAD src0_sel:WORD_1
	v_cvt_f32_u32_sdwa v50, v86 dst_sel:DWORD dst_unused:UNUSED_PAD src0_sel:WORD_0
	v_cvt_f32_u32_sdwa v51, v86 dst_sel:DWORD dst_unused:UNUSED_PAD src0_sel:WORD_1
	v_cvt_f32_u32_sdwa v40, v87 dst_sel:DWORD dst_unused:UNUSED_PAD src0_sel:WORD_0
	v_cvt_f32_u32_sdwa v41, v87 dst_sel:DWORD dst_unused:UNUSED_PAD src0_sel:WORD_1
	s_waitcnt vmcnt(2)
	v_cvt_f32_u32_sdwa v68, v88 dst_sel:DWORD dst_unused:UNUSED_PAD src0_sel:WORD_0
	v_cvt_f32_u32_sdwa v69, v88 dst_sel:DWORD dst_unused:UNUSED_PAD src0_sel:WORD_1
	v_cvt_f32_u32_sdwa v62, v89 dst_sel:DWORD dst_unused:UNUSED_PAD src0_sel:WORD_0
	v_cvt_f32_u32_sdwa v63, v89 dst_sel:DWORD dst_unused:UNUSED_PAD src0_sel:WORD_1
	;; [unrolled: 2-line block ×4, first 2 shown]
.LBB632_6:
	s_or_b64 exec, exec, s[8:9]
	s_cbranch_execz .LBB632_8
	s_branch .LBB632_11
.LBB632_7:
                                        ; implicit-def: $vgpr32_vgpr33_vgpr34_vgpr35_vgpr36_vgpr37_vgpr38_vgpr39_vgpr40_vgpr41_vgpr42_vgpr43_vgpr44_vgpr45_vgpr46_vgpr47
                                        ; implicit-def: $vgpr46_vgpr47_vgpr48_vgpr49_vgpr50_vgpr51_vgpr52_vgpr53_vgpr54_vgpr55_vgpr56_vgpr57_vgpr58_vgpr59_vgpr60_vgpr61
                                        ; implicit-def: $vgpr16_vgpr17_vgpr18_vgpr19_vgpr20_vgpr21_vgpr22_vgpr23_vgpr24_vgpr25_vgpr26_vgpr27_vgpr28_vgpr29_vgpr30_vgpr31
                                        ; implicit-def: $vgpr93
                                        ; implicit-def: $vgpr2_vgpr3_vgpr4_vgpr5_vgpr6_vgpr7_vgpr8_vgpr9_vgpr10_vgpr11_vgpr12_vgpr13_vgpr14_vgpr15_vgpr16_vgpr17
                                        ; implicit-def: $vgpr60_vgpr61_vgpr62_vgpr63_vgpr64_vgpr65_vgpr66_vgpr67_vgpr68_vgpr69_vgpr70_vgpr71_vgpr72_vgpr73_vgpr74_vgpr75
                                        ; implicit-def: $vgpr34_vgpr35_vgpr36_vgpr37_vgpr38_vgpr39_vgpr40_vgpr41_vgpr42_vgpr43_vgpr44_vgpr45_vgpr46_vgpr47_vgpr48_vgpr49
                                        ; implicit-def: $vgpr52_vgpr53_vgpr54_vgpr55_vgpr56_vgpr57_vgpr58_vgpr59_vgpr60_vgpr61_vgpr62_vgpr63_vgpr64_vgpr65_vgpr66_vgpr67
.LBB632_8:
	v_mov_b32_e32 v93, 0
	v_mov_b32_e32 v92, 0
	;; [unrolled: 1-line block ×16, first 2 shown]
	s_and_saveexec_b64 s[8:9], s[0:1]
	s_cbranch_execz .LBB632_10
; %bb.9:
	s_load_dwordx2 s[28:29], s[4:5], 0x38
	s_mul_hi_i32 s37, s19, s6
	s_mul_i32 s36, s19, s6
	s_lshl_b64 s[36:37], s[36:37], 1
	s_mov_b32 s31, 0x20000
	s_waitcnt lgkmcnt(0)
	s_add_u32 s28, s28, s36
	s_addc_u32 s14, s29, s37
	s_and_b32 s29, s14, 0xffff
	v_lshlrev_b32_e32 v36, 5, v0
	buffer_load_dwordx4 v[4:7], v36, s[28:31], 16 offen
	buffer_load_dwordx4 v[8:11], v36, s[28:31], 0 offen
	s_load_dwordx2 s[28:29], s[4:5], 0x20
	s_waitcnt vmcnt(5)
	v_cvt_f32_u32_sdwa v21, v84 dst_sel:DWORD dst_unused:UNUSED_PAD src0_sel:WORD_1
	v_cvt_f32_u32_sdwa v20, v84 dst_sel:DWORD dst_unused:UNUSED_PAD src0_sel:WORD_0
	v_cvt_f32_u32_sdwa v19, v85 dst_sel:DWORD dst_unused:UNUSED_PAD src0_sel:WORD_1
	v_cvt_f32_u32_sdwa v18, v85 dst_sel:DWORD dst_unused:UNUSED_PAD src0_sel:WORD_0
	;; [unrolled: 2-line block ×4, first 2 shown]
	s_waitcnt vmcnt(4)
	v_cvt_f32_u32_sdwa v3, v88 dst_sel:DWORD dst_unused:UNUSED_PAD src0_sel:WORD_1
	v_cvt_f32_u32_sdwa v2, v88 dst_sel:DWORD dst_unused:UNUSED_PAD src0_sel:WORD_0
	v_cvt_f32_u32_sdwa v13, v89 dst_sel:DWORD dst_unused:UNUSED_PAD src0_sel:WORD_1
	v_cvt_f32_u32_sdwa v12, v89 dst_sel:DWORD dst_unused:UNUSED_PAD src0_sel:WORD_0
	;; [unrolled: 2-line block ×3, first 2 shown]
	v_cvt_f32_u32_sdwa v16, v91 dst_sel:DWORD dst_unused:UNUSED_PAD src0_sel:WORD_0
	v_cvt_f32_u32_sdwa v17, v91 dst_sel:DWORD dst_unused:UNUSED_PAD src0_sel:WORD_1
	s_mul_hi_i32 s37, s11, s6
	s_mul_i32 s36, s11, s6
	s_lshl_b64 s[36:37], s[36:37], 1
	s_waitcnt lgkmcnt(0)
	s_add_u32 s28, s28, s36
	s_mov_b32 s11, 0x7060302
	s_addc_u32 s14, s29, s37
	s_and_b32 s29, s14, 0xffff
	s_waitcnt vmcnt(1)
	v_cvt_f32_u32_sdwa v27, v4 dst_sel:DWORD dst_unused:UNUSED_PAD src0_sel:WORD_1
	v_cvt_f32_u32_sdwa v26, v4 dst_sel:DWORD dst_unused:UNUSED_PAD src0_sel:WORD_0
	v_cvt_f32_u32_sdwa v29, v5 dst_sel:DWORD dst_unused:UNUSED_PAD src0_sel:WORD_1
	v_cvt_f32_u32_sdwa v28, v5 dst_sel:DWORD dst_unused:UNUSED_PAD src0_sel:WORD_0
	;; [unrolled: 2-line block ×3, first 2 shown]
	v_cvt_f32_u32_sdwa v34, v7 dst_sel:DWORD dst_unused:UNUSED_PAD src0_sel:WORD_0
	v_cvt_f32_u32_sdwa v35, v7 dst_sel:DWORD dst_unused:UNUSED_PAD src0_sel:WORD_1
	s_waitcnt vmcnt(0)
	v_cvt_f32_u32_sdwa v33, v8 dst_sel:DWORD dst_unused:UNUSED_PAD src0_sel:WORD_1
	v_cvt_f32_u32_sdwa v32, v8 dst_sel:DWORD dst_unused:UNUSED_PAD src0_sel:WORD_0
	v_cvt_f32_u32_sdwa v5, v10 dst_sel:DWORD dst_unused:UNUSED_PAD src0_sel:WORD_1
	v_cvt_f32_u32_sdwa v4, v10 dst_sel:DWORD dst_unused:UNUSED_PAD src0_sel:WORD_0
	;; [unrolled: 2-line block ×4, first 2 shown]
	v_pk_add_f32 v[50:51], v[22:23], v[4:5]
	v_pk_add_f32 v[40:41], v[24:25], v[6:7]
	;; [unrolled: 1-line block ×4, first 2 shown]
	v_perm_b32 v7, v41, v40, s11
	v_perm_b32 v6, v51, v50, s11
	v_perm_b32 v5, v19, v18, s11
	v_perm_b32 v4, v33, v32, s11
	v_pk_add_f32 v[92:93], v[16:17], v[34:35]
	v_pk_add_f32 v[14:15], v[14:15], v[30:31]
	;; [unrolled: 1-line block ×4, first 2 shown]
	buffer_store_dwordx4 v[4:7], v36, s[28:31], 0 offen
	;;#ASMSTART
	s_nop 0
	;;#ASMEND
	s_nop 0
	v_perm_b32 v7, v93, v92, s11
	v_perm_b32 v6, v15, v14, s11
	;; [unrolled: 1-line block ×4, first 2 shown]
	buffer_store_dwordx4 v[4:7], v36, s[28:31], 16 offen
	;;#ASMSTART
	s_nop 0
	;;#ASMEND
.LBB632_10:
	s_or_b64 exec, exec, s[8:9]
.LBB632_11:
	v_mul_f32_e32 v2, v33, v33
	v_fmac_f32_e32 v2, v32, v32
	v_fmac_f32_e32 v2, v18, v18
	;; [unrolled: 1-line block ×15, first 2 shown]
	s_nop 1
	v_mov_b32_dpp v3, v2 quad_perm:[1,0,3,2] row_mask:0xf bank_mask:0xf
	v_add_f32_e32 v2, v2, v3
	s_nop 1
	v_mov_b32_dpp v3, v2 quad_perm:[2,3,0,1] row_mask:0xf bank_mask:0xf
	v_add_f32_e32 v2, v2, v3
	s_nop 1
	v_mov_b32_dpp v3, v2 row_half_mirror row_mask:0xf bank_mask:0xf
	v_add_f32_e32 v2, v2, v3
	s_nop 1
	v_mov_b32_dpp v3, v2 row_mirror row_mask:0xf bank_mask:0xf
	v_add_f32_e32 v2, v2, v3
	s_nop 1
	v_mov_b32_dpp v3, v2 row_bcast:15 row_mask:0xf bank_mask:0xf
	v_add_f32_e32 v2, v2, v3
	v_and_b32_e32 v3, 63, v0
	v_cmp_eq_u32_e64 s[8:9], 63, v3
	s_nop 0
	v_mov_b32_dpp v3, v2 row_bcast:31 row_mask:0xf bank_mask:0xf
	s_and_saveexec_b64 s[28:29], s[8:9]
	s_cbranch_execz .LBB632_13
; %bb.12:
	v_add_f32_e32 v2, v2, v3
	v_lshrrev_b32_e32 v3, 4, v0
	v_and_b32_e32 v3, 60, v3
	ds_write_b32 v3, v2 offset:8
.LBB632_13:
	s_or_b64 exec, exec, s[28:29]
	v_and_b32_e32 v2, 1, v0
	v_lshlrev_b32_e32 v34, 2, v2
	s_waitcnt lgkmcnt(0)
	s_barrier
	ds_read_b32 v2, v34 offset:8
	s_load_dwordx2 s[36:37], s[4:5], 0x18
	s_waitcnt lgkmcnt(0)
	v_mov_b32_dpp v3, v2 quad_perm:[1,0,3,2] row_mask:0xf bank_mask:0xf
	s_and_saveexec_b64 s[28:29], s[0:1]
	s_cbranch_execnz .LBB632_18
; %bb.14:
	s_or_b64 exec, exec, s[28:29]
	s_mov_b64 s[2:3], -1
	s_and_b64 vcc, exec, s[22:23]
	s_cbranch_vccnz .LBB632_19
.LBB632_15:
	s_andn2_b64 vcc, exec, s[2:3]
	s_cbranch_vccz .LBB632_22
.LBB632_16:
	s_cmp_lt_i32 s16, 1
	s_cbranch_scc0 .LBB632_29
.LBB632_17:
	s_endpgm
.LBB632_18:
	v_add_f32_e32 v2, v2, v3
	v_cvt_f32_u32_e32 v3, s7
	s_waitcnt vmcnt(1)
	v_cvt_f32_u32_sdwa v21, v81 dst_sel:DWORD dst_unused:UNUSED_PAD src0_sel:WORD_1
	v_cvt_f32_u32_sdwa v20, v81 dst_sel:DWORD dst_unused:UNUSED_PAD src0_sel:WORD_0
	s_waitcnt vmcnt(0)
	v_cvt_f32_u32_sdwa v23, v77 dst_sel:DWORD dst_unused:UNUSED_PAD src0_sel:WORD_1
	v_div_scale_f32 v4, s[38:39], v3, v3, v2
	v_rcp_f32_e32 v5, v4
	v_cvt_f32_u32_sdwa v22, v77 dst_sel:DWORD dst_unused:UNUSED_PAD src0_sel:WORD_0
	v_cvt_f32_u32_sdwa v25, v78 dst_sel:DWORD dst_unused:UNUSED_PAD src0_sel:WORD_1
	v_cvt_f32_u32_sdwa v24, v78 dst_sel:DWORD dst_unused:UNUSED_PAD src0_sel:WORD_0
	v_fma_f32 v6, -v4, v5, 1.0
	v_fmac_f32_e32 v5, v6, v5
	v_div_scale_f32 v6, vcc, v2, v3, v2
	v_mul_f32_e32 v7, v6, v5
	v_fma_f32 v8, -v4, v7, v6
	v_fmac_f32_e32 v7, v8, v5
	v_fma_f32 v4, -v4, v7, v6
	v_div_fmas_f32 v4, v4, v5, v7
	v_div_fixup_f32 v2, v4, v3, v2
	v_mov_b32_e32 v3, s13
	v_mov_b32_e32 v4, s12
	v_cndmask_b32_e64 v3, v3, v4, s[2:3]
	v_add_f32_e32 v2, v3, v2
	s_mov_b32 s2, 0x800000
	v_mul_f32_e32 v3, 0x4b800000, v2
	v_cmp_gt_f32_e32 vcc, s2, v2
	v_cndmask_b32_e32 v2, v2, v3, vcc
	v_rsq_f32_e32 v2, v2
	v_cvt_f32_u32_sdwa v27, v79 dst_sel:DWORD dst_unused:UNUSED_PAD src0_sel:WORD_1
	v_cvt_f32_u32_sdwa v26, v79 dst_sel:DWORD dst_unused:UNUSED_PAD src0_sel:WORD_0
	v_mul_f32_e32 v3, 0x45800000, v2
	v_cndmask_b32_e32 v2, v2, v3, vcc
	v_mov_b32_e32 v3, v2
	;;#ASMSTART
	v_pk_mul_f32 v[4:5], v[32:33], v[2:3]
	;;#ASMEND
	;;#ASMSTART
	v_pk_mul_f32 v[6:7], v[18:19], v[2:3]
	;;#ASMEND
	;; [unrolled: 3-line block ×6, first 2 shown]
	v_cvt_f32_u32_sdwa v19, v80 dst_sel:DWORD dst_unused:UNUSED_PAD src0_sel:WORD_1
	v_cvt_f32_u32_sdwa v18, v80 dst_sel:DWORD dst_unused:UNUSED_PAD src0_sel:WORD_0
	;;#ASMSTART
	v_pk_mul_f32 v[14:15], v[14:15], v[2:3]
	;;#ASMEND
	;;#ASMSTART
	v_pk_mul_f32 v[2:3], v[92:93], v[2:3]
	;;#ASMEND
	;; [unrolled: 3-line block ×4, first 2 shown]
	v_cvt_f32_u32_sdwa v5, v82 dst_sel:DWORD dst_unused:UNUSED_PAD src0_sel:WORD_1
	v_cvt_f32_u32_sdwa v4, v82 dst_sel:DWORD dst_unused:UNUSED_PAD src0_sel:WORD_0
	v_cvt_f32_u32_sdwa v7, v83 dst_sel:DWORD dst_unused:UNUSED_PAD src0_sel:WORD_1
	v_cvt_f32_u32_sdwa v6, v83 dst_sel:DWORD dst_unused:UNUSED_PAD src0_sel:WORD_0
	;; [unrolled: 2-line block ×3, first 2 shown]
	;;#ASMSTART
	v_pk_mul_f32 v[50:51], v[8:9], v[4:5]
	;;#ASMEND
	;;#ASMSTART
	v_pk_mul_f32 v[40:41], v[10:11], v[6:7]
	;;#ASMEND
	;; [unrolled: 3-line block ×6, first 2 shown]
	s_or_b64 exec, exec, s[28:29]
	s_mov_b64 s[2:3], -1
	s_and_b64 vcc, exec, s[22:23]
	s_cbranch_vccz .LBB632_15
.LBB632_19:
	s_and_saveexec_b64 s[2:3], s[0:1]
	s_cbranch_execz .LBB632_21
; %bb.20:
	s_mul_hi_i32 s23, s10, s6
	s_mul_i32 s22, s10, s6
	s_lshl_b64 s[22:23], s[22:23], 1
	s_add_u32 s28, s36, s22
	s_addc_u32 s7, s37, s23
	s_and_b32 s29, s7, 0xffff
	s_mov_b32 s7, 0x7060302
	s_mov_b32 s31, 0x20000
	v_perm_b32 v5, v41, v40, s7
	v_perm_b32 v4, v51, v50, s7
	;; [unrolled: 1-line block ×4, first 2 shown]
	v_lshlrev_b32_e32 v6, 5, v0
	buffer_store_dwordx4 v[2:5], v6, s[28:31], 0 offen
	;;#ASMSTART
	s_nop 0
	;;#ASMEND
	s_nop 0
	v_perm_b32 v5, v93, v92, s7
	v_perm_b32 v4, v15, v14, s7
	;; [unrolled: 1-line block ×4, first 2 shown]
	buffer_store_dwordx4 v[2:5], v6, s[28:31], 16 offen
	;;#ASMSTART
	s_nop 0
	;;#ASMEND
.LBB632_21:
	s_or_b64 exec, exec, s[2:3]
	s_cbranch_execnz .LBB632_16
.LBB632_22:
	v_mov_b32_e32 v2, 0
	s_and_saveexec_b64 s[2:3], s[0:1]
	s_cbranch_execz .LBB632_24
; %bb.23:
	v_and_b32_e32 v2, 0x7fffffff, v32
	v_and_b32_e32 v3, 0x7fffffff, v33
	v_mov_b32_e32 v10, 0x2edbe6ff
	;;#ASMSTART
	v_max3_f32 v2, v10, v2, v3

	;;#ASMEND
	v_and_b32_e32 v4, 0x7fffffff, v18
	v_and_b32_e32 v5, 0x7fffffff, v19
	;;#ASMSTART
	v_max3_f32 v2, v2, v4, v5

	;;#ASMEND
	v_and_b32_e32 v6, 0x7fffffff, v50
	v_and_b32_e32 v7, 0x7fffffff, v51
	;; [unrolled: 6-line block ×7, first 2 shown]
	;;#ASMSTART
	v_max3_f32 v2, v2, v3, v4

	;;#ASMEND
.LBB632_24:
	s_or_b64 exec, exec, s[2:3]
	;;#ASMSTART
	v_max_f32 v3, v2, v2 quad_perm:[1,0,3,2] row_mask:0xf bank_mask:0xf bound_ctrl:1
	;;#ASMEND
	;;#ASMSTART
	v_max_f32 v4, v3, v3 quad_perm:[2,3,0,1] row_mask:0xf bank_mask:0xf bound_ctrl:1
	;;#ASMEND
	v_and_b32_e32 v3, 7, v0
	v_cmp_eq_u32_e32 vcc, 0, v3
	v_cmp_gt_i32_e64 s[2:3], s15, v1
	s_and_b64 s[22:23], vcc, s[2:3]
	;;#ASMSTART
	v_max_f32 v2, v4, v4 row_half_mirror row_mask:0xf bank_mask:0xf bound_ctrl:1
	;;#ASMEND
	s_and_saveexec_b64 s[2:3], s[22:23]
	s_cbranch_execz .LBB632_26
; %bb.25:
	s_load_dwordx2 s[22:23], s[4:5], 0x8
	v_mul_f32_e32 v2, 0x3e2aaaab, v2
	v_lshrrev_b32_e32 v3, 23, v2
	v_and_b32_e32 v4, 0x7f800000, v2
	v_and_b32_e32 v2, 0x7fffff, v2
	v_cmp_ne_u32_e32 vcc, 0, v2
	s_mul_i32 s12, s25, s6
	s_mov_b32 s7, 0x7f800000
	v_addc_co_u32_e32 v2, vcc, 0, v3, vcc
	s_mul_hi_i32 s11, s25, s6
	s_waitcnt lgkmcnt(0)
	s_add_u32 s22, s22, s12
	v_cmp_ne_u32_e32 vcc, s7, v4
	s_addc_u32 s23, s23, s11
	v_lshrrev_b32_e32 v5, 3, v0
	v_cndmask_b32_e32 v4, -1, v2, vcc
	v_pk_mov_b32 v[2:3], s[22:23], s[22:23] op_sel:[0,1]
	v_mad_i64_i32 v[2:3], s[22:23], s26, v5, v[2:3]
	global_store_byte v[2:3], v4, off
.LBB632_26:
	s_or_b64 exec, exec, s[2:3]
	s_and_saveexec_b64 s[2:3], s[0:1]
	s_cbranch_execz .LBB632_28
; %bb.27:
	s_load_dwordx2 s[0:1], s[4:5], 0x0
	s_mul_i32 s11, s24, s6
	s_mul_hi_i32 s7, s24, s6
	v_mov_b32_e32 v2, 0
	v_lshlrev_b32_e32 v4, 3, v0
	s_waitcnt lgkmcnt(0)
	s_add_u32 s24, s0, s11
	s_addc_u32 s0, s1, s7
	s_lshr_b32 s1, s15, 31
	s_add_i32 s1, s15, s1
	s_ashr_i32 s1, s1, 1
	s_add_i32 s1, s1, 3
	s_ashr_i32 s7, s1, 31
	s_lshr_b32 s7, s7, 30
	s_add_i32 s1, s1, s7
	s_and_b32 s26, s1, -4
	s_and_b32 s25, s0, 0xffff
	s_mov_b32 s27, 0x20000
	v_mov_b32_e32 v3, v2
	buffer_store_dwordx2 v[2:3], v4, s[24:27], 0 offen
	;;#ASMSTART
	s_nop 0
	;;#ASMEND
.LBB632_28:
	s_or_b64 exec, exec, s[2:3]
	s_cmp_lt_i32 s16, 1
	s_cbranch_scc1 .LBB632_17
.LBB632_29:
	s_load_dword s0, s[4:5], 0x94
	s_waitcnt lgkmcnt(0)
	s_cmp_lg_u32 s0, 1
	s_cbranch_scc1 .LBB632_17
; %bb.30:
	s_lshl_b32 s0, s16, 1
	s_add_i32 s0, s0, 2
	v_cmp_gt_u32_e32 vcc, s16, v1
	s_and_b32 s22, s0, -4
	v_mov_b32_e32 v18, 0
	v_lshlrev_b32_e32 v1, 5, v0
	v_mov_b32_e32 v14, 0
	v_mov_b32_e32 v15, 0
	;; [unrolled: 1-line block ×16, first 2 shown]
	s_barrier
	s_and_saveexec_b64 s[0:1], vcc
	s_cbranch_execz .LBB632_32
; %bb.31:
	s_mul_hi_i32 s3, s18, s6
	s_mul_i32 s2, s18, s6
	s_and_b32 s21, s21, 0xffff
	s_lshl_b64 s[2:3], s[2:3], 1
	s_add_u32 s24, s34, s2
	s_mov_b32 s23, 0x20000
	s_addc_u32 s2, s35, s3
	s_and_b32 s25, s2, 0xffff
	s_mov_b32 s26, s22
	s_mov_b32 s27, s23
	buffer_load_dwordx4 v[14:17], v1, s[24:27], 0 offen
	buffer_load_dwordx4 v[10:13], v1, s[24:27], 16 offen
	;; [unrolled: 1-line block ×4, first 2 shown]
.LBB632_32:
	s_or_b64 exec, exec, s[0:1]
	v_mov_b32_e32 v19, 0
	v_mov_b32_e32 v32, 0
	;; [unrolled: 1-line block ×15, first 2 shown]
	s_and_saveexec_b64 s[0:1], vcc
	s_cbranch_execz .LBB632_34
; %bb.33:
	s_waitcnt vmcnt(3)
	v_cvt_f32_u32_sdwa v18, v14 dst_sel:DWORD dst_unused:UNUSED_PAD src0_sel:WORD_0
	v_cvt_f32_u32_sdwa v19, v14 dst_sel:DWORD dst_unused:UNUSED_PAD src0_sel:WORD_1
	v_cvt_f32_u32_sdwa v32, v15 dst_sel:DWORD dst_unused:UNUSED_PAD src0_sel:WORD_0
	v_cvt_f32_u32_sdwa v33, v15 dst_sel:DWORD dst_unused:UNUSED_PAD src0_sel:WORD_1
	;; [unrolled: 2-line block ×4, first 2 shown]
	s_waitcnt vmcnt(2)
	v_cvt_f32_u32_sdwa v26, v10 dst_sel:DWORD dst_unused:UNUSED_PAD src0_sel:WORD_0
	v_cvt_f32_u32_sdwa v27, v10 dst_sel:DWORD dst_unused:UNUSED_PAD src0_sel:WORD_1
	v_cvt_f32_u32_sdwa v24, v11 dst_sel:DWORD dst_unused:UNUSED_PAD src0_sel:WORD_0
	v_cvt_f32_u32_sdwa v25, v11 dst_sel:DWORD dst_unused:UNUSED_PAD src0_sel:WORD_1
	;; [unrolled: 2-line block ×4, first 2 shown]
.LBB632_34:
	s_or_b64 exec, exec, s[0:1]
	s_waitcnt vmcnt(2)
	v_mul_f32_e32 v10, v19, v19
	v_fmac_f32_e32 v10, v18, v18
	v_fmac_f32_e32 v10, v32, v32
	;; [unrolled: 1-line block ×15, first 2 shown]
	s_nop 1
	v_mov_b32_dpp v11, v10 quad_perm:[1,0,3,2] row_mask:0xf bank_mask:0xf
	v_add_f32_e32 v10, v10, v11
	s_nop 1
	v_mov_b32_dpp v11, v10 quad_perm:[2,3,0,1] row_mask:0xf bank_mask:0xf
	v_add_f32_e32 v10, v10, v11
	s_nop 1
	v_mov_b32_dpp v11, v10 row_half_mirror row_mask:0xf bank_mask:0xf
	v_add_f32_e32 v10, v10, v11
	s_nop 1
	v_mov_b32_dpp v11, v10 row_mirror row_mask:0xf bank_mask:0xf
	v_add_f32_e32 v10, v10, v11
	s_nop 1
	v_mov_b32_dpp v11, v10 row_bcast:15 row_mask:0xf bank_mask:0xf
	v_add_f32_e32 v10, v10, v11
	s_nop 1
	v_mov_b32_dpp v11, v10 row_bcast:31 row_mask:0xf bank_mask:0xf
	s_and_saveexec_b64 s[0:1], s[8:9]
	s_cbranch_execz .LBB632_36
; %bb.35:
	v_lshrrev_b32_e32 v0, 4, v0
	v_add_f32_e32 v10, v10, v11
	v_and_b32_e32 v0, 60, v0
	ds_write_b32 v0, v10
.LBB632_36:
	s_or_b64 exec, exec, s[0:1]
	s_waitcnt lgkmcnt(0)
	s_barrier
	ds_read_b32 v0, v34
	s_waitcnt lgkmcnt(0)
	s_nop 0
	v_mov_b32_dpp v10, v0 quad_perm:[1,0,3,2] row_mask:0xf bank_mask:0xf
	s_and_saveexec_b64 s[0:1], vcc
	s_cbranch_execz .LBB632_17
; %bb.37:
	v_cvt_f32_u32_e32 v11, s16
	v_add_f32_e32 v0, v0, v10
	s_mov_b32 s23, 0x20000
	v_div_scale_f32 v10, s[0:1], v11, v11, v0
	v_rcp_f32_e32 v12, v10
	v_div_scale_f32 v13, vcc, v0, v11, v0
	s_mov_b32 s0, 0x800000
	v_fma_f32 v14, -v10, v12, 1.0
	v_fmac_f32_e32 v12, v14, v12
	v_mul_f32_e32 v14, v13, v12
	v_fma_f32 v15, -v10, v14, v13
	v_fmac_f32_e32 v14, v15, v12
	v_fma_f32 v10, -v10, v14, v13
	v_div_fmas_f32 v10, v10, v12, v14
	v_div_fixup_f32 v0, v10, v11, v0
	v_add_f32_e32 v0, s13, v0
	v_mul_f32_e32 v10, 0x4b800000, v0
	v_cmp_gt_f32_e32 vcc, s0, v0
	v_cndmask_b32_e32 v0, v0, v10, vcc
	v_rsq_f32_e32 v0, v0
	s_mul_hi_i32 s1, s10, s6
	s_mul_i32 s0, s10, s6
	s_lshl_b64 s[0:1], s[0:1], 1
	v_mul_f32_e32 v10, 0x45800000, v0
	v_cndmask_b32_e32 v10, v0, v10, vcc
	v_mov_b32_e32 v11, v10
	s_add_u32 s20, s36, s0
	;;#ASMSTART
	v_pk_mul_f32 v[12:13], v[18:19], v[10:11]
	;;#ASMEND
	;;#ASMSTART
	v_pk_mul_f32 v[14:15], v[32:33], v[10:11]
	;;#ASMEND
	;; [unrolled: 3-line block ×8, first 2 shown]
	s_waitcnt vmcnt(1)
	v_cvt_f32_u32_sdwa v21, v6 dst_sel:DWORD dst_unused:UNUSED_PAD src0_sel:WORD_1
	v_cvt_f32_u32_sdwa v20, v6 dst_sel:DWORD dst_unused:UNUSED_PAD src0_sel:WORD_0
	v_cvt_f32_u32_sdwa v29, v7 dst_sel:DWORD dst_unused:UNUSED_PAD src0_sel:WORD_1
	v_cvt_f32_u32_sdwa v28, v7 dst_sel:DWORD dst_unused:UNUSED_PAD src0_sel:WORD_0
	;; [unrolled: 2-line block ×3, first 2 shown]
	s_addc_u32 s0, s37, s1
	v_cvt_f32_u32_sdwa v31, v9 dst_sel:DWORD dst_unused:UNUSED_PAD src0_sel:WORD_1
	v_cvt_f32_u32_sdwa v30, v9 dst_sel:DWORD dst_unused:UNUSED_PAD src0_sel:WORD_0
	;;#ASMSTART
	v_pk_mul_f32 v[8:9], v[12:13], v[20:21]
	;;#ASMEND
	;;#ASMSTART
	v_pk_mul_f32 v[12:13], v[14:15], v[28:29]
	;;#ASMEND
	;; [unrolled: 3-line block ×4, first 2 shown]
	s_waitcnt vmcnt(0)
	v_cvt_f32_u32_sdwa v17, v2 dst_sel:DWORD dst_unused:UNUSED_PAD src0_sel:WORD_1
	v_cvt_f32_u32_sdwa v16, v2 dst_sel:DWORD dst_unused:UNUSED_PAD src0_sel:WORD_0
	v_cvt_f32_u32_sdwa v19, v3 dst_sel:DWORD dst_unused:UNUSED_PAD src0_sel:WORD_1
	v_cvt_f32_u32_sdwa v18, v3 dst_sel:DWORD dst_unused:UNUSED_PAD src0_sel:WORD_0
	;; [unrolled: 2-line block ×3, first 2 shown]
	s_and_b32 s21, s0, 0xffff
	s_mov_b32 s0, 0x7060302
	v_cvt_f32_u32_sdwa v21, v5 dst_sel:DWORD dst_unused:UNUSED_PAD src0_sel:WORD_1
	v_cvt_f32_u32_sdwa v20, v5 dst_sel:DWORD dst_unused:UNUSED_PAD src0_sel:WORD_0
	;;#ASMSTART
	v_pk_mul_f32 v[16:17], v[26:27], v[16:17]
	;;#ASMEND
	;;#ASMSTART
	v_pk_mul_f32 v[18:19], v[24:25], v[18:19]
	;;#ASMEND
	;; [unrolled: 3-line block ×3, first 2 shown]
	v_perm_b32 v2, v9, v8, s0
	v_perm_b32 v3, v13, v12, s0
	;; [unrolled: 1-line block ×4, first 2 shown]
	;;#ASMSTART
	v_pk_mul_f32 v[10:11], v[10:11], v[20:21]
	;;#ASMEND
	buffer_store_dwordx4 v[2:5], v1, s[20:23], 0 offen
	;;#ASMSTART
	s_nop 0
	;;#ASMEND
	s_nop 0
	v_perm_b32 v2, v17, v16, s0
	v_perm_b32 v3, v19, v18, s0
	;; [unrolled: 1-line block ×4, first 2 shown]
	buffer_store_dwordx4 v[2:5], v1, s[20:23], 16 offen
	;;#ASMSTART
	s_nop 0
	;;#ASMEND
	s_endpgm
	.section	.rodata,"a",@progbits
	.p2align	6, 0x0
	.amdhsa_kernel _ZN5aiter35fused_qk_rmsnorm_group_quant_kernelItN4opus5fp4_tELi128ELi16ELi8ELb1ELb0ELb0ELb0ELb0ELb0EEEvPT0_PvPT_S7_S7_PKS6_S9_S9_S9_S9_ffiiiiiiiiiiiii
		.amdhsa_group_segment_fixed_size 16
		.amdhsa_private_segment_fixed_size 0
		.amdhsa_kernarg_size 400
		.amdhsa_user_sgpr_count 6
		.amdhsa_user_sgpr_private_segment_buffer 1
		.amdhsa_user_sgpr_dispatch_ptr 0
		.amdhsa_user_sgpr_queue_ptr 0
		.amdhsa_user_sgpr_kernarg_segment_ptr 1
		.amdhsa_user_sgpr_dispatch_id 0
		.amdhsa_user_sgpr_flat_scratch_init 0
		.amdhsa_user_sgpr_kernarg_preload_length 0
		.amdhsa_user_sgpr_kernarg_preload_offset 0
		.amdhsa_user_sgpr_private_segment_size 0
		.amdhsa_uses_dynamic_stack 0
		.amdhsa_system_sgpr_private_segment_wavefront_offset 0
		.amdhsa_system_sgpr_workgroup_id_x 1
		.amdhsa_system_sgpr_workgroup_id_y 1
		.amdhsa_system_sgpr_workgroup_id_z 0
		.amdhsa_system_sgpr_workgroup_info 0
		.amdhsa_system_vgpr_workitem_id 0
		.amdhsa_next_free_vgpr 94
		.amdhsa_next_free_sgpr 40
		.amdhsa_accum_offset 96
		.amdhsa_reserve_vcc 1
		.amdhsa_reserve_flat_scratch 0
		.amdhsa_float_round_mode_32 0
		.amdhsa_float_round_mode_16_64 0
		.amdhsa_float_denorm_mode_32 3
		.amdhsa_float_denorm_mode_16_64 3
		.amdhsa_dx10_clamp 1
		.amdhsa_ieee_mode 1
		.amdhsa_fp16_overflow 0
		.amdhsa_tg_split 0
		.amdhsa_exception_fp_ieee_invalid_op 0
		.amdhsa_exception_fp_denorm_src 0
		.amdhsa_exception_fp_ieee_div_zero 0
		.amdhsa_exception_fp_ieee_overflow 0
		.amdhsa_exception_fp_ieee_underflow 0
		.amdhsa_exception_fp_ieee_inexact 0
		.amdhsa_exception_int_div_zero 0
	.end_amdhsa_kernel
	.section	.text._ZN5aiter35fused_qk_rmsnorm_group_quant_kernelItN4opus5fp4_tELi128ELi16ELi8ELb1ELb0ELb0ELb0ELb0ELb0EEEvPT0_PvPT_S7_S7_PKS6_S9_S9_S9_S9_ffiiiiiiiiiiiii,"axG",@progbits,_ZN5aiter35fused_qk_rmsnorm_group_quant_kernelItN4opus5fp4_tELi128ELi16ELi8ELb1ELb0ELb0ELb0ELb0ELb0EEEvPT0_PvPT_S7_S7_PKS6_S9_S9_S9_S9_ffiiiiiiiiiiiii,comdat
.Lfunc_end632:
	.size	_ZN5aiter35fused_qk_rmsnorm_group_quant_kernelItN4opus5fp4_tELi128ELi16ELi8ELb1ELb0ELb0ELb0ELb0ELb0EEEvPT0_PvPT_S7_S7_PKS6_S9_S9_S9_S9_ffiiiiiiiiiiiii, .Lfunc_end632-_ZN5aiter35fused_qk_rmsnorm_group_quant_kernelItN4opus5fp4_tELi128ELi16ELi8ELb1ELb0ELb0ELb0ELb0ELb0EEEvPT0_PvPT_S7_S7_PKS6_S9_S9_S9_S9_ffiiiiiiiiiiiii
                                        ; -- End function
	.section	.AMDGPU.csdata,"",@progbits
; Kernel info:
; codeLenInByte = 3744
; NumSgprs: 44
; NumVgprs: 94
; NumAgprs: 0
; TotalNumVgprs: 94
; ScratchSize: 0
; MemoryBound: 0
; FloatMode: 240
; IeeeMode: 1
; LDSByteSize: 16 bytes/workgroup (compile time only)
; SGPRBlocks: 5
; VGPRBlocks: 11
; NumSGPRsForWavesPerEU: 44
; NumVGPRsForWavesPerEU: 94
; AccumOffset: 96
; Occupancy: 5
; WaveLimiterHint : 0
; COMPUTE_PGM_RSRC2:SCRATCH_EN: 0
; COMPUTE_PGM_RSRC2:USER_SGPR: 6
; COMPUTE_PGM_RSRC2:TRAP_HANDLER: 0
; COMPUTE_PGM_RSRC2:TGID_X_EN: 1
; COMPUTE_PGM_RSRC2:TGID_Y_EN: 1
; COMPUTE_PGM_RSRC2:TGID_Z_EN: 0
; COMPUTE_PGM_RSRC2:TIDIG_COMP_CNT: 0
; COMPUTE_PGM_RSRC3_GFX90A:ACCUM_OFFSET: 23
; COMPUTE_PGM_RSRC3_GFX90A:TG_SPLIT: 0
	.section	.text._ZN5aiter35fused_qk_rmsnorm_group_quant_kernelIDF16_DB8_Li128ELi16ELi8ELb0ELb1ELb1ELb0ELb0ELb0EEEvPT0_PvPT_S6_S6_PKS5_S8_S8_S8_S8_ffiiiiiiiiiiiii,"axG",@progbits,_ZN5aiter35fused_qk_rmsnorm_group_quant_kernelIDF16_DB8_Li128ELi16ELi8ELb0ELb1ELb1ELb0ELb0ELb0EEEvPT0_PvPT_S6_S6_PKS5_S8_S8_S8_S8_ffiiiiiiiiiiiii,comdat
	.protected	_ZN5aiter35fused_qk_rmsnorm_group_quant_kernelIDF16_DB8_Li128ELi16ELi8ELb0ELb1ELb1ELb0ELb0ELb0EEEvPT0_PvPT_S6_S6_PKS5_S8_S8_S8_S8_ffiiiiiiiiiiiii ; -- Begin function _ZN5aiter35fused_qk_rmsnorm_group_quant_kernelIDF16_DB8_Li128ELi16ELi8ELb0ELb1ELb1ELb0ELb0ELb0EEEvPT0_PvPT_S6_S6_PKS5_S8_S8_S8_S8_ffiiiiiiiiiiiii
	.globl	_ZN5aiter35fused_qk_rmsnorm_group_quant_kernelIDF16_DB8_Li128ELi16ELi8ELb0ELb1ELb1ELb0ELb0ELb0EEEvPT0_PvPT_S6_S6_PKS5_S8_S8_S8_S8_ffiiiiiiiiiiiii
	.p2align	8
	.type	_ZN5aiter35fused_qk_rmsnorm_group_quant_kernelIDF16_DB8_Li128ELi16ELi8ELb0ELb1ELb1ELb0ELb0ELb0EEEvPT0_PvPT_S6_S6_PKS5_S8_S8_S8_S8_ffiiiiiiiiiiiii,@function
_ZN5aiter35fused_qk_rmsnorm_group_quant_kernelIDF16_DB8_Li128ELi16ELi8ELb0ELb1ELb1ELb0ELb0ELb0EEEvPT0_PvPT_S6_S6_PKS5_S8_S8_S8_S8_ffiiiiiiiiiiiii: ; @_ZN5aiter35fused_qk_rmsnorm_group_quant_kernelIDF16_DB8_Li128ELi16ELi8ELb0ELb1ELb1ELb0ELb0ELb0EEEvPT0_PvPT_S6_S6_PKS5_S8_S8_S8_S8_ffiiiiiiiiiiiii
; %bb.0:
	s_load_dwordx4 s[16:19], s[4:5], 0x50
	s_waitcnt lgkmcnt(0)
	s_cmp_ge_i32 s6, s18
	s_cbranch_scc1 .LBB633_12
; %bb.1:
	s_load_dwordx2 s[12:13], s[4:5], 0x48
	s_load_dwordx2 s[30:31], s[4:5], 0x30
	s_load_dwordx4 s[20:23], s[4:5], 0x60
	s_cmp_lg_u32 s7, 0
	s_cselect_b64 s[14:15], -1, 0
	s_cmp_eq_u32 s7, 0
	s_cselect_b64 vcc, -1, 0
	s_and_b64 s[0:1], vcc, exec
	s_waitcnt lgkmcnt(0)
	s_cselect_b32 s7, s19, s20
	s_add_i32 s0, s7, 1
	s_lshr_b32 s1, s0, 31
	s_add_i32 s0, s0, s1
	s_lshl_b32 s0, s0, 1
	v_lshlrev_b32_e32 v1, 4, v0
	s_and_b32 s10, s0, -4
	v_cmp_gt_i32_e64 s[2:3], s7, v1
	v_mov_b32_e32 v18, 0
	v_mov_b32_e32 v6, 0
	;; [unrolled: 1-line block ×17, first 2 shown]
	s_and_saveexec_b64 s[0:1], s[2:3]
	s_cbranch_execz .LBB633_3
; %bb.2:
	s_load_dwordx2 s[8:9], s[4:5], 0x28
	s_load_dwordx2 s[26:27], s[4:5], 0x40
	s_and_b64 s[24:25], vcc, exec
	s_cselect_b32 s11, s21, s22
	v_lshlrev_b32_e32 v19, 5, v0
	s_waitcnt lgkmcnt(0)
	s_cselect_b32 s18, s9, s31
	s_cselect_b32 s21, s8, s30
	s_mul_hi_i32 s9, s11, s6
	s_mul_i32 s8, s11, s6
	s_lshl_b64 s[8:9], s[8:9], 1
	s_add_u32 s24, s21, s8
	s_addc_u32 s18, s18, s9
	s_and_b64 s[8:9], vcc, exec
	s_mov_b32 s11, 0x20000
	s_cselect_b32 s8, s26, s12
	s_cselect_b32 s9, s27, s13
	s_and_b32 s25, s18, 0xffff
	s_mov_b32 s26, s10
	s_mov_b32 s27, s11
	s_and_b32 s9, s9, 0xffff
	buffer_load_dwordx4 v[14:17], v19, s[24:27], 0 offen
	buffer_load_dwordx4 v[10:13], v19, s[24:27], 16 offen
	;; [unrolled: 1-line block ×4, first 2 shown]
.LBB633_3:
	s_or_b64 exec, exec, s[0:1]
	v_mov_b32_e32 v19, 0
	v_mov_b32_e32 v32, 0
	;; [unrolled: 1-line block ×15, first 2 shown]
	s_and_saveexec_b64 s[0:1], s[2:3]
	s_cbranch_execz .LBB633_5
; %bb.4:
	s_waitcnt vmcnt(3)
	v_cvt_f32_f16_sdwa v19, v14 dst_sel:DWORD dst_unused:UNUSED_PAD src0_sel:WORD_1
	v_cvt_f32_f16_e32 v18, v14
	v_cvt_f32_f16_sdwa v33, v15 dst_sel:DWORD dst_unused:UNUSED_PAD src0_sel:WORD_1
	v_cvt_f32_f16_e32 v32, v15
	;; [unrolled: 2-line block ×4, first 2 shown]
	s_waitcnt vmcnt(2)
	v_cvt_f32_f16_sdwa v25, v10 dst_sel:DWORD dst_unused:UNUSED_PAD src0_sel:WORD_1
	v_cvt_f32_f16_e32 v24, v10
	v_cvt_f32_f16_sdwa v29, v11 dst_sel:DWORD dst_unused:UNUSED_PAD src0_sel:WORD_1
	v_cvt_f32_f16_e32 v28, v11
	;; [unrolled: 2-line block ×4, first 2 shown]
.LBB633_5:
	s_or_b64 exec, exec, s[0:1]
	s_waitcnt vmcnt(2)
	v_mul_f32_e32 v10, v19, v19
	v_fmac_f32_e32 v10, v18, v18
	v_fmac_f32_e32 v10, v32, v32
	;; [unrolled: 1-line block ×15, first 2 shown]
	v_and_b32_e32 v12, 63, v0
	v_cmp_eq_u32_e64 s[0:1], 63, v12
	v_mov_b32_dpp v11, v10 quad_perm:[1,0,3,2] row_mask:0xf bank_mask:0xf
	v_add_f32_e32 v10, v10, v11
	s_nop 1
	v_mov_b32_dpp v11, v10 quad_perm:[2,3,0,1] row_mask:0xf bank_mask:0xf
	v_add_f32_e32 v10, v10, v11
	s_nop 1
	v_mov_b32_dpp v11, v10 row_half_mirror row_mask:0xf bank_mask:0xf
	v_add_f32_e32 v10, v10, v11
	s_nop 1
	v_mov_b32_dpp v11, v10 row_mirror row_mask:0xf bank_mask:0xf
	v_add_f32_e32 v10, v10, v11
	s_nop 1
	v_mov_b32_dpp v11, v10 row_bcast:15 row_mask:0xf bank_mask:0xf
	v_add_f32_e32 v10, v10, v11
	s_nop 1
	v_mov_b32_dpp v11, v10 row_bcast:31 row_mask:0xf bank_mask:0xf
	s_and_saveexec_b64 s[8:9], s[0:1]
	s_cbranch_execz .LBB633_7
; %bb.6:
	v_add_f32_e32 v10, v10, v11
	v_lshrrev_b32_e32 v11, 4, v0
	v_and_b32_e32 v11, 60, v11
	ds_write_b32 v11, v10 offset:8
.LBB633_7:
	s_or_b64 exec, exec, s[8:9]
	v_and_b32_e32 v10, 1, v0
	v_lshlrev_b32_e32 v34, 2, v10
	s_waitcnt lgkmcnt(0)
	s_barrier
	ds_read_b32 v10, v34 offset:8
	s_load_dwordx2 s[28:29], s[4:5], 0x18
	s_waitcnt lgkmcnt(0)
	v_mov_b32_dpp v11, v10 quad_perm:[1,0,3,2] row_mask:0xf bank_mask:0xf
	s_and_saveexec_b64 s[8:9], s[2:3]
	s_cbranch_execz .LBB633_9
; %bb.8:
	v_cvt_f32_u32_e32 v12, s7
	v_add_f32_e32 v10, v10, v11
	v_mov_b32_e32 v14, s17
	v_mov_b32_e32 v15, s16
	v_div_scale_f32 v11, s[24:25], v12, v12, v10
	v_rcp_f32_e32 v13, v11
	v_cndmask_b32_e32 v14, v14, v15, vcc
	s_mov_b32 s7, 0x800000
	v_fma_f32 v15, -v11, v13, 1.0
	v_fmac_f32_e32 v13, v15, v13
	v_div_scale_f32 v15, vcc, v10, v12, v10
	v_mul_f32_e32 v16, v15, v13
	v_fma_f32 v17, -v11, v16, v15
	v_fmac_f32_e32 v16, v17, v13
	v_fma_f32 v11, -v11, v16, v15
	v_div_fmas_f32 v11, v11, v13, v16
	v_div_fixup_f32 v10, v11, v12, v10
	v_add_f32_e32 v10, v14, v10
	v_mul_f32_e32 v11, 0x4b800000, v10
	v_cmp_gt_f32_e32 vcc, s7, v10
	v_cndmask_b32_e32 v10, v10, v11, vcc
	v_rsq_f32_e32 v10, v10
	v_mul_f32_e32 v11, 0x45800000, v10
	v_cndmask_b32_e32 v10, v10, v11, vcc
	v_mov_b32_e32 v11, v10
	;;#ASMSTART
	v_pk_mul_f32 v[12:13], v[18:19], v[10:11]
	;;#ASMEND
	s_waitcnt vmcnt(1)
	v_cvt_f32_f16_sdwa v19, v6 dst_sel:DWORD dst_unused:UNUSED_PAD src0_sel:WORD_1
	v_cvt_f32_f16_e32 v18, v6
	;;#ASMSTART
	v_pk_mul_f32 v[14:15], v[32:33], v[10:11]
	;;#ASMEND
	;;#ASMSTART
	v_pk_mul_f32 v[16:17], v[26:27], v[10:11]
	;;#ASMEND
	v_cvt_f32_f16_sdwa v27, v7 dst_sel:DWORD dst_unused:UNUSED_PAD src0_sel:WORD_1
	v_cvt_f32_f16_e32 v26, v7
	;;#ASMSTART
	v_pk_mul_f32 v[30:31], v[30:31], v[10:11]
	;;#ASMEND
	;;#ASMSTART
	v_pk_mul_f32 v[24:25], v[24:25], v[10:11]
	;;#ASMEND
	;; [unrolled: 3-line block ×5, first 2 shown]
	v_pk_add_f32 v[10:11], v[18:19], 1.0 op_sel_hi:[1,0]
	;;#ASMSTART
	v_pk_mul_f32 v[18:19], v[12:13], v[10:11]
	;;#ASMEND
	v_cvt_f32_f16_sdwa v13, v8 dst_sel:DWORD dst_unused:UNUSED_PAD src0_sel:WORD_1
	v_cvt_f32_f16_e32 v12, v8
	v_cvt_f32_f16_sdwa v21, v9 dst_sel:DWORD dst_unused:UNUSED_PAD src0_sel:WORD_1
	v_cvt_f32_f16_e32 v20, v9
	v_pk_add_f32 v[10:11], v[26:27], 1.0 op_sel_hi:[1,0]
	;;#ASMSTART
	v_pk_mul_f32 v[32:33], v[14:15], v[10:11]
	;;#ASMEND
	s_waitcnt vmcnt(0)
	v_cvt_f32_f16_sdwa v11, v2 dst_sel:DWORD dst_unused:UNUSED_PAD src0_sel:WORD_1
	v_cvt_f32_f16_e32 v10, v2
	v_pk_add_f32 v[8:9], v[12:13], 1.0 op_sel_hi:[1,0]
	;;#ASMSTART
	v_pk_mul_f32 v[26:27], v[16:17], v[8:9]
	;;#ASMEND
	v_pk_add_f32 v[8:9], v[20:21], 1.0 op_sel_hi:[1,0]
	v_cvt_f32_f16_sdwa v13, v3 dst_sel:DWORD dst_unused:UNUSED_PAD src0_sel:WORD_1
	v_cvt_f32_f16_e32 v12, v3
	;;#ASMSTART
	v_pk_mul_f32 v[30:31], v[30:31], v[8:9]
	;;#ASMEND
	v_cvt_f32_f16_sdwa v9, v4 dst_sel:DWORD dst_unused:UNUSED_PAD src0_sel:WORD_1
	v_cvt_f32_f16_e32 v8, v4
	v_pk_add_f32 v[2:3], v[10:11], 1.0 op_sel_hi:[1,0]
	v_cvt_f32_f16_sdwa v11, v5 dst_sel:DWORD dst_unused:UNUSED_PAD src0_sel:WORD_1
	v_cvt_f32_f16_e32 v10, v5
	;;#ASMSTART
	v_pk_mul_f32 v[24:25], v[24:25], v[2:3]
	;;#ASMEND
	v_pk_add_f32 v[2:3], v[12:13], 1.0 op_sel_hi:[1,0]
	;;#ASMSTART
	v_pk_mul_f32 v[28:29], v[28:29], v[2:3]
	;;#ASMEND
	v_pk_add_f32 v[2:3], v[8:9], 1.0 op_sel_hi:[1,0]
	;; [unrolled: 4-line block ×3, first 2 shown]
	;;#ASMSTART
	v_pk_mul_f32 v[20:21], v[6:7], v[2:3]
	;;#ASMEND
.LBB633_9:
	s_or_b64 exec, exec, s[8:9]
	s_load_dword s7, s[4:5], 0x80
	s_mov_b64 s[8:9], -1
	s_and_b64 vcc, exec, s[14:15]
	s_cbranch_vccnz .LBB633_13
; %bb.10:
	s_andn2_b64 vcc, exec, s[8:9]
	s_cbranch_vccz .LBB633_16
.LBB633_11:
	s_cmp_lt_i32 s20, 1
	s_cbranch_scc0 .LBB633_25
.LBB633_12:
	s_endpgm
.LBB633_13:
	s_and_saveexec_b64 s[14:15], s[2:3]
	s_cbranch_execz .LBB633_15
; %bb.14:
	s_waitcnt lgkmcnt(0)
	s_mul_hi_i32 s9, s7, s6
	s_mul_i32 s8, s7, s6
	s_waitcnt vmcnt(0)
	v_cvt_f16_f32_e32 v2, v18
	v_cvt_f16_f32_e32 v3, v32
	;; [unrolled: 1-line block ×8, first 2 shown]
	s_lshl_b64 s[8:9], s[8:9], 1
	s_add_u32 s8, s28, s8
	s_addc_u32 s9, s29, s9
	s_and_b32 s9, s9, 0xffff
	s_mov_b32 s11, 0x20000
	v_pack_b32_f16 v5, v5, v6
	v_pack_b32_f16 v4, v4, v7
	;; [unrolled: 1-line block ×4, first 2 shown]
	v_lshlrev_b32_e32 v6, 5, v0
	buffer_store_dwordx4 v[2:5], v6, s[8:11], 0 offen
	v_cvt_f16_f32_e32 v7, v21
	v_cvt_f16_f32_e32 v2, v24
	;; [unrolled: 1-line block ×8, first 2 shown]
	v_pack_b32_f16 v5, v5, v7
	v_pack_b32_f16 v4, v4, v8
	;; [unrolled: 1-line block ×4, first 2 shown]
	;;#ASMSTART
	s_nop 0
	;;#ASMEND
	buffer_store_dwordx4 v[2:5], v6, s[8:11], 16 offen
	;;#ASMSTART
	s_nop 0
	;;#ASMEND
.LBB633_15:
	s_or_b64 exec, exec, s[14:15]
	s_cbranch_execnz .LBB633_11
.LBB633_16:
	s_load_dwordx4 s[24:27], s[4:5], 0x70
	s_waitcnt vmcnt(0)
	v_mov_b32_e32 v2, 0
	s_and_saveexec_b64 s[14:15], s[2:3]
	s_cbranch_execz .LBB633_18
; %bb.17:
	s_load_dwordx2 s[8:9], s[4:5], 0x10
	s_waitcnt lgkmcnt(0)
	s_mul_hi_i32 s35, s27, s6
	s_mul_i32 s34, s27, s6
	v_cvt_f16_f32_e32 v2, v18
	v_cvt_f16_f32_e32 v3, v32
	;; [unrolled: 1-line block ×8, first 2 shown]
	s_lshl_b64 s[34:35], s[34:35], 1
	s_add_u32 s8, s8, s34
	s_addc_u32 s9, s9, s35
	s_mov_b32 s11, 0x20000
	s_and_b32 s9, s9, 0xffff
	v_pack_b32_f16 v5, v5, v6
	v_pack_b32_f16 v4, v4, v7
	;; [unrolled: 1-line block ×4, first 2 shown]
	v_lshlrev_b32_e32 v6, 5, v0
	buffer_store_dwordx4 v[2:5], v6, s[8:11], 0 offen
	v_cvt_f16_f32_e32 v7, v21
	v_cvt_f16_f32_e32 v2, v24
	;; [unrolled: 1-line block ×8, first 2 shown]
	v_pack_b32_f16 v5, v5, v7
	v_pack_b32_f16 v4, v4, v8
	;; [unrolled: 1-line block ×4, first 2 shown]
	;;#ASMSTART
	s_nop 0
	;;#ASMEND
	buffer_store_dwordx4 v[2:5], v6, s[8:11], 16 offen
	;;#ASMSTART
	s_nop 0
	;;#ASMEND
	s_nop 0
	v_mov_b32_e32 v2, 0x2edbe6ff
.LBB633_18:
	s_or_b64 exec, exec, s[14:15]
	s_and_saveexec_b64 s[8:9], s[2:3]
	s_cbranch_execz .LBB633_20
; %bb.19:
	v_and_b32_e32 v3, 0x7fffffff, v18
	v_and_b32_e32 v4, 0x7fffffff, v19
	;;#ASMSTART
	v_max3_f32 v2, v2, v3, v4

	;;#ASMEND
	v_and_b32_e32 v3, 0x7fffffff, v32
	v_and_b32_e32 v4, 0x7fffffff, v33
	;;#ASMSTART
	v_max3_f32 v2, v2, v3, v4

	;;#ASMEND
	;; [unrolled: 6-line block ×8, first 2 shown]
.LBB633_20:
	s_or_b64 exec, exec, s[8:9]
	;;#ASMSTART
	v_max_f32 v3, v2, v2 quad_perm:[1,0,3,2] row_mask:0xf bank_mask:0xf bound_ctrl:1
	;;#ASMEND
	;;#ASMSTART
	v_max_f32 v2, v3, v3 quad_perm:[2,3,0,1] row_mask:0xf bank_mask:0xf bound_ctrl:1
	;;#ASMEND
	;;#ASMSTART
	v_max_f32 v3, v2, v2 row_half_mirror row_mask:0xf bank_mask:0xf bound_ctrl:1
	;;#ASMEND
	v_mul_f32_e32 v2, 0x3b124925, v3
	v_and_b32_e32 v3, 7, v0
	v_cmp_eq_u32_e32 vcc, 0, v3
	v_cmp_gt_i32_e64 s[8:9], s19, v1
	s_and_b64 s[10:11], vcc, s[8:9]
	s_and_saveexec_b64 s[8:9], s[10:11]
	s_cbranch_execz .LBB633_22
; %bb.21:
	s_load_dwordx2 s[10:11], s[4:5], 0x8
	s_waitcnt lgkmcnt(0)
	s_mul_hi_i32 s15, s25, s6
	s_mul_i32 s14, s25, s6
	v_lshrrev_b32_e32 v3, 3, v0
	s_lshl_b64 s[14:15], s[14:15], 2
	v_mad_i64_i32 v[4:5], s[26:27], s26, v3, 0
	s_add_u32 s10, s10, s14
	s_addc_u32 s11, s11, s15
	v_lshlrev_b64 v[4:5], 2, v[4:5]
	v_mov_b32_e32 v3, s11
	v_add_co_u32_e32 v4, vcc, s10, v4
	v_addc_co_u32_e32 v5, vcc, v3, v5, vcc
	global_store_dword v[4:5], v2, off
.LBB633_22:
	s_or_b64 exec, exec, s[8:9]
	;;#ASMSTART
	v_rcp_f32 v2, v2
	;;#ASMEND
	s_and_saveexec_b64 s[14:15], s[2:3]
	s_cbranch_execz .LBB633_24
; %bb.23:
	s_load_dwordx2 s[2:3], s[4:5], 0x0
	s_waitcnt lgkmcnt(0)
	s_mul_i32 s8, s24, s6
	s_mul_hi_i32 s9, s24, s6
	v_mov_b32_e32 v3, v2
	;;#ASMSTART
	v_pk_mul_f32 v[4:5], v[18:19], v[2:3]
	;;#ASMEND
	s_add_u32 s8, s2, s8
	s_addc_u32 s2, s3, s9
	s_add_i32 s3, s19, 3
	s_ashr_i32 s10, s3, 31
	v_mov_b32_e32 v10, 0xc3e00000
	v_mov_b32_e32 v11, 0x43e00000
	;;#ASMSTART
	v_med3_f32 v4, v4, v10, v11
v_med3_f32 v5, v5, v10, v11
v_cvt_pk_fp8_f32 v6, v4, v5
	;;#ASMEND
	s_and_b32 s9, s2, 0xffff
	s_lshr_b32 s2, s10, 30
	;;#ASMSTART
	v_pk_mul_f32 v[4:5], v[32:33], v[2:3]
	;;#ASMEND
	s_add_i32 s3, s3, s2
	;;#ASMSTART
	v_med3_f32 v4, v4, v10, v11
v_med3_f32 v5, v5, v10, v11
v_cvt_pk_fp8_f32 v7, v4, v5
	;;#ASMEND
	s_mov_b32 s2, 0x5040100
	v_perm_b32 v4, v7, v6, s2
	s_mov_b32 s2, 0x1060504
	v_perm_b32 v4, v4, v7, s2
	;;#ASMSTART
	v_pk_mul_f32 v[6:7], v[26:27], v[2:3]
	;;#ASMEND
	v_mov_b32_e32 v5, v6
	;;#ASMSTART
	v_med3_f32 v5, v5, v10, v11
v_med3_f32 v7, v7, v10, v11
v_cvt_pk_fp8_f32 v8, v5, v7
	;;#ASMEND
	;;#ASMSTART
	v_pk_mul_f32 v[6:7], v[30:31], v[2:3]
	;;#ASMEND
	v_mov_b32_e32 v5, v7
	;;#ASMSTART
	v_med3_f32 v6, v6, v10, v11
v_med3_f32 v5, v5, v10, v11
v_cvt_pk_fp8_f32 v7, v6, v5
	;;#ASMEND
	s_mov_b32 s2, 0x1000504
	v_perm_b32 v5, v8, v7, s2
	;;#ASMSTART
	v_pk_mul_f32 v[6:7], v[24:25], v[2:3]
	;;#ASMEND
	;;#ASMSTART
	v_med3_f32 v6, v6, v10, v11
v_med3_f32 v7, v7, v10, v11
v_cvt_pk_fp8_f32 v8, v6, v7
	;;#ASMEND
	;;#ASMSTART
	v_pk_mul_f32 v[6:7], v[28:29], v[2:3]
	;;#ASMEND
	;;#ASMSTART
	v_med3_f32 v6, v6, v10, v11
v_med3_f32 v7, v7, v10, v11
v_cvt_pk_fp8_f32 v9, v6, v7
	;;#ASMEND
	v_perm_b32 v6, v8, v9, s2
	;;#ASMSTART
	v_pk_mul_f32 v[8:9], v[22:23], v[2:3]
	;;#ASMEND
	v_mov_b32_e32 v7, v8
	;;#ASMSTART
	v_med3_f32 v7, v7, v10, v11
v_med3_f32 v9, v9, v10, v11
v_cvt_pk_fp8_f32 v8, v7, v9
	;;#ASMEND
	;;#ASMSTART
	v_pk_mul_f32 v[2:3], v[20:21], v[2:3]
	;;#ASMEND
	;;#ASMSTART
	v_med3_f32 v2, v2, v10, v11
v_med3_f32 v3, v3, v10, v11
v_cvt_pk_fp8_f32 v7, v2, v3
	;;#ASMEND
	s_and_b32 s10, s3, -4
	s_mov_b32 s11, 0x20000
	v_perm_b32 v7, v8, v7, s2
	buffer_store_dwordx4 v[4:7], v1, s[8:11], 0 offen
	;;#ASMSTART
	s_nop 0
	;;#ASMEND
.LBB633_24:
	s_or_b64 exec, exec, s[14:15]
	s_cmp_lt_i32 s20, 1
	s_cbranch_scc1 .LBB633_12
.LBB633_25:
	s_load_dword s2, s[4:5], 0x94
	s_waitcnt lgkmcnt(0)
	s_cmp_lg_u32 s2, 1
	s_cbranch_scc1 .LBB633_12
; %bb.26:
	s_lshl_b32 s2, s20, 1
	s_add_i32 s2, s2, 2
	v_cmp_gt_u32_e32 vcc, s20, v1
	s_and_b32 s14, s2, -4
	v_mov_b32_e32 v18, 0
	v_lshlrev_b32_e32 v1, 5, v0
	v_mov_b32_e32 v14, 0
	v_mov_b32_e32 v15, 0
	;; [unrolled: 1-line block ×8, first 2 shown]
	s_waitcnt vmcnt(1)
	v_mov_b32_e32 v6, 0
	v_mov_b32_e32 v7, 0
	;; [unrolled: 1-line block ×4, first 2 shown]
	s_waitcnt vmcnt(0)
	v_mov_b32_e32 v2, 0
	v_mov_b32_e32 v3, 0
	;; [unrolled: 1-line block ×4, first 2 shown]
	s_barrier
	s_and_saveexec_b64 s[2:3], vcc
	s_cbranch_execz .LBB633_28
; %bb.27:
	s_mul_hi_i32 s5, s22, s6
	s_mul_i32 s4, s22, s6
	s_and_b32 s13, s13, 0xffff
	s_lshl_b64 s[4:5], s[4:5], 1
	s_add_u32 s8, s30, s4
	s_mov_b32 s15, 0x20000
	s_addc_u32 s4, s31, s5
	s_and_b32 s9, s4, 0xffff
	s_mov_b32 s10, s14
	s_mov_b32 s11, s15
	buffer_load_dwordx4 v[14:17], v1, s[8:11], 0 offen
	buffer_load_dwordx4 v[10:13], v1, s[8:11], 16 offen
	buffer_load_dwordx4 v[6:9], v1, s[12:15], 0 offen
	buffer_load_dwordx4 v[2:5], v1, s[12:15], 16 offen
.LBB633_28:
	s_or_b64 exec, exec, s[2:3]
	v_mov_b32_e32 v19, 0
	v_mov_b32_e32 v32, 0
	;; [unrolled: 1-line block ×15, first 2 shown]
	s_and_saveexec_b64 s[2:3], vcc
	s_cbranch_execz .LBB633_30
; %bb.29:
	s_waitcnt vmcnt(3)
	v_cvt_f32_f16_sdwa v19, v14 dst_sel:DWORD dst_unused:UNUSED_PAD src0_sel:WORD_1
	v_cvt_f32_f16_e32 v18, v14
	v_cvt_f32_f16_sdwa v33, v15 dst_sel:DWORD dst_unused:UNUSED_PAD src0_sel:WORD_1
	v_cvt_f32_f16_e32 v32, v15
	;; [unrolled: 2-line block ×4, first 2 shown]
	s_waitcnt vmcnt(2)
	v_cvt_f32_f16_sdwa v27, v10 dst_sel:DWORD dst_unused:UNUSED_PAD src0_sel:WORD_1
	v_cvt_f32_f16_e32 v26, v10
	v_cvt_f32_f16_sdwa v25, v11 dst_sel:DWORD dst_unused:UNUSED_PAD src0_sel:WORD_1
	v_cvt_f32_f16_e32 v24, v11
	;; [unrolled: 2-line block ×4, first 2 shown]
.LBB633_30:
	s_or_b64 exec, exec, s[2:3]
	s_waitcnt vmcnt(2)
	v_mul_f32_e32 v10, v19, v19
	v_fmac_f32_e32 v10, v18, v18
	v_fmac_f32_e32 v10, v32, v32
	;; [unrolled: 1-line block ×15, first 2 shown]
	s_nop 1
	v_mov_b32_dpp v11, v10 quad_perm:[1,0,3,2] row_mask:0xf bank_mask:0xf
	v_add_f32_e32 v10, v10, v11
	s_nop 1
	v_mov_b32_dpp v11, v10 quad_perm:[2,3,0,1] row_mask:0xf bank_mask:0xf
	v_add_f32_e32 v10, v10, v11
	s_nop 1
	v_mov_b32_dpp v11, v10 row_half_mirror row_mask:0xf bank_mask:0xf
	v_add_f32_e32 v10, v10, v11
	s_nop 1
	v_mov_b32_dpp v11, v10 row_mirror row_mask:0xf bank_mask:0xf
	v_add_f32_e32 v10, v10, v11
	s_nop 1
	v_mov_b32_dpp v11, v10 row_bcast:15 row_mask:0xf bank_mask:0xf
	v_add_f32_e32 v10, v10, v11
	s_nop 1
	v_mov_b32_dpp v11, v10 row_bcast:31 row_mask:0xf bank_mask:0xf
	s_and_saveexec_b64 s[2:3], s[0:1]
	s_cbranch_execz .LBB633_32
; %bb.31:
	v_lshrrev_b32_e32 v0, 4, v0
	v_add_f32_e32 v10, v10, v11
	v_and_b32_e32 v0, 60, v0
	ds_write_b32 v0, v10
.LBB633_32:
	s_or_b64 exec, exec, s[2:3]
	s_waitcnt lgkmcnt(0)
	s_barrier
	ds_read_b32 v0, v34
	s_waitcnt lgkmcnt(0)
	s_nop 0
	v_mov_b32_dpp v10, v0 quad_perm:[1,0,3,2] row_mask:0xf bank_mask:0xf
	s_and_saveexec_b64 s[0:1], vcc
	s_cbranch_execz .LBB633_12
; %bb.33:
	v_cvt_f32_u32_e32 v11, s20
	v_add_f32_e32 v0, v0, v10
	s_mov_b32 s15, 0x20000
	v_div_scale_f32 v10, s[0:1], v11, v11, v0
	v_rcp_f32_e32 v12, v10
	v_div_scale_f32 v13, vcc, v0, v11, v0
	s_mov_b32 s0, 0x800000
	v_fma_f32 v14, -v10, v12, 1.0
	v_fmac_f32_e32 v12, v14, v12
	v_mul_f32_e32 v14, v13, v12
	v_fma_f32 v15, -v10, v14, v13
	v_fmac_f32_e32 v14, v15, v12
	v_fma_f32 v10, -v10, v14, v13
	v_div_fmas_f32 v10, v10, v12, v14
	v_div_fixup_f32 v0, v10, v11, v0
	v_add_f32_e32 v0, s17, v0
	v_mul_f32_e32 v10, 0x4b800000, v0
	v_cmp_gt_f32_e32 vcc, s0, v0
	v_cndmask_b32_e32 v0, v0, v10, vcc
	v_rsq_f32_e32 v0, v0
	s_mul_hi_i32 s1, s7, s6
	s_mul_i32 s0, s7, s6
	s_lshl_b64 s[0:1], s[0:1], 1
	v_mul_f32_e32 v10, 0x45800000, v0
	v_cndmask_b32_e32 v10, v0, v10, vcc
	v_mov_b32_e32 v11, v10
	;;#ASMSTART
	v_pk_mul_f32 v[12:13], v[18:19], v[10:11]
	;;#ASMEND
	;;#ASMSTART
	v_pk_mul_f32 v[14:15], v[32:33], v[10:11]
	;;#ASMEND
	;; [unrolled: 3-line block ×4, first 2 shown]
	s_waitcnt vmcnt(1)
	v_cvt_f32_f16_sdwa v29, v6 dst_sel:DWORD dst_unused:UNUSED_PAD src0_sel:WORD_1
	v_cvt_f32_f16_e32 v28, v6
	v_cvt_f32_f16_sdwa v31, v7 dst_sel:DWORD dst_unused:UNUSED_PAD src0_sel:WORD_1
	v_cvt_f32_f16_e32 v30, v7
	;;#ASMSTART
	v_pk_mul_f32 v[26:27], v[26:27], v[10:11]
	;;#ASMEND
	;;#ASMSTART
	v_pk_mul_f32 v[24:25], v[24:25], v[10:11]
	;;#ASMEND
	;;#ASMSTART
	v_pk_mul_f32 v[22:23], v[22:23], v[10:11]
	;;#ASMEND
	;;#ASMSTART
	v_pk_mul_f32 v[6:7], v[20:21], v[10:11]
	;;#ASMEND
	v_cvt_f32_f16_sdwa v21, v8 dst_sel:DWORD dst_unused:UNUSED_PAD src0_sel:WORD_1
	v_cvt_f32_f16_e32 v20, v8
	v_pk_add_f32 v[10:11], v[28:29], 1.0 op_sel_hi:[1,0]
	;;#ASMSTART
	v_pk_mul_f32 v[10:11], v[12:13], v[10:11]
	;;#ASMEND
	v_pk_add_f32 v[12:13], v[30:31], 1.0 op_sel_hi:[1,0]
	v_cvt_f32_f16_sdwa v29, v9 dst_sel:DWORD dst_unused:UNUSED_PAD src0_sel:WORD_1
	v_cvt_f32_f16_e32 v28, v9
	;;#ASMSTART
	v_pk_mul_f32 v[8:9], v[14:15], v[12:13]
	;;#ASMEND
	v_pk_add_f32 v[12:13], v[20:21], 1.0 op_sel_hi:[1,0]
	;;#ASMSTART
	v_pk_mul_f32 v[12:13], v[16:17], v[12:13]
	;;#ASMEND
	s_waitcnt vmcnt(0)
	v_cvt_f32_f16_sdwa v17, v2 dst_sel:DWORD dst_unused:UNUSED_PAD src0_sel:WORD_1
	v_cvt_f32_f16_e32 v16, v2
	v_cvt_f32_f16_sdwa v21, v3 dst_sel:DWORD dst_unused:UNUSED_PAD src0_sel:WORD_1
	v_cvt_f32_f16_e32 v20, v3
	v_pk_add_f32 v[14:15], v[28:29], 1.0 op_sel_hi:[1,0]
	;;#ASMSTART
	v_pk_mul_f32 v[2:3], v[18:19], v[14:15]
	;;#ASMEND
	v_cvt_f32_f16_sdwa v19, v4 dst_sel:DWORD dst_unused:UNUSED_PAD src0_sel:WORD_1
	v_cvt_f32_f16_e32 v18, v4
	v_pk_add_f32 v[14:15], v[16:17], 1.0 op_sel_hi:[1,0]
	v_pk_add_f32 v[16:17], v[20:21], 1.0 op_sel_hi:[1,0]
	v_cvt_f32_f16_sdwa v21, v5 dst_sel:DWORD dst_unused:UNUSED_PAD src0_sel:WORD_1
	v_cvt_f32_f16_e32 v20, v5
	v_pk_add_f32 v[4:5], v[18:19], 1.0 op_sel_hi:[1,0]
	;;#ASMSTART
	v_pk_mul_f32 v[14:15], v[26:27], v[14:15]
	;;#ASMEND
	;;#ASMSTART
	v_pk_mul_f32 v[16:17], v[24:25], v[16:17]
	;;#ASMEND
	;; [unrolled: 3-line block ×3, first 2 shown]
	v_pk_add_f32 v[4:5], v[20:21], 1.0 op_sel_hi:[1,0]
	;;#ASMSTART
	v_pk_mul_f32 v[6:7], v[6:7], v[4:5]
	;;#ASMEND
	v_cvt_f16_f32_e32 v0, v10
	v_cvt_f16_f32_e32 v4, v11
	;; [unrolled: 1-line block ×8, first 2 shown]
	s_add_u32 s12, s28, s0
	s_addc_u32 s0, s29, s1
	s_and_b32 s13, s0, 0xffff
	v_pack_b32_f16 v2, v0, v4
	v_pack_b32_f16 v3, v5, v8
	;; [unrolled: 1-line block ×4, first 2 shown]
	buffer_store_dwordx4 v[2:5], v1, s[12:15], 0 offen
	v_cvt_f16_f32_e32 v0, v14
	v_cvt_f16_f32_e32 v2, v15
	;; [unrolled: 1-line block ×8, first 2 shown]
	v_pack_b32_f16 v2, v0, v2
	v_pack_b32_f16 v3, v3, v4
	v_pack_b32_f16 v4, v5, v8
	v_pack_b32_f16 v5, v6, v7
	;;#ASMSTART
	s_nop 0
	;;#ASMEND
	buffer_store_dwordx4 v[2:5], v1, s[12:15], 16 offen
	;;#ASMSTART
	s_nop 0
	;;#ASMEND
	s_endpgm
	.section	.rodata,"a",@progbits
	.p2align	6, 0x0
	.amdhsa_kernel _ZN5aiter35fused_qk_rmsnorm_group_quant_kernelIDF16_DB8_Li128ELi16ELi8ELb0ELb1ELb1ELb0ELb0ELb0EEEvPT0_PvPT_S6_S6_PKS5_S8_S8_S8_S8_ffiiiiiiiiiiiii
		.amdhsa_group_segment_fixed_size 16
		.amdhsa_private_segment_fixed_size 0
		.amdhsa_kernarg_size 400
		.amdhsa_user_sgpr_count 6
		.amdhsa_user_sgpr_private_segment_buffer 1
		.amdhsa_user_sgpr_dispatch_ptr 0
		.amdhsa_user_sgpr_queue_ptr 0
		.amdhsa_user_sgpr_kernarg_segment_ptr 1
		.amdhsa_user_sgpr_dispatch_id 0
		.amdhsa_user_sgpr_flat_scratch_init 0
		.amdhsa_user_sgpr_kernarg_preload_length 0
		.amdhsa_user_sgpr_kernarg_preload_offset 0
		.amdhsa_user_sgpr_private_segment_size 0
		.amdhsa_uses_dynamic_stack 0
		.amdhsa_system_sgpr_private_segment_wavefront_offset 0
		.amdhsa_system_sgpr_workgroup_id_x 1
		.amdhsa_system_sgpr_workgroup_id_y 1
		.amdhsa_system_sgpr_workgroup_id_z 0
		.amdhsa_system_sgpr_workgroup_info 0
		.amdhsa_system_vgpr_workitem_id 0
		.amdhsa_next_free_vgpr 35
		.amdhsa_next_free_sgpr 36
		.amdhsa_accum_offset 36
		.amdhsa_reserve_vcc 1
		.amdhsa_reserve_flat_scratch 0
		.amdhsa_float_round_mode_32 0
		.amdhsa_float_round_mode_16_64 0
		.amdhsa_float_denorm_mode_32 3
		.amdhsa_float_denorm_mode_16_64 3
		.amdhsa_dx10_clamp 1
		.amdhsa_ieee_mode 1
		.amdhsa_fp16_overflow 0
		.amdhsa_tg_split 0
		.amdhsa_exception_fp_ieee_invalid_op 0
		.amdhsa_exception_fp_denorm_src 0
		.amdhsa_exception_fp_ieee_div_zero 0
		.amdhsa_exception_fp_ieee_overflow 0
		.amdhsa_exception_fp_ieee_underflow 0
		.amdhsa_exception_fp_ieee_inexact 0
		.amdhsa_exception_int_div_zero 0
	.end_amdhsa_kernel
	.section	.text._ZN5aiter35fused_qk_rmsnorm_group_quant_kernelIDF16_DB8_Li128ELi16ELi8ELb0ELb1ELb1ELb0ELb0ELb0EEEvPT0_PvPT_S6_S6_PKS5_S8_S8_S8_S8_ffiiiiiiiiiiiii,"axG",@progbits,_ZN5aiter35fused_qk_rmsnorm_group_quant_kernelIDF16_DB8_Li128ELi16ELi8ELb0ELb1ELb1ELb0ELb0ELb0EEEvPT0_PvPT_S6_S6_PKS5_S8_S8_S8_S8_ffiiiiiiiiiiiii,comdat
.Lfunc_end633:
	.size	_ZN5aiter35fused_qk_rmsnorm_group_quant_kernelIDF16_DB8_Li128ELi16ELi8ELb0ELb1ELb1ELb0ELb0ELb0EEEvPT0_PvPT_S6_S6_PKS5_S8_S8_S8_S8_ffiiiiiiiiiiiii, .Lfunc_end633-_ZN5aiter35fused_qk_rmsnorm_group_quant_kernelIDF16_DB8_Li128ELi16ELi8ELb0ELb1ELb1ELb0ELb0ELb0EEEvPT0_PvPT_S6_S6_PKS5_S8_S8_S8_S8_ffiiiiiiiiiiiii
                                        ; -- End function
	.section	.AMDGPU.csdata,"",@progbits
; Kernel info:
; codeLenInByte = 3752
; NumSgprs: 40
; NumVgprs: 35
; NumAgprs: 0
; TotalNumVgprs: 35
; ScratchSize: 0
; MemoryBound: 0
; FloatMode: 240
; IeeeMode: 1
; LDSByteSize: 16 bytes/workgroup (compile time only)
; SGPRBlocks: 4
; VGPRBlocks: 4
; NumSGPRsForWavesPerEU: 40
; NumVGPRsForWavesPerEU: 35
; AccumOffset: 36
; Occupancy: 8
; WaveLimiterHint : 0
; COMPUTE_PGM_RSRC2:SCRATCH_EN: 0
; COMPUTE_PGM_RSRC2:USER_SGPR: 6
; COMPUTE_PGM_RSRC2:TRAP_HANDLER: 0
; COMPUTE_PGM_RSRC2:TGID_X_EN: 1
; COMPUTE_PGM_RSRC2:TGID_Y_EN: 1
; COMPUTE_PGM_RSRC2:TGID_Z_EN: 0
; COMPUTE_PGM_RSRC2:TIDIG_COMP_CNT: 0
; COMPUTE_PGM_RSRC3_GFX90A:ACCUM_OFFSET: 8
; COMPUTE_PGM_RSRC3_GFX90A:TG_SPLIT: 0
	.section	.text._ZN5aiter35fused_qk_rmsnorm_group_quant_kernelItDB8_Li128ELi16ELi8ELb0ELb1ELb1ELb0ELb0ELb0EEEvPT0_PvPT_S6_S6_PKS5_S8_S8_S8_S8_ffiiiiiiiiiiiii,"axG",@progbits,_ZN5aiter35fused_qk_rmsnorm_group_quant_kernelItDB8_Li128ELi16ELi8ELb0ELb1ELb1ELb0ELb0ELb0EEEvPT0_PvPT_S6_S6_PKS5_S8_S8_S8_S8_ffiiiiiiiiiiiii,comdat
	.protected	_ZN5aiter35fused_qk_rmsnorm_group_quant_kernelItDB8_Li128ELi16ELi8ELb0ELb1ELb1ELb0ELb0ELb0EEEvPT0_PvPT_S6_S6_PKS5_S8_S8_S8_S8_ffiiiiiiiiiiiii ; -- Begin function _ZN5aiter35fused_qk_rmsnorm_group_quant_kernelItDB8_Li128ELi16ELi8ELb0ELb1ELb1ELb0ELb0ELb0EEEvPT0_PvPT_S6_S6_PKS5_S8_S8_S8_S8_ffiiiiiiiiiiiii
	.globl	_ZN5aiter35fused_qk_rmsnorm_group_quant_kernelItDB8_Li128ELi16ELi8ELb0ELb1ELb1ELb0ELb0ELb0EEEvPT0_PvPT_S6_S6_PKS5_S8_S8_S8_S8_ffiiiiiiiiiiiii
	.p2align	8
	.type	_ZN5aiter35fused_qk_rmsnorm_group_quant_kernelItDB8_Li128ELi16ELi8ELb0ELb1ELb1ELb0ELb0ELb0EEEvPT0_PvPT_S6_S6_PKS5_S8_S8_S8_S8_ffiiiiiiiiiiiii,@function
_ZN5aiter35fused_qk_rmsnorm_group_quant_kernelItDB8_Li128ELi16ELi8ELb0ELb1ELb1ELb0ELb0ELb0EEEvPT0_PvPT_S6_S6_PKS5_S8_S8_S8_S8_ffiiiiiiiiiiiii: ; @_ZN5aiter35fused_qk_rmsnorm_group_quant_kernelItDB8_Li128ELi16ELi8ELb0ELb1ELb1ELb0ELb0ELb0EEEvPT0_PvPT_S6_S6_PKS5_S8_S8_S8_S8_ffiiiiiiiiiiiii
; %bb.0:
	s_load_dwordx4 s[16:19], s[4:5], 0x50
	s_waitcnt lgkmcnt(0)
	s_cmp_ge_i32 s6, s18
	s_cbranch_scc1 .LBB634_12
; %bb.1:
	s_load_dwordx2 s[12:13], s[4:5], 0x48
	s_load_dwordx2 s[30:31], s[4:5], 0x30
	s_load_dwordx4 s[20:23], s[4:5], 0x60
	s_cmp_lg_u32 s7, 0
	s_cselect_b64 s[14:15], -1, 0
	s_cmp_eq_u32 s7, 0
	s_cselect_b64 vcc, -1, 0
	s_and_b64 s[0:1], vcc, exec
	s_waitcnt lgkmcnt(0)
	s_cselect_b32 s7, s19, s20
	s_add_i32 s0, s7, 1
	s_lshr_b32 s1, s0, 31
	s_add_i32 s0, s0, s1
	s_lshl_b32 s0, s0, 1
	v_lshlrev_b32_e32 v1, 4, v0
	s_and_b32 s10, s0, -4
	v_cmp_gt_i32_e64 s[2:3], s7, v1
	v_mov_b32_e32 v18, 0
	v_mov_b32_e32 v6, 0
	;; [unrolled: 1-line block ×17, first 2 shown]
	s_and_saveexec_b64 s[0:1], s[2:3]
	s_cbranch_execz .LBB634_3
; %bb.2:
	s_load_dwordx2 s[8:9], s[4:5], 0x28
	s_load_dwordx2 s[26:27], s[4:5], 0x40
	s_and_b64 s[24:25], vcc, exec
	s_cselect_b32 s11, s21, s22
	v_lshlrev_b32_e32 v19, 5, v0
	s_waitcnt lgkmcnt(0)
	s_cselect_b32 s18, s9, s31
	s_cselect_b32 s21, s8, s30
	s_mul_hi_i32 s9, s11, s6
	s_mul_i32 s8, s11, s6
	s_lshl_b64 s[8:9], s[8:9], 1
	s_add_u32 s24, s21, s8
	s_addc_u32 s18, s18, s9
	s_and_b64 s[8:9], vcc, exec
	s_mov_b32 s11, 0x20000
	s_cselect_b32 s8, s26, s12
	s_cselect_b32 s9, s27, s13
	s_and_b32 s25, s18, 0xffff
	s_mov_b32 s26, s10
	s_mov_b32 s27, s11
	s_and_b32 s9, s9, 0xffff
	buffer_load_dwordx4 v[14:17], v19, s[24:27], 0 offen
	buffer_load_dwordx4 v[10:13], v19, s[24:27], 16 offen
	buffer_load_dwordx4 v[6:9], v19, s[8:11], 0 offen
	buffer_load_dwordx4 v[2:5], v19, s[8:11], 16 offen
.LBB634_3:
	s_or_b64 exec, exec, s[0:1]
	v_mov_b32_e32 v19, 0
	v_mov_b32_e32 v32, 0
	;; [unrolled: 1-line block ×15, first 2 shown]
	s_and_saveexec_b64 s[0:1], s[2:3]
	s_cbranch_execz .LBB634_5
; %bb.4:
	s_waitcnt vmcnt(3)
	v_cvt_f32_u32_sdwa v18, v14 dst_sel:DWORD dst_unused:UNUSED_PAD src0_sel:WORD_0
	v_cvt_f32_u32_sdwa v19, v14 dst_sel:DWORD dst_unused:UNUSED_PAD src0_sel:WORD_1
	v_cvt_f32_u32_sdwa v32, v15 dst_sel:DWORD dst_unused:UNUSED_PAD src0_sel:WORD_0
	v_cvt_f32_u32_sdwa v33, v15 dst_sel:DWORD dst_unused:UNUSED_PAD src0_sel:WORD_1
	;; [unrolled: 2-line block ×4, first 2 shown]
	s_waitcnt vmcnt(2)
	v_cvt_f32_u32_sdwa v24, v10 dst_sel:DWORD dst_unused:UNUSED_PAD src0_sel:WORD_0
	v_cvt_f32_u32_sdwa v25, v10 dst_sel:DWORD dst_unused:UNUSED_PAD src0_sel:WORD_1
	v_cvt_f32_u32_sdwa v28, v11 dst_sel:DWORD dst_unused:UNUSED_PAD src0_sel:WORD_0
	v_cvt_f32_u32_sdwa v29, v11 dst_sel:DWORD dst_unused:UNUSED_PAD src0_sel:WORD_1
	v_cvt_f32_u32_sdwa v22, v12 dst_sel:DWORD dst_unused:UNUSED_PAD src0_sel:WORD_0
	v_cvt_f32_u32_sdwa v23, v12 dst_sel:DWORD dst_unused:UNUSED_PAD src0_sel:WORD_1
	v_cvt_f32_u32_sdwa v20, v13 dst_sel:DWORD dst_unused:UNUSED_PAD src0_sel:WORD_0
	v_cvt_f32_u32_sdwa v21, v13 dst_sel:DWORD dst_unused:UNUSED_PAD src0_sel:WORD_1
.LBB634_5:
	s_or_b64 exec, exec, s[0:1]
	s_waitcnt vmcnt(2)
	v_mul_f32_e32 v10, v19, v19
	v_fmac_f32_e32 v10, v18, v18
	v_fmac_f32_e32 v10, v32, v32
	;; [unrolled: 1-line block ×15, first 2 shown]
	v_and_b32_e32 v12, 63, v0
	v_cmp_eq_u32_e64 s[0:1], 63, v12
	v_mov_b32_dpp v11, v10 quad_perm:[1,0,3,2] row_mask:0xf bank_mask:0xf
	v_add_f32_e32 v10, v10, v11
	s_nop 1
	v_mov_b32_dpp v11, v10 quad_perm:[2,3,0,1] row_mask:0xf bank_mask:0xf
	v_add_f32_e32 v10, v10, v11
	s_nop 1
	v_mov_b32_dpp v11, v10 row_half_mirror row_mask:0xf bank_mask:0xf
	v_add_f32_e32 v10, v10, v11
	s_nop 1
	v_mov_b32_dpp v11, v10 row_mirror row_mask:0xf bank_mask:0xf
	v_add_f32_e32 v10, v10, v11
	s_nop 1
	v_mov_b32_dpp v11, v10 row_bcast:15 row_mask:0xf bank_mask:0xf
	v_add_f32_e32 v10, v10, v11
	s_nop 1
	v_mov_b32_dpp v11, v10 row_bcast:31 row_mask:0xf bank_mask:0xf
	s_and_saveexec_b64 s[8:9], s[0:1]
	s_cbranch_execz .LBB634_7
; %bb.6:
	v_add_f32_e32 v10, v10, v11
	v_lshrrev_b32_e32 v11, 4, v0
	v_and_b32_e32 v11, 60, v11
	ds_write_b32 v11, v10 offset:8
.LBB634_7:
	s_or_b64 exec, exec, s[8:9]
	v_and_b32_e32 v10, 1, v0
	v_lshlrev_b32_e32 v34, 2, v10
	s_waitcnt lgkmcnt(0)
	s_barrier
	ds_read_b32 v10, v34 offset:8
	s_load_dwordx2 s[28:29], s[4:5], 0x18
	s_waitcnt lgkmcnt(0)
	v_mov_b32_dpp v11, v10 quad_perm:[1,0,3,2] row_mask:0xf bank_mask:0xf
	s_and_saveexec_b64 s[8:9], s[2:3]
	s_cbranch_execz .LBB634_9
; %bb.8:
	v_cvt_f32_u32_e32 v12, s7
	v_add_f32_e32 v10, v10, v11
	v_mov_b32_e32 v14, s17
	v_mov_b32_e32 v15, s16
	v_div_scale_f32 v11, s[24:25], v12, v12, v10
	v_rcp_f32_e32 v13, v11
	v_cndmask_b32_e32 v14, v14, v15, vcc
	s_mov_b32 s7, 0x800000
	v_fma_f32 v15, -v11, v13, 1.0
	v_fmac_f32_e32 v13, v15, v13
	v_div_scale_f32 v15, vcc, v10, v12, v10
	v_mul_f32_e32 v16, v15, v13
	v_fma_f32 v17, -v11, v16, v15
	v_fmac_f32_e32 v16, v17, v13
	v_fma_f32 v11, -v11, v16, v15
	v_div_fmas_f32 v11, v11, v13, v16
	v_div_fixup_f32 v10, v11, v12, v10
	v_add_f32_e32 v10, v14, v10
	v_mul_f32_e32 v11, 0x4b800000, v10
	v_cmp_gt_f32_e32 vcc, s7, v10
	v_cndmask_b32_e32 v10, v10, v11, vcc
	v_rsq_f32_e32 v10, v10
	v_mul_f32_e32 v11, 0x45800000, v10
	v_cndmask_b32_e32 v10, v10, v11, vcc
	v_mov_b32_e32 v11, v10
	;;#ASMSTART
	v_pk_mul_f32 v[12:13], v[18:19], v[10:11]
	;;#ASMEND
	s_waitcnt vmcnt(1)
	v_cvt_f32_u32_sdwa v19, v6 dst_sel:DWORD dst_unused:UNUSED_PAD src0_sel:WORD_1
	v_cvt_f32_u32_sdwa v18, v6 dst_sel:DWORD dst_unused:UNUSED_PAD src0_sel:WORD_0
	;;#ASMSTART
	v_pk_mul_f32 v[14:15], v[32:33], v[10:11]
	;;#ASMEND
	;;#ASMSTART
	v_pk_mul_f32 v[16:17], v[26:27], v[10:11]
	;;#ASMEND
	v_cvt_f32_u32_sdwa v27, v7 dst_sel:DWORD dst_unused:UNUSED_PAD src0_sel:WORD_1
	v_cvt_f32_u32_sdwa v26, v7 dst_sel:DWORD dst_unused:UNUSED_PAD src0_sel:WORD_0
	;;#ASMSTART
	v_pk_mul_f32 v[30:31], v[30:31], v[10:11]
	;;#ASMEND
	;;#ASMSTART
	v_pk_mul_f32 v[24:25], v[24:25], v[10:11]
	;;#ASMEND
	;; [unrolled: 3-line block ×5, first 2 shown]
	v_pk_add_f32 v[10:11], v[18:19], 1.0 op_sel_hi:[1,0]
	;;#ASMSTART
	v_pk_mul_f32 v[18:19], v[12:13], v[10:11]
	;;#ASMEND
	v_cvt_f32_u32_sdwa v13, v8 dst_sel:DWORD dst_unused:UNUSED_PAD src0_sel:WORD_1
	v_cvt_f32_u32_sdwa v12, v8 dst_sel:DWORD dst_unused:UNUSED_PAD src0_sel:WORD_0
	v_cvt_f32_u32_sdwa v21, v9 dst_sel:DWORD dst_unused:UNUSED_PAD src0_sel:WORD_1
	v_cvt_f32_u32_sdwa v20, v9 dst_sel:DWORD dst_unused:UNUSED_PAD src0_sel:WORD_0
	v_pk_add_f32 v[10:11], v[26:27], 1.0 op_sel_hi:[1,0]
	;;#ASMSTART
	v_pk_mul_f32 v[32:33], v[14:15], v[10:11]
	;;#ASMEND
	s_waitcnt vmcnt(0)
	v_cvt_f32_u32_sdwa v11, v2 dst_sel:DWORD dst_unused:UNUSED_PAD src0_sel:WORD_1
	v_cvt_f32_u32_sdwa v10, v2 dst_sel:DWORD dst_unused:UNUSED_PAD src0_sel:WORD_0
	v_pk_add_f32 v[8:9], v[12:13], 1.0 op_sel_hi:[1,0]
	;;#ASMSTART
	v_pk_mul_f32 v[26:27], v[16:17], v[8:9]
	;;#ASMEND
	v_pk_add_f32 v[8:9], v[20:21], 1.0 op_sel_hi:[1,0]
	v_cvt_f32_u32_sdwa v13, v3 dst_sel:DWORD dst_unused:UNUSED_PAD src0_sel:WORD_1
	v_cvt_f32_u32_sdwa v12, v3 dst_sel:DWORD dst_unused:UNUSED_PAD src0_sel:WORD_0
	;;#ASMSTART
	v_pk_mul_f32 v[30:31], v[30:31], v[8:9]
	;;#ASMEND
	v_cvt_f32_u32_sdwa v9, v4 dst_sel:DWORD dst_unused:UNUSED_PAD src0_sel:WORD_1
	v_cvt_f32_u32_sdwa v8, v4 dst_sel:DWORD dst_unused:UNUSED_PAD src0_sel:WORD_0
	v_pk_add_f32 v[2:3], v[10:11], 1.0 op_sel_hi:[1,0]
	v_cvt_f32_u32_sdwa v11, v5 dst_sel:DWORD dst_unused:UNUSED_PAD src0_sel:WORD_1
	v_cvt_f32_u32_sdwa v10, v5 dst_sel:DWORD dst_unused:UNUSED_PAD src0_sel:WORD_0
	;;#ASMSTART
	v_pk_mul_f32 v[24:25], v[24:25], v[2:3]
	;;#ASMEND
	v_pk_add_f32 v[2:3], v[12:13], 1.0 op_sel_hi:[1,0]
	;;#ASMSTART
	v_pk_mul_f32 v[28:29], v[28:29], v[2:3]
	;;#ASMEND
	v_pk_add_f32 v[2:3], v[8:9], 1.0 op_sel_hi:[1,0]
	;; [unrolled: 4-line block ×3, first 2 shown]
	;;#ASMSTART
	v_pk_mul_f32 v[20:21], v[6:7], v[2:3]
	;;#ASMEND
.LBB634_9:
	s_or_b64 exec, exec, s[8:9]
	s_load_dword s7, s[4:5], 0x80
	s_mov_b64 s[8:9], -1
	s_and_b64 vcc, exec, s[14:15]
	s_cbranch_vccnz .LBB634_13
; %bb.10:
	s_andn2_b64 vcc, exec, s[8:9]
	s_cbranch_vccz .LBB634_16
.LBB634_11:
	s_cmp_lt_i32 s20, 1
	s_cbranch_scc0 .LBB634_25
.LBB634_12:
	s_endpgm
.LBB634_13:
	s_and_saveexec_b64 s[14:15], s[2:3]
	s_cbranch_execz .LBB634_15
; %bb.14:
	s_waitcnt lgkmcnt(0)
	s_mul_hi_i32 s9, s7, s6
	s_mul_i32 s8, s7, s6
	s_lshl_b64 s[8:9], s[8:9], 1
	s_add_u32 s8, s28, s8
	s_addc_u32 s9, s29, s9
	s_mov_b32 s16, 0x7060302
	s_and_b32 s9, s9, 0xffff
	s_mov_b32 s11, 0x20000
	s_waitcnt vmcnt(0)
	v_perm_b32 v5, v31, v30, s16
	v_perm_b32 v4, v27, v26, s16
	;; [unrolled: 1-line block ×4, first 2 shown]
	v_lshlrev_b32_e32 v6, 5, v0
	buffer_store_dwordx4 v[2:5], v6, s[8:11], 0 offen
	;;#ASMSTART
	s_nop 0
	;;#ASMEND
	s_nop 0
	v_perm_b32 v5, v21, v20, s16
	v_perm_b32 v4, v23, v22, s16
	;; [unrolled: 1-line block ×4, first 2 shown]
	buffer_store_dwordx4 v[2:5], v6, s[8:11], 16 offen
	;;#ASMSTART
	s_nop 0
	;;#ASMEND
.LBB634_15:
	s_or_b64 exec, exec, s[14:15]
	s_cbranch_execnz .LBB634_11
.LBB634_16:
	s_load_dwordx4 s[24:27], s[4:5], 0x70
	s_waitcnt vmcnt(0)
	v_mov_b32_e32 v2, 0
	s_and_saveexec_b64 s[14:15], s[2:3]
	s_cbranch_execz .LBB634_18
; %bb.17:
	s_load_dwordx2 s[8:9], s[4:5], 0x10
	s_waitcnt lgkmcnt(0)
	s_mul_hi_i32 s35, s27, s6
	s_mul_i32 s34, s27, s6
	s_lshl_b64 s[34:35], s[34:35], 1
	s_mov_b32 s16, 0x7060302
	s_add_u32 s8, s8, s34
	s_addc_u32 s9, s9, s35
	s_mov_b32 s11, 0x20000
	s_and_b32 s9, s9, 0xffff
	v_perm_b32 v5, v31, v30, s16
	v_perm_b32 v4, v27, v26, s16
	;; [unrolled: 1-line block ×4, first 2 shown]
	v_lshlrev_b32_e32 v6, 5, v0
	buffer_store_dwordx4 v[2:5], v6, s[8:11], 0 offen
	;;#ASMSTART
	s_nop 0
	;;#ASMEND
	s_nop 0
	v_perm_b32 v5, v21, v20, s16
	v_perm_b32 v4, v23, v22, s16
	;; [unrolled: 1-line block ×4, first 2 shown]
	buffer_store_dwordx4 v[2:5], v6, s[8:11], 16 offen
	;;#ASMSTART
	s_nop 0
	;;#ASMEND
	s_nop 0
	v_mov_b32_e32 v2, 0x2edbe6ff
.LBB634_18:
	s_or_b64 exec, exec, s[14:15]
	s_and_saveexec_b64 s[8:9], s[2:3]
	s_cbranch_execz .LBB634_20
; %bb.19:
	v_and_b32_e32 v3, 0x7fffffff, v18
	v_and_b32_e32 v4, 0x7fffffff, v19
	;;#ASMSTART
	v_max3_f32 v2, v2, v3, v4

	;;#ASMEND
	v_and_b32_e32 v3, 0x7fffffff, v32
	v_and_b32_e32 v4, 0x7fffffff, v33
	;;#ASMSTART
	v_max3_f32 v2, v2, v3, v4

	;;#ASMEND
	;; [unrolled: 6-line block ×8, first 2 shown]
.LBB634_20:
	s_or_b64 exec, exec, s[8:9]
	;;#ASMSTART
	v_max_f32 v3, v2, v2 quad_perm:[1,0,3,2] row_mask:0xf bank_mask:0xf bound_ctrl:1
	;;#ASMEND
	;;#ASMSTART
	v_max_f32 v2, v3, v3 quad_perm:[2,3,0,1] row_mask:0xf bank_mask:0xf bound_ctrl:1
	;;#ASMEND
	;;#ASMSTART
	v_max_f32 v3, v2, v2 row_half_mirror row_mask:0xf bank_mask:0xf bound_ctrl:1
	;;#ASMEND
	v_mul_f32_e32 v2, 0x3b124925, v3
	v_and_b32_e32 v3, 7, v0
	v_cmp_eq_u32_e32 vcc, 0, v3
	v_cmp_gt_i32_e64 s[8:9], s19, v1
	s_and_b64 s[10:11], vcc, s[8:9]
	s_and_saveexec_b64 s[8:9], s[10:11]
	s_cbranch_execz .LBB634_22
; %bb.21:
	s_load_dwordx2 s[10:11], s[4:5], 0x8
	s_waitcnt lgkmcnt(0)
	s_mul_hi_i32 s15, s25, s6
	s_mul_i32 s14, s25, s6
	v_lshrrev_b32_e32 v3, 3, v0
	s_lshl_b64 s[14:15], s[14:15], 2
	v_mad_i64_i32 v[4:5], s[26:27], s26, v3, 0
	s_add_u32 s10, s10, s14
	s_addc_u32 s11, s11, s15
	v_lshlrev_b64 v[4:5], 2, v[4:5]
	v_mov_b32_e32 v3, s11
	v_add_co_u32_e32 v4, vcc, s10, v4
	v_addc_co_u32_e32 v5, vcc, v3, v5, vcc
	global_store_dword v[4:5], v2, off
.LBB634_22:
	s_or_b64 exec, exec, s[8:9]
	;;#ASMSTART
	v_rcp_f32 v2, v2
	;;#ASMEND
	s_and_saveexec_b64 s[14:15], s[2:3]
	s_cbranch_execz .LBB634_24
; %bb.23:
	s_load_dwordx2 s[2:3], s[4:5], 0x0
	s_waitcnt lgkmcnt(0)
	s_mul_i32 s8, s24, s6
	s_mul_hi_i32 s9, s24, s6
	v_mov_b32_e32 v3, v2
	;;#ASMSTART
	v_pk_mul_f32 v[4:5], v[18:19], v[2:3]
	;;#ASMEND
	s_add_u32 s8, s2, s8
	s_addc_u32 s2, s3, s9
	s_add_i32 s3, s19, 3
	s_ashr_i32 s10, s3, 31
	v_mov_b32_e32 v10, 0xc3e00000
	v_mov_b32_e32 v11, 0x43e00000
	;;#ASMSTART
	v_med3_f32 v4, v4, v10, v11
v_med3_f32 v5, v5, v10, v11
v_cvt_pk_fp8_f32 v6, v4, v5
	;;#ASMEND
	s_and_b32 s9, s2, 0xffff
	s_lshr_b32 s2, s10, 30
	;;#ASMSTART
	v_pk_mul_f32 v[4:5], v[32:33], v[2:3]
	;;#ASMEND
	s_add_i32 s3, s3, s2
	;;#ASMSTART
	v_med3_f32 v4, v4, v10, v11
v_med3_f32 v5, v5, v10, v11
v_cvt_pk_fp8_f32 v7, v4, v5
	;;#ASMEND
	s_mov_b32 s2, 0x5040100
	v_perm_b32 v4, v7, v6, s2
	s_mov_b32 s2, 0x1060504
	v_perm_b32 v4, v4, v7, s2
	;;#ASMSTART
	v_pk_mul_f32 v[6:7], v[26:27], v[2:3]
	;;#ASMEND
	v_mov_b32_e32 v5, v6
	;;#ASMSTART
	v_med3_f32 v5, v5, v10, v11
v_med3_f32 v7, v7, v10, v11
v_cvt_pk_fp8_f32 v8, v5, v7
	;;#ASMEND
	;;#ASMSTART
	v_pk_mul_f32 v[6:7], v[30:31], v[2:3]
	;;#ASMEND
	v_mov_b32_e32 v5, v7
	;;#ASMSTART
	v_med3_f32 v6, v6, v10, v11
v_med3_f32 v5, v5, v10, v11
v_cvt_pk_fp8_f32 v7, v6, v5
	;;#ASMEND
	s_mov_b32 s2, 0x1000504
	v_perm_b32 v5, v8, v7, s2
	;;#ASMSTART
	v_pk_mul_f32 v[6:7], v[24:25], v[2:3]
	;;#ASMEND
	;;#ASMSTART
	v_med3_f32 v6, v6, v10, v11
v_med3_f32 v7, v7, v10, v11
v_cvt_pk_fp8_f32 v8, v6, v7
	;;#ASMEND
	;;#ASMSTART
	v_pk_mul_f32 v[6:7], v[28:29], v[2:3]
	;;#ASMEND
	;;#ASMSTART
	v_med3_f32 v6, v6, v10, v11
v_med3_f32 v7, v7, v10, v11
v_cvt_pk_fp8_f32 v9, v6, v7
	;;#ASMEND
	v_perm_b32 v6, v8, v9, s2
	;;#ASMSTART
	v_pk_mul_f32 v[8:9], v[22:23], v[2:3]
	;;#ASMEND
	v_mov_b32_e32 v7, v8
	;;#ASMSTART
	v_med3_f32 v7, v7, v10, v11
v_med3_f32 v9, v9, v10, v11
v_cvt_pk_fp8_f32 v8, v7, v9
	;;#ASMEND
	;;#ASMSTART
	v_pk_mul_f32 v[2:3], v[20:21], v[2:3]
	;;#ASMEND
	;;#ASMSTART
	v_med3_f32 v2, v2, v10, v11
v_med3_f32 v3, v3, v10, v11
v_cvt_pk_fp8_f32 v7, v2, v3
	;;#ASMEND
	s_and_b32 s10, s3, -4
	s_mov_b32 s11, 0x20000
	v_perm_b32 v7, v8, v7, s2
	buffer_store_dwordx4 v[4:7], v1, s[8:11], 0 offen
	;;#ASMSTART
	s_nop 0
	;;#ASMEND
.LBB634_24:
	s_or_b64 exec, exec, s[14:15]
	s_cmp_lt_i32 s20, 1
	s_cbranch_scc1 .LBB634_12
.LBB634_25:
	s_load_dword s2, s[4:5], 0x94
	s_waitcnt lgkmcnt(0)
	s_cmp_lg_u32 s2, 1
	s_cbranch_scc1 .LBB634_12
; %bb.26:
	s_lshl_b32 s2, s20, 1
	s_add_i32 s2, s2, 2
	v_cmp_gt_u32_e32 vcc, s20, v1
	s_and_b32 s14, s2, -4
	v_mov_b32_e32 v18, 0
	v_lshlrev_b32_e32 v1, 5, v0
	v_mov_b32_e32 v14, 0
	v_mov_b32_e32 v15, 0
	;; [unrolled: 1-line block ×8, first 2 shown]
	s_waitcnt vmcnt(1)
	v_mov_b32_e32 v6, 0
	v_mov_b32_e32 v7, 0
	;; [unrolled: 1-line block ×4, first 2 shown]
	s_waitcnt vmcnt(0)
	v_mov_b32_e32 v2, 0
	v_mov_b32_e32 v3, 0
	;; [unrolled: 1-line block ×4, first 2 shown]
	s_barrier
	s_and_saveexec_b64 s[2:3], vcc
	s_cbranch_execz .LBB634_28
; %bb.27:
	s_mul_hi_i32 s5, s22, s6
	s_mul_i32 s4, s22, s6
	s_and_b32 s13, s13, 0xffff
	s_lshl_b64 s[4:5], s[4:5], 1
	s_add_u32 s8, s30, s4
	s_mov_b32 s15, 0x20000
	s_addc_u32 s4, s31, s5
	s_and_b32 s9, s4, 0xffff
	s_mov_b32 s10, s14
	s_mov_b32 s11, s15
	buffer_load_dwordx4 v[14:17], v1, s[8:11], 0 offen
	buffer_load_dwordx4 v[10:13], v1, s[8:11], 16 offen
	;; [unrolled: 1-line block ×4, first 2 shown]
.LBB634_28:
	s_or_b64 exec, exec, s[2:3]
	v_mov_b32_e32 v19, 0
	v_mov_b32_e32 v32, 0
	v_mov_b32_e32 v33, 0
	v_mov_b32_e32 v30, 0
	v_mov_b32_e32 v31, 0
	v_mov_b32_e32 v28, 0
	v_mov_b32_e32 v29, 0
	v_mov_b32_e32 v26, 0
	v_mov_b32_e32 v27, 0
	v_mov_b32_e32 v24, 0
	v_mov_b32_e32 v25, 0
	v_mov_b32_e32 v22, 0
	v_mov_b32_e32 v23, 0
	v_mov_b32_e32 v20, 0
	v_mov_b32_e32 v21, 0
	s_and_saveexec_b64 s[2:3], vcc
	s_cbranch_execz .LBB634_30
; %bb.29:
	s_waitcnt vmcnt(3)
	v_cvt_f32_u32_sdwa v18, v14 dst_sel:DWORD dst_unused:UNUSED_PAD src0_sel:WORD_0
	v_cvt_f32_u32_sdwa v19, v14 dst_sel:DWORD dst_unused:UNUSED_PAD src0_sel:WORD_1
	v_cvt_f32_u32_sdwa v32, v15 dst_sel:DWORD dst_unused:UNUSED_PAD src0_sel:WORD_0
	v_cvt_f32_u32_sdwa v33, v15 dst_sel:DWORD dst_unused:UNUSED_PAD src0_sel:WORD_1
	;; [unrolled: 2-line block ×4, first 2 shown]
	s_waitcnt vmcnt(2)
	v_cvt_f32_u32_sdwa v26, v10 dst_sel:DWORD dst_unused:UNUSED_PAD src0_sel:WORD_0
	v_cvt_f32_u32_sdwa v27, v10 dst_sel:DWORD dst_unused:UNUSED_PAD src0_sel:WORD_1
	v_cvt_f32_u32_sdwa v24, v11 dst_sel:DWORD dst_unused:UNUSED_PAD src0_sel:WORD_0
	v_cvt_f32_u32_sdwa v25, v11 dst_sel:DWORD dst_unused:UNUSED_PAD src0_sel:WORD_1
	;; [unrolled: 2-line block ×4, first 2 shown]
.LBB634_30:
	s_or_b64 exec, exec, s[2:3]
	s_waitcnt vmcnt(2)
	v_mul_f32_e32 v10, v19, v19
	v_fmac_f32_e32 v10, v18, v18
	v_fmac_f32_e32 v10, v32, v32
	;; [unrolled: 1-line block ×15, first 2 shown]
	s_nop 1
	v_mov_b32_dpp v11, v10 quad_perm:[1,0,3,2] row_mask:0xf bank_mask:0xf
	v_add_f32_e32 v10, v10, v11
	s_nop 1
	v_mov_b32_dpp v11, v10 quad_perm:[2,3,0,1] row_mask:0xf bank_mask:0xf
	v_add_f32_e32 v10, v10, v11
	s_nop 1
	v_mov_b32_dpp v11, v10 row_half_mirror row_mask:0xf bank_mask:0xf
	v_add_f32_e32 v10, v10, v11
	s_nop 1
	v_mov_b32_dpp v11, v10 row_mirror row_mask:0xf bank_mask:0xf
	v_add_f32_e32 v10, v10, v11
	s_nop 1
	v_mov_b32_dpp v11, v10 row_bcast:15 row_mask:0xf bank_mask:0xf
	v_add_f32_e32 v10, v10, v11
	s_nop 1
	v_mov_b32_dpp v11, v10 row_bcast:31 row_mask:0xf bank_mask:0xf
	s_and_saveexec_b64 s[2:3], s[0:1]
	s_cbranch_execz .LBB634_32
; %bb.31:
	v_lshrrev_b32_e32 v0, 4, v0
	v_add_f32_e32 v10, v10, v11
	v_and_b32_e32 v0, 60, v0
	ds_write_b32 v0, v10
.LBB634_32:
	s_or_b64 exec, exec, s[2:3]
	s_waitcnt lgkmcnt(0)
	s_barrier
	ds_read_b32 v0, v34
	s_waitcnt lgkmcnt(0)
	s_nop 0
	v_mov_b32_dpp v10, v0 quad_perm:[1,0,3,2] row_mask:0xf bank_mask:0xf
	s_and_saveexec_b64 s[0:1], vcc
	s_cbranch_execz .LBB634_12
; %bb.33:
	v_cvt_f32_u32_e32 v11, s20
	v_add_f32_e32 v0, v0, v10
	s_mov_b32 s15, 0x20000
	v_div_scale_f32 v10, s[0:1], v11, v11, v0
	v_rcp_f32_e32 v12, v10
	v_div_scale_f32 v13, vcc, v0, v11, v0
	s_mov_b32 s0, 0x800000
	v_fma_f32 v14, -v10, v12, 1.0
	v_fmac_f32_e32 v12, v14, v12
	v_mul_f32_e32 v14, v13, v12
	v_fma_f32 v15, -v10, v14, v13
	v_fmac_f32_e32 v14, v15, v12
	v_fma_f32 v10, -v10, v14, v13
	v_div_fmas_f32 v10, v10, v12, v14
	v_div_fixup_f32 v0, v10, v11, v0
	v_add_f32_e32 v0, s17, v0
	v_mul_f32_e32 v10, 0x4b800000, v0
	v_cmp_gt_f32_e32 vcc, s0, v0
	v_cndmask_b32_e32 v0, v0, v10, vcc
	v_rsq_f32_e32 v0, v0
	s_mul_hi_i32 s1, s7, s6
	s_mul_i32 s0, s7, s6
	s_lshl_b64 s[0:1], s[0:1], 1
	v_mul_f32_e32 v10, 0x45800000, v0
	v_cndmask_b32_e32 v10, v0, v10, vcc
	v_mov_b32_e32 v11, v10
	;;#ASMSTART
	v_pk_mul_f32 v[12:13], v[18:19], v[10:11]
	;;#ASMEND
	;;#ASMSTART
	v_pk_mul_f32 v[14:15], v[32:33], v[10:11]
	;;#ASMEND
	;; [unrolled: 3-line block ×4, first 2 shown]
	s_waitcnt vmcnt(1)
	v_cvt_f32_u32_sdwa v29, v6 dst_sel:DWORD dst_unused:UNUSED_PAD src0_sel:WORD_1
	v_cvt_f32_u32_sdwa v28, v6 dst_sel:DWORD dst_unused:UNUSED_PAD src0_sel:WORD_0
	v_cvt_f32_u32_sdwa v31, v7 dst_sel:DWORD dst_unused:UNUSED_PAD src0_sel:WORD_1
	v_cvt_f32_u32_sdwa v30, v7 dst_sel:DWORD dst_unused:UNUSED_PAD src0_sel:WORD_0
	;;#ASMSTART
	v_pk_mul_f32 v[26:27], v[26:27], v[10:11]
	;;#ASMEND
	;;#ASMSTART
	v_pk_mul_f32 v[24:25], v[24:25], v[10:11]
	;;#ASMEND
	;; [unrolled: 3-line block ×4, first 2 shown]
	v_cvt_f32_u32_sdwa v21, v8 dst_sel:DWORD dst_unused:UNUSED_PAD src0_sel:WORD_1
	v_cvt_f32_u32_sdwa v20, v8 dst_sel:DWORD dst_unused:UNUSED_PAD src0_sel:WORD_0
	v_pk_add_f32 v[10:11], v[28:29], 1.0 op_sel_hi:[1,0]
	;;#ASMSTART
	v_pk_mul_f32 v[10:11], v[12:13], v[10:11]
	;;#ASMEND
	v_pk_add_f32 v[12:13], v[30:31], 1.0 op_sel_hi:[1,0]
	v_cvt_f32_u32_sdwa v29, v9 dst_sel:DWORD dst_unused:UNUSED_PAD src0_sel:WORD_1
	v_cvt_f32_u32_sdwa v28, v9 dst_sel:DWORD dst_unused:UNUSED_PAD src0_sel:WORD_0
	;;#ASMSTART
	v_pk_mul_f32 v[8:9], v[14:15], v[12:13]
	;;#ASMEND
	v_pk_add_f32 v[12:13], v[20:21], 1.0 op_sel_hi:[1,0]
	;;#ASMSTART
	v_pk_mul_f32 v[12:13], v[16:17], v[12:13]
	;;#ASMEND
	s_waitcnt vmcnt(0)
	v_cvt_f32_u32_sdwa v17, v2 dst_sel:DWORD dst_unused:UNUSED_PAD src0_sel:WORD_1
	v_cvt_f32_u32_sdwa v16, v2 dst_sel:DWORD dst_unused:UNUSED_PAD src0_sel:WORD_0
	v_cvt_f32_u32_sdwa v21, v3 dst_sel:DWORD dst_unused:UNUSED_PAD src0_sel:WORD_1
	v_cvt_f32_u32_sdwa v20, v3 dst_sel:DWORD dst_unused:UNUSED_PAD src0_sel:WORD_0
	v_pk_add_f32 v[14:15], v[28:29], 1.0 op_sel_hi:[1,0]
	;;#ASMSTART
	v_pk_mul_f32 v[14:15], v[18:19], v[14:15]
	;;#ASMEND
	v_pk_add_f32 v[2:3], v[16:17], 1.0 op_sel_hi:[1,0]
	v_cvt_f32_u32_sdwa v19, v4 dst_sel:DWORD dst_unused:UNUSED_PAD src0_sel:WORD_1
	v_cvt_f32_u32_sdwa v18, v4 dst_sel:DWORD dst_unused:UNUSED_PAD src0_sel:WORD_0
	;;#ASMSTART
	v_pk_mul_f32 v[16:17], v[26:27], v[2:3]
	;;#ASMEND
	v_pk_add_f32 v[2:3], v[20:21], 1.0 op_sel_hi:[1,0]
	v_cvt_f32_u32_sdwa v21, v5 dst_sel:DWORD dst_unused:UNUSED_PAD src0_sel:WORD_1
	v_cvt_f32_u32_sdwa v20, v5 dst_sel:DWORD dst_unused:UNUSED_PAD src0_sel:WORD_0
	s_add_u32 s12, s28, s0
	;;#ASMSTART
	v_pk_mul_f32 v[24:25], v[24:25], v[2:3]
	;;#ASMEND
	v_pk_add_f32 v[2:3], v[18:19], 1.0 op_sel_hi:[1,0]
	s_addc_u32 s0, s29, s1
	;;#ASMSTART
	v_pk_mul_f32 v[18:19], v[22:23], v[2:3]
	;;#ASMEND
	v_pk_add_f32 v[2:3], v[20:21], 1.0 op_sel_hi:[1,0]
	s_and_b32 s13, s0, 0xffff
	s_mov_b32 s0, 0x7060302
	;;#ASMSTART
	v_pk_mul_f32 v[6:7], v[6:7], v[2:3]
	;;#ASMEND
	v_perm_b32 v2, v11, v10, s0
	v_perm_b32 v3, v9, v8, s0
	;; [unrolled: 1-line block ×4, first 2 shown]
	buffer_store_dwordx4 v[2:5], v1, s[12:15], 0 offen
	;;#ASMSTART
	s_nop 0
	;;#ASMEND
	s_nop 0
	v_perm_b32 v2, v17, v16, s0
	v_perm_b32 v3, v25, v24, s0
	;; [unrolled: 1-line block ×4, first 2 shown]
	buffer_store_dwordx4 v[2:5], v1, s[12:15], 16 offen
	;;#ASMSTART
	s_nop 0
	;;#ASMEND
	s_endpgm
	.section	.rodata,"a",@progbits
	.p2align	6, 0x0
	.amdhsa_kernel _ZN5aiter35fused_qk_rmsnorm_group_quant_kernelItDB8_Li128ELi16ELi8ELb0ELb1ELb1ELb0ELb0ELb0EEEvPT0_PvPT_S6_S6_PKS5_S8_S8_S8_S8_ffiiiiiiiiiiiii
		.amdhsa_group_segment_fixed_size 16
		.amdhsa_private_segment_fixed_size 0
		.amdhsa_kernarg_size 400
		.amdhsa_user_sgpr_count 6
		.amdhsa_user_sgpr_private_segment_buffer 1
		.amdhsa_user_sgpr_dispatch_ptr 0
		.amdhsa_user_sgpr_queue_ptr 0
		.amdhsa_user_sgpr_kernarg_segment_ptr 1
		.amdhsa_user_sgpr_dispatch_id 0
		.amdhsa_user_sgpr_flat_scratch_init 0
		.amdhsa_user_sgpr_kernarg_preload_length 0
		.amdhsa_user_sgpr_kernarg_preload_offset 0
		.amdhsa_user_sgpr_private_segment_size 0
		.amdhsa_uses_dynamic_stack 0
		.amdhsa_system_sgpr_private_segment_wavefront_offset 0
		.amdhsa_system_sgpr_workgroup_id_x 1
		.amdhsa_system_sgpr_workgroup_id_y 1
		.amdhsa_system_sgpr_workgroup_id_z 0
		.amdhsa_system_sgpr_workgroup_info 0
		.amdhsa_system_vgpr_workitem_id 0
		.amdhsa_next_free_vgpr 35
		.amdhsa_next_free_sgpr 36
		.amdhsa_accum_offset 36
		.amdhsa_reserve_vcc 1
		.amdhsa_reserve_flat_scratch 0
		.amdhsa_float_round_mode_32 0
		.amdhsa_float_round_mode_16_64 0
		.amdhsa_float_denorm_mode_32 3
		.amdhsa_float_denorm_mode_16_64 3
		.amdhsa_dx10_clamp 1
		.amdhsa_ieee_mode 1
		.amdhsa_fp16_overflow 0
		.amdhsa_tg_split 0
		.amdhsa_exception_fp_ieee_invalid_op 0
		.amdhsa_exception_fp_denorm_src 0
		.amdhsa_exception_fp_ieee_div_zero 0
		.amdhsa_exception_fp_ieee_overflow 0
		.amdhsa_exception_fp_ieee_underflow 0
		.amdhsa_exception_fp_ieee_inexact 0
		.amdhsa_exception_int_div_zero 0
	.end_amdhsa_kernel
	.section	.text._ZN5aiter35fused_qk_rmsnorm_group_quant_kernelItDB8_Li128ELi16ELi8ELb0ELb1ELb1ELb0ELb0ELb0EEEvPT0_PvPT_S6_S6_PKS5_S8_S8_S8_S8_ffiiiiiiiiiiiii,"axG",@progbits,_ZN5aiter35fused_qk_rmsnorm_group_quant_kernelItDB8_Li128ELi16ELi8ELb0ELb1ELb1ELb0ELb0ELb0EEEvPT0_PvPT_S6_S6_PKS5_S8_S8_S8_S8_ffiiiiiiiiiiiii,comdat
.Lfunc_end634:
	.size	_ZN5aiter35fused_qk_rmsnorm_group_quant_kernelItDB8_Li128ELi16ELi8ELb0ELb1ELb1ELb0ELb0ELb0EEEvPT0_PvPT_S6_S6_PKS5_S8_S8_S8_S8_ffiiiiiiiiiiiii, .Lfunc_end634-_ZN5aiter35fused_qk_rmsnorm_group_quant_kernelItDB8_Li128ELi16ELi8ELb0ELb1ELb1ELb0ELb0ELb0EEEvPT0_PvPT_S6_S6_PKS5_S8_S8_S8_S8_ffiiiiiiiiiiiii
                                        ; -- End function
	.section	.AMDGPU.csdata,"",@progbits
; Kernel info:
; codeLenInByte = 3724
; NumSgprs: 40
; NumVgprs: 35
; NumAgprs: 0
; TotalNumVgprs: 35
; ScratchSize: 0
; MemoryBound: 0
; FloatMode: 240
; IeeeMode: 1
; LDSByteSize: 16 bytes/workgroup (compile time only)
; SGPRBlocks: 4
; VGPRBlocks: 4
; NumSGPRsForWavesPerEU: 40
; NumVGPRsForWavesPerEU: 35
; AccumOffset: 36
; Occupancy: 8
; WaveLimiterHint : 0
; COMPUTE_PGM_RSRC2:SCRATCH_EN: 0
; COMPUTE_PGM_RSRC2:USER_SGPR: 6
; COMPUTE_PGM_RSRC2:TRAP_HANDLER: 0
; COMPUTE_PGM_RSRC2:TGID_X_EN: 1
; COMPUTE_PGM_RSRC2:TGID_Y_EN: 1
; COMPUTE_PGM_RSRC2:TGID_Z_EN: 0
; COMPUTE_PGM_RSRC2:TIDIG_COMP_CNT: 0
; COMPUTE_PGM_RSRC3_GFX90A:ACCUM_OFFSET: 8
; COMPUTE_PGM_RSRC3_GFX90A:TG_SPLIT: 0
	.section	.text._ZN5aiter35fused_qk_rmsnorm_group_quant_kernelIDF16_N4opus5fp4_tELi128ELi16ELi8ELb0ELb1ELb1ELb0ELb0ELb0EEEvPT0_PvPT_S7_S7_PKS6_S9_S9_S9_S9_ffiiiiiiiiiiiii,"axG",@progbits,_ZN5aiter35fused_qk_rmsnorm_group_quant_kernelIDF16_N4opus5fp4_tELi128ELi16ELi8ELb0ELb1ELb1ELb0ELb0ELb0EEEvPT0_PvPT_S7_S7_PKS6_S9_S9_S9_S9_ffiiiiiiiiiiiii,comdat
	.protected	_ZN5aiter35fused_qk_rmsnorm_group_quant_kernelIDF16_N4opus5fp4_tELi128ELi16ELi8ELb0ELb1ELb1ELb0ELb0ELb0EEEvPT0_PvPT_S7_S7_PKS6_S9_S9_S9_S9_ffiiiiiiiiiiiii ; -- Begin function _ZN5aiter35fused_qk_rmsnorm_group_quant_kernelIDF16_N4opus5fp4_tELi128ELi16ELi8ELb0ELb1ELb1ELb0ELb0ELb0EEEvPT0_PvPT_S7_S7_PKS6_S9_S9_S9_S9_ffiiiiiiiiiiiii
	.globl	_ZN5aiter35fused_qk_rmsnorm_group_quant_kernelIDF16_N4opus5fp4_tELi128ELi16ELi8ELb0ELb1ELb1ELb0ELb0ELb0EEEvPT0_PvPT_S7_S7_PKS6_S9_S9_S9_S9_ffiiiiiiiiiiiii
	.p2align	8
	.type	_ZN5aiter35fused_qk_rmsnorm_group_quant_kernelIDF16_N4opus5fp4_tELi128ELi16ELi8ELb0ELb1ELb1ELb0ELb0ELb0EEEvPT0_PvPT_S7_S7_PKS6_S9_S9_S9_S9_ffiiiiiiiiiiiii,@function
_ZN5aiter35fused_qk_rmsnorm_group_quant_kernelIDF16_N4opus5fp4_tELi128ELi16ELi8ELb0ELb1ELb1ELb0ELb0ELb0EEEvPT0_PvPT_S7_S7_PKS6_S9_S9_S9_S9_ffiiiiiiiiiiiii: ; @_ZN5aiter35fused_qk_rmsnorm_group_quant_kernelIDF16_N4opus5fp4_tELi128ELi16ELi8ELb0ELb1ELb1ELb0ELb0ELb0EEEvPT0_PvPT_S7_S7_PKS6_S9_S9_S9_S9_ffiiiiiiiiiiiii
; %bb.0:
	s_load_dwordx4 s[16:19], s[4:5], 0x50
	s_waitcnt lgkmcnt(0)
	s_cmp_ge_i32 s6, s18
	s_cbranch_scc1 .LBB635_12
; %bb.1:
	s_load_dwordx2 s[12:13], s[4:5], 0x48
	s_load_dwordx2 s[30:31], s[4:5], 0x30
	s_load_dwordx4 s[20:23], s[4:5], 0x60
	s_cmp_lg_u32 s7, 0
	s_cselect_b64 s[14:15], -1, 0
	s_cmp_eq_u32 s7, 0
	s_cselect_b64 vcc, -1, 0
	s_and_b64 s[0:1], vcc, exec
	s_waitcnt lgkmcnt(0)
	s_cselect_b32 s7, s19, s20
	s_add_i32 s0, s7, 1
	s_lshr_b32 s1, s0, 31
	s_add_i32 s0, s0, s1
	s_lshl_b32 s0, s0, 1
	v_lshlrev_b32_e32 v1, 4, v0
	s_and_b32 s10, s0, -4
	v_cmp_gt_i32_e64 s[2:3], s7, v1
	v_mov_b32_e32 v18, 0
	v_mov_b32_e32 v6, 0
	;; [unrolled: 1-line block ×17, first 2 shown]
	s_and_saveexec_b64 s[0:1], s[2:3]
	s_cbranch_execz .LBB635_3
; %bb.2:
	s_load_dwordx2 s[8:9], s[4:5], 0x28
	s_load_dwordx2 s[26:27], s[4:5], 0x40
	s_and_b64 s[24:25], vcc, exec
	s_cselect_b32 s11, s21, s22
	v_lshlrev_b32_e32 v19, 5, v0
	s_waitcnt lgkmcnt(0)
	s_cselect_b32 s18, s9, s31
	s_cselect_b32 s21, s8, s30
	s_mul_hi_i32 s9, s11, s6
	s_mul_i32 s8, s11, s6
	s_lshl_b64 s[8:9], s[8:9], 1
	s_add_u32 s24, s21, s8
	s_addc_u32 s18, s18, s9
	s_and_b64 s[8:9], vcc, exec
	s_mov_b32 s11, 0x20000
	s_cselect_b32 s8, s26, s12
	s_cselect_b32 s9, s27, s13
	s_and_b32 s25, s18, 0xffff
	s_mov_b32 s26, s10
	s_mov_b32 s27, s11
	s_and_b32 s9, s9, 0xffff
	buffer_load_dwordx4 v[14:17], v19, s[24:27], 0 offen
	buffer_load_dwordx4 v[10:13], v19, s[24:27], 16 offen
	buffer_load_dwordx4 v[6:9], v19, s[8:11], 0 offen
	buffer_load_dwordx4 v[2:5], v19, s[8:11], 16 offen
.LBB635_3:
	s_or_b64 exec, exec, s[0:1]
	v_mov_b32_e32 v19, 0
	v_mov_b32_e32 v22, 0
	;; [unrolled: 1-line block ×15, first 2 shown]
	s_and_saveexec_b64 s[0:1], s[2:3]
	s_cbranch_execz .LBB635_5
; %bb.4:
	s_waitcnt vmcnt(3)
	v_cvt_f32_f16_sdwa v19, v14 dst_sel:DWORD dst_unused:UNUSED_PAD src0_sel:WORD_1
	v_cvt_f32_f16_e32 v18, v14
	v_cvt_f32_f16_sdwa v23, v15 dst_sel:DWORD dst_unused:UNUSED_PAD src0_sel:WORD_1
	v_cvt_f32_f16_e32 v22, v15
	;; [unrolled: 2-line block ×4, first 2 shown]
	s_waitcnt vmcnt(2)
	v_cvt_f32_f16_sdwa v27, v10 dst_sel:DWORD dst_unused:UNUSED_PAD src0_sel:WORD_1
	v_cvt_f32_f16_e32 v26, v10
	v_cvt_f32_f16_sdwa v33, v11 dst_sel:DWORD dst_unused:UNUSED_PAD src0_sel:WORD_1
	v_cvt_f32_f16_e32 v32, v11
	;; [unrolled: 2-line block ×4, first 2 shown]
.LBB635_5:
	s_or_b64 exec, exec, s[0:1]
	s_waitcnt vmcnt(2)
	v_mul_f32_e32 v10, v19, v19
	v_fmac_f32_e32 v10, v18, v18
	v_fmac_f32_e32 v10, v22, v22
	;; [unrolled: 1-line block ×15, first 2 shown]
	v_and_b32_e32 v12, 63, v0
	v_cmp_eq_u32_e64 s[0:1], 63, v12
	v_mov_b32_dpp v11, v10 quad_perm:[1,0,3,2] row_mask:0xf bank_mask:0xf
	v_add_f32_e32 v10, v10, v11
	s_nop 1
	v_mov_b32_dpp v11, v10 quad_perm:[2,3,0,1] row_mask:0xf bank_mask:0xf
	v_add_f32_e32 v10, v10, v11
	s_nop 1
	v_mov_b32_dpp v11, v10 row_half_mirror row_mask:0xf bank_mask:0xf
	v_add_f32_e32 v10, v10, v11
	s_nop 1
	v_mov_b32_dpp v11, v10 row_mirror row_mask:0xf bank_mask:0xf
	v_add_f32_e32 v10, v10, v11
	s_nop 1
	v_mov_b32_dpp v11, v10 row_bcast:15 row_mask:0xf bank_mask:0xf
	v_add_f32_e32 v10, v10, v11
	s_nop 1
	v_mov_b32_dpp v11, v10 row_bcast:31 row_mask:0xf bank_mask:0xf
	s_and_saveexec_b64 s[8:9], s[0:1]
	s_cbranch_execz .LBB635_7
; %bb.6:
	v_add_f32_e32 v10, v10, v11
	v_lshrrev_b32_e32 v11, 4, v0
	v_and_b32_e32 v11, 60, v11
	ds_write_b32 v11, v10 offset:8
.LBB635_7:
	s_or_b64 exec, exec, s[8:9]
	v_and_b32_e32 v10, 1, v0
	v_lshlrev_b32_e32 v34, 2, v10
	s_waitcnt lgkmcnt(0)
	s_barrier
	ds_read_b32 v10, v34 offset:8
	s_load_dwordx2 s[28:29], s[4:5], 0x18
	s_waitcnt lgkmcnt(0)
	v_mov_b32_dpp v11, v10 quad_perm:[1,0,3,2] row_mask:0xf bank_mask:0xf
	s_and_saveexec_b64 s[8:9], s[2:3]
	s_cbranch_execz .LBB635_9
; %bb.8:
	v_cvt_f32_u32_e32 v12, s7
	v_add_f32_e32 v10, v10, v11
	v_mov_b32_e32 v14, s17
	v_mov_b32_e32 v15, s16
	v_div_scale_f32 v11, s[24:25], v12, v12, v10
	v_rcp_f32_e32 v13, v11
	v_cndmask_b32_e32 v14, v14, v15, vcc
	s_mov_b32 s7, 0x800000
	v_fma_f32 v15, -v11, v13, 1.0
	v_fmac_f32_e32 v13, v15, v13
	v_div_scale_f32 v15, vcc, v10, v12, v10
	v_mul_f32_e32 v16, v15, v13
	v_fma_f32 v17, -v11, v16, v15
	v_fmac_f32_e32 v16, v17, v13
	v_fma_f32 v11, -v11, v16, v15
	v_div_fmas_f32 v11, v11, v13, v16
	v_div_fixup_f32 v10, v11, v12, v10
	v_add_f32_e32 v10, v14, v10
	v_mul_f32_e32 v11, 0x4b800000, v10
	v_cmp_gt_f32_e32 vcc, s7, v10
	v_cndmask_b32_e32 v10, v10, v11, vcc
	v_rsq_f32_e32 v10, v10
	v_mul_f32_e32 v11, 0x45800000, v10
	v_cndmask_b32_e32 v10, v10, v11, vcc
	v_mov_b32_e32 v11, v10
	;;#ASMSTART
	v_pk_mul_f32 v[12:13], v[18:19], v[10:11]
	;;#ASMEND
	s_waitcnt vmcnt(1)
	v_cvt_f32_f16_sdwa v19, v6 dst_sel:DWORD dst_unused:UNUSED_PAD src0_sel:WORD_1
	v_cvt_f32_f16_e32 v18, v6
	;;#ASMSTART
	v_pk_mul_f32 v[14:15], v[22:23], v[10:11]
	;;#ASMEND
	;;#ASMSTART
	v_pk_mul_f32 v[16:17], v[20:21], v[10:11]
	;;#ASMEND
	v_cvt_f32_f16_sdwa v21, v7 dst_sel:DWORD dst_unused:UNUSED_PAD src0_sel:WORD_1
	v_cvt_f32_f16_e32 v20, v7
	;;#ASMSTART
	v_pk_mul_f32 v[28:29], v[28:29], v[10:11]
	;;#ASMEND
	;;#ASMSTART
	v_pk_mul_f32 v[26:27], v[26:27], v[10:11]
	;;#ASMEND
	;; [unrolled: 3-line block ×5, first 2 shown]
	v_pk_add_f32 v[10:11], v[18:19], 1.0 op_sel_hi:[1,0]
	;;#ASMSTART
	v_pk_mul_f32 v[18:19], v[12:13], v[10:11]
	;;#ASMEND
	v_cvt_f32_f16_sdwa v13, v8 dst_sel:DWORD dst_unused:UNUSED_PAD src0_sel:WORD_1
	v_cvt_f32_f16_e32 v12, v8
	v_cvt_f32_f16_sdwa v25, v9 dst_sel:DWORD dst_unused:UNUSED_PAD src0_sel:WORD_1
	v_cvt_f32_f16_e32 v24, v9
	v_pk_add_f32 v[10:11], v[20:21], 1.0 op_sel_hi:[1,0]
	;;#ASMSTART
	v_pk_mul_f32 v[22:23], v[14:15], v[10:11]
	;;#ASMEND
	s_waitcnt vmcnt(0)
	v_cvt_f32_f16_sdwa v11, v2 dst_sel:DWORD dst_unused:UNUSED_PAD src0_sel:WORD_1
	v_cvt_f32_f16_e32 v10, v2
	v_pk_add_f32 v[8:9], v[12:13], 1.0 op_sel_hi:[1,0]
	;;#ASMSTART
	v_pk_mul_f32 v[20:21], v[16:17], v[8:9]
	;;#ASMEND
	v_pk_add_f32 v[8:9], v[24:25], 1.0 op_sel_hi:[1,0]
	v_cvt_f32_f16_sdwa v13, v3 dst_sel:DWORD dst_unused:UNUSED_PAD src0_sel:WORD_1
	v_cvt_f32_f16_e32 v12, v3
	;;#ASMSTART
	v_pk_mul_f32 v[28:29], v[28:29], v[8:9]
	;;#ASMEND
	v_cvt_f32_f16_sdwa v9, v4 dst_sel:DWORD dst_unused:UNUSED_PAD src0_sel:WORD_1
	v_cvt_f32_f16_e32 v8, v4
	v_pk_add_f32 v[2:3], v[10:11], 1.0 op_sel_hi:[1,0]
	v_cvt_f32_f16_sdwa v11, v5 dst_sel:DWORD dst_unused:UNUSED_PAD src0_sel:WORD_1
	v_cvt_f32_f16_e32 v10, v5
	;;#ASMSTART
	v_pk_mul_f32 v[26:27], v[26:27], v[2:3]
	;;#ASMEND
	v_pk_add_f32 v[2:3], v[12:13], 1.0 op_sel_hi:[1,0]
	;;#ASMSTART
	v_pk_mul_f32 v[32:33], v[32:33], v[2:3]
	;;#ASMEND
	v_pk_add_f32 v[2:3], v[8:9], 1.0 op_sel_hi:[1,0]
	;; [unrolled: 4-line block ×3, first 2 shown]
	;;#ASMSTART
	v_pk_mul_f32 v[24:25], v[6:7], v[2:3]
	;;#ASMEND
.LBB635_9:
	s_or_b64 exec, exec, s[8:9]
	s_load_dword s7, s[4:5], 0x80
	s_mov_b64 s[8:9], -1
	s_and_b64 vcc, exec, s[14:15]
	s_cbranch_vccnz .LBB635_13
; %bb.10:
	s_andn2_b64 vcc, exec, s[8:9]
	s_cbranch_vccz .LBB635_16
.LBB635_11:
	s_cmp_lt_i32 s20, 1
	s_cbranch_scc0 .LBB635_25
.LBB635_12:
	s_endpgm
.LBB635_13:
	s_and_saveexec_b64 s[14:15], s[2:3]
	s_cbranch_execz .LBB635_15
; %bb.14:
	s_waitcnt lgkmcnt(0)
	s_mul_hi_i32 s9, s7, s6
	s_mul_i32 s8, s7, s6
	s_waitcnt vmcnt(0)
	v_cvt_f16_f32_e32 v2, v18
	v_cvt_f16_f32_e32 v3, v22
	;; [unrolled: 1-line block ×8, first 2 shown]
	s_lshl_b64 s[8:9], s[8:9], 1
	s_add_u32 s8, s28, s8
	s_addc_u32 s9, s29, s9
	s_and_b32 s9, s9, 0xffff
	s_mov_b32 s11, 0x20000
	v_pack_b32_f16 v5, v5, v6
	v_pack_b32_f16 v4, v4, v7
	;; [unrolled: 1-line block ×4, first 2 shown]
	v_lshlrev_b32_e32 v6, 5, v0
	buffer_store_dwordx4 v[2:5], v6, s[8:11], 0 offen
	v_cvt_f16_f32_e32 v7, v25
	v_cvt_f16_f32_e32 v2, v26
	;; [unrolled: 1-line block ×8, first 2 shown]
	v_pack_b32_f16 v5, v5, v7
	v_pack_b32_f16 v4, v4, v8
	;; [unrolled: 1-line block ×4, first 2 shown]
	;;#ASMSTART
	s_nop 0
	;;#ASMEND
	buffer_store_dwordx4 v[2:5], v6, s[8:11], 16 offen
	;;#ASMSTART
	s_nop 0
	;;#ASMEND
.LBB635_15:
	s_or_b64 exec, exec, s[14:15]
	s_cbranch_execnz .LBB635_11
.LBB635_16:
	s_load_dwordx4 s[24:27], s[4:5], 0x70
	s_waitcnt vmcnt(0)
	v_mov_b32_e32 v2, 0
	s_and_saveexec_b64 s[14:15], s[2:3]
	s_cbranch_execz .LBB635_18
; %bb.17:
	s_load_dwordx2 s[8:9], s[4:5], 0x10
	s_waitcnt lgkmcnt(0)
	s_mul_hi_i32 s35, s27, s6
	s_mul_i32 s34, s27, s6
	v_cvt_f16_f32_e32 v2, v18
	v_cvt_f16_f32_e32 v3, v22
	;; [unrolled: 1-line block ×8, first 2 shown]
	s_lshl_b64 s[34:35], s[34:35], 1
	s_add_u32 s8, s8, s34
	s_addc_u32 s9, s9, s35
	s_mov_b32 s11, 0x20000
	s_and_b32 s9, s9, 0xffff
	v_pack_b32_f16 v5, v5, v6
	v_pack_b32_f16 v4, v4, v7
	;; [unrolled: 1-line block ×4, first 2 shown]
	v_lshlrev_b32_e32 v6, 5, v0
	buffer_store_dwordx4 v[2:5], v6, s[8:11], 0 offen
	v_cvt_f16_f32_e32 v7, v25
	v_cvt_f16_f32_e32 v2, v26
	;; [unrolled: 1-line block ×8, first 2 shown]
	v_pack_b32_f16 v5, v5, v7
	v_pack_b32_f16 v4, v4, v8
	;; [unrolled: 1-line block ×4, first 2 shown]
	;;#ASMSTART
	s_nop 0
	;;#ASMEND
	buffer_store_dwordx4 v[2:5], v6, s[8:11], 16 offen
	;;#ASMSTART
	s_nop 0
	;;#ASMEND
	s_nop 0
	v_mov_b32_e32 v2, 0x2edbe6ff
.LBB635_18:
	s_or_b64 exec, exec, s[14:15]
	s_and_saveexec_b64 s[8:9], s[2:3]
	s_cbranch_execz .LBB635_20
; %bb.19:
	v_and_b32_e32 v3, 0x7fffffff, v18
	v_and_b32_e32 v4, 0x7fffffff, v19
	;;#ASMSTART
	v_max3_f32 v2, v2, v3, v4

	;;#ASMEND
	v_and_b32_e32 v3, 0x7fffffff, v22
	v_and_b32_e32 v4, 0x7fffffff, v23
	;;#ASMSTART
	v_max3_f32 v2, v2, v3, v4

	;;#ASMEND
	;; [unrolled: 6-line block ×8, first 2 shown]
.LBB635_20:
	s_or_b64 exec, exec, s[8:9]
	;;#ASMSTART
	v_max_f32 v3, v2, v2 quad_perm:[1,0,3,2] row_mask:0xf bank_mask:0xf bound_ctrl:1
	;;#ASMEND
	;;#ASMSTART
	v_max_f32 v4, v3, v3 quad_perm:[2,3,0,1] row_mask:0xf bank_mask:0xf bound_ctrl:1
	;;#ASMEND
	v_and_b32_e32 v3, 7, v0
	v_cmp_eq_u32_e32 vcc, 0, v3
	v_cmp_gt_i32_e64 s[8:9], s19, v1
	s_and_b64 s[10:11], vcc, s[8:9]
	;;#ASMSTART
	v_max_f32 v2, v4, v4 row_half_mirror row_mask:0xf bank_mask:0xf bound_ctrl:1
	;;#ASMEND
	s_and_saveexec_b64 s[8:9], s[10:11]
	s_cbranch_execz .LBB635_22
; %bb.21:
	s_load_dwordx2 s[10:11], s[4:5], 0x8
	v_mul_f32_e32 v2, 0x3e2aaaab, v2
	v_lshrrev_b32_e32 v3, 23, v2
	v_and_b32_e32 v4, 0x7f800000, v2
	v_and_b32_e32 v2, 0x7fffff, v2
	v_cmp_ne_u32_e32 vcc, 0, v2
	s_waitcnt lgkmcnt(0)
	s_mul_i32 s16, s25, s6
	s_mov_b32 s14, 0x7f800000
	v_addc_co_u32_e32 v2, vcc, 0, v3, vcc
	s_mul_hi_i32 s15, s25, s6
	s_add_u32 s10, s10, s16
	v_cmp_ne_u32_e32 vcc, s14, v4
	s_addc_u32 s11, s11, s15
	v_lshrrev_b32_e32 v5, 3, v0
	v_cndmask_b32_e32 v4, -1, v2, vcc
	v_pk_mov_b32 v[2:3], s[10:11], s[10:11] op_sel:[0,1]
	v_mad_i64_i32 v[2:3], s[10:11], s26, v5, v[2:3]
	global_store_byte v[2:3], v4, off
.LBB635_22:
	s_or_b64 exec, exec, s[8:9]
	s_and_saveexec_b64 s[8:9], s[2:3]
	s_cbranch_execz .LBB635_24
; %bb.23:
	s_load_dwordx2 s[2:3], s[4:5], 0x0
	s_waitcnt lgkmcnt(0)
	s_mul_i32 s11, s24, s6
	s_mul_hi_i32 s10, s24, s6
	v_mov_b32_e32 v2, 0
	v_lshlrev_b32_e32 v4, 3, v0
	s_add_u32 s24, s2, s11
	s_addc_u32 s2, s3, s10
	s_lshr_b32 s3, s19, 31
	s_add_i32 s3, s19, s3
	s_ashr_i32 s3, s3, 1
	s_add_i32 s3, s3, 3
	s_ashr_i32 s10, s3, 31
	s_lshr_b32 s10, s10, 30
	s_add_i32 s3, s3, s10
	s_and_b32 s26, s3, -4
	s_and_b32 s25, s2, 0xffff
	s_mov_b32 s27, 0x20000
	v_mov_b32_e32 v3, v2
	buffer_store_dwordx2 v[2:3], v4, s[24:27], 0 offen
	;;#ASMSTART
	s_nop 0
	;;#ASMEND
.LBB635_24:
	s_or_b64 exec, exec, s[8:9]
	s_cmp_lt_i32 s20, 1
	s_cbranch_scc1 .LBB635_12
.LBB635_25:
	s_load_dword s2, s[4:5], 0x94
	s_waitcnt lgkmcnt(0)
	s_cmp_lg_u32 s2, 1
	s_cbranch_scc1 .LBB635_12
; %bb.26:
	s_lshl_b32 s2, s20, 1
	s_add_i32 s2, s2, 2
	v_cmp_gt_u32_e32 vcc, s20, v1
	s_and_b32 s14, s2, -4
	v_mov_b32_e32 v18, 0
	v_lshlrev_b32_e32 v1, 5, v0
	v_mov_b32_e32 v14, 0
	v_mov_b32_e32 v15, 0
	;; [unrolled: 1-line block ×8, first 2 shown]
	s_waitcnt vmcnt(1)
	v_mov_b32_e32 v6, 0
	v_mov_b32_e32 v7, 0
	;; [unrolled: 1-line block ×4, first 2 shown]
	s_waitcnt vmcnt(0)
	v_mov_b32_e32 v2, 0
	v_mov_b32_e32 v3, 0
	;; [unrolled: 1-line block ×4, first 2 shown]
	s_barrier
	s_and_saveexec_b64 s[2:3], vcc
	s_cbranch_execz .LBB635_28
; %bb.27:
	s_mul_hi_i32 s5, s22, s6
	s_mul_i32 s4, s22, s6
	s_and_b32 s13, s13, 0xffff
	s_lshl_b64 s[4:5], s[4:5], 1
	s_add_u32 s8, s30, s4
	s_mov_b32 s15, 0x20000
	s_addc_u32 s4, s31, s5
	s_and_b32 s9, s4, 0xffff
	s_mov_b32 s10, s14
	s_mov_b32 s11, s15
	buffer_load_dwordx4 v[14:17], v1, s[8:11], 0 offen
	buffer_load_dwordx4 v[10:13], v1, s[8:11], 16 offen
	buffer_load_dwordx4 v[6:9], v1, s[12:15], 0 offen
	buffer_load_dwordx4 v[2:5], v1, s[12:15], 16 offen
.LBB635_28:
	s_or_b64 exec, exec, s[2:3]
	v_mov_b32_e32 v19, 0
	v_mov_b32_e32 v32, 0
	;; [unrolled: 1-line block ×15, first 2 shown]
	s_and_saveexec_b64 s[2:3], vcc
	s_cbranch_execz .LBB635_30
; %bb.29:
	s_waitcnt vmcnt(3)
	v_cvt_f32_f16_sdwa v19, v14 dst_sel:DWORD dst_unused:UNUSED_PAD src0_sel:WORD_1
	v_cvt_f32_f16_e32 v18, v14
	v_cvt_f32_f16_sdwa v33, v15 dst_sel:DWORD dst_unused:UNUSED_PAD src0_sel:WORD_1
	v_cvt_f32_f16_e32 v32, v15
	;; [unrolled: 2-line block ×4, first 2 shown]
	s_waitcnt vmcnt(2)
	v_cvt_f32_f16_sdwa v27, v10 dst_sel:DWORD dst_unused:UNUSED_PAD src0_sel:WORD_1
	v_cvt_f32_f16_e32 v26, v10
	v_cvt_f32_f16_sdwa v25, v11 dst_sel:DWORD dst_unused:UNUSED_PAD src0_sel:WORD_1
	v_cvt_f32_f16_e32 v24, v11
	;; [unrolled: 2-line block ×4, first 2 shown]
.LBB635_30:
	s_or_b64 exec, exec, s[2:3]
	s_waitcnt vmcnt(2)
	v_mul_f32_e32 v10, v19, v19
	v_fmac_f32_e32 v10, v18, v18
	v_fmac_f32_e32 v10, v32, v32
	;; [unrolled: 1-line block ×15, first 2 shown]
	s_nop 1
	v_mov_b32_dpp v11, v10 quad_perm:[1,0,3,2] row_mask:0xf bank_mask:0xf
	v_add_f32_e32 v10, v10, v11
	s_nop 1
	v_mov_b32_dpp v11, v10 quad_perm:[2,3,0,1] row_mask:0xf bank_mask:0xf
	v_add_f32_e32 v10, v10, v11
	s_nop 1
	v_mov_b32_dpp v11, v10 row_half_mirror row_mask:0xf bank_mask:0xf
	v_add_f32_e32 v10, v10, v11
	s_nop 1
	v_mov_b32_dpp v11, v10 row_mirror row_mask:0xf bank_mask:0xf
	v_add_f32_e32 v10, v10, v11
	s_nop 1
	v_mov_b32_dpp v11, v10 row_bcast:15 row_mask:0xf bank_mask:0xf
	v_add_f32_e32 v10, v10, v11
	s_nop 1
	v_mov_b32_dpp v11, v10 row_bcast:31 row_mask:0xf bank_mask:0xf
	s_and_saveexec_b64 s[2:3], s[0:1]
	s_cbranch_execz .LBB635_32
; %bb.31:
	v_lshrrev_b32_e32 v0, 4, v0
	v_add_f32_e32 v10, v10, v11
	v_and_b32_e32 v0, 60, v0
	ds_write_b32 v0, v10
.LBB635_32:
	s_or_b64 exec, exec, s[2:3]
	s_waitcnt lgkmcnt(0)
	s_barrier
	ds_read_b32 v0, v34
	s_waitcnt lgkmcnt(0)
	s_nop 0
	v_mov_b32_dpp v10, v0 quad_perm:[1,0,3,2] row_mask:0xf bank_mask:0xf
	s_and_saveexec_b64 s[0:1], vcc
	s_cbranch_execz .LBB635_12
; %bb.33:
	v_cvt_f32_u32_e32 v11, s20
	v_add_f32_e32 v0, v0, v10
	s_mov_b32 s15, 0x20000
	v_div_scale_f32 v10, s[0:1], v11, v11, v0
	v_rcp_f32_e32 v12, v10
	v_div_scale_f32 v13, vcc, v0, v11, v0
	s_mov_b32 s0, 0x800000
	v_fma_f32 v14, -v10, v12, 1.0
	v_fmac_f32_e32 v12, v14, v12
	v_mul_f32_e32 v14, v13, v12
	v_fma_f32 v15, -v10, v14, v13
	v_fmac_f32_e32 v14, v15, v12
	v_fma_f32 v10, -v10, v14, v13
	v_div_fmas_f32 v10, v10, v12, v14
	v_div_fixup_f32 v0, v10, v11, v0
	v_add_f32_e32 v0, s17, v0
	v_mul_f32_e32 v10, 0x4b800000, v0
	v_cmp_gt_f32_e32 vcc, s0, v0
	v_cndmask_b32_e32 v0, v0, v10, vcc
	v_rsq_f32_e32 v0, v0
	s_mul_hi_i32 s1, s7, s6
	s_mul_i32 s0, s7, s6
	s_lshl_b64 s[0:1], s[0:1], 1
	v_mul_f32_e32 v10, 0x45800000, v0
	v_cndmask_b32_e32 v10, v0, v10, vcc
	v_mov_b32_e32 v11, v10
	;;#ASMSTART
	v_pk_mul_f32 v[12:13], v[18:19], v[10:11]
	;;#ASMEND
	;;#ASMSTART
	v_pk_mul_f32 v[14:15], v[32:33], v[10:11]
	;;#ASMEND
	;; [unrolled: 3-line block ×4, first 2 shown]
	s_waitcnt vmcnt(1)
	v_cvt_f32_f16_sdwa v29, v6 dst_sel:DWORD dst_unused:UNUSED_PAD src0_sel:WORD_1
	v_cvt_f32_f16_e32 v28, v6
	v_cvt_f32_f16_sdwa v31, v7 dst_sel:DWORD dst_unused:UNUSED_PAD src0_sel:WORD_1
	v_cvt_f32_f16_e32 v30, v7
	;;#ASMSTART
	v_pk_mul_f32 v[26:27], v[26:27], v[10:11]
	;;#ASMEND
	;;#ASMSTART
	v_pk_mul_f32 v[24:25], v[24:25], v[10:11]
	;;#ASMEND
	;; [unrolled: 3-line block ×4, first 2 shown]
	v_cvt_f32_f16_sdwa v21, v8 dst_sel:DWORD dst_unused:UNUSED_PAD src0_sel:WORD_1
	v_cvt_f32_f16_e32 v20, v8
	v_pk_add_f32 v[10:11], v[28:29], 1.0 op_sel_hi:[1,0]
	;;#ASMSTART
	v_pk_mul_f32 v[10:11], v[12:13], v[10:11]
	;;#ASMEND
	v_pk_add_f32 v[12:13], v[30:31], 1.0 op_sel_hi:[1,0]
	v_cvt_f32_f16_sdwa v29, v9 dst_sel:DWORD dst_unused:UNUSED_PAD src0_sel:WORD_1
	v_cvt_f32_f16_e32 v28, v9
	;;#ASMSTART
	v_pk_mul_f32 v[8:9], v[14:15], v[12:13]
	;;#ASMEND
	v_pk_add_f32 v[12:13], v[20:21], 1.0 op_sel_hi:[1,0]
	;;#ASMSTART
	v_pk_mul_f32 v[12:13], v[16:17], v[12:13]
	;;#ASMEND
	s_waitcnt vmcnt(0)
	v_cvt_f32_f16_sdwa v17, v2 dst_sel:DWORD dst_unused:UNUSED_PAD src0_sel:WORD_1
	v_cvt_f32_f16_e32 v16, v2
	v_cvt_f32_f16_sdwa v21, v3 dst_sel:DWORD dst_unused:UNUSED_PAD src0_sel:WORD_1
	v_cvt_f32_f16_e32 v20, v3
	v_pk_add_f32 v[14:15], v[28:29], 1.0 op_sel_hi:[1,0]
	;;#ASMSTART
	v_pk_mul_f32 v[2:3], v[18:19], v[14:15]
	;;#ASMEND
	v_cvt_f32_f16_sdwa v19, v4 dst_sel:DWORD dst_unused:UNUSED_PAD src0_sel:WORD_1
	v_cvt_f32_f16_e32 v18, v4
	v_pk_add_f32 v[14:15], v[16:17], 1.0 op_sel_hi:[1,0]
	v_pk_add_f32 v[16:17], v[20:21], 1.0 op_sel_hi:[1,0]
	v_cvt_f32_f16_sdwa v21, v5 dst_sel:DWORD dst_unused:UNUSED_PAD src0_sel:WORD_1
	v_cvt_f32_f16_e32 v20, v5
	v_pk_add_f32 v[4:5], v[18:19], 1.0 op_sel_hi:[1,0]
	;;#ASMSTART
	v_pk_mul_f32 v[14:15], v[26:27], v[14:15]
	;;#ASMEND
	;;#ASMSTART
	v_pk_mul_f32 v[16:17], v[24:25], v[16:17]
	;;#ASMEND
	;;#ASMSTART
	v_pk_mul_f32 v[18:19], v[22:23], v[4:5]
	;;#ASMEND
	v_pk_add_f32 v[4:5], v[20:21], 1.0 op_sel_hi:[1,0]
	;;#ASMSTART
	v_pk_mul_f32 v[6:7], v[6:7], v[4:5]
	;;#ASMEND
	v_cvt_f16_f32_e32 v0, v10
	v_cvt_f16_f32_e32 v4, v11
	;; [unrolled: 1-line block ×8, first 2 shown]
	s_add_u32 s12, s28, s0
	s_addc_u32 s0, s29, s1
	s_and_b32 s13, s0, 0xffff
	v_pack_b32_f16 v2, v0, v4
	v_pack_b32_f16 v3, v5, v8
	;; [unrolled: 1-line block ×4, first 2 shown]
	buffer_store_dwordx4 v[2:5], v1, s[12:15], 0 offen
	v_cvt_f16_f32_e32 v0, v14
	v_cvt_f16_f32_e32 v2, v15
	;; [unrolled: 1-line block ×8, first 2 shown]
	v_pack_b32_f16 v2, v0, v2
	v_pack_b32_f16 v3, v3, v4
	;; [unrolled: 1-line block ×4, first 2 shown]
	;;#ASMSTART
	s_nop 0
	;;#ASMEND
	buffer_store_dwordx4 v[2:5], v1, s[12:15], 16 offen
	;;#ASMSTART
	s_nop 0
	;;#ASMEND
	s_endpgm
	.section	.rodata,"a",@progbits
	.p2align	6, 0x0
	.amdhsa_kernel _ZN5aiter35fused_qk_rmsnorm_group_quant_kernelIDF16_N4opus5fp4_tELi128ELi16ELi8ELb0ELb1ELb1ELb0ELb0ELb0EEEvPT0_PvPT_S7_S7_PKS6_S9_S9_S9_S9_ffiiiiiiiiiiiii
		.amdhsa_group_segment_fixed_size 16
		.amdhsa_private_segment_fixed_size 0
		.amdhsa_kernarg_size 400
		.amdhsa_user_sgpr_count 6
		.amdhsa_user_sgpr_private_segment_buffer 1
		.amdhsa_user_sgpr_dispatch_ptr 0
		.amdhsa_user_sgpr_queue_ptr 0
		.amdhsa_user_sgpr_kernarg_segment_ptr 1
		.amdhsa_user_sgpr_dispatch_id 0
		.amdhsa_user_sgpr_flat_scratch_init 0
		.amdhsa_user_sgpr_kernarg_preload_length 0
		.amdhsa_user_sgpr_kernarg_preload_offset 0
		.amdhsa_user_sgpr_private_segment_size 0
		.amdhsa_uses_dynamic_stack 0
		.amdhsa_system_sgpr_private_segment_wavefront_offset 0
		.amdhsa_system_sgpr_workgroup_id_x 1
		.amdhsa_system_sgpr_workgroup_id_y 1
		.amdhsa_system_sgpr_workgroup_id_z 0
		.amdhsa_system_sgpr_workgroup_info 0
		.amdhsa_system_vgpr_workitem_id 0
		.amdhsa_next_free_vgpr 35
		.amdhsa_next_free_sgpr 36
		.amdhsa_accum_offset 36
		.amdhsa_reserve_vcc 1
		.amdhsa_reserve_flat_scratch 0
		.amdhsa_float_round_mode_32 0
		.amdhsa_float_round_mode_16_64 0
		.amdhsa_float_denorm_mode_32 3
		.amdhsa_float_denorm_mode_16_64 3
		.amdhsa_dx10_clamp 1
		.amdhsa_ieee_mode 1
		.amdhsa_fp16_overflow 0
		.amdhsa_tg_split 0
		.amdhsa_exception_fp_ieee_invalid_op 0
		.amdhsa_exception_fp_denorm_src 0
		.amdhsa_exception_fp_ieee_div_zero 0
		.amdhsa_exception_fp_ieee_overflow 0
		.amdhsa_exception_fp_ieee_underflow 0
		.amdhsa_exception_fp_ieee_inexact 0
		.amdhsa_exception_int_div_zero 0
	.end_amdhsa_kernel
	.section	.text._ZN5aiter35fused_qk_rmsnorm_group_quant_kernelIDF16_N4opus5fp4_tELi128ELi16ELi8ELb0ELb1ELb1ELb0ELb0ELb0EEEvPT0_PvPT_S7_S7_PKS6_S9_S9_S9_S9_ffiiiiiiiiiiiii,"axG",@progbits,_ZN5aiter35fused_qk_rmsnorm_group_quant_kernelIDF16_N4opus5fp4_tELi128ELi16ELi8ELb0ELb1ELb1ELb0ELb0ELb0EEEvPT0_PvPT_S7_S7_PKS6_S9_S9_S9_S9_ffiiiiiiiiiiiii,comdat
.Lfunc_end635:
	.size	_ZN5aiter35fused_qk_rmsnorm_group_quant_kernelIDF16_N4opus5fp4_tELi128ELi16ELi8ELb0ELb1ELb1ELb0ELb0ELb0EEEvPT0_PvPT_S7_S7_PKS6_S9_S9_S9_S9_ffiiiiiiiiiiiii, .Lfunc_end635-_ZN5aiter35fused_qk_rmsnorm_group_quant_kernelIDF16_N4opus5fp4_tELi128ELi16ELi8ELb0ELb1ELb1ELb0ELb0ELb0EEEvPT0_PvPT_S7_S7_PKS6_S9_S9_S9_S9_ffiiiiiiiiiiiii
                                        ; -- End function
	.section	.AMDGPU.csdata,"",@progbits
; Kernel info:
; codeLenInByte = 3444
; NumSgprs: 40
; NumVgprs: 35
; NumAgprs: 0
; TotalNumVgprs: 35
; ScratchSize: 0
; MemoryBound: 0
; FloatMode: 240
; IeeeMode: 1
; LDSByteSize: 16 bytes/workgroup (compile time only)
; SGPRBlocks: 4
; VGPRBlocks: 4
; NumSGPRsForWavesPerEU: 40
; NumVGPRsForWavesPerEU: 35
; AccumOffset: 36
; Occupancy: 8
; WaveLimiterHint : 0
; COMPUTE_PGM_RSRC2:SCRATCH_EN: 0
; COMPUTE_PGM_RSRC2:USER_SGPR: 6
; COMPUTE_PGM_RSRC2:TRAP_HANDLER: 0
; COMPUTE_PGM_RSRC2:TGID_X_EN: 1
; COMPUTE_PGM_RSRC2:TGID_Y_EN: 1
; COMPUTE_PGM_RSRC2:TGID_Z_EN: 0
; COMPUTE_PGM_RSRC2:TIDIG_COMP_CNT: 0
; COMPUTE_PGM_RSRC3_GFX90A:ACCUM_OFFSET: 8
; COMPUTE_PGM_RSRC3_GFX90A:TG_SPLIT: 0
	.section	.text._ZN5aiter35fused_qk_rmsnorm_group_quant_kernelItN4opus5fp4_tELi128ELi16ELi8ELb0ELb1ELb1ELb0ELb0ELb0EEEvPT0_PvPT_S7_S7_PKS6_S9_S9_S9_S9_ffiiiiiiiiiiiii,"axG",@progbits,_ZN5aiter35fused_qk_rmsnorm_group_quant_kernelItN4opus5fp4_tELi128ELi16ELi8ELb0ELb1ELb1ELb0ELb0ELb0EEEvPT0_PvPT_S7_S7_PKS6_S9_S9_S9_S9_ffiiiiiiiiiiiii,comdat
	.protected	_ZN5aiter35fused_qk_rmsnorm_group_quant_kernelItN4opus5fp4_tELi128ELi16ELi8ELb0ELb1ELb1ELb0ELb0ELb0EEEvPT0_PvPT_S7_S7_PKS6_S9_S9_S9_S9_ffiiiiiiiiiiiii ; -- Begin function _ZN5aiter35fused_qk_rmsnorm_group_quant_kernelItN4opus5fp4_tELi128ELi16ELi8ELb0ELb1ELb1ELb0ELb0ELb0EEEvPT0_PvPT_S7_S7_PKS6_S9_S9_S9_S9_ffiiiiiiiiiiiii
	.globl	_ZN5aiter35fused_qk_rmsnorm_group_quant_kernelItN4opus5fp4_tELi128ELi16ELi8ELb0ELb1ELb1ELb0ELb0ELb0EEEvPT0_PvPT_S7_S7_PKS6_S9_S9_S9_S9_ffiiiiiiiiiiiii
	.p2align	8
	.type	_ZN5aiter35fused_qk_rmsnorm_group_quant_kernelItN4opus5fp4_tELi128ELi16ELi8ELb0ELb1ELb1ELb0ELb0ELb0EEEvPT0_PvPT_S7_S7_PKS6_S9_S9_S9_S9_ffiiiiiiiiiiiii,@function
_ZN5aiter35fused_qk_rmsnorm_group_quant_kernelItN4opus5fp4_tELi128ELi16ELi8ELb0ELb1ELb1ELb0ELb0ELb0EEEvPT0_PvPT_S7_S7_PKS6_S9_S9_S9_S9_ffiiiiiiiiiiiii: ; @_ZN5aiter35fused_qk_rmsnorm_group_quant_kernelItN4opus5fp4_tELi128ELi16ELi8ELb0ELb1ELb1ELb0ELb0ELb0EEEvPT0_PvPT_S7_S7_PKS6_S9_S9_S9_S9_ffiiiiiiiiiiiii
; %bb.0:
	s_load_dwordx4 s[16:19], s[4:5], 0x50
	s_waitcnt lgkmcnt(0)
	s_cmp_ge_i32 s6, s18
	s_cbranch_scc1 .LBB636_12
; %bb.1:
	s_load_dwordx2 s[12:13], s[4:5], 0x48
	s_load_dwordx2 s[30:31], s[4:5], 0x30
	s_load_dwordx4 s[20:23], s[4:5], 0x60
	s_cmp_lg_u32 s7, 0
	s_cselect_b64 s[14:15], -1, 0
	s_cmp_eq_u32 s7, 0
	s_cselect_b64 vcc, -1, 0
	s_and_b64 s[0:1], vcc, exec
	s_waitcnt lgkmcnt(0)
	s_cselect_b32 s7, s19, s20
	s_add_i32 s0, s7, 1
	s_lshr_b32 s1, s0, 31
	s_add_i32 s0, s0, s1
	s_lshl_b32 s0, s0, 1
	v_lshlrev_b32_e32 v1, 4, v0
	s_and_b32 s10, s0, -4
	v_cmp_gt_i32_e64 s[2:3], s7, v1
	v_mov_b32_e32 v18, 0
	v_mov_b32_e32 v6, 0
	;; [unrolled: 1-line block ×17, first 2 shown]
	s_and_saveexec_b64 s[0:1], s[2:3]
	s_cbranch_execz .LBB636_3
; %bb.2:
	s_load_dwordx2 s[8:9], s[4:5], 0x28
	s_load_dwordx2 s[26:27], s[4:5], 0x40
	s_and_b64 s[24:25], vcc, exec
	s_cselect_b32 s11, s21, s22
	v_lshlrev_b32_e32 v19, 5, v0
	s_waitcnt lgkmcnt(0)
	s_cselect_b32 s18, s9, s31
	s_cselect_b32 s21, s8, s30
	s_mul_hi_i32 s9, s11, s6
	s_mul_i32 s8, s11, s6
	s_lshl_b64 s[8:9], s[8:9], 1
	s_add_u32 s24, s21, s8
	s_addc_u32 s18, s18, s9
	s_and_b64 s[8:9], vcc, exec
	s_mov_b32 s11, 0x20000
	s_cselect_b32 s8, s26, s12
	s_cselect_b32 s9, s27, s13
	s_and_b32 s25, s18, 0xffff
	s_mov_b32 s26, s10
	s_mov_b32 s27, s11
	s_and_b32 s9, s9, 0xffff
	buffer_load_dwordx4 v[14:17], v19, s[24:27], 0 offen
	buffer_load_dwordx4 v[10:13], v19, s[24:27], 16 offen
	;; [unrolled: 1-line block ×4, first 2 shown]
.LBB636_3:
	s_or_b64 exec, exec, s[0:1]
	v_mov_b32_e32 v19, 0
	v_mov_b32_e32 v22, 0
	;; [unrolled: 1-line block ×15, first 2 shown]
	s_and_saveexec_b64 s[0:1], s[2:3]
	s_cbranch_execz .LBB636_5
; %bb.4:
	s_waitcnt vmcnt(3)
	v_cvt_f32_u32_sdwa v18, v14 dst_sel:DWORD dst_unused:UNUSED_PAD src0_sel:WORD_0
	v_cvt_f32_u32_sdwa v19, v14 dst_sel:DWORD dst_unused:UNUSED_PAD src0_sel:WORD_1
	v_cvt_f32_u32_sdwa v22, v15 dst_sel:DWORD dst_unused:UNUSED_PAD src0_sel:WORD_0
	v_cvt_f32_u32_sdwa v23, v15 dst_sel:DWORD dst_unused:UNUSED_PAD src0_sel:WORD_1
	;; [unrolled: 2-line block ×4, first 2 shown]
	s_waitcnt vmcnt(2)
	v_cvt_f32_u32_sdwa v24, v10 dst_sel:DWORD dst_unused:UNUSED_PAD src0_sel:WORD_0
	v_cvt_f32_u32_sdwa v25, v10 dst_sel:DWORD dst_unused:UNUSED_PAD src0_sel:WORD_1
	v_cvt_f32_u32_sdwa v32, v11 dst_sel:DWORD dst_unused:UNUSED_PAD src0_sel:WORD_0
	v_cvt_f32_u32_sdwa v33, v11 dst_sel:DWORD dst_unused:UNUSED_PAD src0_sel:WORD_1
	;; [unrolled: 2-line block ×4, first 2 shown]
.LBB636_5:
	s_or_b64 exec, exec, s[0:1]
	s_waitcnt vmcnt(2)
	v_mul_f32_e32 v10, v19, v19
	v_fmac_f32_e32 v10, v18, v18
	v_fmac_f32_e32 v10, v22, v22
	;; [unrolled: 1-line block ×15, first 2 shown]
	v_and_b32_e32 v12, 63, v0
	v_cmp_eq_u32_e64 s[0:1], 63, v12
	v_mov_b32_dpp v11, v10 quad_perm:[1,0,3,2] row_mask:0xf bank_mask:0xf
	v_add_f32_e32 v10, v10, v11
	s_nop 1
	v_mov_b32_dpp v11, v10 quad_perm:[2,3,0,1] row_mask:0xf bank_mask:0xf
	v_add_f32_e32 v10, v10, v11
	s_nop 1
	v_mov_b32_dpp v11, v10 row_half_mirror row_mask:0xf bank_mask:0xf
	v_add_f32_e32 v10, v10, v11
	s_nop 1
	v_mov_b32_dpp v11, v10 row_mirror row_mask:0xf bank_mask:0xf
	v_add_f32_e32 v10, v10, v11
	s_nop 1
	v_mov_b32_dpp v11, v10 row_bcast:15 row_mask:0xf bank_mask:0xf
	v_add_f32_e32 v10, v10, v11
	s_nop 1
	v_mov_b32_dpp v11, v10 row_bcast:31 row_mask:0xf bank_mask:0xf
	s_and_saveexec_b64 s[8:9], s[0:1]
	s_cbranch_execz .LBB636_7
; %bb.6:
	v_add_f32_e32 v10, v10, v11
	v_lshrrev_b32_e32 v11, 4, v0
	v_and_b32_e32 v11, 60, v11
	ds_write_b32 v11, v10 offset:8
.LBB636_7:
	s_or_b64 exec, exec, s[8:9]
	v_and_b32_e32 v10, 1, v0
	v_lshlrev_b32_e32 v34, 2, v10
	s_waitcnt lgkmcnt(0)
	s_barrier
	ds_read_b32 v10, v34 offset:8
	s_load_dwordx2 s[28:29], s[4:5], 0x18
	s_waitcnt lgkmcnt(0)
	v_mov_b32_dpp v11, v10 quad_perm:[1,0,3,2] row_mask:0xf bank_mask:0xf
	s_and_saveexec_b64 s[8:9], s[2:3]
	s_cbranch_execz .LBB636_9
; %bb.8:
	v_cvt_f32_u32_e32 v12, s7
	v_add_f32_e32 v10, v10, v11
	v_mov_b32_e32 v14, s17
	v_mov_b32_e32 v15, s16
	v_div_scale_f32 v11, s[24:25], v12, v12, v10
	v_rcp_f32_e32 v13, v11
	v_cndmask_b32_e32 v14, v14, v15, vcc
	s_mov_b32 s7, 0x800000
	v_fma_f32 v15, -v11, v13, 1.0
	v_fmac_f32_e32 v13, v15, v13
	v_div_scale_f32 v15, vcc, v10, v12, v10
	v_mul_f32_e32 v16, v15, v13
	v_fma_f32 v17, -v11, v16, v15
	v_fmac_f32_e32 v16, v17, v13
	v_fma_f32 v11, -v11, v16, v15
	v_div_fmas_f32 v11, v11, v13, v16
	v_div_fixup_f32 v10, v11, v12, v10
	v_add_f32_e32 v10, v14, v10
	v_mul_f32_e32 v11, 0x4b800000, v10
	v_cmp_gt_f32_e32 vcc, s7, v10
	v_cndmask_b32_e32 v10, v10, v11, vcc
	v_rsq_f32_e32 v10, v10
	v_mul_f32_e32 v11, 0x45800000, v10
	v_cndmask_b32_e32 v10, v10, v11, vcc
	v_mov_b32_e32 v11, v10
	;;#ASMSTART
	v_pk_mul_f32 v[12:13], v[18:19], v[10:11]
	;;#ASMEND
	s_waitcnt vmcnt(1)
	v_cvt_f32_u32_sdwa v19, v6 dst_sel:DWORD dst_unused:UNUSED_PAD src0_sel:WORD_1
	v_cvt_f32_u32_sdwa v18, v6 dst_sel:DWORD dst_unused:UNUSED_PAD src0_sel:WORD_0
	;;#ASMSTART
	v_pk_mul_f32 v[14:15], v[22:23], v[10:11]
	;;#ASMEND
	;;#ASMSTART
	v_pk_mul_f32 v[16:17], v[20:21], v[10:11]
	;;#ASMEND
	v_cvt_f32_u32_sdwa v21, v7 dst_sel:DWORD dst_unused:UNUSED_PAD src0_sel:WORD_1
	v_cvt_f32_u32_sdwa v20, v7 dst_sel:DWORD dst_unused:UNUSED_PAD src0_sel:WORD_0
	;;#ASMSTART
	v_pk_mul_f32 v[28:29], v[28:29], v[10:11]
	;;#ASMEND
	;;#ASMSTART
	v_pk_mul_f32 v[24:25], v[24:25], v[10:11]
	;;#ASMEND
	;; [unrolled: 3-line block ×5, first 2 shown]
	v_pk_add_f32 v[10:11], v[18:19], 1.0 op_sel_hi:[1,0]
	;;#ASMSTART
	v_pk_mul_f32 v[18:19], v[12:13], v[10:11]
	;;#ASMEND
	v_cvt_f32_u32_sdwa v13, v8 dst_sel:DWORD dst_unused:UNUSED_PAD src0_sel:WORD_1
	v_cvt_f32_u32_sdwa v12, v8 dst_sel:DWORD dst_unused:UNUSED_PAD src0_sel:WORD_0
	v_cvt_f32_u32_sdwa v27, v9 dst_sel:DWORD dst_unused:UNUSED_PAD src0_sel:WORD_1
	v_cvt_f32_u32_sdwa v26, v9 dst_sel:DWORD dst_unused:UNUSED_PAD src0_sel:WORD_0
	v_pk_add_f32 v[10:11], v[20:21], 1.0 op_sel_hi:[1,0]
	;;#ASMSTART
	v_pk_mul_f32 v[22:23], v[14:15], v[10:11]
	;;#ASMEND
	s_waitcnt vmcnt(0)
	v_cvt_f32_u32_sdwa v11, v2 dst_sel:DWORD dst_unused:UNUSED_PAD src0_sel:WORD_1
	v_cvt_f32_u32_sdwa v10, v2 dst_sel:DWORD dst_unused:UNUSED_PAD src0_sel:WORD_0
	v_pk_add_f32 v[8:9], v[12:13], 1.0 op_sel_hi:[1,0]
	;;#ASMSTART
	v_pk_mul_f32 v[20:21], v[16:17], v[8:9]
	;;#ASMEND
	v_pk_add_f32 v[8:9], v[26:27], 1.0 op_sel_hi:[1,0]
	v_cvt_f32_u32_sdwa v13, v3 dst_sel:DWORD dst_unused:UNUSED_PAD src0_sel:WORD_1
	v_cvt_f32_u32_sdwa v12, v3 dst_sel:DWORD dst_unused:UNUSED_PAD src0_sel:WORD_0
	;;#ASMSTART
	v_pk_mul_f32 v[28:29], v[28:29], v[8:9]
	;;#ASMEND
	v_cvt_f32_u32_sdwa v9, v4 dst_sel:DWORD dst_unused:UNUSED_PAD src0_sel:WORD_1
	v_cvt_f32_u32_sdwa v8, v4 dst_sel:DWORD dst_unused:UNUSED_PAD src0_sel:WORD_0
	v_pk_add_f32 v[2:3], v[10:11], 1.0 op_sel_hi:[1,0]
	v_cvt_f32_u32_sdwa v11, v5 dst_sel:DWORD dst_unused:UNUSED_PAD src0_sel:WORD_1
	v_cvt_f32_u32_sdwa v10, v5 dst_sel:DWORD dst_unused:UNUSED_PAD src0_sel:WORD_0
	;;#ASMSTART
	v_pk_mul_f32 v[24:25], v[24:25], v[2:3]
	;;#ASMEND
	v_pk_add_f32 v[2:3], v[12:13], 1.0 op_sel_hi:[1,0]
	;;#ASMSTART
	v_pk_mul_f32 v[32:33], v[32:33], v[2:3]
	;;#ASMEND
	v_pk_add_f32 v[2:3], v[8:9], 1.0 op_sel_hi:[1,0]
	;; [unrolled: 4-line block ×3, first 2 shown]
	;;#ASMSTART
	v_pk_mul_f32 v[26:27], v[6:7], v[2:3]
	;;#ASMEND
.LBB636_9:
	s_or_b64 exec, exec, s[8:9]
	s_load_dword s7, s[4:5], 0x80
	s_mov_b64 s[8:9], -1
	s_and_b64 vcc, exec, s[14:15]
	s_cbranch_vccnz .LBB636_13
; %bb.10:
	s_andn2_b64 vcc, exec, s[8:9]
	s_cbranch_vccz .LBB636_16
.LBB636_11:
	s_cmp_lt_i32 s20, 1
	s_cbranch_scc0 .LBB636_25
.LBB636_12:
	s_endpgm
.LBB636_13:
	s_and_saveexec_b64 s[14:15], s[2:3]
	s_cbranch_execz .LBB636_15
; %bb.14:
	s_waitcnt lgkmcnt(0)
	s_mul_hi_i32 s9, s7, s6
	s_mul_i32 s8, s7, s6
	s_lshl_b64 s[8:9], s[8:9], 1
	s_add_u32 s8, s28, s8
	s_addc_u32 s9, s29, s9
	s_mov_b32 s16, 0x7060302
	s_and_b32 s9, s9, 0xffff
	s_mov_b32 s11, 0x20000
	s_waitcnt vmcnt(0)
	v_perm_b32 v5, v29, v28, s16
	v_perm_b32 v4, v21, v20, s16
	;; [unrolled: 1-line block ×4, first 2 shown]
	v_lshlrev_b32_e32 v6, 5, v0
	buffer_store_dwordx4 v[2:5], v6, s[8:11], 0 offen
	;;#ASMSTART
	s_nop 0
	;;#ASMEND
	s_nop 0
	v_perm_b32 v5, v27, v26, s16
	v_perm_b32 v4, v31, v30, s16
	;; [unrolled: 1-line block ×4, first 2 shown]
	buffer_store_dwordx4 v[2:5], v6, s[8:11], 16 offen
	;;#ASMSTART
	s_nop 0
	;;#ASMEND
.LBB636_15:
	s_or_b64 exec, exec, s[14:15]
	s_cbranch_execnz .LBB636_11
.LBB636_16:
	s_load_dwordx4 s[24:27], s[4:5], 0x70
	s_waitcnt vmcnt(0)
	v_mov_b32_e32 v2, 0
	s_and_saveexec_b64 s[14:15], s[2:3]
	s_cbranch_execz .LBB636_18
; %bb.17:
	s_load_dwordx2 s[8:9], s[4:5], 0x10
	s_waitcnt lgkmcnt(0)
	s_mul_hi_i32 s35, s27, s6
	s_mul_i32 s34, s27, s6
	s_lshl_b64 s[34:35], s[34:35], 1
	s_mov_b32 s16, 0x7060302
	s_add_u32 s8, s8, s34
	s_addc_u32 s9, s9, s35
	s_mov_b32 s11, 0x20000
	s_and_b32 s9, s9, 0xffff
	v_perm_b32 v5, v29, v28, s16
	v_perm_b32 v4, v21, v20, s16
	;; [unrolled: 1-line block ×4, first 2 shown]
	v_lshlrev_b32_e32 v6, 5, v0
	buffer_store_dwordx4 v[2:5], v6, s[8:11], 0 offen
	;;#ASMSTART
	s_nop 0
	;;#ASMEND
	s_nop 0
	v_perm_b32 v5, v27, v26, s16
	v_perm_b32 v4, v31, v30, s16
	v_perm_b32 v3, v33, v32, s16
	v_perm_b32 v2, v25, v24, s16
	buffer_store_dwordx4 v[2:5], v6, s[8:11], 16 offen
	;;#ASMSTART
	s_nop 0
	;;#ASMEND
	s_nop 0
	v_mov_b32_e32 v2, 0x2edbe6ff
.LBB636_18:
	s_or_b64 exec, exec, s[14:15]
	s_and_saveexec_b64 s[8:9], s[2:3]
	s_cbranch_execz .LBB636_20
; %bb.19:
	v_and_b32_e32 v3, 0x7fffffff, v18
	v_and_b32_e32 v4, 0x7fffffff, v19
	;;#ASMSTART
	v_max3_f32 v2, v2, v3, v4

	;;#ASMEND
	v_and_b32_e32 v3, 0x7fffffff, v22
	v_and_b32_e32 v4, 0x7fffffff, v23
	;;#ASMSTART
	v_max3_f32 v2, v2, v3, v4

	;;#ASMEND
	;; [unrolled: 6-line block ×8, first 2 shown]
.LBB636_20:
	s_or_b64 exec, exec, s[8:9]
	;;#ASMSTART
	v_max_f32 v3, v2, v2 quad_perm:[1,0,3,2] row_mask:0xf bank_mask:0xf bound_ctrl:1
	;;#ASMEND
	;;#ASMSTART
	v_max_f32 v4, v3, v3 quad_perm:[2,3,0,1] row_mask:0xf bank_mask:0xf bound_ctrl:1
	;;#ASMEND
	v_and_b32_e32 v3, 7, v0
	v_cmp_eq_u32_e32 vcc, 0, v3
	v_cmp_gt_i32_e64 s[8:9], s19, v1
	s_and_b64 s[10:11], vcc, s[8:9]
	;;#ASMSTART
	v_max_f32 v2, v4, v4 row_half_mirror row_mask:0xf bank_mask:0xf bound_ctrl:1
	;;#ASMEND
	s_and_saveexec_b64 s[8:9], s[10:11]
	s_cbranch_execz .LBB636_22
; %bb.21:
	s_load_dwordx2 s[10:11], s[4:5], 0x8
	v_mul_f32_e32 v2, 0x3e2aaaab, v2
	v_lshrrev_b32_e32 v3, 23, v2
	v_and_b32_e32 v4, 0x7f800000, v2
	v_and_b32_e32 v2, 0x7fffff, v2
	v_cmp_ne_u32_e32 vcc, 0, v2
	s_waitcnt lgkmcnt(0)
	s_mul_i32 s16, s25, s6
	s_mov_b32 s14, 0x7f800000
	v_addc_co_u32_e32 v2, vcc, 0, v3, vcc
	s_mul_hi_i32 s15, s25, s6
	s_add_u32 s10, s10, s16
	v_cmp_ne_u32_e32 vcc, s14, v4
	s_addc_u32 s11, s11, s15
	v_lshrrev_b32_e32 v5, 3, v0
	v_cndmask_b32_e32 v4, -1, v2, vcc
	v_pk_mov_b32 v[2:3], s[10:11], s[10:11] op_sel:[0,1]
	v_mad_i64_i32 v[2:3], s[10:11], s26, v5, v[2:3]
	global_store_byte v[2:3], v4, off
.LBB636_22:
	s_or_b64 exec, exec, s[8:9]
	s_and_saveexec_b64 s[8:9], s[2:3]
	s_cbranch_execz .LBB636_24
; %bb.23:
	s_load_dwordx2 s[2:3], s[4:5], 0x0
	s_waitcnt lgkmcnt(0)
	s_mul_i32 s11, s24, s6
	s_mul_hi_i32 s10, s24, s6
	v_mov_b32_e32 v2, 0
	v_lshlrev_b32_e32 v4, 3, v0
	s_add_u32 s24, s2, s11
	s_addc_u32 s2, s3, s10
	s_lshr_b32 s3, s19, 31
	s_add_i32 s3, s19, s3
	s_ashr_i32 s3, s3, 1
	s_add_i32 s3, s3, 3
	s_ashr_i32 s10, s3, 31
	s_lshr_b32 s10, s10, 30
	s_add_i32 s3, s3, s10
	s_and_b32 s26, s3, -4
	s_and_b32 s25, s2, 0xffff
	s_mov_b32 s27, 0x20000
	v_mov_b32_e32 v3, v2
	buffer_store_dwordx2 v[2:3], v4, s[24:27], 0 offen
	;;#ASMSTART
	s_nop 0
	;;#ASMEND
.LBB636_24:
	s_or_b64 exec, exec, s[8:9]
	s_cmp_lt_i32 s20, 1
	s_cbranch_scc1 .LBB636_12
.LBB636_25:
	s_load_dword s2, s[4:5], 0x94
	s_waitcnt lgkmcnt(0)
	s_cmp_lg_u32 s2, 1
	s_cbranch_scc1 .LBB636_12
; %bb.26:
	s_lshl_b32 s2, s20, 1
	s_add_i32 s2, s2, 2
	v_cmp_gt_u32_e32 vcc, s20, v1
	s_and_b32 s14, s2, -4
	v_mov_b32_e32 v18, 0
	v_lshlrev_b32_e32 v1, 5, v0
	v_mov_b32_e32 v14, 0
	v_mov_b32_e32 v15, 0
	;; [unrolled: 1-line block ×8, first 2 shown]
	s_waitcnt vmcnt(1)
	v_mov_b32_e32 v6, 0
	v_mov_b32_e32 v7, 0
	;; [unrolled: 1-line block ×4, first 2 shown]
	s_waitcnt vmcnt(0)
	v_mov_b32_e32 v2, 0
	v_mov_b32_e32 v3, 0
	;; [unrolled: 1-line block ×4, first 2 shown]
	s_barrier
	s_and_saveexec_b64 s[2:3], vcc
	s_cbranch_execz .LBB636_28
; %bb.27:
	s_mul_hi_i32 s5, s22, s6
	s_mul_i32 s4, s22, s6
	s_and_b32 s13, s13, 0xffff
	s_lshl_b64 s[4:5], s[4:5], 1
	s_add_u32 s8, s30, s4
	s_mov_b32 s15, 0x20000
	s_addc_u32 s4, s31, s5
	s_and_b32 s9, s4, 0xffff
	s_mov_b32 s10, s14
	s_mov_b32 s11, s15
	buffer_load_dwordx4 v[14:17], v1, s[8:11], 0 offen
	buffer_load_dwordx4 v[10:13], v1, s[8:11], 16 offen
	;; [unrolled: 1-line block ×4, first 2 shown]
.LBB636_28:
	s_or_b64 exec, exec, s[2:3]
	v_mov_b32_e32 v19, 0
	v_mov_b32_e32 v32, 0
	;; [unrolled: 1-line block ×15, first 2 shown]
	s_and_saveexec_b64 s[2:3], vcc
	s_cbranch_execz .LBB636_30
; %bb.29:
	s_waitcnt vmcnt(3)
	v_cvt_f32_u32_sdwa v18, v14 dst_sel:DWORD dst_unused:UNUSED_PAD src0_sel:WORD_0
	v_cvt_f32_u32_sdwa v19, v14 dst_sel:DWORD dst_unused:UNUSED_PAD src0_sel:WORD_1
	v_cvt_f32_u32_sdwa v32, v15 dst_sel:DWORD dst_unused:UNUSED_PAD src0_sel:WORD_0
	v_cvt_f32_u32_sdwa v33, v15 dst_sel:DWORD dst_unused:UNUSED_PAD src0_sel:WORD_1
	;; [unrolled: 2-line block ×4, first 2 shown]
	s_waitcnt vmcnt(2)
	v_cvt_f32_u32_sdwa v26, v10 dst_sel:DWORD dst_unused:UNUSED_PAD src0_sel:WORD_0
	v_cvt_f32_u32_sdwa v27, v10 dst_sel:DWORD dst_unused:UNUSED_PAD src0_sel:WORD_1
	v_cvt_f32_u32_sdwa v24, v11 dst_sel:DWORD dst_unused:UNUSED_PAD src0_sel:WORD_0
	v_cvt_f32_u32_sdwa v25, v11 dst_sel:DWORD dst_unused:UNUSED_PAD src0_sel:WORD_1
	;; [unrolled: 2-line block ×4, first 2 shown]
.LBB636_30:
	s_or_b64 exec, exec, s[2:3]
	s_waitcnt vmcnt(2)
	v_mul_f32_e32 v10, v19, v19
	v_fmac_f32_e32 v10, v18, v18
	v_fmac_f32_e32 v10, v32, v32
	;; [unrolled: 1-line block ×15, first 2 shown]
	s_nop 1
	v_mov_b32_dpp v11, v10 quad_perm:[1,0,3,2] row_mask:0xf bank_mask:0xf
	v_add_f32_e32 v10, v10, v11
	s_nop 1
	v_mov_b32_dpp v11, v10 quad_perm:[2,3,0,1] row_mask:0xf bank_mask:0xf
	v_add_f32_e32 v10, v10, v11
	s_nop 1
	v_mov_b32_dpp v11, v10 row_half_mirror row_mask:0xf bank_mask:0xf
	v_add_f32_e32 v10, v10, v11
	s_nop 1
	v_mov_b32_dpp v11, v10 row_mirror row_mask:0xf bank_mask:0xf
	v_add_f32_e32 v10, v10, v11
	s_nop 1
	v_mov_b32_dpp v11, v10 row_bcast:15 row_mask:0xf bank_mask:0xf
	v_add_f32_e32 v10, v10, v11
	s_nop 1
	v_mov_b32_dpp v11, v10 row_bcast:31 row_mask:0xf bank_mask:0xf
	s_and_saveexec_b64 s[2:3], s[0:1]
	s_cbranch_execz .LBB636_32
; %bb.31:
	v_lshrrev_b32_e32 v0, 4, v0
	v_add_f32_e32 v10, v10, v11
	v_and_b32_e32 v0, 60, v0
	ds_write_b32 v0, v10
.LBB636_32:
	s_or_b64 exec, exec, s[2:3]
	s_waitcnt lgkmcnt(0)
	s_barrier
	ds_read_b32 v0, v34
	s_waitcnt lgkmcnt(0)
	s_nop 0
	v_mov_b32_dpp v10, v0 quad_perm:[1,0,3,2] row_mask:0xf bank_mask:0xf
	s_and_saveexec_b64 s[0:1], vcc
	s_cbranch_execz .LBB636_12
; %bb.33:
	v_cvt_f32_u32_e32 v11, s20
	v_add_f32_e32 v0, v0, v10
	s_mov_b32 s15, 0x20000
	v_div_scale_f32 v10, s[0:1], v11, v11, v0
	v_rcp_f32_e32 v12, v10
	v_div_scale_f32 v13, vcc, v0, v11, v0
	s_mov_b32 s0, 0x800000
	v_fma_f32 v14, -v10, v12, 1.0
	v_fmac_f32_e32 v12, v14, v12
	v_mul_f32_e32 v14, v13, v12
	v_fma_f32 v15, -v10, v14, v13
	v_fmac_f32_e32 v14, v15, v12
	v_fma_f32 v10, -v10, v14, v13
	v_div_fmas_f32 v10, v10, v12, v14
	v_div_fixup_f32 v0, v10, v11, v0
	v_add_f32_e32 v0, s17, v0
	v_mul_f32_e32 v10, 0x4b800000, v0
	v_cmp_gt_f32_e32 vcc, s0, v0
	v_cndmask_b32_e32 v0, v0, v10, vcc
	v_rsq_f32_e32 v0, v0
	s_mul_hi_i32 s1, s7, s6
	s_mul_i32 s0, s7, s6
	s_lshl_b64 s[0:1], s[0:1], 1
	v_mul_f32_e32 v10, 0x45800000, v0
	v_cndmask_b32_e32 v10, v0, v10, vcc
	v_mov_b32_e32 v11, v10
	;;#ASMSTART
	v_pk_mul_f32 v[12:13], v[18:19], v[10:11]
	;;#ASMEND
	;;#ASMSTART
	v_pk_mul_f32 v[14:15], v[32:33], v[10:11]
	;;#ASMEND
	;; [unrolled: 3-line block ×4, first 2 shown]
	s_waitcnt vmcnt(1)
	v_cvt_f32_u32_sdwa v29, v6 dst_sel:DWORD dst_unused:UNUSED_PAD src0_sel:WORD_1
	v_cvt_f32_u32_sdwa v28, v6 dst_sel:DWORD dst_unused:UNUSED_PAD src0_sel:WORD_0
	v_cvt_f32_u32_sdwa v31, v7 dst_sel:DWORD dst_unused:UNUSED_PAD src0_sel:WORD_1
	v_cvt_f32_u32_sdwa v30, v7 dst_sel:DWORD dst_unused:UNUSED_PAD src0_sel:WORD_0
	;;#ASMSTART
	v_pk_mul_f32 v[26:27], v[26:27], v[10:11]
	;;#ASMEND
	;;#ASMSTART
	v_pk_mul_f32 v[24:25], v[24:25], v[10:11]
	;;#ASMEND
	;; [unrolled: 3-line block ×4, first 2 shown]
	v_cvt_f32_u32_sdwa v21, v8 dst_sel:DWORD dst_unused:UNUSED_PAD src0_sel:WORD_1
	v_cvt_f32_u32_sdwa v20, v8 dst_sel:DWORD dst_unused:UNUSED_PAD src0_sel:WORD_0
	v_pk_add_f32 v[10:11], v[28:29], 1.0 op_sel_hi:[1,0]
	;;#ASMSTART
	v_pk_mul_f32 v[10:11], v[12:13], v[10:11]
	;;#ASMEND
	v_pk_add_f32 v[12:13], v[30:31], 1.0 op_sel_hi:[1,0]
	v_cvt_f32_u32_sdwa v29, v9 dst_sel:DWORD dst_unused:UNUSED_PAD src0_sel:WORD_1
	v_cvt_f32_u32_sdwa v28, v9 dst_sel:DWORD dst_unused:UNUSED_PAD src0_sel:WORD_0
	;;#ASMSTART
	v_pk_mul_f32 v[8:9], v[14:15], v[12:13]
	;;#ASMEND
	v_pk_add_f32 v[12:13], v[20:21], 1.0 op_sel_hi:[1,0]
	;;#ASMSTART
	v_pk_mul_f32 v[12:13], v[16:17], v[12:13]
	;;#ASMEND
	s_waitcnt vmcnt(0)
	v_cvt_f32_u32_sdwa v17, v2 dst_sel:DWORD dst_unused:UNUSED_PAD src0_sel:WORD_1
	v_cvt_f32_u32_sdwa v16, v2 dst_sel:DWORD dst_unused:UNUSED_PAD src0_sel:WORD_0
	v_cvt_f32_u32_sdwa v21, v3 dst_sel:DWORD dst_unused:UNUSED_PAD src0_sel:WORD_1
	v_cvt_f32_u32_sdwa v20, v3 dst_sel:DWORD dst_unused:UNUSED_PAD src0_sel:WORD_0
	v_pk_add_f32 v[14:15], v[28:29], 1.0 op_sel_hi:[1,0]
	;;#ASMSTART
	v_pk_mul_f32 v[14:15], v[18:19], v[14:15]
	;;#ASMEND
	v_pk_add_f32 v[2:3], v[16:17], 1.0 op_sel_hi:[1,0]
	v_cvt_f32_u32_sdwa v19, v4 dst_sel:DWORD dst_unused:UNUSED_PAD src0_sel:WORD_1
	v_cvt_f32_u32_sdwa v18, v4 dst_sel:DWORD dst_unused:UNUSED_PAD src0_sel:WORD_0
	;;#ASMSTART
	v_pk_mul_f32 v[16:17], v[26:27], v[2:3]
	;;#ASMEND
	v_pk_add_f32 v[2:3], v[20:21], 1.0 op_sel_hi:[1,0]
	v_cvt_f32_u32_sdwa v21, v5 dst_sel:DWORD dst_unused:UNUSED_PAD src0_sel:WORD_1
	v_cvt_f32_u32_sdwa v20, v5 dst_sel:DWORD dst_unused:UNUSED_PAD src0_sel:WORD_0
	s_add_u32 s12, s28, s0
	;;#ASMSTART
	v_pk_mul_f32 v[24:25], v[24:25], v[2:3]
	;;#ASMEND
	v_pk_add_f32 v[2:3], v[18:19], 1.0 op_sel_hi:[1,0]
	s_addc_u32 s0, s29, s1
	;;#ASMSTART
	v_pk_mul_f32 v[18:19], v[22:23], v[2:3]
	;;#ASMEND
	v_pk_add_f32 v[2:3], v[20:21], 1.0 op_sel_hi:[1,0]
	s_and_b32 s13, s0, 0xffff
	s_mov_b32 s0, 0x7060302
	;;#ASMSTART
	v_pk_mul_f32 v[6:7], v[6:7], v[2:3]
	;;#ASMEND
	v_perm_b32 v2, v11, v10, s0
	v_perm_b32 v3, v9, v8, s0
	;; [unrolled: 1-line block ×4, first 2 shown]
	buffer_store_dwordx4 v[2:5], v1, s[12:15], 0 offen
	;;#ASMSTART
	s_nop 0
	;;#ASMEND
	s_nop 0
	v_perm_b32 v2, v17, v16, s0
	v_perm_b32 v3, v25, v24, s0
	;; [unrolled: 1-line block ×4, first 2 shown]
	buffer_store_dwordx4 v[2:5], v1, s[12:15], 16 offen
	;;#ASMSTART
	s_nop 0
	;;#ASMEND
	s_endpgm
	.section	.rodata,"a",@progbits
	.p2align	6, 0x0
	.amdhsa_kernel _ZN5aiter35fused_qk_rmsnorm_group_quant_kernelItN4opus5fp4_tELi128ELi16ELi8ELb0ELb1ELb1ELb0ELb0ELb0EEEvPT0_PvPT_S7_S7_PKS6_S9_S9_S9_S9_ffiiiiiiiiiiiii
		.amdhsa_group_segment_fixed_size 16
		.amdhsa_private_segment_fixed_size 0
		.amdhsa_kernarg_size 400
		.amdhsa_user_sgpr_count 6
		.amdhsa_user_sgpr_private_segment_buffer 1
		.amdhsa_user_sgpr_dispatch_ptr 0
		.amdhsa_user_sgpr_queue_ptr 0
		.amdhsa_user_sgpr_kernarg_segment_ptr 1
		.amdhsa_user_sgpr_dispatch_id 0
		.amdhsa_user_sgpr_flat_scratch_init 0
		.amdhsa_user_sgpr_kernarg_preload_length 0
		.amdhsa_user_sgpr_kernarg_preload_offset 0
		.amdhsa_user_sgpr_private_segment_size 0
		.amdhsa_uses_dynamic_stack 0
		.amdhsa_system_sgpr_private_segment_wavefront_offset 0
		.amdhsa_system_sgpr_workgroup_id_x 1
		.amdhsa_system_sgpr_workgroup_id_y 1
		.amdhsa_system_sgpr_workgroup_id_z 0
		.amdhsa_system_sgpr_workgroup_info 0
		.amdhsa_system_vgpr_workitem_id 0
		.amdhsa_next_free_vgpr 35
		.amdhsa_next_free_sgpr 36
		.amdhsa_accum_offset 36
		.amdhsa_reserve_vcc 1
		.amdhsa_reserve_flat_scratch 0
		.amdhsa_float_round_mode_32 0
		.amdhsa_float_round_mode_16_64 0
		.amdhsa_float_denorm_mode_32 3
		.amdhsa_float_denorm_mode_16_64 3
		.amdhsa_dx10_clamp 1
		.amdhsa_ieee_mode 1
		.amdhsa_fp16_overflow 0
		.amdhsa_tg_split 0
		.amdhsa_exception_fp_ieee_invalid_op 0
		.amdhsa_exception_fp_denorm_src 0
		.amdhsa_exception_fp_ieee_div_zero 0
		.amdhsa_exception_fp_ieee_overflow 0
		.amdhsa_exception_fp_ieee_underflow 0
		.amdhsa_exception_fp_ieee_inexact 0
		.amdhsa_exception_int_div_zero 0
	.end_amdhsa_kernel
	.section	.text._ZN5aiter35fused_qk_rmsnorm_group_quant_kernelItN4opus5fp4_tELi128ELi16ELi8ELb0ELb1ELb1ELb0ELb0ELb0EEEvPT0_PvPT_S7_S7_PKS6_S9_S9_S9_S9_ffiiiiiiiiiiiii,"axG",@progbits,_ZN5aiter35fused_qk_rmsnorm_group_quant_kernelItN4opus5fp4_tELi128ELi16ELi8ELb0ELb1ELb1ELb0ELb0ELb0EEEvPT0_PvPT_S7_S7_PKS6_S9_S9_S9_S9_ffiiiiiiiiiiiii,comdat
.Lfunc_end636:
	.size	_ZN5aiter35fused_qk_rmsnorm_group_quant_kernelItN4opus5fp4_tELi128ELi16ELi8ELb0ELb1ELb1ELb0ELb0ELb0EEEvPT0_PvPT_S7_S7_PKS6_S9_S9_S9_S9_ffiiiiiiiiiiiii, .Lfunc_end636-_ZN5aiter35fused_qk_rmsnorm_group_quant_kernelItN4opus5fp4_tELi128ELi16ELi8ELb0ELb1ELb1ELb0ELb0ELb0EEEvPT0_PvPT_S7_S7_PKS6_S9_S9_S9_S9_ffiiiiiiiiiiiii
                                        ; -- End function
	.section	.AMDGPU.csdata,"",@progbits
; Kernel info:
; codeLenInByte = 3416
; NumSgprs: 40
; NumVgprs: 35
; NumAgprs: 0
; TotalNumVgprs: 35
; ScratchSize: 0
; MemoryBound: 0
; FloatMode: 240
; IeeeMode: 1
; LDSByteSize: 16 bytes/workgroup (compile time only)
; SGPRBlocks: 4
; VGPRBlocks: 4
; NumSGPRsForWavesPerEU: 40
; NumVGPRsForWavesPerEU: 35
; AccumOffset: 36
; Occupancy: 8
; WaveLimiterHint : 0
; COMPUTE_PGM_RSRC2:SCRATCH_EN: 0
; COMPUTE_PGM_RSRC2:USER_SGPR: 6
; COMPUTE_PGM_RSRC2:TRAP_HANDLER: 0
; COMPUTE_PGM_RSRC2:TGID_X_EN: 1
; COMPUTE_PGM_RSRC2:TGID_Y_EN: 1
; COMPUTE_PGM_RSRC2:TGID_Z_EN: 0
; COMPUTE_PGM_RSRC2:TIDIG_COMP_CNT: 0
; COMPUTE_PGM_RSRC3_GFX90A:ACCUM_OFFSET: 8
; COMPUTE_PGM_RSRC3_GFX90A:TG_SPLIT: 0
	.section	.text._ZN5aiter35fused_qk_rmsnorm_group_quant_kernelIDF16_DB8_Li128ELi16ELi8ELb0ELb1ELb0ELb0ELb0ELb0EEEvPT0_PvPT_S6_S6_PKS5_S8_S8_S8_S8_ffiiiiiiiiiiiii,"axG",@progbits,_ZN5aiter35fused_qk_rmsnorm_group_quant_kernelIDF16_DB8_Li128ELi16ELi8ELb0ELb1ELb0ELb0ELb0ELb0EEEvPT0_PvPT_S6_S6_PKS5_S8_S8_S8_S8_ffiiiiiiiiiiiii,comdat
	.protected	_ZN5aiter35fused_qk_rmsnorm_group_quant_kernelIDF16_DB8_Li128ELi16ELi8ELb0ELb1ELb0ELb0ELb0ELb0EEEvPT0_PvPT_S6_S6_PKS5_S8_S8_S8_S8_ffiiiiiiiiiiiii ; -- Begin function _ZN5aiter35fused_qk_rmsnorm_group_quant_kernelIDF16_DB8_Li128ELi16ELi8ELb0ELb1ELb0ELb0ELb0ELb0EEEvPT0_PvPT_S6_S6_PKS5_S8_S8_S8_S8_ffiiiiiiiiiiiii
	.globl	_ZN5aiter35fused_qk_rmsnorm_group_quant_kernelIDF16_DB8_Li128ELi16ELi8ELb0ELb1ELb0ELb0ELb0ELb0EEEvPT0_PvPT_S6_S6_PKS5_S8_S8_S8_S8_ffiiiiiiiiiiiii
	.p2align	8
	.type	_ZN5aiter35fused_qk_rmsnorm_group_quant_kernelIDF16_DB8_Li128ELi16ELi8ELb0ELb1ELb0ELb0ELb0ELb0EEEvPT0_PvPT_S6_S6_PKS5_S8_S8_S8_S8_ffiiiiiiiiiiiii,@function
_ZN5aiter35fused_qk_rmsnorm_group_quant_kernelIDF16_DB8_Li128ELi16ELi8ELb0ELb1ELb0ELb0ELb0ELb0EEEvPT0_PvPT_S6_S6_PKS5_S8_S8_S8_S8_ffiiiiiiiiiiiii: ; @_ZN5aiter35fused_qk_rmsnorm_group_quant_kernelIDF16_DB8_Li128ELi16ELi8ELb0ELb1ELb0ELb0ELb0ELb0EEEvPT0_PvPT_S6_S6_PKS5_S8_S8_S8_S8_ffiiiiiiiiiiiii
; %bb.0:
	s_load_dwordx4 s[16:19], s[4:5], 0x50
	s_waitcnt lgkmcnt(0)
	s_cmp_ge_i32 s6, s18
	s_cbranch_scc1 .LBB637_12
; %bb.1:
	s_load_dwordx2 s[12:13], s[4:5], 0x48
	s_load_dwordx2 s[30:31], s[4:5], 0x30
	s_load_dwordx4 s[20:23], s[4:5], 0x60
	s_cmp_lg_u32 s7, 0
	s_cselect_b64 s[14:15], -1, 0
	s_cmp_eq_u32 s7, 0
	s_cselect_b64 vcc, -1, 0
	s_and_b64 s[0:1], vcc, exec
	s_waitcnt lgkmcnt(0)
	s_cselect_b32 s7, s19, s20
	s_add_i32 s0, s7, 1
	s_lshr_b32 s1, s0, 31
	s_add_i32 s0, s0, s1
	s_lshl_b32 s0, s0, 1
	v_lshlrev_b32_e32 v1, 4, v0
	s_and_b32 s10, s0, -4
	v_cmp_gt_i32_e64 s[2:3], s7, v1
	v_mov_b32_e32 v18, 0
	v_mov_b32_e32 v6, 0
	;; [unrolled: 1-line block ×17, first 2 shown]
	s_and_saveexec_b64 s[0:1], s[2:3]
	s_cbranch_execz .LBB637_3
; %bb.2:
	s_load_dwordx2 s[8:9], s[4:5], 0x28
	s_load_dwordx2 s[26:27], s[4:5], 0x40
	s_and_b64 s[24:25], vcc, exec
	s_cselect_b32 s11, s21, s22
	v_lshlrev_b32_e32 v19, 5, v0
	s_waitcnt lgkmcnt(0)
	s_cselect_b32 s18, s9, s31
	s_cselect_b32 s21, s8, s30
	s_mul_hi_i32 s9, s11, s6
	s_mul_i32 s8, s11, s6
	s_lshl_b64 s[8:9], s[8:9], 1
	s_add_u32 s24, s21, s8
	s_addc_u32 s18, s18, s9
	s_and_b64 s[8:9], vcc, exec
	s_mov_b32 s11, 0x20000
	s_cselect_b32 s8, s26, s12
	s_cselect_b32 s9, s27, s13
	s_and_b32 s25, s18, 0xffff
	s_mov_b32 s26, s10
	s_mov_b32 s27, s11
	s_and_b32 s9, s9, 0xffff
	buffer_load_dwordx4 v[14:17], v19, s[24:27], 0 offen
	buffer_load_dwordx4 v[10:13], v19, s[24:27], 16 offen
	;; [unrolled: 1-line block ×4, first 2 shown]
.LBB637_3:
	s_or_b64 exec, exec, s[0:1]
	v_mov_b32_e32 v19, 0
	v_mov_b32_e32 v32, 0
	;; [unrolled: 1-line block ×15, first 2 shown]
	s_and_saveexec_b64 s[0:1], s[2:3]
	s_cbranch_execz .LBB637_5
; %bb.4:
	s_waitcnt vmcnt(3)
	v_cvt_f32_f16_sdwa v19, v14 dst_sel:DWORD dst_unused:UNUSED_PAD src0_sel:WORD_1
	v_cvt_f32_f16_e32 v18, v14
	v_cvt_f32_f16_sdwa v33, v15 dst_sel:DWORD dst_unused:UNUSED_PAD src0_sel:WORD_1
	v_cvt_f32_f16_e32 v32, v15
	;; [unrolled: 2-line block ×4, first 2 shown]
	s_waitcnt vmcnt(2)
	v_cvt_f32_f16_sdwa v31, v10 dst_sel:DWORD dst_unused:UNUSED_PAD src0_sel:WORD_1
	v_cvt_f32_f16_e32 v30, v10
	v_cvt_f32_f16_sdwa v29, v11 dst_sel:DWORD dst_unused:UNUSED_PAD src0_sel:WORD_1
	v_cvt_f32_f16_e32 v28, v11
	;; [unrolled: 2-line block ×4, first 2 shown]
.LBB637_5:
	s_or_b64 exec, exec, s[0:1]
	s_waitcnt vmcnt(2)
	v_mul_f32_e32 v10, v19, v19
	v_fmac_f32_e32 v10, v18, v18
	v_fmac_f32_e32 v10, v32, v32
	;; [unrolled: 1-line block ×15, first 2 shown]
	v_and_b32_e32 v12, 63, v0
	v_cmp_eq_u32_e64 s[0:1], 63, v12
	v_mov_b32_dpp v11, v10 quad_perm:[1,0,3,2] row_mask:0xf bank_mask:0xf
	v_add_f32_e32 v10, v10, v11
	s_nop 1
	v_mov_b32_dpp v11, v10 quad_perm:[2,3,0,1] row_mask:0xf bank_mask:0xf
	v_add_f32_e32 v10, v10, v11
	s_nop 1
	v_mov_b32_dpp v11, v10 row_half_mirror row_mask:0xf bank_mask:0xf
	v_add_f32_e32 v10, v10, v11
	s_nop 1
	v_mov_b32_dpp v11, v10 row_mirror row_mask:0xf bank_mask:0xf
	v_add_f32_e32 v10, v10, v11
	s_nop 1
	v_mov_b32_dpp v11, v10 row_bcast:15 row_mask:0xf bank_mask:0xf
	v_add_f32_e32 v10, v10, v11
	s_nop 1
	v_mov_b32_dpp v11, v10 row_bcast:31 row_mask:0xf bank_mask:0xf
	s_and_saveexec_b64 s[8:9], s[0:1]
	s_cbranch_execz .LBB637_7
; %bb.6:
	v_add_f32_e32 v10, v10, v11
	v_lshrrev_b32_e32 v11, 4, v0
	v_and_b32_e32 v11, 60, v11
	ds_write_b32 v11, v10 offset:8
.LBB637_7:
	s_or_b64 exec, exec, s[8:9]
	v_and_b32_e32 v10, 1, v0
	v_lshlrev_b32_e32 v34, 2, v10
	s_waitcnt lgkmcnt(0)
	s_barrier
	ds_read_b32 v10, v34 offset:8
	s_load_dwordx2 s[28:29], s[4:5], 0x18
	s_waitcnt lgkmcnt(0)
	v_mov_b32_dpp v11, v10 quad_perm:[1,0,3,2] row_mask:0xf bank_mask:0xf
	s_and_saveexec_b64 s[8:9], s[2:3]
	s_cbranch_execz .LBB637_9
; %bb.8:
	v_cvt_f32_u32_e32 v12, s7
	v_add_f32_e32 v10, v10, v11
	v_mov_b32_e32 v14, s17
	v_mov_b32_e32 v15, s16
	v_div_scale_f32 v11, s[24:25], v12, v12, v10
	v_rcp_f32_e32 v13, v11
	v_cndmask_b32_e32 v14, v14, v15, vcc
	s_mov_b32 s7, 0x800000
	s_waitcnt vmcnt(1)
	v_cvt_f32_f16_sdwa v37, v9 dst_sel:DWORD dst_unused:UNUSED_PAD src0_sel:WORD_1
	v_fma_f32 v15, -v11, v13, 1.0
	v_fmac_f32_e32 v13, v15, v13
	v_div_scale_f32 v15, vcc, v10, v12, v10
	v_mul_f32_e32 v16, v15, v13
	v_fma_f32 v17, -v11, v16, v15
	v_fmac_f32_e32 v16, v17, v13
	v_fma_f32 v11, -v11, v16, v15
	v_div_fmas_f32 v11, v11, v13, v16
	v_div_fixup_f32 v10, v11, v12, v10
	v_add_f32_e32 v10, v14, v10
	v_mul_f32_e32 v11, 0x4b800000, v10
	v_cmp_gt_f32_e32 vcc, s7, v10
	v_cndmask_b32_e32 v10, v10, v11, vcc
	v_rsq_f32_e32 v10, v10
	v_cvt_f32_f16_e32 v36, v9
	s_waitcnt vmcnt(0)
	v_cvt_f32_f16_sdwa v9, v3 dst_sel:DWORD dst_unused:UNUSED_PAD src0_sel:WORD_1
	v_mul_f32_e32 v11, 0x45800000, v10
	v_cndmask_b32_e32 v10, v10, v11, vcc
	v_mov_b32_e32 v11, v10
	;;#ASMSTART
	v_pk_mul_f32 v[12:13], v[18:19], v[10:11]
	;;#ASMEND
	;;#ASMSTART
	v_pk_mul_f32 v[14:15], v[32:33], v[10:11]
	;;#ASMEND
	;; [unrolled: 3-line block ×8, first 2 shown]
	v_cvt_f32_f16_sdwa v19, v6 dst_sel:DWORD dst_unused:UNUSED_PAD src0_sel:WORD_1
	v_cvt_f32_f16_e32 v18, v6
	v_cvt_f32_f16_sdwa v21, v7 dst_sel:DWORD dst_unused:UNUSED_PAD src0_sel:WORD_1
	v_cvt_f32_f16_e32 v20, v7
	v_cvt_f32_f16_sdwa v7, v8 dst_sel:DWORD dst_unused:UNUSED_PAD src0_sel:WORD_1
	v_cvt_f32_f16_e32 v6, v8
	;;#ASMSTART
	v_pk_mul_f32 v[18:19], v[12:13], v[18:19]
	;;#ASMEND
	;;#ASMSTART
	v_pk_mul_f32 v[32:33], v[14:15], v[20:21]
	;;#ASMEND
	;; [unrolled: 3-line block ×4, first 2 shown]
	v_cvt_f32_f16_sdwa v7, v2 dst_sel:DWORD dst_unused:UNUSED_PAD src0_sel:WORD_1
	v_cvt_f32_f16_e32 v6, v2
	v_cvt_f32_f16_e32 v8, v3
	v_cvt_f32_f16_sdwa v3, v4 dst_sel:DWORD dst_unused:UNUSED_PAD src0_sel:WORD_1
	v_cvt_f32_f16_e32 v2, v4
	v_cvt_f32_f16_sdwa v13, v5 dst_sel:DWORD dst_unused:UNUSED_PAD src0_sel:WORD_1
	v_cvt_f32_f16_e32 v12, v5
	;;#ASMSTART
	v_pk_mul_f32 v[30:31], v[30:31], v[6:7]
	;;#ASMEND
	;;#ASMSTART
	v_pk_mul_f32 v[28:29], v[28:29], v[8:9]
	;;#ASMEND
	;; [unrolled: 3-line block ×4, first 2 shown]
.LBB637_9:
	s_or_b64 exec, exec, s[8:9]
	s_load_dword s7, s[4:5], 0x80
	s_mov_b64 s[8:9], -1
	s_and_b64 vcc, exec, s[14:15]
	s_cbranch_vccnz .LBB637_13
; %bb.10:
	s_andn2_b64 vcc, exec, s[8:9]
	s_cbranch_vccz .LBB637_16
.LBB637_11:
	s_cmp_lt_i32 s20, 1
	s_cbranch_scc0 .LBB637_25
.LBB637_12:
	s_endpgm
.LBB637_13:
	s_and_saveexec_b64 s[14:15], s[2:3]
	s_cbranch_execz .LBB637_15
; %bb.14:
	s_waitcnt lgkmcnt(0)
	s_mul_hi_i32 s9, s7, s6
	s_mul_i32 s8, s7, s6
	s_waitcnt vmcnt(0)
	v_cvt_f16_f32_e32 v2, v18
	v_cvt_f16_f32_e32 v3, v32
	;; [unrolled: 1-line block ×8, first 2 shown]
	s_lshl_b64 s[8:9], s[8:9], 1
	s_add_u32 s8, s28, s8
	s_addc_u32 s9, s29, s9
	s_and_b32 s9, s9, 0xffff
	s_mov_b32 s11, 0x20000
	v_pack_b32_f16 v5, v5, v6
	v_pack_b32_f16 v4, v4, v7
	;; [unrolled: 1-line block ×4, first 2 shown]
	v_lshlrev_b32_e32 v6, 5, v0
	buffer_store_dwordx4 v[2:5], v6, s[8:11], 0 offen
	v_cvt_f16_f32_e32 v7, v21
	v_cvt_f16_f32_e32 v2, v30
	;; [unrolled: 1-line block ×8, first 2 shown]
	v_pack_b32_f16 v5, v5, v7
	v_pack_b32_f16 v4, v4, v8
	;; [unrolled: 1-line block ×4, first 2 shown]
	;;#ASMSTART
	s_nop 0
	;;#ASMEND
	buffer_store_dwordx4 v[2:5], v6, s[8:11], 16 offen
	;;#ASMSTART
	s_nop 0
	;;#ASMEND
.LBB637_15:
	s_or_b64 exec, exec, s[14:15]
	s_cbranch_execnz .LBB637_11
.LBB637_16:
	s_load_dwordx4 s[24:27], s[4:5], 0x70
	s_waitcnt vmcnt(0)
	v_mov_b32_e32 v2, 0
	s_and_saveexec_b64 s[14:15], s[2:3]
	s_cbranch_execz .LBB637_18
; %bb.17:
	s_load_dwordx2 s[8:9], s[4:5], 0x10
	s_waitcnt lgkmcnt(0)
	s_mul_hi_i32 s35, s27, s6
	s_mul_i32 s34, s27, s6
	v_cvt_f16_f32_e32 v2, v18
	v_cvt_f16_f32_e32 v3, v32
	;; [unrolled: 1-line block ×8, first 2 shown]
	s_lshl_b64 s[34:35], s[34:35], 1
	s_add_u32 s8, s8, s34
	s_addc_u32 s9, s9, s35
	s_mov_b32 s11, 0x20000
	s_and_b32 s9, s9, 0xffff
	v_pack_b32_f16 v5, v5, v6
	v_pack_b32_f16 v4, v4, v7
	v_pack_b32_f16 v3, v3, v8
	v_pack_b32_f16 v2, v2, v9
	v_lshlrev_b32_e32 v6, 5, v0
	buffer_store_dwordx4 v[2:5], v6, s[8:11], 0 offen
	v_cvt_f16_f32_e32 v7, v21
	v_cvt_f16_f32_e32 v2, v30
	;; [unrolled: 1-line block ×8, first 2 shown]
	v_pack_b32_f16 v5, v5, v7
	v_pack_b32_f16 v4, v4, v8
	;; [unrolled: 1-line block ×4, first 2 shown]
	;;#ASMSTART
	s_nop 0
	;;#ASMEND
	buffer_store_dwordx4 v[2:5], v6, s[8:11], 16 offen
	;;#ASMSTART
	s_nop 0
	;;#ASMEND
	s_nop 0
	v_mov_b32_e32 v2, 0x2edbe6ff
.LBB637_18:
	s_or_b64 exec, exec, s[14:15]
	s_and_saveexec_b64 s[8:9], s[2:3]
	s_cbranch_execz .LBB637_20
; %bb.19:
	v_and_b32_e32 v3, 0x7fffffff, v18
	v_and_b32_e32 v4, 0x7fffffff, v19
	;;#ASMSTART
	v_max3_f32 v2, v2, v3, v4

	;;#ASMEND
	v_and_b32_e32 v3, 0x7fffffff, v32
	v_and_b32_e32 v4, 0x7fffffff, v33
	;;#ASMSTART
	v_max3_f32 v2, v2, v3, v4

	;;#ASMEND
	;; [unrolled: 6-line block ×8, first 2 shown]
.LBB637_20:
	s_or_b64 exec, exec, s[8:9]
	;;#ASMSTART
	v_max_f32 v3, v2, v2 quad_perm:[1,0,3,2] row_mask:0xf bank_mask:0xf bound_ctrl:1
	;;#ASMEND
	;;#ASMSTART
	v_max_f32 v2, v3, v3 quad_perm:[2,3,0,1] row_mask:0xf bank_mask:0xf bound_ctrl:1
	;;#ASMEND
	;;#ASMSTART
	v_max_f32 v3, v2, v2 row_half_mirror row_mask:0xf bank_mask:0xf bound_ctrl:1
	;;#ASMEND
	v_mul_f32_e32 v2, 0x3b124925, v3
	v_and_b32_e32 v3, 7, v0
	v_cmp_eq_u32_e32 vcc, 0, v3
	v_cmp_gt_i32_e64 s[8:9], s19, v1
	s_and_b64 s[10:11], vcc, s[8:9]
	s_and_saveexec_b64 s[8:9], s[10:11]
	s_cbranch_execz .LBB637_22
; %bb.21:
	s_load_dwordx2 s[10:11], s[4:5], 0x8
	s_waitcnt lgkmcnt(0)
	s_mul_hi_i32 s15, s25, s6
	s_mul_i32 s14, s25, s6
	v_lshrrev_b32_e32 v3, 3, v0
	s_lshl_b64 s[14:15], s[14:15], 2
	v_mad_i64_i32 v[4:5], s[26:27], s26, v3, 0
	s_add_u32 s10, s10, s14
	s_addc_u32 s11, s11, s15
	v_lshlrev_b64 v[4:5], 2, v[4:5]
	v_mov_b32_e32 v3, s11
	v_add_co_u32_e32 v4, vcc, s10, v4
	v_addc_co_u32_e32 v5, vcc, v3, v5, vcc
	global_store_dword v[4:5], v2, off
.LBB637_22:
	s_or_b64 exec, exec, s[8:9]
	;;#ASMSTART
	v_rcp_f32 v2, v2
	;;#ASMEND
	s_and_saveexec_b64 s[14:15], s[2:3]
	s_cbranch_execz .LBB637_24
; %bb.23:
	s_load_dwordx2 s[2:3], s[4:5], 0x0
	s_waitcnt lgkmcnt(0)
	s_mul_i32 s8, s24, s6
	s_mul_hi_i32 s9, s24, s6
	v_mov_b32_e32 v3, v2
	;;#ASMSTART
	v_pk_mul_f32 v[4:5], v[18:19], v[2:3]
	;;#ASMEND
	s_add_u32 s8, s2, s8
	s_addc_u32 s2, s3, s9
	s_add_i32 s3, s19, 3
	s_ashr_i32 s10, s3, 31
	v_mov_b32_e32 v10, 0xc3e00000
	v_mov_b32_e32 v11, 0x43e00000
	;;#ASMSTART
	v_med3_f32 v4, v4, v10, v11
v_med3_f32 v5, v5, v10, v11
v_cvt_pk_fp8_f32 v6, v4, v5
	;;#ASMEND
	s_and_b32 s9, s2, 0xffff
	s_lshr_b32 s2, s10, 30
	;;#ASMSTART
	v_pk_mul_f32 v[4:5], v[32:33], v[2:3]
	;;#ASMEND
	s_add_i32 s3, s3, s2
	;;#ASMSTART
	v_med3_f32 v4, v4, v10, v11
v_med3_f32 v5, v5, v10, v11
v_cvt_pk_fp8_f32 v7, v4, v5
	;;#ASMEND
	s_mov_b32 s2, 0x5040100
	v_perm_b32 v4, v7, v6, s2
	s_mov_b32 s2, 0x1060504
	v_perm_b32 v4, v4, v7, s2
	;;#ASMSTART
	v_pk_mul_f32 v[6:7], v[26:27], v[2:3]
	;;#ASMEND
	v_mov_b32_e32 v5, v6
	;;#ASMSTART
	v_med3_f32 v5, v5, v10, v11
v_med3_f32 v7, v7, v10, v11
v_cvt_pk_fp8_f32 v8, v5, v7
	;;#ASMEND
	;;#ASMSTART
	v_pk_mul_f32 v[6:7], v[24:25], v[2:3]
	;;#ASMEND
	v_mov_b32_e32 v5, v7
	;;#ASMSTART
	v_med3_f32 v6, v6, v10, v11
v_med3_f32 v5, v5, v10, v11
v_cvt_pk_fp8_f32 v7, v6, v5
	;;#ASMEND
	s_mov_b32 s2, 0x1000504
	v_perm_b32 v5, v8, v7, s2
	;;#ASMSTART
	v_pk_mul_f32 v[6:7], v[30:31], v[2:3]
	;;#ASMEND
	;;#ASMSTART
	v_med3_f32 v6, v6, v10, v11
v_med3_f32 v7, v7, v10, v11
v_cvt_pk_fp8_f32 v8, v6, v7
	;;#ASMEND
	;;#ASMSTART
	v_pk_mul_f32 v[6:7], v[28:29], v[2:3]
	;;#ASMEND
	;;#ASMSTART
	v_med3_f32 v6, v6, v10, v11
v_med3_f32 v7, v7, v10, v11
v_cvt_pk_fp8_f32 v9, v6, v7
	;;#ASMEND
	v_perm_b32 v6, v8, v9, s2
	;;#ASMSTART
	v_pk_mul_f32 v[8:9], v[22:23], v[2:3]
	;;#ASMEND
	v_mov_b32_e32 v7, v8
	;;#ASMSTART
	v_med3_f32 v7, v7, v10, v11
v_med3_f32 v9, v9, v10, v11
v_cvt_pk_fp8_f32 v8, v7, v9
	;;#ASMEND
	;;#ASMSTART
	v_pk_mul_f32 v[2:3], v[20:21], v[2:3]
	;;#ASMEND
	;;#ASMSTART
	v_med3_f32 v2, v2, v10, v11
v_med3_f32 v3, v3, v10, v11
v_cvt_pk_fp8_f32 v7, v2, v3
	;;#ASMEND
	s_and_b32 s10, s3, -4
	s_mov_b32 s11, 0x20000
	v_perm_b32 v7, v8, v7, s2
	buffer_store_dwordx4 v[4:7], v1, s[8:11], 0 offen
	;;#ASMSTART
	s_nop 0
	;;#ASMEND
.LBB637_24:
	s_or_b64 exec, exec, s[14:15]
	s_cmp_lt_i32 s20, 1
	s_cbranch_scc1 .LBB637_12
.LBB637_25:
	s_load_dword s2, s[4:5], 0x94
	s_waitcnt lgkmcnt(0)
	s_cmp_lg_u32 s2, 1
	s_cbranch_scc1 .LBB637_12
; %bb.26:
	s_lshl_b32 s2, s20, 1
	s_add_i32 s2, s2, 2
	v_cmp_gt_u32_e32 vcc, s20, v1
	s_and_b32 s14, s2, -4
	v_mov_b32_e32 v18, 0
	v_lshlrev_b32_e32 v1, 5, v0
	v_mov_b32_e32 v14, 0
	v_mov_b32_e32 v15, 0
	;; [unrolled: 1-line block ×8, first 2 shown]
	s_waitcnt vmcnt(1)
	v_mov_b32_e32 v6, 0
	v_mov_b32_e32 v7, 0
	;; [unrolled: 1-line block ×4, first 2 shown]
	s_waitcnt vmcnt(0)
	v_mov_b32_e32 v2, 0
	v_mov_b32_e32 v3, 0
	;; [unrolled: 1-line block ×4, first 2 shown]
	s_barrier
	s_and_saveexec_b64 s[2:3], vcc
	s_cbranch_execz .LBB637_28
; %bb.27:
	s_mul_hi_i32 s5, s22, s6
	s_mul_i32 s4, s22, s6
	s_and_b32 s13, s13, 0xffff
	s_lshl_b64 s[4:5], s[4:5], 1
	s_add_u32 s8, s30, s4
	s_mov_b32 s15, 0x20000
	s_addc_u32 s4, s31, s5
	s_and_b32 s9, s4, 0xffff
	s_mov_b32 s10, s14
	s_mov_b32 s11, s15
	buffer_load_dwordx4 v[14:17], v1, s[8:11], 0 offen
	buffer_load_dwordx4 v[10:13], v1, s[8:11], 16 offen
	;; [unrolled: 1-line block ×4, first 2 shown]
.LBB637_28:
	s_or_b64 exec, exec, s[2:3]
	v_mov_b32_e32 v19, 0
	v_mov_b32_e32 v32, 0
	;; [unrolled: 1-line block ×15, first 2 shown]
	s_and_saveexec_b64 s[2:3], vcc
	s_cbranch_execz .LBB637_30
; %bb.29:
	s_waitcnt vmcnt(3)
	v_cvt_f32_f16_sdwa v19, v14 dst_sel:DWORD dst_unused:UNUSED_PAD src0_sel:WORD_1
	v_cvt_f32_f16_e32 v18, v14
	v_cvt_f32_f16_sdwa v33, v15 dst_sel:DWORD dst_unused:UNUSED_PAD src0_sel:WORD_1
	v_cvt_f32_f16_e32 v32, v15
	;; [unrolled: 2-line block ×4, first 2 shown]
	s_waitcnt vmcnt(2)
	v_cvt_f32_f16_sdwa v27, v10 dst_sel:DWORD dst_unused:UNUSED_PAD src0_sel:WORD_1
	v_cvt_f32_f16_e32 v26, v10
	v_cvt_f32_f16_sdwa v25, v11 dst_sel:DWORD dst_unused:UNUSED_PAD src0_sel:WORD_1
	v_cvt_f32_f16_e32 v24, v11
	;; [unrolled: 2-line block ×4, first 2 shown]
.LBB637_30:
	s_or_b64 exec, exec, s[2:3]
	s_waitcnt vmcnt(2)
	v_mul_f32_e32 v10, v19, v19
	v_fmac_f32_e32 v10, v18, v18
	v_fmac_f32_e32 v10, v32, v32
	;; [unrolled: 1-line block ×15, first 2 shown]
	s_nop 1
	v_mov_b32_dpp v11, v10 quad_perm:[1,0,3,2] row_mask:0xf bank_mask:0xf
	v_add_f32_e32 v10, v10, v11
	s_nop 1
	v_mov_b32_dpp v11, v10 quad_perm:[2,3,0,1] row_mask:0xf bank_mask:0xf
	v_add_f32_e32 v10, v10, v11
	s_nop 1
	v_mov_b32_dpp v11, v10 row_half_mirror row_mask:0xf bank_mask:0xf
	v_add_f32_e32 v10, v10, v11
	s_nop 1
	v_mov_b32_dpp v11, v10 row_mirror row_mask:0xf bank_mask:0xf
	v_add_f32_e32 v10, v10, v11
	s_nop 1
	v_mov_b32_dpp v11, v10 row_bcast:15 row_mask:0xf bank_mask:0xf
	v_add_f32_e32 v10, v10, v11
	s_nop 1
	v_mov_b32_dpp v11, v10 row_bcast:31 row_mask:0xf bank_mask:0xf
	s_and_saveexec_b64 s[2:3], s[0:1]
	s_cbranch_execz .LBB637_32
; %bb.31:
	v_lshrrev_b32_e32 v0, 4, v0
	v_add_f32_e32 v10, v10, v11
	v_and_b32_e32 v0, 60, v0
	ds_write_b32 v0, v10
.LBB637_32:
	s_or_b64 exec, exec, s[2:3]
	s_waitcnt lgkmcnt(0)
	s_barrier
	ds_read_b32 v0, v34
	s_waitcnt lgkmcnt(0)
	s_nop 0
	v_mov_b32_dpp v10, v0 quad_perm:[1,0,3,2] row_mask:0xf bank_mask:0xf
	s_and_saveexec_b64 s[0:1], vcc
	s_cbranch_execz .LBB637_12
; %bb.33:
	v_cvt_f32_u32_e32 v11, s20
	v_add_f32_e32 v0, v0, v10
	s_mov_b32 s15, 0x20000
	v_div_scale_f32 v10, s[0:1], v11, v11, v0
	v_rcp_f32_e32 v12, v10
	v_div_scale_f32 v13, vcc, v0, v11, v0
	s_mov_b32 s0, 0x800000
	v_fma_f32 v14, -v10, v12, 1.0
	v_fmac_f32_e32 v12, v14, v12
	v_mul_f32_e32 v14, v13, v12
	v_fma_f32 v15, -v10, v14, v13
	v_fmac_f32_e32 v14, v15, v12
	v_fma_f32 v10, -v10, v14, v13
	v_div_fmas_f32 v10, v10, v12, v14
	v_div_fixup_f32 v0, v10, v11, v0
	v_add_f32_e32 v0, s17, v0
	v_mul_f32_e32 v10, 0x4b800000, v0
	v_cmp_gt_f32_e32 vcc, s0, v0
	v_cndmask_b32_e32 v0, v0, v10, vcc
	v_rsq_f32_e32 v0, v0
	s_mul_hi_i32 s1, s7, s6
	s_mul_i32 s0, s7, s6
	s_lshl_b64 s[0:1], s[0:1], 1
	v_mul_f32_e32 v10, 0x45800000, v0
	v_cndmask_b32_e32 v10, v0, v10, vcc
	v_mov_b32_e32 v11, v10
	;;#ASMSTART
	v_pk_mul_f32 v[12:13], v[18:19], v[10:11]
	;;#ASMEND
	;;#ASMSTART
	v_pk_mul_f32 v[14:15], v[32:33], v[10:11]
	;;#ASMEND
	;; [unrolled: 3-line block ×8, first 2 shown]
	s_waitcnt vmcnt(1)
	v_cvt_f32_f16_sdwa v21, v6 dst_sel:DWORD dst_unused:UNUSED_PAD src0_sel:WORD_1
	v_cvt_f32_f16_e32 v20, v6
	v_cvt_f32_f16_sdwa v29, v7 dst_sel:DWORD dst_unused:UNUSED_PAD src0_sel:WORD_1
	v_cvt_f32_f16_e32 v28, v7
	;; [unrolled: 2-line block ×4, first 2 shown]
	;;#ASMSTART
	v_pk_mul_f32 v[8:9], v[12:13], v[20:21]
	;;#ASMEND
	;;#ASMSTART
	v_pk_mul_f32 v[12:13], v[14:15], v[28:29]
	;;#ASMEND
	;; [unrolled: 3-line block ×4, first 2 shown]
	s_waitcnt vmcnt(0)
	v_cvt_f32_f16_sdwa v17, v2 dst_sel:DWORD dst_unused:UNUSED_PAD src0_sel:WORD_1
	v_cvt_f32_f16_e32 v16, v2
	v_cvt_f32_f16_sdwa v19, v3 dst_sel:DWORD dst_unused:UNUSED_PAD src0_sel:WORD_1
	v_cvt_f32_f16_e32 v18, v3
	v_cvt_f32_f16_sdwa v3, v4 dst_sel:DWORD dst_unused:UNUSED_PAD src0_sel:WORD_1
	v_cvt_f32_f16_e32 v2, v4
	v_cvt_f32_f16_sdwa v21, v5 dst_sel:DWORD dst_unused:UNUSED_PAD src0_sel:WORD_1
	v_cvt_f32_f16_e32 v20, v5
	;;#ASMSTART
	v_pk_mul_f32 v[16:17], v[26:27], v[16:17]
	;;#ASMEND
	;;#ASMSTART
	v_pk_mul_f32 v[18:19], v[24:25], v[18:19]
	;;#ASMEND
	;; [unrolled: 3-line block ×3, first 2 shown]
	v_cvt_f16_f32_e32 v0, v8
	v_cvt_f16_f32_e32 v2, v9
	;; [unrolled: 1-line block ×8, first 2 shown]
	s_add_u32 s12, s28, s0
	s_addc_u32 s0, s29, s1
	s_and_b32 s13, s0, 0xffff
	v_pack_b32_f16 v2, v0, v2
	v_pack_b32_f16 v3, v3, v4
	;; [unrolled: 1-line block ×4, first 2 shown]
	;;#ASMSTART
	v_pk_mul_f32 v[10:11], v[10:11], v[20:21]
	;;#ASMEND
	buffer_store_dwordx4 v[2:5], v1, s[12:15], 0 offen
	v_cvt_f16_f32_e32 v0, v16
	v_cvt_f16_f32_e32 v2, v17
	;; [unrolled: 1-line block ×8, first 2 shown]
	v_pack_b32_f16 v2, v0, v2
	v_pack_b32_f16 v3, v3, v4
	;; [unrolled: 1-line block ×4, first 2 shown]
	;;#ASMSTART
	s_nop 0
	;;#ASMEND
	buffer_store_dwordx4 v[2:5], v1, s[12:15], 16 offen
	;;#ASMSTART
	s_nop 0
	;;#ASMEND
	s_endpgm
	.section	.rodata,"a",@progbits
	.p2align	6, 0x0
	.amdhsa_kernel _ZN5aiter35fused_qk_rmsnorm_group_quant_kernelIDF16_DB8_Li128ELi16ELi8ELb0ELb1ELb0ELb0ELb0ELb0EEEvPT0_PvPT_S6_S6_PKS5_S8_S8_S8_S8_ffiiiiiiiiiiiii
		.amdhsa_group_segment_fixed_size 16
		.amdhsa_private_segment_fixed_size 0
		.amdhsa_kernarg_size 400
		.amdhsa_user_sgpr_count 6
		.amdhsa_user_sgpr_private_segment_buffer 1
		.amdhsa_user_sgpr_dispatch_ptr 0
		.amdhsa_user_sgpr_queue_ptr 0
		.amdhsa_user_sgpr_kernarg_segment_ptr 1
		.amdhsa_user_sgpr_dispatch_id 0
		.amdhsa_user_sgpr_flat_scratch_init 0
		.amdhsa_user_sgpr_kernarg_preload_length 0
		.amdhsa_user_sgpr_kernarg_preload_offset 0
		.amdhsa_user_sgpr_private_segment_size 0
		.amdhsa_uses_dynamic_stack 0
		.amdhsa_system_sgpr_private_segment_wavefront_offset 0
		.amdhsa_system_sgpr_workgroup_id_x 1
		.amdhsa_system_sgpr_workgroup_id_y 1
		.amdhsa_system_sgpr_workgroup_id_z 0
		.amdhsa_system_sgpr_workgroup_info 0
		.amdhsa_system_vgpr_workitem_id 0
		.amdhsa_next_free_vgpr 38
		.amdhsa_next_free_sgpr 36
		.amdhsa_accum_offset 40
		.amdhsa_reserve_vcc 1
		.amdhsa_reserve_flat_scratch 0
		.amdhsa_float_round_mode_32 0
		.amdhsa_float_round_mode_16_64 0
		.amdhsa_float_denorm_mode_32 3
		.amdhsa_float_denorm_mode_16_64 3
		.amdhsa_dx10_clamp 1
		.amdhsa_ieee_mode 1
		.amdhsa_fp16_overflow 0
		.amdhsa_tg_split 0
		.amdhsa_exception_fp_ieee_invalid_op 0
		.amdhsa_exception_fp_denorm_src 0
		.amdhsa_exception_fp_ieee_div_zero 0
		.amdhsa_exception_fp_ieee_overflow 0
		.amdhsa_exception_fp_ieee_underflow 0
		.amdhsa_exception_fp_ieee_inexact 0
		.amdhsa_exception_int_div_zero 0
	.end_amdhsa_kernel
	.section	.text._ZN5aiter35fused_qk_rmsnorm_group_quant_kernelIDF16_DB8_Li128ELi16ELi8ELb0ELb1ELb0ELb0ELb0ELb0EEEvPT0_PvPT_S6_S6_PKS5_S8_S8_S8_S8_ffiiiiiiiiiiiii,"axG",@progbits,_ZN5aiter35fused_qk_rmsnorm_group_quant_kernelIDF16_DB8_Li128ELi16ELi8ELb0ELb1ELb0ELb0ELb0ELb0EEEvPT0_PvPT_S6_S6_PKS5_S8_S8_S8_S8_ffiiiiiiiiiiiii,comdat
.Lfunc_end637:
	.size	_ZN5aiter35fused_qk_rmsnorm_group_quant_kernelIDF16_DB8_Li128ELi16ELi8ELb0ELb1ELb0ELb0ELb0ELb0EEEvPT0_PvPT_S6_S6_PKS5_S8_S8_S8_S8_ffiiiiiiiiiiiii, .Lfunc_end637-_ZN5aiter35fused_qk_rmsnorm_group_quant_kernelIDF16_DB8_Li128ELi16ELi8ELb0ELb1ELb0ELb0ELb0ELb0EEEvPT0_PvPT_S6_S6_PKS5_S8_S8_S8_S8_ffiiiiiiiiiiiii
                                        ; -- End function
	.section	.AMDGPU.csdata,"",@progbits
; Kernel info:
; codeLenInByte = 3624
; NumSgprs: 40
; NumVgprs: 38
; NumAgprs: 0
; TotalNumVgprs: 38
; ScratchSize: 0
; MemoryBound: 0
; FloatMode: 240
; IeeeMode: 1
; LDSByteSize: 16 bytes/workgroup (compile time only)
; SGPRBlocks: 4
; VGPRBlocks: 4
; NumSGPRsForWavesPerEU: 40
; NumVGPRsForWavesPerEU: 38
; AccumOffset: 40
; Occupancy: 8
; WaveLimiterHint : 0
; COMPUTE_PGM_RSRC2:SCRATCH_EN: 0
; COMPUTE_PGM_RSRC2:USER_SGPR: 6
; COMPUTE_PGM_RSRC2:TRAP_HANDLER: 0
; COMPUTE_PGM_RSRC2:TGID_X_EN: 1
; COMPUTE_PGM_RSRC2:TGID_Y_EN: 1
; COMPUTE_PGM_RSRC2:TGID_Z_EN: 0
; COMPUTE_PGM_RSRC2:TIDIG_COMP_CNT: 0
; COMPUTE_PGM_RSRC3_GFX90A:ACCUM_OFFSET: 9
; COMPUTE_PGM_RSRC3_GFX90A:TG_SPLIT: 0
	.section	.text._ZN5aiter35fused_qk_rmsnorm_group_quant_kernelItDB8_Li128ELi16ELi8ELb0ELb1ELb0ELb0ELb0ELb0EEEvPT0_PvPT_S6_S6_PKS5_S8_S8_S8_S8_ffiiiiiiiiiiiii,"axG",@progbits,_ZN5aiter35fused_qk_rmsnorm_group_quant_kernelItDB8_Li128ELi16ELi8ELb0ELb1ELb0ELb0ELb0ELb0EEEvPT0_PvPT_S6_S6_PKS5_S8_S8_S8_S8_ffiiiiiiiiiiiii,comdat
	.protected	_ZN5aiter35fused_qk_rmsnorm_group_quant_kernelItDB8_Li128ELi16ELi8ELb0ELb1ELb0ELb0ELb0ELb0EEEvPT0_PvPT_S6_S6_PKS5_S8_S8_S8_S8_ffiiiiiiiiiiiii ; -- Begin function _ZN5aiter35fused_qk_rmsnorm_group_quant_kernelItDB8_Li128ELi16ELi8ELb0ELb1ELb0ELb0ELb0ELb0EEEvPT0_PvPT_S6_S6_PKS5_S8_S8_S8_S8_ffiiiiiiiiiiiii
	.globl	_ZN5aiter35fused_qk_rmsnorm_group_quant_kernelItDB8_Li128ELi16ELi8ELb0ELb1ELb0ELb0ELb0ELb0EEEvPT0_PvPT_S6_S6_PKS5_S8_S8_S8_S8_ffiiiiiiiiiiiii
	.p2align	8
	.type	_ZN5aiter35fused_qk_rmsnorm_group_quant_kernelItDB8_Li128ELi16ELi8ELb0ELb1ELb0ELb0ELb0ELb0EEEvPT0_PvPT_S6_S6_PKS5_S8_S8_S8_S8_ffiiiiiiiiiiiii,@function
_ZN5aiter35fused_qk_rmsnorm_group_quant_kernelItDB8_Li128ELi16ELi8ELb0ELb1ELb0ELb0ELb0ELb0EEEvPT0_PvPT_S6_S6_PKS5_S8_S8_S8_S8_ffiiiiiiiiiiiii: ; @_ZN5aiter35fused_qk_rmsnorm_group_quant_kernelItDB8_Li128ELi16ELi8ELb0ELb1ELb0ELb0ELb0ELb0EEEvPT0_PvPT_S6_S6_PKS5_S8_S8_S8_S8_ffiiiiiiiiiiiii
; %bb.0:
	s_load_dwordx4 s[16:19], s[4:5], 0x50
	s_waitcnt lgkmcnt(0)
	s_cmp_ge_i32 s6, s18
	s_cbranch_scc1 .LBB638_12
; %bb.1:
	s_load_dwordx2 s[12:13], s[4:5], 0x48
	s_load_dwordx2 s[30:31], s[4:5], 0x30
	s_load_dwordx4 s[20:23], s[4:5], 0x60
	s_cmp_lg_u32 s7, 0
	s_cselect_b64 s[14:15], -1, 0
	s_cmp_eq_u32 s7, 0
	s_cselect_b64 vcc, -1, 0
	s_and_b64 s[0:1], vcc, exec
	s_waitcnt lgkmcnt(0)
	s_cselect_b32 s7, s19, s20
	s_add_i32 s0, s7, 1
	s_lshr_b32 s1, s0, 31
	s_add_i32 s0, s0, s1
	s_lshl_b32 s0, s0, 1
	v_lshlrev_b32_e32 v1, 4, v0
	s_and_b32 s10, s0, -4
	v_cmp_gt_i32_e64 s[2:3], s7, v1
	v_mov_b32_e32 v18, 0
	v_mov_b32_e32 v6, 0
	;; [unrolled: 1-line block ×17, first 2 shown]
	s_and_saveexec_b64 s[0:1], s[2:3]
	s_cbranch_execz .LBB638_3
; %bb.2:
	s_load_dwordx2 s[8:9], s[4:5], 0x28
	s_load_dwordx2 s[26:27], s[4:5], 0x40
	s_and_b64 s[24:25], vcc, exec
	s_cselect_b32 s11, s21, s22
	v_lshlrev_b32_e32 v19, 5, v0
	s_waitcnt lgkmcnt(0)
	s_cselect_b32 s18, s9, s31
	s_cselect_b32 s21, s8, s30
	s_mul_hi_i32 s9, s11, s6
	s_mul_i32 s8, s11, s6
	s_lshl_b64 s[8:9], s[8:9], 1
	s_add_u32 s24, s21, s8
	s_addc_u32 s18, s18, s9
	s_and_b64 s[8:9], vcc, exec
	s_mov_b32 s11, 0x20000
	s_cselect_b32 s8, s26, s12
	s_cselect_b32 s9, s27, s13
	s_and_b32 s25, s18, 0xffff
	s_mov_b32 s26, s10
	s_mov_b32 s27, s11
	s_and_b32 s9, s9, 0xffff
	buffer_load_dwordx4 v[14:17], v19, s[24:27], 0 offen
	buffer_load_dwordx4 v[10:13], v19, s[24:27], 16 offen
	;; [unrolled: 1-line block ×4, first 2 shown]
.LBB638_3:
	s_or_b64 exec, exec, s[0:1]
	v_mov_b32_e32 v19, 0
	v_mov_b32_e32 v32, 0
	;; [unrolled: 1-line block ×15, first 2 shown]
	s_and_saveexec_b64 s[0:1], s[2:3]
	s_cbranch_execz .LBB638_5
; %bb.4:
	s_waitcnt vmcnt(3)
	v_cvt_f32_u32_sdwa v18, v14 dst_sel:DWORD dst_unused:UNUSED_PAD src0_sel:WORD_0
	v_cvt_f32_u32_sdwa v19, v14 dst_sel:DWORD dst_unused:UNUSED_PAD src0_sel:WORD_1
	v_cvt_f32_u32_sdwa v32, v15 dst_sel:DWORD dst_unused:UNUSED_PAD src0_sel:WORD_0
	v_cvt_f32_u32_sdwa v33, v15 dst_sel:DWORD dst_unused:UNUSED_PAD src0_sel:WORD_1
	;; [unrolled: 2-line block ×4, first 2 shown]
	s_waitcnt vmcnt(2)
	v_cvt_f32_u32_sdwa v30, v10 dst_sel:DWORD dst_unused:UNUSED_PAD src0_sel:WORD_0
	v_cvt_f32_u32_sdwa v31, v10 dst_sel:DWORD dst_unused:UNUSED_PAD src0_sel:WORD_1
	v_cvt_f32_u32_sdwa v28, v11 dst_sel:DWORD dst_unused:UNUSED_PAD src0_sel:WORD_0
	v_cvt_f32_u32_sdwa v29, v11 dst_sel:DWORD dst_unused:UNUSED_PAD src0_sel:WORD_1
	;; [unrolled: 2-line block ×4, first 2 shown]
.LBB638_5:
	s_or_b64 exec, exec, s[0:1]
	s_waitcnt vmcnt(2)
	v_mul_f32_e32 v10, v19, v19
	v_fmac_f32_e32 v10, v18, v18
	v_fmac_f32_e32 v10, v32, v32
	;; [unrolled: 1-line block ×15, first 2 shown]
	v_and_b32_e32 v12, 63, v0
	v_cmp_eq_u32_e64 s[0:1], 63, v12
	v_mov_b32_dpp v11, v10 quad_perm:[1,0,3,2] row_mask:0xf bank_mask:0xf
	v_add_f32_e32 v10, v10, v11
	s_nop 1
	v_mov_b32_dpp v11, v10 quad_perm:[2,3,0,1] row_mask:0xf bank_mask:0xf
	v_add_f32_e32 v10, v10, v11
	s_nop 1
	v_mov_b32_dpp v11, v10 row_half_mirror row_mask:0xf bank_mask:0xf
	v_add_f32_e32 v10, v10, v11
	s_nop 1
	v_mov_b32_dpp v11, v10 row_mirror row_mask:0xf bank_mask:0xf
	v_add_f32_e32 v10, v10, v11
	s_nop 1
	v_mov_b32_dpp v11, v10 row_bcast:15 row_mask:0xf bank_mask:0xf
	v_add_f32_e32 v10, v10, v11
	s_nop 1
	v_mov_b32_dpp v11, v10 row_bcast:31 row_mask:0xf bank_mask:0xf
	s_and_saveexec_b64 s[8:9], s[0:1]
	s_cbranch_execz .LBB638_7
; %bb.6:
	v_add_f32_e32 v10, v10, v11
	v_lshrrev_b32_e32 v11, 4, v0
	v_and_b32_e32 v11, 60, v11
	ds_write_b32 v11, v10 offset:8
.LBB638_7:
	s_or_b64 exec, exec, s[8:9]
	v_and_b32_e32 v10, 1, v0
	v_lshlrev_b32_e32 v34, 2, v10
	s_waitcnt lgkmcnt(0)
	s_barrier
	ds_read_b32 v10, v34 offset:8
	s_load_dwordx2 s[28:29], s[4:5], 0x18
	s_waitcnt lgkmcnt(0)
	v_mov_b32_dpp v11, v10 quad_perm:[1,0,3,2] row_mask:0xf bank_mask:0xf
	s_and_saveexec_b64 s[8:9], s[2:3]
	s_cbranch_execz .LBB638_9
; %bb.8:
	v_cvt_f32_u32_e32 v12, s7
	v_add_f32_e32 v10, v10, v11
	v_mov_b32_e32 v14, s17
	v_mov_b32_e32 v15, s16
	v_div_scale_f32 v11, s[24:25], v12, v12, v10
	v_rcp_f32_e32 v13, v11
	v_cndmask_b32_e32 v14, v14, v15, vcc
	s_mov_b32 s7, 0x800000
	s_waitcnt vmcnt(1)
	v_cvt_f32_u32_sdwa v37, v9 dst_sel:DWORD dst_unused:UNUSED_PAD src0_sel:WORD_1
	v_fma_f32 v15, -v11, v13, 1.0
	v_fmac_f32_e32 v13, v15, v13
	v_div_scale_f32 v15, vcc, v10, v12, v10
	v_mul_f32_e32 v16, v15, v13
	v_fma_f32 v17, -v11, v16, v15
	v_fmac_f32_e32 v16, v17, v13
	v_fma_f32 v11, -v11, v16, v15
	v_div_fmas_f32 v11, v11, v13, v16
	v_div_fixup_f32 v10, v11, v12, v10
	v_add_f32_e32 v10, v14, v10
	v_mul_f32_e32 v11, 0x4b800000, v10
	v_cmp_gt_f32_e32 vcc, s7, v10
	v_cndmask_b32_e32 v10, v10, v11, vcc
	v_rsq_f32_e32 v10, v10
	v_cvt_f32_u32_sdwa v36, v9 dst_sel:DWORD dst_unused:UNUSED_PAD src0_sel:WORD_0
	s_waitcnt vmcnt(0)
	v_cvt_f32_u32_sdwa v9, v3 dst_sel:DWORD dst_unused:UNUSED_PAD src0_sel:WORD_1
	v_mul_f32_e32 v11, 0x45800000, v10
	v_cndmask_b32_e32 v10, v10, v11, vcc
	v_mov_b32_e32 v11, v10
	;;#ASMSTART
	v_pk_mul_f32 v[12:13], v[18:19], v[10:11]
	;;#ASMEND
	;;#ASMSTART
	v_pk_mul_f32 v[14:15], v[32:33], v[10:11]
	;;#ASMEND
	;; [unrolled: 3-line block ×8, first 2 shown]
	v_cvt_f32_u32_sdwa v19, v6 dst_sel:DWORD dst_unused:UNUSED_PAD src0_sel:WORD_1
	v_cvt_f32_u32_sdwa v18, v6 dst_sel:DWORD dst_unused:UNUSED_PAD src0_sel:WORD_0
	v_cvt_f32_u32_sdwa v21, v7 dst_sel:DWORD dst_unused:UNUSED_PAD src0_sel:WORD_1
	v_cvt_f32_u32_sdwa v20, v7 dst_sel:DWORD dst_unused:UNUSED_PAD src0_sel:WORD_0
	;; [unrolled: 2-line block ×3, first 2 shown]
	;;#ASMSTART
	v_pk_mul_f32 v[18:19], v[12:13], v[18:19]
	;;#ASMEND
	;;#ASMSTART
	v_pk_mul_f32 v[32:33], v[14:15], v[20:21]
	;;#ASMEND
	;; [unrolled: 3-line block ×4, first 2 shown]
	v_cvt_f32_u32_sdwa v7, v2 dst_sel:DWORD dst_unused:UNUSED_PAD src0_sel:WORD_1
	v_cvt_f32_u32_sdwa v6, v2 dst_sel:DWORD dst_unused:UNUSED_PAD src0_sel:WORD_0
	v_cvt_f32_u32_sdwa v8, v3 dst_sel:DWORD dst_unused:UNUSED_PAD src0_sel:WORD_0
	v_cvt_f32_u32_sdwa v3, v4 dst_sel:DWORD dst_unused:UNUSED_PAD src0_sel:WORD_1
	v_cvt_f32_u32_sdwa v2, v4 dst_sel:DWORD dst_unused:UNUSED_PAD src0_sel:WORD_0
	v_cvt_f32_u32_sdwa v13, v5 dst_sel:DWORD dst_unused:UNUSED_PAD src0_sel:WORD_1
	v_cvt_f32_u32_sdwa v12, v5 dst_sel:DWORD dst_unused:UNUSED_PAD src0_sel:WORD_0
	;;#ASMSTART
	v_pk_mul_f32 v[30:31], v[30:31], v[6:7]
	;;#ASMEND
	;;#ASMSTART
	v_pk_mul_f32 v[28:29], v[28:29], v[8:9]
	;;#ASMEND
	;; [unrolled: 3-line block ×4, first 2 shown]
.LBB638_9:
	s_or_b64 exec, exec, s[8:9]
	s_load_dword s7, s[4:5], 0x80
	s_mov_b64 s[8:9], -1
	s_and_b64 vcc, exec, s[14:15]
	s_cbranch_vccnz .LBB638_13
; %bb.10:
	s_andn2_b64 vcc, exec, s[8:9]
	s_cbranch_vccz .LBB638_16
.LBB638_11:
	s_cmp_lt_i32 s20, 1
	s_cbranch_scc0 .LBB638_25
.LBB638_12:
	s_endpgm
.LBB638_13:
	s_and_saveexec_b64 s[14:15], s[2:3]
	s_cbranch_execz .LBB638_15
; %bb.14:
	s_waitcnt lgkmcnt(0)
	s_mul_hi_i32 s9, s7, s6
	s_mul_i32 s8, s7, s6
	s_lshl_b64 s[8:9], s[8:9], 1
	s_add_u32 s8, s28, s8
	s_addc_u32 s9, s29, s9
	s_mov_b32 s16, 0x7060302
	s_and_b32 s9, s9, 0xffff
	s_mov_b32 s11, 0x20000
	s_waitcnt vmcnt(0)
	v_perm_b32 v5, v25, v24, s16
	v_perm_b32 v4, v27, v26, s16
	v_perm_b32 v3, v33, v32, s16
	v_perm_b32 v2, v19, v18, s16
	v_lshlrev_b32_e32 v6, 5, v0
	buffer_store_dwordx4 v[2:5], v6, s[8:11], 0 offen
	;;#ASMSTART
	s_nop 0
	;;#ASMEND
	s_nop 0
	v_perm_b32 v5, v21, v20, s16
	v_perm_b32 v4, v23, v22, s16
	;; [unrolled: 1-line block ×4, first 2 shown]
	buffer_store_dwordx4 v[2:5], v6, s[8:11], 16 offen
	;;#ASMSTART
	s_nop 0
	;;#ASMEND
.LBB638_15:
	s_or_b64 exec, exec, s[14:15]
	s_cbranch_execnz .LBB638_11
.LBB638_16:
	s_load_dwordx4 s[24:27], s[4:5], 0x70
	s_waitcnt vmcnt(0)
	v_mov_b32_e32 v2, 0
	s_and_saveexec_b64 s[14:15], s[2:3]
	s_cbranch_execz .LBB638_18
; %bb.17:
	s_load_dwordx2 s[8:9], s[4:5], 0x10
	s_waitcnt lgkmcnt(0)
	s_mul_hi_i32 s35, s27, s6
	s_mul_i32 s34, s27, s6
	s_lshl_b64 s[34:35], s[34:35], 1
	s_mov_b32 s16, 0x7060302
	s_add_u32 s8, s8, s34
	s_addc_u32 s9, s9, s35
	s_mov_b32 s11, 0x20000
	s_and_b32 s9, s9, 0xffff
	v_perm_b32 v5, v25, v24, s16
	v_perm_b32 v4, v27, v26, s16
	;; [unrolled: 1-line block ×4, first 2 shown]
	v_lshlrev_b32_e32 v6, 5, v0
	buffer_store_dwordx4 v[2:5], v6, s[8:11], 0 offen
	;;#ASMSTART
	s_nop 0
	;;#ASMEND
	s_nop 0
	v_perm_b32 v5, v21, v20, s16
	v_perm_b32 v4, v23, v22, s16
	;; [unrolled: 1-line block ×4, first 2 shown]
	buffer_store_dwordx4 v[2:5], v6, s[8:11], 16 offen
	;;#ASMSTART
	s_nop 0
	;;#ASMEND
	s_nop 0
	v_mov_b32_e32 v2, 0x2edbe6ff
.LBB638_18:
	s_or_b64 exec, exec, s[14:15]
	s_and_saveexec_b64 s[8:9], s[2:3]
	s_cbranch_execz .LBB638_20
; %bb.19:
	v_and_b32_e32 v3, 0x7fffffff, v18
	v_and_b32_e32 v4, 0x7fffffff, v19
	;;#ASMSTART
	v_max3_f32 v2, v2, v3, v4

	;;#ASMEND
	v_and_b32_e32 v3, 0x7fffffff, v32
	v_and_b32_e32 v4, 0x7fffffff, v33
	;;#ASMSTART
	v_max3_f32 v2, v2, v3, v4

	;;#ASMEND
	;; [unrolled: 6-line block ×8, first 2 shown]
.LBB638_20:
	s_or_b64 exec, exec, s[8:9]
	;;#ASMSTART
	v_max_f32 v3, v2, v2 quad_perm:[1,0,3,2] row_mask:0xf bank_mask:0xf bound_ctrl:1
	;;#ASMEND
	;;#ASMSTART
	v_max_f32 v2, v3, v3 quad_perm:[2,3,0,1] row_mask:0xf bank_mask:0xf bound_ctrl:1
	;;#ASMEND
	;;#ASMSTART
	v_max_f32 v3, v2, v2 row_half_mirror row_mask:0xf bank_mask:0xf bound_ctrl:1
	;;#ASMEND
	v_mul_f32_e32 v2, 0x3b124925, v3
	v_and_b32_e32 v3, 7, v0
	v_cmp_eq_u32_e32 vcc, 0, v3
	v_cmp_gt_i32_e64 s[8:9], s19, v1
	s_and_b64 s[10:11], vcc, s[8:9]
	s_and_saveexec_b64 s[8:9], s[10:11]
	s_cbranch_execz .LBB638_22
; %bb.21:
	s_load_dwordx2 s[10:11], s[4:5], 0x8
	s_waitcnt lgkmcnt(0)
	s_mul_hi_i32 s15, s25, s6
	s_mul_i32 s14, s25, s6
	v_lshrrev_b32_e32 v3, 3, v0
	s_lshl_b64 s[14:15], s[14:15], 2
	v_mad_i64_i32 v[4:5], s[26:27], s26, v3, 0
	s_add_u32 s10, s10, s14
	s_addc_u32 s11, s11, s15
	v_lshlrev_b64 v[4:5], 2, v[4:5]
	v_mov_b32_e32 v3, s11
	v_add_co_u32_e32 v4, vcc, s10, v4
	v_addc_co_u32_e32 v5, vcc, v3, v5, vcc
	global_store_dword v[4:5], v2, off
.LBB638_22:
	s_or_b64 exec, exec, s[8:9]
	;;#ASMSTART
	v_rcp_f32 v2, v2
	;;#ASMEND
	s_and_saveexec_b64 s[14:15], s[2:3]
	s_cbranch_execz .LBB638_24
; %bb.23:
	s_load_dwordx2 s[2:3], s[4:5], 0x0
	s_waitcnt lgkmcnt(0)
	s_mul_i32 s8, s24, s6
	s_mul_hi_i32 s9, s24, s6
	v_mov_b32_e32 v3, v2
	;;#ASMSTART
	v_pk_mul_f32 v[4:5], v[18:19], v[2:3]
	;;#ASMEND
	s_add_u32 s8, s2, s8
	s_addc_u32 s2, s3, s9
	s_add_i32 s3, s19, 3
	s_ashr_i32 s10, s3, 31
	v_mov_b32_e32 v10, 0xc3e00000
	v_mov_b32_e32 v11, 0x43e00000
	;;#ASMSTART
	v_med3_f32 v4, v4, v10, v11
v_med3_f32 v5, v5, v10, v11
v_cvt_pk_fp8_f32 v6, v4, v5
	;;#ASMEND
	s_and_b32 s9, s2, 0xffff
	s_lshr_b32 s2, s10, 30
	;;#ASMSTART
	v_pk_mul_f32 v[4:5], v[32:33], v[2:3]
	;;#ASMEND
	s_add_i32 s3, s3, s2
	;;#ASMSTART
	v_med3_f32 v4, v4, v10, v11
v_med3_f32 v5, v5, v10, v11
v_cvt_pk_fp8_f32 v7, v4, v5
	;;#ASMEND
	s_mov_b32 s2, 0x5040100
	v_perm_b32 v4, v7, v6, s2
	s_mov_b32 s2, 0x1060504
	v_perm_b32 v4, v4, v7, s2
	;;#ASMSTART
	v_pk_mul_f32 v[6:7], v[26:27], v[2:3]
	;;#ASMEND
	v_mov_b32_e32 v5, v6
	;;#ASMSTART
	v_med3_f32 v5, v5, v10, v11
v_med3_f32 v7, v7, v10, v11
v_cvt_pk_fp8_f32 v8, v5, v7
	;;#ASMEND
	;;#ASMSTART
	v_pk_mul_f32 v[6:7], v[24:25], v[2:3]
	;;#ASMEND
	v_mov_b32_e32 v5, v7
	;;#ASMSTART
	v_med3_f32 v6, v6, v10, v11
v_med3_f32 v5, v5, v10, v11
v_cvt_pk_fp8_f32 v7, v6, v5
	;;#ASMEND
	s_mov_b32 s2, 0x1000504
	v_perm_b32 v5, v8, v7, s2
	;;#ASMSTART
	v_pk_mul_f32 v[6:7], v[30:31], v[2:3]
	;;#ASMEND
	;;#ASMSTART
	v_med3_f32 v6, v6, v10, v11
v_med3_f32 v7, v7, v10, v11
v_cvt_pk_fp8_f32 v8, v6, v7
	;;#ASMEND
	;;#ASMSTART
	v_pk_mul_f32 v[6:7], v[28:29], v[2:3]
	;;#ASMEND
	;;#ASMSTART
	v_med3_f32 v6, v6, v10, v11
v_med3_f32 v7, v7, v10, v11
v_cvt_pk_fp8_f32 v9, v6, v7
	;;#ASMEND
	v_perm_b32 v6, v8, v9, s2
	;;#ASMSTART
	v_pk_mul_f32 v[8:9], v[22:23], v[2:3]
	;;#ASMEND
	v_mov_b32_e32 v7, v8
	;;#ASMSTART
	v_med3_f32 v7, v7, v10, v11
v_med3_f32 v9, v9, v10, v11
v_cvt_pk_fp8_f32 v8, v7, v9
	;;#ASMEND
	;;#ASMSTART
	v_pk_mul_f32 v[2:3], v[20:21], v[2:3]
	;;#ASMEND
	;;#ASMSTART
	v_med3_f32 v2, v2, v10, v11
v_med3_f32 v3, v3, v10, v11
v_cvt_pk_fp8_f32 v7, v2, v3
	;;#ASMEND
	s_and_b32 s10, s3, -4
	s_mov_b32 s11, 0x20000
	v_perm_b32 v7, v8, v7, s2
	buffer_store_dwordx4 v[4:7], v1, s[8:11], 0 offen
	;;#ASMSTART
	s_nop 0
	;;#ASMEND
.LBB638_24:
	s_or_b64 exec, exec, s[14:15]
	s_cmp_lt_i32 s20, 1
	s_cbranch_scc1 .LBB638_12
.LBB638_25:
	s_load_dword s2, s[4:5], 0x94
	s_waitcnt lgkmcnt(0)
	s_cmp_lg_u32 s2, 1
	s_cbranch_scc1 .LBB638_12
; %bb.26:
	s_lshl_b32 s2, s20, 1
	s_add_i32 s2, s2, 2
	v_cmp_gt_u32_e32 vcc, s20, v1
	s_and_b32 s14, s2, -4
	v_mov_b32_e32 v18, 0
	v_lshlrev_b32_e32 v1, 5, v0
	v_mov_b32_e32 v14, 0
	v_mov_b32_e32 v15, 0
	v_mov_b32_e32 v16, 0
	v_mov_b32_e32 v17, 0
	v_mov_b32_e32 v10, 0
	v_mov_b32_e32 v11, 0
	v_mov_b32_e32 v12, 0
	v_mov_b32_e32 v13, 0
	s_waitcnt vmcnt(1)
	v_mov_b32_e32 v6, 0
	v_mov_b32_e32 v7, 0
	;; [unrolled: 1-line block ×4, first 2 shown]
	s_waitcnt vmcnt(0)
	v_mov_b32_e32 v2, 0
	v_mov_b32_e32 v3, 0
	;; [unrolled: 1-line block ×4, first 2 shown]
	s_barrier
	s_and_saveexec_b64 s[2:3], vcc
	s_cbranch_execz .LBB638_28
; %bb.27:
	s_mul_hi_i32 s5, s22, s6
	s_mul_i32 s4, s22, s6
	s_and_b32 s13, s13, 0xffff
	s_lshl_b64 s[4:5], s[4:5], 1
	s_add_u32 s8, s30, s4
	s_mov_b32 s15, 0x20000
	s_addc_u32 s4, s31, s5
	s_and_b32 s9, s4, 0xffff
	s_mov_b32 s10, s14
	s_mov_b32 s11, s15
	buffer_load_dwordx4 v[14:17], v1, s[8:11], 0 offen
	buffer_load_dwordx4 v[10:13], v1, s[8:11], 16 offen
	;; [unrolled: 1-line block ×4, first 2 shown]
.LBB638_28:
	s_or_b64 exec, exec, s[2:3]
	v_mov_b32_e32 v19, 0
	v_mov_b32_e32 v32, 0
	;; [unrolled: 1-line block ×15, first 2 shown]
	s_and_saveexec_b64 s[2:3], vcc
	s_cbranch_execz .LBB638_30
; %bb.29:
	s_waitcnt vmcnt(3)
	v_cvt_f32_u32_sdwa v18, v14 dst_sel:DWORD dst_unused:UNUSED_PAD src0_sel:WORD_0
	v_cvt_f32_u32_sdwa v19, v14 dst_sel:DWORD dst_unused:UNUSED_PAD src0_sel:WORD_1
	v_cvt_f32_u32_sdwa v32, v15 dst_sel:DWORD dst_unused:UNUSED_PAD src0_sel:WORD_0
	v_cvt_f32_u32_sdwa v33, v15 dst_sel:DWORD dst_unused:UNUSED_PAD src0_sel:WORD_1
	;; [unrolled: 2-line block ×4, first 2 shown]
	s_waitcnt vmcnt(2)
	v_cvt_f32_u32_sdwa v26, v10 dst_sel:DWORD dst_unused:UNUSED_PAD src0_sel:WORD_0
	v_cvt_f32_u32_sdwa v27, v10 dst_sel:DWORD dst_unused:UNUSED_PAD src0_sel:WORD_1
	v_cvt_f32_u32_sdwa v24, v11 dst_sel:DWORD dst_unused:UNUSED_PAD src0_sel:WORD_0
	v_cvt_f32_u32_sdwa v25, v11 dst_sel:DWORD dst_unused:UNUSED_PAD src0_sel:WORD_1
	;; [unrolled: 2-line block ×4, first 2 shown]
.LBB638_30:
	s_or_b64 exec, exec, s[2:3]
	s_waitcnt vmcnt(2)
	v_mul_f32_e32 v10, v19, v19
	v_fmac_f32_e32 v10, v18, v18
	v_fmac_f32_e32 v10, v32, v32
	;; [unrolled: 1-line block ×15, first 2 shown]
	s_nop 1
	v_mov_b32_dpp v11, v10 quad_perm:[1,0,3,2] row_mask:0xf bank_mask:0xf
	v_add_f32_e32 v10, v10, v11
	s_nop 1
	v_mov_b32_dpp v11, v10 quad_perm:[2,3,0,1] row_mask:0xf bank_mask:0xf
	v_add_f32_e32 v10, v10, v11
	s_nop 1
	v_mov_b32_dpp v11, v10 row_half_mirror row_mask:0xf bank_mask:0xf
	v_add_f32_e32 v10, v10, v11
	s_nop 1
	v_mov_b32_dpp v11, v10 row_mirror row_mask:0xf bank_mask:0xf
	v_add_f32_e32 v10, v10, v11
	s_nop 1
	v_mov_b32_dpp v11, v10 row_bcast:15 row_mask:0xf bank_mask:0xf
	v_add_f32_e32 v10, v10, v11
	s_nop 1
	v_mov_b32_dpp v11, v10 row_bcast:31 row_mask:0xf bank_mask:0xf
	s_and_saveexec_b64 s[2:3], s[0:1]
	s_cbranch_execz .LBB638_32
; %bb.31:
	v_lshrrev_b32_e32 v0, 4, v0
	v_add_f32_e32 v10, v10, v11
	v_and_b32_e32 v0, 60, v0
	ds_write_b32 v0, v10
.LBB638_32:
	s_or_b64 exec, exec, s[2:3]
	s_waitcnt lgkmcnt(0)
	s_barrier
	ds_read_b32 v0, v34
	s_waitcnt lgkmcnt(0)
	s_nop 0
	v_mov_b32_dpp v10, v0 quad_perm:[1,0,3,2] row_mask:0xf bank_mask:0xf
	s_and_saveexec_b64 s[0:1], vcc
	s_cbranch_execz .LBB638_12
; %bb.33:
	v_cvt_f32_u32_e32 v11, s20
	v_add_f32_e32 v0, v0, v10
	s_mov_b32 s15, 0x20000
	v_div_scale_f32 v10, s[0:1], v11, v11, v0
	v_rcp_f32_e32 v12, v10
	v_div_scale_f32 v13, vcc, v0, v11, v0
	s_mov_b32 s0, 0x800000
	v_fma_f32 v14, -v10, v12, 1.0
	v_fmac_f32_e32 v12, v14, v12
	v_mul_f32_e32 v14, v13, v12
	v_fma_f32 v15, -v10, v14, v13
	v_fmac_f32_e32 v14, v15, v12
	v_fma_f32 v10, -v10, v14, v13
	v_div_fmas_f32 v10, v10, v12, v14
	v_div_fixup_f32 v0, v10, v11, v0
	v_add_f32_e32 v0, s17, v0
	v_mul_f32_e32 v10, 0x4b800000, v0
	v_cmp_gt_f32_e32 vcc, s0, v0
	v_cndmask_b32_e32 v0, v0, v10, vcc
	v_rsq_f32_e32 v0, v0
	s_mul_hi_i32 s1, s7, s6
	s_mul_i32 s0, s7, s6
	s_lshl_b64 s[0:1], s[0:1], 1
	v_mul_f32_e32 v10, 0x45800000, v0
	v_cndmask_b32_e32 v10, v0, v10, vcc
	v_mov_b32_e32 v11, v10
	s_add_u32 s12, s28, s0
	;;#ASMSTART
	v_pk_mul_f32 v[12:13], v[18:19], v[10:11]
	;;#ASMEND
	;;#ASMSTART
	v_pk_mul_f32 v[14:15], v[32:33], v[10:11]
	;;#ASMEND
	;; [unrolled: 3-line block ×8, first 2 shown]
	s_waitcnt vmcnt(1)
	v_cvt_f32_u32_sdwa v21, v6 dst_sel:DWORD dst_unused:UNUSED_PAD src0_sel:WORD_1
	v_cvt_f32_u32_sdwa v20, v6 dst_sel:DWORD dst_unused:UNUSED_PAD src0_sel:WORD_0
	v_cvt_f32_u32_sdwa v29, v7 dst_sel:DWORD dst_unused:UNUSED_PAD src0_sel:WORD_1
	v_cvt_f32_u32_sdwa v28, v7 dst_sel:DWORD dst_unused:UNUSED_PAD src0_sel:WORD_0
	;; [unrolled: 2-line block ×3, first 2 shown]
	s_addc_u32 s0, s29, s1
	v_cvt_f32_u32_sdwa v31, v9 dst_sel:DWORD dst_unused:UNUSED_PAD src0_sel:WORD_1
	v_cvt_f32_u32_sdwa v30, v9 dst_sel:DWORD dst_unused:UNUSED_PAD src0_sel:WORD_0
	;;#ASMSTART
	v_pk_mul_f32 v[8:9], v[12:13], v[20:21]
	;;#ASMEND
	;;#ASMSTART
	v_pk_mul_f32 v[12:13], v[14:15], v[28:29]
	;;#ASMEND
	;; [unrolled: 3-line block ×4, first 2 shown]
	s_waitcnt vmcnt(0)
	v_cvt_f32_u32_sdwa v17, v2 dst_sel:DWORD dst_unused:UNUSED_PAD src0_sel:WORD_1
	v_cvt_f32_u32_sdwa v16, v2 dst_sel:DWORD dst_unused:UNUSED_PAD src0_sel:WORD_0
	v_cvt_f32_u32_sdwa v19, v3 dst_sel:DWORD dst_unused:UNUSED_PAD src0_sel:WORD_1
	v_cvt_f32_u32_sdwa v18, v3 dst_sel:DWORD dst_unused:UNUSED_PAD src0_sel:WORD_0
	;; [unrolled: 2-line block ×3, first 2 shown]
	s_and_b32 s13, s0, 0xffff
	s_mov_b32 s0, 0x7060302
	v_cvt_f32_u32_sdwa v21, v5 dst_sel:DWORD dst_unused:UNUSED_PAD src0_sel:WORD_1
	v_cvt_f32_u32_sdwa v20, v5 dst_sel:DWORD dst_unused:UNUSED_PAD src0_sel:WORD_0
	;;#ASMSTART
	v_pk_mul_f32 v[16:17], v[26:27], v[16:17]
	;;#ASMEND
	;;#ASMSTART
	v_pk_mul_f32 v[18:19], v[24:25], v[18:19]
	;;#ASMEND
	;;#ASMSTART
	v_pk_mul_f32 v[22:23], v[22:23], v[2:3]
	;;#ASMEND
	v_perm_b32 v2, v9, v8, s0
	v_perm_b32 v3, v13, v12, s0
	;; [unrolled: 1-line block ×4, first 2 shown]
	;;#ASMSTART
	v_pk_mul_f32 v[10:11], v[10:11], v[20:21]
	;;#ASMEND
	buffer_store_dwordx4 v[2:5], v1, s[12:15], 0 offen
	;;#ASMSTART
	s_nop 0
	;;#ASMEND
	s_nop 0
	v_perm_b32 v2, v17, v16, s0
	v_perm_b32 v3, v19, v18, s0
	;; [unrolled: 1-line block ×4, first 2 shown]
	buffer_store_dwordx4 v[2:5], v1, s[12:15], 16 offen
	;;#ASMSTART
	s_nop 0
	;;#ASMEND
	s_endpgm
	.section	.rodata,"a",@progbits
	.p2align	6, 0x0
	.amdhsa_kernel _ZN5aiter35fused_qk_rmsnorm_group_quant_kernelItDB8_Li128ELi16ELi8ELb0ELb1ELb0ELb0ELb0ELb0EEEvPT0_PvPT_S6_S6_PKS5_S8_S8_S8_S8_ffiiiiiiiiiiiii
		.amdhsa_group_segment_fixed_size 16
		.amdhsa_private_segment_fixed_size 0
		.amdhsa_kernarg_size 400
		.amdhsa_user_sgpr_count 6
		.amdhsa_user_sgpr_private_segment_buffer 1
		.amdhsa_user_sgpr_dispatch_ptr 0
		.amdhsa_user_sgpr_queue_ptr 0
		.amdhsa_user_sgpr_kernarg_segment_ptr 1
		.amdhsa_user_sgpr_dispatch_id 0
		.amdhsa_user_sgpr_flat_scratch_init 0
		.amdhsa_user_sgpr_kernarg_preload_length 0
		.amdhsa_user_sgpr_kernarg_preload_offset 0
		.amdhsa_user_sgpr_private_segment_size 0
		.amdhsa_uses_dynamic_stack 0
		.amdhsa_system_sgpr_private_segment_wavefront_offset 0
		.amdhsa_system_sgpr_workgroup_id_x 1
		.amdhsa_system_sgpr_workgroup_id_y 1
		.amdhsa_system_sgpr_workgroup_id_z 0
		.amdhsa_system_sgpr_workgroup_info 0
		.amdhsa_system_vgpr_workitem_id 0
		.amdhsa_next_free_vgpr 38
		.amdhsa_next_free_sgpr 36
		.amdhsa_accum_offset 40
		.amdhsa_reserve_vcc 1
		.amdhsa_reserve_flat_scratch 0
		.amdhsa_float_round_mode_32 0
		.amdhsa_float_round_mode_16_64 0
		.amdhsa_float_denorm_mode_32 3
		.amdhsa_float_denorm_mode_16_64 3
		.amdhsa_dx10_clamp 1
		.amdhsa_ieee_mode 1
		.amdhsa_fp16_overflow 0
		.amdhsa_tg_split 0
		.amdhsa_exception_fp_ieee_invalid_op 0
		.amdhsa_exception_fp_denorm_src 0
		.amdhsa_exception_fp_ieee_div_zero 0
		.amdhsa_exception_fp_ieee_overflow 0
		.amdhsa_exception_fp_ieee_underflow 0
		.amdhsa_exception_fp_ieee_inexact 0
		.amdhsa_exception_int_div_zero 0
	.end_amdhsa_kernel
	.section	.text._ZN5aiter35fused_qk_rmsnorm_group_quant_kernelItDB8_Li128ELi16ELi8ELb0ELb1ELb0ELb0ELb0ELb0EEEvPT0_PvPT_S6_S6_PKS5_S8_S8_S8_S8_ffiiiiiiiiiiiii,"axG",@progbits,_ZN5aiter35fused_qk_rmsnorm_group_quant_kernelItDB8_Li128ELi16ELi8ELb0ELb1ELb0ELb0ELb0ELb0EEEvPT0_PvPT_S6_S6_PKS5_S8_S8_S8_S8_ffiiiiiiiiiiiii,comdat
.Lfunc_end638:
	.size	_ZN5aiter35fused_qk_rmsnorm_group_quant_kernelItDB8_Li128ELi16ELi8ELb0ELb1ELb0ELb0ELb0ELb0EEEvPT0_PvPT_S6_S6_PKS5_S8_S8_S8_S8_ffiiiiiiiiiiiii, .Lfunc_end638-_ZN5aiter35fused_qk_rmsnorm_group_quant_kernelItDB8_Li128ELi16ELi8ELb0ELb1ELb0ELb0ELb0ELb0EEEvPT0_PvPT_S6_S6_PKS5_S8_S8_S8_S8_ffiiiiiiiiiiiii
                                        ; -- End function
	.section	.AMDGPU.csdata,"",@progbits
; Kernel info:
; codeLenInByte = 3596
; NumSgprs: 40
; NumVgprs: 38
; NumAgprs: 0
; TotalNumVgprs: 38
; ScratchSize: 0
; MemoryBound: 0
; FloatMode: 240
; IeeeMode: 1
; LDSByteSize: 16 bytes/workgroup (compile time only)
; SGPRBlocks: 4
; VGPRBlocks: 4
; NumSGPRsForWavesPerEU: 40
; NumVGPRsForWavesPerEU: 38
; AccumOffset: 40
; Occupancy: 8
; WaveLimiterHint : 0
; COMPUTE_PGM_RSRC2:SCRATCH_EN: 0
; COMPUTE_PGM_RSRC2:USER_SGPR: 6
; COMPUTE_PGM_RSRC2:TRAP_HANDLER: 0
; COMPUTE_PGM_RSRC2:TGID_X_EN: 1
; COMPUTE_PGM_RSRC2:TGID_Y_EN: 1
; COMPUTE_PGM_RSRC2:TGID_Z_EN: 0
; COMPUTE_PGM_RSRC2:TIDIG_COMP_CNT: 0
; COMPUTE_PGM_RSRC3_GFX90A:ACCUM_OFFSET: 9
; COMPUTE_PGM_RSRC3_GFX90A:TG_SPLIT: 0
	.section	.text._ZN5aiter35fused_qk_rmsnorm_group_quant_kernelIDF16_N4opus5fp4_tELi128ELi16ELi8ELb0ELb1ELb0ELb0ELb0ELb0EEEvPT0_PvPT_S7_S7_PKS6_S9_S9_S9_S9_ffiiiiiiiiiiiii,"axG",@progbits,_ZN5aiter35fused_qk_rmsnorm_group_quant_kernelIDF16_N4opus5fp4_tELi128ELi16ELi8ELb0ELb1ELb0ELb0ELb0ELb0EEEvPT0_PvPT_S7_S7_PKS6_S9_S9_S9_S9_ffiiiiiiiiiiiii,comdat
	.protected	_ZN5aiter35fused_qk_rmsnorm_group_quant_kernelIDF16_N4opus5fp4_tELi128ELi16ELi8ELb0ELb1ELb0ELb0ELb0ELb0EEEvPT0_PvPT_S7_S7_PKS6_S9_S9_S9_S9_ffiiiiiiiiiiiii ; -- Begin function _ZN5aiter35fused_qk_rmsnorm_group_quant_kernelIDF16_N4opus5fp4_tELi128ELi16ELi8ELb0ELb1ELb0ELb0ELb0ELb0EEEvPT0_PvPT_S7_S7_PKS6_S9_S9_S9_S9_ffiiiiiiiiiiiii
	.globl	_ZN5aiter35fused_qk_rmsnorm_group_quant_kernelIDF16_N4opus5fp4_tELi128ELi16ELi8ELb0ELb1ELb0ELb0ELb0ELb0EEEvPT0_PvPT_S7_S7_PKS6_S9_S9_S9_S9_ffiiiiiiiiiiiii
	.p2align	8
	.type	_ZN5aiter35fused_qk_rmsnorm_group_quant_kernelIDF16_N4opus5fp4_tELi128ELi16ELi8ELb0ELb1ELb0ELb0ELb0ELb0EEEvPT0_PvPT_S7_S7_PKS6_S9_S9_S9_S9_ffiiiiiiiiiiiii,@function
_ZN5aiter35fused_qk_rmsnorm_group_quant_kernelIDF16_N4opus5fp4_tELi128ELi16ELi8ELb0ELb1ELb0ELb0ELb0ELb0EEEvPT0_PvPT_S7_S7_PKS6_S9_S9_S9_S9_ffiiiiiiiiiiiii: ; @_ZN5aiter35fused_qk_rmsnorm_group_quant_kernelIDF16_N4opus5fp4_tELi128ELi16ELi8ELb0ELb1ELb0ELb0ELb0ELb0EEEvPT0_PvPT_S7_S7_PKS6_S9_S9_S9_S9_ffiiiiiiiiiiiii
; %bb.0:
	s_load_dwordx4 s[16:19], s[4:5], 0x50
	s_waitcnt lgkmcnt(0)
	s_cmp_ge_i32 s6, s18
	s_cbranch_scc1 .LBB639_12
; %bb.1:
	s_load_dwordx2 s[12:13], s[4:5], 0x48
	s_load_dwordx2 s[30:31], s[4:5], 0x30
	s_load_dwordx4 s[20:23], s[4:5], 0x60
	s_cmp_lg_u32 s7, 0
	s_cselect_b64 s[14:15], -1, 0
	s_cmp_eq_u32 s7, 0
	s_cselect_b64 vcc, -1, 0
	s_and_b64 s[0:1], vcc, exec
	s_waitcnt lgkmcnt(0)
	s_cselect_b32 s7, s19, s20
	s_add_i32 s0, s7, 1
	s_lshr_b32 s1, s0, 31
	s_add_i32 s0, s0, s1
	s_lshl_b32 s0, s0, 1
	v_lshlrev_b32_e32 v1, 4, v0
	s_and_b32 s10, s0, -4
	v_cmp_gt_i32_e64 s[2:3], s7, v1
	v_mov_b32_e32 v18, 0
	v_mov_b32_e32 v6, 0
	;; [unrolled: 1-line block ×17, first 2 shown]
	s_and_saveexec_b64 s[0:1], s[2:3]
	s_cbranch_execz .LBB639_3
; %bb.2:
	s_load_dwordx2 s[8:9], s[4:5], 0x28
	s_load_dwordx2 s[26:27], s[4:5], 0x40
	s_and_b64 s[24:25], vcc, exec
	s_cselect_b32 s11, s21, s22
	v_lshlrev_b32_e32 v19, 5, v0
	s_waitcnt lgkmcnt(0)
	s_cselect_b32 s18, s9, s31
	s_cselect_b32 s21, s8, s30
	s_mul_hi_i32 s9, s11, s6
	s_mul_i32 s8, s11, s6
	s_lshl_b64 s[8:9], s[8:9], 1
	s_add_u32 s24, s21, s8
	s_addc_u32 s18, s18, s9
	s_and_b64 s[8:9], vcc, exec
	s_mov_b32 s11, 0x20000
	s_cselect_b32 s8, s26, s12
	s_cselect_b32 s9, s27, s13
	s_and_b32 s25, s18, 0xffff
	s_mov_b32 s26, s10
	s_mov_b32 s27, s11
	s_and_b32 s9, s9, 0xffff
	buffer_load_dwordx4 v[14:17], v19, s[24:27], 0 offen
	buffer_load_dwordx4 v[10:13], v19, s[24:27], 16 offen
	;; [unrolled: 1-line block ×4, first 2 shown]
.LBB639_3:
	s_or_b64 exec, exec, s[0:1]
	v_mov_b32_e32 v19, 0
	v_mov_b32_e32 v24, 0
	;; [unrolled: 1-line block ×15, first 2 shown]
	s_and_saveexec_b64 s[0:1], s[2:3]
	s_cbranch_execz .LBB639_5
; %bb.4:
	s_waitcnt vmcnt(3)
	v_cvt_f32_f16_sdwa v19, v14 dst_sel:DWORD dst_unused:UNUSED_PAD src0_sel:WORD_1
	v_cvt_f32_f16_e32 v18, v14
	v_cvt_f32_f16_sdwa v25, v15 dst_sel:DWORD dst_unused:UNUSED_PAD src0_sel:WORD_1
	v_cvt_f32_f16_e32 v24, v15
	;; [unrolled: 2-line block ×4, first 2 shown]
	s_waitcnt vmcnt(2)
	v_cvt_f32_f16_sdwa v33, v10 dst_sel:DWORD dst_unused:UNUSED_PAD src0_sel:WORD_1
	v_cvt_f32_f16_e32 v32, v10
	v_cvt_f32_f16_sdwa v31, v11 dst_sel:DWORD dst_unused:UNUSED_PAD src0_sel:WORD_1
	v_cvt_f32_f16_e32 v30, v11
	;; [unrolled: 2-line block ×4, first 2 shown]
.LBB639_5:
	s_or_b64 exec, exec, s[0:1]
	s_waitcnt vmcnt(2)
	v_mul_f32_e32 v10, v19, v19
	v_fmac_f32_e32 v10, v18, v18
	v_fmac_f32_e32 v10, v24, v24
	;; [unrolled: 1-line block ×15, first 2 shown]
	v_and_b32_e32 v12, 63, v0
	v_cmp_eq_u32_e64 s[0:1], 63, v12
	v_mov_b32_dpp v11, v10 quad_perm:[1,0,3,2] row_mask:0xf bank_mask:0xf
	v_add_f32_e32 v10, v10, v11
	s_nop 1
	v_mov_b32_dpp v11, v10 quad_perm:[2,3,0,1] row_mask:0xf bank_mask:0xf
	v_add_f32_e32 v10, v10, v11
	s_nop 1
	v_mov_b32_dpp v11, v10 row_half_mirror row_mask:0xf bank_mask:0xf
	v_add_f32_e32 v10, v10, v11
	s_nop 1
	v_mov_b32_dpp v11, v10 row_mirror row_mask:0xf bank_mask:0xf
	v_add_f32_e32 v10, v10, v11
	s_nop 1
	v_mov_b32_dpp v11, v10 row_bcast:15 row_mask:0xf bank_mask:0xf
	v_add_f32_e32 v10, v10, v11
	s_nop 1
	v_mov_b32_dpp v11, v10 row_bcast:31 row_mask:0xf bank_mask:0xf
	s_and_saveexec_b64 s[8:9], s[0:1]
	s_cbranch_execz .LBB639_7
; %bb.6:
	v_add_f32_e32 v10, v10, v11
	v_lshrrev_b32_e32 v11, 4, v0
	v_and_b32_e32 v11, 60, v11
	ds_write_b32 v11, v10 offset:8
.LBB639_7:
	s_or_b64 exec, exec, s[8:9]
	v_and_b32_e32 v10, 1, v0
	v_lshlrev_b32_e32 v34, 2, v10
	s_waitcnt lgkmcnt(0)
	s_barrier
	ds_read_b32 v10, v34 offset:8
	s_load_dwordx2 s[28:29], s[4:5], 0x18
	s_waitcnt lgkmcnt(0)
	v_mov_b32_dpp v11, v10 quad_perm:[1,0,3,2] row_mask:0xf bank_mask:0xf
	s_and_saveexec_b64 s[8:9], s[2:3]
	s_cbranch_execz .LBB639_9
; %bb.8:
	v_cvt_f32_u32_e32 v12, s7
	v_add_f32_e32 v10, v10, v11
	v_mov_b32_e32 v14, s17
	v_mov_b32_e32 v15, s16
	v_div_scale_f32 v11, s[24:25], v12, v12, v10
	v_rcp_f32_e32 v13, v11
	v_cndmask_b32_e32 v14, v14, v15, vcc
	s_mov_b32 s7, 0x800000
	v_fma_f32 v15, -v11, v13, 1.0
	v_fmac_f32_e32 v13, v15, v13
	v_div_scale_f32 v15, vcc, v10, v12, v10
	v_mul_f32_e32 v16, v15, v13
	v_fma_f32 v17, -v11, v16, v15
	v_fmac_f32_e32 v16, v17, v13
	v_fma_f32 v11, -v11, v16, v15
	v_div_fmas_f32 v11, v11, v13, v16
	v_div_fixup_f32 v10, v11, v12, v10
	v_add_f32_e32 v10, v14, v10
	v_mul_f32_e32 v11, 0x4b800000, v10
	v_cmp_gt_f32_e32 vcc, s7, v10
	v_cndmask_b32_e32 v10, v10, v11, vcc
	v_rsq_f32_e32 v10, v10
	v_mul_f32_e32 v11, 0x45800000, v10
	v_cndmask_b32_e32 v10, v10, v11, vcc
	v_mov_b32_e32 v11, v10
	;;#ASMSTART
	v_pk_mul_f32 v[12:13], v[18:19], v[10:11]
	;;#ASMEND
	;;#ASMSTART
	v_pk_mul_f32 v[14:15], v[24:25], v[10:11]
	;;#ASMEND
	;; [unrolled: 3-line block ×8, first 2 shown]
	s_waitcnt vmcnt(1)
	v_cvt_f32_f16_sdwa v19, v6 dst_sel:DWORD dst_unused:UNUSED_PAD src0_sel:WORD_1
	v_cvt_f32_f16_e32 v18, v6
	v_cvt_f32_f16_sdwa v21, v7 dst_sel:DWORD dst_unused:UNUSED_PAD src0_sel:WORD_1
	v_cvt_f32_f16_e32 v20, v7
	;; [unrolled: 2-line block ×4, first 2 shown]
	;;#ASMSTART
	v_pk_mul_f32 v[18:19], v[12:13], v[18:19]
	;;#ASMEND
	;;#ASMSTART
	v_pk_mul_f32 v[24:25], v[14:15], v[20:21]
	;;#ASMEND
	;; [unrolled: 3-line block ×4, first 2 shown]
	s_waitcnt vmcnt(0)
	v_cvt_f32_f16_sdwa v7, v2 dst_sel:DWORD dst_unused:UNUSED_PAD src0_sel:WORD_1
	v_cvt_f32_f16_e32 v6, v2
	v_cvt_f32_f16_sdwa v9, v3 dst_sel:DWORD dst_unused:UNUSED_PAD src0_sel:WORD_1
	v_cvt_f32_f16_e32 v8, v3
	;; [unrolled: 2-line block ×4, first 2 shown]
	;;#ASMSTART
	v_pk_mul_f32 v[32:33], v[32:33], v[6:7]
	;;#ASMEND
	;;#ASMSTART
	v_pk_mul_f32 v[30:31], v[30:31], v[8:9]
	;;#ASMEND
	;; [unrolled: 3-line block ×4, first 2 shown]
.LBB639_9:
	s_or_b64 exec, exec, s[8:9]
	s_load_dword s7, s[4:5], 0x80
	s_mov_b64 s[8:9], -1
	s_and_b64 vcc, exec, s[14:15]
	s_cbranch_vccnz .LBB639_13
; %bb.10:
	s_andn2_b64 vcc, exec, s[8:9]
	s_cbranch_vccz .LBB639_16
.LBB639_11:
	s_cmp_lt_i32 s20, 1
	s_cbranch_scc0 .LBB639_25
.LBB639_12:
	s_endpgm
.LBB639_13:
	s_and_saveexec_b64 s[14:15], s[2:3]
	s_cbranch_execz .LBB639_15
; %bb.14:
	s_waitcnt lgkmcnt(0)
	s_mul_hi_i32 s9, s7, s6
	s_mul_i32 s8, s7, s6
	s_waitcnt vmcnt(0)
	v_cvt_f16_f32_e32 v2, v18
	v_cvt_f16_f32_e32 v3, v24
	;; [unrolled: 1-line block ×8, first 2 shown]
	s_lshl_b64 s[8:9], s[8:9], 1
	s_add_u32 s8, s28, s8
	s_addc_u32 s9, s29, s9
	s_and_b32 s9, s9, 0xffff
	s_mov_b32 s11, 0x20000
	v_pack_b32_f16 v5, v5, v6
	v_pack_b32_f16 v4, v4, v7
	;; [unrolled: 1-line block ×4, first 2 shown]
	v_lshlrev_b32_e32 v6, 5, v0
	buffer_store_dwordx4 v[2:5], v6, s[8:11], 0 offen
	v_cvt_f16_f32_e32 v7, v29
	v_cvt_f16_f32_e32 v2, v32
	;; [unrolled: 1-line block ×8, first 2 shown]
	v_pack_b32_f16 v5, v5, v7
	v_pack_b32_f16 v4, v4, v8
	;; [unrolled: 1-line block ×4, first 2 shown]
	;;#ASMSTART
	s_nop 0
	;;#ASMEND
	buffer_store_dwordx4 v[2:5], v6, s[8:11], 16 offen
	;;#ASMSTART
	s_nop 0
	;;#ASMEND
.LBB639_15:
	s_or_b64 exec, exec, s[14:15]
	s_cbranch_execnz .LBB639_11
.LBB639_16:
	s_load_dwordx4 s[24:27], s[4:5], 0x70
	s_waitcnt vmcnt(0)
	v_mov_b32_e32 v2, 0
	s_and_saveexec_b64 s[14:15], s[2:3]
	s_cbranch_execz .LBB639_18
; %bb.17:
	s_load_dwordx2 s[8:9], s[4:5], 0x10
	s_waitcnt lgkmcnt(0)
	s_mul_hi_i32 s35, s27, s6
	s_mul_i32 s34, s27, s6
	v_cvt_f16_f32_e32 v2, v18
	v_cvt_f16_f32_e32 v3, v24
	;; [unrolled: 1-line block ×8, first 2 shown]
	s_lshl_b64 s[34:35], s[34:35], 1
	s_add_u32 s8, s8, s34
	s_addc_u32 s9, s9, s35
	s_mov_b32 s11, 0x20000
	s_and_b32 s9, s9, 0xffff
	v_pack_b32_f16 v5, v5, v6
	v_pack_b32_f16 v4, v4, v7
	;; [unrolled: 1-line block ×4, first 2 shown]
	v_lshlrev_b32_e32 v6, 5, v0
	buffer_store_dwordx4 v[2:5], v6, s[8:11], 0 offen
	v_cvt_f16_f32_e32 v7, v29
	v_cvt_f16_f32_e32 v2, v32
	;; [unrolled: 1-line block ×8, first 2 shown]
	v_pack_b32_f16 v5, v5, v7
	v_pack_b32_f16 v4, v4, v8
	;; [unrolled: 1-line block ×4, first 2 shown]
	;;#ASMSTART
	s_nop 0
	;;#ASMEND
	buffer_store_dwordx4 v[2:5], v6, s[8:11], 16 offen
	;;#ASMSTART
	s_nop 0
	;;#ASMEND
	s_nop 0
	v_mov_b32_e32 v2, 0x2edbe6ff
.LBB639_18:
	s_or_b64 exec, exec, s[14:15]
	s_and_saveexec_b64 s[8:9], s[2:3]
	s_cbranch_execz .LBB639_20
; %bb.19:
	v_and_b32_e32 v3, 0x7fffffff, v18
	v_and_b32_e32 v4, 0x7fffffff, v19
	;;#ASMSTART
	v_max3_f32 v2, v2, v3, v4

	;;#ASMEND
	v_and_b32_e32 v3, 0x7fffffff, v24
	v_and_b32_e32 v4, 0x7fffffff, v25
	;;#ASMSTART
	v_max3_f32 v2, v2, v3, v4

	;;#ASMEND
	;; [unrolled: 6-line block ×8, first 2 shown]
.LBB639_20:
	s_or_b64 exec, exec, s[8:9]
	;;#ASMSTART
	v_max_f32 v3, v2, v2 quad_perm:[1,0,3,2] row_mask:0xf bank_mask:0xf bound_ctrl:1
	;;#ASMEND
	;;#ASMSTART
	v_max_f32 v4, v3, v3 quad_perm:[2,3,0,1] row_mask:0xf bank_mask:0xf bound_ctrl:1
	;;#ASMEND
	v_and_b32_e32 v3, 7, v0
	v_cmp_eq_u32_e32 vcc, 0, v3
	v_cmp_gt_i32_e64 s[8:9], s19, v1
	s_and_b64 s[10:11], vcc, s[8:9]
	;;#ASMSTART
	v_max_f32 v2, v4, v4 row_half_mirror row_mask:0xf bank_mask:0xf bound_ctrl:1
	;;#ASMEND
	s_and_saveexec_b64 s[8:9], s[10:11]
	s_cbranch_execz .LBB639_22
; %bb.21:
	s_load_dwordx2 s[10:11], s[4:5], 0x8
	v_mul_f32_e32 v2, 0x3e2aaaab, v2
	v_lshrrev_b32_e32 v3, 23, v2
	v_and_b32_e32 v4, 0x7f800000, v2
	v_and_b32_e32 v2, 0x7fffff, v2
	v_cmp_ne_u32_e32 vcc, 0, v2
	s_waitcnt lgkmcnt(0)
	s_mul_i32 s16, s25, s6
	s_mov_b32 s14, 0x7f800000
	v_addc_co_u32_e32 v2, vcc, 0, v3, vcc
	s_mul_hi_i32 s15, s25, s6
	s_add_u32 s10, s10, s16
	v_cmp_ne_u32_e32 vcc, s14, v4
	s_addc_u32 s11, s11, s15
	v_lshrrev_b32_e32 v5, 3, v0
	v_cndmask_b32_e32 v4, -1, v2, vcc
	v_pk_mov_b32 v[2:3], s[10:11], s[10:11] op_sel:[0,1]
	v_mad_i64_i32 v[2:3], s[10:11], s26, v5, v[2:3]
	global_store_byte v[2:3], v4, off
.LBB639_22:
	s_or_b64 exec, exec, s[8:9]
	s_and_saveexec_b64 s[8:9], s[2:3]
	s_cbranch_execz .LBB639_24
; %bb.23:
	s_load_dwordx2 s[2:3], s[4:5], 0x0
	s_waitcnt lgkmcnt(0)
	s_mul_i32 s11, s24, s6
	s_mul_hi_i32 s10, s24, s6
	v_mov_b32_e32 v2, 0
	v_lshlrev_b32_e32 v4, 3, v0
	s_add_u32 s24, s2, s11
	s_addc_u32 s2, s3, s10
	s_lshr_b32 s3, s19, 31
	s_add_i32 s3, s19, s3
	s_ashr_i32 s3, s3, 1
	s_add_i32 s3, s3, 3
	s_ashr_i32 s10, s3, 31
	s_lshr_b32 s10, s10, 30
	s_add_i32 s3, s3, s10
	s_and_b32 s26, s3, -4
	s_and_b32 s25, s2, 0xffff
	s_mov_b32 s27, 0x20000
	v_mov_b32_e32 v3, v2
	buffer_store_dwordx2 v[2:3], v4, s[24:27], 0 offen
	;;#ASMSTART
	s_nop 0
	;;#ASMEND
.LBB639_24:
	s_or_b64 exec, exec, s[8:9]
	s_cmp_lt_i32 s20, 1
	s_cbranch_scc1 .LBB639_12
.LBB639_25:
	s_load_dword s2, s[4:5], 0x94
	s_waitcnt lgkmcnt(0)
	s_cmp_lg_u32 s2, 1
	s_cbranch_scc1 .LBB639_12
; %bb.26:
	s_lshl_b32 s2, s20, 1
	s_add_i32 s2, s2, 2
	v_cmp_gt_u32_e32 vcc, s20, v1
	s_and_b32 s14, s2, -4
	v_mov_b32_e32 v18, 0
	v_lshlrev_b32_e32 v1, 5, v0
	v_mov_b32_e32 v14, 0
	v_mov_b32_e32 v15, 0
	;; [unrolled: 1-line block ×8, first 2 shown]
	s_waitcnt vmcnt(1)
	v_mov_b32_e32 v6, 0
	v_mov_b32_e32 v7, 0
	;; [unrolled: 1-line block ×4, first 2 shown]
	s_waitcnt vmcnt(0)
	v_mov_b32_e32 v2, 0
	v_mov_b32_e32 v3, 0
	;; [unrolled: 1-line block ×4, first 2 shown]
	s_barrier
	s_and_saveexec_b64 s[2:3], vcc
	s_cbranch_execz .LBB639_28
; %bb.27:
	s_mul_hi_i32 s5, s22, s6
	s_mul_i32 s4, s22, s6
	s_and_b32 s13, s13, 0xffff
	s_lshl_b64 s[4:5], s[4:5], 1
	s_add_u32 s8, s30, s4
	s_mov_b32 s15, 0x20000
	s_addc_u32 s4, s31, s5
	s_and_b32 s9, s4, 0xffff
	s_mov_b32 s10, s14
	s_mov_b32 s11, s15
	buffer_load_dwordx4 v[14:17], v1, s[8:11], 0 offen
	buffer_load_dwordx4 v[10:13], v1, s[8:11], 16 offen
	;; [unrolled: 1-line block ×4, first 2 shown]
.LBB639_28:
	s_or_b64 exec, exec, s[2:3]
	v_mov_b32_e32 v19, 0
	v_mov_b32_e32 v32, 0
	;; [unrolled: 1-line block ×15, first 2 shown]
	s_and_saveexec_b64 s[2:3], vcc
	s_cbranch_execz .LBB639_30
; %bb.29:
	s_waitcnt vmcnt(3)
	v_cvt_f32_f16_sdwa v19, v14 dst_sel:DWORD dst_unused:UNUSED_PAD src0_sel:WORD_1
	v_cvt_f32_f16_e32 v18, v14
	v_cvt_f32_f16_sdwa v33, v15 dst_sel:DWORD dst_unused:UNUSED_PAD src0_sel:WORD_1
	v_cvt_f32_f16_e32 v32, v15
	;; [unrolled: 2-line block ×4, first 2 shown]
	s_waitcnt vmcnt(2)
	v_cvt_f32_f16_sdwa v27, v10 dst_sel:DWORD dst_unused:UNUSED_PAD src0_sel:WORD_1
	v_cvt_f32_f16_e32 v26, v10
	v_cvt_f32_f16_sdwa v25, v11 dst_sel:DWORD dst_unused:UNUSED_PAD src0_sel:WORD_1
	v_cvt_f32_f16_e32 v24, v11
	;; [unrolled: 2-line block ×4, first 2 shown]
.LBB639_30:
	s_or_b64 exec, exec, s[2:3]
	s_waitcnt vmcnt(2)
	v_mul_f32_e32 v10, v19, v19
	v_fmac_f32_e32 v10, v18, v18
	v_fmac_f32_e32 v10, v32, v32
	;; [unrolled: 1-line block ×15, first 2 shown]
	s_nop 1
	v_mov_b32_dpp v11, v10 quad_perm:[1,0,3,2] row_mask:0xf bank_mask:0xf
	v_add_f32_e32 v10, v10, v11
	s_nop 1
	v_mov_b32_dpp v11, v10 quad_perm:[2,3,0,1] row_mask:0xf bank_mask:0xf
	v_add_f32_e32 v10, v10, v11
	s_nop 1
	v_mov_b32_dpp v11, v10 row_half_mirror row_mask:0xf bank_mask:0xf
	v_add_f32_e32 v10, v10, v11
	s_nop 1
	v_mov_b32_dpp v11, v10 row_mirror row_mask:0xf bank_mask:0xf
	v_add_f32_e32 v10, v10, v11
	s_nop 1
	v_mov_b32_dpp v11, v10 row_bcast:15 row_mask:0xf bank_mask:0xf
	v_add_f32_e32 v10, v10, v11
	s_nop 1
	v_mov_b32_dpp v11, v10 row_bcast:31 row_mask:0xf bank_mask:0xf
	s_and_saveexec_b64 s[2:3], s[0:1]
	s_cbranch_execz .LBB639_32
; %bb.31:
	v_lshrrev_b32_e32 v0, 4, v0
	v_add_f32_e32 v10, v10, v11
	v_and_b32_e32 v0, 60, v0
	ds_write_b32 v0, v10
.LBB639_32:
	s_or_b64 exec, exec, s[2:3]
	s_waitcnt lgkmcnt(0)
	s_barrier
	ds_read_b32 v0, v34
	s_waitcnt lgkmcnt(0)
	s_nop 0
	v_mov_b32_dpp v10, v0 quad_perm:[1,0,3,2] row_mask:0xf bank_mask:0xf
	s_and_saveexec_b64 s[0:1], vcc
	s_cbranch_execz .LBB639_12
; %bb.33:
	v_cvt_f32_u32_e32 v11, s20
	v_add_f32_e32 v0, v0, v10
	s_mov_b32 s15, 0x20000
	v_div_scale_f32 v10, s[0:1], v11, v11, v0
	v_rcp_f32_e32 v12, v10
	v_div_scale_f32 v13, vcc, v0, v11, v0
	s_mov_b32 s0, 0x800000
	v_fma_f32 v14, -v10, v12, 1.0
	v_fmac_f32_e32 v12, v14, v12
	v_mul_f32_e32 v14, v13, v12
	v_fma_f32 v15, -v10, v14, v13
	v_fmac_f32_e32 v14, v15, v12
	v_fma_f32 v10, -v10, v14, v13
	v_div_fmas_f32 v10, v10, v12, v14
	v_div_fixup_f32 v0, v10, v11, v0
	v_add_f32_e32 v0, s17, v0
	v_mul_f32_e32 v10, 0x4b800000, v0
	v_cmp_gt_f32_e32 vcc, s0, v0
	v_cndmask_b32_e32 v0, v0, v10, vcc
	v_rsq_f32_e32 v0, v0
	s_mul_hi_i32 s1, s7, s6
	s_mul_i32 s0, s7, s6
	s_lshl_b64 s[0:1], s[0:1], 1
	v_mul_f32_e32 v10, 0x45800000, v0
	v_cndmask_b32_e32 v10, v0, v10, vcc
	v_mov_b32_e32 v11, v10
	;;#ASMSTART
	v_pk_mul_f32 v[12:13], v[18:19], v[10:11]
	;;#ASMEND
	;;#ASMSTART
	v_pk_mul_f32 v[14:15], v[32:33], v[10:11]
	;;#ASMEND
	;; [unrolled: 3-line block ×8, first 2 shown]
	s_waitcnt vmcnt(1)
	v_cvt_f32_f16_sdwa v21, v6 dst_sel:DWORD dst_unused:UNUSED_PAD src0_sel:WORD_1
	v_cvt_f32_f16_e32 v20, v6
	v_cvt_f32_f16_sdwa v29, v7 dst_sel:DWORD dst_unused:UNUSED_PAD src0_sel:WORD_1
	v_cvt_f32_f16_e32 v28, v7
	;; [unrolled: 2-line block ×4, first 2 shown]
	;;#ASMSTART
	v_pk_mul_f32 v[8:9], v[12:13], v[20:21]
	;;#ASMEND
	;;#ASMSTART
	v_pk_mul_f32 v[12:13], v[14:15], v[28:29]
	;;#ASMEND
	;; [unrolled: 3-line block ×4, first 2 shown]
	s_waitcnt vmcnt(0)
	v_cvt_f32_f16_sdwa v17, v2 dst_sel:DWORD dst_unused:UNUSED_PAD src0_sel:WORD_1
	v_cvt_f32_f16_e32 v16, v2
	v_cvt_f32_f16_sdwa v19, v3 dst_sel:DWORD dst_unused:UNUSED_PAD src0_sel:WORD_1
	v_cvt_f32_f16_e32 v18, v3
	;; [unrolled: 2-line block ×4, first 2 shown]
	;;#ASMSTART
	v_pk_mul_f32 v[16:17], v[26:27], v[16:17]
	;;#ASMEND
	;;#ASMSTART
	v_pk_mul_f32 v[18:19], v[24:25], v[18:19]
	;;#ASMEND
	;; [unrolled: 3-line block ×3, first 2 shown]
	v_cvt_f16_f32_e32 v0, v8
	v_cvt_f16_f32_e32 v2, v9
	;; [unrolled: 1-line block ×8, first 2 shown]
	s_add_u32 s12, s28, s0
	s_addc_u32 s0, s29, s1
	s_and_b32 s13, s0, 0xffff
	v_pack_b32_f16 v2, v0, v2
	v_pack_b32_f16 v3, v3, v4
	v_pack_b32_f16 v4, v5, v6
	v_pack_b32_f16 v5, v7, v8
	;;#ASMSTART
	v_pk_mul_f32 v[10:11], v[10:11], v[20:21]
	;;#ASMEND
	buffer_store_dwordx4 v[2:5], v1, s[12:15], 0 offen
	v_cvt_f16_f32_e32 v0, v16
	v_cvt_f16_f32_e32 v2, v17
	;; [unrolled: 1-line block ×8, first 2 shown]
	v_pack_b32_f16 v2, v0, v2
	v_pack_b32_f16 v3, v3, v4
	;; [unrolled: 1-line block ×4, first 2 shown]
	;;#ASMSTART
	s_nop 0
	;;#ASMEND
	buffer_store_dwordx4 v[2:5], v1, s[12:15], 16 offen
	;;#ASMSTART
	s_nop 0
	;;#ASMEND
	s_endpgm
	.section	.rodata,"a",@progbits
	.p2align	6, 0x0
	.amdhsa_kernel _ZN5aiter35fused_qk_rmsnorm_group_quant_kernelIDF16_N4opus5fp4_tELi128ELi16ELi8ELb0ELb1ELb0ELb0ELb0ELb0EEEvPT0_PvPT_S7_S7_PKS6_S9_S9_S9_S9_ffiiiiiiiiiiiii
		.amdhsa_group_segment_fixed_size 16
		.amdhsa_private_segment_fixed_size 0
		.amdhsa_kernarg_size 400
		.amdhsa_user_sgpr_count 6
		.amdhsa_user_sgpr_private_segment_buffer 1
		.amdhsa_user_sgpr_dispatch_ptr 0
		.amdhsa_user_sgpr_queue_ptr 0
		.amdhsa_user_sgpr_kernarg_segment_ptr 1
		.amdhsa_user_sgpr_dispatch_id 0
		.amdhsa_user_sgpr_flat_scratch_init 0
		.amdhsa_user_sgpr_kernarg_preload_length 0
		.amdhsa_user_sgpr_kernarg_preload_offset 0
		.amdhsa_user_sgpr_private_segment_size 0
		.amdhsa_uses_dynamic_stack 0
		.amdhsa_system_sgpr_private_segment_wavefront_offset 0
		.amdhsa_system_sgpr_workgroup_id_x 1
		.amdhsa_system_sgpr_workgroup_id_y 1
		.amdhsa_system_sgpr_workgroup_id_z 0
		.amdhsa_system_sgpr_workgroup_info 0
		.amdhsa_system_vgpr_workitem_id 0
		.amdhsa_next_free_vgpr 35
		.amdhsa_next_free_sgpr 36
		.amdhsa_accum_offset 36
		.amdhsa_reserve_vcc 1
		.amdhsa_reserve_flat_scratch 0
		.amdhsa_float_round_mode_32 0
		.amdhsa_float_round_mode_16_64 0
		.amdhsa_float_denorm_mode_32 3
		.amdhsa_float_denorm_mode_16_64 3
		.amdhsa_dx10_clamp 1
		.amdhsa_ieee_mode 1
		.amdhsa_fp16_overflow 0
		.amdhsa_tg_split 0
		.amdhsa_exception_fp_ieee_invalid_op 0
		.amdhsa_exception_fp_denorm_src 0
		.amdhsa_exception_fp_ieee_div_zero 0
		.amdhsa_exception_fp_ieee_overflow 0
		.amdhsa_exception_fp_ieee_underflow 0
		.amdhsa_exception_fp_ieee_inexact 0
		.amdhsa_exception_int_div_zero 0
	.end_amdhsa_kernel
	.section	.text._ZN5aiter35fused_qk_rmsnorm_group_quant_kernelIDF16_N4opus5fp4_tELi128ELi16ELi8ELb0ELb1ELb0ELb0ELb0ELb0EEEvPT0_PvPT_S7_S7_PKS6_S9_S9_S9_S9_ffiiiiiiiiiiiii,"axG",@progbits,_ZN5aiter35fused_qk_rmsnorm_group_quant_kernelIDF16_N4opus5fp4_tELi128ELi16ELi8ELb0ELb1ELb0ELb0ELb0ELb0EEEvPT0_PvPT_S7_S7_PKS6_S9_S9_S9_S9_ffiiiiiiiiiiiii,comdat
.Lfunc_end639:
	.size	_ZN5aiter35fused_qk_rmsnorm_group_quant_kernelIDF16_N4opus5fp4_tELi128ELi16ELi8ELb0ELb1ELb0ELb0ELb0ELb0EEEvPT0_PvPT_S7_S7_PKS6_S9_S9_S9_S9_ffiiiiiiiiiiiii, .Lfunc_end639-_ZN5aiter35fused_qk_rmsnorm_group_quant_kernelIDF16_N4opus5fp4_tELi128ELi16ELi8ELb0ELb1ELb0ELb0ELb0ELb0EEEvPT0_PvPT_S7_S7_PKS6_S9_S9_S9_S9_ffiiiiiiiiiiiii
                                        ; -- End function
	.section	.AMDGPU.csdata,"",@progbits
; Kernel info:
; codeLenInByte = 3316
; NumSgprs: 40
; NumVgprs: 35
; NumAgprs: 0
; TotalNumVgprs: 35
; ScratchSize: 0
; MemoryBound: 0
; FloatMode: 240
; IeeeMode: 1
; LDSByteSize: 16 bytes/workgroup (compile time only)
; SGPRBlocks: 4
; VGPRBlocks: 4
; NumSGPRsForWavesPerEU: 40
; NumVGPRsForWavesPerEU: 35
; AccumOffset: 36
; Occupancy: 8
; WaveLimiterHint : 0
; COMPUTE_PGM_RSRC2:SCRATCH_EN: 0
; COMPUTE_PGM_RSRC2:USER_SGPR: 6
; COMPUTE_PGM_RSRC2:TRAP_HANDLER: 0
; COMPUTE_PGM_RSRC2:TGID_X_EN: 1
; COMPUTE_PGM_RSRC2:TGID_Y_EN: 1
; COMPUTE_PGM_RSRC2:TGID_Z_EN: 0
; COMPUTE_PGM_RSRC2:TIDIG_COMP_CNT: 0
; COMPUTE_PGM_RSRC3_GFX90A:ACCUM_OFFSET: 8
; COMPUTE_PGM_RSRC3_GFX90A:TG_SPLIT: 0
	.section	.text._ZN5aiter35fused_qk_rmsnorm_group_quant_kernelItN4opus5fp4_tELi128ELi16ELi8ELb0ELb1ELb0ELb0ELb0ELb0EEEvPT0_PvPT_S7_S7_PKS6_S9_S9_S9_S9_ffiiiiiiiiiiiii,"axG",@progbits,_ZN5aiter35fused_qk_rmsnorm_group_quant_kernelItN4opus5fp4_tELi128ELi16ELi8ELb0ELb1ELb0ELb0ELb0ELb0EEEvPT0_PvPT_S7_S7_PKS6_S9_S9_S9_S9_ffiiiiiiiiiiiii,comdat
	.protected	_ZN5aiter35fused_qk_rmsnorm_group_quant_kernelItN4opus5fp4_tELi128ELi16ELi8ELb0ELb1ELb0ELb0ELb0ELb0EEEvPT0_PvPT_S7_S7_PKS6_S9_S9_S9_S9_ffiiiiiiiiiiiii ; -- Begin function _ZN5aiter35fused_qk_rmsnorm_group_quant_kernelItN4opus5fp4_tELi128ELi16ELi8ELb0ELb1ELb0ELb0ELb0ELb0EEEvPT0_PvPT_S7_S7_PKS6_S9_S9_S9_S9_ffiiiiiiiiiiiii
	.globl	_ZN5aiter35fused_qk_rmsnorm_group_quant_kernelItN4opus5fp4_tELi128ELi16ELi8ELb0ELb1ELb0ELb0ELb0ELb0EEEvPT0_PvPT_S7_S7_PKS6_S9_S9_S9_S9_ffiiiiiiiiiiiii
	.p2align	8
	.type	_ZN5aiter35fused_qk_rmsnorm_group_quant_kernelItN4opus5fp4_tELi128ELi16ELi8ELb0ELb1ELb0ELb0ELb0ELb0EEEvPT0_PvPT_S7_S7_PKS6_S9_S9_S9_S9_ffiiiiiiiiiiiii,@function
_ZN5aiter35fused_qk_rmsnorm_group_quant_kernelItN4opus5fp4_tELi128ELi16ELi8ELb0ELb1ELb0ELb0ELb0ELb0EEEvPT0_PvPT_S7_S7_PKS6_S9_S9_S9_S9_ffiiiiiiiiiiiii: ; @_ZN5aiter35fused_qk_rmsnorm_group_quant_kernelItN4opus5fp4_tELi128ELi16ELi8ELb0ELb1ELb0ELb0ELb0ELb0EEEvPT0_PvPT_S7_S7_PKS6_S9_S9_S9_S9_ffiiiiiiiiiiiii
; %bb.0:
	s_load_dwordx4 s[16:19], s[4:5], 0x50
	s_waitcnt lgkmcnt(0)
	s_cmp_ge_i32 s6, s18
	s_cbranch_scc1 .LBB640_12
; %bb.1:
	s_load_dwordx2 s[12:13], s[4:5], 0x48
	s_load_dwordx2 s[30:31], s[4:5], 0x30
	s_load_dwordx4 s[20:23], s[4:5], 0x60
	s_cmp_lg_u32 s7, 0
	s_cselect_b64 s[14:15], -1, 0
	s_cmp_eq_u32 s7, 0
	s_cselect_b64 vcc, -1, 0
	s_and_b64 s[0:1], vcc, exec
	s_waitcnt lgkmcnt(0)
	s_cselect_b32 s7, s19, s20
	s_add_i32 s0, s7, 1
	s_lshr_b32 s1, s0, 31
	s_add_i32 s0, s0, s1
	s_lshl_b32 s0, s0, 1
	v_lshlrev_b32_e32 v1, 4, v0
	s_and_b32 s10, s0, -4
	v_cmp_gt_i32_e64 s[2:3], s7, v1
	v_mov_b32_e32 v18, 0
	v_mov_b32_e32 v6, 0
	;; [unrolled: 1-line block ×17, first 2 shown]
	s_and_saveexec_b64 s[0:1], s[2:3]
	s_cbranch_execz .LBB640_3
; %bb.2:
	s_load_dwordx2 s[8:9], s[4:5], 0x28
	s_load_dwordx2 s[26:27], s[4:5], 0x40
	s_and_b64 s[24:25], vcc, exec
	s_cselect_b32 s11, s21, s22
	v_lshlrev_b32_e32 v19, 5, v0
	s_waitcnt lgkmcnt(0)
	s_cselect_b32 s18, s9, s31
	s_cselect_b32 s21, s8, s30
	s_mul_hi_i32 s9, s11, s6
	s_mul_i32 s8, s11, s6
	s_lshl_b64 s[8:9], s[8:9], 1
	s_add_u32 s24, s21, s8
	s_addc_u32 s18, s18, s9
	s_and_b64 s[8:9], vcc, exec
	s_mov_b32 s11, 0x20000
	s_cselect_b32 s8, s26, s12
	s_cselect_b32 s9, s27, s13
	s_and_b32 s25, s18, 0xffff
	s_mov_b32 s26, s10
	s_mov_b32 s27, s11
	s_and_b32 s9, s9, 0xffff
	buffer_load_dwordx4 v[14:17], v19, s[24:27], 0 offen
	buffer_load_dwordx4 v[10:13], v19, s[24:27], 16 offen
	;; [unrolled: 1-line block ×4, first 2 shown]
.LBB640_3:
	s_or_b64 exec, exec, s[0:1]
	v_mov_b32_e32 v19, 0
	v_mov_b32_e32 v24, 0
	;; [unrolled: 1-line block ×15, first 2 shown]
	s_and_saveexec_b64 s[0:1], s[2:3]
	s_cbranch_execz .LBB640_5
; %bb.4:
	s_waitcnt vmcnt(3)
	v_cvt_f32_u32_sdwa v18, v14 dst_sel:DWORD dst_unused:UNUSED_PAD src0_sel:WORD_0
	v_cvt_f32_u32_sdwa v19, v14 dst_sel:DWORD dst_unused:UNUSED_PAD src0_sel:WORD_1
	v_cvt_f32_u32_sdwa v24, v15 dst_sel:DWORD dst_unused:UNUSED_PAD src0_sel:WORD_0
	v_cvt_f32_u32_sdwa v25, v15 dst_sel:DWORD dst_unused:UNUSED_PAD src0_sel:WORD_1
	;; [unrolled: 2-line block ×4, first 2 shown]
	s_waitcnt vmcnt(2)
	v_cvt_f32_u32_sdwa v32, v10 dst_sel:DWORD dst_unused:UNUSED_PAD src0_sel:WORD_0
	v_cvt_f32_u32_sdwa v33, v10 dst_sel:DWORD dst_unused:UNUSED_PAD src0_sel:WORD_1
	v_cvt_f32_u32_sdwa v30, v11 dst_sel:DWORD dst_unused:UNUSED_PAD src0_sel:WORD_0
	v_cvt_f32_u32_sdwa v31, v11 dst_sel:DWORD dst_unused:UNUSED_PAD src0_sel:WORD_1
	;; [unrolled: 2-line block ×4, first 2 shown]
.LBB640_5:
	s_or_b64 exec, exec, s[0:1]
	s_waitcnt vmcnt(2)
	v_mul_f32_e32 v10, v19, v19
	v_fmac_f32_e32 v10, v18, v18
	v_fmac_f32_e32 v10, v24, v24
	;; [unrolled: 1-line block ×15, first 2 shown]
	v_and_b32_e32 v12, 63, v0
	v_cmp_eq_u32_e64 s[0:1], 63, v12
	v_mov_b32_dpp v11, v10 quad_perm:[1,0,3,2] row_mask:0xf bank_mask:0xf
	v_add_f32_e32 v10, v10, v11
	s_nop 1
	v_mov_b32_dpp v11, v10 quad_perm:[2,3,0,1] row_mask:0xf bank_mask:0xf
	v_add_f32_e32 v10, v10, v11
	s_nop 1
	v_mov_b32_dpp v11, v10 row_half_mirror row_mask:0xf bank_mask:0xf
	v_add_f32_e32 v10, v10, v11
	s_nop 1
	v_mov_b32_dpp v11, v10 row_mirror row_mask:0xf bank_mask:0xf
	v_add_f32_e32 v10, v10, v11
	s_nop 1
	v_mov_b32_dpp v11, v10 row_bcast:15 row_mask:0xf bank_mask:0xf
	v_add_f32_e32 v10, v10, v11
	s_nop 1
	v_mov_b32_dpp v11, v10 row_bcast:31 row_mask:0xf bank_mask:0xf
	s_and_saveexec_b64 s[8:9], s[0:1]
	s_cbranch_execz .LBB640_7
; %bb.6:
	v_add_f32_e32 v10, v10, v11
	v_lshrrev_b32_e32 v11, 4, v0
	v_and_b32_e32 v11, 60, v11
	ds_write_b32 v11, v10 offset:8
.LBB640_7:
	s_or_b64 exec, exec, s[8:9]
	v_and_b32_e32 v10, 1, v0
	v_lshlrev_b32_e32 v34, 2, v10
	s_waitcnt lgkmcnt(0)
	s_barrier
	ds_read_b32 v10, v34 offset:8
	s_load_dwordx2 s[28:29], s[4:5], 0x18
	s_waitcnt lgkmcnt(0)
	v_mov_b32_dpp v11, v10 quad_perm:[1,0,3,2] row_mask:0xf bank_mask:0xf
	s_and_saveexec_b64 s[8:9], s[2:3]
	s_cbranch_execz .LBB640_9
; %bb.8:
	v_cvt_f32_u32_e32 v12, s7
	v_add_f32_e32 v10, v10, v11
	v_mov_b32_e32 v14, s17
	v_mov_b32_e32 v15, s16
	v_div_scale_f32 v11, s[24:25], v12, v12, v10
	v_rcp_f32_e32 v13, v11
	v_cndmask_b32_e32 v14, v14, v15, vcc
	s_mov_b32 s7, 0x800000
	v_fma_f32 v15, -v11, v13, 1.0
	v_fmac_f32_e32 v13, v15, v13
	v_div_scale_f32 v15, vcc, v10, v12, v10
	v_mul_f32_e32 v16, v15, v13
	v_fma_f32 v17, -v11, v16, v15
	v_fmac_f32_e32 v16, v17, v13
	v_fma_f32 v11, -v11, v16, v15
	v_div_fmas_f32 v11, v11, v13, v16
	v_div_fixup_f32 v10, v11, v12, v10
	v_add_f32_e32 v10, v14, v10
	v_mul_f32_e32 v11, 0x4b800000, v10
	v_cmp_gt_f32_e32 vcc, s7, v10
	v_cndmask_b32_e32 v10, v10, v11, vcc
	v_rsq_f32_e32 v10, v10
	v_mul_f32_e32 v11, 0x45800000, v10
	v_cndmask_b32_e32 v10, v10, v11, vcc
	v_mov_b32_e32 v11, v10
	;;#ASMSTART
	v_pk_mul_f32 v[12:13], v[18:19], v[10:11]
	;;#ASMEND
	;;#ASMSTART
	v_pk_mul_f32 v[14:15], v[24:25], v[10:11]
	;;#ASMEND
	;; [unrolled: 3-line block ×8, first 2 shown]
	s_waitcnt vmcnt(1)
	v_cvt_f32_u32_sdwa v19, v6 dst_sel:DWORD dst_unused:UNUSED_PAD src0_sel:WORD_1
	v_cvt_f32_u32_sdwa v18, v6 dst_sel:DWORD dst_unused:UNUSED_PAD src0_sel:WORD_0
	v_cvt_f32_u32_sdwa v21, v7 dst_sel:DWORD dst_unused:UNUSED_PAD src0_sel:WORD_1
	v_cvt_f32_u32_sdwa v20, v7 dst_sel:DWORD dst_unused:UNUSED_PAD src0_sel:WORD_0
	;; [unrolled: 2-line block ×4, first 2 shown]
	;;#ASMSTART
	v_pk_mul_f32 v[18:19], v[12:13], v[18:19]
	;;#ASMEND
	;;#ASMSTART
	v_pk_mul_f32 v[24:25], v[14:15], v[20:21]
	;;#ASMEND
	;; [unrolled: 3-line block ×4, first 2 shown]
	s_waitcnt vmcnt(0)
	v_cvt_f32_u32_sdwa v7, v2 dst_sel:DWORD dst_unused:UNUSED_PAD src0_sel:WORD_1
	v_cvt_f32_u32_sdwa v6, v2 dst_sel:DWORD dst_unused:UNUSED_PAD src0_sel:WORD_0
	v_cvt_f32_u32_sdwa v9, v3 dst_sel:DWORD dst_unused:UNUSED_PAD src0_sel:WORD_1
	v_cvt_f32_u32_sdwa v8, v3 dst_sel:DWORD dst_unused:UNUSED_PAD src0_sel:WORD_0
	;; [unrolled: 2-line block ×4, first 2 shown]
	;;#ASMSTART
	v_pk_mul_f32 v[32:33], v[32:33], v[6:7]
	;;#ASMEND
	;;#ASMSTART
	v_pk_mul_f32 v[30:31], v[30:31], v[8:9]
	;;#ASMEND
	;; [unrolled: 3-line block ×4, first 2 shown]
.LBB640_9:
	s_or_b64 exec, exec, s[8:9]
	s_load_dword s7, s[4:5], 0x80
	s_mov_b64 s[8:9], -1
	s_and_b64 vcc, exec, s[14:15]
	s_cbranch_vccnz .LBB640_13
; %bb.10:
	s_andn2_b64 vcc, exec, s[8:9]
	s_cbranch_vccz .LBB640_16
.LBB640_11:
	s_cmp_lt_i32 s20, 1
	s_cbranch_scc0 .LBB640_25
.LBB640_12:
	s_endpgm
.LBB640_13:
	s_and_saveexec_b64 s[14:15], s[2:3]
	s_cbranch_execz .LBB640_15
; %bb.14:
	s_waitcnt lgkmcnt(0)
	s_mul_hi_i32 s9, s7, s6
	s_mul_i32 s8, s7, s6
	s_lshl_b64 s[8:9], s[8:9], 1
	s_add_u32 s8, s28, s8
	s_addc_u32 s9, s29, s9
	s_mov_b32 s16, 0x7060302
	s_and_b32 s9, s9, 0xffff
	s_mov_b32 s11, 0x20000
	s_waitcnt vmcnt(0)
	v_perm_b32 v5, v23, v22, s16
	v_perm_b32 v4, v21, v20, s16
	;; [unrolled: 1-line block ×4, first 2 shown]
	v_lshlrev_b32_e32 v6, 5, v0
	buffer_store_dwordx4 v[2:5], v6, s[8:11], 0 offen
	;;#ASMSTART
	s_nop 0
	;;#ASMEND
	s_nop 0
	v_perm_b32 v5, v29, v28, s16
	v_perm_b32 v4, v27, v26, s16
	;; [unrolled: 1-line block ×4, first 2 shown]
	buffer_store_dwordx4 v[2:5], v6, s[8:11], 16 offen
	;;#ASMSTART
	s_nop 0
	;;#ASMEND
.LBB640_15:
	s_or_b64 exec, exec, s[14:15]
	s_cbranch_execnz .LBB640_11
.LBB640_16:
	s_load_dwordx4 s[24:27], s[4:5], 0x70
	s_waitcnt vmcnt(0)
	v_mov_b32_e32 v2, 0
	s_and_saveexec_b64 s[14:15], s[2:3]
	s_cbranch_execz .LBB640_18
; %bb.17:
	s_load_dwordx2 s[8:9], s[4:5], 0x10
	s_waitcnt lgkmcnt(0)
	s_mul_hi_i32 s35, s27, s6
	s_mul_i32 s34, s27, s6
	s_lshl_b64 s[34:35], s[34:35], 1
	s_mov_b32 s16, 0x7060302
	s_add_u32 s8, s8, s34
	s_addc_u32 s9, s9, s35
	s_mov_b32 s11, 0x20000
	s_and_b32 s9, s9, 0xffff
	v_perm_b32 v5, v23, v22, s16
	v_perm_b32 v4, v21, v20, s16
	;; [unrolled: 1-line block ×4, first 2 shown]
	v_lshlrev_b32_e32 v6, 5, v0
	buffer_store_dwordx4 v[2:5], v6, s[8:11], 0 offen
	;;#ASMSTART
	s_nop 0
	;;#ASMEND
	s_nop 0
	v_perm_b32 v5, v29, v28, s16
	v_perm_b32 v4, v27, v26, s16
	;; [unrolled: 1-line block ×4, first 2 shown]
	buffer_store_dwordx4 v[2:5], v6, s[8:11], 16 offen
	;;#ASMSTART
	s_nop 0
	;;#ASMEND
	s_nop 0
	v_mov_b32_e32 v2, 0x2edbe6ff
.LBB640_18:
	s_or_b64 exec, exec, s[14:15]
	s_and_saveexec_b64 s[8:9], s[2:3]
	s_cbranch_execz .LBB640_20
; %bb.19:
	v_and_b32_e32 v3, 0x7fffffff, v18
	v_and_b32_e32 v4, 0x7fffffff, v19
	;;#ASMSTART
	v_max3_f32 v2, v2, v3, v4

	;;#ASMEND
	v_and_b32_e32 v3, 0x7fffffff, v24
	v_and_b32_e32 v4, 0x7fffffff, v25
	;;#ASMSTART
	v_max3_f32 v2, v2, v3, v4

	;;#ASMEND
	;; [unrolled: 6-line block ×8, first 2 shown]
.LBB640_20:
	s_or_b64 exec, exec, s[8:9]
	;;#ASMSTART
	v_max_f32 v3, v2, v2 quad_perm:[1,0,3,2] row_mask:0xf bank_mask:0xf bound_ctrl:1
	;;#ASMEND
	;;#ASMSTART
	v_max_f32 v4, v3, v3 quad_perm:[2,3,0,1] row_mask:0xf bank_mask:0xf bound_ctrl:1
	;;#ASMEND
	v_and_b32_e32 v3, 7, v0
	v_cmp_eq_u32_e32 vcc, 0, v3
	v_cmp_gt_i32_e64 s[8:9], s19, v1
	s_and_b64 s[10:11], vcc, s[8:9]
	;;#ASMSTART
	v_max_f32 v2, v4, v4 row_half_mirror row_mask:0xf bank_mask:0xf bound_ctrl:1
	;;#ASMEND
	s_and_saveexec_b64 s[8:9], s[10:11]
	s_cbranch_execz .LBB640_22
; %bb.21:
	s_load_dwordx2 s[10:11], s[4:5], 0x8
	v_mul_f32_e32 v2, 0x3e2aaaab, v2
	v_lshrrev_b32_e32 v3, 23, v2
	v_and_b32_e32 v4, 0x7f800000, v2
	v_and_b32_e32 v2, 0x7fffff, v2
	v_cmp_ne_u32_e32 vcc, 0, v2
	s_waitcnt lgkmcnt(0)
	s_mul_i32 s16, s25, s6
	s_mov_b32 s14, 0x7f800000
	v_addc_co_u32_e32 v2, vcc, 0, v3, vcc
	s_mul_hi_i32 s15, s25, s6
	s_add_u32 s10, s10, s16
	v_cmp_ne_u32_e32 vcc, s14, v4
	s_addc_u32 s11, s11, s15
	v_lshrrev_b32_e32 v5, 3, v0
	v_cndmask_b32_e32 v4, -1, v2, vcc
	v_pk_mov_b32 v[2:3], s[10:11], s[10:11] op_sel:[0,1]
	v_mad_i64_i32 v[2:3], s[10:11], s26, v5, v[2:3]
	global_store_byte v[2:3], v4, off
.LBB640_22:
	s_or_b64 exec, exec, s[8:9]
	s_and_saveexec_b64 s[8:9], s[2:3]
	s_cbranch_execz .LBB640_24
; %bb.23:
	s_load_dwordx2 s[2:3], s[4:5], 0x0
	s_waitcnt lgkmcnt(0)
	s_mul_i32 s11, s24, s6
	s_mul_hi_i32 s10, s24, s6
	v_mov_b32_e32 v2, 0
	v_lshlrev_b32_e32 v4, 3, v0
	s_add_u32 s24, s2, s11
	s_addc_u32 s2, s3, s10
	s_lshr_b32 s3, s19, 31
	s_add_i32 s3, s19, s3
	s_ashr_i32 s3, s3, 1
	s_add_i32 s3, s3, 3
	s_ashr_i32 s10, s3, 31
	s_lshr_b32 s10, s10, 30
	s_add_i32 s3, s3, s10
	s_and_b32 s26, s3, -4
	s_and_b32 s25, s2, 0xffff
	s_mov_b32 s27, 0x20000
	v_mov_b32_e32 v3, v2
	buffer_store_dwordx2 v[2:3], v4, s[24:27], 0 offen
	;;#ASMSTART
	s_nop 0
	;;#ASMEND
.LBB640_24:
	s_or_b64 exec, exec, s[8:9]
	s_cmp_lt_i32 s20, 1
	s_cbranch_scc1 .LBB640_12
.LBB640_25:
	s_load_dword s2, s[4:5], 0x94
	s_waitcnt lgkmcnt(0)
	s_cmp_lg_u32 s2, 1
	s_cbranch_scc1 .LBB640_12
; %bb.26:
	s_lshl_b32 s2, s20, 1
	s_add_i32 s2, s2, 2
	v_cmp_gt_u32_e32 vcc, s20, v1
	s_and_b32 s14, s2, -4
	v_mov_b32_e32 v18, 0
	v_lshlrev_b32_e32 v1, 5, v0
	v_mov_b32_e32 v14, 0
	v_mov_b32_e32 v15, 0
	;; [unrolled: 1-line block ×8, first 2 shown]
	s_waitcnt vmcnt(1)
	v_mov_b32_e32 v6, 0
	v_mov_b32_e32 v7, 0
	;; [unrolled: 1-line block ×4, first 2 shown]
	s_waitcnt vmcnt(0)
	v_mov_b32_e32 v2, 0
	v_mov_b32_e32 v3, 0
	;; [unrolled: 1-line block ×4, first 2 shown]
	s_barrier
	s_and_saveexec_b64 s[2:3], vcc
	s_cbranch_execz .LBB640_28
; %bb.27:
	s_mul_hi_i32 s5, s22, s6
	s_mul_i32 s4, s22, s6
	s_and_b32 s13, s13, 0xffff
	s_lshl_b64 s[4:5], s[4:5], 1
	s_add_u32 s8, s30, s4
	s_mov_b32 s15, 0x20000
	s_addc_u32 s4, s31, s5
	s_and_b32 s9, s4, 0xffff
	s_mov_b32 s10, s14
	s_mov_b32 s11, s15
	buffer_load_dwordx4 v[14:17], v1, s[8:11], 0 offen
	buffer_load_dwordx4 v[10:13], v1, s[8:11], 16 offen
	;; [unrolled: 1-line block ×4, first 2 shown]
.LBB640_28:
	s_or_b64 exec, exec, s[2:3]
	v_mov_b32_e32 v19, 0
	v_mov_b32_e32 v32, 0
	;; [unrolled: 1-line block ×15, first 2 shown]
	s_and_saveexec_b64 s[2:3], vcc
	s_cbranch_execz .LBB640_30
; %bb.29:
	s_waitcnt vmcnt(3)
	v_cvt_f32_u32_sdwa v18, v14 dst_sel:DWORD dst_unused:UNUSED_PAD src0_sel:WORD_0
	v_cvt_f32_u32_sdwa v19, v14 dst_sel:DWORD dst_unused:UNUSED_PAD src0_sel:WORD_1
	v_cvt_f32_u32_sdwa v32, v15 dst_sel:DWORD dst_unused:UNUSED_PAD src0_sel:WORD_0
	v_cvt_f32_u32_sdwa v33, v15 dst_sel:DWORD dst_unused:UNUSED_PAD src0_sel:WORD_1
	v_cvt_f32_u32_sdwa v30, v16 dst_sel:DWORD dst_unused:UNUSED_PAD src0_sel:WORD_0
	v_cvt_f32_u32_sdwa v31, v16 dst_sel:DWORD dst_unused:UNUSED_PAD src0_sel:WORD_1
	v_cvt_f32_u32_sdwa v28, v17 dst_sel:DWORD dst_unused:UNUSED_PAD src0_sel:WORD_0
	v_cvt_f32_u32_sdwa v29, v17 dst_sel:DWORD dst_unused:UNUSED_PAD src0_sel:WORD_1
	s_waitcnt vmcnt(2)
	v_cvt_f32_u32_sdwa v26, v10 dst_sel:DWORD dst_unused:UNUSED_PAD src0_sel:WORD_0
	v_cvt_f32_u32_sdwa v27, v10 dst_sel:DWORD dst_unused:UNUSED_PAD src0_sel:WORD_1
	v_cvt_f32_u32_sdwa v24, v11 dst_sel:DWORD dst_unused:UNUSED_PAD src0_sel:WORD_0
	v_cvt_f32_u32_sdwa v25, v11 dst_sel:DWORD dst_unused:UNUSED_PAD src0_sel:WORD_1
	;; [unrolled: 2-line block ×4, first 2 shown]
.LBB640_30:
	s_or_b64 exec, exec, s[2:3]
	s_waitcnt vmcnt(2)
	v_mul_f32_e32 v10, v19, v19
	v_fmac_f32_e32 v10, v18, v18
	v_fmac_f32_e32 v10, v32, v32
	;; [unrolled: 1-line block ×15, first 2 shown]
	s_nop 1
	v_mov_b32_dpp v11, v10 quad_perm:[1,0,3,2] row_mask:0xf bank_mask:0xf
	v_add_f32_e32 v10, v10, v11
	s_nop 1
	v_mov_b32_dpp v11, v10 quad_perm:[2,3,0,1] row_mask:0xf bank_mask:0xf
	v_add_f32_e32 v10, v10, v11
	s_nop 1
	v_mov_b32_dpp v11, v10 row_half_mirror row_mask:0xf bank_mask:0xf
	v_add_f32_e32 v10, v10, v11
	s_nop 1
	v_mov_b32_dpp v11, v10 row_mirror row_mask:0xf bank_mask:0xf
	v_add_f32_e32 v10, v10, v11
	s_nop 1
	v_mov_b32_dpp v11, v10 row_bcast:15 row_mask:0xf bank_mask:0xf
	v_add_f32_e32 v10, v10, v11
	s_nop 1
	v_mov_b32_dpp v11, v10 row_bcast:31 row_mask:0xf bank_mask:0xf
	s_and_saveexec_b64 s[2:3], s[0:1]
	s_cbranch_execz .LBB640_32
; %bb.31:
	v_lshrrev_b32_e32 v0, 4, v0
	v_add_f32_e32 v10, v10, v11
	v_and_b32_e32 v0, 60, v0
	ds_write_b32 v0, v10
.LBB640_32:
	s_or_b64 exec, exec, s[2:3]
	s_waitcnt lgkmcnt(0)
	s_barrier
	ds_read_b32 v0, v34
	s_waitcnt lgkmcnt(0)
	s_nop 0
	v_mov_b32_dpp v10, v0 quad_perm:[1,0,3,2] row_mask:0xf bank_mask:0xf
	s_and_saveexec_b64 s[0:1], vcc
	s_cbranch_execz .LBB640_12
; %bb.33:
	v_cvt_f32_u32_e32 v11, s20
	v_add_f32_e32 v0, v0, v10
	s_mov_b32 s15, 0x20000
	v_div_scale_f32 v10, s[0:1], v11, v11, v0
	v_rcp_f32_e32 v12, v10
	v_div_scale_f32 v13, vcc, v0, v11, v0
	s_mov_b32 s0, 0x800000
	v_fma_f32 v14, -v10, v12, 1.0
	v_fmac_f32_e32 v12, v14, v12
	v_mul_f32_e32 v14, v13, v12
	v_fma_f32 v15, -v10, v14, v13
	v_fmac_f32_e32 v14, v15, v12
	v_fma_f32 v10, -v10, v14, v13
	v_div_fmas_f32 v10, v10, v12, v14
	v_div_fixup_f32 v0, v10, v11, v0
	v_add_f32_e32 v0, s17, v0
	v_mul_f32_e32 v10, 0x4b800000, v0
	v_cmp_gt_f32_e32 vcc, s0, v0
	v_cndmask_b32_e32 v0, v0, v10, vcc
	v_rsq_f32_e32 v0, v0
	s_mul_hi_i32 s1, s7, s6
	s_mul_i32 s0, s7, s6
	s_lshl_b64 s[0:1], s[0:1], 1
	v_mul_f32_e32 v10, 0x45800000, v0
	v_cndmask_b32_e32 v10, v0, v10, vcc
	v_mov_b32_e32 v11, v10
	s_add_u32 s12, s28, s0
	;;#ASMSTART
	v_pk_mul_f32 v[12:13], v[18:19], v[10:11]
	;;#ASMEND
	;;#ASMSTART
	v_pk_mul_f32 v[14:15], v[32:33], v[10:11]
	;;#ASMEND
	;; [unrolled: 3-line block ×8, first 2 shown]
	s_waitcnt vmcnt(1)
	v_cvt_f32_u32_sdwa v21, v6 dst_sel:DWORD dst_unused:UNUSED_PAD src0_sel:WORD_1
	v_cvt_f32_u32_sdwa v20, v6 dst_sel:DWORD dst_unused:UNUSED_PAD src0_sel:WORD_0
	v_cvt_f32_u32_sdwa v29, v7 dst_sel:DWORD dst_unused:UNUSED_PAD src0_sel:WORD_1
	v_cvt_f32_u32_sdwa v28, v7 dst_sel:DWORD dst_unused:UNUSED_PAD src0_sel:WORD_0
	v_cvt_f32_u32_sdwa v7, v8 dst_sel:DWORD dst_unused:UNUSED_PAD src0_sel:WORD_1
	v_cvt_f32_u32_sdwa v6, v8 dst_sel:DWORD dst_unused:UNUSED_PAD src0_sel:WORD_0
	s_addc_u32 s0, s29, s1
	v_cvt_f32_u32_sdwa v31, v9 dst_sel:DWORD dst_unused:UNUSED_PAD src0_sel:WORD_1
	v_cvt_f32_u32_sdwa v30, v9 dst_sel:DWORD dst_unused:UNUSED_PAD src0_sel:WORD_0
	;;#ASMSTART
	v_pk_mul_f32 v[8:9], v[12:13], v[20:21]
	;;#ASMEND
	;;#ASMSTART
	v_pk_mul_f32 v[12:13], v[14:15], v[28:29]
	;;#ASMEND
	;; [unrolled: 3-line block ×4, first 2 shown]
	s_waitcnt vmcnt(0)
	v_cvt_f32_u32_sdwa v17, v2 dst_sel:DWORD dst_unused:UNUSED_PAD src0_sel:WORD_1
	v_cvt_f32_u32_sdwa v16, v2 dst_sel:DWORD dst_unused:UNUSED_PAD src0_sel:WORD_0
	v_cvt_f32_u32_sdwa v19, v3 dst_sel:DWORD dst_unused:UNUSED_PAD src0_sel:WORD_1
	v_cvt_f32_u32_sdwa v18, v3 dst_sel:DWORD dst_unused:UNUSED_PAD src0_sel:WORD_0
	;; [unrolled: 2-line block ×3, first 2 shown]
	s_and_b32 s13, s0, 0xffff
	s_mov_b32 s0, 0x7060302
	v_cvt_f32_u32_sdwa v21, v5 dst_sel:DWORD dst_unused:UNUSED_PAD src0_sel:WORD_1
	v_cvt_f32_u32_sdwa v20, v5 dst_sel:DWORD dst_unused:UNUSED_PAD src0_sel:WORD_0
	;;#ASMSTART
	v_pk_mul_f32 v[16:17], v[26:27], v[16:17]
	;;#ASMEND
	;;#ASMSTART
	v_pk_mul_f32 v[18:19], v[24:25], v[18:19]
	;;#ASMEND
	;; [unrolled: 3-line block ×3, first 2 shown]
	v_perm_b32 v2, v9, v8, s0
	v_perm_b32 v3, v13, v12, s0
	v_perm_b32 v4, v7, v6, s0
	v_perm_b32 v5, v15, v14, s0
	;;#ASMSTART
	v_pk_mul_f32 v[10:11], v[10:11], v[20:21]
	;;#ASMEND
	buffer_store_dwordx4 v[2:5], v1, s[12:15], 0 offen
	;;#ASMSTART
	s_nop 0
	;;#ASMEND
	s_nop 0
	v_perm_b32 v2, v17, v16, s0
	v_perm_b32 v3, v19, v18, s0
	;; [unrolled: 1-line block ×4, first 2 shown]
	buffer_store_dwordx4 v[2:5], v1, s[12:15], 16 offen
	;;#ASMSTART
	s_nop 0
	;;#ASMEND
	s_endpgm
	.section	.rodata,"a",@progbits
	.p2align	6, 0x0
	.amdhsa_kernel _ZN5aiter35fused_qk_rmsnorm_group_quant_kernelItN4opus5fp4_tELi128ELi16ELi8ELb0ELb1ELb0ELb0ELb0ELb0EEEvPT0_PvPT_S7_S7_PKS6_S9_S9_S9_S9_ffiiiiiiiiiiiii
		.amdhsa_group_segment_fixed_size 16
		.amdhsa_private_segment_fixed_size 0
		.amdhsa_kernarg_size 400
		.amdhsa_user_sgpr_count 6
		.amdhsa_user_sgpr_private_segment_buffer 1
		.amdhsa_user_sgpr_dispatch_ptr 0
		.amdhsa_user_sgpr_queue_ptr 0
		.amdhsa_user_sgpr_kernarg_segment_ptr 1
		.amdhsa_user_sgpr_dispatch_id 0
		.amdhsa_user_sgpr_flat_scratch_init 0
		.amdhsa_user_sgpr_kernarg_preload_length 0
		.amdhsa_user_sgpr_kernarg_preload_offset 0
		.amdhsa_user_sgpr_private_segment_size 0
		.amdhsa_uses_dynamic_stack 0
		.amdhsa_system_sgpr_private_segment_wavefront_offset 0
		.amdhsa_system_sgpr_workgroup_id_x 1
		.amdhsa_system_sgpr_workgroup_id_y 1
		.amdhsa_system_sgpr_workgroup_id_z 0
		.amdhsa_system_sgpr_workgroup_info 0
		.amdhsa_system_vgpr_workitem_id 0
		.amdhsa_next_free_vgpr 35
		.amdhsa_next_free_sgpr 36
		.amdhsa_accum_offset 36
		.amdhsa_reserve_vcc 1
		.amdhsa_reserve_flat_scratch 0
		.amdhsa_float_round_mode_32 0
		.amdhsa_float_round_mode_16_64 0
		.amdhsa_float_denorm_mode_32 3
		.amdhsa_float_denorm_mode_16_64 3
		.amdhsa_dx10_clamp 1
		.amdhsa_ieee_mode 1
		.amdhsa_fp16_overflow 0
		.amdhsa_tg_split 0
		.amdhsa_exception_fp_ieee_invalid_op 0
		.amdhsa_exception_fp_denorm_src 0
		.amdhsa_exception_fp_ieee_div_zero 0
		.amdhsa_exception_fp_ieee_overflow 0
		.amdhsa_exception_fp_ieee_underflow 0
		.amdhsa_exception_fp_ieee_inexact 0
		.amdhsa_exception_int_div_zero 0
	.end_amdhsa_kernel
	.section	.text._ZN5aiter35fused_qk_rmsnorm_group_quant_kernelItN4opus5fp4_tELi128ELi16ELi8ELb0ELb1ELb0ELb0ELb0ELb0EEEvPT0_PvPT_S7_S7_PKS6_S9_S9_S9_S9_ffiiiiiiiiiiiii,"axG",@progbits,_ZN5aiter35fused_qk_rmsnorm_group_quant_kernelItN4opus5fp4_tELi128ELi16ELi8ELb0ELb1ELb0ELb0ELb0ELb0EEEvPT0_PvPT_S7_S7_PKS6_S9_S9_S9_S9_ffiiiiiiiiiiiii,comdat
.Lfunc_end640:
	.size	_ZN5aiter35fused_qk_rmsnorm_group_quant_kernelItN4opus5fp4_tELi128ELi16ELi8ELb0ELb1ELb0ELb0ELb0ELb0EEEvPT0_PvPT_S7_S7_PKS6_S9_S9_S9_S9_ffiiiiiiiiiiiii, .Lfunc_end640-_ZN5aiter35fused_qk_rmsnorm_group_quant_kernelItN4opus5fp4_tELi128ELi16ELi8ELb0ELb1ELb0ELb0ELb0ELb0EEEvPT0_PvPT_S7_S7_PKS6_S9_S9_S9_S9_ffiiiiiiiiiiiii
                                        ; -- End function
	.section	.AMDGPU.csdata,"",@progbits
; Kernel info:
; codeLenInByte = 3288
; NumSgprs: 40
; NumVgprs: 35
; NumAgprs: 0
; TotalNumVgprs: 35
; ScratchSize: 0
; MemoryBound: 0
; FloatMode: 240
; IeeeMode: 1
; LDSByteSize: 16 bytes/workgroup (compile time only)
; SGPRBlocks: 4
; VGPRBlocks: 4
; NumSGPRsForWavesPerEU: 40
; NumVGPRsForWavesPerEU: 35
; AccumOffset: 36
; Occupancy: 8
; WaveLimiterHint : 0
; COMPUTE_PGM_RSRC2:SCRATCH_EN: 0
; COMPUTE_PGM_RSRC2:USER_SGPR: 6
; COMPUTE_PGM_RSRC2:TRAP_HANDLER: 0
; COMPUTE_PGM_RSRC2:TGID_X_EN: 1
; COMPUTE_PGM_RSRC2:TGID_Y_EN: 1
; COMPUTE_PGM_RSRC2:TGID_Z_EN: 0
; COMPUTE_PGM_RSRC2:TIDIG_COMP_CNT: 0
; COMPUTE_PGM_RSRC3_GFX90A:ACCUM_OFFSET: 8
; COMPUTE_PGM_RSRC3_GFX90A:TG_SPLIT: 0
	.section	.text._ZN5aiter35fused_qk_rmsnorm_group_quant_kernelIDF16_DB8_Li128ELi16ELi8ELb0ELb0ELb1ELb0ELb0ELb0EEEvPT0_PvPT_S6_S6_PKS5_S8_S8_S8_S8_ffiiiiiiiiiiiii,"axG",@progbits,_ZN5aiter35fused_qk_rmsnorm_group_quant_kernelIDF16_DB8_Li128ELi16ELi8ELb0ELb0ELb1ELb0ELb0ELb0EEEvPT0_PvPT_S6_S6_PKS5_S8_S8_S8_S8_ffiiiiiiiiiiiii,comdat
	.protected	_ZN5aiter35fused_qk_rmsnorm_group_quant_kernelIDF16_DB8_Li128ELi16ELi8ELb0ELb0ELb1ELb0ELb0ELb0EEEvPT0_PvPT_S6_S6_PKS5_S8_S8_S8_S8_ffiiiiiiiiiiiii ; -- Begin function _ZN5aiter35fused_qk_rmsnorm_group_quant_kernelIDF16_DB8_Li128ELi16ELi8ELb0ELb0ELb1ELb0ELb0ELb0EEEvPT0_PvPT_S6_S6_PKS5_S8_S8_S8_S8_ffiiiiiiiiiiiii
	.globl	_ZN5aiter35fused_qk_rmsnorm_group_quant_kernelIDF16_DB8_Li128ELi16ELi8ELb0ELb0ELb1ELb0ELb0ELb0EEEvPT0_PvPT_S6_S6_PKS5_S8_S8_S8_S8_ffiiiiiiiiiiiii
	.p2align	8
	.type	_ZN5aiter35fused_qk_rmsnorm_group_quant_kernelIDF16_DB8_Li128ELi16ELi8ELb0ELb0ELb1ELb0ELb0ELb0EEEvPT0_PvPT_S6_S6_PKS5_S8_S8_S8_S8_ffiiiiiiiiiiiii,@function
_ZN5aiter35fused_qk_rmsnorm_group_quant_kernelIDF16_DB8_Li128ELi16ELi8ELb0ELb0ELb1ELb0ELb0ELb0EEEvPT0_PvPT_S6_S6_PKS5_S8_S8_S8_S8_ffiiiiiiiiiiiii: ; @_ZN5aiter35fused_qk_rmsnorm_group_quant_kernelIDF16_DB8_Li128ELi16ELi8ELb0ELb0ELb1ELb0ELb0ELb0EEEvPT0_PvPT_S6_S6_PKS5_S8_S8_S8_S8_ffiiiiiiiiiiiii
; %bb.0:
	s_load_dwordx4 s[16:19], s[4:5], 0x50
	s_waitcnt lgkmcnt(0)
	s_cmp_ge_i32 s6, s18
	s_cbranch_scc1 .LBB641_12
; %bb.1:
	s_load_dwordx2 s[12:13], s[4:5], 0x48
	s_load_dwordx2 s[30:31], s[4:5], 0x30
	s_load_dwordx4 s[20:23], s[4:5], 0x60
	s_cmp_lg_u32 s7, 0
	s_cselect_b64 s[14:15], -1, 0
	s_cmp_eq_u32 s7, 0
	s_cselect_b64 vcc, -1, 0
	s_and_b64 s[0:1], vcc, exec
	s_waitcnt lgkmcnt(0)
	s_cselect_b32 s7, s19, s20
	s_add_i32 s0, s7, 1
	s_lshr_b32 s1, s0, 31
	s_add_i32 s0, s0, s1
	s_lshl_b32 s0, s0, 1
	v_lshlrev_b32_e32 v1, 4, v0
	s_and_b32 s10, s0, -4
	v_cmp_gt_i32_e64 s[2:3], s7, v1
	v_mov_b32_e32 v18, 0
	v_mov_b32_e32 v6, 0
	;; [unrolled: 1-line block ×17, first 2 shown]
	s_and_saveexec_b64 s[0:1], s[2:3]
	s_cbranch_execz .LBB641_3
; %bb.2:
	s_load_dwordx2 s[8:9], s[4:5], 0x28
	s_load_dwordx2 s[26:27], s[4:5], 0x40
	s_and_b64 s[24:25], vcc, exec
	s_cselect_b32 s11, s21, s22
	v_lshlrev_b32_e32 v19, 5, v0
	s_waitcnt lgkmcnt(0)
	s_cselect_b32 s18, s9, s31
	s_cselect_b32 s21, s8, s30
	s_mul_hi_i32 s9, s11, s6
	s_mul_i32 s8, s11, s6
	s_lshl_b64 s[8:9], s[8:9], 1
	s_add_u32 s24, s21, s8
	s_addc_u32 s18, s18, s9
	s_and_b64 s[8:9], vcc, exec
	s_mov_b32 s11, 0x20000
	s_cselect_b32 s8, s26, s12
	s_cselect_b32 s9, s27, s13
	s_and_b32 s25, s18, 0xffff
	s_mov_b32 s26, s10
	s_mov_b32 s27, s11
	s_and_b32 s9, s9, 0xffff
	buffer_load_dwordx4 v[14:17], v19, s[24:27], 0 offen
	buffer_load_dwordx4 v[10:13], v19, s[24:27], 16 offen
	;; [unrolled: 1-line block ×4, first 2 shown]
.LBB641_3:
	s_or_b64 exec, exec, s[0:1]
	v_mov_b32_e32 v19, 0
	v_mov_b32_e32 v32, 0
	;; [unrolled: 1-line block ×15, first 2 shown]
	s_and_saveexec_b64 s[0:1], s[2:3]
	s_cbranch_execz .LBB641_5
; %bb.4:
	s_waitcnt vmcnt(3)
	v_cvt_f32_f16_sdwa v19, v14 dst_sel:DWORD dst_unused:UNUSED_PAD src0_sel:WORD_1
	v_cvt_f32_f16_e32 v18, v14
	v_cvt_f32_f16_sdwa v33, v15 dst_sel:DWORD dst_unused:UNUSED_PAD src0_sel:WORD_1
	v_cvt_f32_f16_e32 v32, v15
	;; [unrolled: 2-line block ×4, first 2 shown]
	s_waitcnt vmcnt(2)
	v_cvt_f32_f16_sdwa v25, v10 dst_sel:DWORD dst_unused:UNUSED_PAD src0_sel:WORD_1
	v_cvt_f32_f16_e32 v24, v10
	v_cvt_f32_f16_sdwa v29, v11 dst_sel:DWORD dst_unused:UNUSED_PAD src0_sel:WORD_1
	v_cvt_f32_f16_e32 v28, v11
	;; [unrolled: 2-line block ×4, first 2 shown]
.LBB641_5:
	s_or_b64 exec, exec, s[0:1]
	s_waitcnt vmcnt(2)
	v_mul_f32_e32 v10, v19, v19
	v_fmac_f32_e32 v10, v18, v18
	v_fmac_f32_e32 v10, v32, v32
	;; [unrolled: 1-line block ×15, first 2 shown]
	v_and_b32_e32 v12, 63, v0
	v_cmp_eq_u32_e64 s[0:1], 63, v12
	v_mov_b32_dpp v11, v10 quad_perm:[1,0,3,2] row_mask:0xf bank_mask:0xf
	v_add_f32_e32 v10, v10, v11
	s_nop 1
	v_mov_b32_dpp v11, v10 quad_perm:[2,3,0,1] row_mask:0xf bank_mask:0xf
	v_add_f32_e32 v10, v10, v11
	s_nop 1
	v_mov_b32_dpp v11, v10 row_half_mirror row_mask:0xf bank_mask:0xf
	v_add_f32_e32 v10, v10, v11
	s_nop 1
	v_mov_b32_dpp v11, v10 row_mirror row_mask:0xf bank_mask:0xf
	v_add_f32_e32 v10, v10, v11
	s_nop 1
	v_mov_b32_dpp v11, v10 row_bcast:15 row_mask:0xf bank_mask:0xf
	v_add_f32_e32 v10, v10, v11
	s_nop 1
	v_mov_b32_dpp v11, v10 row_bcast:31 row_mask:0xf bank_mask:0xf
	s_and_saveexec_b64 s[8:9], s[0:1]
	s_cbranch_execz .LBB641_7
; %bb.6:
	v_add_f32_e32 v10, v10, v11
	v_lshrrev_b32_e32 v11, 4, v0
	v_and_b32_e32 v11, 60, v11
	ds_write_b32 v11, v10 offset:8
.LBB641_7:
	s_or_b64 exec, exec, s[8:9]
	v_and_b32_e32 v10, 1, v0
	v_lshlrev_b32_e32 v34, 2, v10
	s_waitcnt lgkmcnt(0)
	s_barrier
	ds_read_b32 v10, v34 offset:8
	s_load_dwordx2 s[28:29], s[4:5], 0x18
	s_waitcnt lgkmcnt(0)
	v_mov_b32_dpp v11, v10 quad_perm:[1,0,3,2] row_mask:0xf bank_mask:0xf
	s_and_saveexec_b64 s[8:9], s[2:3]
	s_cbranch_execz .LBB641_9
; %bb.8:
	v_cvt_f32_u32_e32 v12, s7
	v_add_f32_e32 v10, v10, v11
	v_mov_b32_e32 v14, s17
	v_mov_b32_e32 v15, s16
	v_div_scale_f32 v11, s[24:25], v12, v12, v10
	v_rcp_f32_e32 v13, v11
	v_cndmask_b32_e32 v14, v14, v15, vcc
	s_mov_b32 s7, 0x800000
	v_fma_f32 v15, -v11, v13, 1.0
	v_fmac_f32_e32 v13, v15, v13
	v_div_scale_f32 v15, vcc, v10, v12, v10
	v_mul_f32_e32 v16, v15, v13
	v_fma_f32 v17, -v11, v16, v15
	v_fmac_f32_e32 v16, v17, v13
	v_fma_f32 v11, -v11, v16, v15
	v_div_fmas_f32 v11, v11, v13, v16
	v_div_fixup_f32 v10, v11, v12, v10
	v_add_f32_e32 v10, v14, v10
	v_mul_f32_e32 v11, 0x4b800000, v10
	v_cmp_gt_f32_e32 vcc, s7, v10
	v_cndmask_b32_e32 v10, v10, v11, vcc
	v_rsq_f32_e32 v10, v10
	v_mul_f32_e32 v11, 0x45800000, v10
	v_cndmask_b32_e32 v10, v10, v11, vcc
	v_mov_b32_e32 v11, v10
	;;#ASMSTART
	v_pk_mul_f32 v[12:13], v[18:19], v[10:11]
	;;#ASMEND
	s_waitcnt vmcnt(1)
	v_cvt_f32_f16_sdwa v19, v6 dst_sel:DWORD dst_unused:UNUSED_PAD src0_sel:WORD_1
	v_cvt_f32_f16_e32 v18, v6
	;;#ASMSTART
	v_pk_mul_f32 v[14:15], v[32:33], v[10:11]
	;;#ASMEND
	;;#ASMSTART
	v_pk_mul_f32 v[16:17], v[26:27], v[10:11]
	;;#ASMEND
	v_cvt_f32_f16_sdwa v27, v7 dst_sel:DWORD dst_unused:UNUSED_PAD src0_sel:WORD_1
	v_cvt_f32_f16_e32 v26, v7
	;;#ASMSTART
	v_pk_mul_f32 v[30:31], v[30:31], v[10:11]
	;;#ASMEND
	;;#ASMSTART
	v_pk_mul_f32 v[24:25], v[24:25], v[10:11]
	;;#ASMEND
	;; [unrolled: 3-line block ×5, first 2 shown]
	v_pk_add_f32 v[10:11], v[18:19], 1.0 op_sel_hi:[1,0]
	;;#ASMSTART
	v_pk_mul_f32 v[18:19], v[12:13], v[10:11]
	;;#ASMEND
	v_cvt_f32_f16_sdwa v13, v8 dst_sel:DWORD dst_unused:UNUSED_PAD src0_sel:WORD_1
	v_cvt_f32_f16_e32 v12, v8
	v_cvt_f32_f16_sdwa v21, v9 dst_sel:DWORD dst_unused:UNUSED_PAD src0_sel:WORD_1
	v_cvt_f32_f16_e32 v20, v9
	v_pk_add_f32 v[10:11], v[26:27], 1.0 op_sel_hi:[1,0]
	;;#ASMSTART
	v_pk_mul_f32 v[32:33], v[14:15], v[10:11]
	;;#ASMEND
	s_waitcnt vmcnt(0)
	v_cvt_f32_f16_sdwa v11, v2 dst_sel:DWORD dst_unused:UNUSED_PAD src0_sel:WORD_1
	v_cvt_f32_f16_e32 v10, v2
	v_pk_add_f32 v[8:9], v[12:13], 1.0 op_sel_hi:[1,0]
	;;#ASMSTART
	v_pk_mul_f32 v[26:27], v[16:17], v[8:9]
	;;#ASMEND
	v_pk_add_f32 v[8:9], v[20:21], 1.0 op_sel_hi:[1,0]
	v_cvt_f32_f16_sdwa v13, v3 dst_sel:DWORD dst_unused:UNUSED_PAD src0_sel:WORD_1
	v_cvt_f32_f16_e32 v12, v3
	;;#ASMSTART
	v_pk_mul_f32 v[30:31], v[30:31], v[8:9]
	;;#ASMEND
	v_cvt_f32_f16_sdwa v9, v4 dst_sel:DWORD dst_unused:UNUSED_PAD src0_sel:WORD_1
	v_cvt_f32_f16_e32 v8, v4
	v_pk_add_f32 v[2:3], v[10:11], 1.0 op_sel_hi:[1,0]
	v_cvt_f32_f16_sdwa v11, v5 dst_sel:DWORD dst_unused:UNUSED_PAD src0_sel:WORD_1
	v_cvt_f32_f16_e32 v10, v5
	;;#ASMSTART
	v_pk_mul_f32 v[24:25], v[24:25], v[2:3]
	;;#ASMEND
	v_pk_add_f32 v[2:3], v[12:13], 1.0 op_sel_hi:[1,0]
	;;#ASMSTART
	v_pk_mul_f32 v[28:29], v[28:29], v[2:3]
	;;#ASMEND
	v_pk_add_f32 v[2:3], v[8:9], 1.0 op_sel_hi:[1,0]
	;; [unrolled: 4-line block ×3, first 2 shown]
	;;#ASMSTART
	v_pk_mul_f32 v[20:21], v[6:7], v[2:3]
	;;#ASMEND
.LBB641_9:
	s_or_b64 exec, exec, s[8:9]
	s_load_dword s7, s[4:5], 0x80
	s_mov_b64 s[8:9], -1
	s_and_b64 vcc, exec, s[14:15]
	s_cbranch_vccnz .LBB641_13
; %bb.10:
	s_andn2_b64 vcc, exec, s[8:9]
	s_cbranch_vccz .LBB641_16
.LBB641_11:
	s_cmp_lt_i32 s20, 1
	s_cbranch_scc0 .LBB641_23
.LBB641_12:
	s_endpgm
.LBB641_13:
	s_and_saveexec_b64 s[14:15], s[2:3]
	s_cbranch_execz .LBB641_15
; %bb.14:
	s_waitcnt lgkmcnt(0)
	s_mul_hi_i32 s9, s7, s6
	s_mul_i32 s8, s7, s6
	s_waitcnt vmcnt(0)
	v_cvt_f16_f32_e32 v2, v18
	v_cvt_f16_f32_e32 v3, v32
	;; [unrolled: 1-line block ×8, first 2 shown]
	s_lshl_b64 s[8:9], s[8:9], 1
	s_add_u32 s8, s28, s8
	s_addc_u32 s9, s29, s9
	s_and_b32 s9, s9, 0xffff
	s_mov_b32 s11, 0x20000
	v_pack_b32_f16 v5, v5, v6
	v_pack_b32_f16 v4, v4, v7
	;; [unrolled: 1-line block ×4, first 2 shown]
	v_lshlrev_b32_e32 v6, 5, v0
	buffer_store_dwordx4 v[2:5], v6, s[8:11], 0 offen
	v_cvt_f16_f32_e32 v7, v21
	v_cvt_f16_f32_e32 v2, v24
	;; [unrolled: 1-line block ×8, first 2 shown]
	v_pack_b32_f16 v5, v5, v7
	v_pack_b32_f16 v4, v4, v8
	;; [unrolled: 1-line block ×4, first 2 shown]
	;;#ASMSTART
	s_nop 0
	;;#ASMEND
	buffer_store_dwordx4 v[2:5], v6, s[8:11], 16 offen
	;;#ASMSTART
	s_nop 0
	;;#ASMEND
.LBB641_15:
	s_or_b64 exec, exec, s[14:15]
	s_cbranch_execnz .LBB641_11
.LBB641_16:
	s_waitcnt vmcnt(0)
	v_mov_b32_e32 v2, 0
	s_and_saveexec_b64 s[8:9], s[2:3]
	s_cbranch_execz .LBB641_18
; %bb.17:
	v_and_b32_e32 v2, 0x7fffffff, v18
	v_and_b32_e32 v3, 0x7fffffff, v19
	v_mov_b32_e32 v4, 0x2edbe6ff
	;;#ASMSTART
	v_max3_f32 v2, v4, v2, v3

	;;#ASMEND
	v_and_b32_e32 v3, 0x7fffffff, v32
	v_and_b32_e32 v4, 0x7fffffff, v33
	;;#ASMSTART
	v_max3_f32 v2, v2, v3, v4

	;;#ASMEND
	v_and_b32_e32 v3, 0x7fffffff, v26
	v_and_b32_e32 v4, 0x7fffffff, v27
	;; [unrolled: 6-line block ×7, first 2 shown]
	;;#ASMSTART
	v_max3_f32 v2, v2, v3, v4

	;;#ASMEND
.LBB641_18:
	s_or_b64 exec, exec, s[8:9]
	s_load_dwordx4 s[24:27], s[4:5], 0x70
	;;#ASMSTART
	v_max_f32 v3, v2, v2 quad_perm:[1,0,3,2] row_mask:0xf bank_mask:0xf bound_ctrl:1
	;;#ASMEND
	;;#ASMSTART
	v_max_f32 v2, v3, v3 quad_perm:[2,3,0,1] row_mask:0xf bank_mask:0xf bound_ctrl:1
	;;#ASMEND
	;;#ASMSTART
	v_max_f32 v3, v2, v2 row_half_mirror row_mask:0xf bank_mask:0xf bound_ctrl:1
	;;#ASMEND
	v_mul_f32_e32 v2, 0x3b124925, v3
	v_and_b32_e32 v3, 7, v0
	v_cmp_eq_u32_e32 vcc, 0, v3
	v_cmp_gt_i32_e64 s[8:9], s19, v1
	s_and_b64 s[10:11], vcc, s[8:9]
	s_and_saveexec_b64 s[8:9], s[10:11]
	s_cbranch_execz .LBB641_20
; %bb.19:
	s_load_dwordx2 s[10:11], s[4:5], 0x8
	s_waitcnt lgkmcnt(0)
	s_mul_hi_i32 s15, s25, s6
	s_mul_i32 s14, s25, s6
	v_lshrrev_b32_e32 v3, 3, v0
	s_lshl_b64 s[14:15], s[14:15], 2
	v_mad_i64_i32 v[4:5], s[26:27], s26, v3, 0
	s_add_u32 s10, s10, s14
	s_addc_u32 s11, s11, s15
	v_lshlrev_b64 v[4:5], 2, v[4:5]
	v_mov_b32_e32 v3, s11
	v_add_co_u32_e32 v4, vcc, s10, v4
	v_addc_co_u32_e32 v5, vcc, v3, v5, vcc
	global_store_dword v[4:5], v2, off
.LBB641_20:
	s_or_b64 exec, exec, s[8:9]
	;;#ASMSTART
	v_rcp_f32 v2, v2
	;;#ASMEND
	s_and_saveexec_b64 s[14:15], s[2:3]
	s_cbranch_execz .LBB641_22
; %bb.21:
	s_load_dwordx2 s[2:3], s[4:5], 0x0
	s_waitcnt lgkmcnt(0)
	s_mul_i32 s8, s24, s6
	s_mul_hi_i32 s9, s24, s6
	v_mov_b32_e32 v3, v2
	;;#ASMSTART
	v_pk_mul_f32 v[4:5], v[18:19], v[2:3]
	;;#ASMEND
	s_add_u32 s8, s2, s8
	s_addc_u32 s2, s3, s9
	s_add_i32 s3, s19, 3
	s_ashr_i32 s10, s3, 31
	v_mov_b32_e32 v10, 0xc3e00000
	v_mov_b32_e32 v11, 0x43e00000
	;;#ASMSTART
	v_med3_f32 v4, v4, v10, v11
v_med3_f32 v5, v5, v10, v11
v_cvt_pk_fp8_f32 v6, v4, v5
	;;#ASMEND
	s_and_b32 s9, s2, 0xffff
	s_lshr_b32 s2, s10, 30
	;;#ASMSTART
	v_pk_mul_f32 v[4:5], v[32:33], v[2:3]
	;;#ASMEND
	s_add_i32 s3, s3, s2
	;;#ASMSTART
	v_med3_f32 v4, v4, v10, v11
v_med3_f32 v5, v5, v10, v11
v_cvt_pk_fp8_f32 v7, v4, v5
	;;#ASMEND
	s_mov_b32 s2, 0x5040100
	v_perm_b32 v4, v7, v6, s2
	s_mov_b32 s2, 0x1060504
	v_perm_b32 v4, v4, v7, s2
	;;#ASMSTART
	v_pk_mul_f32 v[6:7], v[26:27], v[2:3]
	;;#ASMEND
	v_mov_b32_e32 v5, v6
	;;#ASMSTART
	v_med3_f32 v5, v5, v10, v11
v_med3_f32 v7, v7, v10, v11
v_cvt_pk_fp8_f32 v8, v5, v7
	;;#ASMEND
	;;#ASMSTART
	v_pk_mul_f32 v[6:7], v[30:31], v[2:3]
	;;#ASMEND
	v_mov_b32_e32 v5, v7
	;;#ASMSTART
	v_med3_f32 v6, v6, v10, v11
v_med3_f32 v5, v5, v10, v11
v_cvt_pk_fp8_f32 v7, v6, v5
	;;#ASMEND
	s_mov_b32 s2, 0x1000504
	v_perm_b32 v5, v8, v7, s2
	;;#ASMSTART
	v_pk_mul_f32 v[6:7], v[24:25], v[2:3]
	;;#ASMEND
	;;#ASMSTART
	v_med3_f32 v6, v6, v10, v11
v_med3_f32 v7, v7, v10, v11
v_cvt_pk_fp8_f32 v8, v6, v7
	;;#ASMEND
	;;#ASMSTART
	v_pk_mul_f32 v[6:7], v[28:29], v[2:3]
	;;#ASMEND
	;;#ASMSTART
	v_med3_f32 v6, v6, v10, v11
v_med3_f32 v7, v7, v10, v11
v_cvt_pk_fp8_f32 v9, v6, v7
	;;#ASMEND
	v_perm_b32 v6, v8, v9, s2
	;;#ASMSTART
	v_pk_mul_f32 v[8:9], v[22:23], v[2:3]
	;;#ASMEND
	v_mov_b32_e32 v7, v8
	;;#ASMSTART
	v_med3_f32 v7, v7, v10, v11
v_med3_f32 v9, v9, v10, v11
v_cvt_pk_fp8_f32 v8, v7, v9
	;;#ASMEND
	;;#ASMSTART
	v_pk_mul_f32 v[2:3], v[20:21], v[2:3]
	;;#ASMEND
	;;#ASMSTART
	v_med3_f32 v2, v2, v10, v11
v_med3_f32 v3, v3, v10, v11
v_cvt_pk_fp8_f32 v7, v2, v3
	;;#ASMEND
	s_and_b32 s10, s3, -4
	s_mov_b32 s11, 0x20000
	v_perm_b32 v7, v8, v7, s2
	buffer_store_dwordx4 v[4:7], v1, s[8:11], 0 offen
	;;#ASMSTART
	s_nop 0
	;;#ASMEND
.LBB641_22:
	s_or_b64 exec, exec, s[14:15]
	s_cmp_lt_i32 s20, 1
	s_cbranch_scc1 .LBB641_12
.LBB641_23:
	s_load_dword s2, s[4:5], 0x94
	s_waitcnt lgkmcnt(0)
	s_cmp_lg_u32 s2, 1
	s_cbranch_scc1 .LBB641_12
; %bb.24:
	s_lshl_b32 s2, s20, 1
	s_add_i32 s2, s2, 2
	v_cmp_gt_u32_e32 vcc, s20, v1
	s_and_b32 s14, s2, -4
	v_mov_b32_e32 v18, 0
	v_lshlrev_b32_e32 v1, 5, v0
	v_mov_b32_e32 v14, 0
	v_mov_b32_e32 v15, 0
	;; [unrolled: 1-line block ×8, first 2 shown]
	s_waitcnt vmcnt(1)
	v_mov_b32_e32 v6, 0
	v_mov_b32_e32 v7, 0
	;; [unrolled: 1-line block ×4, first 2 shown]
	s_waitcnt vmcnt(0)
	v_mov_b32_e32 v2, 0
	v_mov_b32_e32 v3, 0
	;; [unrolled: 1-line block ×4, first 2 shown]
	s_barrier
	s_and_saveexec_b64 s[2:3], vcc
	s_cbranch_execz .LBB641_26
; %bb.25:
	s_mul_hi_i32 s5, s22, s6
	s_mul_i32 s4, s22, s6
	s_and_b32 s13, s13, 0xffff
	s_lshl_b64 s[4:5], s[4:5], 1
	s_add_u32 s8, s30, s4
	s_mov_b32 s15, 0x20000
	s_addc_u32 s4, s31, s5
	s_and_b32 s9, s4, 0xffff
	s_mov_b32 s10, s14
	s_mov_b32 s11, s15
	buffer_load_dwordx4 v[14:17], v1, s[8:11], 0 offen
	buffer_load_dwordx4 v[10:13], v1, s[8:11], 16 offen
	;; [unrolled: 1-line block ×4, first 2 shown]
.LBB641_26:
	s_or_b64 exec, exec, s[2:3]
	v_mov_b32_e32 v19, 0
	v_mov_b32_e32 v32, 0
	;; [unrolled: 1-line block ×15, first 2 shown]
	s_and_saveexec_b64 s[2:3], vcc
	s_cbranch_execz .LBB641_28
; %bb.27:
	s_waitcnt vmcnt(3)
	v_cvt_f32_f16_sdwa v19, v14 dst_sel:DWORD dst_unused:UNUSED_PAD src0_sel:WORD_1
	v_cvt_f32_f16_e32 v18, v14
	v_cvt_f32_f16_sdwa v33, v15 dst_sel:DWORD dst_unused:UNUSED_PAD src0_sel:WORD_1
	v_cvt_f32_f16_e32 v32, v15
	;; [unrolled: 2-line block ×4, first 2 shown]
	s_waitcnt vmcnt(2)
	v_cvt_f32_f16_sdwa v27, v10 dst_sel:DWORD dst_unused:UNUSED_PAD src0_sel:WORD_1
	v_cvt_f32_f16_e32 v26, v10
	v_cvt_f32_f16_sdwa v25, v11 dst_sel:DWORD dst_unused:UNUSED_PAD src0_sel:WORD_1
	v_cvt_f32_f16_e32 v24, v11
	;; [unrolled: 2-line block ×4, first 2 shown]
.LBB641_28:
	s_or_b64 exec, exec, s[2:3]
	s_waitcnt vmcnt(2)
	v_mul_f32_e32 v10, v19, v19
	v_fmac_f32_e32 v10, v18, v18
	v_fmac_f32_e32 v10, v32, v32
	;; [unrolled: 1-line block ×15, first 2 shown]
	s_nop 1
	v_mov_b32_dpp v11, v10 quad_perm:[1,0,3,2] row_mask:0xf bank_mask:0xf
	v_add_f32_e32 v10, v10, v11
	s_nop 1
	v_mov_b32_dpp v11, v10 quad_perm:[2,3,0,1] row_mask:0xf bank_mask:0xf
	v_add_f32_e32 v10, v10, v11
	s_nop 1
	v_mov_b32_dpp v11, v10 row_half_mirror row_mask:0xf bank_mask:0xf
	v_add_f32_e32 v10, v10, v11
	s_nop 1
	v_mov_b32_dpp v11, v10 row_mirror row_mask:0xf bank_mask:0xf
	v_add_f32_e32 v10, v10, v11
	s_nop 1
	v_mov_b32_dpp v11, v10 row_bcast:15 row_mask:0xf bank_mask:0xf
	v_add_f32_e32 v10, v10, v11
	s_nop 1
	v_mov_b32_dpp v11, v10 row_bcast:31 row_mask:0xf bank_mask:0xf
	s_and_saveexec_b64 s[2:3], s[0:1]
	s_cbranch_execz .LBB641_30
; %bb.29:
	v_lshrrev_b32_e32 v0, 4, v0
	v_add_f32_e32 v10, v10, v11
	v_and_b32_e32 v0, 60, v0
	ds_write_b32 v0, v10
.LBB641_30:
	s_or_b64 exec, exec, s[2:3]
	s_waitcnt lgkmcnt(0)
	s_barrier
	ds_read_b32 v0, v34
	s_waitcnt lgkmcnt(0)
	s_nop 0
	v_mov_b32_dpp v10, v0 quad_perm:[1,0,3,2] row_mask:0xf bank_mask:0xf
	s_and_saveexec_b64 s[0:1], vcc
	s_cbranch_execz .LBB641_12
; %bb.31:
	v_cvt_f32_u32_e32 v11, s20
	v_add_f32_e32 v0, v0, v10
	s_mov_b32 s15, 0x20000
	v_div_scale_f32 v10, s[0:1], v11, v11, v0
	v_rcp_f32_e32 v12, v10
	v_div_scale_f32 v13, vcc, v0, v11, v0
	s_mov_b32 s0, 0x800000
	v_fma_f32 v14, -v10, v12, 1.0
	v_fmac_f32_e32 v12, v14, v12
	v_mul_f32_e32 v14, v13, v12
	v_fma_f32 v15, -v10, v14, v13
	v_fmac_f32_e32 v14, v15, v12
	v_fma_f32 v10, -v10, v14, v13
	v_div_fmas_f32 v10, v10, v12, v14
	v_div_fixup_f32 v0, v10, v11, v0
	v_add_f32_e32 v0, s17, v0
	v_mul_f32_e32 v10, 0x4b800000, v0
	v_cmp_gt_f32_e32 vcc, s0, v0
	v_cndmask_b32_e32 v0, v0, v10, vcc
	v_rsq_f32_e32 v0, v0
	s_mul_hi_i32 s1, s7, s6
	s_mul_i32 s0, s7, s6
	s_lshl_b64 s[0:1], s[0:1], 1
	v_mul_f32_e32 v10, 0x45800000, v0
	v_cndmask_b32_e32 v10, v0, v10, vcc
	v_mov_b32_e32 v11, v10
	;;#ASMSTART
	v_pk_mul_f32 v[12:13], v[18:19], v[10:11]
	;;#ASMEND
	;;#ASMSTART
	v_pk_mul_f32 v[14:15], v[32:33], v[10:11]
	;;#ASMEND
	;; [unrolled: 3-line block ×4, first 2 shown]
	s_waitcnt vmcnt(1)
	v_cvt_f32_f16_sdwa v29, v6 dst_sel:DWORD dst_unused:UNUSED_PAD src0_sel:WORD_1
	v_cvt_f32_f16_e32 v28, v6
	v_cvt_f32_f16_sdwa v31, v7 dst_sel:DWORD dst_unused:UNUSED_PAD src0_sel:WORD_1
	v_cvt_f32_f16_e32 v30, v7
	;;#ASMSTART
	v_pk_mul_f32 v[26:27], v[26:27], v[10:11]
	;;#ASMEND
	;;#ASMSTART
	v_pk_mul_f32 v[24:25], v[24:25], v[10:11]
	;;#ASMEND
	;; [unrolled: 3-line block ×4, first 2 shown]
	v_cvt_f32_f16_sdwa v21, v8 dst_sel:DWORD dst_unused:UNUSED_PAD src0_sel:WORD_1
	v_cvt_f32_f16_e32 v20, v8
	v_pk_add_f32 v[10:11], v[28:29], 1.0 op_sel_hi:[1,0]
	;;#ASMSTART
	v_pk_mul_f32 v[10:11], v[12:13], v[10:11]
	;;#ASMEND
	v_pk_add_f32 v[12:13], v[30:31], 1.0 op_sel_hi:[1,0]
	v_cvt_f32_f16_sdwa v29, v9 dst_sel:DWORD dst_unused:UNUSED_PAD src0_sel:WORD_1
	v_cvt_f32_f16_e32 v28, v9
	;;#ASMSTART
	v_pk_mul_f32 v[8:9], v[14:15], v[12:13]
	;;#ASMEND
	v_pk_add_f32 v[12:13], v[20:21], 1.0 op_sel_hi:[1,0]
	;;#ASMSTART
	v_pk_mul_f32 v[12:13], v[16:17], v[12:13]
	;;#ASMEND
	s_waitcnt vmcnt(0)
	v_cvt_f32_f16_sdwa v17, v2 dst_sel:DWORD dst_unused:UNUSED_PAD src0_sel:WORD_1
	v_cvt_f32_f16_e32 v16, v2
	v_cvt_f32_f16_sdwa v21, v3 dst_sel:DWORD dst_unused:UNUSED_PAD src0_sel:WORD_1
	v_cvt_f32_f16_e32 v20, v3
	v_pk_add_f32 v[14:15], v[28:29], 1.0 op_sel_hi:[1,0]
	;;#ASMSTART
	v_pk_mul_f32 v[2:3], v[18:19], v[14:15]
	;;#ASMEND
	v_cvt_f32_f16_sdwa v19, v4 dst_sel:DWORD dst_unused:UNUSED_PAD src0_sel:WORD_1
	v_cvt_f32_f16_e32 v18, v4
	v_pk_add_f32 v[14:15], v[16:17], 1.0 op_sel_hi:[1,0]
	v_pk_add_f32 v[16:17], v[20:21], 1.0 op_sel_hi:[1,0]
	v_cvt_f32_f16_sdwa v21, v5 dst_sel:DWORD dst_unused:UNUSED_PAD src0_sel:WORD_1
	v_cvt_f32_f16_e32 v20, v5
	v_pk_add_f32 v[4:5], v[18:19], 1.0 op_sel_hi:[1,0]
	;;#ASMSTART
	v_pk_mul_f32 v[14:15], v[26:27], v[14:15]
	;;#ASMEND
	;;#ASMSTART
	v_pk_mul_f32 v[16:17], v[24:25], v[16:17]
	;;#ASMEND
	;; [unrolled: 3-line block ×3, first 2 shown]
	v_pk_add_f32 v[4:5], v[20:21], 1.0 op_sel_hi:[1,0]
	;;#ASMSTART
	v_pk_mul_f32 v[6:7], v[6:7], v[4:5]
	;;#ASMEND
	v_cvt_f16_f32_e32 v0, v10
	v_cvt_f16_f32_e32 v4, v11
	;; [unrolled: 1-line block ×8, first 2 shown]
	s_add_u32 s12, s28, s0
	s_addc_u32 s0, s29, s1
	s_and_b32 s13, s0, 0xffff
	v_pack_b32_f16 v2, v0, v4
	v_pack_b32_f16 v3, v5, v8
	;; [unrolled: 1-line block ×4, first 2 shown]
	buffer_store_dwordx4 v[2:5], v1, s[12:15], 0 offen
	v_cvt_f16_f32_e32 v0, v14
	v_cvt_f16_f32_e32 v2, v15
	;; [unrolled: 1-line block ×8, first 2 shown]
	v_pack_b32_f16 v2, v0, v2
	v_pack_b32_f16 v3, v3, v4
	;; [unrolled: 1-line block ×4, first 2 shown]
	;;#ASMSTART
	s_nop 0
	;;#ASMEND
	buffer_store_dwordx4 v[2:5], v1, s[12:15], 16 offen
	;;#ASMSTART
	s_nop 0
	;;#ASMEND
	s_endpgm
	.section	.rodata,"a",@progbits
	.p2align	6, 0x0
	.amdhsa_kernel _ZN5aiter35fused_qk_rmsnorm_group_quant_kernelIDF16_DB8_Li128ELi16ELi8ELb0ELb0ELb1ELb0ELb0ELb0EEEvPT0_PvPT_S6_S6_PKS5_S8_S8_S8_S8_ffiiiiiiiiiiiii
		.amdhsa_group_segment_fixed_size 16
		.amdhsa_private_segment_fixed_size 0
		.amdhsa_kernarg_size 400
		.amdhsa_user_sgpr_count 6
		.amdhsa_user_sgpr_private_segment_buffer 1
		.amdhsa_user_sgpr_dispatch_ptr 0
		.amdhsa_user_sgpr_queue_ptr 0
		.amdhsa_user_sgpr_kernarg_segment_ptr 1
		.amdhsa_user_sgpr_dispatch_id 0
		.amdhsa_user_sgpr_flat_scratch_init 0
		.amdhsa_user_sgpr_kernarg_preload_length 0
		.amdhsa_user_sgpr_kernarg_preload_offset 0
		.amdhsa_user_sgpr_private_segment_size 0
		.amdhsa_uses_dynamic_stack 0
		.amdhsa_system_sgpr_private_segment_wavefront_offset 0
		.amdhsa_system_sgpr_workgroup_id_x 1
		.amdhsa_system_sgpr_workgroup_id_y 1
		.amdhsa_system_sgpr_workgroup_id_z 0
		.amdhsa_system_sgpr_workgroup_info 0
		.amdhsa_system_vgpr_workitem_id 0
		.amdhsa_next_free_vgpr 35
		.amdhsa_next_free_sgpr 32
		.amdhsa_accum_offset 36
		.amdhsa_reserve_vcc 1
		.amdhsa_reserve_flat_scratch 0
		.amdhsa_float_round_mode_32 0
		.amdhsa_float_round_mode_16_64 0
		.amdhsa_float_denorm_mode_32 3
		.amdhsa_float_denorm_mode_16_64 3
		.amdhsa_dx10_clamp 1
		.amdhsa_ieee_mode 1
		.amdhsa_fp16_overflow 0
		.amdhsa_tg_split 0
		.amdhsa_exception_fp_ieee_invalid_op 0
		.amdhsa_exception_fp_denorm_src 0
		.amdhsa_exception_fp_ieee_div_zero 0
		.amdhsa_exception_fp_ieee_overflow 0
		.amdhsa_exception_fp_ieee_underflow 0
		.amdhsa_exception_fp_ieee_inexact 0
		.amdhsa_exception_int_div_zero 0
	.end_amdhsa_kernel
	.section	.text._ZN5aiter35fused_qk_rmsnorm_group_quant_kernelIDF16_DB8_Li128ELi16ELi8ELb0ELb0ELb1ELb0ELb0ELb0EEEvPT0_PvPT_S6_S6_PKS5_S8_S8_S8_S8_ffiiiiiiiiiiiii,"axG",@progbits,_ZN5aiter35fused_qk_rmsnorm_group_quant_kernelIDF16_DB8_Li128ELi16ELi8ELb0ELb0ELb1ELb0ELb0ELb0EEEvPT0_PvPT_S6_S6_PKS5_S8_S8_S8_S8_ffiiiiiiiiiiiii,comdat
.Lfunc_end641:
	.size	_ZN5aiter35fused_qk_rmsnorm_group_quant_kernelIDF16_DB8_Li128ELi16ELi8ELb0ELb0ELb1ELb0ELb0ELb0EEEvPT0_PvPT_S6_S6_PKS5_S8_S8_S8_S8_ffiiiiiiiiiiiii, .Lfunc_end641-_ZN5aiter35fused_qk_rmsnorm_group_quant_kernelIDF16_DB8_Li128ELi16ELi8ELb0ELb0ELb1ELb0ELb0ELb0EEEvPT0_PvPT_S6_S6_PKS5_S8_S8_S8_S8_ffiiiiiiiiiiiii
                                        ; -- End function
	.section	.AMDGPU.csdata,"",@progbits
; Kernel info:
; codeLenInByte = 3524
; NumSgprs: 36
; NumVgprs: 35
; NumAgprs: 0
; TotalNumVgprs: 35
; ScratchSize: 0
; MemoryBound: 0
; FloatMode: 240
; IeeeMode: 1
; LDSByteSize: 16 bytes/workgroup (compile time only)
; SGPRBlocks: 4
; VGPRBlocks: 4
; NumSGPRsForWavesPerEU: 36
; NumVGPRsForWavesPerEU: 35
; AccumOffset: 36
; Occupancy: 8
; WaveLimiterHint : 0
; COMPUTE_PGM_RSRC2:SCRATCH_EN: 0
; COMPUTE_PGM_RSRC2:USER_SGPR: 6
; COMPUTE_PGM_RSRC2:TRAP_HANDLER: 0
; COMPUTE_PGM_RSRC2:TGID_X_EN: 1
; COMPUTE_PGM_RSRC2:TGID_Y_EN: 1
; COMPUTE_PGM_RSRC2:TGID_Z_EN: 0
; COMPUTE_PGM_RSRC2:TIDIG_COMP_CNT: 0
; COMPUTE_PGM_RSRC3_GFX90A:ACCUM_OFFSET: 8
; COMPUTE_PGM_RSRC3_GFX90A:TG_SPLIT: 0
	.section	.text._ZN5aiter35fused_qk_rmsnorm_group_quant_kernelItDB8_Li128ELi16ELi8ELb0ELb0ELb1ELb0ELb0ELb0EEEvPT0_PvPT_S6_S6_PKS5_S8_S8_S8_S8_ffiiiiiiiiiiiii,"axG",@progbits,_ZN5aiter35fused_qk_rmsnorm_group_quant_kernelItDB8_Li128ELi16ELi8ELb0ELb0ELb1ELb0ELb0ELb0EEEvPT0_PvPT_S6_S6_PKS5_S8_S8_S8_S8_ffiiiiiiiiiiiii,comdat
	.protected	_ZN5aiter35fused_qk_rmsnorm_group_quant_kernelItDB8_Li128ELi16ELi8ELb0ELb0ELb1ELb0ELb0ELb0EEEvPT0_PvPT_S6_S6_PKS5_S8_S8_S8_S8_ffiiiiiiiiiiiii ; -- Begin function _ZN5aiter35fused_qk_rmsnorm_group_quant_kernelItDB8_Li128ELi16ELi8ELb0ELb0ELb1ELb0ELb0ELb0EEEvPT0_PvPT_S6_S6_PKS5_S8_S8_S8_S8_ffiiiiiiiiiiiii
	.globl	_ZN5aiter35fused_qk_rmsnorm_group_quant_kernelItDB8_Li128ELi16ELi8ELb0ELb0ELb1ELb0ELb0ELb0EEEvPT0_PvPT_S6_S6_PKS5_S8_S8_S8_S8_ffiiiiiiiiiiiii
	.p2align	8
	.type	_ZN5aiter35fused_qk_rmsnorm_group_quant_kernelItDB8_Li128ELi16ELi8ELb0ELb0ELb1ELb0ELb0ELb0EEEvPT0_PvPT_S6_S6_PKS5_S8_S8_S8_S8_ffiiiiiiiiiiiii,@function
_ZN5aiter35fused_qk_rmsnorm_group_quant_kernelItDB8_Li128ELi16ELi8ELb0ELb0ELb1ELb0ELb0ELb0EEEvPT0_PvPT_S6_S6_PKS5_S8_S8_S8_S8_ffiiiiiiiiiiiii: ; @_ZN5aiter35fused_qk_rmsnorm_group_quant_kernelItDB8_Li128ELi16ELi8ELb0ELb0ELb1ELb0ELb0ELb0EEEvPT0_PvPT_S6_S6_PKS5_S8_S8_S8_S8_ffiiiiiiiiiiiii
; %bb.0:
	s_load_dwordx4 s[16:19], s[4:5], 0x50
	s_waitcnt lgkmcnt(0)
	s_cmp_ge_i32 s6, s18
	s_cbranch_scc1 .LBB642_12
; %bb.1:
	s_load_dwordx2 s[12:13], s[4:5], 0x48
	s_load_dwordx2 s[30:31], s[4:5], 0x30
	s_load_dwordx4 s[20:23], s[4:5], 0x60
	s_cmp_lg_u32 s7, 0
	s_cselect_b64 s[14:15], -1, 0
	s_cmp_eq_u32 s7, 0
	s_cselect_b64 vcc, -1, 0
	s_and_b64 s[0:1], vcc, exec
	s_waitcnt lgkmcnt(0)
	s_cselect_b32 s7, s19, s20
	s_add_i32 s0, s7, 1
	s_lshr_b32 s1, s0, 31
	s_add_i32 s0, s0, s1
	s_lshl_b32 s0, s0, 1
	v_lshlrev_b32_e32 v1, 4, v0
	s_and_b32 s10, s0, -4
	v_cmp_gt_i32_e64 s[2:3], s7, v1
	v_mov_b32_e32 v18, 0
	v_mov_b32_e32 v6, 0
	;; [unrolled: 1-line block ×17, first 2 shown]
	s_and_saveexec_b64 s[0:1], s[2:3]
	s_cbranch_execz .LBB642_3
; %bb.2:
	s_load_dwordx2 s[8:9], s[4:5], 0x28
	s_load_dwordx2 s[26:27], s[4:5], 0x40
	s_and_b64 s[24:25], vcc, exec
	s_cselect_b32 s11, s21, s22
	v_lshlrev_b32_e32 v19, 5, v0
	s_waitcnt lgkmcnt(0)
	s_cselect_b32 s18, s9, s31
	s_cselect_b32 s21, s8, s30
	s_mul_hi_i32 s9, s11, s6
	s_mul_i32 s8, s11, s6
	s_lshl_b64 s[8:9], s[8:9], 1
	s_add_u32 s24, s21, s8
	s_addc_u32 s18, s18, s9
	s_and_b64 s[8:9], vcc, exec
	s_mov_b32 s11, 0x20000
	s_cselect_b32 s8, s26, s12
	s_cselect_b32 s9, s27, s13
	s_and_b32 s25, s18, 0xffff
	s_mov_b32 s26, s10
	s_mov_b32 s27, s11
	s_and_b32 s9, s9, 0xffff
	buffer_load_dwordx4 v[14:17], v19, s[24:27], 0 offen
	buffer_load_dwordx4 v[10:13], v19, s[24:27], 16 offen
	;; [unrolled: 1-line block ×4, first 2 shown]
.LBB642_3:
	s_or_b64 exec, exec, s[0:1]
	v_mov_b32_e32 v19, 0
	v_mov_b32_e32 v32, 0
	;; [unrolled: 1-line block ×15, first 2 shown]
	s_and_saveexec_b64 s[0:1], s[2:3]
	s_cbranch_execz .LBB642_5
; %bb.4:
	s_waitcnt vmcnt(3)
	v_cvt_f32_u32_sdwa v18, v14 dst_sel:DWORD dst_unused:UNUSED_PAD src0_sel:WORD_0
	v_cvt_f32_u32_sdwa v19, v14 dst_sel:DWORD dst_unused:UNUSED_PAD src0_sel:WORD_1
	v_cvt_f32_u32_sdwa v32, v15 dst_sel:DWORD dst_unused:UNUSED_PAD src0_sel:WORD_0
	v_cvt_f32_u32_sdwa v33, v15 dst_sel:DWORD dst_unused:UNUSED_PAD src0_sel:WORD_1
	;; [unrolled: 2-line block ×4, first 2 shown]
	s_waitcnt vmcnt(2)
	v_cvt_f32_u32_sdwa v24, v10 dst_sel:DWORD dst_unused:UNUSED_PAD src0_sel:WORD_0
	v_cvt_f32_u32_sdwa v25, v10 dst_sel:DWORD dst_unused:UNUSED_PAD src0_sel:WORD_1
	v_cvt_f32_u32_sdwa v28, v11 dst_sel:DWORD dst_unused:UNUSED_PAD src0_sel:WORD_0
	v_cvt_f32_u32_sdwa v29, v11 dst_sel:DWORD dst_unused:UNUSED_PAD src0_sel:WORD_1
	;; [unrolled: 2-line block ×4, first 2 shown]
.LBB642_5:
	s_or_b64 exec, exec, s[0:1]
	s_waitcnt vmcnt(2)
	v_mul_f32_e32 v10, v19, v19
	v_fmac_f32_e32 v10, v18, v18
	v_fmac_f32_e32 v10, v32, v32
	;; [unrolled: 1-line block ×15, first 2 shown]
	v_and_b32_e32 v12, 63, v0
	v_cmp_eq_u32_e64 s[0:1], 63, v12
	v_mov_b32_dpp v11, v10 quad_perm:[1,0,3,2] row_mask:0xf bank_mask:0xf
	v_add_f32_e32 v10, v10, v11
	s_nop 1
	v_mov_b32_dpp v11, v10 quad_perm:[2,3,0,1] row_mask:0xf bank_mask:0xf
	v_add_f32_e32 v10, v10, v11
	s_nop 1
	v_mov_b32_dpp v11, v10 row_half_mirror row_mask:0xf bank_mask:0xf
	v_add_f32_e32 v10, v10, v11
	s_nop 1
	v_mov_b32_dpp v11, v10 row_mirror row_mask:0xf bank_mask:0xf
	v_add_f32_e32 v10, v10, v11
	s_nop 1
	v_mov_b32_dpp v11, v10 row_bcast:15 row_mask:0xf bank_mask:0xf
	v_add_f32_e32 v10, v10, v11
	s_nop 1
	v_mov_b32_dpp v11, v10 row_bcast:31 row_mask:0xf bank_mask:0xf
	s_and_saveexec_b64 s[8:9], s[0:1]
	s_cbranch_execz .LBB642_7
; %bb.6:
	v_add_f32_e32 v10, v10, v11
	v_lshrrev_b32_e32 v11, 4, v0
	v_and_b32_e32 v11, 60, v11
	ds_write_b32 v11, v10 offset:8
.LBB642_7:
	s_or_b64 exec, exec, s[8:9]
	v_and_b32_e32 v10, 1, v0
	v_lshlrev_b32_e32 v34, 2, v10
	s_waitcnt lgkmcnt(0)
	s_barrier
	ds_read_b32 v10, v34 offset:8
	s_load_dwordx2 s[28:29], s[4:5], 0x18
	s_waitcnt lgkmcnt(0)
	v_mov_b32_dpp v11, v10 quad_perm:[1,0,3,2] row_mask:0xf bank_mask:0xf
	s_and_saveexec_b64 s[8:9], s[2:3]
	s_cbranch_execz .LBB642_9
; %bb.8:
	v_cvt_f32_u32_e32 v12, s7
	v_add_f32_e32 v10, v10, v11
	v_mov_b32_e32 v14, s17
	v_mov_b32_e32 v15, s16
	v_div_scale_f32 v11, s[24:25], v12, v12, v10
	v_rcp_f32_e32 v13, v11
	v_cndmask_b32_e32 v14, v14, v15, vcc
	s_mov_b32 s7, 0x800000
	v_fma_f32 v15, -v11, v13, 1.0
	v_fmac_f32_e32 v13, v15, v13
	v_div_scale_f32 v15, vcc, v10, v12, v10
	v_mul_f32_e32 v16, v15, v13
	v_fma_f32 v17, -v11, v16, v15
	v_fmac_f32_e32 v16, v17, v13
	v_fma_f32 v11, -v11, v16, v15
	v_div_fmas_f32 v11, v11, v13, v16
	v_div_fixup_f32 v10, v11, v12, v10
	v_add_f32_e32 v10, v14, v10
	v_mul_f32_e32 v11, 0x4b800000, v10
	v_cmp_gt_f32_e32 vcc, s7, v10
	v_cndmask_b32_e32 v10, v10, v11, vcc
	v_rsq_f32_e32 v10, v10
	v_mul_f32_e32 v11, 0x45800000, v10
	v_cndmask_b32_e32 v10, v10, v11, vcc
	v_mov_b32_e32 v11, v10
	;;#ASMSTART
	v_pk_mul_f32 v[12:13], v[18:19], v[10:11]
	;;#ASMEND
	s_waitcnt vmcnt(1)
	v_cvt_f32_u32_sdwa v19, v6 dst_sel:DWORD dst_unused:UNUSED_PAD src0_sel:WORD_1
	v_cvt_f32_u32_sdwa v18, v6 dst_sel:DWORD dst_unused:UNUSED_PAD src0_sel:WORD_0
	;;#ASMSTART
	v_pk_mul_f32 v[14:15], v[32:33], v[10:11]
	;;#ASMEND
	;;#ASMSTART
	v_pk_mul_f32 v[16:17], v[26:27], v[10:11]
	;;#ASMEND
	v_cvt_f32_u32_sdwa v27, v7 dst_sel:DWORD dst_unused:UNUSED_PAD src0_sel:WORD_1
	v_cvt_f32_u32_sdwa v26, v7 dst_sel:DWORD dst_unused:UNUSED_PAD src0_sel:WORD_0
	;;#ASMSTART
	v_pk_mul_f32 v[30:31], v[30:31], v[10:11]
	;;#ASMEND
	;;#ASMSTART
	v_pk_mul_f32 v[24:25], v[24:25], v[10:11]
	;;#ASMEND
	;; [unrolled: 3-line block ×5, first 2 shown]
	v_pk_add_f32 v[10:11], v[18:19], 1.0 op_sel_hi:[1,0]
	;;#ASMSTART
	v_pk_mul_f32 v[18:19], v[12:13], v[10:11]
	;;#ASMEND
	v_cvt_f32_u32_sdwa v13, v8 dst_sel:DWORD dst_unused:UNUSED_PAD src0_sel:WORD_1
	v_cvt_f32_u32_sdwa v12, v8 dst_sel:DWORD dst_unused:UNUSED_PAD src0_sel:WORD_0
	v_cvt_f32_u32_sdwa v21, v9 dst_sel:DWORD dst_unused:UNUSED_PAD src0_sel:WORD_1
	v_cvt_f32_u32_sdwa v20, v9 dst_sel:DWORD dst_unused:UNUSED_PAD src0_sel:WORD_0
	v_pk_add_f32 v[10:11], v[26:27], 1.0 op_sel_hi:[1,0]
	;;#ASMSTART
	v_pk_mul_f32 v[32:33], v[14:15], v[10:11]
	;;#ASMEND
	s_waitcnt vmcnt(0)
	v_cvt_f32_u32_sdwa v11, v2 dst_sel:DWORD dst_unused:UNUSED_PAD src0_sel:WORD_1
	v_cvt_f32_u32_sdwa v10, v2 dst_sel:DWORD dst_unused:UNUSED_PAD src0_sel:WORD_0
	v_pk_add_f32 v[8:9], v[12:13], 1.0 op_sel_hi:[1,0]
	;;#ASMSTART
	v_pk_mul_f32 v[26:27], v[16:17], v[8:9]
	;;#ASMEND
	v_pk_add_f32 v[8:9], v[20:21], 1.0 op_sel_hi:[1,0]
	v_cvt_f32_u32_sdwa v13, v3 dst_sel:DWORD dst_unused:UNUSED_PAD src0_sel:WORD_1
	v_cvt_f32_u32_sdwa v12, v3 dst_sel:DWORD dst_unused:UNUSED_PAD src0_sel:WORD_0
	;;#ASMSTART
	v_pk_mul_f32 v[30:31], v[30:31], v[8:9]
	;;#ASMEND
	v_cvt_f32_u32_sdwa v9, v4 dst_sel:DWORD dst_unused:UNUSED_PAD src0_sel:WORD_1
	v_cvt_f32_u32_sdwa v8, v4 dst_sel:DWORD dst_unused:UNUSED_PAD src0_sel:WORD_0
	v_pk_add_f32 v[2:3], v[10:11], 1.0 op_sel_hi:[1,0]
	v_cvt_f32_u32_sdwa v11, v5 dst_sel:DWORD dst_unused:UNUSED_PAD src0_sel:WORD_1
	v_cvt_f32_u32_sdwa v10, v5 dst_sel:DWORD dst_unused:UNUSED_PAD src0_sel:WORD_0
	;;#ASMSTART
	v_pk_mul_f32 v[24:25], v[24:25], v[2:3]
	;;#ASMEND
	v_pk_add_f32 v[2:3], v[12:13], 1.0 op_sel_hi:[1,0]
	;;#ASMSTART
	v_pk_mul_f32 v[28:29], v[28:29], v[2:3]
	;;#ASMEND
	v_pk_add_f32 v[2:3], v[8:9], 1.0 op_sel_hi:[1,0]
	;; [unrolled: 4-line block ×3, first 2 shown]
	;;#ASMSTART
	v_pk_mul_f32 v[20:21], v[6:7], v[2:3]
	;;#ASMEND
.LBB642_9:
	s_or_b64 exec, exec, s[8:9]
	s_load_dword s7, s[4:5], 0x80
	s_mov_b64 s[8:9], -1
	s_and_b64 vcc, exec, s[14:15]
	s_cbranch_vccnz .LBB642_13
; %bb.10:
	s_andn2_b64 vcc, exec, s[8:9]
	s_cbranch_vccz .LBB642_16
.LBB642_11:
	s_cmp_lt_i32 s20, 1
	s_cbranch_scc0 .LBB642_23
.LBB642_12:
	s_endpgm
.LBB642_13:
	s_and_saveexec_b64 s[14:15], s[2:3]
	s_cbranch_execz .LBB642_15
; %bb.14:
	s_waitcnt lgkmcnt(0)
	s_mul_hi_i32 s9, s7, s6
	s_mul_i32 s8, s7, s6
	s_lshl_b64 s[8:9], s[8:9], 1
	s_add_u32 s8, s28, s8
	s_addc_u32 s9, s29, s9
	s_mov_b32 s16, 0x7060302
	s_and_b32 s9, s9, 0xffff
	s_mov_b32 s11, 0x20000
	s_waitcnt vmcnt(0)
	v_perm_b32 v5, v31, v30, s16
	v_perm_b32 v4, v27, v26, s16
	;; [unrolled: 1-line block ×4, first 2 shown]
	v_lshlrev_b32_e32 v6, 5, v0
	buffer_store_dwordx4 v[2:5], v6, s[8:11], 0 offen
	;;#ASMSTART
	s_nop 0
	;;#ASMEND
	s_nop 0
	v_perm_b32 v5, v21, v20, s16
	v_perm_b32 v4, v23, v22, s16
	;; [unrolled: 1-line block ×4, first 2 shown]
	buffer_store_dwordx4 v[2:5], v6, s[8:11], 16 offen
	;;#ASMSTART
	s_nop 0
	;;#ASMEND
.LBB642_15:
	s_or_b64 exec, exec, s[14:15]
	s_cbranch_execnz .LBB642_11
.LBB642_16:
	s_waitcnt vmcnt(0)
	v_mov_b32_e32 v2, 0
	s_and_saveexec_b64 s[8:9], s[2:3]
	s_cbranch_execz .LBB642_18
; %bb.17:
	v_and_b32_e32 v2, 0x7fffffff, v18
	v_and_b32_e32 v3, 0x7fffffff, v19
	v_mov_b32_e32 v4, 0x2edbe6ff
	;;#ASMSTART
	v_max3_f32 v2, v4, v2, v3

	;;#ASMEND
	v_and_b32_e32 v3, 0x7fffffff, v32
	v_and_b32_e32 v4, 0x7fffffff, v33
	;;#ASMSTART
	v_max3_f32 v2, v2, v3, v4

	;;#ASMEND
	v_and_b32_e32 v3, 0x7fffffff, v26
	v_and_b32_e32 v4, 0x7fffffff, v27
	;; [unrolled: 6-line block ×7, first 2 shown]
	;;#ASMSTART
	v_max3_f32 v2, v2, v3, v4

	;;#ASMEND
.LBB642_18:
	s_or_b64 exec, exec, s[8:9]
	s_load_dwordx4 s[24:27], s[4:5], 0x70
	;;#ASMSTART
	v_max_f32 v3, v2, v2 quad_perm:[1,0,3,2] row_mask:0xf bank_mask:0xf bound_ctrl:1
	;;#ASMEND
	;;#ASMSTART
	v_max_f32 v2, v3, v3 quad_perm:[2,3,0,1] row_mask:0xf bank_mask:0xf bound_ctrl:1
	;;#ASMEND
	;;#ASMSTART
	v_max_f32 v3, v2, v2 row_half_mirror row_mask:0xf bank_mask:0xf bound_ctrl:1
	;;#ASMEND
	v_mul_f32_e32 v2, 0x3b124925, v3
	v_and_b32_e32 v3, 7, v0
	v_cmp_eq_u32_e32 vcc, 0, v3
	v_cmp_gt_i32_e64 s[8:9], s19, v1
	s_and_b64 s[10:11], vcc, s[8:9]
	s_and_saveexec_b64 s[8:9], s[10:11]
	s_cbranch_execz .LBB642_20
; %bb.19:
	s_load_dwordx2 s[10:11], s[4:5], 0x8
	s_waitcnt lgkmcnt(0)
	s_mul_hi_i32 s15, s25, s6
	s_mul_i32 s14, s25, s6
	v_lshrrev_b32_e32 v3, 3, v0
	s_lshl_b64 s[14:15], s[14:15], 2
	v_mad_i64_i32 v[4:5], s[26:27], s26, v3, 0
	s_add_u32 s10, s10, s14
	s_addc_u32 s11, s11, s15
	v_lshlrev_b64 v[4:5], 2, v[4:5]
	v_mov_b32_e32 v3, s11
	v_add_co_u32_e32 v4, vcc, s10, v4
	v_addc_co_u32_e32 v5, vcc, v3, v5, vcc
	global_store_dword v[4:5], v2, off
.LBB642_20:
	s_or_b64 exec, exec, s[8:9]
	;;#ASMSTART
	v_rcp_f32 v2, v2
	;;#ASMEND
	s_and_saveexec_b64 s[14:15], s[2:3]
	s_cbranch_execz .LBB642_22
; %bb.21:
	s_load_dwordx2 s[2:3], s[4:5], 0x0
	s_waitcnt lgkmcnt(0)
	s_mul_i32 s8, s24, s6
	s_mul_hi_i32 s9, s24, s6
	v_mov_b32_e32 v3, v2
	;;#ASMSTART
	v_pk_mul_f32 v[4:5], v[18:19], v[2:3]
	;;#ASMEND
	s_add_u32 s8, s2, s8
	s_addc_u32 s2, s3, s9
	s_add_i32 s3, s19, 3
	s_ashr_i32 s10, s3, 31
	v_mov_b32_e32 v10, 0xc3e00000
	v_mov_b32_e32 v11, 0x43e00000
	;;#ASMSTART
	v_med3_f32 v4, v4, v10, v11
v_med3_f32 v5, v5, v10, v11
v_cvt_pk_fp8_f32 v6, v4, v5
	;;#ASMEND
	s_and_b32 s9, s2, 0xffff
	s_lshr_b32 s2, s10, 30
	;;#ASMSTART
	v_pk_mul_f32 v[4:5], v[32:33], v[2:3]
	;;#ASMEND
	s_add_i32 s3, s3, s2
	;;#ASMSTART
	v_med3_f32 v4, v4, v10, v11
v_med3_f32 v5, v5, v10, v11
v_cvt_pk_fp8_f32 v7, v4, v5
	;;#ASMEND
	s_mov_b32 s2, 0x5040100
	v_perm_b32 v4, v7, v6, s2
	s_mov_b32 s2, 0x1060504
	v_perm_b32 v4, v4, v7, s2
	;;#ASMSTART
	v_pk_mul_f32 v[6:7], v[26:27], v[2:3]
	;;#ASMEND
	v_mov_b32_e32 v5, v7
	;;#ASMSTART
	v_med3_f32 v6, v6, v10, v11
v_med3_f32 v5, v5, v10, v11
v_cvt_pk_fp8_f32 v8, v6, v5
	;;#ASMEND
	;;#ASMSTART
	v_pk_mul_f32 v[6:7], v[30:31], v[2:3]
	;;#ASMEND
	v_mov_b32_e32 v5, v7
	;;#ASMSTART
	v_med3_f32 v6, v6, v10, v11
v_med3_f32 v5, v5, v10, v11
v_cvt_pk_fp8_f32 v7, v6, v5
	;;#ASMEND
	s_mov_b32 s2, 0x1000504
	v_perm_b32 v5, v8, v7, s2
	;;#ASMSTART
	v_pk_mul_f32 v[6:7], v[24:25], v[2:3]
	;;#ASMEND
	;;#ASMSTART
	v_med3_f32 v6, v6, v10, v11
v_med3_f32 v7, v7, v10, v11
v_cvt_pk_fp8_f32 v8, v6, v7
	;;#ASMEND
	;;#ASMSTART
	v_pk_mul_f32 v[6:7], v[28:29], v[2:3]
	;;#ASMEND
	;;#ASMSTART
	v_med3_f32 v6, v6, v10, v11
v_med3_f32 v7, v7, v10, v11
v_cvt_pk_fp8_f32 v9, v6, v7
	;;#ASMEND
	v_perm_b32 v6, v8, v9, s2
	;;#ASMSTART
	v_pk_mul_f32 v[8:9], v[22:23], v[2:3]
	;;#ASMEND
	v_mov_b32_e32 v7, v9
	;;#ASMSTART
	v_med3_f32 v8, v8, v10, v11
v_med3_f32 v7, v7, v10, v11
v_cvt_pk_fp8_f32 v9, v8, v7
	;;#ASMEND
	;;#ASMSTART
	v_pk_mul_f32 v[2:3], v[20:21], v[2:3]
	;;#ASMEND
	;;#ASMSTART
	v_med3_f32 v2, v2, v10, v11
v_med3_f32 v3, v3, v10, v11
v_cvt_pk_fp8_f32 v7, v2, v3
	;;#ASMEND
	s_and_b32 s10, s3, -4
	s_mov_b32 s11, 0x20000
	v_perm_b32 v7, v9, v7, s2
	buffer_store_dwordx4 v[4:7], v1, s[8:11], 0 offen
	;;#ASMSTART
	s_nop 0
	;;#ASMEND
.LBB642_22:
	s_or_b64 exec, exec, s[14:15]
	s_cmp_lt_i32 s20, 1
	s_cbranch_scc1 .LBB642_12
.LBB642_23:
	s_load_dword s2, s[4:5], 0x94
	s_waitcnt lgkmcnt(0)
	s_cmp_lg_u32 s2, 1
	s_cbranch_scc1 .LBB642_12
; %bb.24:
	s_lshl_b32 s2, s20, 1
	s_add_i32 s2, s2, 2
	v_cmp_gt_u32_e32 vcc, s20, v1
	s_and_b32 s14, s2, -4
	v_mov_b32_e32 v18, 0
	v_lshlrev_b32_e32 v1, 5, v0
	v_mov_b32_e32 v14, 0
	v_mov_b32_e32 v15, 0
	;; [unrolled: 1-line block ×8, first 2 shown]
	s_waitcnt vmcnt(1)
	v_mov_b32_e32 v6, 0
	v_mov_b32_e32 v7, 0
	;; [unrolled: 1-line block ×4, first 2 shown]
	s_waitcnt vmcnt(0)
	v_mov_b32_e32 v2, 0
	v_mov_b32_e32 v3, 0
	;; [unrolled: 1-line block ×4, first 2 shown]
	s_barrier
	s_and_saveexec_b64 s[2:3], vcc
	s_cbranch_execz .LBB642_26
; %bb.25:
	s_mul_hi_i32 s5, s22, s6
	s_mul_i32 s4, s22, s6
	s_and_b32 s13, s13, 0xffff
	s_lshl_b64 s[4:5], s[4:5], 1
	s_add_u32 s8, s30, s4
	s_mov_b32 s15, 0x20000
	s_addc_u32 s4, s31, s5
	s_and_b32 s9, s4, 0xffff
	s_mov_b32 s10, s14
	s_mov_b32 s11, s15
	buffer_load_dwordx4 v[14:17], v1, s[8:11], 0 offen
	buffer_load_dwordx4 v[10:13], v1, s[8:11], 16 offen
	;; [unrolled: 1-line block ×4, first 2 shown]
.LBB642_26:
	s_or_b64 exec, exec, s[2:3]
	v_mov_b32_e32 v19, 0
	v_mov_b32_e32 v32, 0
	;; [unrolled: 1-line block ×15, first 2 shown]
	s_and_saveexec_b64 s[2:3], vcc
	s_cbranch_execz .LBB642_28
; %bb.27:
	s_waitcnt vmcnt(3)
	v_cvt_f32_u32_sdwa v18, v14 dst_sel:DWORD dst_unused:UNUSED_PAD src0_sel:WORD_0
	v_cvt_f32_u32_sdwa v19, v14 dst_sel:DWORD dst_unused:UNUSED_PAD src0_sel:WORD_1
	v_cvt_f32_u32_sdwa v32, v15 dst_sel:DWORD dst_unused:UNUSED_PAD src0_sel:WORD_0
	v_cvt_f32_u32_sdwa v33, v15 dst_sel:DWORD dst_unused:UNUSED_PAD src0_sel:WORD_1
	;; [unrolled: 2-line block ×4, first 2 shown]
	s_waitcnt vmcnt(2)
	v_cvt_f32_u32_sdwa v26, v10 dst_sel:DWORD dst_unused:UNUSED_PAD src0_sel:WORD_0
	v_cvt_f32_u32_sdwa v27, v10 dst_sel:DWORD dst_unused:UNUSED_PAD src0_sel:WORD_1
	v_cvt_f32_u32_sdwa v24, v11 dst_sel:DWORD dst_unused:UNUSED_PAD src0_sel:WORD_0
	v_cvt_f32_u32_sdwa v25, v11 dst_sel:DWORD dst_unused:UNUSED_PAD src0_sel:WORD_1
	v_cvt_f32_u32_sdwa v22, v12 dst_sel:DWORD dst_unused:UNUSED_PAD src0_sel:WORD_0
	v_cvt_f32_u32_sdwa v23, v12 dst_sel:DWORD dst_unused:UNUSED_PAD src0_sel:WORD_1
	v_cvt_f32_u32_sdwa v20, v13 dst_sel:DWORD dst_unused:UNUSED_PAD src0_sel:WORD_0
	v_cvt_f32_u32_sdwa v21, v13 dst_sel:DWORD dst_unused:UNUSED_PAD src0_sel:WORD_1
.LBB642_28:
	s_or_b64 exec, exec, s[2:3]
	s_waitcnt vmcnt(2)
	v_mul_f32_e32 v10, v19, v19
	v_fmac_f32_e32 v10, v18, v18
	v_fmac_f32_e32 v10, v32, v32
	;; [unrolled: 1-line block ×15, first 2 shown]
	s_nop 1
	v_mov_b32_dpp v11, v10 quad_perm:[1,0,3,2] row_mask:0xf bank_mask:0xf
	v_add_f32_e32 v10, v10, v11
	s_nop 1
	v_mov_b32_dpp v11, v10 quad_perm:[2,3,0,1] row_mask:0xf bank_mask:0xf
	v_add_f32_e32 v10, v10, v11
	s_nop 1
	v_mov_b32_dpp v11, v10 row_half_mirror row_mask:0xf bank_mask:0xf
	v_add_f32_e32 v10, v10, v11
	s_nop 1
	v_mov_b32_dpp v11, v10 row_mirror row_mask:0xf bank_mask:0xf
	v_add_f32_e32 v10, v10, v11
	s_nop 1
	v_mov_b32_dpp v11, v10 row_bcast:15 row_mask:0xf bank_mask:0xf
	v_add_f32_e32 v10, v10, v11
	s_nop 1
	v_mov_b32_dpp v11, v10 row_bcast:31 row_mask:0xf bank_mask:0xf
	s_and_saveexec_b64 s[2:3], s[0:1]
	s_cbranch_execz .LBB642_30
; %bb.29:
	v_lshrrev_b32_e32 v0, 4, v0
	v_add_f32_e32 v10, v10, v11
	v_and_b32_e32 v0, 60, v0
	ds_write_b32 v0, v10
.LBB642_30:
	s_or_b64 exec, exec, s[2:3]
	s_waitcnt lgkmcnt(0)
	s_barrier
	ds_read_b32 v0, v34
	s_waitcnt lgkmcnt(0)
	s_nop 0
	v_mov_b32_dpp v10, v0 quad_perm:[1,0,3,2] row_mask:0xf bank_mask:0xf
	s_and_saveexec_b64 s[0:1], vcc
	s_cbranch_execz .LBB642_12
; %bb.31:
	v_cvt_f32_u32_e32 v11, s20
	v_add_f32_e32 v0, v0, v10
	s_mov_b32 s15, 0x20000
	v_div_scale_f32 v10, s[0:1], v11, v11, v0
	v_rcp_f32_e32 v12, v10
	v_div_scale_f32 v13, vcc, v0, v11, v0
	s_mov_b32 s0, 0x800000
	v_fma_f32 v14, -v10, v12, 1.0
	v_fmac_f32_e32 v12, v14, v12
	v_mul_f32_e32 v14, v13, v12
	v_fma_f32 v15, -v10, v14, v13
	v_fmac_f32_e32 v14, v15, v12
	v_fma_f32 v10, -v10, v14, v13
	v_div_fmas_f32 v10, v10, v12, v14
	v_div_fixup_f32 v0, v10, v11, v0
	v_add_f32_e32 v0, s17, v0
	v_mul_f32_e32 v10, 0x4b800000, v0
	v_cmp_gt_f32_e32 vcc, s0, v0
	v_cndmask_b32_e32 v0, v0, v10, vcc
	v_rsq_f32_e32 v0, v0
	s_mul_hi_i32 s1, s7, s6
	s_mul_i32 s0, s7, s6
	s_lshl_b64 s[0:1], s[0:1], 1
	v_mul_f32_e32 v10, 0x45800000, v0
	v_cndmask_b32_e32 v10, v0, v10, vcc
	v_mov_b32_e32 v11, v10
	;;#ASMSTART
	v_pk_mul_f32 v[12:13], v[18:19], v[10:11]
	;;#ASMEND
	;;#ASMSTART
	v_pk_mul_f32 v[14:15], v[32:33], v[10:11]
	;;#ASMEND
	;; [unrolled: 3-line block ×4, first 2 shown]
	s_waitcnt vmcnt(1)
	v_cvt_f32_u32_sdwa v29, v6 dst_sel:DWORD dst_unused:UNUSED_PAD src0_sel:WORD_1
	v_cvt_f32_u32_sdwa v28, v6 dst_sel:DWORD dst_unused:UNUSED_PAD src0_sel:WORD_0
	v_cvt_f32_u32_sdwa v31, v7 dst_sel:DWORD dst_unused:UNUSED_PAD src0_sel:WORD_1
	v_cvt_f32_u32_sdwa v30, v7 dst_sel:DWORD dst_unused:UNUSED_PAD src0_sel:WORD_0
	;;#ASMSTART
	v_pk_mul_f32 v[26:27], v[26:27], v[10:11]
	;;#ASMEND
	;;#ASMSTART
	v_pk_mul_f32 v[24:25], v[24:25], v[10:11]
	;;#ASMEND
	;; [unrolled: 3-line block ×4, first 2 shown]
	v_cvt_f32_u32_sdwa v21, v8 dst_sel:DWORD dst_unused:UNUSED_PAD src0_sel:WORD_1
	v_cvt_f32_u32_sdwa v20, v8 dst_sel:DWORD dst_unused:UNUSED_PAD src0_sel:WORD_0
	v_pk_add_f32 v[10:11], v[28:29], 1.0 op_sel_hi:[1,0]
	;;#ASMSTART
	v_pk_mul_f32 v[10:11], v[12:13], v[10:11]
	;;#ASMEND
	v_pk_add_f32 v[12:13], v[30:31], 1.0 op_sel_hi:[1,0]
	v_cvt_f32_u32_sdwa v29, v9 dst_sel:DWORD dst_unused:UNUSED_PAD src0_sel:WORD_1
	v_cvt_f32_u32_sdwa v28, v9 dst_sel:DWORD dst_unused:UNUSED_PAD src0_sel:WORD_0
	;;#ASMSTART
	v_pk_mul_f32 v[8:9], v[14:15], v[12:13]
	;;#ASMEND
	v_pk_add_f32 v[12:13], v[20:21], 1.0 op_sel_hi:[1,0]
	;;#ASMSTART
	v_pk_mul_f32 v[12:13], v[16:17], v[12:13]
	;;#ASMEND
	s_waitcnt vmcnt(0)
	v_cvt_f32_u32_sdwa v17, v2 dst_sel:DWORD dst_unused:UNUSED_PAD src0_sel:WORD_1
	v_cvt_f32_u32_sdwa v16, v2 dst_sel:DWORD dst_unused:UNUSED_PAD src0_sel:WORD_0
	v_cvt_f32_u32_sdwa v21, v3 dst_sel:DWORD dst_unused:UNUSED_PAD src0_sel:WORD_1
	v_cvt_f32_u32_sdwa v20, v3 dst_sel:DWORD dst_unused:UNUSED_PAD src0_sel:WORD_0
	v_pk_add_f32 v[14:15], v[28:29], 1.0 op_sel_hi:[1,0]
	;;#ASMSTART
	v_pk_mul_f32 v[14:15], v[18:19], v[14:15]
	;;#ASMEND
	v_pk_add_f32 v[2:3], v[16:17], 1.0 op_sel_hi:[1,0]
	v_cvt_f32_u32_sdwa v19, v4 dst_sel:DWORD dst_unused:UNUSED_PAD src0_sel:WORD_1
	v_cvt_f32_u32_sdwa v18, v4 dst_sel:DWORD dst_unused:UNUSED_PAD src0_sel:WORD_0
	;;#ASMSTART
	v_pk_mul_f32 v[16:17], v[26:27], v[2:3]
	;;#ASMEND
	v_pk_add_f32 v[2:3], v[20:21], 1.0 op_sel_hi:[1,0]
	v_cvt_f32_u32_sdwa v21, v5 dst_sel:DWORD dst_unused:UNUSED_PAD src0_sel:WORD_1
	v_cvt_f32_u32_sdwa v20, v5 dst_sel:DWORD dst_unused:UNUSED_PAD src0_sel:WORD_0
	s_add_u32 s12, s28, s0
	;;#ASMSTART
	v_pk_mul_f32 v[24:25], v[24:25], v[2:3]
	;;#ASMEND
	v_pk_add_f32 v[2:3], v[18:19], 1.0 op_sel_hi:[1,0]
	s_addc_u32 s0, s29, s1
	;;#ASMSTART
	v_pk_mul_f32 v[18:19], v[22:23], v[2:3]
	;;#ASMEND
	v_pk_add_f32 v[2:3], v[20:21], 1.0 op_sel_hi:[1,0]
	s_and_b32 s13, s0, 0xffff
	s_mov_b32 s0, 0x7060302
	;;#ASMSTART
	v_pk_mul_f32 v[6:7], v[6:7], v[2:3]
	;;#ASMEND
	v_perm_b32 v2, v11, v10, s0
	v_perm_b32 v3, v9, v8, s0
	;; [unrolled: 1-line block ×4, first 2 shown]
	buffer_store_dwordx4 v[2:5], v1, s[12:15], 0 offen
	;;#ASMSTART
	s_nop 0
	;;#ASMEND
	s_nop 0
	v_perm_b32 v2, v17, v16, s0
	v_perm_b32 v3, v25, v24, s0
	;; [unrolled: 1-line block ×4, first 2 shown]
	buffer_store_dwordx4 v[2:5], v1, s[12:15], 16 offen
	;;#ASMSTART
	s_nop 0
	;;#ASMEND
	s_endpgm
	.section	.rodata,"a",@progbits
	.p2align	6, 0x0
	.amdhsa_kernel _ZN5aiter35fused_qk_rmsnorm_group_quant_kernelItDB8_Li128ELi16ELi8ELb0ELb0ELb1ELb0ELb0ELb0EEEvPT0_PvPT_S6_S6_PKS5_S8_S8_S8_S8_ffiiiiiiiiiiiii
		.amdhsa_group_segment_fixed_size 16
		.amdhsa_private_segment_fixed_size 0
		.amdhsa_kernarg_size 400
		.amdhsa_user_sgpr_count 6
		.amdhsa_user_sgpr_private_segment_buffer 1
		.amdhsa_user_sgpr_dispatch_ptr 0
		.amdhsa_user_sgpr_queue_ptr 0
		.amdhsa_user_sgpr_kernarg_segment_ptr 1
		.amdhsa_user_sgpr_dispatch_id 0
		.amdhsa_user_sgpr_flat_scratch_init 0
		.amdhsa_user_sgpr_kernarg_preload_length 0
		.amdhsa_user_sgpr_kernarg_preload_offset 0
		.amdhsa_user_sgpr_private_segment_size 0
		.amdhsa_uses_dynamic_stack 0
		.amdhsa_system_sgpr_private_segment_wavefront_offset 0
		.amdhsa_system_sgpr_workgroup_id_x 1
		.amdhsa_system_sgpr_workgroup_id_y 1
		.amdhsa_system_sgpr_workgroup_id_z 0
		.amdhsa_system_sgpr_workgroup_info 0
		.amdhsa_system_vgpr_workitem_id 0
		.amdhsa_next_free_vgpr 35
		.amdhsa_next_free_sgpr 32
		.amdhsa_accum_offset 36
		.amdhsa_reserve_vcc 1
		.amdhsa_reserve_flat_scratch 0
		.amdhsa_float_round_mode_32 0
		.amdhsa_float_round_mode_16_64 0
		.amdhsa_float_denorm_mode_32 3
		.amdhsa_float_denorm_mode_16_64 3
		.amdhsa_dx10_clamp 1
		.amdhsa_ieee_mode 1
		.amdhsa_fp16_overflow 0
		.amdhsa_tg_split 0
		.amdhsa_exception_fp_ieee_invalid_op 0
		.amdhsa_exception_fp_denorm_src 0
		.amdhsa_exception_fp_ieee_div_zero 0
		.amdhsa_exception_fp_ieee_overflow 0
		.amdhsa_exception_fp_ieee_underflow 0
		.amdhsa_exception_fp_ieee_inexact 0
		.amdhsa_exception_int_div_zero 0
	.end_amdhsa_kernel
	.section	.text._ZN5aiter35fused_qk_rmsnorm_group_quant_kernelItDB8_Li128ELi16ELi8ELb0ELb0ELb1ELb0ELb0ELb0EEEvPT0_PvPT_S6_S6_PKS5_S8_S8_S8_S8_ffiiiiiiiiiiiii,"axG",@progbits,_ZN5aiter35fused_qk_rmsnorm_group_quant_kernelItDB8_Li128ELi16ELi8ELb0ELb0ELb1ELb0ELb0ELb0EEEvPT0_PvPT_S6_S6_PKS5_S8_S8_S8_S8_ffiiiiiiiiiiiii,comdat
.Lfunc_end642:
	.size	_ZN5aiter35fused_qk_rmsnorm_group_quant_kernelItDB8_Li128ELi16ELi8ELb0ELb0ELb1ELb0ELb0ELb0EEEvPT0_PvPT_S6_S6_PKS5_S8_S8_S8_S8_ffiiiiiiiiiiiii, .Lfunc_end642-_ZN5aiter35fused_qk_rmsnorm_group_quant_kernelItDB8_Li128ELi16ELi8ELb0ELb0ELb1ELb0ELb0ELb0EEEvPT0_PvPT_S6_S6_PKS5_S8_S8_S8_S8_ffiiiiiiiiiiiii
                                        ; -- End function
	.section	.AMDGPU.csdata,"",@progbits
; Kernel info:
; codeLenInByte = 3548
; NumSgprs: 36
; NumVgprs: 35
; NumAgprs: 0
; TotalNumVgprs: 35
; ScratchSize: 0
; MemoryBound: 0
; FloatMode: 240
; IeeeMode: 1
; LDSByteSize: 16 bytes/workgroup (compile time only)
; SGPRBlocks: 4
; VGPRBlocks: 4
; NumSGPRsForWavesPerEU: 36
; NumVGPRsForWavesPerEU: 35
; AccumOffset: 36
; Occupancy: 8
; WaveLimiterHint : 0
; COMPUTE_PGM_RSRC2:SCRATCH_EN: 0
; COMPUTE_PGM_RSRC2:USER_SGPR: 6
; COMPUTE_PGM_RSRC2:TRAP_HANDLER: 0
; COMPUTE_PGM_RSRC2:TGID_X_EN: 1
; COMPUTE_PGM_RSRC2:TGID_Y_EN: 1
; COMPUTE_PGM_RSRC2:TGID_Z_EN: 0
; COMPUTE_PGM_RSRC2:TIDIG_COMP_CNT: 0
; COMPUTE_PGM_RSRC3_GFX90A:ACCUM_OFFSET: 8
; COMPUTE_PGM_RSRC3_GFX90A:TG_SPLIT: 0
	.section	.text._ZN5aiter35fused_qk_rmsnorm_group_quant_kernelIDF16_N4opus5fp4_tELi128ELi16ELi8ELb0ELb0ELb1ELb0ELb0ELb0EEEvPT0_PvPT_S7_S7_PKS6_S9_S9_S9_S9_ffiiiiiiiiiiiii,"axG",@progbits,_ZN5aiter35fused_qk_rmsnorm_group_quant_kernelIDF16_N4opus5fp4_tELi128ELi16ELi8ELb0ELb0ELb1ELb0ELb0ELb0EEEvPT0_PvPT_S7_S7_PKS6_S9_S9_S9_S9_ffiiiiiiiiiiiii,comdat
	.protected	_ZN5aiter35fused_qk_rmsnorm_group_quant_kernelIDF16_N4opus5fp4_tELi128ELi16ELi8ELb0ELb0ELb1ELb0ELb0ELb0EEEvPT0_PvPT_S7_S7_PKS6_S9_S9_S9_S9_ffiiiiiiiiiiiii ; -- Begin function _ZN5aiter35fused_qk_rmsnorm_group_quant_kernelIDF16_N4opus5fp4_tELi128ELi16ELi8ELb0ELb0ELb1ELb0ELb0ELb0EEEvPT0_PvPT_S7_S7_PKS6_S9_S9_S9_S9_ffiiiiiiiiiiiii
	.globl	_ZN5aiter35fused_qk_rmsnorm_group_quant_kernelIDF16_N4opus5fp4_tELi128ELi16ELi8ELb0ELb0ELb1ELb0ELb0ELb0EEEvPT0_PvPT_S7_S7_PKS6_S9_S9_S9_S9_ffiiiiiiiiiiiii
	.p2align	8
	.type	_ZN5aiter35fused_qk_rmsnorm_group_quant_kernelIDF16_N4opus5fp4_tELi128ELi16ELi8ELb0ELb0ELb1ELb0ELb0ELb0EEEvPT0_PvPT_S7_S7_PKS6_S9_S9_S9_S9_ffiiiiiiiiiiiii,@function
_ZN5aiter35fused_qk_rmsnorm_group_quant_kernelIDF16_N4opus5fp4_tELi128ELi16ELi8ELb0ELb0ELb1ELb0ELb0ELb0EEEvPT0_PvPT_S7_S7_PKS6_S9_S9_S9_S9_ffiiiiiiiiiiiii: ; @_ZN5aiter35fused_qk_rmsnorm_group_quant_kernelIDF16_N4opus5fp4_tELi128ELi16ELi8ELb0ELb0ELb1ELb0ELb0ELb0EEEvPT0_PvPT_S7_S7_PKS6_S9_S9_S9_S9_ffiiiiiiiiiiiii
; %bb.0:
	s_load_dwordx4 s[16:19], s[4:5], 0x50
	s_waitcnt lgkmcnt(0)
	s_cmp_ge_i32 s6, s18
	s_cbranch_scc1 .LBB643_12
; %bb.1:
	s_load_dwordx2 s[12:13], s[4:5], 0x48
	s_load_dwordx2 s[30:31], s[4:5], 0x30
	s_load_dwordx4 s[20:23], s[4:5], 0x60
	s_cmp_lg_u32 s7, 0
	s_cselect_b64 s[14:15], -1, 0
	s_cmp_eq_u32 s7, 0
	s_cselect_b64 vcc, -1, 0
	s_and_b64 s[0:1], vcc, exec
	s_waitcnt lgkmcnt(0)
	s_cselect_b32 s7, s19, s20
	s_add_i32 s0, s7, 1
	s_lshr_b32 s1, s0, 31
	s_add_i32 s0, s0, s1
	s_lshl_b32 s0, s0, 1
	v_lshlrev_b32_e32 v1, 4, v0
	s_and_b32 s10, s0, -4
	v_cmp_gt_i32_e64 s[2:3], s7, v1
	v_mov_b32_e32 v18, 0
	v_mov_b32_e32 v6, 0
	;; [unrolled: 1-line block ×17, first 2 shown]
	s_and_saveexec_b64 s[0:1], s[2:3]
	s_cbranch_execz .LBB643_3
; %bb.2:
	s_load_dwordx2 s[8:9], s[4:5], 0x28
	s_load_dwordx2 s[26:27], s[4:5], 0x40
	s_and_b64 s[24:25], vcc, exec
	s_cselect_b32 s11, s21, s22
	v_lshlrev_b32_e32 v19, 5, v0
	s_waitcnt lgkmcnt(0)
	s_cselect_b32 s18, s9, s31
	s_cselect_b32 s21, s8, s30
	s_mul_hi_i32 s9, s11, s6
	s_mul_i32 s8, s11, s6
	s_lshl_b64 s[8:9], s[8:9], 1
	s_add_u32 s24, s21, s8
	s_addc_u32 s18, s18, s9
	s_and_b64 s[8:9], vcc, exec
	s_mov_b32 s11, 0x20000
	s_cselect_b32 s8, s26, s12
	s_cselect_b32 s9, s27, s13
	s_and_b32 s25, s18, 0xffff
	s_mov_b32 s26, s10
	s_mov_b32 s27, s11
	s_and_b32 s9, s9, 0xffff
	buffer_load_dwordx4 v[14:17], v19, s[24:27], 0 offen
	buffer_load_dwordx4 v[10:13], v19, s[24:27], 16 offen
	;; [unrolled: 1-line block ×4, first 2 shown]
.LBB643_3:
	s_or_b64 exec, exec, s[0:1]
	v_mov_b32_e32 v19, 0
	v_mov_b32_e32 v22, 0
	;; [unrolled: 1-line block ×15, first 2 shown]
	s_and_saveexec_b64 s[0:1], s[2:3]
	s_cbranch_execz .LBB643_5
; %bb.4:
	s_waitcnt vmcnt(3)
	v_cvt_f32_f16_sdwa v19, v14 dst_sel:DWORD dst_unused:UNUSED_PAD src0_sel:WORD_1
	v_cvt_f32_f16_e32 v18, v14
	v_cvt_f32_f16_sdwa v23, v15 dst_sel:DWORD dst_unused:UNUSED_PAD src0_sel:WORD_1
	v_cvt_f32_f16_e32 v22, v15
	;; [unrolled: 2-line block ×4, first 2 shown]
	s_waitcnt vmcnt(2)
	v_cvt_f32_f16_sdwa v27, v10 dst_sel:DWORD dst_unused:UNUSED_PAD src0_sel:WORD_1
	v_cvt_f32_f16_e32 v26, v10
	v_cvt_f32_f16_sdwa v33, v11 dst_sel:DWORD dst_unused:UNUSED_PAD src0_sel:WORD_1
	v_cvt_f32_f16_e32 v32, v11
	;; [unrolled: 2-line block ×4, first 2 shown]
.LBB643_5:
	s_or_b64 exec, exec, s[0:1]
	s_waitcnt vmcnt(2)
	v_mul_f32_e32 v10, v19, v19
	v_fmac_f32_e32 v10, v18, v18
	v_fmac_f32_e32 v10, v22, v22
	;; [unrolled: 1-line block ×15, first 2 shown]
	v_and_b32_e32 v12, 63, v0
	v_cmp_eq_u32_e64 s[0:1], 63, v12
	v_mov_b32_dpp v11, v10 quad_perm:[1,0,3,2] row_mask:0xf bank_mask:0xf
	v_add_f32_e32 v10, v10, v11
	s_nop 1
	v_mov_b32_dpp v11, v10 quad_perm:[2,3,0,1] row_mask:0xf bank_mask:0xf
	v_add_f32_e32 v10, v10, v11
	s_nop 1
	v_mov_b32_dpp v11, v10 row_half_mirror row_mask:0xf bank_mask:0xf
	v_add_f32_e32 v10, v10, v11
	s_nop 1
	v_mov_b32_dpp v11, v10 row_mirror row_mask:0xf bank_mask:0xf
	v_add_f32_e32 v10, v10, v11
	s_nop 1
	v_mov_b32_dpp v11, v10 row_bcast:15 row_mask:0xf bank_mask:0xf
	v_add_f32_e32 v10, v10, v11
	s_nop 1
	v_mov_b32_dpp v11, v10 row_bcast:31 row_mask:0xf bank_mask:0xf
	s_and_saveexec_b64 s[8:9], s[0:1]
	s_cbranch_execz .LBB643_7
; %bb.6:
	v_add_f32_e32 v10, v10, v11
	v_lshrrev_b32_e32 v11, 4, v0
	v_and_b32_e32 v11, 60, v11
	ds_write_b32 v11, v10 offset:8
.LBB643_7:
	s_or_b64 exec, exec, s[8:9]
	v_and_b32_e32 v10, 1, v0
	v_lshlrev_b32_e32 v34, 2, v10
	s_waitcnt lgkmcnt(0)
	s_barrier
	ds_read_b32 v10, v34 offset:8
	s_load_dwordx2 s[28:29], s[4:5], 0x18
	s_waitcnt lgkmcnt(0)
	v_mov_b32_dpp v11, v10 quad_perm:[1,0,3,2] row_mask:0xf bank_mask:0xf
	s_and_saveexec_b64 s[8:9], s[2:3]
	s_cbranch_execz .LBB643_9
; %bb.8:
	v_cvt_f32_u32_e32 v12, s7
	v_add_f32_e32 v10, v10, v11
	v_mov_b32_e32 v14, s17
	v_mov_b32_e32 v15, s16
	v_div_scale_f32 v11, s[24:25], v12, v12, v10
	v_rcp_f32_e32 v13, v11
	v_cndmask_b32_e32 v14, v14, v15, vcc
	s_mov_b32 s7, 0x800000
	v_fma_f32 v15, -v11, v13, 1.0
	v_fmac_f32_e32 v13, v15, v13
	v_div_scale_f32 v15, vcc, v10, v12, v10
	v_mul_f32_e32 v16, v15, v13
	v_fma_f32 v17, -v11, v16, v15
	v_fmac_f32_e32 v16, v17, v13
	v_fma_f32 v11, -v11, v16, v15
	v_div_fmas_f32 v11, v11, v13, v16
	v_div_fixup_f32 v10, v11, v12, v10
	v_add_f32_e32 v10, v14, v10
	v_mul_f32_e32 v11, 0x4b800000, v10
	v_cmp_gt_f32_e32 vcc, s7, v10
	v_cndmask_b32_e32 v10, v10, v11, vcc
	v_rsq_f32_e32 v10, v10
	v_mul_f32_e32 v11, 0x45800000, v10
	v_cndmask_b32_e32 v10, v10, v11, vcc
	v_mov_b32_e32 v11, v10
	;;#ASMSTART
	v_pk_mul_f32 v[12:13], v[18:19], v[10:11]
	;;#ASMEND
	s_waitcnt vmcnt(1)
	v_cvt_f32_f16_sdwa v19, v6 dst_sel:DWORD dst_unused:UNUSED_PAD src0_sel:WORD_1
	v_cvt_f32_f16_e32 v18, v6
	;;#ASMSTART
	v_pk_mul_f32 v[14:15], v[22:23], v[10:11]
	;;#ASMEND
	;;#ASMSTART
	v_pk_mul_f32 v[16:17], v[20:21], v[10:11]
	;;#ASMEND
	v_cvt_f32_f16_sdwa v21, v7 dst_sel:DWORD dst_unused:UNUSED_PAD src0_sel:WORD_1
	v_cvt_f32_f16_e32 v20, v7
	;;#ASMSTART
	v_pk_mul_f32 v[28:29], v[28:29], v[10:11]
	;;#ASMEND
	;;#ASMSTART
	v_pk_mul_f32 v[26:27], v[26:27], v[10:11]
	;;#ASMEND
	;; [unrolled: 3-line block ×5, first 2 shown]
	v_pk_add_f32 v[10:11], v[18:19], 1.0 op_sel_hi:[1,0]
	;;#ASMSTART
	v_pk_mul_f32 v[18:19], v[12:13], v[10:11]
	;;#ASMEND
	v_cvt_f32_f16_sdwa v13, v8 dst_sel:DWORD dst_unused:UNUSED_PAD src0_sel:WORD_1
	v_cvt_f32_f16_e32 v12, v8
	v_cvt_f32_f16_sdwa v25, v9 dst_sel:DWORD dst_unused:UNUSED_PAD src0_sel:WORD_1
	v_cvt_f32_f16_e32 v24, v9
	v_pk_add_f32 v[10:11], v[20:21], 1.0 op_sel_hi:[1,0]
	;;#ASMSTART
	v_pk_mul_f32 v[22:23], v[14:15], v[10:11]
	;;#ASMEND
	s_waitcnt vmcnt(0)
	v_cvt_f32_f16_sdwa v11, v2 dst_sel:DWORD dst_unused:UNUSED_PAD src0_sel:WORD_1
	v_cvt_f32_f16_e32 v10, v2
	v_pk_add_f32 v[8:9], v[12:13], 1.0 op_sel_hi:[1,0]
	;;#ASMSTART
	v_pk_mul_f32 v[20:21], v[16:17], v[8:9]
	;;#ASMEND
	v_pk_add_f32 v[8:9], v[24:25], 1.0 op_sel_hi:[1,0]
	v_cvt_f32_f16_sdwa v13, v3 dst_sel:DWORD dst_unused:UNUSED_PAD src0_sel:WORD_1
	v_cvt_f32_f16_e32 v12, v3
	;;#ASMSTART
	v_pk_mul_f32 v[28:29], v[28:29], v[8:9]
	;;#ASMEND
	v_cvt_f32_f16_sdwa v9, v4 dst_sel:DWORD dst_unused:UNUSED_PAD src0_sel:WORD_1
	v_cvt_f32_f16_e32 v8, v4
	v_pk_add_f32 v[2:3], v[10:11], 1.0 op_sel_hi:[1,0]
	v_cvt_f32_f16_sdwa v11, v5 dst_sel:DWORD dst_unused:UNUSED_PAD src0_sel:WORD_1
	v_cvt_f32_f16_e32 v10, v5
	;;#ASMSTART
	v_pk_mul_f32 v[26:27], v[26:27], v[2:3]
	;;#ASMEND
	v_pk_add_f32 v[2:3], v[12:13], 1.0 op_sel_hi:[1,0]
	;;#ASMSTART
	v_pk_mul_f32 v[32:33], v[32:33], v[2:3]
	;;#ASMEND
	v_pk_add_f32 v[2:3], v[8:9], 1.0 op_sel_hi:[1,0]
	;; [unrolled: 4-line block ×3, first 2 shown]
	;;#ASMSTART
	v_pk_mul_f32 v[24:25], v[6:7], v[2:3]
	;;#ASMEND
.LBB643_9:
	s_or_b64 exec, exec, s[8:9]
	s_load_dword s7, s[4:5], 0x80
	s_mov_b64 s[8:9], -1
	s_and_b64 vcc, exec, s[14:15]
	s_cbranch_vccnz .LBB643_13
; %bb.10:
	s_andn2_b64 vcc, exec, s[8:9]
	s_cbranch_vccz .LBB643_16
.LBB643_11:
	s_cmp_lt_i32 s20, 1
	s_cbranch_scc0 .LBB643_23
.LBB643_12:
	s_endpgm
.LBB643_13:
	s_and_saveexec_b64 s[14:15], s[2:3]
	s_cbranch_execz .LBB643_15
; %bb.14:
	s_waitcnt lgkmcnt(0)
	s_mul_hi_i32 s9, s7, s6
	s_mul_i32 s8, s7, s6
	s_waitcnt vmcnt(0)
	v_cvt_f16_f32_e32 v2, v18
	v_cvt_f16_f32_e32 v3, v22
	;; [unrolled: 1-line block ×8, first 2 shown]
	s_lshl_b64 s[8:9], s[8:9], 1
	s_add_u32 s8, s28, s8
	s_addc_u32 s9, s29, s9
	s_and_b32 s9, s9, 0xffff
	s_mov_b32 s11, 0x20000
	v_pack_b32_f16 v5, v5, v6
	v_pack_b32_f16 v4, v4, v7
	;; [unrolled: 1-line block ×4, first 2 shown]
	v_lshlrev_b32_e32 v6, 5, v0
	buffer_store_dwordx4 v[2:5], v6, s[8:11], 0 offen
	v_cvt_f16_f32_e32 v7, v25
	v_cvt_f16_f32_e32 v2, v26
	v_cvt_f16_f32_e32 v3, v32
	v_cvt_f16_f32_e32 v4, v30
	v_cvt_f16_f32_e32 v5, v24
	v_cvt_f16_f32_e32 v8, v31
	v_cvt_f16_f32_e32 v9, v33
	v_cvt_f16_f32_e32 v10, v27
	v_pack_b32_f16 v5, v5, v7
	v_pack_b32_f16 v4, v4, v8
	;; [unrolled: 1-line block ×4, first 2 shown]
	;;#ASMSTART
	s_nop 0
	;;#ASMEND
	buffer_store_dwordx4 v[2:5], v6, s[8:11], 16 offen
	;;#ASMSTART
	s_nop 0
	;;#ASMEND
.LBB643_15:
	s_or_b64 exec, exec, s[14:15]
	s_cbranch_execnz .LBB643_11
.LBB643_16:
	s_waitcnt vmcnt(0)
	v_mov_b32_e32 v2, 0
	s_and_saveexec_b64 s[8:9], s[2:3]
	s_cbranch_execz .LBB643_18
; %bb.17:
	v_and_b32_e32 v2, 0x7fffffff, v18
	v_and_b32_e32 v3, 0x7fffffff, v19
	v_mov_b32_e32 v4, 0x2edbe6ff
	;;#ASMSTART
	v_max3_f32 v2, v4, v2, v3

	;;#ASMEND
	v_and_b32_e32 v3, 0x7fffffff, v22
	v_and_b32_e32 v4, 0x7fffffff, v23
	;;#ASMSTART
	v_max3_f32 v2, v2, v3, v4

	;;#ASMEND
	v_and_b32_e32 v3, 0x7fffffff, v20
	v_and_b32_e32 v4, 0x7fffffff, v21
	;; [unrolled: 6-line block ×7, first 2 shown]
	;;#ASMSTART
	v_max3_f32 v2, v2, v3, v4

	;;#ASMEND
.LBB643_18:
	s_or_b64 exec, exec, s[8:9]
	s_load_dwordx4 s[24:27], s[4:5], 0x70
	;;#ASMSTART
	v_max_f32 v3, v2, v2 quad_perm:[1,0,3,2] row_mask:0xf bank_mask:0xf bound_ctrl:1
	;;#ASMEND
	;;#ASMSTART
	v_max_f32 v4, v3, v3 quad_perm:[2,3,0,1] row_mask:0xf bank_mask:0xf bound_ctrl:1
	;;#ASMEND
	v_and_b32_e32 v3, 7, v0
	v_cmp_eq_u32_e32 vcc, 0, v3
	v_cmp_gt_i32_e64 s[8:9], s19, v1
	s_and_b64 s[10:11], vcc, s[8:9]
	;;#ASMSTART
	v_max_f32 v2, v4, v4 row_half_mirror row_mask:0xf bank_mask:0xf bound_ctrl:1
	;;#ASMEND
	s_and_saveexec_b64 s[8:9], s[10:11]
	s_cbranch_execz .LBB643_20
; %bb.19:
	s_load_dwordx2 s[10:11], s[4:5], 0x8
	v_mul_f32_e32 v2, 0x3e2aaaab, v2
	v_lshrrev_b32_e32 v3, 23, v2
	v_and_b32_e32 v4, 0x7f800000, v2
	v_and_b32_e32 v2, 0x7fffff, v2
	v_cmp_ne_u32_e32 vcc, 0, v2
	s_waitcnt lgkmcnt(0)
	s_mul_i32 s16, s25, s6
	s_mov_b32 s14, 0x7f800000
	v_addc_co_u32_e32 v2, vcc, 0, v3, vcc
	s_mul_hi_i32 s15, s25, s6
	s_add_u32 s10, s10, s16
	v_cmp_ne_u32_e32 vcc, s14, v4
	s_addc_u32 s11, s11, s15
	v_lshrrev_b32_e32 v5, 3, v0
	v_cndmask_b32_e32 v4, -1, v2, vcc
	v_pk_mov_b32 v[2:3], s[10:11], s[10:11] op_sel:[0,1]
	v_mad_i64_i32 v[2:3], s[10:11], s26, v5, v[2:3]
	global_store_byte v[2:3], v4, off
.LBB643_20:
	s_or_b64 exec, exec, s[8:9]
	s_and_saveexec_b64 s[8:9], s[2:3]
	s_cbranch_execz .LBB643_22
; %bb.21:
	s_load_dwordx2 s[2:3], s[4:5], 0x0
	s_waitcnt lgkmcnt(0)
	s_mul_i32 s11, s24, s6
	s_mul_hi_i32 s10, s24, s6
	v_mov_b32_e32 v2, 0
	v_lshlrev_b32_e32 v4, 3, v0
	s_add_u32 s24, s2, s11
	s_addc_u32 s2, s3, s10
	s_lshr_b32 s3, s19, 31
	s_add_i32 s3, s19, s3
	s_ashr_i32 s3, s3, 1
	s_add_i32 s3, s3, 3
	s_ashr_i32 s10, s3, 31
	s_lshr_b32 s10, s10, 30
	s_add_i32 s3, s3, s10
	s_and_b32 s26, s3, -4
	s_and_b32 s25, s2, 0xffff
	s_mov_b32 s27, 0x20000
	v_mov_b32_e32 v3, v2
	buffer_store_dwordx2 v[2:3], v4, s[24:27], 0 offen
	;;#ASMSTART
	s_nop 0
	;;#ASMEND
.LBB643_22:
	s_or_b64 exec, exec, s[8:9]
	s_cmp_lt_i32 s20, 1
	s_cbranch_scc1 .LBB643_12
.LBB643_23:
	s_load_dword s2, s[4:5], 0x94
	s_waitcnt lgkmcnt(0)
	s_cmp_lg_u32 s2, 1
	s_cbranch_scc1 .LBB643_12
; %bb.24:
	s_lshl_b32 s2, s20, 1
	s_add_i32 s2, s2, 2
	v_cmp_gt_u32_e32 vcc, s20, v1
	s_and_b32 s14, s2, -4
	v_mov_b32_e32 v18, 0
	v_lshlrev_b32_e32 v1, 5, v0
	v_mov_b32_e32 v14, 0
	v_mov_b32_e32 v15, 0
	;; [unrolled: 1-line block ×8, first 2 shown]
	s_waitcnt vmcnt(1)
	v_mov_b32_e32 v6, 0
	v_mov_b32_e32 v7, 0
	;; [unrolled: 1-line block ×4, first 2 shown]
	s_waitcnt vmcnt(0)
	v_mov_b32_e32 v2, 0
	v_mov_b32_e32 v3, 0
	;; [unrolled: 1-line block ×4, first 2 shown]
	s_barrier
	s_and_saveexec_b64 s[2:3], vcc
	s_cbranch_execz .LBB643_26
; %bb.25:
	s_mul_hi_i32 s5, s22, s6
	s_mul_i32 s4, s22, s6
	s_and_b32 s13, s13, 0xffff
	s_lshl_b64 s[4:5], s[4:5], 1
	s_add_u32 s8, s30, s4
	s_mov_b32 s15, 0x20000
	s_addc_u32 s4, s31, s5
	s_and_b32 s9, s4, 0xffff
	s_mov_b32 s10, s14
	s_mov_b32 s11, s15
	buffer_load_dwordx4 v[14:17], v1, s[8:11], 0 offen
	buffer_load_dwordx4 v[10:13], v1, s[8:11], 16 offen
	;; [unrolled: 1-line block ×4, first 2 shown]
.LBB643_26:
	s_or_b64 exec, exec, s[2:3]
	v_mov_b32_e32 v19, 0
	v_mov_b32_e32 v32, 0
	;; [unrolled: 1-line block ×15, first 2 shown]
	s_and_saveexec_b64 s[2:3], vcc
	s_cbranch_execz .LBB643_28
; %bb.27:
	s_waitcnt vmcnt(3)
	v_cvt_f32_f16_sdwa v19, v14 dst_sel:DWORD dst_unused:UNUSED_PAD src0_sel:WORD_1
	v_cvt_f32_f16_e32 v18, v14
	v_cvt_f32_f16_sdwa v33, v15 dst_sel:DWORD dst_unused:UNUSED_PAD src0_sel:WORD_1
	v_cvt_f32_f16_e32 v32, v15
	;; [unrolled: 2-line block ×4, first 2 shown]
	s_waitcnt vmcnt(2)
	v_cvt_f32_f16_sdwa v27, v10 dst_sel:DWORD dst_unused:UNUSED_PAD src0_sel:WORD_1
	v_cvt_f32_f16_e32 v26, v10
	v_cvt_f32_f16_sdwa v25, v11 dst_sel:DWORD dst_unused:UNUSED_PAD src0_sel:WORD_1
	v_cvt_f32_f16_e32 v24, v11
	v_cvt_f32_f16_sdwa v23, v12 dst_sel:DWORD dst_unused:UNUSED_PAD src0_sel:WORD_1
	v_cvt_f32_f16_e32 v22, v12
	v_cvt_f32_f16_sdwa v21, v13 dst_sel:DWORD dst_unused:UNUSED_PAD src0_sel:WORD_1
	v_cvt_f32_f16_e32 v20, v13
.LBB643_28:
	s_or_b64 exec, exec, s[2:3]
	s_waitcnt vmcnt(2)
	v_mul_f32_e32 v10, v19, v19
	v_fmac_f32_e32 v10, v18, v18
	v_fmac_f32_e32 v10, v32, v32
	;; [unrolled: 1-line block ×15, first 2 shown]
	s_nop 1
	v_mov_b32_dpp v11, v10 quad_perm:[1,0,3,2] row_mask:0xf bank_mask:0xf
	v_add_f32_e32 v10, v10, v11
	s_nop 1
	v_mov_b32_dpp v11, v10 quad_perm:[2,3,0,1] row_mask:0xf bank_mask:0xf
	v_add_f32_e32 v10, v10, v11
	s_nop 1
	v_mov_b32_dpp v11, v10 row_half_mirror row_mask:0xf bank_mask:0xf
	v_add_f32_e32 v10, v10, v11
	s_nop 1
	v_mov_b32_dpp v11, v10 row_mirror row_mask:0xf bank_mask:0xf
	v_add_f32_e32 v10, v10, v11
	s_nop 1
	v_mov_b32_dpp v11, v10 row_bcast:15 row_mask:0xf bank_mask:0xf
	v_add_f32_e32 v10, v10, v11
	s_nop 1
	v_mov_b32_dpp v11, v10 row_bcast:31 row_mask:0xf bank_mask:0xf
	s_and_saveexec_b64 s[2:3], s[0:1]
	s_cbranch_execz .LBB643_30
; %bb.29:
	v_lshrrev_b32_e32 v0, 4, v0
	v_add_f32_e32 v10, v10, v11
	v_and_b32_e32 v0, 60, v0
	ds_write_b32 v0, v10
.LBB643_30:
	s_or_b64 exec, exec, s[2:3]
	s_waitcnt lgkmcnt(0)
	s_barrier
	ds_read_b32 v0, v34
	s_waitcnt lgkmcnt(0)
	s_nop 0
	v_mov_b32_dpp v10, v0 quad_perm:[1,0,3,2] row_mask:0xf bank_mask:0xf
	s_and_saveexec_b64 s[0:1], vcc
	s_cbranch_execz .LBB643_12
; %bb.31:
	v_cvt_f32_u32_e32 v11, s20
	v_add_f32_e32 v0, v0, v10
	s_mov_b32 s15, 0x20000
	v_div_scale_f32 v10, s[0:1], v11, v11, v0
	v_rcp_f32_e32 v12, v10
	v_div_scale_f32 v13, vcc, v0, v11, v0
	s_mov_b32 s0, 0x800000
	v_fma_f32 v14, -v10, v12, 1.0
	v_fmac_f32_e32 v12, v14, v12
	v_mul_f32_e32 v14, v13, v12
	v_fma_f32 v15, -v10, v14, v13
	v_fmac_f32_e32 v14, v15, v12
	v_fma_f32 v10, -v10, v14, v13
	v_div_fmas_f32 v10, v10, v12, v14
	v_div_fixup_f32 v0, v10, v11, v0
	v_add_f32_e32 v0, s17, v0
	v_mul_f32_e32 v10, 0x4b800000, v0
	v_cmp_gt_f32_e32 vcc, s0, v0
	v_cndmask_b32_e32 v0, v0, v10, vcc
	v_rsq_f32_e32 v0, v0
	s_mul_hi_i32 s1, s7, s6
	s_mul_i32 s0, s7, s6
	s_lshl_b64 s[0:1], s[0:1], 1
	v_mul_f32_e32 v10, 0x45800000, v0
	v_cndmask_b32_e32 v10, v0, v10, vcc
	v_mov_b32_e32 v11, v10
	;;#ASMSTART
	v_pk_mul_f32 v[12:13], v[18:19], v[10:11]
	;;#ASMEND
	;;#ASMSTART
	v_pk_mul_f32 v[14:15], v[32:33], v[10:11]
	;;#ASMEND
	;; [unrolled: 3-line block ×4, first 2 shown]
	s_waitcnt vmcnt(1)
	v_cvt_f32_f16_sdwa v29, v6 dst_sel:DWORD dst_unused:UNUSED_PAD src0_sel:WORD_1
	v_cvt_f32_f16_e32 v28, v6
	v_cvt_f32_f16_sdwa v31, v7 dst_sel:DWORD dst_unused:UNUSED_PAD src0_sel:WORD_1
	v_cvt_f32_f16_e32 v30, v7
	;;#ASMSTART
	v_pk_mul_f32 v[26:27], v[26:27], v[10:11]
	;;#ASMEND
	;;#ASMSTART
	v_pk_mul_f32 v[24:25], v[24:25], v[10:11]
	;;#ASMEND
	;; [unrolled: 3-line block ×4, first 2 shown]
	v_cvt_f32_f16_sdwa v21, v8 dst_sel:DWORD dst_unused:UNUSED_PAD src0_sel:WORD_1
	v_cvt_f32_f16_e32 v20, v8
	v_pk_add_f32 v[10:11], v[28:29], 1.0 op_sel_hi:[1,0]
	;;#ASMSTART
	v_pk_mul_f32 v[10:11], v[12:13], v[10:11]
	;;#ASMEND
	v_pk_add_f32 v[12:13], v[30:31], 1.0 op_sel_hi:[1,0]
	v_cvt_f32_f16_sdwa v29, v9 dst_sel:DWORD dst_unused:UNUSED_PAD src0_sel:WORD_1
	v_cvt_f32_f16_e32 v28, v9
	;;#ASMSTART
	v_pk_mul_f32 v[8:9], v[14:15], v[12:13]
	;;#ASMEND
	v_pk_add_f32 v[12:13], v[20:21], 1.0 op_sel_hi:[1,0]
	;;#ASMSTART
	v_pk_mul_f32 v[12:13], v[16:17], v[12:13]
	;;#ASMEND
	s_waitcnt vmcnt(0)
	v_cvt_f32_f16_sdwa v17, v2 dst_sel:DWORD dst_unused:UNUSED_PAD src0_sel:WORD_1
	v_cvt_f32_f16_e32 v16, v2
	v_cvt_f32_f16_sdwa v21, v3 dst_sel:DWORD dst_unused:UNUSED_PAD src0_sel:WORD_1
	v_cvt_f32_f16_e32 v20, v3
	v_pk_add_f32 v[14:15], v[28:29], 1.0 op_sel_hi:[1,0]
	;;#ASMSTART
	v_pk_mul_f32 v[2:3], v[18:19], v[14:15]
	;;#ASMEND
	v_cvt_f32_f16_sdwa v19, v4 dst_sel:DWORD dst_unused:UNUSED_PAD src0_sel:WORD_1
	v_cvt_f32_f16_e32 v18, v4
	v_pk_add_f32 v[14:15], v[16:17], 1.0 op_sel_hi:[1,0]
	v_pk_add_f32 v[16:17], v[20:21], 1.0 op_sel_hi:[1,0]
	v_cvt_f32_f16_sdwa v21, v5 dst_sel:DWORD dst_unused:UNUSED_PAD src0_sel:WORD_1
	v_cvt_f32_f16_e32 v20, v5
	v_pk_add_f32 v[4:5], v[18:19], 1.0 op_sel_hi:[1,0]
	;;#ASMSTART
	v_pk_mul_f32 v[14:15], v[26:27], v[14:15]
	;;#ASMEND
	;;#ASMSTART
	v_pk_mul_f32 v[16:17], v[24:25], v[16:17]
	;;#ASMEND
	;; [unrolled: 3-line block ×3, first 2 shown]
	v_pk_add_f32 v[4:5], v[20:21], 1.0 op_sel_hi:[1,0]
	;;#ASMSTART
	v_pk_mul_f32 v[6:7], v[6:7], v[4:5]
	;;#ASMEND
	v_cvt_f16_f32_e32 v0, v10
	v_cvt_f16_f32_e32 v4, v11
	;; [unrolled: 1-line block ×8, first 2 shown]
	s_add_u32 s12, s28, s0
	s_addc_u32 s0, s29, s1
	s_and_b32 s13, s0, 0xffff
	v_pack_b32_f16 v2, v0, v4
	v_pack_b32_f16 v3, v5, v8
	;; [unrolled: 1-line block ×4, first 2 shown]
	buffer_store_dwordx4 v[2:5], v1, s[12:15], 0 offen
	v_cvt_f16_f32_e32 v0, v14
	v_cvt_f16_f32_e32 v2, v15
	;; [unrolled: 1-line block ×8, first 2 shown]
	v_pack_b32_f16 v2, v0, v2
	v_pack_b32_f16 v3, v3, v4
	v_pack_b32_f16 v4, v5, v8
	v_pack_b32_f16 v5, v6, v7
	;;#ASMSTART
	s_nop 0
	;;#ASMEND
	buffer_store_dwordx4 v[2:5], v1, s[12:15], 16 offen
	;;#ASMSTART
	s_nop 0
	;;#ASMEND
	s_endpgm
	.section	.rodata,"a",@progbits
	.p2align	6, 0x0
	.amdhsa_kernel _ZN5aiter35fused_qk_rmsnorm_group_quant_kernelIDF16_N4opus5fp4_tELi128ELi16ELi8ELb0ELb0ELb1ELb0ELb0ELb0EEEvPT0_PvPT_S7_S7_PKS6_S9_S9_S9_S9_ffiiiiiiiiiiiii
		.amdhsa_group_segment_fixed_size 16
		.amdhsa_private_segment_fixed_size 0
		.amdhsa_kernarg_size 400
		.amdhsa_user_sgpr_count 6
		.amdhsa_user_sgpr_private_segment_buffer 1
		.amdhsa_user_sgpr_dispatch_ptr 0
		.amdhsa_user_sgpr_queue_ptr 0
		.amdhsa_user_sgpr_kernarg_segment_ptr 1
		.amdhsa_user_sgpr_dispatch_id 0
		.amdhsa_user_sgpr_flat_scratch_init 0
		.amdhsa_user_sgpr_kernarg_preload_length 0
		.amdhsa_user_sgpr_kernarg_preload_offset 0
		.amdhsa_user_sgpr_private_segment_size 0
		.amdhsa_uses_dynamic_stack 0
		.amdhsa_system_sgpr_private_segment_wavefront_offset 0
		.amdhsa_system_sgpr_workgroup_id_x 1
		.amdhsa_system_sgpr_workgroup_id_y 1
		.amdhsa_system_sgpr_workgroup_id_z 0
		.amdhsa_system_sgpr_workgroup_info 0
		.amdhsa_system_vgpr_workitem_id 0
		.amdhsa_next_free_vgpr 35
		.amdhsa_next_free_sgpr 32
		.amdhsa_accum_offset 36
		.amdhsa_reserve_vcc 1
		.amdhsa_reserve_flat_scratch 0
		.amdhsa_float_round_mode_32 0
		.amdhsa_float_round_mode_16_64 0
		.amdhsa_float_denorm_mode_32 3
		.amdhsa_float_denorm_mode_16_64 3
		.amdhsa_dx10_clamp 1
		.amdhsa_ieee_mode 1
		.amdhsa_fp16_overflow 0
		.amdhsa_tg_split 0
		.amdhsa_exception_fp_ieee_invalid_op 0
		.amdhsa_exception_fp_denorm_src 0
		.amdhsa_exception_fp_ieee_div_zero 0
		.amdhsa_exception_fp_ieee_overflow 0
		.amdhsa_exception_fp_ieee_underflow 0
		.amdhsa_exception_fp_ieee_inexact 0
		.amdhsa_exception_int_div_zero 0
	.end_amdhsa_kernel
	.section	.text._ZN5aiter35fused_qk_rmsnorm_group_quant_kernelIDF16_N4opus5fp4_tELi128ELi16ELi8ELb0ELb0ELb1ELb0ELb0ELb0EEEvPT0_PvPT_S7_S7_PKS6_S9_S9_S9_S9_ffiiiiiiiiiiiii,"axG",@progbits,_ZN5aiter35fused_qk_rmsnorm_group_quant_kernelIDF16_N4opus5fp4_tELi128ELi16ELi8ELb0ELb0ELb1ELb0ELb0ELb0EEEvPT0_PvPT_S7_S7_PKS6_S9_S9_S9_S9_ffiiiiiiiiiiiii,comdat
.Lfunc_end643:
	.size	_ZN5aiter35fused_qk_rmsnorm_group_quant_kernelIDF16_N4opus5fp4_tELi128ELi16ELi8ELb0ELb0ELb1ELb0ELb0ELb0EEEvPT0_PvPT_S7_S7_PKS6_S9_S9_S9_S9_ffiiiiiiiiiiiii, .Lfunc_end643-_ZN5aiter35fused_qk_rmsnorm_group_quant_kernelIDF16_N4opus5fp4_tELi128ELi16ELi8ELb0ELb0ELb1ELb0ELb0ELb0EEEvPT0_PvPT_S7_S7_PKS6_S9_S9_S9_S9_ffiiiiiiiiiiiii
                                        ; -- End function
	.section	.AMDGPU.csdata,"",@progbits
; Kernel info:
; codeLenInByte = 3216
; NumSgprs: 36
; NumVgprs: 35
; NumAgprs: 0
; TotalNumVgprs: 35
; ScratchSize: 0
; MemoryBound: 0
; FloatMode: 240
; IeeeMode: 1
; LDSByteSize: 16 bytes/workgroup (compile time only)
; SGPRBlocks: 4
; VGPRBlocks: 4
; NumSGPRsForWavesPerEU: 36
; NumVGPRsForWavesPerEU: 35
; AccumOffset: 36
; Occupancy: 8
; WaveLimiterHint : 0
; COMPUTE_PGM_RSRC2:SCRATCH_EN: 0
; COMPUTE_PGM_RSRC2:USER_SGPR: 6
; COMPUTE_PGM_RSRC2:TRAP_HANDLER: 0
; COMPUTE_PGM_RSRC2:TGID_X_EN: 1
; COMPUTE_PGM_RSRC2:TGID_Y_EN: 1
; COMPUTE_PGM_RSRC2:TGID_Z_EN: 0
; COMPUTE_PGM_RSRC2:TIDIG_COMP_CNT: 0
; COMPUTE_PGM_RSRC3_GFX90A:ACCUM_OFFSET: 8
; COMPUTE_PGM_RSRC3_GFX90A:TG_SPLIT: 0
	.section	.text._ZN5aiter35fused_qk_rmsnorm_group_quant_kernelItN4opus5fp4_tELi128ELi16ELi8ELb0ELb0ELb1ELb0ELb0ELb0EEEvPT0_PvPT_S7_S7_PKS6_S9_S9_S9_S9_ffiiiiiiiiiiiii,"axG",@progbits,_ZN5aiter35fused_qk_rmsnorm_group_quant_kernelItN4opus5fp4_tELi128ELi16ELi8ELb0ELb0ELb1ELb0ELb0ELb0EEEvPT0_PvPT_S7_S7_PKS6_S9_S9_S9_S9_ffiiiiiiiiiiiii,comdat
	.protected	_ZN5aiter35fused_qk_rmsnorm_group_quant_kernelItN4opus5fp4_tELi128ELi16ELi8ELb0ELb0ELb1ELb0ELb0ELb0EEEvPT0_PvPT_S7_S7_PKS6_S9_S9_S9_S9_ffiiiiiiiiiiiii ; -- Begin function _ZN5aiter35fused_qk_rmsnorm_group_quant_kernelItN4opus5fp4_tELi128ELi16ELi8ELb0ELb0ELb1ELb0ELb0ELb0EEEvPT0_PvPT_S7_S7_PKS6_S9_S9_S9_S9_ffiiiiiiiiiiiii
	.globl	_ZN5aiter35fused_qk_rmsnorm_group_quant_kernelItN4opus5fp4_tELi128ELi16ELi8ELb0ELb0ELb1ELb0ELb0ELb0EEEvPT0_PvPT_S7_S7_PKS6_S9_S9_S9_S9_ffiiiiiiiiiiiii
	.p2align	8
	.type	_ZN5aiter35fused_qk_rmsnorm_group_quant_kernelItN4opus5fp4_tELi128ELi16ELi8ELb0ELb0ELb1ELb0ELb0ELb0EEEvPT0_PvPT_S7_S7_PKS6_S9_S9_S9_S9_ffiiiiiiiiiiiii,@function
_ZN5aiter35fused_qk_rmsnorm_group_quant_kernelItN4opus5fp4_tELi128ELi16ELi8ELb0ELb0ELb1ELb0ELb0ELb0EEEvPT0_PvPT_S7_S7_PKS6_S9_S9_S9_S9_ffiiiiiiiiiiiii: ; @_ZN5aiter35fused_qk_rmsnorm_group_quant_kernelItN4opus5fp4_tELi128ELi16ELi8ELb0ELb0ELb1ELb0ELb0ELb0EEEvPT0_PvPT_S7_S7_PKS6_S9_S9_S9_S9_ffiiiiiiiiiiiii
; %bb.0:
	s_load_dwordx4 s[16:19], s[4:5], 0x50
	s_waitcnt lgkmcnt(0)
	s_cmp_ge_i32 s6, s18
	s_cbranch_scc1 .LBB644_12
; %bb.1:
	s_load_dwordx2 s[12:13], s[4:5], 0x48
	s_load_dwordx2 s[30:31], s[4:5], 0x30
	s_load_dwordx4 s[20:23], s[4:5], 0x60
	s_cmp_lg_u32 s7, 0
	s_cselect_b64 s[14:15], -1, 0
	s_cmp_eq_u32 s7, 0
	s_cselect_b64 vcc, -1, 0
	s_and_b64 s[0:1], vcc, exec
	s_waitcnt lgkmcnt(0)
	s_cselect_b32 s7, s19, s20
	s_add_i32 s0, s7, 1
	s_lshr_b32 s1, s0, 31
	s_add_i32 s0, s0, s1
	s_lshl_b32 s0, s0, 1
	v_lshlrev_b32_e32 v1, 4, v0
	s_and_b32 s10, s0, -4
	v_cmp_gt_i32_e64 s[2:3], s7, v1
	v_mov_b32_e32 v18, 0
	v_mov_b32_e32 v6, 0
	;; [unrolled: 1-line block ×17, first 2 shown]
	s_and_saveexec_b64 s[0:1], s[2:3]
	s_cbranch_execz .LBB644_3
; %bb.2:
	s_load_dwordx2 s[8:9], s[4:5], 0x28
	s_load_dwordx2 s[26:27], s[4:5], 0x40
	s_and_b64 s[24:25], vcc, exec
	s_cselect_b32 s11, s21, s22
	v_lshlrev_b32_e32 v19, 5, v0
	s_waitcnt lgkmcnt(0)
	s_cselect_b32 s18, s9, s31
	s_cselect_b32 s21, s8, s30
	s_mul_hi_i32 s9, s11, s6
	s_mul_i32 s8, s11, s6
	s_lshl_b64 s[8:9], s[8:9], 1
	s_add_u32 s24, s21, s8
	s_addc_u32 s18, s18, s9
	s_and_b64 s[8:9], vcc, exec
	s_mov_b32 s11, 0x20000
	s_cselect_b32 s8, s26, s12
	s_cselect_b32 s9, s27, s13
	s_and_b32 s25, s18, 0xffff
	s_mov_b32 s26, s10
	s_mov_b32 s27, s11
	s_and_b32 s9, s9, 0xffff
	buffer_load_dwordx4 v[14:17], v19, s[24:27], 0 offen
	buffer_load_dwordx4 v[10:13], v19, s[24:27], 16 offen
	;; [unrolled: 1-line block ×4, first 2 shown]
.LBB644_3:
	s_or_b64 exec, exec, s[0:1]
	v_mov_b32_e32 v19, 0
	v_mov_b32_e32 v22, 0
	;; [unrolled: 1-line block ×15, first 2 shown]
	s_and_saveexec_b64 s[0:1], s[2:3]
	s_cbranch_execz .LBB644_5
; %bb.4:
	s_waitcnt vmcnt(3)
	v_cvt_f32_u32_sdwa v18, v14 dst_sel:DWORD dst_unused:UNUSED_PAD src0_sel:WORD_0
	v_cvt_f32_u32_sdwa v19, v14 dst_sel:DWORD dst_unused:UNUSED_PAD src0_sel:WORD_1
	v_cvt_f32_u32_sdwa v22, v15 dst_sel:DWORD dst_unused:UNUSED_PAD src0_sel:WORD_0
	v_cvt_f32_u32_sdwa v23, v15 dst_sel:DWORD dst_unused:UNUSED_PAD src0_sel:WORD_1
	;; [unrolled: 2-line block ×4, first 2 shown]
	s_waitcnt vmcnt(2)
	v_cvt_f32_u32_sdwa v24, v10 dst_sel:DWORD dst_unused:UNUSED_PAD src0_sel:WORD_0
	v_cvt_f32_u32_sdwa v25, v10 dst_sel:DWORD dst_unused:UNUSED_PAD src0_sel:WORD_1
	v_cvt_f32_u32_sdwa v32, v11 dst_sel:DWORD dst_unused:UNUSED_PAD src0_sel:WORD_0
	v_cvt_f32_u32_sdwa v33, v11 dst_sel:DWORD dst_unused:UNUSED_PAD src0_sel:WORD_1
	;; [unrolled: 2-line block ×4, first 2 shown]
.LBB644_5:
	s_or_b64 exec, exec, s[0:1]
	s_waitcnt vmcnt(2)
	v_mul_f32_e32 v10, v19, v19
	v_fmac_f32_e32 v10, v18, v18
	v_fmac_f32_e32 v10, v22, v22
	;; [unrolled: 1-line block ×15, first 2 shown]
	v_and_b32_e32 v12, 63, v0
	v_cmp_eq_u32_e64 s[0:1], 63, v12
	v_mov_b32_dpp v11, v10 quad_perm:[1,0,3,2] row_mask:0xf bank_mask:0xf
	v_add_f32_e32 v10, v10, v11
	s_nop 1
	v_mov_b32_dpp v11, v10 quad_perm:[2,3,0,1] row_mask:0xf bank_mask:0xf
	v_add_f32_e32 v10, v10, v11
	s_nop 1
	v_mov_b32_dpp v11, v10 row_half_mirror row_mask:0xf bank_mask:0xf
	v_add_f32_e32 v10, v10, v11
	s_nop 1
	v_mov_b32_dpp v11, v10 row_mirror row_mask:0xf bank_mask:0xf
	v_add_f32_e32 v10, v10, v11
	s_nop 1
	v_mov_b32_dpp v11, v10 row_bcast:15 row_mask:0xf bank_mask:0xf
	v_add_f32_e32 v10, v10, v11
	s_nop 1
	v_mov_b32_dpp v11, v10 row_bcast:31 row_mask:0xf bank_mask:0xf
	s_and_saveexec_b64 s[8:9], s[0:1]
	s_cbranch_execz .LBB644_7
; %bb.6:
	v_add_f32_e32 v10, v10, v11
	v_lshrrev_b32_e32 v11, 4, v0
	v_and_b32_e32 v11, 60, v11
	ds_write_b32 v11, v10 offset:8
.LBB644_7:
	s_or_b64 exec, exec, s[8:9]
	v_and_b32_e32 v10, 1, v0
	v_lshlrev_b32_e32 v34, 2, v10
	s_waitcnt lgkmcnt(0)
	s_barrier
	ds_read_b32 v10, v34 offset:8
	s_load_dwordx2 s[28:29], s[4:5], 0x18
	s_waitcnt lgkmcnt(0)
	v_mov_b32_dpp v11, v10 quad_perm:[1,0,3,2] row_mask:0xf bank_mask:0xf
	s_and_saveexec_b64 s[8:9], s[2:3]
	s_cbranch_execz .LBB644_9
; %bb.8:
	v_cvt_f32_u32_e32 v12, s7
	v_add_f32_e32 v10, v10, v11
	v_mov_b32_e32 v14, s17
	v_mov_b32_e32 v15, s16
	v_div_scale_f32 v11, s[24:25], v12, v12, v10
	v_rcp_f32_e32 v13, v11
	v_cndmask_b32_e32 v14, v14, v15, vcc
	s_mov_b32 s7, 0x800000
	v_fma_f32 v15, -v11, v13, 1.0
	v_fmac_f32_e32 v13, v15, v13
	v_div_scale_f32 v15, vcc, v10, v12, v10
	v_mul_f32_e32 v16, v15, v13
	v_fma_f32 v17, -v11, v16, v15
	v_fmac_f32_e32 v16, v17, v13
	v_fma_f32 v11, -v11, v16, v15
	v_div_fmas_f32 v11, v11, v13, v16
	v_div_fixup_f32 v10, v11, v12, v10
	v_add_f32_e32 v10, v14, v10
	v_mul_f32_e32 v11, 0x4b800000, v10
	v_cmp_gt_f32_e32 vcc, s7, v10
	v_cndmask_b32_e32 v10, v10, v11, vcc
	v_rsq_f32_e32 v10, v10
	v_mul_f32_e32 v11, 0x45800000, v10
	v_cndmask_b32_e32 v10, v10, v11, vcc
	v_mov_b32_e32 v11, v10
	;;#ASMSTART
	v_pk_mul_f32 v[12:13], v[18:19], v[10:11]
	;;#ASMEND
	s_waitcnt vmcnt(1)
	v_cvt_f32_u32_sdwa v19, v6 dst_sel:DWORD dst_unused:UNUSED_PAD src0_sel:WORD_1
	v_cvt_f32_u32_sdwa v18, v6 dst_sel:DWORD dst_unused:UNUSED_PAD src0_sel:WORD_0
	;;#ASMSTART
	v_pk_mul_f32 v[14:15], v[22:23], v[10:11]
	;;#ASMEND
	;;#ASMSTART
	v_pk_mul_f32 v[16:17], v[20:21], v[10:11]
	;;#ASMEND
	v_cvt_f32_u32_sdwa v21, v7 dst_sel:DWORD dst_unused:UNUSED_PAD src0_sel:WORD_1
	v_cvt_f32_u32_sdwa v20, v7 dst_sel:DWORD dst_unused:UNUSED_PAD src0_sel:WORD_0
	;;#ASMSTART
	v_pk_mul_f32 v[28:29], v[28:29], v[10:11]
	;;#ASMEND
	;;#ASMSTART
	v_pk_mul_f32 v[24:25], v[24:25], v[10:11]
	;;#ASMEND
	;;#ASMSTART
	v_pk_mul_f32 v[32:33], v[32:33], v[10:11]
	;;#ASMEND
	;;#ASMSTART
	v_pk_mul_f32 v[30:31], v[30:31], v[10:11]
	;;#ASMEND
	;;#ASMSTART
	v_pk_mul_f32 v[6:7], v[26:27], v[10:11]
	;;#ASMEND
	v_pk_add_f32 v[10:11], v[18:19], 1.0 op_sel_hi:[1,0]
	;;#ASMSTART
	v_pk_mul_f32 v[18:19], v[12:13], v[10:11]
	;;#ASMEND
	v_cvt_f32_u32_sdwa v13, v8 dst_sel:DWORD dst_unused:UNUSED_PAD src0_sel:WORD_1
	v_cvt_f32_u32_sdwa v12, v8 dst_sel:DWORD dst_unused:UNUSED_PAD src0_sel:WORD_0
	v_cvt_f32_u32_sdwa v27, v9 dst_sel:DWORD dst_unused:UNUSED_PAD src0_sel:WORD_1
	v_cvt_f32_u32_sdwa v26, v9 dst_sel:DWORD dst_unused:UNUSED_PAD src0_sel:WORD_0
	v_pk_add_f32 v[10:11], v[20:21], 1.0 op_sel_hi:[1,0]
	;;#ASMSTART
	v_pk_mul_f32 v[22:23], v[14:15], v[10:11]
	;;#ASMEND
	s_waitcnt vmcnt(0)
	v_cvt_f32_u32_sdwa v11, v2 dst_sel:DWORD dst_unused:UNUSED_PAD src0_sel:WORD_1
	v_cvt_f32_u32_sdwa v10, v2 dst_sel:DWORD dst_unused:UNUSED_PAD src0_sel:WORD_0
	v_pk_add_f32 v[8:9], v[12:13], 1.0 op_sel_hi:[1,0]
	;;#ASMSTART
	v_pk_mul_f32 v[20:21], v[16:17], v[8:9]
	;;#ASMEND
	v_pk_add_f32 v[8:9], v[26:27], 1.0 op_sel_hi:[1,0]
	v_cvt_f32_u32_sdwa v13, v3 dst_sel:DWORD dst_unused:UNUSED_PAD src0_sel:WORD_1
	v_cvt_f32_u32_sdwa v12, v3 dst_sel:DWORD dst_unused:UNUSED_PAD src0_sel:WORD_0
	;;#ASMSTART
	v_pk_mul_f32 v[28:29], v[28:29], v[8:9]
	;;#ASMEND
	v_cvt_f32_u32_sdwa v9, v4 dst_sel:DWORD dst_unused:UNUSED_PAD src0_sel:WORD_1
	v_cvt_f32_u32_sdwa v8, v4 dst_sel:DWORD dst_unused:UNUSED_PAD src0_sel:WORD_0
	v_pk_add_f32 v[2:3], v[10:11], 1.0 op_sel_hi:[1,0]
	v_cvt_f32_u32_sdwa v11, v5 dst_sel:DWORD dst_unused:UNUSED_PAD src0_sel:WORD_1
	v_cvt_f32_u32_sdwa v10, v5 dst_sel:DWORD dst_unused:UNUSED_PAD src0_sel:WORD_0
	;;#ASMSTART
	v_pk_mul_f32 v[24:25], v[24:25], v[2:3]
	;;#ASMEND
	v_pk_add_f32 v[2:3], v[12:13], 1.0 op_sel_hi:[1,0]
	;;#ASMSTART
	v_pk_mul_f32 v[32:33], v[32:33], v[2:3]
	;;#ASMEND
	v_pk_add_f32 v[2:3], v[8:9], 1.0 op_sel_hi:[1,0]
	;; [unrolled: 4-line block ×3, first 2 shown]
	;;#ASMSTART
	v_pk_mul_f32 v[26:27], v[6:7], v[2:3]
	;;#ASMEND
.LBB644_9:
	s_or_b64 exec, exec, s[8:9]
	s_load_dword s7, s[4:5], 0x80
	s_mov_b64 s[8:9], -1
	s_and_b64 vcc, exec, s[14:15]
	s_cbranch_vccnz .LBB644_13
; %bb.10:
	s_andn2_b64 vcc, exec, s[8:9]
	s_cbranch_vccz .LBB644_16
.LBB644_11:
	s_cmp_lt_i32 s20, 1
	s_cbranch_scc0 .LBB644_23
.LBB644_12:
	s_endpgm
.LBB644_13:
	s_and_saveexec_b64 s[14:15], s[2:3]
	s_cbranch_execz .LBB644_15
; %bb.14:
	s_waitcnt lgkmcnt(0)
	s_mul_hi_i32 s9, s7, s6
	s_mul_i32 s8, s7, s6
	s_lshl_b64 s[8:9], s[8:9], 1
	s_add_u32 s8, s28, s8
	s_addc_u32 s9, s29, s9
	s_mov_b32 s16, 0x7060302
	s_and_b32 s9, s9, 0xffff
	s_mov_b32 s11, 0x20000
	s_waitcnt vmcnt(0)
	v_perm_b32 v5, v29, v28, s16
	v_perm_b32 v4, v21, v20, s16
	;; [unrolled: 1-line block ×4, first 2 shown]
	v_lshlrev_b32_e32 v6, 5, v0
	buffer_store_dwordx4 v[2:5], v6, s[8:11], 0 offen
	;;#ASMSTART
	s_nop 0
	;;#ASMEND
	s_nop 0
	v_perm_b32 v5, v27, v26, s16
	v_perm_b32 v4, v31, v30, s16
	;; [unrolled: 1-line block ×4, first 2 shown]
	buffer_store_dwordx4 v[2:5], v6, s[8:11], 16 offen
	;;#ASMSTART
	s_nop 0
	;;#ASMEND
.LBB644_15:
	s_or_b64 exec, exec, s[14:15]
	s_cbranch_execnz .LBB644_11
.LBB644_16:
	s_waitcnt vmcnt(0)
	v_mov_b32_e32 v2, 0
	s_and_saveexec_b64 s[8:9], s[2:3]
	s_cbranch_execz .LBB644_18
; %bb.17:
	v_and_b32_e32 v2, 0x7fffffff, v18
	v_and_b32_e32 v3, 0x7fffffff, v19
	v_mov_b32_e32 v4, 0x2edbe6ff
	;;#ASMSTART
	v_max3_f32 v2, v4, v2, v3

	;;#ASMEND
	v_and_b32_e32 v3, 0x7fffffff, v22
	v_and_b32_e32 v4, 0x7fffffff, v23
	;;#ASMSTART
	v_max3_f32 v2, v2, v3, v4

	;;#ASMEND
	v_and_b32_e32 v3, 0x7fffffff, v20
	v_and_b32_e32 v4, 0x7fffffff, v21
	;; [unrolled: 6-line block ×7, first 2 shown]
	;;#ASMSTART
	v_max3_f32 v2, v2, v3, v4

	;;#ASMEND
.LBB644_18:
	s_or_b64 exec, exec, s[8:9]
	s_load_dwordx4 s[24:27], s[4:5], 0x70
	;;#ASMSTART
	v_max_f32 v3, v2, v2 quad_perm:[1,0,3,2] row_mask:0xf bank_mask:0xf bound_ctrl:1
	;;#ASMEND
	;;#ASMSTART
	v_max_f32 v4, v3, v3 quad_perm:[2,3,0,1] row_mask:0xf bank_mask:0xf bound_ctrl:1
	;;#ASMEND
	v_and_b32_e32 v3, 7, v0
	v_cmp_eq_u32_e32 vcc, 0, v3
	v_cmp_gt_i32_e64 s[8:9], s19, v1
	s_and_b64 s[10:11], vcc, s[8:9]
	;;#ASMSTART
	v_max_f32 v2, v4, v4 row_half_mirror row_mask:0xf bank_mask:0xf bound_ctrl:1
	;;#ASMEND
	s_and_saveexec_b64 s[8:9], s[10:11]
	s_cbranch_execz .LBB644_20
; %bb.19:
	s_load_dwordx2 s[10:11], s[4:5], 0x8
	v_mul_f32_e32 v2, 0x3e2aaaab, v2
	v_lshrrev_b32_e32 v3, 23, v2
	v_and_b32_e32 v4, 0x7f800000, v2
	v_and_b32_e32 v2, 0x7fffff, v2
	v_cmp_ne_u32_e32 vcc, 0, v2
	s_waitcnt lgkmcnt(0)
	s_mul_i32 s16, s25, s6
	s_mov_b32 s14, 0x7f800000
	v_addc_co_u32_e32 v2, vcc, 0, v3, vcc
	s_mul_hi_i32 s15, s25, s6
	s_add_u32 s10, s10, s16
	v_cmp_ne_u32_e32 vcc, s14, v4
	s_addc_u32 s11, s11, s15
	v_lshrrev_b32_e32 v5, 3, v0
	v_cndmask_b32_e32 v4, -1, v2, vcc
	v_pk_mov_b32 v[2:3], s[10:11], s[10:11] op_sel:[0,1]
	v_mad_i64_i32 v[2:3], s[10:11], s26, v5, v[2:3]
	global_store_byte v[2:3], v4, off
.LBB644_20:
	s_or_b64 exec, exec, s[8:9]
	s_and_saveexec_b64 s[8:9], s[2:3]
	s_cbranch_execz .LBB644_22
; %bb.21:
	s_load_dwordx2 s[2:3], s[4:5], 0x0
	s_waitcnt lgkmcnt(0)
	s_mul_i32 s11, s24, s6
	s_mul_hi_i32 s10, s24, s6
	v_mov_b32_e32 v2, 0
	v_lshlrev_b32_e32 v4, 3, v0
	s_add_u32 s24, s2, s11
	s_addc_u32 s2, s3, s10
	s_lshr_b32 s3, s19, 31
	s_add_i32 s3, s19, s3
	s_ashr_i32 s3, s3, 1
	s_add_i32 s3, s3, 3
	s_ashr_i32 s10, s3, 31
	s_lshr_b32 s10, s10, 30
	s_add_i32 s3, s3, s10
	s_and_b32 s26, s3, -4
	s_and_b32 s25, s2, 0xffff
	s_mov_b32 s27, 0x20000
	v_mov_b32_e32 v3, v2
	buffer_store_dwordx2 v[2:3], v4, s[24:27], 0 offen
	;;#ASMSTART
	s_nop 0
	;;#ASMEND
.LBB644_22:
	s_or_b64 exec, exec, s[8:9]
	s_cmp_lt_i32 s20, 1
	s_cbranch_scc1 .LBB644_12
.LBB644_23:
	s_load_dword s2, s[4:5], 0x94
	s_waitcnt lgkmcnt(0)
	s_cmp_lg_u32 s2, 1
	s_cbranch_scc1 .LBB644_12
; %bb.24:
	s_lshl_b32 s2, s20, 1
	s_add_i32 s2, s2, 2
	v_cmp_gt_u32_e32 vcc, s20, v1
	s_and_b32 s14, s2, -4
	v_mov_b32_e32 v18, 0
	v_lshlrev_b32_e32 v1, 5, v0
	v_mov_b32_e32 v14, 0
	v_mov_b32_e32 v15, 0
	;; [unrolled: 1-line block ×8, first 2 shown]
	s_waitcnt vmcnt(1)
	v_mov_b32_e32 v6, 0
	v_mov_b32_e32 v7, 0
	;; [unrolled: 1-line block ×4, first 2 shown]
	s_waitcnt vmcnt(0)
	v_mov_b32_e32 v2, 0
	v_mov_b32_e32 v3, 0
	;; [unrolled: 1-line block ×4, first 2 shown]
	s_barrier
	s_and_saveexec_b64 s[2:3], vcc
	s_cbranch_execz .LBB644_26
; %bb.25:
	s_mul_hi_i32 s5, s22, s6
	s_mul_i32 s4, s22, s6
	s_and_b32 s13, s13, 0xffff
	s_lshl_b64 s[4:5], s[4:5], 1
	s_add_u32 s8, s30, s4
	s_mov_b32 s15, 0x20000
	s_addc_u32 s4, s31, s5
	s_and_b32 s9, s4, 0xffff
	s_mov_b32 s10, s14
	s_mov_b32 s11, s15
	buffer_load_dwordx4 v[14:17], v1, s[8:11], 0 offen
	buffer_load_dwordx4 v[10:13], v1, s[8:11], 16 offen
	;; [unrolled: 1-line block ×4, first 2 shown]
.LBB644_26:
	s_or_b64 exec, exec, s[2:3]
	v_mov_b32_e32 v19, 0
	v_mov_b32_e32 v32, 0
	v_mov_b32_e32 v33, 0
	v_mov_b32_e32 v30, 0
	v_mov_b32_e32 v31, 0
	v_mov_b32_e32 v28, 0
	v_mov_b32_e32 v29, 0
	v_mov_b32_e32 v26, 0
	v_mov_b32_e32 v27, 0
	v_mov_b32_e32 v24, 0
	v_mov_b32_e32 v25, 0
	v_mov_b32_e32 v22, 0
	v_mov_b32_e32 v23, 0
	v_mov_b32_e32 v20, 0
	v_mov_b32_e32 v21, 0
	s_and_saveexec_b64 s[2:3], vcc
	s_cbranch_execz .LBB644_28
; %bb.27:
	s_waitcnt vmcnt(3)
	v_cvt_f32_u32_sdwa v18, v14 dst_sel:DWORD dst_unused:UNUSED_PAD src0_sel:WORD_0
	v_cvt_f32_u32_sdwa v19, v14 dst_sel:DWORD dst_unused:UNUSED_PAD src0_sel:WORD_1
	v_cvt_f32_u32_sdwa v32, v15 dst_sel:DWORD dst_unused:UNUSED_PAD src0_sel:WORD_0
	v_cvt_f32_u32_sdwa v33, v15 dst_sel:DWORD dst_unused:UNUSED_PAD src0_sel:WORD_1
	;; [unrolled: 2-line block ×4, first 2 shown]
	s_waitcnt vmcnt(2)
	v_cvt_f32_u32_sdwa v26, v10 dst_sel:DWORD dst_unused:UNUSED_PAD src0_sel:WORD_0
	v_cvt_f32_u32_sdwa v27, v10 dst_sel:DWORD dst_unused:UNUSED_PAD src0_sel:WORD_1
	v_cvt_f32_u32_sdwa v24, v11 dst_sel:DWORD dst_unused:UNUSED_PAD src0_sel:WORD_0
	v_cvt_f32_u32_sdwa v25, v11 dst_sel:DWORD dst_unused:UNUSED_PAD src0_sel:WORD_1
	;; [unrolled: 2-line block ×4, first 2 shown]
.LBB644_28:
	s_or_b64 exec, exec, s[2:3]
	s_waitcnt vmcnt(2)
	v_mul_f32_e32 v10, v19, v19
	v_fmac_f32_e32 v10, v18, v18
	v_fmac_f32_e32 v10, v32, v32
	;; [unrolled: 1-line block ×15, first 2 shown]
	s_nop 1
	v_mov_b32_dpp v11, v10 quad_perm:[1,0,3,2] row_mask:0xf bank_mask:0xf
	v_add_f32_e32 v10, v10, v11
	s_nop 1
	v_mov_b32_dpp v11, v10 quad_perm:[2,3,0,1] row_mask:0xf bank_mask:0xf
	v_add_f32_e32 v10, v10, v11
	s_nop 1
	v_mov_b32_dpp v11, v10 row_half_mirror row_mask:0xf bank_mask:0xf
	v_add_f32_e32 v10, v10, v11
	s_nop 1
	v_mov_b32_dpp v11, v10 row_mirror row_mask:0xf bank_mask:0xf
	v_add_f32_e32 v10, v10, v11
	s_nop 1
	v_mov_b32_dpp v11, v10 row_bcast:15 row_mask:0xf bank_mask:0xf
	v_add_f32_e32 v10, v10, v11
	s_nop 1
	v_mov_b32_dpp v11, v10 row_bcast:31 row_mask:0xf bank_mask:0xf
	s_and_saveexec_b64 s[2:3], s[0:1]
	s_cbranch_execz .LBB644_30
; %bb.29:
	v_lshrrev_b32_e32 v0, 4, v0
	v_add_f32_e32 v10, v10, v11
	v_and_b32_e32 v0, 60, v0
	ds_write_b32 v0, v10
.LBB644_30:
	s_or_b64 exec, exec, s[2:3]
	s_waitcnt lgkmcnt(0)
	s_barrier
	ds_read_b32 v0, v34
	s_waitcnt lgkmcnt(0)
	s_nop 0
	v_mov_b32_dpp v10, v0 quad_perm:[1,0,3,2] row_mask:0xf bank_mask:0xf
	s_and_saveexec_b64 s[0:1], vcc
	s_cbranch_execz .LBB644_12
; %bb.31:
	v_cvt_f32_u32_e32 v11, s20
	v_add_f32_e32 v0, v0, v10
	s_mov_b32 s15, 0x20000
	v_div_scale_f32 v10, s[0:1], v11, v11, v0
	v_rcp_f32_e32 v12, v10
	v_div_scale_f32 v13, vcc, v0, v11, v0
	s_mov_b32 s0, 0x800000
	v_fma_f32 v14, -v10, v12, 1.0
	v_fmac_f32_e32 v12, v14, v12
	v_mul_f32_e32 v14, v13, v12
	v_fma_f32 v15, -v10, v14, v13
	v_fmac_f32_e32 v14, v15, v12
	v_fma_f32 v10, -v10, v14, v13
	v_div_fmas_f32 v10, v10, v12, v14
	v_div_fixup_f32 v0, v10, v11, v0
	v_add_f32_e32 v0, s17, v0
	v_mul_f32_e32 v10, 0x4b800000, v0
	v_cmp_gt_f32_e32 vcc, s0, v0
	v_cndmask_b32_e32 v0, v0, v10, vcc
	v_rsq_f32_e32 v0, v0
	s_mul_hi_i32 s1, s7, s6
	s_mul_i32 s0, s7, s6
	s_lshl_b64 s[0:1], s[0:1], 1
	v_mul_f32_e32 v10, 0x45800000, v0
	v_cndmask_b32_e32 v10, v0, v10, vcc
	v_mov_b32_e32 v11, v10
	;;#ASMSTART
	v_pk_mul_f32 v[12:13], v[18:19], v[10:11]
	;;#ASMEND
	;;#ASMSTART
	v_pk_mul_f32 v[14:15], v[32:33], v[10:11]
	;;#ASMEND
	;; [unrolled: 3-line block ×4, first 2 shown]
	s_waitcnt vmcnt(1)
	v_cvt_f32_u32_sdwa v29, v6 dst_sel:DWORD dst_unused:UNUSED_PAD src0_sel:WORD_1
	v_cvt_f32_u32_sdwa v28, v6 dst_sel:DWORD dst_unused:UNUSED_PAD src0_sel:WORD_0
	v_cvt_f32_u32_sdwa v31, v7 dst_sel:DWORD dst_unused:UNUSED_PAD src0_sel:WORD_1
	v_cvt_f32_u32_sdwa v30, v7 dst_sel:DWORD dst_unused:UNUSED_PAD src0_sel:WORD_0
	;;#ASMSTART
	v_pk_mul_f32 v[26:27], v[26:27], v[10:11]
	;;#ASMEND
	;;#ASMSTART
	v_pk_mul_f32 v[24:25], v[24:25], v[10:11]
	;;#ASMEND
	;; [unrolled: 3-line block ×4, first 2 shown]
	v_cvt_f32_u32_sdwa v21, v8 dst_sel:DWORD dst_unused:UNUSED_PAD src0_sel:WORD_1
	v_cvt_f32_u32_sdwa v20, v8 dst_sel:DWORD dst_unused:UNUSED_PAD src0_sel:WORD_0
	v_pk_add_f32 v[10:11], v[28:29], 1.0 op_sel_hi:[1,0]
	;;#ASMSTART
	v_pk_mul_f32 v[10:11], v[12:13], v[10:11]
	;;#ASMEND
	v_pk_add_f32 v[12:13], v[30:31], 1.0 op_sel_hi:[1,0]
	v_cvt_f32_u32_sdwa v29, v9 dst_sel:DWORD dst_unused:UNUSED_PAD src0_sel:WORD_1
	v_cvt_f32_u32_sdwa v28, v9 dst_sel:DWORD dst_unused:UNUSED_PAD src0_sel:WORD_0
	;;#ASMSTART
	v_pk_mul_f32 v[8:9], v[14:15], v[12:13]
	;;#ASMEND
	v_pk_add_f32 v[12:13], v[20:21], 1.0 op_sel_hi:[1,0]
	;;#ASMSTART
	v_pk_mul_f32 v[12:13], v[16:17], v[12:13]
	;;#ASMEND
	s_waitcnt vmcnt(0)
	v_cvt_f32_u32_sdwa v17, v2 dst_sel:DWORD dst_unused:UNUSED_PAD src0_sel:WORD_1
	v_cvt_f32_u32_sdwa v16, v2 dst_sel:DWORD dst_unused:UNUSED_PAD src0_sel:WORD_0
	v_cvt_f32_u32_sdwa v21, v3 dst_sel:DWORD dst_unused:UNUSED_PAD src0_sel:WORD_1
	v_cvt_f32_u32_sdwa v20, v3 dst_sel:DWORD dst_unused:UNUSED_PAD src0_sel:WORD_0
	v_pk_add_f32 v[14:15], v[28:29], 1.0 op_sel_hi:[1,0]
	;;#ASMSTART
	v_pk_mul_f32 v[14:15], v[18:19], v[14:15]
	;;#ASMEND
	v_pk_add_f32 v[2:3], v[16:17], 1.0 op_sel_hi:[1,0]
	v_cvt_f32_u32_sdwa v19, v4 dst_sel:DWORD dst_unused:UNUSED_PAD src0_sel:WORD_1
	v_cvt_f32_u32_sdwa v18, v4 dst_sel:DWORD dst_unused:UNUSED_PAD src0_sel:WORD_0
	;;#ASMSTART
	v_pk_mul_f32 v[16:17], v[26:27], v[2:3]
	;;#ASMEND
	v_pk_add_f32 v[2:3], v[20:21], 1.0 op_sel_hi:[1,0]
	v_cvt_f32_u32_sdwa v21, v5 dst_sel:DWORD dst_unused:UNUSED_PAD src0_sel:WORD_1
	v_cvt_f32_u32_sdwa v20, v5 dst_sel:DWORD dst_unused:UNUSED_PAD src0_sel:WORD_0
	s_add_u32 s12, s28, s0
	;;#ASMSTART
	v_pk_mul_f32 v[24:25], v[24:25], v[2:3]
	;;#ASMEND
	v_pk_add_f32 v[2:3], v[18:19], 1.0 op_sel_hi:[1,0]
	s_addc_u32 s0, s29, s1
	;;#ASMSTART
	v_pk_mul_f32 v[18:19], v[22:23], v[2:3]
	;;#ASMEND
	v_pk_add_f32 v[2:3], v[20:21], 1.0 op_sel_hi:[1,0]
	s_and_b32 s13, s0, 0xffff
	s_mov_b32 s0, 0x7060302
	;;#ASMSTART
	v_pk_mul_f32 v[6:7], v[6:7], v[2:3]
	;;#ASMEND
	v_perm_b32 v2, v11, v10, s0
	v_perm_b32 v3, v9, v8, s0
	;; [unrolled: 1-line block ×4, first 2 shown]
	buffer_store_dwordx4 v[2:5], v1, s[12:15], 0 offen
	;;#ASMSTART
	s_nop 0
	;;#ASMEND
	s_nop 0
	v_perm_b32 v2, v17, v16, s0
	v_perm_b32 v3, v25, v24, s0
	;; [unrolled: 1-line block ×4, first 2 shown]
	buffer_store_dwordx4 v[2:5], v1, s[12:15], 16 offen
	;;#ASMSTART
	s_nop 0
	;;#ASMEND
	s_endpgm
	.section	.rodata,"a",@progbits
	.p2align	6, 0x0
	.amdhsa_kernel _ZN5aiter35fused_qk_rmsnorm_group_quant_kernelItN4opus5fp4_tELi128ELi16ELi8ELb0ELb0ELb1ELb0ELb0ELb0EEEvPT0_PvPT_S7_S7_PKS6_S9_S9_S9_S9_ffiiiiiiiiiiiii
		.amdhsa_group_segment_fixed_size 16
		.amdhsa_private_segment_fixed_size 0
		.amdhsa_kernarg_size 400
		.amdhsa_user_sgpr_count 6
		.amdhsa_user_sgpr_private_segment_buffer 1
		.amdhsa_user_sgpr_dispatch_ptr 0
		.amdhsa_user_sgpr_queue_ptr 0
		.amdhsa_user_sgpr_kernarg_segment_ptr 1
		.amdhsa_user_sgpr_dispatch_id 0
		.amdhsa_user_sgpr_flat_scratch_init 0
		.amdhsa_user_sgpr_kernarg_preload_length 0
		.amdhsa_user_sgpr_kernarg_preload_offset 0
		.amdhsa_user_sgpr_private_segment_size 0
		.amdhsa_uses_dynamic_stack 0
		.amdhsa_system_sgpr_private_segment_wavefront_offset 0
		.amdhsa_system_sgpr_workgroup_id_x 1
		.amdhsa_system_sgpr_workgroup_id_y 1
		.amdhsa_system_sgpr_workgroup_id_z 0
		.amdhsa_system_sgpr_workgroup_info 0
		.amdhsa_system_vgpr_workitem_id 0
		.amdhsa_next_free_vgpr 35
		.amdhsa_next_free_sgpr 32
		.amdhsa_accum_offset 36
		.amdhsa_reserve_vcc 1
		.amdhsa_reserve_flat_scratch 0
		.amdhsa_float_round_mode_32 0
		.amdhsa_float_round_mode_16_64 0
		.amdhsa_float_denorm_mode_32 3
		.amdhsa_float_denorm_mode_16_64 3
		.amdhsa_dx10_clamp 1
		.amdhsa_ieee_mode 1
		.amdhsa_fp16_overflow 0
		.amdhsa_tg_split 0
		.amdhsa_exception_fp_ieee_invalid_op 0
		.amdhsa_exception_fp_denorm_src 0
		.amdhsa_exception_fp_ieee_div_zero 0
		.amdhsa_exception_fp_ieee_overflow 0
		.amdhsa_exception_fp_ieee_underflow 0
		.amdhsa_exception_fp_ieee_inexact 0
		.amdhsa_exception_int_div_zero 0
	.end_amdhsa_kernel
	.section	.text._ZN5aiter35fused_qk_rmsnorm_group_quant_kernelItN4opus5fp4_tELi128ELi16ELi8ELb0ELb0ELb1ELb0ELb0ELb0EEEvPT0_PvPT_S7_S7_PKS6_S9_S9_S9_S9_ffiiiiiiiiiiiii,"axG",@progbits,_ZN5aiter35fused_qk_rmsnorm_group_quant_kernelItN4opus5fp4_tELi128ELi16ELi8ELb0ELb0ELb1ELb0ELb0ELb0EEEvPT0_PvPT_S7_S7_PKS6_S9_S9_S9_S9_ffiiiiiiiiiiiii,comdat
.Lfunc_end644:
	.size	_ZN5aiter35fused_qk_rmsnorm_group_quant_kernelItN4opus5fp4_tELi128ELi16ELi8ELb0ELb0ELb1ELb0ELb0ELb0EEEvPT0_PvPT_S7_S7_PKS6_S9_S9_S9_S9_ffiiiiiiiiiiiii, .Lfunc_end644-_ZN5aiter35fused_qk_rmsnorm_group_quant_kernelItN4opus5fp4_tELi128ELi16ELi8ELb0ELb0ELb1ELb0ELb0ELb0EEEvPT0_PvPT_S7_S7_PKS6_S9_S9_S9_S9_ffiiiiiiiiiiiii
                                        ; -- End function
	.section	.AMDGPU.csdata,"",@progbits
; Kernel info:
; codeLenInByte = 3240
; NumSgprs: 36
; NumVgprs: 35
; NumAgprs: 0
; TotalNumVgprs: 35
; ScratchSize: 0
; MemoryBound: 0
; FloatMode: 240
; IeeeMode: 1
; LDSByteSize: 16 bytes/workgroup (compile time only)
; SGPRBlocks: 4
; VGPRBlocks: 4
; NumSGPRsForWavesPerEU: 36
; NumVGPRsForWavesPerEU: 35
; AccumOffset: 36
; Occupancy: 8
; WaveLimiterHint : 0
; COMPUTE_PGM_RSRC2:SCRATCH_EN: 0
; COMPUTE_PGM_RSRC2:USER_SGPR: 6
; COMPUTE_PGM_RSRC2:TRAP_HANDLER: 0
; COMPUTE_PGM_RSRC2:TGID_X_EN: 1
; COMPUTE_PGM_RSRC2:TGID_Y_EN: 1
; COMPUTE_PGM_RSRC2:TGID_Z_EN: 0
; COMPUTE_PGM_RSRC2:TIDIG_COMP_CNT: 0
; COMPUTE_PGM_RSRC3_GFX90A:ACCUM_OFFSET: 8
; COMPUTE_PGM_RSRC3_GFX90A:TG_SPLIT: 0
	.section	.text._ZN5aiter35fused_qk_rmsnorm_group_quant_kernelIDF16_DB8_Li128ELi16ELi8ELb0ELb0ELb0ELb0ELb0ELb0EEEvPT0_PvPT_S6_S6_PKS5_S8_S8_S8_S8_ffiiiiiiiiiiiii,"axG",@progbits,_ZN5aiter35fused_qk_rmsnorm_group_quant_kernelIDF16_DB8_Li128ELi16ELi8ELb0ELb0ELb0ELb0ELb0ELb0EEEvPT0_PvPT_S6_S6_PKS5_S8_S8_S8_S8_ffiiiiiiiiiiiii,comdat
	.protected	_ZN5aiter35fused_qk_rmsnorm_group_quant_kernelIDF16_DB8_Li128ELi16ELi8ELb0ELb0ELb0ELb0ELb0ELb0EEEvPT0_PvPT_S6_S6_PKS5_S8_S8_S8_S8_ffiiiiiiiiiiiii ; -- Begin function _ZN5aiter35fused_qk_rmsnorm_group_quant_kernelIDF16_DB8_Li128ELi16ELi8ELb0ELb0ELb0ELb0ELb0ELb0EEEvPT0_PvPT_S6_S6_PKS5_S8_S8_S8_S8_ffiiiiiiiiiiiii
	.globl	_ZN5aiter35fused_qk_rmsnorm_group_quant_kernelIDF16_DB8_Li128ELi16ELi8ELb0ELb0ELb0ELb0ELb0ELb0EEEvPT0_PvPT_S6_S6_PKS5_S8_S8_S8_S8_ffiiiiiiiiiiiii
	.p2align	8
	.type	_ZN5aiter35fused_qk_rmsnorm_group_quant_kernelIDF16_DB8_Li128ELi16ELi8ELb0ELb0ELb0ELb0ELb0ELb0EEEvPT0_PvPT_S6_S6_PKS5_S8_S8_S8_S8_ffiiiiiiiiiiiii,@function
_ZN5aiter35fused_qk_rmsnorm_group_quant_kernelIDF16_DB8_Li128ELi16ELi8ELb0ELb0ELb0ELb0ELb0ELb0EEEvPT0_PvPT_S6_S6_PKS5_S8_S8_S8_S8_ffiiiiiiiiiiiii: ; @_ZN5aiter35fused_qk_rmsnorm_group_quant_kernelIDF16_DB8_Li128ELi16ELi8ELb0ELb0ELb0ELb0ELb0ELb0EEEvPT0_PvPT_S6_S6_PKS5_S8_S8_S8_S8_ffiiiiiiiiiiiii
; %bb.0:
	s_load_dwordx4 s[16:19], s[4:5], 0x50
	s_waitcnt lgkmcnt(0)
	s_cmp_ge_i32 s6, s18
	s_cbranch_scc1 .LBB645_12
; %bb.1:
	s_load_dwordx2 s[12:13], s[4:5], 0x48
	s_load_dwordx2 s[30:31], s[4:5], 0x30
	s_load_dwordx4 s[20:23], s[4:5], 0x60
	s_cmp_lg_u32 s7, 0
	s_cselect_b64 s[14:15], -1, 0
	s_cmp_eq_u32 s7, 0
	s_cselect_b64 vcc, -1, 0
	s_and_b64 s[0:1], vcc, exec
	s_waitcnt lgkmcnt(0)
	s_cselect_b32 s7, s19, s20
	s_add_i32 s0, s7, 1
	s_lshr_b32 s1, s0, 31
	s_add_i32 s0, s0, s1
	s_lshl_b32 s0, s0, 1
	v_lshlrev_b32_e32 v1, 4, v0
	s_and_b32 s10, s0, -4
	v_cmp_gt_i32_e64 s[2:3], s7, v1
	v_mov_b32_e32 v18, 0
	v_mov_b32_e32 v6, 0
	;; [unrolled: 1-line block ×17, first 2 shown]
	s_and_saveexec_b64 s[0:1], s[2:3]
	s_cbranch_execz .LBB645_3
; %bb.2:
	s_load_dwordx2 s[8:9], s[4:5], 0x28
	s_load_dwordx2 s[26:27], s[4:5], 0x40
	s_and_b64 s[24:25], vcc, exec
	s_cselect_b32 s11, s21, s22
	v_lshlrev_b32_e32 v19, 5, v0
	s_waitcnt lgkmcnt(0)
	s_cselect_b32 s18, s9, s31
	s_cselect_b32 s21, s8, s30
	s_mul_hi_i32 s9, s11, s6
	s_mul_i32 s8, s11, s6
	s_lshl_b64 s[8:9], s[8:9], 1
	s_add_u32 s24, s21, s8
	s_addc_u32 s18, s18, s9
	s_and_b64 s[8:9], vcc, exec
	s_mov_b32 s11, 0x20000
	s_cselect_b32 s8, s26, s12
	s_cselect_b32 s9, s27, s13
	s_and_b32 s25, s18, 0xffff
	s_mov_b32 s26, s10
	s_mov_b32 s27, s11
	s_and_b32 s9, s9, 0xffff
	buffer_load_dwordx4 v[14:17], v19, s[24:27], 0 offen
	buffer_load_dwordx4 v[10:13], v19, s[24:27], 16 offen
	;; [unrolled: 1-line block ×4, first 2 shown]
.LBB645_3:
	s_or_b64 exec, exec, s[0:1]
	v_mov_b32_e32 v19, 0
	v_mov_b32_e32 v32, 0
	;; [unrolled: 1-line block ×15, first 2 shown]
	s_and_saveexec_b64 s[0:1], s[2:3]
	s_cbranch_execz .LBB645_5
; %bb.4:
	s_waitcnt vmcnt(3)
	v_cvt_f32_f16_sdwa v19, v14 dst_sel:DWORD dst_unused:UNUSED_PAD src0_sel:WORD_1
	v_cvt_f32_f16_e32 v18, v14
	v_cvt_f32_f16_sdwa v33, v15 dst_sel:DWORD dst_unused:UNUSED_PAD src0_sel:WORD_1
	v_cvt_f32_f16_e32 v32, v15
	;; [unrolled: 2-line block ×4, first 2 shown]
	s_waitcnt vmcnt(2)
	v_cvt_f32_f16_sdwa v31, v10 dst_sel:DWORD dst_unused:UNUSED_PAD src0_sel:WORD_1
	v_cvt_f32_f16_e32 v30, v10
	v_cvt_f32_f16_sdwa v29, v11 dst_sel:DWORD dst_unused:UNUSED_PAD src0_sel:WORD_1
	v_cvt_f32_f16_e32 v28, v11
	;; [unrolled: 2-line block ×4, first 2 shown]
.LBB645_5:
	s_or_b64 exec, exec, s[0:1]
	s_waitcnt vmcnt(2)
	v_mul_f32_e32 v10, v19, v19
	v_fmac_f32_e32 v10, v18, v18
	v_fmac_f32_e32 v10, v32, v32
	;; [unrolled: 1-line block ×15, first 2 shown]
	v_and_b32_e32 v12, 63, v0
	v_cmp_eq_u32_e64 s[0:1], 63, v12
	v_mov_b32_dpp v11, v10 quad_perm:[1,0,3,2] row_mask:0xf bank_mask:0xf
	v_add_f32_e32 v10, v10, v11
	s_nop 1
	v_mov_b32_dpp v11, v10 quad_perm:[2,3,0,1] row_mask:0xf bank_mask:0xf
	v_add_f32_e32 v10, v10, v11
	s_nop 1
	v_mov_b32_dpp v11, v10 row_half_mirror row_mask:0xf bank_mask:0xf
	v_add_f32_e32 v10, v10, v11
	s_nop 1
	v_mov_b32_dpp v11, v10 row_mirror row_mask:0xf bank_mask:0xf
	v_add_f32_e32 v10, v10, v11
	s_nop 1
	v_mov_b32_dpp v11, v10 row_bcast:15 row_mask:0xf bank_mask:0xf
	v_add_f32_e32 v10, v10, v11
	s_nop 1
	v_mov_b32_dpp v11, v10 row_bcast:31 row_mask:0xf bank_mask:0xf
	s_and_saveexec_b64 s[8:9], s[0:1]
	s_cbranch_execz .LBB645_7
; %bb.6:
	v_add_f32_e32 v10, v10, v11
	v_lshrrev_b32_e32 v11, 4, v0
	v_and_b32_e32 v11, 60, v11
	ds_write_b32 v11, v10 offset:8
.LBB645_7:
	s_or_b64 exec, exec, s[8:9]
	v_and_b32_e32 v10, 1, v0
	v_lshlrev_b32_e32 v34, 2, v10
	s_waitcnt lgkmcnt(0)
	s_barrier
	ds_read_b32 v10, v34 offset:8
	s_load_dwordx2 s[28:29], s[4:5], 0x18
	s_waitcnt lgkmcnt(0)
	v_mov_b32_dpp v11, v10 quad_perm:[1,0,3,2] row_mask:0xf bank_mask:0xf
	s_and_saveexec_b64 s[8:9], s[2:3]
	s_cbranch_execz .LBB645_9
; %bb.8:
	v_cvt_f32_u32_e32 v12, s7
	v_add_f32_e32 v10, v10, v11
	v_mov_b32_e32 v14, s17
	v_mov_b32_e32 v15, s16
	v_div_scale_f32 v11, s[24:25], v12, v12, v10
	v_rcp_f32_e32 v13, v11
	v_cndmask_b32_e32 v14, v14, v15, vcc
	s_mov_b32 s7, 0x800000
	s_waitcnt vmcnt(1)
	v_cvt_f32_f16_sdwa v37, v9 dst_sel:DWORD dst_unused:UNUSED_PAD src0_sel:WORD_1
	v_fma_f32 v15, -v11, v13, 1.0
	v_fmac_f32_e32 v13, v15, v13
	v_div_scale_f32 v15, vcc, v10, v12, v10
	v_mul_f32_e32 v16, v15, v13
	v_fma_f32 v17, -v11, v16, v15
	v_fmac_f32_e32 v16, v17, v13
	v_fma_f32 v11, -v11, v16, v15
	v_div_fmas_f32 v11, v11, v13, v16
	v_div_fixup_f32 v10, v11, v12, v10
	v_add_f32_e32 v10, v14, v10
	v_mul_f32_e32 v11, 0x4b800000, v10
	v_cmp_gt_f32_e32 vcc, s7, v10
	v_cndmask_b32_e32 v10, v10, v11, vcc
	v_rsq_f32_e32 v10, v10
	v_cvt_f32_f16_e32 v36, v9
	s_waitcnt vmcnt(0)
	v_cvt_f32_f16_sdwa v9, v3 dst_sel:DWORD dst_unused:UNUSED_PAD src0_sel:WORD_1
	v_mul_f32_e32 v11, 0x45800000, v10
	v_cndmask_b32_e32 v10, v10, v11, vcc
	v_mov_b32_e32 v11, v10
	;;#ASMSTART
	v_pk_mul_f32 v[12:13], v[18:19], v[10:11]
	;;#ASMEND
	;;#ASMSTART
	v_pk_mul_f32 v[14:15], v[32:33], v[10:11]
	;;#ASMEND
	;; [unrolled: 3-line block ×8, first 2 shown]
	v_cvt_f32_f16_sdwa v19, v6 dst_sel:DWORD dst_unused:UNUSED_PAD src0_sel:WORD_1
	v_cvt_f32_f16_e32 v18, v6
	v_cvt_f32_f16_sdwa v21, v7 dst_sel:DWORD dst_unused:UNUSED_PAD src0_sel:WORD_1
	v_cvt_f32_f16_e32 v20, v7
	;; [unrolled: 2-line block ×3, first 2 shown]
	;;#ASMSTART
	v_pk_mul_f32 v[18:19], v[12:13], v[18:19]
	;;#ASMEND
	;;#ASMSTART
	v_pk_mul_f32 v[32:33], v[14:15], v[20:21]
	;;#ASMEND
	;; [unrolled: 3-line block ×4, first 2 shown]
	v_cvt_f32_f16_sdwa v7, v2 dst_sel:DWORD dst_unused:UNUSED_PAD src0_sel:WORD_1
	v_cvt_f32_f16_e32 v6, v2
	v_cvt_f32_f16_e32 v8, v3
	v_cvt_f32_f16_sdwa v3, v4 dst_sel:DWORD dst_unused:UNUSED_PAD src0_sel:WORD_1
	v_cvt_f32_f16_e32 v2, v4
	v_cvt_f32_f16_sdwa v13, v5 dst_sel:DWORD dst_unused:UNUSED_PAD src0_sel:WORD_1
	v_cvt_f32_f16_e32 v12, v5
	;;#ASMSTART
	v_pk_mul_f32 v[30:31], v[30:31], v[6:7]
	;;#ASMEND
	;;#ASMSTART
	v_pk_mul_f32 v[28:29], v[28:29], v[8:9]
	;;#ASMEND
	;;#ASMSTART
	v_pk_mul_f32 v[22:23], v[22:23], v[2:3]
	;;#ASMEND
	;;#ASMSTART
	v_pk_mul_f32 v[20:21], v[10:11], v[12:13]
	;;#ASMEND
.LBB645_9:
	s_or_b64 exec, exec, s[8:9]
	s_load_dword s7, s[4:5], 0x80
	s_mov_b64 s[8:9], -1
	s_and_b64 vcc, exec, s[14:15]
	s_cbranch_vccnz .LBB645_13
; %bb.10:
	s_andn2_b64 vcc, exec, s[8:9]
	s_cbranch_vccz .LBB645_16
.LBB645_11:
	s_cmp_lt_i32 s20, 1
	s_cbranch_scc0 .LBB645_23
.LBB645_12:
	s_endpgm
.LBB645_13:
	s_and_saveexec_b64 s[14:15], s[2:3]
	s_cbranch_execz .LBB645_15
; %bb.14:
	s_waitcnt lgkmcnt(0)
	s_mul_hi_i32 s9, s7, s6
	s_mul_i32 s8, s7, s6
	s_waitcnt vmcnt(0)
	v_cvt_f16_f32_e32 v2, v18
	v_cvt_f16_f32_e32 v3, v32
	;; [unrolled: 1-line block ×8, first 2 shown]
	s_lshl_b64 s[8:9], s[8:9], 1
	s_add_u32 s8, s28, s8
	s_addc_u32 s9, s29, s9
	s_and_b32 s9, s9, 0xffff
	s_mov_b32 s11, 0x20000
	v_pack_b32_f16 v5, v5, v6
	v_pack_b32_f16 v4, v4, v7
	;; [unrolled: 1-line block ×4, first 2 shown]
	v_lshlrev_b32_e32 v6, 5, v0
	buffer_store_dwordx4 v[2:5], v6, s[8:11], 0 offen
	v_cvt_f16_f32_e32 v7, v21
	v_cvt_f16_f32_e32 v2, v30
	;; [unrolled: 1-line block ×8, first 2 shown]
	v_pack_b32_f16 v5, v5, v7
	v_pack_b32_f16 v4, v4, v8
	;; [unrolled: 1-line block ×4, first 2 shown]
	;;#ASMSTART
	s_nop 0
	;;#ASMEND
	buffer_store_dwordx4 v[2:5], v6, s[8:11], 16 offen
	;;#ASMSTART
	s_nop 0
	;;#ASMEND
.LBB645_15:
	s_or_b64 exec, exec, s[14:15]
	s_cbranch_execnz .LBB645_11
.LBB645_16:
	s_waitcnt vmcnt(0)
	v_mov_b32_e32 v2, 0
	s_and_saveexec_b64 s[8:9], s[2:3]
	s_cbranch_execz .LBB645_18
; %bb.17:
	v_and_b32_e32 v2, 0x7fffffff, v18
	v_and_b32_e32 v3, 0x7fffffff, v19
	v_mov_b32_e32 v4, 0x2edbe6ff
	;;#ASMSTART
	v_max3_f32 v2, v4, v2, v3

	;;#ASMEND
	v_and_b32_e32 v3, 0x7fffffff, v32
	v_and_b32_e32 v4, 0x7fffffff, v33
	;;#ASMSTART
	v_max3_f32 v2, v2, v3, v4

	;;#ASMEND
	v_and_b32_e32 v3, 0x7fffffff, v26
	v_and_b32_e32 v4, 0x7fffffff, v27
	;; [unrolled: 6-line block ×7, first 2 shown]
	;;#ASMSTART
	v_max3_f32 v2, v2, v3, v4

	;;#ASMEND
.LBB645_18:
	s_or_b64 exec, exec, s[8:9]
	s_load_dwordx4 s[24:27], s[4:5], 0x70
	;;#ASMSTART
	v_max_f32 v3, v2, v2 quad_perm:[1,0,3,2] row_mask:0xf bank_mask:0xf bound_ctrl:1
	;;#ASMEND
	;;#ASMSTART
	v_max_f32 v2, v3, v3 quad_perm:[2,3,0,1] row_mask:0xf bank_mask:0xf bound_ctrl:1
	;;#ASMEND
	;;#ASMSTART
	v_max_f32 v3, v2, v2 row_half_mirror row_mask:0xf bank_mask:0xf bound_ctrl:1
	;;#ASMEND
	v_mul_f32_e32 v2, 0x3b124925, v3
	v_and_b32_e32 v3, 7, v0
	v_cmp_eq_u32_e32 vcc, 0, v3
	v_cmp_gt_i32_e64 s[8:9], s19, v1
	s_and_b64 s[10:11], vcc, s[8:9]
	s_and_saveexec_b64 s[8:9], s[10:11]
	s_cbranch_execz .LBB645_20
; %bb.19:
	s_load_dwordx2 s[10:11], s[4:5], 0x8
	s_waitcnt lgkmcnt(0)
	s_mul_hi_i32 s15, s25, s6
	s_mul_i32 s14, s25, s6
	v_lshrrev_b32_e32 v3, 3, v0
	s_lshl_b64 s[14:15], s[14:15], 2
	v_mad_i64_i32 v[4:5], s[26:27], s26, v3, 0
	s_add_u32 s10, s10, s14
	s_addc_u32 s11, s11, s15
	v_lshlrev_b64 v[4:5], 2, v[4:5]
	v_mov_b32_e32 v3, s11
	v_add_co_u32_e32 v4, vcc, s10, v4
	v_addc_co_u32_e32 v5, vcc, v3, v5, vcc
	global_store_dword v[4:5], v2, off
.LBB645_20:
	s_or_b64 exec, exec, s[8:9]
	;;#ASMSTART
	v_rcp_f32 v2, v2
	;;#ASMEND
	s_and_saveexec_b64 s[14:15], s[2:3]
	s_cbranch_execz .LBB645_22
; %bb.21:
	s_load_dwordx2 s[2:3], s[4:5], 0x0
	s_waitcnt lgkmcnt(0)
	s_mul_i32 s8, s24, s6
	s_mul_hi_i32 s9, s24, s6
	v_mov_b32_e32 v3, v2
	;;#ASMSTART
	v_pk_mul_f32 v[4:5], v[18:19], v[2:3]
	;;#ASMEND
	s_add_u32 s8, s2, s8
	s_addc_u32 s2, s3, s9
	s_add_i32 s3, s19, 3
	s_ashr_i32 s10, s3, 31
	v_mov_b32_e32 v10, 0xc3e00000
	v_mov_b32_e32 v11, 0x43e00000
	;;#ASMSTART
	v_med3_f32 v4, v4, v10, v11
v_med3_f32 v5, v5, v10, v11
v_cvt_pk_fp8_f32 v6, v4, v5
	;;#ASMEND
	s_and_b32 s9, s2, 0xffff
	s_lshr_b32 s2, s10, 30
	;;#ASMSTART
	v_pk_mul_f32 v[4:5], v[32:33], v[2:3]
	;;#ASMEND
	s_add_i32 s3, s3, s2
	;;#ASMSTART
	v_med3_f32 v4, v4, v10, v11
v_med3_f32 v5, v5, v10, v11
v_cvt_pk_fp8_f32 v7, v4, v5
	;;#ASMEND
	s_mov_b32 s2, 0x5040100
	v_perm_b32 v4, v7, v6, s2
	s_mov_b32 s2, 0x1060504
	v_perm_b32 v4, v4, v7, s2
	;;#ASMSTART
	v_pk_mul_f32 v[6:7], v[26:27], v[2:3]
	;;#ASMEND
	v_mov_b32_e32 v5, v6
	;;#ASMSTART
	v_med3_f32 v5, v5, v10, v11
v_med3_f32 v7, v7, v10, v11
v_cvt_pk_fp8_f32 v8, v5, v7
	;;#ASMEND
	;;#ASMSTART
	v_pk_mul_f32 v[6:7], v[24:25], v[2:3]
	;;#ASMEND
	v_mov_b32_e32 v5, v7
	;;#ASMSTART
	v_med3_f32 v6, v6, v10, v11
v_med3_f32 v5, v5, v10, v11
v_cvt_pk_fp8_f32 v7, v6, v5
	;;#ASMEND
	s_mov_b32 s2, 0x1000504
	v_perm_b32 v5, v8, v7, s2
	;;#ASMSTART
	v_pk_mul_f32 v[6:7], v[30:31], v[2:3]
	;;#ASMEND
	;;#ASMSTART
	v_med3_f32 v6, v6, v10, v11
v_med3_f32 v7, v7, v10, v11
v_cvt_pk_fp8_f32 v8, v6, v7
	;;#ASMEND
	;;#ASMSTART
	v_pk_mul_f32 v[6:7], v[28:29], v[2:3]
	;;#ASMEND
	;;#ASMSTART
	v_med3_f32 v6, v6, v10, v11
v_med3_f32 v7, v7, v10, v11
v_cvt_pk_fp8_f32 v9, v6, v7
	;;#ASMEND
	v_perm_b32 v6, v8, v9, s2
	;;#ASMSTART
	v_pk_mul_f32 v[8:9], v[22:23], v[2:3]
	;;#ASMEND
	v_mov_b32_e32 v7, v8
	;;#ASMSTART
	v_med3_f32 v7, v7, v10, v11
v_med3_f32 v9, v9, v10, v11
v_cvt_pk_fp8_f32 v8, v7, v9
	;;#ASMEND
	;;#ASMSTART
	v_pk_mul_f32 v[2:3], v[20:21], v[2:3]
	;;#ASMEND
	;;#ASMSTART
	v_med3_f32 v2, v2, v10, v11
v_med3_f32 v3, v3, v10, v11
v_cvt_pk_fp8_f32 v7, v2, v3
	;;#ASMEND
	s_and_b32 s10, s3, -4
	s_mov_b32 s11, 0x20000
	v_perm_b32 v7, v8, v7, s2
	buffer_store_dwordx4 v[4:7], v1, s[8:11], 0 offen
	;;#ASMSTART
	s_nop 0
	;;#ASMEND
.LBB645_22:
	s_or_b64 exec, exec, s[14:15]
	s_cmp_lt_i32 s20, 1
	s_cbranch_scc1 .LBB645_12
.LBB645_23:
	s_load_dword s2, s[4:5], 0x94
	s_waitcnt lgkmcnt(0)
	s_cmp_lg_u32 s2, 1
	s_cbranch_scc1 .LBB645_12
; %bb.24:
	s_lshl_b32 s2, s20, 1
	s_add_i32 s2, s2, 2
	v_cmp_gt_u32_e32 vcc, s20, v1
	s_and_b32 s14, s2, -4
	v_mov_b32_e32 v18, 0
	v_lshlrev_b32_e32 v1, 5, v0
	v_mov_b32_e32 v14, 0
	v_mov_b32_e32 v15, 0
	;; [unrolled: 1-line block ×8, first 2 shown]
	s_waitcnt vmcnt(1)
	v_mov_b32_e32 v6, 0
	v_mov_b32_e32 v7, 0
	;; [unrolled: 1-line block ×4, first 2 shown]
	s_waitcnt vmcnt(0)
	v_mov_b32_e32 v2, 0
	v_mov_b32_e32 v3, 0
	;; [unrolled: 1-line block ×4, first 2 shown]
	s_barrier
	s_and_saveexec_b64 s[2:3], vcc
	s_cbranch_execz .LBB645_26
; %bb.25:
	s_mul_hi_i32 s5, s22, s6
	s_mul_i32 s4, s22, s6
	s_and_b32 s13, s13, 0xffff
	s_lshl_b64 s[4:5], s[4:5], 1
	s_add_u32 s8, s30, s4
	s_mov_b32 s15, 0x20000
	s_addc_u32 s4, s31, s5
	s_and_b32 s9, s4, 0xffff
	s_mov_b32 s10, s14
	s_mov_b32 s11, s15
	buffer_load_dwordx4 v[14:17], v1, s[8:11], 0 offen
	buffer_load_dwordx4 v[10:13], v1, s[8:11], 16 offen
	;; [unrolled: 1-line block ×4, first 2 shown]
.LBB645_26:
	s_or_b64 exec, exec, s[2:3]
	v_mov_b32_e32 v19, 0
	v_mov_b32_e32 v32, 0
	;; [unrolled: 1-line block ×15, first 2 shown]
	s_and_saveexec_b64 s[2:3], vcc
	s_cbranch_execz .LBB645_28
; %bb.27:
	s_waitcnt vmcnt(3)
	v_cvt_f32_f16_sdwa v19, v14 dst_sel:DWORD dst_unused:UNUSED_PAD src0_sel:WORD_1
	v_cvt_f32_f16_e32 v18, v14
	v_cvt_f32_f16_sdwa v33, v15 dst_sel:DWORD dst_unused:UNUSED_PAD src0_sel:WORD_1
	v_cvt_f32_f16_e32 v32, v15
	;; [unrolled: 2-line block ×4, first 2 shown]
	s_waitcnt vmcnt(2)
	v_cvt_f32_f16_sdwa v27, v10 dst_sel:DWORD dst_unused:UNUSED_PAD src0_sel:WORD_1
	v_cvt_f32_f16_e32 v26, v10
	v_cvt_f32_f16_sdwa v25, v11 dst_sel:DWORD dst_unused:UNUSED_PAD src0_sel:WORD_1
	v_cvt_f32_f16_e32 v24, v11
	;; [unrolled: 2-line block ×4, first 2 shown]
.LBB645_28:
	s_or_b64 exec, exec, s[2:3]
	s_waitcnt vmcnt(2)
	v_mul_f32_e32 v10, v19, v19
	v_fmac_f32_e32 v10, v18, v18
	v_fmac_f32_e32 v10, v32, v32
	;; [unrolled: 1-line block ×15, first 2 shown]
	s_nop 1
	v_mov_b32_dpp v11, v10 quad_perm:[1,0,3,2] row_mask:0xf bank_mask:0xf
	v_add_f32_e32 v10, v10, v11
	s_nop 1
	v_mov_b32_dpp v11, v10 quad_perm:[2,3,0,1] row_mask:0xf bank_mask:0xf
	v_add_f32_e32 v10, v10, v11
	s_nop 1
	v_mov_b32_dpp v11, v10 row_half_mirror row_mask:0xf bank_mask:0xf
	v_add_f32_e32 v10, v10, v11
	s_nop 1
	v_mov_b32_dpp v11, v10 row_mirror row_mask:0xf bank_mask:0xf
	v_add_f32_e32 v10, v10, v11
	s_nop 1
	v_mov_b32_dpp v11, v10 row_bcast:15 row_mask:0xf bank_mask:0xf
	v_add_f32_e32 v10, v10, v11
	s_nop 1
	v_mov_b32_dpp v11, v10 row_bcast:31 row_mask:0xf bank_mask:0xf
	s_and_saveexec_b64 s[2:3], s[0:1]
	s_cbranch_execz .LBB645_30
; %bb.29:
	v_lshrrev_b32_e32 v0, 4, v0
	v_add_f32_e32 v10, v10, v11
	v_and_b32_e32 v0, 60, v0
	ds_write_b32 v0, v10
.LBB645_30:
	s_or_b64 exec, exec, s[2:3]
	s_waitcnt lgkmcnt(0)
	s_barrier
	ds_read_b32 v0, v34
	s_waitcnt lgkmcnt(0)
	s_nop 0
	v_mov_b32_dpp v10, v0 quad_perm:[1,0,3,2] row_mask:0xf bank_mask:0xf
	s_and_saveexec_b64 s[0:1], vcc
	s_cbranch_execz .LBB645_12
; %bb.31:
	v_cvt_f32_u32_e32 v11, s20
	v_add_f32_e32 v0, v0, v10
	s_mov_b32 s15, 0x20000
	v_div_scale_f32 v10, s[0:1], v11, v11, v0
	v_rcp_f32_e32 v12, v10
	v_div_scale_f32 v13, vcc, v0, v11, v0
	s_mov_b32 s0, 0x800000
	v_fma_f32 v14, -v10, v12, 1.0
	v_fmac_f32_e32 v12, v14, v12
	v_mul_f32_e32 v14, v13, v12
	v_fma_f32 v15, -v10, v14, v13
	v_fmac_f32_e32 v14, v15, v12
	v_fma_f32 v10, -v10, v14, v13
	v_div_fmas_f32 v10, v10, v12, v14
	v_div_fixup_f32 v0, v10, v11, v0
	v_add_f32_e32 v0, s17, v0
	v_mul_f32_e32 v10, 0x4b800000, v0
	v_cmp_gt_f32_e32 vcc, s0, v0
	v_cndmask_b32_e32 v0, v0, v10, vcc
	v_rsq_f32_e32 v0, v0
	s_mul_hi_i32 s1, s7, s6
	s_mul_i32 s0, s7, s6
	s_lshl_b64 s[0:1], s[0:1], 1
	v_mul_f32_e32 v10, 0x45800000, v0
	v_cndmask_b32_e32 v10, v0, v10, vcc
	v_mov_b32_e32 v11, v10
	;;#ASMSTART
	v_pk_mul_f32 v[12:13], v[18:19], v[10:11]
	;;#ASMEND
	;;#ASMSTART
	v_pk_mul_f32 v[14:15], v[32:33], v[10:11]
	;;#ASMEND
	;; [unrolled: 3-line block ×8, first 2 shown]
	s_waitcnt vmcnt(1)
	v_cvt_f32_f16_sdwa v21, v6 dst_sel:DWORD dst_unused:UNUSED_PAD src0_sel:WORD_1
	v_cvt_f32_f16_e32 v20, v6
	v_cvt_f32_f16_sdwa v29, v7 dst_sel:DWORD dst_unused:UNUSED_PAD src0_sel:WORD_1
	v_cvt_f32_f16_e32 v28, v7
	v_cvt_f32_f16_sdwa v7, v8 dst_sel:DWORD dst_unused:UNUSED_PAD src0_sel:WORD_1
	v_cvt_f32_f16_e32 v6, v8
	v_cvt_f32_f16_sdwa v31, v9 dst_sel:DWORD dst_unused:UNUSED_PAD src0_sel:WORD_1
	v_cvt_f32_f16_e32 v30, v9
	;;#ASMSTART
	v_pk_mul_f32 v[8:9], v[12:13], v[20:21]
	;;#ASMEND
	;;#ASMSTART
	v_pk_mul_f32 v[12:13], v[14:15], v[28:29]
	;;#ASMEND
	;; [unrolled: 3-line block ×4, first 2 shown]
	s_waitcnt vmcnt(0)
	v_cvt_f32_f16_sdwa v17, v2 dst_sel:DWORD dst_unused:UNUSED_PAD src0_sel:WORD_1
	v_cvt_f32_f16_e32 v16, v2
	v_cvt_f32_f16_sdwa v19, v3 dst_sel:DWORD dst_unused:UNUSED_PAD src0_sel:WORD_1
	v_cvt_f32_f16_e32 v18, v3
	;; [unrolled: 2-line block ×4, first 2 shown]
	;;#ASMSTART
	v_pk_mul_f32 v[16:17], v[26:27], v[16:17]
	;;#ASMEND
	;;#ASMSTART
	v_pk_mul_f32 v[18:19], v[24:25], v[18:19]
	;;#ASMEND
	;; [unrolled: 3-line block ×3, first 2 shown]
	v_cvt_f16_f32_e32 v0, v8
	v_cvt_f16_f32_e32 v2, v9
	;; [unrolled: 1-line block ×8, first 2 shown]
	s_add_u32 s12, s28, s0
	s_addc_u32 s0, s29, s1
	s_and_b32 s13, s0, 0xffff
	v_pack_b32_f16 v2, v0, v2
	v_pack_b32_f16 v3, v3, v4
	;; [unrolled: 1-line block ×4, first 2 shown]
	;;#ASMSTART
	v_pk_mul_f32 v[10:11], v[10:11], v[20:21]
	;;#ASMEND
	buffer_store_dwordx4 v[2:5], v1, s[12:15], 0 offen
	v_cvt_f16_f32_e32 v0, v16
	v_cvt_f16_f32_e32 v2, v17
	;; [unrolled: 1-line block ×8, first 2 shown]
	v_pack_b32_f16 v2, v0, v2
	v_pack_b32_f16 v3, v3, v4
	;; [unrolled: 1-line block ×4, first 2 shown]
	;;#ASMSTART
	s_nop 0
	;;#ASMEND
	buffer_store_dwordx4 v[2:5], v1, s[12:15], 16 offen
	;;#ASMSTART
	s_nop 0
	;;#ASMEND
	s_endpgm
	.section	.rodata,"a",@progbits
	.p2align	6, 0x0
	.amdhsa_kernel _ZN5aiter35fused_qk_rmsnorm_group_quant_kernelIDF16_DB8_Li128ELi16ELi8ELb0ELb0ELb0ELb0ELb0ELb0EEEvPT0_PvPT_S6_S6_PKS5_S8_S8_S8_S8_ffiiiiiiiiiiiii
		.amdhsa_group_segment_fixed_size 16
		.amdhsa_private_segment_fixed_size 0
		.amdhsa_kernarg_size 400
		.amdhsa_user_sgpr_count 6
		.amdhsa_user_sgpr_private_segment_buffer 1
		.amdhsa_user_sgpr_dispatch_ptr 0
		.amdhsa_user_sgpr_queue_ptr 0
		.amdhsa_user_sgpr_kernarg_segment_ptr 1
		.amdhsa_user_sgpr_dispatch_id 0
		.amdhsa_user_sgpr_flat_scratch_init 0
		.amdhsa_user_sgpr_kernarg_preload_length 0
		.amdhsa_user_sgpr_kernarg_preload_offset 0
		.amdhsa_user_sgpr_private_segment_size 0
		.amdhsa_uses_dynamic_stack 0
		.amdhsa_system_sgpr_private_segment_wavefront_offset 0
		.amdhsa_system_sgpr_workgroup_id_x 1
		.amdhsa_system_sgpr_workgroup_id_y 1
		.amdhsa_system_sgpr_workgroup_id_z 0
		.amdhsa_system_sgpr_workgroup_info 0
		.amdhsa_system_vgpr_workitem_id 0
		.amdhsa_next_free_vgpr 38
		.amdhsa_next_free_sgpr 32
		.amdhsa_accum_offset 40
		.amdhsa_reserve_vcc 1
		.amdhsa_reserve_flat_scratch 0
		.amdhsa_float_round_mode_32 0
		.amdhsa_float_round_mode_16_64 0
		.amdhsa_float_denorm_mode_32 3
		.amdhsa_float_denorm_mode_16_64 3
		.amdhsa_dx10_clamp 1
		.amdhsa_ieee_mode 1
		.amdhsa_fp16_overflow 0
		.amdhsa_tg_split 0
		.amdhsa_exception_fp_ieee_invalid_op 0
		.amdhsa_exception_fp_denorm_src 0
		.amdhsa_exception_fp_ieee_div_zero 0
		.amdhsa_exception_fp_ieee_overflow 0
		.amdhsa_exception_fp_ieee_underflow 0
		.amdhsa_exception_fp_ieee_inexact 0
		.amdhsa_exception_int_div_zero 0
	.end_amdhsa_kernel
	.section	.text._ZN5aiter35fused_qk_rmsnorm_group_quant_kernelIDF16_DB8_Li128ELi16ELi8ELb0ELb0ELb0ELb0ELb0ELb0EEEvPT0_PvPT_S6_S6_PKS5_S8_S8_S8_S8_ffiiiiiiiiiiiii,"axG",@progbits,_ZN5aiter35fused_qk_rmsnorm_group_quant_kernelIDF16_DB8_Li128ELi16ELi8ELb0ELb0ELb0ELb0ELb0ELb0EEEvPT0_PvPT_S6_S6_PKS5_S8_S8_S8_S8_ffiiiiiiiiiiiii,comdat
.Lfunc_end645:
	.size	_ZN5aiter35fused_qk_rmsnorm_group_quant_kernelIDF16_DB8_Li128ELi16ELi8ELb0ELb0ELb0ELb0ELb0ELb0EEEvPT0_PvPT_S6_S6_PKS5_S8_S8_S8_S8_ffiiiiiiiiiiiii, .Lfunc_end645-_ZN5aiter35fused_qk_rmsnorm_group_quant_kernelIDF16_DB8_Li128ELi16ELi8ELb0ELb0ELb0ELb0ELb0ELb0EEEvPT0_PvPT_S6_S6_PKS5_S8_S8_S8_S8_ffiiiiiiiiiiiii
                                        ; -- End function
	.section	.AMDGPU.csdata,"",@progbits
; Kernel info:
; codeLenInByte = 3396
; NumSgprs: 36
; NumVgprs: 38
; NumAgprs: 0
; TotalNumVgprs: 38
; ScratchSize: 0
; MemoryBound: 0
; FloatMode: 240
; IeeeMode: 1
; LDSByteSize: 16 bytes/workgroup (compile time only)
; SGPRBlocks: 4
; VGPRBlocks: 4
; NumSGPRsForWavesPerEU: 36
; NumVGPRsForWavesPerEU: 38
; AccumOffset: 40
; Occupancy: 8
; WaveLimiterHint : 0
; COMPUTE_PGM_RSRC2:SCRATCH_EN: 0
; COMPUTE_PGM_RSRC2:USER_SGPR: 6
; COMPUTE_PGM_RSRC2:TRAP_HANDLER: 0
; COMPUTE_PGM_RSRC2:TGID_X_EN: 1
; COMPUTE_PGM_RSRC2:TGID_Y_EN: 1
; COMPUTE_PGM_RSRC2:TGID_Z_EN: 0
; COMPUTE_PGM_RSRC2:TIDIG_COMP_CNT: 0
; COMPUTE_PGM_RSRC3_GFX90A:ACCUM_OFFSET: 9
; COMPUTE_PGM_RSRC3_GFX90A:TG_SPLIT: 0
	.section	.text._ZN5aiter35fused_qk_rmsnorm_group_quant_kernelItDB8_Li128ELi16ELi8ELb0ELb0ELb0ELb0ELb0ELb0EEEvPT0_PvPT_S6_S6_PKS5_S8_S8_S8_S8_ffiiiiiiiiiiiii,"axG",@progbits,_ZN5aiter35fused_qk_rmsnorm_group_quant_kernelItDB8_Li128ELi16ELi8ELb0ELb0ELb0ELb0ELb0ELb0EEEvPT0_PvPT_S6_S6_PKS5_S8_S8_S8_S8_ffiiiiiiiiiiiii,comdat
	.protected	_ZN5aiter35fused_qk_rmsnorm_group_quant_kernelItDB8_Li128ELi16ELi8ELb0ELb0ELb0ELb0ELb0ELb0EEEvPT0_PvPT_S6_S6_PKS5_S8_S8_S8_S8_ffiiiiiiiiiiiii ; -- Begin function _ZN5aiter35fused_qk_rmsnorm_group_quant_kernelItDB8_Li128ELi16ELi8ELb0ELb0ELb0ELb0ELb0ELb0EEEvPT0_PvPT_S6_S6_PKS5_S8_S8_S8_S8_ffiiiiiiiiiiiii
	.globl	_ZN5aiter35fused_qk_rmsnorm_group_quant_kernelItDB8_Li128ELi16ELi8ELb0ELb0ELb0ELb0ELb0ELb0EEEvPT0_PvPT_S6_S6_PKS5_S8_S8_S8_S8_ffiiiiiiiiiiiii
	.p2align	8
	.type	_ZN5aiter35fused_qk_rmsnorm_group_quant_kernelItDB8_Li128ELi16ELi8ELb0ELb0ELb0ELb0ELb0ELb0EEEvPT0_PvPT_S6_S6_PKS5_S8_S8_S8_S8_ffiiiiiiiiiiiii,@function
_ZN5aiter35fused_qk_rmsnorm_group_quant_kernelItDB8_Li128ELi16ELi8ELb0ELb0ELb0ELb0ELb0ELb0EEEvPT0_PvPT_S6_S6_PKS5_S8_S8_S8_S8_ffiiiiiiiiiiiii: ; @_ZN5aiter35fused_qk_rmsnorm_group_quant_kernelItDB8_Li128ELi16ELi8ELb0ELb0ELb0ELb0ELb0ELb0EEEvPT0_PvPT_S6_S6_PKS5_S8_S8_S8_S8_ffiiiiiiiiiiiii
; %bb.0:
	s_load_dwordx4 s[16:19], s[4:5], 0x50
	s_waitcnt lgkmcnt(0)
	s_cmp_ge_i32 s6, s18
	s_cbranch_scc1 .LBB646_12
; %bb.1:
	s_load_dwordx2 s[12:13], s[4:5], 0x48
	s_load_dwordx2 s[30:31], s[4:5], 0x30
	s_load_dwordx4 s[20:23], s[4:5], 0x60
	s_cmp_lg_u32 s7, 0
	s_cselect_b64 s[14:15], -1, 0
	s_cmp_eq_u32 s7, 0
	s_cselect_b64 vcc, -1, 0
	s_and_b64 s[0:1], vcc, exec
	s_waitcnt lgkmcnt(0)
	s_cselect_b32 s7, s19, s20
	s_add_i32 s0, s7, 1
	s_lshr_b32 s1, s0, 31
	s_add_i32 s0, s0, s1
	s_lshl_b32 s0, s0, 1
	v_lshlrev_b32_e32 v1, 4, v0
	s_and_b32 s10, s0, -4
	v_cmp_gt_i32_e64 s[2:3], s7, v1
	v_mov_b32_e32 v18, 0
	v_mov_b32_e32 v6, 0
	;; [unrolled: 1-line block ×17, first 2 shown]
	s_and_saveexec_b64 s[0:1], s[2:3]
	s_cbranch_execz .LBB646_3
; %bb.2:
	s_load_dwordx2 s[8:9], s[4:5], 0x28
	s_load_dwordx2 s[26:27], s[4:5], 0x40
	s_and_b64 s[24:25], vcc, exec
	s_cselect_b32 s11, s21, s22
	v_lshlrev_b32_e32 v19, 5, v0
	s_waitcnt lgkmcnt(0)
	s_cselect_b32 s18, s9, s31
	s_cselect_b32 s21, s8, s30
	s_mul_hi_i32 s9, s11, s6
	s_mul_i32 s8, s11, s6
	s_lshl_b64 s[8:9], s[8:9], 1
	s_add_u32 s24, s21, s8
	s_addc_u32 s18, s18, s9
	s_and_b64 s[8:9], vcc, exec
	s_mov_b32 s11, 0x20000
	s_cselect_b32 s8, s26, s12
	s_cselect_b32 s9, s27, s13
	s_and_b32 s25, s18, 0xffff
	s_mov_b32 s26, s10
	s_mov_b32 s27, s11
	s_and_b32 s9, s9, 0xffff
	buffer_load_dwordx4 v[14:17], v19, s[24:27], 0 offen
	buffer_load_dwordx4 v[10:13], v19, s[24:27], 16 offen
	;; [unrolled: 1-line block ×4, first 2 shown]
.LBB646_3:
	s_or_b64 exec, exec, s[0:1]
	v_mov_b32_e32 v19, 0
	v_mov_b32_e32 v32, 0
	;; [unrolled: 1-line block ×15, first 2 shown]
	s_and_saveexec_b64 s[0:1], s[2:3]
	s_cbranch_execz .LBB646_5
; %bb.4:
	s_waitcnt vmcnt(3)
	v_cvt_f32_u32_sdwa v18, v14 dst_sel:DWORD dst_unused:UNUSED_PAD src0_sel:WORD_0
	v_cvt_f32_u32_sdwa v19, v14 dst_sel:DWORD dst_unused:UNUSED_PAD src0_sel:WORD_1
	v_cvt_f32_u32_sdwa v32, v15 dst_sel:DWORD dst_unused:UNUSED_PAD src0_sel:WORD_0
	v_cvt_f32_u32_sdwa v33, v15 dst_sel:DWORD dst_unused:UNUSED_PAD src0_sel:WORD_1
	;; [unrolled: 2-line block ×4, first 2 shown]
	s_waitcnt vmcnt(2)
	v_cvt_f32_u32_sdwa v30, v10 dst_sel:DWORD dst_unused:UNUSED_PAD src0_sel:WORD_0
	v_cvt_f32_u32_sdwa v31, v10 dst_sel:DWORD dst_unused:UNUSED_PAD src0_sel:WORD_1
	v_cvt_f32_u32_sdwa v28, v11 dst_sel:DWORD dst_unused:UNUSED_PAD src0_sel:WORD_0
	v_cvt_f32_u32_sdwa v29, v11 dst_sel:DWORD dst_unused:UNUSED_PAD src0_sel:WORD_1
	;; [unrolled: 2-line block ×4, first 2 shown]
.LBB646_5:
	s_or_b64 exec, exec, s[0:1]
	s_waitcnt vmcnt(2)
	v_mul_f32_e32 v10, v19, v19
	v_fmac_f32_e32 v10, v18, v18
	v_fmac_f32_e32 v10, v32, v32
	;; [unrolled: 1-line block ×15, first 2 shown]
	v_and_b32_e32 v12, 63, v0
	v_cmp_eq_u32_e64 s[0:1], 63, v12
	v_mov_b32_dpp v11, v10 quad_perm:[1,0,3,2] row_mask:0xf bank_mask:0xf
	v_add_f32_e32 v10, v10, v11
	s_nop 1
	v_mov_b32_dpp v11, v10 quad_perm:[2,3,0,1] row_mask:0xf bank_mask:0xf
	v_add_f32_e32 v10, v10, v11
	s_nop 1
	v_mov_b32_dpp v11, v10 row_half_mirror row_mask:0xf bank_mask:0xf
	v_add_f32_e32 v10, v10, v11
	s_nop 1
	v_mov_b32_dpp v11, v10 row_mirror row_mask:0xf bank_mask:0xf
	v_add_f32_e32 v10, v10, v11
	s_nop 1
	v_mov_b32_dpp v11, v10 row_bcast:15 row_mask:0xf bank_mask:0xf
	v_add_f32_e32 v10, v10, v11
	s_nop 1
	v_mov_b32_dpp v11, v10 row_bcast:31 row_mask:0xf bank_mask:0xf
	s_and_saveexec_b64 s[8:9], s[0:1]
	s_cbranch_execz .LBB646_7
; %bb.6:
	v_add_f32_e32 v10, v10, v11
	v_lshrrev_b32_e32 v11, 4, v0
	v_and_b32_e32 v11, 60, v11
	ds_write_b32 v11, v10 offset:8
.LBB646_7:
	s_or_b64 exec, exec, s[8:9]
	v_and_b32_e32 v10, 1, v0
	v_lshlrev_b32_e32 v34, 2, v10
	s_waitcnt lgkmcnt(0)
	s_barrier
	ds_read_b32 v10, v34 offset:8
	s_load_dwordx2 s[28:29], s[4:5], 0x18
	s_waitcnt lgkmcnt(0)
	v_mov_b32_dpp v11, v10 quad_perm:[1,0,3,2] row_mask:0xf bank_mask:0xf
	s_and_saveexec_b64 s[8:9], s[2:3]
	s_cbranch_execz .LBB646_9
; %bb.8:
	v_cvt_f32_u32_e32 v12, s7
	v_add_f32_e32 v10, v10, v11
	v_mov_b32_e32 v14, s17
	v_mov_b32_e32 v15, s16
	v_div_scale_f32 v11, s[24:25], v12, v12, v10
	v_rcp_f32_e32 v13, v11
	v_cndmask_b32_e32 v14, v14, v15, vcc
	s_mov_b32 s7, 0x800000
	s_waitcnt vmcnt(1)
	v_cvt_f32_u32_sdwa v37, v9 dst_sel:DWORD dst_unused:UNUSED_PAD src0_sel:WORD_1
	v_fma_f32 v15, -v11, v13, 1.0
	v_fmac_f32_e32 v13, v15, v13
	v_div_scale_f32 v15, vcc, v10, v12, v10
	v_mul_f32_e32 v16, v15, v13
	v_fma_f32 v17, -v11, v16, v15
	v_fmac_f32_e32 v16, v17, v13
	v_fma_f32 v11, -v11, v16, v15
	v_div_fmas_f32 v11, v11, v13, v16
	v_div_fixup_f32 v10, v11, v12, v10
	v_add_f32_e32 v10, v14, v10
	v_mul_f32_e32 v11, 0x4b800000, v10
	v_cmp_gt_f32_e32 vcc, s7, v10
	v_cndmask_b32_e32 v10, v10, v11, vcc
	v_rsq_f32_e32 v10, v10
	v_cvt_f32_u32_sdwa v36, v9 dst_sel:DWORD dst_unused:UNUSED_PAD src0_sel:WORD_0
	s_waitcnt vmcnt(0)
	v_cvt_f32_u32_sdwa v9, v3 dst_sel:DWORD dst_unused:UNUSED_PAD src0_sel:WORD_1
	v_mul_f32_e32 v11, 0x45800000, v10
	v_cndmask_b32_e32 v10, v10, v11, vcc
	v_mov_b32_e32 v11, v10
	;;#ASMSTART
	v_pk_mul_f32 v[12:13], v[18:19], v[10:11]
	;;#ASMEND
	;;#ASMSTART
	v_pk_mul_f32 v[14:15], v[32:33], v[10:11]
	;;#ASMEND
	;; [unrolled: 3-line block ×8, first 2 shown]
	v_cvt_f32_u32_sdwa v19, v6 dst_sel:DWORD dst_unused:UNUSED_PAD src0_sel:WORD_1
	v_cvt_f32_u32_sdwa v18, v6 dst_sel:DWORD dst_unused:UNUSED_PAD src0_sel:WORD_0
	v_cvt_f32_u32_sdwa v21, v7 dst_sel:DWORD dst_unused:UNUSED_PAD src0_sel:WORD_1
	v_cvt_f32_u32_sdwa v20, v7 dst_sel:DWORD dst_unused:UNUSED_PAD src0_sel:WORD_0
	;; [unrolled: 2-line block ×3, first 2 shown]
	;;#ASMSTART
	v_pk_mul_f32 v[18:19], v[12:13], v[18:19]
	;;#ASMEND
	;;#ASMSTART
	v_pk_mul_f32 v[32:33], v[14:15], v[20:21]
	;;#ASMEND
	;; [unrolled: 3-line block ×4, first 2 shown]
	v_cvt_f32_u32_sdwa v7, v2 dst_sel:DWORD dst_unused:UNUSED_PAD src0_sel:WORD_1
	v_cvt_f32_u32_sdwa v6, v2 dst_sel:DWORD dst_unused:UNUSED_PAD src0_sel:WORD_0
	v_cvt_f32_u32_sdwa v8, v3 dst_sel:DWORD dst_unused:UNUSED_PAD src0_sel:WORD_0
	v_cvt_f32_u32_sdwa v3, v4 dst_sel:DWORD dst_unused:UNUSED_PAD src0_sel:WORD_1
	v_cvt_f32_u32_sdwa v2, v4 dst_sel:DWORD dst_unused:UNUSED_PAD src0_sel:WORD_0
	v_cvt_f32_u32_sdwa v13, v5 dst_sel:DWORD dst_unused:UNUSED_PAD src0_sel:WORD_1
	v_cvt_f32_u32_sdwa v12, v5 dst_sel:DWORD dst_unused:UNUSED_PAD src0_sel:WORD_0
	;;#ASMSTART
	v_pk_mul_f32 v[30:31], v[30:31], v[6:7]
	;;#ASMEND
	;;#ASMSTART
	v_pk_mul_f32 v[28:29], v[28:29], v[8:9]
	;;#ASMEND
	;; [unrolled: 3-line block ×4, first 2 shown]
.LBB646_9:
	s_or_b64 exec, exec, s[8:9]
	s_load_dword s7, s[4:5], 0x80
	s_mov_b64 s[8:9], -1
	s_and_b64 vcc, exec, s[14:15]
	s_cbranch_vccnz .LBB646_13
; %bb.10:
	s_andn2_b64 vcc, exec, s[8:9]
	s_cbranch_vccz .LBB646_16
.LBB646_11:
	s_cmp_lt_i32 s20, 1
	s_cbranch_scc0 .LBB646_23
.LBB646_12:
	s_endpgm
.LBB646_13:
	s_and_saveexec_b64 s[14:15], s[2:3]
	s_cbranch_execz .LBB646_15
; %bb.14:
	s_waitcnt lgkmcnt(0)
	s_mul_hi_i32 s9, s7, s6
	s_mul_i32 s8, s7, s6
	s_lshl_b64 s[8:9], s[8:9], 1
	s_add_u32 s8, s28, s8
	s_addc_u32 s9, s29, s9
	s_mov_b32 s16, 0x7060302
	s_and_b32 s9, s9, 0xffff
	s_mov_b32 s11, 0x20000
	s_waitcnt vmcnt(0)
	v_perm_b32 v5, v25, v24, s16
	v_perm_b32 v4, v27, v26, s16
	;; [unrolled: 1-line block ×4, first 2 shown]
	v_lshlrev_b32_e32 v6, 5, v0
	buffer_store_dwordx4 v[2:5], v6, s[8:11], 0 offen
	;;#ASMSTART
	s_nop 0
	;;#ASMEND
	s_nop 0
	v_perm_b32 v5, v21, v20, s16
	v_perm_b32 v4, v23, v22, s16
	;; [unrolled: 1-line block ×4, first 2 shown]
	buffer_store_dwordx4 v[2:5], v6, s[8:11], 16 offen
	;;#ASMSTART
	s_nop 0
	;;#ASMEND
.LBB646_15:
	s_or_b64 exec, exec, s[14:15]
	s_cbranch_execnz .LBB646_11
.LBB646_16:
	s_waitcnt vmcnt(0)
	v_mov_b32_e32 v2, 0
	s_and_saveexec_b64 s[8:9], s[2:3]
	s_cbranch_execz .LBB646_18
; %bb.17:
	v_and_b32_e32 v2, 0x7fffffff, v18
	v_and_b32_e32 v3, 0x7fffffff, v19
	v_mov_b32_e32 v4, 0x2edbe6ff
	;;#ASMSTART
	v_max3_f32 v2, v4, v2, v3

	;;#ASMEND
	v_and_b32_e32 v3, 0x7fffffff, v32
	v_and_b32_e32 v4, 0x7fffffff, v33
	;;#ASMSTART
	v_max3_f32 v2, v2, v3, v4

	;;#ASMEND
	v_and_b32_e32 v3, 0x7fffffff, v26
	v_and_b32_e32 v4, 0x7fffffff, v27
	;; [unrolled: 6-line block ×7, first 2 shown]
	;;#ASMSTART
	v_max3_f32 v2, v2, v3, v4

	;;#ASMEND
.LBB646_18:
	s_or_b64 exec, exec, s[8:9]
	s_load_dwordx4 s[24:27], s[4:5], 0x70
	;;#ASMSTART
	v_max_f32 v3, v2, v2 quad_perm:[1,0,3,2] row_mask:0xf bank_mask:0xf bound_ctrl:1
	;;#ASMEND
	;;#ASMSTART
	v_max_f32 v2, v3, v3 quad_perm:[2,3,0,1] row_mask:0xf bank_mask:0xf bound_ctrl:1
	;;#ASMEND
	;;#ASMSTART
	v_max_f32 v3, v2, v2 row_half_mirror row_mask:0xf bank_mask:0xf bound_ctrl:1
	;;#ASMEND
	v_mul_f32_e32 v2, 0x3b124925, v3
	v_and_b32_e32 v3, 7, v0
	v_cmp_eq_u32_e32 vcc, 0, v3
	v_cmp_gt_i32_e64 s[8:9], s19, v1
	s_and_b64 s[10:11], vcc, s[8:9]
	s_and_saveexec_b64 s[8:9], s[10:11]
	s_cbranch_execz .LBB646_20
; %bb.19:
	s_load_dwordx2 s[10:11], s[4:5], 0x8
	s_waitcnt lgkmcnt(0)
	s_mul_hi_i32 s15, s25, s6
	s_mul_i32 s14, s25, s6
	v_lshrrev_b32_e32 v3, 3, v0
	s_lshl_b64 s[14:15], s[14:15], 2
	v_mad_i64_i32 v[4:5], s[26:27], s26, v3, 0
	s_add_u32 s10, s10, s14
	s_addc_u32 s11, s11, s15
	v_lshlrev_b64 v[4:5], 2, v[4:5]
	v_mov_b32_e32 v3, s11
	v_add_co_u32_e32 v4, vcc, s10, v4
	v_addc_co_u32_e32 v5, vcc, v3, v5, vcc
	global_store_dword v[4:5], v2, off
.LBB646_20:
	s_or_b64 exec, exec, s[8:9]
	;;#ASMSTART
	v_rcp_f32 v2, v2
	;;#ASMEND
	s_and_saveexec_b64 s[14:15], s[2:3]
	s_cbranch_execz .LBB646_22
; %bb.21:
	s_load_dwordx2 s[2:3], s[4:5], 0x0
	s_waitcnt lgkmcnt(0)
	s_mul_i32 s8, s24, s6
	s_mul_hi_i32 s9, s24, s6
	v_mov_b32_e32 v3, v2
	;;#ASMSTART
	v_pk_mul_f32 v[4:5], v[18:19], v[2:3]
	;;#ASMEND
	s_add_u32 s8, s2, s8
	s_addc_u32 s2, s3, s9
	s_add_i32 s3, s19, 3
	s_ashr_i32 s10, s3, 31
	v_mov_b32_e32 v10, 0xc3e00000
	v_mov_b32_e32 v11, 0x43e00000
	;;#ASMSTART
	v_med3_f32 v4, v4, v10, v11
v_med3_f32 v5, v5, v10, v11
v_cvt_pk_fp8_f32 v6, v4, v5
	;;#ASMEND
	s_and_b32 s9, s2, 0xffff
	s_lshr_b32 s2, s10, 30
	;;#ASMSTART
	v_pk_mul_f32 v[4:5], v[32:33], v[2:3]
	;;#ASMEND
	s_add_i32 s3, s3, s2
	;;#ASMSTART
	v_med3_f32 v4, v4, v10, v11
v_med3_f32 v5, v5, v10, v11
v_cvt_pk_fp8_f32 v7, v4, v5
	;;#ASMEND
	s_mov_b32 s2, 0x5040100
	v_perm_b32 v4, v7, v6, s2
	s_mov_b32 s2, 0x1060504
	v_perm_b32 v4, v4, v7, s2
	;;#ASMSTART
	v_pk_mul_f32 v[6:7], v[26:27], v[2:3]
	;;#ASMEND
	v_mov_b32_e32 v5, v7
	;;#ASMSTART
	v_med3_f32 v6, v6, v10, v11
v_med3_f32 v5, v5, v10, v11
v_cvt_pk_fp8_f32 v8, v6, v5
	;;#ASMEND
	;;#ASMSTART
	v_pk_mul_f32 v[6:7], v[24:25], v[2:3]
	;;#ASMEND
	v_mov_b32_e32 v5, v7
	;;#ASMSTART
	v_med3_f32 v6, v6, v10, v11
v_med3_f32 v5, v5, v10, v11
v_cvt_pk_fp8_f32 v7, v6, v5
	;;#ASMEND
	s_mov_b32 s2, 0x1000504
	v_perm_b32 v5, v8, v7, s2
	;;#ASMSTART
	v_pk_mul_f32 v[6:7], v[30:31], v[2:3]
	;;#ASMEND
	;;#ASMSTART
	v_med3_f32 v6, v6, v10, v11
v_med3_f32 v7, v7, v10, v11
v_cvt_pk_fp8_f32 v8, v6, v7
	;;#ASMEND
	;;#ASMSTART
	v_pk_mul_f32 v[6:7], v[28:29], v[2:3]
	;;#ASMEND
	;;#ASMSTART
	v_med3_f32 v6, v6, v10, v11
v_med3_f32 v7, v7, v10, v11
v_cvt_pk_fp8_f32 v9, v6, v7
	;;#ASMEND
	v_perm_b32 v6, v8, v9, s2
	;;#ASMSTART
	v_pk_mul_f32 v[8:9], v[22:23], v[2:3]
	;;#ASMEND
	v_mov_b32_e32 v7, v9
	;;#ASMSTART
	v_med3_f32 v8, v8, v10, v11
v_med3_f32 v7, v7, v10, v11
v_cvt_pk_fp8_f32 v9, v8, v7
	;;#ASMEND
	;;#ASMSTART
	v_pk_mul_f32 v[2:3], v[20:21], v[2:3]
	;;#ASMEND
	;;#ASMSTART
	v_med3_f32 v2, v2, v10, v11
v_med3_f32 v3, v3, v10, v11
v_cvt_pk_fp8_f32 v7, v2, v3
	;;#ASMEND
	s_and_b32 s10, s3, -4
	s_mov_b32 s11, 0x20000
	v_perm_b32 v7, v9, v7, s2
	buffer_store_dwordx4 v[4:7], v1, s[8:11], 0 offen
	;;#ASMSTART
	s_nop 0
	;;#ASMEND
.LBB646_22:
	s_or_b64 exec, exec, s[14:15]
	s_cmp_lt_i32 s20, 1
	s_cbranch_scc1 .LBB646_12
.LBB646_23:
	s_load_dword s2, s[4:5], 0x94
	s_waitcnt lgkmcnt(0)
	s_cmp_lg_u32 s2, 1
	s_cbranch_scc1 .LBB646_12
; %bb.24:
	s_lshl_b32 s2, s20, 1
	s_add_i32 s2, s2, 2
	v_cmp_gt_u32_e32 vcc, s20, v1
	s_and_b32 s14, s2, -4
	v_mov_b32_e32 v18, 0
	v_lshlrev_b32_e32 v1, 5, v0
	v_mov_b32_e32 v14, 0
	v_mov_b32_e32 v15, 0
	;; [unrolled: 1-line block ×8, first 2 shown]
	s_waitcnt vmcnt(1)
	v_mov_b32_e32 v6, 0
	v_mov_b32_e32 v7, 0
	;; [unrolled: 1-line block ×4, first 2 shown]
	s_waitcnt vmcnt(0)
	v_mov_b32_e32 v2, 0
	v_mov_b32_e32 v3, 0
	;; [unrolled: 1-line block ×4, first 2 shown]
	s_barrier
	s_and_saveexec_b64 s[2:3], vcc
	s_cbranch_execz .LBB646_26
; %bb.25:
	s_mul_hi_i32 s5, s22, s6
	s_mul_i32 s4, s22, s6
	s_and_b32 s13, s13, 0xffff
	s_lshl_b64 s[4:5], s[4:5], 1
	s_add_u32 s8, s30, s4
	s_mov_b32 s15, 0x20000
	s_addc_u32 s4, s31, s5
	s_and_b32 s9, s4, 0xffff
	s_mov_b32 s10, s14
	s_mov_b32 s11, s15
	buffer_load_dwordx4 v[14:17], v1, s[8:11], 0 offen
	buffer_load_dwordx4 v[10:13], v1, s[8:11], 16 offen
	;; [unrolled: 1-line block ×4, first 2 shown]
.LBB646_26:
	s_or_b64 exec, exec, s[2:3]
	v_mov_b32_e32 v19, 0
	v_mov_b32_e32 v32, 0
	;; [unrolled: 1-line block ×15, first 2 shown]
	s_and_saveexec_b64 s[2:3], vcc
	s_cbranch_execz .LBB646_28
; %bb.27:
	s_waitcnt vmcnt(3)
	v_cvt_f32_u32_sdwa v18, v14 dst_sel:DWORD dst_unused:UNUSED_PAD src0_sel:WORD_0
	v_cvt_f32_u32_sdwa v19, v14 dst_sel:DWORD dst_unused:UNUSED_PAD src0_sel:WORD_1
	v_cvt_f32_u32_sdwa v32, v15 dst_sel:DWORD dst_unused:UNUSED_PAD src0_sel:WORD_0
	v_cvt_f32_u32_sdwa v33, v15 dst_sel:DWORD dst_unused:UNUSED_PAD src0_sel:WORD_1
	;; [unrolled: 2-line block ×4, first 2 shown]
	s_waitcnt vmcnt(2)
	v_cvt_f32_u32_sdwa v26, v10 dst_sel:DWORD dst_unused:UNUSED_PAD src0_sel:WORD_0
	v_cvt_f32_u32_sdwa v27, v10 dst_sel:DWORD dst_unused:UNUSED_PAD src0_sel:WORD_1
	v_cvt_f32_u32_sdwa v24, v11 dst_sel:DWORD dst_unused:UNUSED_PAD src0_sel:WORD_0
	v_cvt_f32_u32_sdwa v25, v11 dst_sel:DWORD dst_unused:UNUSED_PAD src0_sel:WORD_1
	;; [unrolled: 2-line block ×4, first 2 shown]
.LBB646_28:
	s_or_b64 exec, exec, s[2:3]
	s_waitcnt vmcnt(2)
	v_mul_f32_e32 v10, v19, v19
	v_fmac_f32_e32 v10, v18, v18
	v_fmac_f32_e32 v10, v32, v32
	;; [unrolled: 1-line block ×15, first 2 shown]
	s_nop 1
	v_mov_b32_dpp v11, v10 quad_perm:[1,0,3,2] row_mask:0xf bank_mask:0xf
	v_add_f32_e32 v10, v10, v11
	s_nop 1
	v_mov_b32_dpp v11, v10 quad_perm:[2,3,0,1] row_mask:0xf bank_mask:0xf
	v_add_f32_e32 v10, v10, v11
	s_nop 1
	v_mov_b32_dpp v11, v10 row_half_mirror row_mask:0xf bank_mask:0xf
	v_add_f32_e32 v10, v10, v11
	s_nop 1
	v_mov_b32_dpp v11, v10 row_mirror row_mask:0xf bank_mask:0xf
	v_add_f32_e32 v10, v10, v11
	s_nop 1
	v_mov_b32_dpp v11, v10 row_bcast:15 row_mask:0xf bank_mask:0xf
	v_add_f32_e32 v10, v10, v11
	s_nop 1
	v_mov_b32_dpp v11, v10 row_bcast:31 row_mask:0xf bank_mask:0xf
	s_and_saveexec_b64 s[2:3], s[0:1]
	s_cbranch_execz .LBB646_30
; %bb.29:
	v_lshrrev_b32_e32 v0, 4, v0
	v_add_f32_e32 v10, v10, v11
	v_and_b32_e32 v0, 60, v0
	ds_write_b32 v0, v10
.LBB646_30:
	s_or_b64 exec, exec, s[2:3]
	s_waitcnt lgkmcnt(0)
	s_barrier
	ds_read_b32 v0, v34
	s_waitcnt lgkmcnt(0)
	s_nop 0
	v_mov_b32_dpp v10, v0 quad_perm:[1,0,3,2] row_mask:0xf bank_mask:0xf
	s_and_saveexec_b64 s[0:1], vcc
	s_cbranch_execz .LBB646_12
; %bb.31:
	v_cvt_f32_u32_e32 v11, s20
	v_add_f32_e32 v0, v0, v10
	s_mov_b32 s15, 0x20000
	v_div_scale_f32 v10, s[0:1], v11, v11, v0
	v_rcp_f32_e32 v12, v10
	v_div_scale_f32 v13, vcc, v0, v11, v0
	s_mov_b32 s0, 0x800000
	v_fma_f32 v14, -v10, v12, 1.0
	v_fmac_f32_e32 v12, v14, v12
	v_mul_f32_e32 v14, v13, v12
	v_fma_f32 v15, -v10, v14, v13
	v_fmac_f32_e32 v14, v15, v12
	v_fma_f32 v10, -v10, v14, v13
	v_div_fmas_f32 v10, v10, v12, v14
	v_div_fixup_f32 v0, v10, v11, v0
	v_add_f32_e32 v0, s17, v0
	v_mul_f32_e32 v10, 0x4b800000, v0
	v_cmp_gt_f32_e32 vcc, s0, v0
	v_cndmask_b32_e32 v0, v0, v10, vcc
	v_rsq_f32_e32 v0, v0
	s_mul_hi_i32 s1, s7, s6
	s_mul_i32 s0, s7, s6
	s_lshl_b64 s[0:1], s[0:1], 1
	v_mul_f32_e32 v10, 0x45800000, v0
	v_cndmask_b32_e32 v10, v0, v10, vcc
	v_mov_b32_e32 v11, v10
	s_add_u32 s12, s28, s0
	;;#ASMSTART
	v_pk_mul_f32 v[12:13], v[18:19], v[10:11]
	;;#ASMEND
	;;#ASMSTART
	v_pk_mul_f32 v[14:15], v[32:33], v[10:11]
	;;#ASMEND
	;; [unrolled: 3-line block ×8, first 2 shown]
	s_waitcnt vmcnt(1)
	v_cvt_f32_u32_sdwa v21, v6 dst_sel:DWORD dst_unused:UNUSED_PAD src0_sel:WORD_1
	v_cvt_f32_u32_sdwa v20, v6 dst_sel:DWORD dst_unused:UNUSED_PAD src0_sel:WORD_0
	v_cvt_f32_u32_sdwa v29, v7 dst_sel:DWORD dst_unused:UNUSED_PAD src0_sel:WORD_1
	v_cvt_f32_u32_sdwa v28, v7 dst_sel:DWORD dst_unused:UNUSED_PAD src0_sel:WORD_0
	;; [unrolled: 2-line block ×3, first 2 shown]
	s_addc_u32 s0, s29, s1
	v_cvt_f32_u32_sdwa v31, v9 dst_sel:DWORD dst_unused:UNUSED_PAD src0_sel:WORD_1
	v_cvt_f32_u32_sdwa v30, v9 dst_sel:DWORD dst_unused:UNUSED_PAD src0_sel:WORD_0
	;;#ASMSTART
	v_pk_mul_f32 v[8:9], v[12:13], v[20:21]
	;;#ASMEND
	;;#ASMSTART
	v_pk_mul_f32 v[12:13], v[14:15], v[28:29]
	;;#ASMEND
	;; [unrolled: 3-line block ×4, first 2 shown]
	s_waitcnt vmcnt(0)
	v_cvt_f32_u32_sdwa v17, v2 dst_sel:DWORD dst_unused:UNUSED_PAD src0_sel:WORD_1
	v_cvt_f32_u32_sdwa v16, v2 dst_sel:DWORD dst_unused:UNUSED_PAD src0_sel:WORD_0
	v_cvt_f32_u32_sdwa v19, v3 dst_sel:DWORD dst_unused:UNUSED_PAD src0_sel:WORD_1
	v_cvt_f32_u32_sdwa v18, v3 dst_sel:DWORD dst_unused:UNUSED_PAD src0_sel:WORD_0
	;; [unrolled: 2-line block ×3, first 2 shown]
	s_and_b32 s13, s0, 0xffff
	s_mov_b32 s0, 0x7060302
	v_cvt_f32_u32_sdwa v21, v5 dst_sel:DWORD dst_unused:UNUSED_PAD src0_sel:WORD_1
	v_cvt_f32_u32_sdwa v20, v5 dst_sel:DWORD dst_unused:UNUSED_PAD src0_sel:WORD_0
	;;#ASMSTART
	v_pk_mul_f32 v[16:17], v[26:27], v[16:17]
	;;#ASMEND
	;;#ASMSTART
	v_pk_mul_f32 v[18:19], v[24:25], v[18:19]
	;;#ASMEND
	;; [unrolled: 3-line block ×3, first 2 shown]
	v_perm_b32 v2, v9, v8, s0
	v_perm_b32 v3, v13, v12, s0
	;; [unrolled: 1-line block ×4, first 2 shown]
	;;#ASMSTART
	v_pk_mul_f32 v[10:11], v[10:11], v[20:21]
	;;#ASMEND
	buffer_store_dwordx4 v[2:5], v1, s[12:15], 0 offen
	;;#ASMSTART
	s_nop 0
	;;#ASMEND
	s_nop 0
	v_perm_b32 v2, v17, v16, s0
	v_perm_b32 v3, v19, v18, s0
	;; [unrolled: 1-line block ×4, first 2 shown]
	buffer_store_dwordx4 v[2:5], v1, s[12:15], 16 offen
	;;#ASMSTART
	s_nop 0
	;;#ASMEND
	s_endpgm
	.section	.rodata,"a",@progbits
	.p2align	6, 0x0
	.amdhsa_kernel _ZN5aiter35fused_qk_rmsnorm_group_quant_kernelItDB8_Li128ELi16ELi8ELb0ELb0ELb0ELb0ELb0ELb0EEEvPT0_PvPT_S6_S6_PKS5_S8_S8_S8_S8_ffiiiiiiiiiiiii
		.amdhsa_group_segment_fixed_size 16
		.amdhsa_private_segment_fixed_size 0
		.amdhsa_kernarg_size 400
		.amdhsa_user_sgpr_count 6
		.amdhsa_user_sgpr_private_segment_buffer 1
		.amdhsa_user_sgpr_dispatch_ptr 0
		.amdhsa_user_sgpr_queue_ptr 0
		.amdhsa_user_sgpr_kernarg_segment_ptr 1
		.amdhsa_user_sgpr_dispatch_id 0
		.amdhsa_user_sgpr_flat_scratch_init 0
		.amdhsa_user_sgpr_kernarg_preload_length 0
		.amdhsa_user_sgpr_kernarg_preload_offset 0
		.amdhsa_user_sgpr_private_segment_size 0
		.amdhsa_uses_dynamic_stack 0
		.amdhsa_system_sgpr_private_segment_wavefront_offset 0
		.amdhsa_system_sgpr_workgroup_id_x 1
		.amdhsa_system_sgpr_workgroup_id_y 1
		.amdhsa_system_sgpr_workgroup_id_z 0
		.amdhsa_system_sgpr_workgroup_info 0
		.amdhsa_system_vgpr_workitem_id 0
		.amdhsa_next_free_vgpr 38
		.amdhsa_next_free_sgpr 32
		.amdhsa_accum_offset 40
		.amdhsa_reserve_vcc 1
		.amdhsa_reserve_flat_scratch 0
		.amdhsa_float_round_mode_32 0
		.amdhsa_float_round_mode_16_64 0
		.amdhsa_float_denorm_mode_32 3
		.amdhsa_float_denorm_mode_16_64 3
		.amdhsa_dx10_clamp 1
		.amdhsa_ieee_mode 1
		.amdhsa_fp16_overflow 0
		.amdhsa_tg_split 0
		.amdhsa_exception_fp_ieee_invalid_op 0
		.amdhsa_exception_fp_denorm_src 0
		.amdhsa_exception_fp_ieee_div_zero 0
		.amdhsa_exception_fp_ieee_overflow 0
		.amdhsa_exception_fp_ieee_underflow 0
		.amdhsa_exception_fp_ieee_inexact 0
		.amdhsa_exception_int_div_zero 0
	.end_amdhsa_kernel
	.section	.text._ZN5aiter35fused_qk_rmsnorm_group_quant_kernelItDB8_Li128ELi16ELi8ELb0ELb0ELb0ELb0ELb0ELb0EEEvPT0_PvPT_S6_S6_PKS5_S8_S8_S8_S8_ffiiiiiiiiiiiii,"axG",@progbits,_ZN5aiter35fused_qk_rmsnorm_group_quant_kernelItDB8_Li128ELi16ELi8ELb0ELb0ELb0ELb0ELb0ELb0EEEvPT0_PvPT_S6_S6_PKS5_S8_S8_S8_S8_ffiiiiiiiiiiiii,comdat
.Lfunc_end646:
	.size	_ZN5aiter35fused_qk_rmsnorm_group_quant_kernelItDB8_Li128ELi16ELi8ELb0ELb0ELb0ELb0ELb0ELb0EEEvPT0_PvPT_S6_S6_PKS5_S8_S8_S8_S8_ffiiiiiiiiiiiii, .Lfunc_end646-_ZN5aiter35fused_qk_rmsnorm_group_quant_kernelItDB8_Li128ELi16ELi8ELb0ELb0ELb0ELb0ELb0ELb0EEEvPT0_PvPT_S6_S6_PKS5_S8_S8_S8_S8_ffiiiiiiiiiiiii
                                        ; -- End function
	.section	.AMDGPU.csdata,"",@progbits
; Kernel info:
; codeLenInByte = 3420
; NumSgprs: 36
; NumVgprs: 38
; NumAgprs: 0
; TotalNumVgprs: 38
; ScratchSize: 0
; MemoryBound: 0
; FloatMode: 240
; IeeeMode: 1
; LDSByteSize: 16 bytes/workgroup (compile time only)
; SGPRBlocks: 4
; VGPRBlocks: 4
; NumSGPRsForWavesPerEU: 36
; NumVGPRsForWavesPerEU: 38
; AccumOffset: 40
; Occupancy: 8
; WaveLimiterHint : 0
; COMPUTE_PGM_RSRC2:SCRATCH_EN: 0
; COMPUTE_PGM_RSRC2:USER_SGPR: 6
; COMPUTE_PGM_RSRC2:TRAP_HANDLER: 0
; COMPUTE_PGM_RSRC2:TGID_X_EN: 1
; COMPUTE_PGM_RSRC2:TGID_Y_EN: 1
; COMPUTE_PGM_RSRC2:TGID_Z_EN: 0
; COMPUTE_PGM_RSRC2:TIDIG_COMP_CNT: 0
; COMPUTE_PGM_RSRC3_GFX90A:ACCUM_OFFSET: 9
; COMPUTE_PGM_RSRC3_GFX90A:TG_SPLIT: 0
	.section	.text._ZN5aiter35fused_qk_rmsnorm_group_quant_kernelIDF16_N4opus5fp4_tELi128ELi16ELi8ELb0ELb0ELb0ELb0ELb0ELb0EEEvPT0_PvPT_S7_S7_PKS6_S9_S9_S9_S9_ffiiiiiiiiiiiii,"axG",@progbits,_ZN5aiter35fused_qk_rmsnorm_group_quant_kernelIDF16_N4opus5fp4_tELi128ELi16ELi8ELb0ELb0ELb0ELb0ELb0ELb0EEEvPT0_PvPT_S7_S7_PKS6_S9_S9_S9_S9_ffiiiiiiiiiiiii,comdat
	.protected	_ZN5aiter35fused_qk_rmsnorm_group_quant_kernelIDF16_N4opus5fp4_tELi128ELi16ELi8ELb0ELb0ELb0ELb0ELb0ELb0EEEvPT0_PvPT_S7_S7_PKS6_S9_S9_S9_S9_ffiiiiiiiiiiiii ; -- Begin function _ZN5aiter35fused_qk_rmsnorm_group_quant_kernelIDF16_N4opus5fp4_tELi128ELi16ELi8ELb0ELb0ELb0ELb0ELb0ELb0EEEvPT0_PvPT_S7_S7_PKS6_S9_S9_S9_S9_ffiiiiiiiiiiiii
	.globl	_ZN5aiter35fused_qk_rmsnorm_group_quant_kernelIDF16_N4opus5fp4_tELi128ELi16ELi8ELb0ELb0ELb0ELb0ELb0ELb0EEEvPT0_PvPT_S7_S7_PKS6_S9_S9_S9_S9_ffiiiiiiiiiiiii
	.p2align	8
	.type	_ZN5aiter35fused_qk_rmsnorm_group_quant_kernelIDF16_N4opus5fp4_tELi128ELi16ELi8ELb0ELb0ELb0ELb0ELb0ELb0EEEvPT0_PvPT_S7_S7_PKS6_S9_S9_S9_S9_ffiiiiiiiiiiiii,@function
_ZN5aiter35fused_qk_rmsnorm_group_quant_kernelIDF16_N4opus5fp4_tELi128ELi16ELi8ELb0ELb0ELb0ELb0ELb0ELb0EEEvPT0_PvPT_S7_S7_PKS6_S9_S9_S9_S9_ffiiiiiiiiiiiii: ; @_ZN5aiter35fused_qk_rmsnorm_group_quant_kernelIDF16_N4opus5fp4_tELi128ELi16ELi8ELb0ELb0ELb0ELb0ELb0ELb0EEEvPT0_PvPT_S7_S7_PKS6_S9_S9_S9_S9_ffiiiiiiiiiiiii
; %bb.0:
	s_load_dwordx4 s[16:19], s[4:5], 0x50
	s_waitcnt lgkmcnt(0)
	s_cmp_ge_i32 s6, s18
	s_cbranch_scc1 .LBB647_12
; %bb.1:
	s_load_dwordx2 s[12:13], s[4:5], 0x48
	s_load_dwordx2 s[30:31], s[4:5], 0x30
	s_load_dwordx4 s[20:23], s[4:5], 0x60
	s_cmp_lg_u32 s7, 0
	s_cselect_b64 s[14:15], -1, 0
	s_cmp_eq_u32 s7, 0
	s_cselect_b64 vcc, -1, 0
	s_and_b64 s[0:1], vcc, exec
	s_waitcnt lgkmcnt(0)
	s_cselect_b32 s7, s19, s20
	s_add_i32 s0, s7, 1
	s_lshr_b32 s1, s0, 31
	s_add_i32 s0, s0, s1
	s_lshl_b32 s0, s0, 1
	v_lshlrev_b32_e32 v1, 4, v0
	s_and_b32 s10, s0, -4
	v_cmp_gt_i32_e64 s[2:3], s7, v1
	v_mov_b32_e32 v18, 0
	v_mov_b32_e32 v6, 0
	;; [unrolled: 1-line block ×17, first 2 shown]
	s_and_saveexec_b64 s[0:1], s[2:3]
	s_cbranch_execz .LBB647_3
; %bb.2:
	s_load_dwordx2 s[8:9], s[4:5], 0x28
	s_load_dwordx2 s[26:27], s[4:5], 0x40
	s_and_b64 s[24:25], vcc, exec
	s_cselect_b32 s11, s21, s22
	v_lshlrev_b32_e32 v19, 5, v0
	s_waitcnt lgkmcnt(0)
	s_cselect_b32 s18, s9, s31
	s_cselect_b32 s21, s8, s30
	s_mul_hi_i32 s9, s11, s6
	s_mul_i32 s8, s11, s6
	s_lshl_b64 s[8:9], s[8:9], 1
	s_add_u32 s24, s21, s8
	s_addc_u32 s18, s18, s9
	s_and_b64 s[8:9], vcc, exec
	s_mov_b32 s11, 0x20000
	s_cselect_b32 s8, s26, s12
	s_cselect_b32 s9, s27, s13
	s_and_b32 s25, s18, 0xffff
	s_mov_b32 s26, s10
	s_mov_b32 s27, s11
	s_and_b32 s9, s9, 0xffff
	buffer_load_dwordx4 v[14:17], v19, s[24:27], 0 offen
	buffer_load_dwordx4 v[10:13], v19, s[24:27], 16 offen
	;; [unrolled: 1-line block ×4, first 2 shown]
.LBB647_3:
	s_or_b64 exec, exec, s[0:1]
	v_mov_b32_e32 v19, 0
	v_mov_b32_e32 v24, 0
	;; [unrolled: 1-line block ×15, first 2 shown]
	s_and_saveexec_b64 s[0:1], s[2:3]
	s_cbranch_execz .LBB647_5
; %bb.4:
	s_waitcnt vmcnt(3)
	v_cvt_f32_f16_sdwa v19, v14 dst_sel:DWORD dst_unused:UNUSED_PAD src0_sel:WORD_1
	v_cvt_f32_f16_e32 v18, v14
	v_cvt_f32_f16_sdwa v25, v15 dst_sel:DWORD dst_unused:UNUSED_PAD src0_sel:WORD_1
	v_cvt_f32_f16_e32 v24, v15
	;; [unrolled: 2-line block ×4, first 2 shown]
	s_waitcnt vmcnt(2)
	v_cvt_f32_f16_sdwa v33, v10 dst_sel:DWORD dst_unused:UNUSED_PAD src0_sel:WORD_1
	v_cvt_f32_f16_e32 v32, v10
	v_cvt_f32_f16_sdwa v31, v11 dst_sel:DWORD dst_unused:UNUSED_PAD src0_sel:WORD_1
	v_cvt_f32_f16_e32 v30, v11
	;; [unrolled: 2-line block ×4, first 2 shown]
.LBB647_5:
	s_or_b64 exec, exec, s[0:1]
	s_waitcnt vmcnt(2)
	v_mul_f32_e32 v10, v19, v19
	v_fmac_f32_e32 v10, v18, v18
	v_fmac_f32_e32 v10, v24, v24
	;; [unrolled: 1-line block ×15, first 2 shown]
	v_and_b32_e32 v12, 63, v0
	v_cmp_eq_u32_e64 s[0:1], 63, v12
	v_mov_b32_dpp v11, v10 quad_perm:[1,0,3,2] row_mask:0xf bank_mask:0xf
	v_add_f32_e32 v10, v10, v11
	s_nop 1
	v_mov_b32_dpp v11, v10 quad_perm:[2,3,0,1] row_mask:0xf bank_mask:0xf
	v_add_f32_e32 v10, v10, v11
	s_nop 1
	v_mov_b32_dpp v11, v10 row_half_mirror row_mask:0xf bank_mask:0xf
	v_add_f32_e32 v10, v10, v11
	s_nop 1
	v_mov_b32_dpp v11, v10 row_mirror row_mask:0xf bank_mask:0xf
	v_add_f32_e32 v10, v10, v11
	s_nop 1
	v_mov_b32_dpp v11, v10 row_bcast:15 row_mask:0xf bank_mask:0xf
	v_add_f32_e32 v10, v10, v11
	s_nop 1
	v_mov_b32_dpp v11, v10 row_bcast:31 row_mask:0xf bank_mask:0xf
	s_and_saveexec_b64 s[8:9], s[0:1]
	s_cbranch_execz .LBB647_7
; %bb.6:
	v_add_f32_e32 v10, v10, v11
	v_lshrrev_b32_e32 v11, 4, v0
	v_and_b32_e32 v11, 60, v11
	ds_write_b32 v11, v10 offset:8
.LBB647_7:
	s_or_b64 exec, exec, s[8:9]
	v_and_b32_e32 v10, 1, v0
	v_lshlrev_b32_e32 v34, 2, v10
	s_waitcnt lgkmcnt(0)
	s_barrier
	ds_read_b32 v10, v34 offset:8
	s_load_dwordx2 s[28:29], s[4:5], 0x18
	s_waitcnt lgkmcnt(0)
	v_mov_b32_dpp v11, v10 quad_perm:[1,0,3,2] row_mask:0xf bank_mask:0xf
	s_and_saveexec_b64 s[8:9], s[2:3]
	s_cbranch_execz .LBB647_9
; %bb.8:
	v_cvt_f32_u32_e32 v12, s7
	v_add_f32_e32 v10, v10, v11
	v_mov_b32_e32 v14, s17
	v_mov_b32_e32 v15, s16
	v_div_scale_f32 v11, s[24:25], v12, v12, v10
	v_rcp_f32_e32 v13, v11
	v_cndmask_b32_e32 v14, v14, v15, vcc
	s_mov_b32 s7, 0x800000
	v_fma_f32 v15, -v11, v13, 1.0
	v_fmac_f32_e32 v13, v15, v13
	v_div_scale_f32 v15, vcc, v10, v12, v10
	v_mul_f32_e32 v16, v15, v13
	v_fma_f32 v17, -v11, v16, v15
	v_fmac_f32_e32 v16, v17, v13
	v_fma_f32 v11, -v11, v16, v15
	v_div_fmas_f32 v11, v11, v13, v16
	v_div_fixup_f32 v10, v11, v12, v10
	v_add_f32_e32 v10, v14, v10
	v_mul_f32_e32 v11, 0x4b800000, v10
	v_cmp_gt_f32_e32 vcc, s7, v10
	v_cndmask_b32_e32 v10, v10, v11, vcc
	v_rsq_f32_e32 v10, v10
	v_mul_f32_e32 v11, 0x45800000, v10
	v_cndmask_b32_e32 v10, v10, v11, vcc
	v_mov_b32_e32 v11, v10
	;;#ASMSTART
	v_pk_mul_f32 v[12:13], v[18:19], v[10:11]
	;;#ASMEND
	;;#ASMSTART
	v_pk_mul_f32 v[14:15], v[24:25], v[10:11]
	;;#ASMEND
	;; [unrolled: 3-line block ×8, first 2 shown]
	s_waitcnt vmcnt(1)
	v_cvt_f32_f16_sdwa v19, v6 dst_sel:DWORD dst_unused:UNUSED_PAD src0_sel:WORD_1
	v_cvt_f32_f16_e32 v18, v6
	v_cvt_f32_f16_sdwa v21, v7 dst_sel:DWORD dst_unused:UNUSED_PAD src0_sel:WORD_1
	v_cvt_f32_f16_e32 v20, v7
	;; [unrolled: 2-line block ×4, first 2 shown]
	;;#ASMSTART
	v_pk_mul_f32 v[18:19], v[12:13], v[18:19]
	;;#ASMEND
	;;#ASMSTART
	v_pk_mul_f32 v[24:25], v[14:15], v[20:21]
	;;#ASMEND
	;; [unrolled: 3-line block ×4, first 2 shown]
	s_waitcnt vmcnt(0)
	v_cvt_f32_f16_sdwa v7, v2 dst_sel:DWORD dst_unused:UNUSED_PAD src0_sel:WORD_1
	v_cvt_f32_f16_e32 v6, v2
	v_cvt_f32_f16_sdwa v9, v3 dst_sel:DWORD dst_unused:UNUSED_PAD src0_sel:WORD_1
	v_cvt_f32_f16_e32 v8, v3
	;; [unrolled: 2-line block ×4, first 2 shown]
	;;#ASMSTART
	v_pk_mul_f32 v[32:33], v[32:33], v[6:7]
	;;#ASMEND
	;;#ASMSTART
	v_pk_mul_f32 v[30:31], v[30:31], v[8:9]
	;;#ASMEND
	;; [unrolled: 3-line block ×4, first 2 shown]
.LBB647_9:
	s_or_b64 exec, exec, s[8:9]
	s_load_dword s7, s[4:5], 0x80
	s_mov_b64 s[8:9], -1
	s_and_b64 vcc, exec, s[14:15]
	s_cbranch_vccnz .LBB647_13
; %bb.10:
	s_andn2_b64 vcc, exec, s[8:9]
	s_cbranch_vccz .LBB647_16
.LBB647_11:
	s_cmp_lt_i32 s20, 1
	s_cbranch_scc0 .LBB647_23
.LBB647_12:
	s_endpgm
.LBB647_13:
	s_and_saveexec_b64 s[14:15], s[2:3]
	s_cbranch_execz .LBB647_15
; %bb.14:
	s_waitcnt lgkmcnt(0)
	s_mul_hi_i32 s9, s7, s6
	s_mul_i32 s8, s7, s6
	s_waitcnt vmcnt(0)
	v_cvt_f16_f32_e32 v2, v18
	v_cvt_f16_f32_e32 v3, v24
	;; [unrolled: 1-line block ×8, first 2 shown]
	s_lshl_b64 s[8:9], s[8:9], 1
	s_add_u32 s8, s28, s8
	s_addc_u32 s9, s29, s9
	s_and_b32 s9, s9, 0xffff
	s_mov_b32 s11, 0x20000
	v_pack_b32_f16 v5, v5, v6
	v_pack_b32_f16 v4, v4, v7
	;; [unrolled: 1-line block ×4, first 2 shown]
	v_lshlrev_b32_e32 v6, 5, v0
	buffer_store_dwordx4 v[2:5], v6, s[8:11], 0 offen
	v_cvt_f16_f32_e32 v7, v29
	v_cvt_f16_f32_e32 v2, v32
	;; [unrolled: 1-line block ×8, first 2 shown]
	v_pack_b32_f16 v5, v5, v7
	v_pack_b32_f16 v4, v4, v8
	;; [unrolled: 1-line block ×4, first 2 shown]
	;;#ASMSTART
	s_nop 0
	;;#ASMEND
	buffer_store_dwordx4 v[2:5], v6, s[8:11], 16 offen
	;;#ASMSTART
	s_nop 0
	;;#ASMEND
.LBB647_15:
	s_or_b64 exec, exec, s[14:15]
	s_cbranch_execnz .LBB647_11
.LBB647_16:
	s_waitcnt vmcnt(0)
	v_mov_b32_e32 v2, 0
	s_and_saveexec_b64 s[8:9], s[2:3]
	s_cbranch_execz .LBB647_18
; %bb.17:
	v_and_b32_e32 v2, 0x7fffffff, v18
	v_and_b32_e32 v3, 0x7fffffff, v19
	v_mov_b32_e32 v4, 0x2edbe6ff
	;;#ASMSTART
	v_max3_f32 v2, v4, v2, v3

	;;#ASMEND
	v_and_b32_e32 v3, 0x7fffffff, v24
	v_and_b32_e32 v4, 0x7fffffff, v25
	;;#ASMSTART
	v_max3_f32 v2, v2, v3, v4

	;;#ASMEND
	v_and_b32_e32 v3, 0x7fffffff, v20
	v_and_b32_e32 v4, 0x7fffffff, v21
	;; [unrolled: 6-line block ×7, first 2 shown]
	;;#ASMSTART
	v_max3_f32 v2, v2, v3, v4

	;;#ASMEND
.LBB647_18:
	s_or_b64 exec, exec, s[8:9]
	s_load_dwordx4 s[24:27], s[4:5], 0x70
	;;#ASMSTART
	v_max_f32 v3, v2, v2 quad_perm:[1,0,3,2] row_mask:0xf bank_mask:0xf bound_ctrl:1
	;;#ASMEND
	;;#ASMSTART
	v_max_f32 v4, v3, v3 quad_perm:[2,3,0,1] row_mask:0xf bank_mask:0xf bound_ctrl:1
	;;#ASMEND
	v_and_b32_e32 v3, 7, v0
	v_cmp_eq_u32_e32 vcc, 0, v3
	v_cmp_gt_i32_e64 s[8:9], s19, v1
	s_and_b64 s[10:11], vcc, s[8:9]
	;;#ASMSTART
	v_max_f32 v2, v4, v4 row_half_mirror row_mask:0xf bank_mask:0xf bound_ctrl:1
	;;#ASMEND
	s_and_saveexec_b64 s[8:9], s[10:11]
	s_cbranch_execz .LBB647_20
; %bb.19:
	s_load_dwordx2 s[10:11], s[4:5], 0x8
	v_mul_f32_e32 v2, 0x3e2aaaab, v2
	v_lshrrev_b32_e32 v3, 23, v2
	v_and_b32_e32 v4, 0x7f800000, v2
	v_and_b32_e32 v2, 0x7fffff, v2
	v_cmp_ne_u32_e32 vcc, 0, v2
	s_waitcnt lgkmcnt(0)
	s_mul_i32 s16, s25, s6
	s_mov_b32 s14, 0x7f800000
	v_addc_co_u32_e32 v2, vcc, 0, v3, vcc
	s_mul_hi_i32 s15, s25, s6
	s_add_u32 s10, s10, s16
	v_cmp_ne_u32_e32 vcc, s14, v4
	s_addc_u32 s11, s11, s15
	v_lshrrev_b32_e32 v5, 3, v0
	v_cndmask_b32_e32 v4, -1, v2, vcc
	v_pk_mov_b32 v[2:3], s[10:11], s[10:11] op_sel:[0,1]
	v_mad_i64_i32 v[2:3], s[10:11], s26, v5, v[2:3]
	global_store_byte v[2:3], v4, off
.LBB647_20:
	s_or_b64 exec, exec, s[8:9]
	s_and_saveexec_b64 s[8:9], s[2:3]
	s_cbranch_execz .LBB647_22
; %bb.21:
	s_load_dwordx2 s[2:3], s[4:5], 0x0
	s_waitcnt lgkmcnt(0)
	s_mul_i32 s11, s24, s6
	s_mul_hi_i32 s10, s24, s6
	v_mov_b32_e32 v2, 0
	v_lshlrev_b32_e32 v4, 3, v0
	s_add_u32 s24, s2, s11
	s_addc_u32 s2, s3, s10
	s_lshr_b32 s3, s19, 31
	s_add_i32 s3, s19, s3
	s_ashr_i32 s3, s3, 1
	s_add_i32 s3, s3, 3
	s_ashr_i32 s10, s3, 31
	s_lshr_b32 s10, s10, 30
	s_add_i32 s3, s3, s10
	s_and_b32 s26, s3, -4
	s_and_b32 s25, s2, 0xffff
	s_mov_b32 s27, 0x20000
	v_mov_b32_e32 v3, v2
	buffer_store_dwordx2 v[2:3], v4, s[24:27], 0 offen
	;;#ASMSTART
	s_nop 0
	;;#ASMEND
.LBB647_22:
	s_or_b64 exec, exec, s[8:9]
	s_cmp_lt_i32 s20, 1
	s_cbranch_scc1 .LBB647_12
.LBB647_23:
	s_load_dword s2, s[4:5], 0x94
	s_waitcnt lgkmcnt(0)
	s_cmp_lg_u32 s2, 1
	s_cbranch_scc1 .LBB647_12
; %bb.24:
	s_lshl_b32 s2, s20, 1
	s_add_i32 s2, s2, 2
	v_cmp_gt_u32_e32 vcc, s20, v1
	s_and_b32 s14, s2, -4
	v_mov_b32_e32 v18, 0
	v_lshlrev_b32_e32 v1, 5, v0
	v_mov_b32_e32 v14, 0
	v_mov_b32_e32 v15, 0
	;; [unrolled: 1-line block ×8, first 2 shown]
	s_waitcnt vmcnt(1)
	v_mov_b32_e32 v6, 0
	v_mov_b32_e32 v7, 0
	;; [unrolled: 1-line block ×4, first 2 shown]
	s_waitcnt vmcnt(0)
	v_mov_b32_e32 v2, 0
	v_mov_b32_e32 v3, 0
	;; [unrolled: 1-line block ×4, first 2 shown]
	s_barrier
	s_and_saveexec_b64 s[2:3], vcc
	s_cbranch_execz .LBB647_26
; %bb.25:
	s_mul_hi_i32 s5, s22, s6
	s_mul_i32 s4, s22, s6
	s_and_b32 s13, s13, 0xffff
	s_lshl_b64 s[4:5], s[4:5], 1
	s_add_u32 s8, s30, s4
	s_mov_b32 s15, 0x20000
	s_addc_u32 s4, s31, s5
	s_and_b32 s9, s4, 0xffff
	s_mov_b32 s10, s14
	s_mov_b32 s11, s15
	buffer_load_dwordx4 v[14:17], v1, s[8:11], 0 offen
	buffer_load_dwordx4 v[10:13], v1, s[8:11], 16 offen
	;; [unrolled: 1-line block ×4, first 2 shown]
.LBB647_26:
	s_or_b64 exec, exec, s[2:3]
	v_mov_b32_e32 v19, 0
	v_mov_b32_e32 v32, 0
	;; [unrolled: 1-line block ×15, first 2 shown]
	s_and_saveexec_b64 s[2:3], vcc
	s_cbranch_execz .LBB647_28
; %bb.27:
	s_waitcnt vmcnt(3)
	v_cvt_f32_f16_sdwa v19, v14 dst_sel:DWORD dst_unused:UNUSED_PAD src0_sel:WORD_1
	v_cvt_f32_f16_e32 v18, v14
	v_cvt_f32_f16_sdwa v33, v15 dst_sel:DWORD dst_unused:UNUSED_PAD src0_sel:WORD_1
	v_cvt_f32_f16_e32 v32, v15
	;; [unrolled: 2-line block ×4, first 2 shown]
	s_waitcnt vmcnt(2)
	v_cvt_f32_f16_sdwa v27, v10 dst_sel:DWORD dst_unused:UNUSED_PAD src0_sel:WORD_1
	v_cvt_f32_f16_e32 v26, v10
	v_cvt_f32_f16_sdwa v25, v11 dst_sel:DWORD dst_unused:UNUSED_PAD src0_sel:WORD_1
	v_cvt_f32_f16_e32 v24, v11
	;; [unrolled: 2-line block ×4, first 2 shown]
.LBB647_28:
	s_or_b64 exec, exec, s[2:3]
	s_waitcnt vmcnt(2)
	v_mul_f32_e32 v10, v19, v19
	v_fmac_f32_e32 v10, v18, v18
	v_fmac_f32_e32 v10, v32, v32
	;; [unrolled: 1-line block ×15, first 2 shown]
	s_nop 1
	v_mov_b32_dpp v11, v10 quad_perm:[1,0,3,2] row_mask:0xf bank_mask:0xf
	v_add_f32_e32 v10, v10, v11
	s_nop 1
	v_mov_b32_dpp v11, v10 quad_perm:[2,3,0,1] row_mask:0xf bank_mask:0xf
	v_add_f32_e32 v10, v10, v11
	s_nop 1
	v_mov_b32_dpp v11, v10 row_half_mirror row_mask:0xf bank_mask:0xf
	v_add_f32_e32 v10, v10, v11
	s_nop 1
	v_mov_b32_dpp v11, v10 row_mirror row_mask:0xf bank_mask:0xf
	v_add_f32_e32 v10, v10, v11
	s_nop 1
	v_mov_b32_dpp v11, v10 row_bcast:15 row_mask:0xf bank_mask:0xf
	v_add_f32_e32 v10, v10, v11
	s_nop 1
	v_mov_b32_dpp v11, v10 row_bcast:31 row_mask:0xf bank_mask:0xf
	s_and_saveexec_b64 s[2:3], s[0:1]
	s_cbranch_execz .LBB647_30
; %bb.29:
	v_lshrrev_b32_e32 v0, 4, v0
	v_add_f32_e32 v10, v10, v11
	v_and_b32_e32 v0, 60, v0
	ds_write_b32 v0, v10
.LBB647_30:
	s_or_b64 exec, exec, s[2:3]
	s_waitcnt lgkmcnt(0)
	s_barrier
	ds_read_b32 v0, v34
	s_waitcnt lgkmcnt(0)
	s_nop 0
	v_mov_b32_dpp v10, v0 quad_perm:[1,0,3,2] row_mask:0xf bank_mask:0xf
	s_and_saveexec_b64 s[0:1], vcc
	s_cbranch_execz .LBB647_12
; %bb.31:
	v_cvt_f32_u32_e32 v11, s20
	v_add_f32_e32 v0, v0, v10
	s_mov_b32 s15, 0x20000
	v_div_scale_f32 v10, s[0:1], v11, v11, v0
	v_rcp_f32_e32 v12, v10
	v_div_scale_f32 v13, vcc, v0, v11, v0
	s_mov_b32 s0, 0x800000
	v_fma_f32 v14, -v10, v12, 1.0
	v_fmac_f32_e32 v12, v14, v12
	v_mul_f32_e32 v14, v13, v12
	v_fma_f32 v15, -v10, v14, v13
	v_fmac_f32_e32 v14, v15, v12
	v_fma_f32 v10, -v10, v14, v13
	v_div_fmas_f32 v10, v10, v12, v14
	v_div_fixup_f32 v0, v10, v11, v0
	v_add_f32_e32 v0, s17, v0
	v_mul_f32_e32 v10, 0x4b800000, v0
	v_cmp_gt_f32_e32 vcc, s0, v0
	v_cndmask_b32_e32 v0, v0, v10, vcc
	v_rsq_f32_e32 v0, v0
	s_mul_hi_i32 s1, s7, s6
	s_mul_i32 s0, s7, s6
	s_lshl_b64 s[0:1], s[0:1], 1
	v_mul_f32_e32 v10, 0x45800000, v0
	v_cndmask_b32_e32 v10, v0, v10, vcc
	v_mov_b32_e32 v11, v10
	;;#ASMSTART
	v_pk_mul_f32 v[12:13], v[18:19], v[10:11]
	;;#ASMEND
	;;#ASMSTART
	v_pk_mul_f32 v[14:15], v[32:33], v[10:11]
	;;#ASMEND
	;; [unrolled: 3-line block ×8, first 2 shown]
	s_waitcnt vmcnt(1)
	v_cvt_f32_f16_sdwa v21, v6 dst_sel:DWORD dst_unused:UNUSED_PAD src0_sel:WORD_1
	v_cvt_f32_f16_e32 v20, v6
	v_cvt_f32_f16_sdwa v29, v7 dst_sel:DWORD dst_unused:UNUSED_PAD src0_sel:WORD_1
	v_cvt_f32_f16_e32 v28, v7
	;; [unrolled: 2-line block ×4, first 2 shown]
	;;#ASMSTART
	v_pk_mul_f32 v[8:9], v[12:13], v[20:21]
	;;#ASMEND
	;;#ASMSTART
	v_pk_mul_f32 v[12:13], v[14:15], v[28:29]
	;;#ASMEND
	;; [unrolled: 3-line block ×4, first 2 shown]
	s_waitcnt vmcnt(0)
	v_cvt_f32_f16_sdwa v17, v2 dst_sel:DWORD dst_unused:UNUSED_PAD src0_sel:WORD_1
	v_cvt_f32_f16_e32 v16, v2
	v_cvt_f32_f16_sdwa v19, v3 dst_sel:DWORD dst_unused:UNUSED_PAD src0_sel:WORD_1
	v_cvt_f32_f16_e32 v18, v3
	;; [unrolled: 2-line block ×4, first 2 shown]
	;;#ASMSTART
	v_pk_mul_f32 v[16:17], v[26:27], v[16:17]
	;;#ASMEND
	;;#ASMSTART
	v_pk_mul_f32 v[18:19], v[24:25], v[18:19]
	;;#ASMEND
	;; [unrolled: 3-line block ×3, first 2 shown]
	v_cvt_f16_f32_e32 v0, v8
	v_cvt_f16_f32_e32 v2, v9
	;; [unrolled: 1-line block ×8, first 2 shown]
	s_add_u32 s12, s28, s0
	s_addc_u32 s0, s29, s1
	s_and_b32 s13, s0, 0xffff
	v_pack_b32_f16 v2, v0, v2
	v_pack_b32_f16 v3, v3, v4
	;; [unrolled: 1-line block ×4, first 2 shown]
	;;#ASMSTART
	v_pk_mul_f32 v[10:11], v[10:11], v[20:21]
	;;#ASMEND
	buffer_store_dwordx4 v[2:5], v1, s[12:15], 0 offen
	v_cvt_f16_f32_e32 v0, v16
	v_cvt_f16_f32_e32 v2, v17
	;; [unrolled: 1-line block ×8, first 2 shown]
	v_pack_b32_f16 v2, v0, v2
	v_pack_b32_f16 v3, v3, v4
	;; [unrolled: 1-line block ×4, first 2 shown]
	;;#ASMSTART
	s_nop 0
	;;#ASMEND
	buffer_store_dwordx4 v[2:5], v1, s[12:15], 16 offen
	;;#ASMSTART
	s_nop 0
	;;#ASMEND
	s_endpgm
	.section	.rodata,"a",@progbits
	.p2align	6, 0x0
	.amdhsa_kernel _ZN5aiter35fused_qk_rmsnorm_group_quant_kernelIDF16_N4opus5fp4_tELi128ELi16ELi8ELb0ELb0ELb0ELb0ELb0ELb0EEEvPT0_PvPT_S7_S7_PKS6_S9_S9_S9_S9_ffiiiiiiiiiiiii
		.amdhsa_group_segment_fixed_size 16
		.amdhsa_private_segment_fixed_size 0
		.amdhsa_kernarg_size 400
		.amdhsa_user_sgpr_count 6
		.amdhsa_user_sgpr_private_segment_buffer 1
		.amdhsa_user_sgpr_dispatch_ptr 0
		.amdhsa_user_sgpr_queue_ptr 0
		.amdhsa_user_sgpr_kernarg_segment_ptr 1
		.amdhsa_user_sgpr_dispatch_id 0
		.amdhsa_user_sgpr_flat_scratch_init 0
		.amdhsa_user_sgpr_kernarg_preload_length 0
		.amdhsa_user_sgpr_kernarg_preload_offset 0
		.amdhsa_user_sgpr_private_segment_size 0
		.amdhsa_uses_dynamic_stack 0
		.amdhsa_system_sgpr_private_segment_wavefront_offset 0
		.amdhsa_system_sgpr_workgroup_id_x 1
		.amdhsa_system_sgpr_workgroup_id_y 1
		.amdhsa_system_sgpr_workgroup_id_z 0
		.amdhsa_system_sgpr_workgroup_info 0
		.amdhsa_system_vgpr_workitem_id 0
		.amdhsa_next_free_vgpr 35
		.amdhsa_next_free_sgpr 32
		.amdhsa_accum_offset 36
		.amdhsa_reserve_vcc 1
		.amdhsa_reserve_flat_scratch 0
		.amdhsa_float_round_mode_32 0
		.amdhsa_float_round_mode_16_64 0
		.amdhsa_float_denorm_mode_32 3
		.amdhsa_float_denorm_mode_16_64 3
		.amdhsa_dx10_clamp 1
		.amdhsa_ieee_mode 1
		.amdhsa_fp16_overflow 0
		.amdhsa_tg_split 0
		.amdhsa_exception_fp_ieee_invalid_op 0
		.amdhsa_exception_fp_denorm_src 0
		.amdhsa_exception_fp_ieee_div_zero 0
		.amdhsa_exception_fp_ieee_overflow 0
		.amdhsa_exception_fp_ieee_underflow 0
		.amdhsa_exception_fp_ieee_inexact 0
		.amdhsa_exception_int_div_zero 0
	.end_amdhsa_kernel
	.section	.text._ZN5aiter35fused_qk_rmsnorm_group_quant_kernelIDF16_N4opus5fp4_tELi128ELi16ELi8ELb0ELb0ELb0ELb0ELb0ELb0EEEvPT0_PvPT_S7_S7_PKS6_S9_S9_S9_S9_ffiiiiiiiiiiiii,"axG",@progbits,_ZN5aiter35fused_qk_rmsnorm_group_quant_kernelIDF16_N4opus5fp4_tELi128ELi16ELi8ELb0ELb0ELb0ELb0ELb0ELb0EEEvPT0_PvPT_S7_S7_PKS6_S9_S9_S9_S9_ffiiiiiiiiiiiii,comdat
.Lfunc_end647:
	.size	_ZN5aiter35fused_qk_rmsnorm_group_quant_kernelIDF16_N4opus5fp4_tELi128ELi16ELi8ELb0ELb0ELb0ELb0ELb0ELb0EEEvPT0_PvPT_S7_S7_PKS6_S9_S9_S9_S9_ffiiiiiiiiiiiii, .Lfunc_end647-_ZN5aiter35fused_qk_rmsnorm_group_quant_kernelIDF16_N4opus5fp4_tELi128ELi16ELi8ELb0ELb0ELb0ELb0ELb0ELb0EEEvPT0_PvPT_S7_S7_PKS6_S9_S9_S9_S9_ffiiiiiiiiiiiii
                                        ; -- End function
	.section	.AMDGPU.csdata,"",@progbits
; Kernel info:
; codeLenInByte = 3088
; NumSgprs: 36
; NumVgprs: 35
; NumAgprs: 0
; TotalNumVgprs: 35
; ScratchSize: 0
; MemoryBound: 0
; FloatMode: 240
; IeeeMode: 1
; LDSByteSize: 16 bytes/workgroup (compile time only)
; SGPRBlocks: 4
; VGPRBlocks: 4
; NumSGPRsForWavesPerEU: 36
; NumVGPRsForWavesPerEU: 35
; AccumOffset: 36
; Occupancy: 8
; WaveLimiterHint : 0
; COMPUTE_PGM_RSRC2:SCRATCH_EN: 0
; COMPUTE_PGM_RSRC2:USER_SGPR: 6
; COMPUTE_PGM_RSRC2:TRAP_HANDLER: 0
; COMPUTE_PGM_RSRC2:TGID_X_EN: 1
; COMPUTE_PGM_RSRC2:TGID_Y_EN: 1
; COMPUTE_PGM_RSRC2:TGID_Z_EN: 0
; COMPUTE_PGM_RSRC2:TIDIG_COMP_CNT: 0
; COMPUTE_PGM_RSRC3_GFX90A:ACCUM_OFFSET: 8
; COMPUTE_PGM_RSRC3_GFX90A:TG_SPLIT: 0
	.section	.text._ZN5aiter35fused_qk_rmsnorm_group_quant_kernelItN4opus5fp4_tELi128ELi16ELi8ELb0ELb0ELb0ELb0ELb0ELb0EEEvPT0_PvPT_S7_S7_PKS6_S9_S9_S9_S9_ffiiiiiiiiiiiii,"axG",@progbits,_ZN5aiter35fused_qk_rmsnorm_group_quant_kernelItN4opus5fp4_tELi128ELi16ELi8ELb0ELb0ELb0ELb0ELb0ELb0EEEvPT0_PvPT_S7_S7_PKS6_S9_S9_S9_S9_ffiiiiiiiiiiiii,comdat
	.protected	_ZN5aiter35fused_qk_rmsnorm_group_quant_kernelItN4opus5fp4_tELi128ELi16ELi8ELb0ELb0ELb0ELb0ELb0ELb0EEEvPT0_PvPT_S7_S7_PKS6_S9_S9_S9_S9_ffiiiiiiiiiiiii ; -- Begin function _ZN5aiter35fused_qk_rmsnorm_group_quant_kernelItN4opus5fp4_tELi128ELi16ELi8ELb0ELb0ELb0ELb0ELb0ELb0EEEvPT0_PvPT_S7_S7_PKS6_S9_S9_S9_S9_ffiiiiiiiiiiiii
	.globl	_ZN5aiter35fused_qk_rmsnorm_group_quant_kernelItN4opus5fp4_tELi128ELi16ELi8ELb0ELb0ELb0ELb0ELb0ELb0EEEvPT0_PvPT_S7_S7_PKS6_S9_S9_S9_S9_ffiiiiiiiiiiiii
	.p2align	8
	.type	_ZN5aiter35fused_qk_rmsnorm_group_quant_kernelItN4opus5fp4_tELi128ELi16ELi8ELb0ELb0ELb0ELb0ELb0ELb0EEEvPT0_PvPT_S7_S7_PKS6_S9_S9_S9_S9_ffiiiiiiiiiiiii,@function
_ZN5aiter35fused_qk_rmsnorm_group_quant_kernelItN4opus5fp4_tELi128ELi16ELi8ELb0ELb0ELb0ELb0ELb0ELb0EEEvPT0_PvPT_S7_S7_PKS6_S9_S9_S9_S9_ffiiiiiiiiiiiii: ; @_ZN5aiter35fused_qk_rmsnorm_group_quant_kernelItN4opus5fp4_tELi128ELi16ELi8ELb0ELb0ELb0ELb0ELb0ELb0EEEvPT0_PvPT_S7_S7_PKS6_S9_S9_S9_S9_ffiiiiiiiiiiiii
; %bb.0:
	s_load_dwordx4 s[16:19], s[4:5], 0x50
	s_waitcnt lgkmcnt(0)
	s_cmp_ge_i32 s6, s18
	s_cbranch_scc1 .LBB648_12
; %bb.1:
	s_load_dwordx2 s[12:13], s[4:5], 0x48
	s_load_dwordx2 s[30:31], s[4:5], 0x30
	s_load_dwordx4 s[20:23], s[4:5], 0x60
	s_cmp_lg_u32 s7, 0
	s_cselect_b64 s[14:15], -1, 0
	s_cmp_eq_u32 s7, 0
	s_cselect_b64 vcc, -1, 0
	s_and_b64 s[0:1], vcc, exec
	s_waitcnt lgkmcnt(0)
	s_cselect_b32 s7, s19, s20
	s_add_i32 s0, s7, 1
	s_lshr_b32 s1, s0, 31
	s_add_i32 s0, s0, s1
	s_lshl_b32 s0, s0, 1
	v_lshlrev_b32_e32 v1, 4, v0
	s_and_b32 s10, s0, -4
	v_cmp_gt_i32_e64 s[2:3], s7, v1
	v_mov_b32_e32 v18, 0
	v_mov_b32_e32 v6, 0
	v_mov_b32_e32 v7, 0
	v_mov_b32_e32 v8, 0
	v_mov_b32_e32 v9, 0
	v_mov_b32_e32 v2, 0
	v_mov_b32_e32 v3, 0
	v_mov_b32_e32 v4, 0
	v_mov_b32_e32 v5, 0
	v_mov_b32_e32 v14, 0
	v_mov_b32_e32 v15, 0
	v_mov_b32_e32 v16, 0
	v_mov_b32_e32 v17, 0
	v_mov_b32_e32 v10, 0
	v_mov_b32_e32 v11, 0
	v_mov_b32_e32 v12, 0
	v_mov_b32_e32 v13, 0
	s_and_saveexec_b64 s[0:1], s[2:3]
	s_cbranch_execz .LBB648_3
; %bb.2:
	s_load_dwordx2 s[8:9], s[4:5], 0x28
	s_load_dwordx2 s[26:27], s[4:5], 0x40
	s_and_b64 s[24:25], vcc, exec
	s_cselect_b32 s11, s21, s22
	v_lshlrev_b32_e32 v19, 5, v0
	s_waitcnt lgkmcnt(0)
	s_cselect_b32 s18, s9, s31
	s_cselect_b32 s21, s8, s30
	s_mul_hi_i32 s9, s11, s6
	s_mul_i32 s8, s11, s6
	s_lshl_b64 s[8:9], s[8:9], 1
	s_add_u32 s24, s21, s8
	s_addc_u32 s18, s18, s9
	s_and_b64 s[8:9], vcc, exec
	s_mov_b32 s11, 0x20000
	s_cselect_b32 s8, s26, s12
	s_cselect_b32 s9, s27, s13
	s_and_b32 s25, s18, 0xffff
	s_mov_b32 s26, s10
	s_mov_b32 s27, s11
	s_and_b32 s9, s9, 0xffff
	buffer_load_dwordx4 v[14:17], v19, s[24:27], 0 offen
	buffer_load_dwordx4 v[10:13], v19, s[24:27], 16 offen
	;; [unrolled: 1-line block ×4, first 2 shown]
.LBB648_3:
	s_or_b64 exec, exec, s[0:1]
	v_mov_b32_e32 v19, 0
	v_mov_b32_e32 v24, 0
	;; [unrolled: 1-line block ×15, first 2 shown]
	s_and_saveexec_b64 s[0:1], s[2:3]
	s_cbranch_execz .LBB648_5
; %bb.4:
	s_waitcnt vmcnt(3)
	v_cvt_f32_u32_sdwa v18, v14 dst_sel:DWORD dst_unused:UNUSED_PAD src0_sel:WORD_0
	v_cvt_f32_u32_sdwa v19, v14 dst_sel:DWORD dst_unused:UNUSED_PAD src0_sel:WORD_1
	v_cvt_f32_u32_sdwa v24, v15 dst_sel:DWORD dst_unused:UNUSED_PAD src0_sel:WORD_0
	v_cvt_f32_u32_sdwa v25, v15 dst_sel:DWORD dst_unused:UNUSED_PAD src0_sel:WORD_1
	;; [unrolled: 2-line block ×4, first 2 shown]
	s_waitcnt vmcnt(2)
	v_cvt_f32_u32_sdwa v32, v10 dst_sel:DWORD dst_unused:UNUSED_PAD src0_sel:WORD_0
	v_cvt_f32_u32_sdwa v33, v10 dst_sel:DWORD dst_unused:UNUSED_PAD src0_sel:WORD_1
	v_cvt_f32_u32_sdwa v30, v11 dst_sel:DWORD dst_unused:UNUSED_PAD src0_sel:WORD_0
	v_cvt_f32_u32_sdwa v31, v11 dst_sel:DWORD dst_unused:UNUSED_PAD src0_sel:WORD_1
	;; [unrolled: 2-line block ×4, first 2 shown]
.LBB648_5:
	s_or_b64 exec, exec, s[0:1]
	s_waitcnt vmcnt(2)
	v_mul_f32_e32 v10, v19, v19
	v_fmac_f32_e32 v10, v18, v18
	v_fmac_f32_e32 v10, v24, v24
	;; [unrolled: 1-line block ×15, first 2 shown]
	v_and_b32_e32 v12, 63, v0
	v_cmp_eq_u32_e64 s[0:1], 63, v12
	v_mov_b32_dpp v11, v10 quad_perm:[1,0,3,2] row_mask:0xf bank_mask:0xf
	v_add_f32_e32 v10, v10, v11
	s_nop 1
	v_mov_b32_dpp v11, v10 quad_perm:[2,3,0,1] row_mask:0xf bank_mask:0xf
	v_add_f32_e32 v10, v10, v11
	s_nop 1
	v_mov_b32_dpp v11, v10 row_half_mirror row_mask:0xf bank_mask:0xf
	v_add_f32_e32 v10, v10, v11
	s_nop 1
	v_mov_b32_dpp v11, v10 row_mirror row_mask:0xf bank_mask:0xf
	v_add_f32_e32 v10, v10, v11
	s_nop 1
	v_mov_b32_dpp v11, v10 row_bcast:15 row_mask:0xf bank_mask:0xf
	v_add_f32_e32 v10, v10, v11
	s_nop 1
	v_mov_b32_dpp v11, v10 row_bcast:31 row_mask:0xf bank_mask:0xf
	s_and_saveexec_b64 s[8:9], s[0:1]
	s_cbranch_execz .LBB648_7
; %bb.6:
	v_add_f32_e32 v10, v10, v11
	v_lshrrev_b32_e32 v11, 4, v0
	v_and_b32_e32 v11, 60, v11
	ds_write_b32 v11, v10 offset:8
.LBB648_7:
	s_or_b64 exec, exec, s[8:9]
	v_and_b32_e32 v10, 1, v0
	v_lshlrev_b32_e32 v34, 2, v10
	s_waitcnt lgkmcnt(0)
	s_barrier
	ds_read_b32 v10, v34 offset:8
	s_load_dwordx2 s[28:29], s[4:5], 0x18
	s_waitcnt lgkmcnt(0)
	v_mov_b32_dpp v11, v10 quad_perm:[1,0,3,2] row_mask:0xf bank_mask:0xf
	s_and_saveexec_b64 s[8:9], s[2:3]
	s_cbranch_execz .LBB648_9
; %bb.8:
	v_cvt_f32_u32_e32 v12, s7
	v_add_f32_e32 v10, v10, v11
	v_mov_b32_e32 v14, s17
	v_mov_b32_e32 v15, s16
	v_div_scale_f32 v11, s[24:25], v12, v12, v10
	v_rcp_f32_e32 v13, v11
	v_cndmask_b32_e32 v14, v14, v15, vcc
	s_mov_b32 s7, 0x800000
	v_fma_f32 v15, -v11, v13, 1.0
	v_fmac_f32_e32 v13, v15, v13
	v_div_scale_f32 v15, vcc, v10, v12, v10
	v_mul_f32_e32 v16, v15, v13
	v_fma_f32 v17, -v11, v16, v15
	v_fmac_f32_e32 v16, v17, v13
	v_fma_f32 v11, -v11, v16, v15
	v_div_fmas_f32 v11, v11, v13, v16
	v_div_fixup_f32 v10, v11, v12, v10
	v_add_f32_e32 v10, v14, v10
	v_mul_f32_e32 v11, 0x4b800000, v10
	v_cmp_gt_f32_e32 vcc, s7, v10
	v_cndmask_b32_e32 v10, v10, v11, vcc
	v_rsq_f32_e32 v10, v10
	v_mul_f32_e32 v11, 0x45800000, v10
	v_cndmask_b32_e32 v10, v10, v11, vcc
	v_mov_b32_e32 v11, v10
	;;#ASMSTART
	v_pk_mul_f32 v[12:13], v[18:19], v[10:11]
	;;#ASMEND
	;;#ASMSTART
	v_pk_mul_f32 v[14:15], v[24:25], v[10:11]
	;;#ASMEND
	;; [unrolled: 3-line block ×8, first 2 shown]
	s_waitcnt vmcnt(1)
	v_cvt_f32_u32_sdwa v19, v6 dst_sel:DWORD dst_unused:UNUSED_PAD src0_sel:WORD_1
	v_cvt_f32_u32_sdwa v18, v6 dst_sel:DWORD dst_unused:UNUSED_PAD src0_sel:WORD_0
	v_cvt_f32_u32_sdwa v21, v7 dst_sel:DWORD dst_unused:UNUSED_PAD src0_sel:WORD_1
	v_cvt_f32_u32_sdwa v20, v7 dst_sel:DWORD dst_unused:UNUSED_PAD src0_sel:WORD_0
	;; [unrolled: 2-line block ×4, first 2 shown]
	;;#ASMSTART
	v_pk_mul_f32 v[18:19], v[12:13], v[18:19]
	;;#ASMEND
	;;#ASMSTART
	v_pk_mul_f32 v[24:25], v[14:15], v[20:21]
	;;#ASMEND
	;; [unrolled: 3-line block ×4, first 2 shown]
	s_waitcnt vmcnt(0)
	v_cvt_f32_u32_sdwa v7, v2 dst_sel:DWORD dst_unused:UNUSED_PAD src0_sel:WORD_1
	v_cvt_f32_u32_sdwa v6, v2 dst_sel:DWORD dst_unused:UNUSED_PAD src0_sel:WORD_0
	v_cvt_f32_u32_sdwa v9, v3 dst_sel:DWORD dst_unused:UNUSED_PAD src0_sel:WORD_1
	v_cvt_f32_u32_sdwa v8, v3 dst_sel:DWORD dst_unused:UNUSED_PAD src0_sel:WORD_0
	;; [unrolled: 2-line block ×4, first 2 shown]
	;;#ASMSTART
	v_pk_mul_f32 v[32:33], v[32:33], v[6:7]
	;;#ASMEND
	;;#ASMSTART
	v_pk_mul_f32 v[30:31], v[30:31], v[8:9]
	;;#ASMEND
	;; [unrolled: 3-line block ×4, first 2 shown]
.LBB648_9:
	s_or_b64 exec, exec, s[8:9]
	s_load_dword s7, s[4:5], 0x80
	s_mov_b64 s[8:9], -1
	s_and_b64 vcc, exec, s[14:15]
	s_cbranch_vccnz .LBB648_13
; %bb.10:
	s_andn2_b64 vcc, exec, s[8:9]
	s_cbranch_vccz .LBB648_16
.LBB648_11:
	s_cmp_lt_i32 s20, 1
	s_cbranch_scc0 .LBB648_23
.LBB648_12:
	s_endpgm
.LBB648_13:
	s_and_saveexec_b64 s[14:15], s[2:3]
	s_cbranch_execz .LBB648_15
; %bb.14:
	s_waitcnt lgkmcnt(0)
	s_mul_hi_i32 s9, s7, s6
	s_mul_i32 s8, s7, s6
	s_lshl_b64 s[8:9], s[8:9], 1
	s_add_u32 s8, s28, s8
	s_addc_u32 s9, s29, s9
	s_mov_b32 s16, 0x7060302
	s_and_b32 s9, s9, 0xffff
	s_mov_b32 s11, 0x20000
	s_waitcnt vmcnt(0)
	v_perm_b32 v5, v23, v22, s16
	v_perm_b32 v4, v21, v20, s16
	;; [unrolled: 1-line block ×4, first 2 shown]
	v_lshlrev_b32_e32 v6, 5, v0
	buffer_store_dwordx4 v[2:5], v6, s[8:11], 0 offen
	;;#ASMSTART
	s_nop 0
	;;#ASMEND
	s_nop 0
	v_perm_b32 v5, v29, v28, s16
	v_perm_b32 v4, v27, v26, s16
	;; [unrolled: 1-line block ×4, first 2 shown]
	buffer_store_dwordx4 v[2:5], v6, s[8:11], 16 offen
	;;#ASMSTART
	s_nop 0
	;;#ASMEND
.LBB648_15:
	s_or_b64 exec, exec, s[14:15]
	s_cbranch_execnz .LBB648_11
.LBB648_16:
	s_waitcnt vmcnt(0)
	v_mov_b32_e32 v2, 0
	s_and_saveexec_b64 s[8:9], s[2:3]
	s_cbranch_execz .LBB648_18
; %bb.17:
	v_and_b32_e32 v2, 0x7fffffff, v18
	v_and_b32_e32 v3, 0x7fffffff, v19
	v_mov_b32_e32 v4, 0x2edbe6ff
	;;#ASMSTART
	v_max3_f32 v2, v4, v2, v3

	;;#ASMEND
	v_and_b32_e32 v3, 0x7fffffff, v24
	v_and_b32_e32 v4, 0x7fffffff, v25
	;;#ASMSTART
	v_max3_f32 v2, v2, v3, v4

	;;#ASMEND
	v_and_b32_e32 v3, 0x7fffffff, v20
	v_and_b32_e32 v4, 0x7fffffff, v21
	;; [unrolled: 6-line block ×7, first 2 shown]
	;;#ASMSTART
	v_max3_f32 v2, v2, v3, v4

	;;#ASMEND
.LBB648_18:
	s_or_b64 exec, exec, s[8:9]
	s_load_dwordx4 s[24:27], s[4:5], 0x70
	;;#ASMSTART
	v_max_f32 v3, v2, v2 quad_perm:[1,0,3,2] row_mask:0xf bank_mask:0xf bound_ctrl:1
	;;#ASMEND
	;;#ASMSTART
	v_max_f32 v4, v3, v3 quad_perm:[2,3,0,1] row_mask:0xf bank_mask:0xf bound_ctrl:1
	;;#ASMEND
	v_and_b32_e32 v3, 7, v0
	v_cmp_eq_u32_e32 vcc, 0, v3
	v_cmp_gt_i32_e64 s[8:9], s19, v1
	s_and_b64 s[10:11], vcc, s[8:9]
	;;#ASMSTART
	v_max_f32 v2, v4, v4 row_half_mirror row_mask:0xf bank_mask:0xf bound_ctrl:1
	;;#ASMEND
	s_and_saveexec_b64 s[8:9], s[10:11]
	s_cbranch_execz .LBB648_20
; %bb.19:
	s_load_dwordx2 s[10:11], s[4:5], 0x8
	v_mul_f32_e32 v2, 0x3e2aaaab, v2
	v_lshrrev_b32_e32 v3, 23, v2
	v_and_b32_e32 v4, 0x7f800000, v2
	v_and_b32_e32 v2, 0x7fffff, v2
	v_cmp_ne_u32_e32 vcc, 0, v2
	s_waitcnt lgkmcnt(0)
	s_mul_i32 s16, s25, s6
	s_mov_b32 s14, 0x7f800000
	v_addc_co_u32_e32 v2, vcc, 0, v3, vcc
	s_mul_hi_i32 s15, s25, s6
	s_add_u32 s10, s10, s16
	v_cmp_ne_u32_e32 vcc, s14, v4
	s_addc_u32 s11, s11, s15
	v_lshrrev_b32_e32 v5, 3, v0
	v_cndmask_b32_e32 v4, -1, v2, vcc
	v_pk_mov_b32 v[2:3], s[10:11], s[10:11] op_sel:[0,1]
	v_mad_i64_i32 v[2:3], s[10:11], s26, v5, v[2:3]
	global_store_byte v[2:3], v4, off
.LBB648_20:
	s_or_b64 exec, exec, s[8:9]
	s_and_saveexec_b64 s[8:9], s[2:3]
	s_cbranch_execz .LBB648_22
; %bb.21:
	s_load_dwordx2 s[2:3], s[4:5], 0x0
	s_waitcnt lgkmcnt(0)
	s_mul_i32 s11, s24, s6
	s_mul_hi_i32 s10, s24, s6
	v_mov_b32_e32 v2, 0
	v_lshlrev_b32_e32 v4, 3, v0
	s_add_u32 s24, s2, s11
	s_addc_u32 s2, s3, s10
	s_lshr_b32 s3, s19, 31
	s_add_i32 s3, s19, s3
	s_ashr_i32 s3, s3, 1
	s_add_i32 s3, s3, 3
	s_ashr_i32 s10, s3, 31
	s_lshr_b32 s10, s10, 30
	s_add_i32 s3, s3, s10
	s_and_b32 s26, s3, -4
	s_and_b32 s25, s2, 0xffff
	s_mov_b32 s27, 0x20000
	v_mov_b32_e32 v3, v2
	buffer_store_dwordx2 v[2:3], v4, s[24:27], 0 offen
	;;#ASMSTART
	s_nop 0
	;;#ASMEND
.LBB648_22:
	s_or_b64 exec, exec, s[8:9]
	s_cmp_lt_i32 s20, 1
	s_cbranch_scc1 .LBB648_12
.LBB648_23:
	s_load_dword s2, s[4:5], 0x94
	s_waitcnt lgkmcnt(0)
	s_cmp_lg_u32 s2, 1
	s_cbranch_scc1 .LBB648_12
; %bb.24:
	s_lshl_b32 s2, s20, 1
	s_add_i32 s2, s2, 2
	v_cmp_gt_u32_e32 vcc, s20, v1
	s_and_b32 s14, s2, -4
	v_mov_b32_e32 v18, 0
	v_lshlrev_b32_e32 v1, 5, v0
	v_mov_b32_e32 v14, 0
	v_mov_b32_e32 v15, 0
	;; [unrolled: 1-line block ×8, first 2 shown]
	s_waitcnt vmcnt(1)
	v_mov_b32_e32 v6, 0
	v_mov_b32_e32 v7, 0
	v_mov_b32_e32 v8, 0
	v_mov_b32_e32 v9, 0
	s_waitcnt vmcnt(0)
	v_mov_b32_e32 v2, 0
	v_mov_b32_e32 v3, 0
	;; [unrolled: 1-line block ×4, first 2 shown]
	s_barrier
	s_and_saveexec_b64 s[2:3], vcc
	s_cbranch_execz .LBB648_26
; %bb.25:
	s_mul_hi_i32 s5, s22, s6
	s_mul_i32 s4, s22, s6
	s_and_b32 s13, s13, 0xffff
	s_lshl_b64 s[4:5], s[4:5], 1
	s_add_u32 s8, s30, s4
	s_mov_b32 s15, 0x20000
	s_addc_u32 s4, s31, s5
	s_and_b32 s9, s4, 0xffff
	s_mov_b32 s10, s14
	s_mov_b32 s11, s15
	buffer_load_dwordx4 v[14:17], v1, s[8:11], 0 offen
	buffer_load_dwordx4 v[10:13], v1, s[8:11], 16 offen
	buffer_load_dwordx4 v[6:9], v1, s[12:15], 0 offen
	buffer_load_dwordx4 v[2:5], v1, s[12:15], 16 offen
.LBB648_26:
	s_or_b64 exec, exec, s[2:3]
	v_mov_b32_e32 v19, 0
	v_mov_b32_e32 v32, 0
	;; [unrolled: 1-line block ×15, first 2 shown]
	s_and_saveexec_b64 s[2:3], vcc
	s_cbranch_execz .LBB648_28
; %bb.27:
	s_waitcnt vmcnt(3)
	v_cvt_f32_u32_sdwa v18, v14 dst_sel:DWORD dst_unused:UNUSED_PAD src0_sel:WORD_0
	v_cvt_f32_u32_sdwa v19, v14 dst_sel:DWORD dst_unused:UNUSED_PAD src0_sel:WORD_1
	v_cvt_f32_u32_sdwa v32, v15 dst_sel:DWORD dst_unused:UNUSED_PAD src0_sel:WORD_0
	v_cvt_f32_u32_sdwa v33, v15 dst_sel:DWORD dst_unused:UNUSED_PAD src0_sel:WORD_1
	;; [unrolled: 2-line block ×4, first 2 shown]
	s_waitcnt vmcnt(2)
	v_cvt_f32_u32_sdwa v26, v10 dst_sel:DWORD dst_unused:UNUSED_PAD src0_sel:WORD_0
	v_cvt_f32_u32_sdwa v27, v10 dst_sel:DWORD dst_unused:UNUSED_PAD src0_sel:WORD_1
	v_cvt_f32_u32_sdwa v24, v11 dst_sel:DWORD dst_unused:UNUSED_PAD src0_sel:WORD_0
	v_cvt_f32_u32_sdwa v25, v11 dst_sel:DWORD dst_unused:UNUSED_PAD src0_sel:WORD_1
	;; [unrolled: 2-line block ×4, first 2 shown]
.LBB648_28:
	s_or_b64 exec, exec, s[2:3]
	s_waitcnt vmcnt(2)
	v_mul_f32_e32 v10, v19, v19
	v_fmac_f32_e32 v10, v18, v18
	v_fmac_f32_e32 v10, v32, v32
	;; [unrolled: 1-line block ×15, first 2 shown]
	s_nop 1
	v_mov_b32_dpp v11, v10 quad_perm:[1,0,3,2] row_mask:0xf bank_mask:0xf
	v_add_f32_e32 v10, v10, v11
	s_nop 1
	v_mov_b32_dpp v11, v10 quad_perm:[2,3,0,1] row_mask:0xf bank_mask:0xf
	v_add_f32_e32 v10, v10, v11
	s_nop 1
	v_mov_b32_dpp v11, v10 row_half_mirror row_mask:0xf bank_mask:0xf
	v_add_f32_e32 v10, v10, v11
	s_nop 1
	v_mov_b32_dpp v11, v10 row_mirror row_mask:0xf bank_mask:0xf
	v_add_f32_e32 v10, v10, v11
	s_nop 1
	v_mov_b32_dpp v11, v10 row_bcast:15 row_mask:0xf bank_mask:0xf
	v_add_f32_e32 v10, v10, v11
	s_nop 1
	v_mov_b32_dpp v11, v10 row_bcast:31 row_mask:0xf bank_mask:0xf
	s_and_saveexec_b64 s[2:3], s[0:1]
	s_cbranch_execz .LBB648_30
; %bb.29:
	v_lshrrev_b32_e32 v0, 4, v0
	v_add_f32_e32 v10, v10, v11
	v_and_b32_e32 v0, 60, v0
	ds_write_b32 v0, v10
.LBB648_30:
	s_or_b64 exec, exec, s[2:3]
	s_waitcnt lgkmcnt(0)
	s_barrier
	ds_read_b32 v0, v34
	s_waitcnt lgkmcnt(0)
	s_nop 0
	v_mov_b32_dpp v10, v0 quad_perm:[1,0,3,2] row_mask:0xf bank_mask:0xf
	s_and_saveexec_b64 s[0:1], vcc
	s_cbranch_execz .LBB648_12
; %bb.31:
	v_cvt_f32_u32_e32 v11, s20
	v_add_f32_e32 v0, v0, v10
	s_mov_b32 s15, 0x20000
	v_div_scale_f32 v10, s[0:1], v11, v11, v0
	v_rcp_f32_e32 v12, v10
	v_div_scale_f32 v13, vcc, v0, v11, v0
	s_mov_b32 s0, 0x800000
	v_fma_f32 v14, -v10, v12, 1.0
	v_fmac_f32_e32 v12, v14, v12
	v_mul_f32_e32 v14, v13, v12
	v_fma_f32 v15, -v10, v14, v13
	v_fmac_f32_e32 v14, v15, v12
	v_fma_f32 v10, -v10, v14, v13
	v_div_fmas_f32 v10, v10, v12, v14
	v_div_fixup_f32 v0, v10, v11, v0
	v_add_f32_e32 v0, s17, v0
	v_mul_f32_e32 v10, 0x4b800000, v0
	v_cmp_gt_f32_e32 vcc, s0, v0
	v_cndmask_b32_e32 v0, v0, v10, vcc
	v_rsq_f32_e32 v0, v0
	s_mul_hi_i32 s1, s7, s6
	s_mul_i32 s0, s7, s6
	s_lshl_b64 s[0:1], s[0:1], 1
	v_mul_f32_e32 v10, 0x45800000, v0
	v_cndmask_b32_e32 v10, v0, v10, vcc
	v_mov_b32_e32 v11, v10
	s_add_u32 s12, s28, s0
	;;#ASMSTART
	v_pk_mul_f32 v[12:13], v[18:19], v[10:11]
	;;#ASMEND
	;;#ASMSTART
	v_pk_mul_f32 v[14:15], v[32:33], v[10:11]
	;;#ASMEND
	;; [unrolled: 3-line block ×8, first 2 shown]
	s_waitcnt vmcnt(1)
	v_cvt_f32_u32_sdwa v21, v6 dst_sel:DWORD dst_unused:UNUSED_PAD src0_sel:WORD_1
	v_cvt_f32_u32_sdwa v20, v6 dst_sel:DWORD dst_unused:UNUSED_PAD src0_sel:WORD_0
	v_cvt_f32_u32_sdwa v29, v7 dst_sel:DWORD dst_unused:UNUSED_PAD src0_sel:WORD_1
	v_cvt_f32_u32_sdwa v28, v7 dst_sel:DWORD dst_unused:UNUSED_PAD src0_sel:WORD_0
	;; [unrolled: 2-line block ×3, first 2 shown]
	s_addc_u32 s0, s29, s1
	v_cvt_f32_u32_sdwa v31, v9 dst_sel:DWORD dst_unused:UNUSED_PAD src0_sel:WORD_1
	v_cvt_f32_u32_sdwa v30, v9 dst_sel:DWORD dst_unused:UNUSED_PAD src0_sel:WORD_0
	;;#ASMSTART
	v_pk_mul_f32 v[8:9], v[12:13], v[20:21]
	;;#ASMEND
	;;#ASMSTART
	v_pk_mul_f32 v[12:13], v[14:15], v[28:29]
	;;#ASMEND
	;;#ASMSTART
	v_pk_mul_f32 v[6:7], v[16:17], v[6:7]
	;;#ASMEND
	;;#ASMSTART
	v_pk_mul_f32 v[14:15], v[18:19], v[30:31]
	;;#ASMEND
	s_waitcnt vmcnt(0)
	v_cvt_f32_u32_sdwa v17, v2 dst_sel:DWORD dst_unused:UNUSED_PAD src0_sel:WORD_1
	v_cvt_f32_u32_sdwa v16, v2 dst_sel:DWORD dst_unused:UNUSED_PAD src0_sel:WORD_0
	v_cvt_f32_u32_sdwa v19, v3 dst_sel:DWORD dst_unused:UNUSED_PAD src0_sel:WORD_1
	v_cvt_f32_u32_sdwa v18, v3 dst_sel:DWORD dst_unused:UNUSED_PAD src0_sel:WORD_0
	;; [unrolled: 2-line block ×3, first 2 shown]
	s_and_b32 s13, s0, 0xffff
	s_mov_b32 s0, 0x7060302
	v_cvt_f32_u32_sdwa v21, v5 dst_sel:DWORD dst_unused:UNUSED_PAD src0_sel:WORD_1
	v_cvt_f32_u32_sdwa v20, v5 dst_sel:DWORD dst_unused:UNUSED_PAD src0_sel:WORD_0
	;;#ASMSTART
	v_pk_mul_f32 v[16:17], v[26:27], v[16:17]
	;;#ASMEND
	;;#ASMSTART
	v_pk_mul_f32 v[18:19], v[24:25], v[18:19]
	;;#ASMEND
	;; [unrolled: 3-line block ×3, first 2 shown]
	v_perm_b32 v2, v9, v8, s0
	v_perm_b32 v3, v13, v12, s0
	;; [unrolled: 1-line block ×4, first 2 shown]
	;;#ASMSTART
	v_pk_mul_f32 v[10:11], v[10:11], v[20:21]
	;;#ASMEND
	buffer_store_dwordx4 v[2:5], v1, s[12:15], 0 offen
	;;#ASMSTART
	s_nop 0
	;;#ASMEND
	s_nop 0
	v_perm_b32 v2, v17, v16, s0
	v_perm_b32 v3, v19, v18, s0
	;; [unrolled: 1-line block ×4, first 2 shown]
	buffer_store_dwordx4 v[2:5], v1, s[12:15], 16 offen
	;;#ASMSTART
	s_nop 0
	;;#ASMEND
	s_endpgm
	.section	.rodata,"a",@progbits
	.p2align	6, 0x0
	.amdhsa_kernel _ZN5aiter35fused_qk_rmsnorm_group_quant_kernelItN4opus5fp4_tELi128ELi16ELi8ELb0ELb0ELb0ELb0ELb0ELb0EEEvPT0_PvPT_S7_S7_PKS6_S9_S9_S9_S9_ffiiiiiiiiiiiii
		.amdhsa_group_segment_fixed_size 16
		.amdhsa_private_segment_fixed_size 0
		.amdhsa_kernarg_size 400
		.amdhsa_user_sgpr_count 6
		.amdhsa_user_sgpr_private_segment_buffer 1
		.amdhsa_user_sgpr_dispatch_ptr 0
		.amdhsa_user_sgpr_queue_ptr 0
		.amdhsa_user_sgpr_kernarg_segment_ptr 1
		.amdhsa_user_sgpr_dispatch_id 0
		.amdhsa_user_sgpr_flat_scratch_init 0
		.amdhsa_user_sgpr_kernarg_preload_length 0
		.amdhsa_user_sgpr_kernarg_preload_offset 0
		.amdhsa_user_sgpr_private_segment_size 0
		.amdhsa_uses_dynamic_stack 0
		.amdhsa_system_sgpr_private_segment_wavefront_offset 0
		.amdhsa_system_sgpr_workgroup_id_x 1
		.amdhsa_system_sgpr_workgroup_id_y 1
		.amdhsa_system_sgpr_workgroup_id_z 0
		.amdhsa_system_sgpr_workgroup_info 0
		.amdhsa_system_vgpr_workitem_id 0
		.amdhsa_next_free_vgpr 35
		.amdhsa_next_free_sgpr 32
		.amdhsa_accum_offset 36
		.amdhsa_reserve_vcc 1
		.amdhsa_reserve_flat_scratch 0
		.amdhsa_float_round_mode_32 0
		.amdhsa_float_round_mode_16_64 0
		.amdhsa_float_denorm_mode_32 3
		.amdhsa_float_denorm_mode_16_64 3
		.amdhsa_dx10_clamp 1
		.amdhsa_ieee_mode 1
		.amdhsa_fp16_overflow 0
		.amdhsa_tg_split 0
		.amdhsa_exception_fp_ieee_invalid_op 0
		.amdhsa_exception_fp_denorm_src 0
		.amdhsa_exception_fp_ieee_div_zero 0
		.amdhsa_exception_fp_ieee_overflow 0
		.amdhsa_exception_fp_ieee_underflow 0
		.amdhsa_exception_fp_ieee_inexact 0
		.amdhsa_exception_int_div_zero 0
	.end_amdhsa_kernel
	.section	.text._ZN5aiter35fused_qk_rmsnorm_group_quant_kernelItN4opus5fp4_tELi128ELi16ELi8ELb0ELb0ELb0ELb0ELb0ELb0EEEvPT0_PvPT_S7_S7_PKS6_S9_S9_S9_S9_ffiiiiiiiiiiiii,"axG",@progbits,_ZN5aiter35fused_qk_rmsnorm_group_quant_kernelItN4opus5fp4_tELi128ELi16ELi8ELb0ELb0ELb0ELb0ELb0ELb0EEEvPT0_PvPT_S7_S7_PKS6_S9_S9_S9_S9_ffiiiiiiiiiiiii,comdat
.Lfunc_end648:
	.size	_ZN5aiter35fused_qk_rmsnorm_group_quant_kernelItN4opus5fp4_tELi128ELi16ELi8ELb0ELb0ELb0ELb0ELb0ELb0EEEvPT0_PvPT_S7_S7_PKS6_S9_S9_S9_S9_ffiiiiiiiiiiiii, .Lfunc_end648-_ZN5aiter35fused_qk_rmsnorm_group_quant_kernelItN4opus5fp4_tELi128ELi16ELi8ELb0ELb0ELb0ELb0ELb0ELb0EEEvPT0_PvPT_S7_S7_PKS6_S9_S9_S9_S9_ffiiiiiiiiiiiii
                                        ; -- End function
	.section	.AMDGPU.csdata,"",@progbits
; Kernel info:
; codeLenInByte = 3112
; NumSgprs: 36
; NumVgprs: 35
; NumAgprs: 0
; TotalNumVgprs: 35
; ScratchSize: 0
; MemoryBound: 0
; FloatMode: 240
; IeeeMode: 1
; LDSByteSize: 16 bytes/workgroup (compile time only)
; SGPRBlocks: 4
; VGPRBlocks: 4
; NumSGPRsForWavesPerEU: 36
; NumVGPRsForWavesPerEU: 35
; AccumOffset: 36
; Occupancy: 8
; WaveLimiterHint : 0
; COMPUTE_PGM_RSRC2:SCRATCH_EN: 0
; COMPUTE_PGM_RSRC2:USER_SGPR: 6
; COMPUTE_PGM_RSRC2:TRAP_HANDLER: 0
; COMPUTE_PGM_RSRC2:TGID_X_EN: 1
; COMPUTE_PGM_RSRC2:TGID_Y_EN: 1
; COMPUTE_PGM_RSRC2:TGID_Z_EN: 0
; COMPUTE_PGM_RSRC2:TIDIG_COMP_CNT: 0
; COMPUTE_PGM_RSRC3_GFX90A:ACCUM_OFFSET: 8
; COMPUTE_PGM_RSRC3_GFX90A:TG_SPLIT: 0
	.section	.text._ZN5aiter35fused_qk_rmsnorm_group_quant_kernelIDF16_DB8_Li128ELi16ELi4ELb1ELb1ELb1ELb1ELb0ELb0EEEvPT0_PvPT_S6_S6_PKS5_S8_S8_S8_S8_ffiiiiiiiiiiiii,"axG",@progbits,_ZN5aiter35fused_qk_rmsnorm_group_quant_kernelIDF16_DB8_Li128ELi16ELi4ELb1ELb1ELb1ELb1ELb0ELb0EEEvPT0_PvPT_S6_S6_PKS5_S8_S8_S8_S8_ffiiiiiiiiiiiii,comdat
	.protected	_ZN5aiter35fused_qk_rmsnorm_group_quant_kernelIDF16_DB8_Li128ELi16ELi4ELb1ELb1ELb1ELb1ELb0ELb0EEEvPT0_PvPT_S6_S6_PKS5_S8_S8_S8_S8_ffiiiiiiiiiiiii ; -- Begin function _ZN5aiter35fused_qk_rmsnorm_group_quant_kernelIDF16_DB8_Li128ELi16ELi4ELb1ELb1ELb1ELb1ELb0ELb0EEEvPT0_PvPT_S6_S6_PKS5_S8_S8_S8_S8_ffiiiiiiiiiiiii
	.globl	_ZN5aiter35fused_qk_rmsnorm_group_quant_kernelIDF16_DB8_Li128ELi16ELi4ELb1ELb1ELb1ELb1ELb0ELb0EEEvPT0_PvPT_S6_S6_PKS5_S8_S8_S8_S8_ffiiiiiiiiiiiii
	.p2align	8
	.type	_ZN5aiter35fused_qk_rmsnorm_group_quant_kernelIDF16_DB8_Li128ELi16ELi4ELb1ELb1ELb1ELb1ELb0ELb0EEEvPT0_PvPT_S6_S6_PKS5_S8_S8_S8_S8_ffiiiiiiiiiiiii,@function
_ZN5aiter35fused_qk_rmsnorm_group_quant_kernelIDF16_DB8_Li128ELi16ELi4ELb1ELb1ELb1ELb1ELb0ELb0EEEvPT0_PvPT_S6_S6_PKS5_S8_S8_S8_S8_ffiiiiiiiiiiiii: ; @_ZN5aiter35fused_qk_rmsnorm_group_quant_kernelIDF16_DB8_Li128ELi16ELi4ELb1ELb1ELb1ELb1ELb0ELb0EEEvPT0_PvPT_S6_S6_PKS5_S8_S8_S8_S8_ffiiiiiiiiiiiii
; %bb.0:
	s_load_dwordx8 s[12:19], s[4:5], 0x50
	s_waitcnt lgkmcnt(0)
	s_cmp_ge_i32 s6, s14
	s_cbranch_scc1 .LBB649_17
; %bb.1:
	s_cmp_lg_u32 s7, 0
	s_cselect_b64 s[22:23], -1, 0
	s_cmp_eq_u32 s7, 0
	s_cselect_b64 s[2:3], -1, 0
	s_and_b64 s[0:1], s[2:3], exec
	s_cselect_b32 s7, s15, s16
	s_load_dwordx2 s[10:11], s[4:5], 0x30
	s_load_dwordx2 s[20:21], s[4:5], 0x48
	s_add_i32 s0, s7, 1
	s_lshr_b32 s1, s0, 31
	s_add_i32 s0, s0, s1
	s_lshl_b32 s0, s0, 1
	v_lshlrev_b32_e32 v1, 4, v0
	s_and_b32 s30, s0, -4
	v_cmp_gt_i32_e64 s[0:1], s7, v1
	v_mov_b32_e32 v6, 0
	v_mov_b32_e32 v7, 0
	;; [unrolled: 1-line block ×16, first 2 shown]
	s_and_saveexec_b64 s[8:9], s[0:1]
	s_cbranch_execz .LBB649_3
; %bb.2:
	s_load_dwordx2 s[14:15], s[4:5], 0x28
	s_load_dwordx2 s[26:27], s[4:5], 0x40
	s_and_b64 s[24:25], s[2:3], exec
	s_cselect_b32 s17, s17, s18
	s_mov_b32 s31, 0x20000
	s_waitcnt lgkmcnt(0)
	s_cselect_b32 s25, s15, s11
	s_cselect_b32 s24, s14, s10
	s_mul_hi_i32 s15, s17, s6
	s_mul_i32 s14, s17, s6
	s_lshl_b64 s[14:15], s[14:15], 1
	s_add_u32 s24, s24, s14
	s_addc_u32 s17, s25, s15
	s_and_b64 s[14:15], s[2:3], exec
	s_cselect_b32 s28, s26, s20
	s_cselect_b32 s14, s27, s21
	s_and_b32 s25, s17, 0xffff
	s_mov_b32 s26, s30
	s_mov_b32 s27, s31
	v_lshlrev_b32_e32 v18, 5, v0
	s_and_b32 s29, s14, 0xffff
	buffer_load_dwordx4 v[10:13], v18, s[24:27], 0 offen
	buffer_load_dwordx4 v[14:17], v18, s[24:27], 16 offen
	;; [unrolled: 1-line block ×4, first 2 shown]
.LBB649_3:
	s_or_b64 exec, exec, s[8:9]
	s_load_dwordx4 s[24:27], s[4:5], 0x7c
	s_and_b64 vcc, exec, s[22:23]
	s_cbranch_vccz .LBB649_7
; %bb.4:
	v_mov_b32_e32 v19, 0
	v_mov_b32_e32 v18, 0
	;; [unrolled: 1-line block ×16, first 2 shown]
	s_and_saveexec_b64 s[8:9], s[0:1]
	s_cbranch_execz .LBB649_6
; %bb.5:
	s_waitcnt vmcnt(3)
	v_cvt_f32_f16_sdwa v27, v10 dst_sel:DWORD dst_unused:UNUSED_PAD src0_sel:WORD_1
	v_cvt_f32_f16_e32 v26, v10
	v_cvt_f32_f16_sdwa v31, v11 dst_sel:DWORD dst_unused:UNUSED_PAD src0_sel:WORD_1
	v_cvt_f32_f16_e32 v30, v11
	;; [unrolled: 2-line block ×4, first 2 shown]
	s_waitcnt vmcnt(2)
	v_cvt_f32_f16_sdwa v21, v14 dst_sel:DWORD dst_unused:UNUSED_PAD src0_sel:WORD_1
	v_cvt_f32_f16_e32 v20, v14
	v_cvt_f32_f16_sdwa v25, v15 dst_sel:DWORD dst_unused:UNUSED_PAD src0_sel:WORD_1
	v_cvt_f32_f16_e32 v24, v15
	;; [unrolled: 2-line block ×4, first 2 shown]
.LBB649_6:
	s_or_b64 exec, exec, s[8:9]
	s_cbranch_execz .LBB649_8
	s_branch .LBB649_11
.LBB649_7:
                                        ; implicit-def: $vgpr19
                                        ; implicit-def: $vgpr23
                                        ; implicit-def: $vgpr25
                                        ; implicit-def: $vgpr21
                                        ; implicit-def: $vgpr33
                                        ; implicit-def: $vgpr29
                                        ; implicit-def: $vgpr31
                                        ; implicit-def: $vgpr27
.LBB649_8:
	v_mov_b32_e32 v19, 0
	v_mov_b32_e32 v18, 0
	;; [unrolled: 1-line block ×16, first 2 shown]
	s_and_saveexec_b64 s[8:9], s[0:1]
	s_cbranch_execz .LBB649_10
; %bb.9:
	s_load_dwordx2 s[14:15], s[4:5], 0x38
	s_mul_hi_i32 s29, s19, s6
	s_mul_i32 s28, s19, s6
	s_lshl_b64 s[28:29], s[28:29], 1
	s_mov_b32 s31, 0x20000
	s_waitcnt lgkmcnt(0)
	s_add_u32 s28, s14, s28
	s_addc_u32 s14, s15, s29
	s_and_b32 s29, s14, 0xffff
	v_lshlrev_b32_e32 v48, 5, v0
	buffer_load_dwordx4 v[18:21], v48, s[28:31], 16 offen
	buffer_load_dwordx4 v[22:25], v48, s[28:31], 0 offen
	s_waitcnt vmcnt(4)
	v_cvt_f32_f16_sdwa v27, v14 dst_sel:DWORD dst_unused:UNUSED_PAD src0_sel:WORD_1
	v_cvt_f32_f16_e32 v26, v14
	v_cvt_f32_f16_sdwa v29, v15 dst_sel:DWORD dst_unused:UNUSED_PAD src0_sel:WORD_1
	v_cvt_f32_f16_e32 v28, v15
	;; [unrolled: 2-line block ×8, first 2 shown]
	s_load_dwordx2 s[14:15], s[4:5], 0x20
	s_mul_hi_i32 s27, s26, s6
	s_mul_i32 s26, s26, s6
	s_lshl_b64 s[26:27], s[26:27], 1
	s_waitcnt lgkmcnt(0)
	s_add_u32 s28, s14, s26
	s_addc_u32 s14, s15, s27
	s_and_b32 s29, s14, 0xffff
	s_waitcnt vmcnt(1)
	v_cvt_f32_f16_e32 v12, v18
	v_cvt_f32_f16_sdwa v13, v18 dst_sel:DWORD dst_unused:UNUSED_PAD src0_sel:WORD_1
	v_cvt_f32_f16_e32 v18, v19
	v_cvt_f32_f16_sdwa v19, v19 dst_sel:DWORD dst_unused:UNUSED_PAD src0_sel:WORD_1
	;; [unrolled: 2-line block ×4, first 2 shown]
	s_waitcnt vmcnt(0)
	v_cvt_f32_f16_e32 v40, v22
	v_cvt_f32_f16_sdwa v41, v22 dst_sel:DWORD dst_unused:UNUSED_PAD src0_sel:WORD_1
	v_cvt_f32_f16_e32 v42, v23
	v_cvt_f32_f16_sdwa v43, v23 dst_sel:DWORD dst_unused:UNUSED_PAD src0_sel:WORD_1
	;; [unrolled: 2-line block ×4, first 2 shown]
	v_pk_add_f32 v[20:21], v[26:27], v[12:13]
	v_pk_add_f32 v[24:25], v[28:29], v[18:19]
	;; [unrolled: 1-line block ×8, first 2 shown]
	v_cvt_f16_f32_e32 v10, v27
	v_cvt_f16_f32_e32 v14, v26
	;; [unrolled: 1-line block ×16, first 2 shown]
	v_pack_b32_f16 v13, v17, v13
	v_pack_b32_f16 v12, v16, v12
	;; [unrolled: 1-line block ×8, first 2 shown]
	buffer_store_dwordx4 v[10:13], v48, s[28:31], 0 offen
	;;#ASMSTART
	s_nop 0
	;;#ASMEND
	buffer_store_dwordx4 v[14:17], v48, s[28:31], 16 offen
	;;#ASMSTART
	s_nop 0
	;;#ASMEND
.LBB649_10:
	s_or_b64 exec, exec, s[8:9]
.LBB649_11:
	s_waitcnt vmcnt(3)
	v_mul_f32_e32 v10, v27, v27
	v_fmac_f32_e32 v10, v26, v26
	v_fmac_f32_e32 v10, v30, v30
	;; [unrolled: 1-line block ×15, first 2 shown]
	v_and_b32_e32 v12, 63, v0
	v_cmp_eq_u32_e64 s[8:9], 63, v12
	v_mov_b32_dpp v11, v10 quad_perm:[1,0,3,2] row_mask:0xf bank_mask:0xf
	v_add_f32_e32 v10, v10, v11
	s_nop 1
	v_mov_b32_dpp v11, v10 quad_perm:[2,3,0,1] row_mask:0xf bank_mask:0xf
	v_add_f32_e32 v10, v10, v11
	s_nop 1
	v_mov_b32_dpp v11, v10 row_half_mirror row_mask:0xf bank_mask:0xf
	v_add_f32_e32 v10, v10, v11
	s_nop 1
	v_mov_b32_dpp v11, v10 row_mirror row_mask:0xf bank_mask:0xf
	v_add_f32_e32 v10, v10, v11
	s_nop 1
	v_mov_b32_dpp v11, v10 row_bcast:15 row_mask:0xf bank_mask:0xf
	v_add_f32_e32 v10, v10, v11
	s_nop 1
	v_mov_b32_dpp v11, v10 row_bcast:31 row_mask:0xf bank_mask:0xf
	s_and_saveexec_b64 s[14:15], s[8:9]
	s_cbranch_execz .LBB649_13
; %bb.12:
	v_add_f32_e32 v10, v10, v11
	v_lshrrev_b32_e32 v11, 4, v0
	v_and_b32_e32 v11, 60, v11
	ds_write_b32 v11, v10 offset:8
.LBB649_13:
	s_or_b64 exec, exec, s[14:15]
	v_and_b32_e32 v10, 1, v0
	v_lshlrev_b32_e32 v34, 2, v10
	s_waitcnt lgkmcnt(0)
	s_barrier
	ds_read_b32 v10, v34 offset:8
	s_load_dwordx2 s[14:15], s[4:5], 0x18
	s_waitcnt lgkmcnt(0)
	v_mov_b32_dpp v11, v10 quad_perm:[1,0,3,2] row_mask:0xf bank_mask:0xf
	s_and_saveexec_b64 s[26:27], s[0:1]
	s_cbranch_execnz .LBB649_18
; %bb.14:
	s_or_b64 exec, exec, s[26:27]
	s_mov_b64 s[2:3], -1
	s_and_b64 vcc, exec, s[22:23]
	s_cbranch_vccnz .LBB649_19
.LBB649_15:
	s_andn2_b64 vcc, exec, s[2:3]
	s_cbranch_vccz .LBB649_22
.LBB649_16:
	s_cmp_lt_i32 s16, 1
	s_cbranch_scc0 .LBB649_25
.LBB649_17:
	s_endpgm
.LBB649_18:
	v_cvt_f32_u32_e32 v12, s7
	v_add_f32_e32 v10, v10, v11
	s_waitcnt vmcnt(2)
	v_mov_b32_e32 v14, s13
	v_mov_b32_e32 v15, s12
	v_div_scale_f32 v11, s[28:29], v12, v12, v10
	v_rcp_f32_e32 v13, v11
	v_cndmask_b32_e64 v14, v14, v15, s[2:3]
	s_mov_b32 s2, 0x800000
	v_fma_f32 v15, -v11, v13, 1.0
	v_fmac_f32_e32 v13, v15, v13
	v_div_scale_f32 v15, vcc, v10, v12, v10
	v_mul_f32_e32 v16, v15, v13
	v_fma_f32 v17, -v11, v16, v15
	v_fmac_f32_e32 v16, v17, v13
	v_fma_f32 v11, -v11, v16, v15
	v_div_fmas_f32 v11, v11, v13, v16
	v_div_fixup_f32 v10, v11, v12, v10
	v_add_f32_e32 v10, v14, v10
	v_mul_f32_e32 v11, 0x4b800000, v10
	v_cmp_gt_f32_e32 vcc, s2, v10
	v_cndmask_b32_e32 v10, v10, v11, vcc
	v_rsq_f32_e32 v10, v10
	v_mul_f32_e32 v11, 0x45800000, v10
	v_cndmask_b32_e32 v10, v10, v11, vcc
	v_mov_b32_e32 v11, v10
	;;#ASMSTART
	v_pk_mul_f32 v[12:13], v[26:27], v[10:11]
	;;#ASMEND
	s_waitcnt vmcnt(1)
	v_cvt_f32_f16_sdwa v27, v6 dst_sel:DWORD dst_unused:UNUSED_PAD src0_sel:WORD_1
	v_cvt_f32_f16_e32 v26, v6
	;;#ASMSTART
	v_pk_mul_f32 v[14:15], v[30:31], v[10:11]
	;;#ASMEND
	;;#ASMSTART
	v_pk_mul_f32 v[16:17], v[28:29], v[10:11]
	;;#ASMEND
	v_cvt_f32_f16_sdwa v29, v7 dst_sel:DWORD dst_unused:UNUSED_PAD src0_sel:WORD_1
	v_cvt_f32_f16_e32 v28, v7
	;;#ASMSTART
	v_pk_mul_f32 v[32:33], v[32:33], v[10:11]
	;;#ASMEND
	;;#ASMSTART
	v_pk_mul_f32 v[20:21], v[20:21], v[10:11]
	;;#ASMEND
	;; [unrolled: 3-line block ×5, first 2 shown]
	v_pk_add_f32 v[10:11], v[26:27], 1.0 op_sel_hi:[1,0]
	;;#ASMSTART
	v_pk_mul_f32 v[26:27], v[12:13], v[10:11]
	;;#ASMEND
	v_cvt_f32_f16_sdwa v13, v8 dst_sel:DWORD dst_unused:UNUSED_PAD src0_sel:WORD_1
	v_cvt_f32_f16_e32 v12, v8
	v_cvt_f32_f16_sdwa v19, v9 dst_sel:DWORD dst_unused:UNUSED_PAD src0_sel:WORD_1
	v_cvt_f32_f16_e32 v18, v9
	v_pk_add_f32 v[10:11], v[28:29], 1.0 op_sel_hi:[1,0]
	;;#ASMSTART
	v_pk_mul_f32 v[30:31], v[14:15], v[10:11]
	;;#ASMEND
	s_waitcnt vmcnt(0)
	v_cvt_f32_f16_sdwa v11, v2 dst_sel:DWORD dst_unused:UNUSED_PAD src0_sel:WORD_1
	v_cvt_f32_f16_e32 v10, v2
	v_pk_add_f32 v[8:9], v[12:13], 1.0 op_sel_hi:[1,0]
	;;#ASMSTART
	v_pk_mul_f32 v[28:29], v[16:17], v[8:9]
	;;#ASMEND
	v_pk_add_f32 v[8:9], v[18:19], 1.0 op_sel_hi:[1,0]
	v_cvt_f32_f16_sdwa v13, v3 dst_sel:DWORD dst_unused:UNUSED_PAD src0_sel:WORD_1
	v_cvt_f32_f16_e32 v12, v3
	;;#ASMSTART
	v_pk_mul_f32 v[32:33], v[32:33], v[8:9]
	;;#ASMEND
	v_cvt_f32_f16_sdwa v9, v4 dst_sel:DWORD dst_unused:UNUSED_PAD src0_sel:WORD_1
	v_cvt_f32_f16_e32 v8, v4
	v_pk_add_f32 v[2:3], v[10:11], 1.0 op_sel_hi:[1,0]
	v_cvt_f32_f16_sdwa v11, v5 dst_sel:DWORD dst_unused:UNUSED_PAD src0_sel:WORD_1
	v_cvt_f32_f16_e32 v10, v5
	;;#ASMSTART
	v_pk_mul_f32 v[20:21], v[20:21], v[2:3]
	;;#ASMEND
	v_pk_add_f32 v[2:3], v[12:13], 1.0 op_sel_hi:[1,0]
	;;#ASMSTART
	v_pk_mul_f32 v[24:25], v[24:25], v[2:3]
	;;#ASMEND
	v_pk_add_f32 v[2:3], v[8:9], 1.0 op_sel_hi:[1,0]
	;;#ASMSTART
	v_pk_mul_f32 v[22:23], v[22:23], v[2:3]
	;;#ASMEND
	v_pk_add_f32 v[2:3], v[10:11], 1.0 op_sel_hi:[1,0]
	;;#ASMSTART
	v_pk_mul_f32 v[18:19], v[6:7], v[2:3]
	;;#ASMEND
	s_or_b64 exec, exec, s[26:27]
	s_mov_b64 s[2:3], -1
	s_and_b64 vcc, exec, s[22:23]
	s_cbranch_vccz .LBB649_15
.LBB649_19:
	s_and_saveexec_b64 s[2:3], s[0:1]
	s_cbranch_execz .LBB649_21
; %bb.20:
	s_mul_hi_i32 s23, s25, s6
	s_mul_i32 s22, s25, s6
	s_waitcnt vmcnt(0)
	v_cvt_f16_f32_e32 v2, v26
	v_cvt_f16_f32_e32 v3, v30
	;; [unrolled: 1-line block ×8, first 2 shown]
	s_lshl_b64 s[22:23], s[22:23], 1
	s_add_u32 s28, s14, s22
	s_addc_u32 s7, s15, s23
	s_and_b32 s29, s7, 0xffff
	s_mov_b32 s31, 0x20000
	v_pack_b32_f16 v5, v5, v6
	v_pack_b32_f16 v4, v4, v7
	v_pack_b32_f16 v3, v3, v8
	v_pack_b32_f16 v2, v2, v9
	v_lshlrev_b32_e32 v6, 5, v0
	buffer_store_dwordx4 v[2:5], v6, s[28:31], 0 offen
	v_cvt_f16_f32_e32 v7, v19
	v_cvt_f16_f32_e32 v2, v20
	;; [unrolled: 1-line block ×8, first 2 shown]
	v_pack_b32_f16 v5, v5, v7
	v_pack_b32_f16 v4, v4, v8
	;; [unrolled: 1-line block ×4, first 2 shown]
	;;#ASMSTART
	s_nop 0
	;;#ASMEND
	buffer_store_dwordx4 v[2:5], v6, s[28:31], 16 offen
	;;#ASMSTART
	s_nop 0
	;;#ASMEND
.LBB649_21:
	s_or_b64 exec, exec, s[2:3]
	s_cbranch_execnz .LBB649_16
.LBB649_22:
	s_and_saveexec_b64 s[2:3], s[0:1]
	s_cbranch_execz .LBB649_24
; %bb.23:
	s_load_dwordx2 s[0:1], s[4:5], 0x10
	s_mul_hi_i32 s23, s24, s6
	s_mul_i32 s22, s24, s6
	s_waitcnt vmcnt(0)
	v_cvt_f16_f32_e32 v2, v26
	v_cvt_f16_f32_e32 v3, v30
	;; [unrolled: 1-line block ×8, first 2 shown]
	s_lshl_b64 s[22:23], s[22:23], 1
	s_waitcnt lgkmcnt(0)
	s_add_u32 s28, s0, s22
	s_addc_u32 s0, s1, s23
	s_mov_b32 s31, 0x20000
	s_and_b32 s29, s0, 0xffff
	v_pack_b32_f16 v5, v5, v6
	v_pack_b32_f16 v4, v4, v7
	;; [unrolled: 1-line block ×4, first 2 shown]
	v_lshlrev_b32_e32 v6, 5, v0
	buffer_store_dwordx4 v[2:5], v6, s[28:31], 0 offen
	v_cvt_f16_f32_e32 v7, v19
	v_cvt_f16_f32_e32 v2, v20
	;; [unrolled: 1-line block ×8, first 2 shown]
	v_pack_b32_f16 v5, v5, v7
	v_pack_b32_f16 v4, v4, v8
	;; [unrolled: 1-line block ×4, first 2 shown]
	;;#ASMSTART
	s_nop 0
	;;#ASMEND
	buffer_store_dwordx4 v[2:5], v6, s[28:31], 16 offen
	;;#ASMSTART
	s_nop 0
	;;#ASMEND
.LBB649_24:
	s_or_b64 exec, exec, s[2:3]
	s_cmp_lt_i32 s16, 1
	s_cbranch_scc1 .LBB649_17
.LBB649_25:
	s_load_dword s0, s[4:5], 0x94
	s_waitcnt lgkmcnt(0)
	s_cmp_lg_u32 s0, 1
	s_cbranch_scc1 .LBB649_17
; %bb.26:
	s_lshl_b32 s0, s16, 1
	s_add_i32 s0, s0, 2
	v_cmp_gt_u32_e32 vcc, s16, v1
	s_and_b32 s22, s0, -4
	v_mov_b32_e32 v18, 0
	v_lshlrev_b32_e32 v1, 5, v0
	s_waitcnt vmcnt(2)
	v_mov_b32_e32 v14, 0
	v_mov_b32_e32 v15, 0
	;; [unrolled: 1-line block ×8, first 2 shown]
	s_waitcnt vmcnt(1)
	v_mov_b32_e32 v6, 0
	v_mov_b32_e32 v7, 0
	;; [unrolled: 1-line block ×4, first 2 shown]
	s_waitcnt vmcnt(0)
	v_mov_b32_e32 v2, 0
	v_mov_b32_e32 v3, 0
	;; [unrolled: 1-line block ×4, first 2 shown]
	s_barrier
	s_and_saveexec_b64 s[0:1], vcc
	s_cbranch_execz .LBB649_28
; %bb.27:
	s_mul_hi_i32 s3, s18, s6
	s_mul_i32 s2, s18, s6
	s_and_b32 s21, s21, 0xffff
	s_lshl_b64 s[2:3], s[2:3], 1
	s_add_u32 s28, s10, s2
	s_mov_b32 s23, 0x20000
	s_addc_u32 s2, s11, s3
	s_and_b32 s29, s2, 0xffff
	s_mov_b32 s30, s22
	s_mov_b32 s31, s23
	buffer_load_dwordx4 v[14:17], v1, s[28:31], 0 offen
	buffer_load_dwordx4 v[10:13], v1, s[28:31], 16 offen
	;; [unrolled: 1-line block ×4, first 2 shown]
.LBB649_28:
	s_or_b64 exec, exec, s[0:1]
	v_mov_b32_e32 v19, 0
	v_mov_b32_e32 v32, 0
	;; [unrolled: 1-line block ×15, first 2 shown]
	s_and_saveexec_b64 s[0:1], vcc
	s_cbranch_execz .LBB649_30
; %bb.29:
	s_waitcnt vmcnt(3)
	v_cvt_f32_f16_sdwa v19, v14 dst_sel:DWORD dst_unused:UNUSED_PAD src0_sel:WORD_1
	v_cvt_f32_f16_e32 v18, v14
	v_cvt_f32_f16_sdwa v33, v15 dst_sel:DWORD dst_unused:UNUSED_PAD src0_sel:WORD_1
	v_cvt_f32_f16_e32 v32, v15
	;; [unrolled: 2-line block ×4, first 2 shown]
	s_waitcnt vmcnt(2)
	v_cvt_f32_f16_sdwa v27, v10 dst_sel:DWORD dst_unused:UNUSED_PAD src0_sel:WORD_1
	v_cvt_f32_f16_e32 v26, v10
	v_cvt_f32_f16_sdwa v25, v11 dst_sel:DWORD dst_unused:UNUSED_PAD src0_sel:WORD_1
	v_cvt_f32_f16_e32 v24, v11
	;; [unrolled: 2-line block ×4, first 2 shown]
.LBB649_30:
	s_or_b64 exec, exec, s[0:1]
	s_waitcnt vmcnt(2)
	v_mul_f32_e32 v10, v19, v19
	v_fmac_f32_e32 v10, v18, v18
	v_fmac_f32_e32 v10, v32, v32
	;; [unrolled: 1-line block ×15, first 2 shown]
	s_nop 1
	v_mov_b32_dpp v11, v10 quad_perm:[1,0,3,2] row_mask:0xf bank_mask:0xf
	v_add_f32_e32 v10, v10, v11
	s_nop 1
	v_mov_b32_dpp v11, v10 quad_perm:[2,3,0,1] row_mask:0xf bank_mask:0xf
	v_add_f32_e32 v10, v10, v11
	s_nop 1
	v_mov_b32_dpp v11, v10 row_half_mirror row_mask:0xf bank_mask:0xf
	v_add_f32_e32 v10, v10, v11
	s_nop 1
	v_mov_b32_dpp v11, v10 row_mirror row_mask:0xf bank_mask:0xf
	v_add_f32_e32 v10, v10, v11
	s_nop 1
	v_mov_b32_dpp v11, v10 row_bcast:15 row_mask:0xf bank_mask:0xf
	v_add_f32_e32 v10, v10, v11
	s_nop 1
	v_mov_b32_dpp v11, v10 row_bcast:31 row_mask:0xf bank_mask:0xf
	s_and_saveexec_b64 s[0:1], s[8:9]
	s_cbranch_execz .LBB649_32
; %bb.31:
	v_lshrrev_b32_e32 v0, 4, v0
	v_add_f32_e32 v10, v10, v11
	v_and_b32_e32 v0, 60, v0
	ds_write_b32 v0, v10
.LBB649_32:
	s_or_b64 exec, exec, s[0:1]
	s_waitcnt lgkmcnt(0)
	s_barrier
	ds_read_b32 v0, v34
	s_waitcnt lgkmcnt(0)
	s_nop 0
	v_mov_b32_dpp v10, v0 quad_perm:[1,0,3,2] row_mask:0xf bank_mask:0xf
	s_and_saveexec_b64 s[0:1], vcc
	s_cbranch_execz .LBB649_17
; %bb.33:
	v_cvt_f32_u32_e32 v11, s16
	v_add_f32_e32 v0, v0, v10
	s_mov_b32 s23, 0x20000
	v_div_scale_f32 v10, s[0:1], v11, v11, v0
	v_rcp_f32_e32 v12, v10
	v_div_scale_f32 v13, vcc, v0, v11, v0
	s_mov_b32 s0, 0x800000
	v_fma_f32 v14, -v10, v12, 1.0
	v_fmac_f32_e32 v12, v14, v12
	v_mul_f32_e32 v14, v13, v12
	v_fma_f32 v15, -v10, v14, v13
	v_fmac_f32_e32 v14, v15, v12
	v_fma_f32 v10, -v10, v14, v13
	v_div_fmas_f32 v10, v10, v12, v14
	v_div_fixup_f32 v0, v10, v11, v0
	v_add_f32_e32 v0, s13, v0
	v_mul_f32_e32 v10, 0x4b800000, v0
	v_cmp_gt_f32_e32 vcc, s0, v0
	v_cndmask_b32_e32 v0, v0, v10, vcc
	v_rsq_f32_e32 v0, v0
	s_mul_hi_i32 s1, s25, s6
	s_mul_i32 s0, s25, s6
	s_lshl_b64 s[0:1], s[0:1], 1
	v_mul_f32_e32 v10, 0x45800000, v0
	v_cndmask_b32_e32 v10, v0, v10, vcc
	v_mov_b32_e32 v11, v10
	;;#ASMSTART
	v_pk_mul_f32 v[12:13], v[18:19], v[10:11]
	;;#ASMEND
	;;#ASMSTART
	v_pk_mul_f32 v[14:15], v[32:33], v[10:11]
	;;#ASMEND
	;;#ASMSTART
	v_pk_mul_f32 v[16:17], v[30:31], v[10:11]
	;;#ASMEND
	;;#ASMSTART
	v_pk_mul_f32 v[18:19], v[28:29], v[10:11]
	;;#ASMEND
	s_waitcnt vmcnt(1)
	v_cvt_f32_f16_sdwa v29, v6 dst_sel:DWORD dst_unused:UNUSED_PAD src0_sel:WORD_1
	v_cvt_f32_f16_e32 v28, v6
	v_cvt_f32_f16_sdwa v31, v7 dst_sel:DWORD dst_unused:UNUSED_PAD src0_sel:WORD_1
	v_cvt_f32_f16_e32 v30, v7
	;;#ASMSTART
	v_pk_mul_f32 v[26:27], v[26:27], v[10:11]
	;;#ASMEND
	;;#ASMSTART
	v_pk_mul_f32 v[24:25], v[24:25], v[10:11]
	;;#ASMEND
	;; [unrolled: 3-line block ×4, first 2 shown]
	v_cvt_f32_f16_sdwa v21, v8 dst_sel:DWORD dst_unused:UNUSED_PAD src0_sel:WORD_1
	v_cvt_f32_f16_e32 v20, v8
	v_pk_add_f32 v[10:11], v[28:29], 1.0 op_sel_hi:[1,0]
	;;#ASMSTART
	v_pk_mul_f32 v[10:11], v[12:13], v[10:11]
	;;#ASMEND
	v_pk_add_f32 v[12:13], v[30:31], 1.0 op_sel_hi:[1,0]
	v_cvt_f32_f16_sdwa v29, v9 dst_sel:DWORD dst_unused:UNUSED_PAD src0_sel:WORD_1
	v_cvt_f32_f16_e32 v28, v9
	;;#ASMSTART
	v_pk_mul_f32 v[8:9], v[14:15], v[12:13]
	;;#ASMEND
	v_pk_add_f32 v[12:13], v[20:21], 1.0 op_sel_hi:[1,0]
	;;#ASMSTART
	v_pk_mul_f32 v[12:13], v[16:17], v[12:13]
	;;#ASMEND
	s_waitcnt vmcnt(0)
	v_cvt_f32_f16_sdwa v17, v2 dst_sel:DWORD dst_unused:UNUSED_PAD src0_sel:WORD_1
	v_cvt_f32_f16_e32 v16, v2
	v_cvt_f32_f16_sdwa v21, v3 dst_sel:DWORD dst_unused:UNUSED_PAD src0_sel:WORD_1
	v_cvt_f32_f16_e32 v20, v3
	v_pk_add_f32 v[14:15], v[28:29], 1.0 op_sel_hi:[1,0]
	;;#ASMSTART
	v_pk_mul_f32 v[2:3], v[18:19], v[14:15]
	;;#ASMEND
	v_cvt_f32_f16_sdwa v19, v4 dst_sel:DWORD dst_unused:UNUSED_PAD src0_sel:WORD_1
	v_cvt_f32_f16_e32 v18, v4
	v_pk_add_f32 v[14:15], v[16:17], 1.0 op_sel_hi:[1,0]
	v_pk_add_f32 v[16:17], v[20:21], 1.0 op_sel_hi:[1,0]
	v_cvt_f32_f16_sdwa v21, v5 dst_sel:DWORD dst_unused:UNUSED_PAD src0_sel:WORD_1
	v_cvt_f32_f16_e32 v20, v5
	v_pk_add_f32 v[4:5], v[18:19], 1.0 op_sel_hi:[1,0]
	;;#ASMSTART
	v_pk_mul_f32 v[14:15], v[26:27], v[14:15]
	;;#ASMEND
	;;#ASMSTART
	v_pk_mul_f32 v[16:17], v[24:25], v[16:17]
	;;#ASMEND
	;; [unrolled: 3-line block ×3, first 2 shown]
	v_pk_add_f32 v[4:5], v[20:21], 1.0 op_sel_hi:[1,0]
	;;#ASMSTART
	v_pk_mul_f32 v[6:7], v[6:7], v[4:5]
	;;#ASMEND
	v_cvt_f16_f32_e32 v0, v10
	v_cvt_f16_f32_e32 v4, v11
	v_cvt_f16_f32_e32 v5, v8
	v_cvt_f16_f32_e32 v8, v9
	v_cvt_f16_f32_e32 v9, v12
	v_cvt_f16_f32_e32 v10, v13
	v_cvt_f16_f32_e32 v11, v2
	v_cvt_f16_f32_e32 v12, v3
	s_add_u32 s20, s14, s0
	s_addc_u32 s0, s15, s1
	s_and_b32 s21, s0, 0xffff
	v_pack_b32_f16 v2, v0, v4
	v_pack_b32_f16 v3, v5, v8
	;; [unrolled: 1-line block ×4, first 2 shown]
	buffer_store_dwordx4 v[2:5], v1, s[20:23], 0 offen
	v_cvt_f16_f32_e32 v0, v14
	v_cvt_f16_f32_e32 v2, v15
	;; [unrolled: 1-line block ×8, first 2 shown]
	v_pack_b32_f16 v2, v0, v2
	v_pack_b32_f16 v3, v3, v4
	;; [unrolled: 1-line block ×4, first 2 shown]
	;;#ASMSTART
	s_nop 0
	;;#ASMEND
	buffer_store_dwordx4 v[2:5], v1, s[20:23], 16 offen
	;;#ASMSTART
	s_nop 0
	;;#ASMEND
	s_endpgm
	.section	.rodata,"a",@progbits
	.p2align	6, 0x0
	.amdhsa_kernel _ZN5aiter35fused_qk_rmsnorm_group_quant_kernelIDF16_DB8_Li128ELi16ELi4ELb1ELb1ELb1ELb1ELb0ELb0EEEvPT0_PvPT_S6_S6_PKS5_S8_S8_S8_S8_ffiiiiiiiiiiiii
		.amdhsa_group_segment_fixed_size 16
		.amdhsa_private_segment_fixed_size 0
		.amdhsa_kernarg_size 400
		.amdhsa_user_sgpr_count 6
		.amdhsa_user_sgpr_private_segment_buffer 1
		.amdhsa_user_sgpr_dispatch_ptr 0
		.amdhsa_user_sgpr_queue_ptr 0
		.amdhsa_user_sgpr_kernarg_segment_ptr 1
		.amdhsa_user_sgpr_dispatch_id 0
		.amdhsa_user_sgpr_flat_scratch_init 0
		.amdhsa_user_sgpr_kernarg_preload_length 0
		.amdhsa_user_sgpr_kernarg_preload_offset 0
		.amdhsa_user_sgpr_private_segment_size 0
		.amdhsa_uses_dynamic_stack 0
		.amdhsa_system_sgpr_private_segment_wavefront_offset 0
		.amdhsa_system_sgpr_workgroup_id_x 1
		.amdhsa_system_sgpr_workgroup_id_y 1
		.amdhsa_system_sgpr_workgroup_id_z 0
		.amdhsa_system_sgpr_workgroup_info 0
		.amdhsa_system_vgpr_workitem_id 0
		.amdhsa_next_free_vgpr 49
		.amdhsa_next_free_sgpr 32
		.amdhsa_accum_offset 52
		.amdhsa_reserve_vcc 1
		.amdhsa_reserve_flat_scratch 0
		.amdhsa_float_round_mode_32 0
		.amdhsa_float_round_mode_16_64 0
		.amdhsa_float_denorm_mode_32 3
		.amdhsa_float_denorm_mode_16_64 3
		.amdhsa_dx10_clamp 1
		.amdhsa_ieee_mode 1
		.amdhsa_fp16_overflow 0
		.amdhsa_tg_split 0
		.amdhsa_exception_fp_ieee_invalid_op 0
		.amdhsa_exception_fp_denorm_src 0
		.amdhsa_exception_fp_ieee_div_zero 0
		.amdhsa_exception_fp_ieee_overflow 0
		.amdhsa_exception_fp_ieee_underflow 0
		.amdhsa_exception_fp_ieee_inexact 0
		.amdhsa_exception_int_div_zero 0
	.end_amdhsa_kernel
	.section	.text._ZN5aiter35fused_qk_rmsnorm_group_quant_kernelIDF16_DB8_Li128ELi16ELi4ELb1ELb1ELb1ELb1ELb0ELb0EEEvPT0_PvPT_S6_S6_PKS5_S8_S8_S8_S8_ffiiiiiiiiiiiii,"axG",@progbits,_ZN5aiter35fused_qk_rmsnorm_group_quant_kernelIDF16_DB8_Li128ELi16ELi4ELb1ELb1ELb1ELb1ELb0ELb0EEEvPT0_PvPT_S6_S6_PKS5_S8_S8_S8_S8_ffiiiiiiiiiiiii,comdat
.Lfunc_end649:
	.size	_ZN5aiter35fused_qk_rmsnorm_group_quant_kernelIDF16_DB8_Li128ELi16ELi4ELb1ELb1ELb1ELb1ELb0ELb0EEEvPT0_PvPT_S6_S6_PKS5_S8_S8_S8_S8_ffiiiiiiiiiiiii, .Lfunc_end649-_ZN5aiter35fused_qk_rmsnorm_group_quant_kernelIDF16_DB8_Li128ELi16ELi4ELb1ELb1ELb1ELb1ELb0ELb0EEEvPT0_PvPT_S6_S6_PKS5_S8_S8_S8_S8_ffiiiiiiiiiiiii
                                        ; -- End function
	.section	.AMDGPU.csdata,"",@progbits
; Kernel info:
; codeLenInByte = 3576
; NumSgprs: 36
; NumVgprs: 49
; NumAgprs: 0
; TotalNumVgprs: 49
; ScratchSize: 0
; MemoryBound: 0
; FloatMode: 240
; IeeeMode: 1
; LDSByteSize: 16 bytes/workgroup (compile time only)
; SGPRBlocks: 4
; VGPRBlocks: 6
; NumSGPRsForWavesPerEU: 36
; NumVGPRsForWavesPerEU: 49
; AccumOffset: 52
; Occupancy: 8
; WaveLimiterHint : 0
; COMPUTE_PGM_RSRC2:SCRATCH_EN: 0
; COMPUTE_PGM_RSRC2:USER_SGPR: 6
; COMPUTE_PGM_RSRC2:TRAP_HANDLER: 0
; COMPUTE_PGM_RSRC2:TGID_X_EN: 1
; COMPUTE_PGM_RSRC2:TGID_Y_EN: 1
; COMPUTE_PGM_RSRC2:TGID_Z_EN: 0
; COMPUTE_PGM_RSRC2:TIDIG_COMP_CNT: 0
; COMPUTE_PGM_RSRC3_GFX90A:ACCUM_OFFSET: 12
; COMPUTE_PGM_RSRC3_GFX90A:TG_SPLIT: 0
	.section	.text._ZN5aiter35fused_qk_rmsnorm_group_quant_kernelItDB8_Li128ELi16ELi4ELb1ELb1ELb1ELb1ELb0ELb0EEEvPT0_PvPT_S6_S6_PKS5_S8_S8_S8_S8_ffiiiiiiiiiiiii,"axG",@progbits,_ZN5aiter35fused_qk_rmsnorm_group_quant_kernelItDB8_Li128ELi16ELi4ELb1ELb1ELb1ELb1ELb0ELb0EEEvPT0_PvPT_S6_S6_PKS5_S8_S8_S8_S8_ffiiiiiiiiiiiii,comdat
	.protected	_ZN5aiter35fused_qk_rmsnorm_group_quant_kernelItDB8_Li128ELi16ELi4ELb1ELb1ELb1ELb1ELb0ELb0EEEvPT0_PvPT_S6_S6_PKS5_S8_S8_S8_S8_ffiiiiiiiiiiiii ; -- Begin function _ZN5aiter35fused_qk_rmsnorm_group_quant_kernelItDB8_Li128ELi16ELi4ELb1ELb1ELb1ELb1ELb0ELb0EEEvPT0_PvPT_S6_S6_PKS5_S8_S8_S8_S8_ffiiiiiiiiiiiii
	.globl	_ZN5aiter35fused_qk_rmsnorm_group_quant_kernelItDB8_Li128ELi16ELi4ELb1ELb1ELb1ELb1ELb0ELb0EEEvPT0_PvPT_S6_S6_PKS5_S8_S8_S8_S8_ffiiiiiiiiiiiii
	.p2align	8
	.type	_ZN5aiter35fused_qk_rmsnorm_group_quant_kernelItDB8_Li128ELi16ELi4ELb1ELb1ELb1ELb1ELb0ELb0EEEvPT0_PvPT_S6_S6_PKS5_S8_S8_S8_S8_ffiiiiiiiiiiiii,@function
_ZN5aiter35fused_qk_rmsnorm_group_quant_kernelItDB8_Li128ELi16ELi4ELb1ELb1ELb1ELb1ELb0ELb0EEEvPT0_PvPT_S6_S6_PKS5_S8_S8_S8_S8_ffiiiiiiiiiiiii: ; @_ZN5aiter35fused_qk_rmsnorm_group_quant_kernelItDB8_Li128ELi16ELi4ELb1ELb1ELb1ELb1ELb0ELb0EEEvPT0_PvPT_S6_S6_PKS5_S8_S8_S8_S8_ffiiiiiiiiiiiii
; %bb.0:
	s_load_dwordx8 s[12:19], s[4:5], 0x50
	s_waitcnt lgkmcnt(0)
	s_cmp_ge_i32 s6, s14
	s_cbranch_scc1 .LBB650_17
; %bb.1:
	s_cmp_lg_u32 s7, 0
	s_cselect_b64 s[22:23], -1, 0
	s_cmp_eq_u32 s7, 0
	s_cselect_b64 s[2:3], -1, 0
	s_and_b64 s[0:1], s[2:3], exec
	s_cselect_b32 s7, s15, s16
	s_load_dwordx2 s[10:11], s[4:5], 0x30
	s_load_dwordx2 s[20:21], s[4:5], 0x48
	s_add_i32 s0, s7, 1
	s_lshr_b32 s1, s0, 31
	s_add_i32 s0, s0, s1
	s_lshl_b32 s0, s0, 1
	v_lshlrev_b32_e32 v1, 4, v0
	s_and_b32 s30, s0, -4
	v_cmp_gt_i32_e64 s[0:1], s7, v1
	v_mov_b32_e32 v62, 0
	v_mov_b32_e32 v63, 0
	;; [unrolled: 1-line block ×16, first 2 shown]
	s_and_saveexec_b64 s[8:9], s[0:1]
	s_cbranch_execz .LBB650_3
; %bb.2:
	s_load_dwordx2 s[14:15], s[4:5], 0x28
	s_load_dwordx2 s[26:27], s[4:5], 0x40
	s_and_b64 s[24:25], s[2:3], exec
	s_cselect_b32 s17, s17, s18
	s_mov_b32 s31, 0x20000
	s_waitcnt lgkmcnt(0)
	s_cselect_b32 s25, s15, s11
	s_cselect_b32 s24, s14, s10
	s_mul_hi_i32 s15, s17, s6
	s_mul_i32 s14, s17, s6
	s_lshl_b64 s[14:15], s[14:15], 1
	s_add_u32 s24, s24, s14
	s_addc_u32 s17, s25, s15
	s_and_b64 s[14:15], s[2:3], exec
	s_cselect_b32 s28, s26, s20
	s_cselect_b32 s14, s27, s21
	s_and_b32 s25, s17, 0xffff
	s_mov_b32 s26, s30
	s_mov_b32 s27, s31
	v_lshlrev_b32_e32 v2, 5, v0
	s_and_b32 s29, s14, 0xffff
	buffer_load_dwordx4 v[66:69], v2, s[24:27], 0 offen
	buffer_load_dwordx4 v[70:73], v2, s[24:27], 16 offen
	;; [unrolled: 1-line block ×4, first 2 shown]
.LBB650_3:
	s_or_b64 exec, exec, s[8:9]
	s_load_dwordx4 s[24:27], s[4:5], 0x7c
	s_and_b64 vcc, exec, s[22:23]
	s_cbranch_vccz .LBB650_7
; %bb.4:
	v_mov_b32_e32 v75, 0
	v_mov_b32_e32 v74, 0
	;; [unrolled: 1-line block ×16, first 2 shown]
	s_and_saveexec_b64 s[8:9], s[0:1]
	s_cbranch_execz .LBB650_6
; %bb.5:
	s_waitcnt vmcnt(3)
	v_cvt_f32_u32_sdwa v2, v66 dst_sel:DWORD dst_unused:UNUSED_PAD src0_sel:WORD_0
	v_cvt_f32_u32_sdwa v3, v66 dst_sel:DWORD dst_unused:UNUSED_PAD src0_sel:WORD_1
	v_cvt_f32_u32_sdwa v6, v67 dst_sel:DWORD dst_unused:UNUSED_PAD src0_sel:WORD_0
	v_cvt_f32_u32_sdwa v7, v67 dst_sel:DWORD dst_unused:UNUSED_PAD src0_sel:WORD_1
	;; [unrolled: 2-line block ×4, first 2 shown]
	s_waitcnt vmcnt(2)
	v_cvt_f32_u32_sdwa v50, v70 dst_sel:DWORD dst_unused:UNUSED_PAD src0_sel:WORD_0
	v_cvt_f32_u32_sdwa v51, v70 dst_sel:DWORD dst_unused:UNUSED_PAD src0_sel:WORD_1
	v_cvt_f32_u32_sdwa v24, v71 dst_sel:DWORD dst_unused:UNUSED_PAD src0_sel:WORD_0
	v_cvt_f32_u32_sdwa v25, v71 dst_sel:DWORD dst_unused:UNUSED_PAD src0_sel:WORD_1
	;; [unrolled: 2-line block ×4, first 2 shown]
.LBB650_6:
	s_or_b64 exec, exec, s[8:9]
	s_cbranch_execz .LBB650_8
	s_branch .LBB650_11
.LBB650_7:
                                        ; implicit-def: $vgpr2_vgpr3_vgpr4_vgpr5_vgpr6_vgpr7_vgpr8_vgpr9_vgpr10_vgpr11_vgpr12_vgpr13_vgpr14_vgpr15_vgpr16_vgpr17
                                        ; implicit-def: $vgpr36_vgpr37_vgpr38_vgpr39_vgpr40_vgpr41_vgpr42_vgpr43_vgpr44_vgpr45_vgpr46_vgpr47_vgpr48_vgpr49_vgpr50_vgpr51
                                        ; implicit-def: $vgpr4_vgpr5_vgpr6_vgpr7_vgpr8_vgpr9_vgpr10_vgpr11_vgpr12_vgpr13_vgpr14_vgpr15_vgpr16_vgpr17_vgpr18_vgpr19
                                        ; implicit-def: $vgpr24_vgpr25_vgpr26_vgpr27_vgpr28_vgpr29_vgpr30_vgpr31_vgpr32_vgpr33_vgpr34_vgpr35_vgpr36_vgpr37_vgpr38_vgpr39
                                        ; implicit-def: $vgpr75
                                        ; implicit-def: $vgpr42_vgpr43_vgpr44_vgpr45_vgpr46_vgpr47_vgpr48_vgpr49_vgpr50_vgpr51_vgpr52_vgpr53_vgpr54_vgpr55_vgpr56_vgpr57
                                        ; implicit-def: $vgpr14_vgpr15_vgpr16_vgpr17_vgpr18_vgpr19_vgpr20_vgpr21_vgpr22_vgpr23_vgpr24_vgpr25_vgpr26_vgpr27_vgpr28_vgpr29
                                        ; implicit-def: $vgpr8_vgpr9_vgpr10_vgpr11_vgpr12_vgpr13_vgpr14_vgpr15_vgpr16_vgpr17_vgpr18_vgpr19_vgpr20_vgpr21_vgpr22_vgpr23
.LBB650_8:
	v_mov_b32_e32 v75, 0
	v_mov_b32_e32 v74, 0
	v_mov_b32_e32 v21, 0
	v_mov_b32_e32 v20, 0
	v_mov_b32_e32 v25, 0
	v_mov_b32_e32 v24, 0
	v_mov_b32_e32 v51, 0
	v_mov_b32_e32 v50, 0
	v_mov_b32_e32 v31, 0
	v_mov_b32_e32 v30, 0
	v_mov_b32_e32 v41, 0
	v_mov_b32_e32 v40, 0
	v_mov_b32_e32 v7, 0
	v_mov_b32_e32 v6, 0
	v_mov_b32_e32 v3, 0
	v_mov_b32_e32 v2, 0
	s_and_saveexec_b64 s[8:9], s[0:1]
	s_cbranch_execz .LBB650_10
; %bb.9:
	s_load_dwordx2 s[14:15], s[4:5], 0x38
	s_mul_hi_i32 s29, s19, s6
	s_mul_i32 s28, s19, s6
	s_lshl_b64 s[28:29], s[28:29], 1
	s_mov_b32 s31, 0x20000
	s_waitcnt lgkmcnt(0)
	s_add_u32 s28, s14, s28
	s_addc_u32 s14, s15, s29
	s_and_b32 s29, s14, 0xffff
	v_lshlrev_b32_e32 v38, 5, v0
	buffer_load_dwordx4 v[6:9], v38, s[28:31], 16 offen
	buffer_load_dwordx4 v[10:13], v38, s[28:31], 0 offen
	s_load_dwordx2 s[14:15], s[4:5], 0x20
	s_waitcnt vmcnt(5)
	v_cvt_f32_u32_sdwa v3, v66 dst_sel:DWORD dst_unused:UNUSED_PAD src0_sel:WORD_1
	v_cvt_f32_u32_sdwa v2, v66 dst_sel:DWORD dst_unused:UNUSED_PAD src0_sel:WORD_0
	v_cvt_f32_u32_sdwa v21, v67 dst_sel:DWORD dst_unused:UNUSED_PAD src0_sel:WORD_1
	v_cvt_f32_u32_sdwa v20, v67 dst_sel:DWORD dst_unused:UNUSED_PAD src0_sel:WORD_0
	;; [unrolled: 2-line block ×4, first 2 shown]
	s_waitcnt vmcnt(4)
	v_cvt_f32_u32_sdwa v5, v70 dst_sel:DWORD dst_unused:UNUSED_PAD src0_sel:WORD_1
	v_cvt_f32_u32_sdwa v4, v70 dst_sel:DWORD dst_unused:UNUSED_PAD src0_sel:WORD_0
	v_cvt_f32_u32_sdwa v15, v71 dst_sel:DWORD dst_unused:UNUSED_PAD src0_sel:WORD_1
	v_cvt_f32_u32_sdwa v14, v71 dst_sel:DWORD dst_unused:UNUSED_PAD src0_sel:WORD_0
	;; [unrolled: 2-line block ×3, first 2 shown]
	v_cvt_f32_u32_sdwa v18, v73 dst_sel:DWORD dst_unused:UNUSED_PAD src0_sel:WORD_0
	v_cvt_f32_u32_sdwa v19, v73 dst_sel:DWORD dst_unused:UNUSED_PAD src0_sel:WORD_1
	s_mul_hi_i32 s27, s26, s6
	s_mul_i32 s26, s26, s6
	s_lshl_b64 s[26:27], s[26:27], 1
	s_waitcnt lgkmcnt(0)
	s_add_u32 s28, s14, s26
	s_mov_b32 s17, 0x7060302
	s_addc_u32 s14, s15, s27
	s_and_b32 s29, s14, 0xffff
	s_waitcnt vmcnt(1)
	v_cvt_f32_u32_sdwa v27, v6 dst_sel:DWORD dst_unused:UNUSED_PAD src0_sel:WORD_1
	v_cvt_f32_u32_sdwa v26, v6 dst_sel:DWORD dst_unused:UNUSED_PAD src0_sel:WORD_0
	v_cvt_f32_u32_sdwa v29, v7 dst_sel:DWORD dst_unused:UNUSED_PAD src0_sel:WORD_1
	v_cvt_f32_u32_sdwa v28, v7 dst_sel:DWORD dst_unused:UNUSED_PAD src0_sel:WORD_0
	;; [unrolled: 2-line block ×3, first 2 shown]
	v_cvt_f32_u32_sdwa v34, v9 dst_sel:DWORD dst_unused:UNUSED_PAD src0_sel:WORD_0
	v_cvt_f32_u32_sdwa v35, v9 dst_sel:DWORD dst_unused:UNUSED_PAD src0_sel:WORD_1
	s_waitcnt vmcnt(0)
	v_cvt_f32_u32_sdwa v37, v10 dst_sel:DWORD dst_unused:UNUSED_PAD src0_sel:WORD_1
	v_cvt_f32_u32_sdwa v36, v10 dst_sel:DWORD dst_unused:UNUSED_PAD src0_sel:WORD_0
	v_cvt_f32_u32_sdwa v7, v12 dst_sel:DWORD dst_unused:UNUSED_PAD src0_sel:WORD_1
	v_cvt_f32_u32_sdwa v6, v12 dst_sel:DWORD dst_unused:UNUSED_PAD src0_sel:WORD_0
	;; [unrolled: 2-line block ×4, first 2 shown]
	v_pk_add_f32 v[40:41], v[22:23], v[6:7]
	v_pk_add_f32 v[30:31], v[24:25], v[8:9]
	;; [unrolled: 1-line block ×4, first 2 shown]
	v_perm_b32 v11, v31, v30, s17
	v_perm_b32 v10, v41, v40, s17
	;; [unrolled: 1-line block ×4, first 2 shown]
	v_pk_add_f32 v[74:75], v[18:19], v[34:35]
	v_pk_add_f32 v[20:21], v[16:17], v[32:33]
	;; [unrolled: 1-line block ×4, first 2 shown]
	buffer_store_dwordx4 v[8:11], v38, s[28:31], 0 offen
	;;#ASMSTART
	s_nop 0
	;;#ASMEND
	s_nop 0
	v_perm_b32 v11, v75, v74, s17
	v_perm_b32 v10, v21, v20, s17
	;; [unrolled: 1-line block ×4, first 2 shown]
	buffer_store_dwordx4 v[8:11], v38, s[28:31], 16 offen
	;;#ASMSTART
	s_nop 0
	;;#ASMEND
.LBB650_10:
	s_or_b64 exec, exec, s[8:9]
.LBB650_11:
	v_mul_f32_e32 v4, v3, v3
	v_fmac_f32_e32 v4, v2, v2
	v_fmac_f32_e32 v4, v6, v6
	;; [unrolled: 1-line block ×15, first 2 shown]
	s_nop 1
	v_mov_b32_dpp v5, v4 quad_perm:[1,0,3,2] row_mask:0xf bank_mask:0xf
	v_add_f32_e32 v4, v4, v5
	s_nop 1
	v_mov_b32_dpp v5, v4 quad_perm:[2,3,0,1] row_mask:0xf bank_mask:0xf
	v_add_f32_e32 v4, v4, v5
	s_nop 1
	v_mov_b32_dpp v5, v4 row_half_mirror row_mask:0xf bank_mask:0xf
	v_add_f32_e32 v4, v4, v5
	s_nop 1
	v_mov_b32_dpp v5, v4 row_mirror row_mask:0xf bank_mask:0xf
	v_add_f32_e32 v4, v4, v5
	s_nop 1
	v_mov_b32_dpp v5, v4 row_bcast:15 row_mask:0xf bank_mask:0xf
	v_add_f32_e32 v4, v4, v5
	v_and_b32_e32 v5, 63, v0
	v_cmp_eq_u32_e64 s[8:9], 63, v5
	s_nop 0
	v_mov_b32_dpp v5, v4 row_bcast:31 row_mask:0xf bank_mask:0xf
	s_and_saveexec_b64 s[14:15], s[8:9]
	s_cbranch_execz .LBB650_13
; %bb.12:
	v_add_f32_e32 v4, v4, v5
	v_lshrrev_b32_e32 v5, 4, v0
	v_and_b32_e32 v5, 60, v5
	ds_write_b32 v5, v4 offset:8
.LBB650_13:
	s_or_b64 exec, exec, s[14:15]
	v_and_b32_e32 v4, 1, v0
	v_lshlrev_b32_e32 v34, 2, v4
	s_waitcnt lgkmcnt(0)
	s_barrier
	ds_read_b32 v4, v34 offset:8
	s_load_dwordx2 s[14:15], s[4:5], 0x18
	s_waitcnt lgkmcnt(0)
	v_mov_b32_dpp v5, v4 quad_perm:[1,0,3,2] row_mask:0xf bank_mask:0xf
	s_and_saveexec_b64 s[26:27], s[0:1]
	s_cbranch_execnz .LBB650_18
; %bb.14:
	s_or_b64 exec, exec, s[26:27]
	s_mov_b64 s[2:3], -1
	s_and_b64 vcc, exec, s[22:23]
	s_cbranch_vccnz .LBB650_19
.LBB650_15:
	s_andn2_b64 vcc, exec, s[2:3]
	s_cbranch_vccz .LBB650_22
.LBB650_16:
	s_cmp_lt_i32 s16, 1
	s_cbranch_scc0 .LBB650_25
.LBB650_17:
	s_endpgm
.LBB650_18:
	v_add_f32_e32 v4, v4, v5
	v_cvt_f32_u32_e32 v5, s7
	s_waitcnt vmcnt(1)
	v_cvt_f32_u32_sdwa v15, v62 dst_sel:DWORD dst_unused:UNUSED_PAD src0_sel:WORD_1
	v_cvt_f32_u32_sdwa v14, v62 dst_sel:DWORD dst_unused:UNUSED_PAD src0_sel:WORD_0
	v_cvt_f32_u32_sdwa v23, v65 dst_sel:DWORD dst_unused:UNUSED_PAD src0_sel:WORD_1
	v_div_scale_f32 v8, s[28:29], v5, v5, v4
	v_rcp_f32_e32 v9, v8
	v_pk_add_f32 v[14:15], v[14:15], 1.0 op_sel_hi:[1,0]
	v_cvt_f32_u32_sdwa v22, v65 dst_sel:DWORD dst_unused:UNUSED_PAD src0_sel:WORD_0
	s_waitcnt vmcnt(0)
	v_cvt_f32_u32_sdwa v27, v60 dst_sel:DWORD dst_unused:UNUSED_PAD src0_sel:WORD_1
	v_fma_f32 v10, -v8, v9, 1.0
	v_fmac_f32_e32 v9, v10, v9
	v_div_scale_f32 v10, vcc, v4, v5, v4
	v_mul_f32_e32 v11, v10, v9
	v_fma_f32 v12, -v8, v11, v10
	v_fmac_f32_e32 v11, v12, v9
	v_fma_f32 v8, -v8, v11, v10
	v_div_fmas_f32 v8, v8, v9, v11
	v_div_fixup_f32 v4, v8, v5, v4
	v_mov_b32_e32 v5, s13
	v_mov_b32_e32 v8, s12
	v_cndmask_b32_e64 v5, v5, v8, s[2:3]
	v_add_f32_e32 v4, v5, v4
	s_mov_b32 s2, 0x800000
	v_mul_f32_e32 v5, 0x4b800000, v4
	v_cmp_gt_f32_e32 vcc, s2, v4
	v_cndmask_b32_e32 v4, v4, v5, vcc
	v_rsq_f32_e32 v4, v4
	v_cvt_f32_u32_sdwa v26, v60 dst_sel:DWORD dst_unused:UNUSED_PAD src0_sel:WORD_0
	v_cvt_f32_u32_sdwa v29, v61 dst_sel:DWORD dst_unused:UNUSED_PAD src0_sel:WORD_1
	v_cvt_f32_u32_sdwa v28, v61 dst_sel:DWORD dst_unused:UNUSED_PAD src0_sel:WORD_0
	v_mul_f32_e32 v5, 0x45800000, v4
	v_cndmask_b32_e32 v4, v4, v5, vcc
	v_mov_b32_e32 v5, v4
	;;#ASMSTART
	v_pk_mul_f32 v[2:3], v[2:3], v[4:5]
	;;#ASMEND
	;;#ASMSTART
	v_pk_mul_f32 v[6:7], v[6:7], v[4:5]
	;;#ASMEND
	;; [unrolled: 3-line block ×9, first 2 shown]
	v_cvt_f32_u32_sdwa v15, v63 dst_sel:DWORD dst_unused:UNUSED_PAD src0_sel:WORD_1
	v_cvt_f32_u32_sdwa v14, v63 dst_sel:DWORD dst_unused:UNUSED_PAD src0_sel:WORD_0
	v_cvt_f32_u32_sdwa v21, v64 dst_sel:DWORD dst_unused:UNUSED_PAD src0_sel:WORD_1
	v_cvt_f32_u32_sdwa v20, v64 dst_sel:DWORD dst_unused:UNUSED_PAD src0_sel:WORD_0
	v_cvt_f32_u32_sdwa v25, v59 dst_sel:DWORD dst_unused:UNUSED_PAD src0_sel:WORD_1
	v_pk_add_f32 v[14:15], v[14:15], 1.0 op_sel_hi:[1,0]
	v_cvt_f32_u32_sdwa v24, v59 dst_sel:DWORD dst_unused:UNUSED_PAD src0_sel:WORD_0
	;;#ASMSTART
	v_pk_mul_f32 v[6:7], v[6:7], v[14:15]
	;;#ASMEND
	v_pk_add_f32 v[14:15], v[20:21], 1.0 op_sel_hi:[1,0]
	v_pk_add_f32 v[20:21], v[22:23], 1.0 op_sel_hi:[1,0]
	v_cvt_f32_u32_sdwa v23, v58 dst_sel:DWORD dst_unused:UNUSED_PAD src0_sel:WORD_1
	v_cvt_f32_u32_sdwa v22, v58 dst_sel:DWORD dst_unused:UNUSED_PAD src0_sel:WORD_0
	v_pk_add_f32 v[24:25], v[24:25], 1.0 op_sel_hi:[1,0]
	v_pk_add_f32 v[26:27], v[26:27], 1.0 op_sel_hi:[1,0]
	;; [unrolled: 1-line block ×4, first 2 shown]
	;;#ASMSTART
	v_pk_mul_f32 v[40:41], v[8:9], v[14:15]
	;;#ASMEND
	;;#ASMSTART
	v_pk_mul_f32 v[30:31], v[10:11], v[20:21]
	;;#ASMEND
	;; [unrolled: 3-line block ×6, first 2 shown]
	s_or_b64 exec, exec, s[26:27]
	s_mov_b64 s[2:3], -1
	s_and_b64 vcc, exec, s[22:23]
	s_cbranch_vccz .LBB650_15
.LBB650_19:
	s_and_saveexec_b64 s[2:3], s[0:1]
	s_cbranch_execz .LBB650_21
; %bb.20:
	s_mul_hi_i32 s23, s25, s6
	s_mul_i32 s22, s25, s6
	s_lshl_b64 s[22:23], s[22:23], 1
	s_add_u32 s28, s14, s22
	s_addc_u32 s7, s15, s23
	s_and_b32 s29, s7, 0xffff
	s_mov_b32 s7, 0x7060302
	s_mov_b32 s31, 0x20000
	v_perm_b32 v11, v31, v30, s7
	v_perm_b32 v10, v41, v40, s7
	;; [unrolled: 1-line block ×4, first 2 shown]
	v_lshlrev_b32_e32 v4, 5, v0
	buffer_store_dwordx4 v[8:11], v4, s[28:31], 0 offen
	;;#ASMSTART
	s_nop 0
	;;#ASMEND
	s_nop 0
	v_perm_b32 v11, v75, v74, s7
	v_perm_b32 v10, v21, v20, s7
	;; [unrolled: 1-line block ×4, first 2 shown]
	buffer_store_dwordx4 v[8:11], v4, s[28:31], 16 offen
	;;#ASMSTART
	s_nop 0
	;;#ASMEND
.LBB650_21:
	s_or_b64 exec, exec, s[2:3]
	s_cbranch_execnz .LBB650_16
.LBB650_22:
	s_and_saveexec_b64 s[2:3], s[0:1]
	s_cbranch_execz .LBB650_24
; %bb.23:
	s_load_dwordx2 s[0:1], s[4:5], 0x10
	s_mul_hi_i32 s23, s24, s6
	s_mul_i32 s22, s24, s6
	s_lshl_b64 s[22:23], s[22:23], 1
	s_mov_b32 s7, 0x7060302
	s_waitcnt lgkmcnt(0)
	s_add_u32 s28, s0, s22
	s_addc_u32 s0, s1, s23
	v_perm_b32 v9, v31, v30, s7
	v_perm_b32 v8, v41, v40, s7
	;; [unrolled: 1-line block ×4, first 2 shown]
	s_and_b32 s29, s0, 0xffff
	s_mov_b32 s31, 0x20000
	v_lshlrev_b32_e32 v10, 5, v0
	v_perm_b32 v5, v75, v74, s7
	v_perm_b32 v4, v21, v20, s7
	;; [unrolled: 1-line block ×4, first 2 shown]
	buffer_store_dwordx4 v[6:9], v10, s[28:31], 0 offen
	;;#ASMSTART
	s_nop 0
	;;#ASMEND
	buffer_store_dwordx4 v[2:5], v10, s[28:31], 16 offen
	;;#ASMSTART
	s_nop 0
	;;#ASMEND
.LBB650_24:
	s_or_b64 exec, exec, s[2:3]
	s_cmp_lt_i32 s16, 1
	s_cbranch_scc1 .LBB650_17
.LBB650_25:
	s_load_dword s0, s[4:5], 0x94
	s_waitcnt lgkmcnt(0)
	s_cmp_lg_u32 s0, 1
	s_cbranch_scc1 .LBB650_17
; %bb.26:
	s_lshl_b32 s0, s16, 1
	s_add_i32 s0, s0, 2
	v_cmp_gt_u32_e32 vcc, s16, v1
	s_and_b32 s22, s0, -4
	v_mov_b32_e32 v18, 0
	v_lshlrev_b32_e32 v1, 5, v0
	v_mov_b32_e32 v14, 0
	v_mov_b32_e32 v15, 0
	;; [unrolled: 1-line block ×16, first 2 shown]
	s_barrier
	s_and_saveexec_b64 s[0:1], vcc
	s_cbranch_execz .LBB650_28
; %bb.27:
	s_mul_hi_i32 s3, s18, s6
	s_mul_i32 s2, s18, s6
	s_and_b32 s21, s21, 0xffff
	s_lshl_b64 s[2:3], s[2:3], 1
	s_add_u32 s28, s10, s2
	s_mov_b32 s23, 0x20000
	s_addc_u32 s2, s11, s3
	s_and_b32 s29, s2, 0xffff
	s_mov_b32 s30, s22
	s_mov_b32 s31, s23
	buffer_load_dwordx4 v[14:17], v1, s[28:31], 0 offen
	buffer_load_dwordx4 v[10:13], v1, s[28:31], 16 offen
	;; [unrolled: 1-line block ×4, first 2 shown]
.LBB650_28:
	s_or_b64 exec, exec, s[0:1]
	v_mov_b32_e32 v19, 0
	v_mov_b32_e32 v32, 0
	;; [unrolled: 1-line block ×15, first 2 shown]
	s_and_saveexec_b64 s[0:1], vcc
	s_cbranch_execz .LBB650_30
; %bb.29:
	s_waitcnt vmcnt(3)
	v_cvt_f32_u32_sdwa v18, v14 dst_sel:DWORD dst_unused:UNUSED_PAD src0_sel:WORD_0
	v_cvt_f32_u32_sdwa v19, v14 dst_sel:DWORD dst_unused:UNUSED_PAD src0_sel:WORD_1
	v_cvt_f32_u32_sdwa v32, v15 dst_sel:DWORD dst_unused:UNUSED_PAD src0_sel:WORD_0
	v_cvt_f32_u32_sdwa v33, v15 dst_sel:DWORD dst_unused:UNUSED_PAD src0_sel:WORD_1
	v_cvt_f32_u32_sdwa v30, v16 dst_sel:DWORD dst_unused:UNUSED_PAD src0_sel:WORD_0
	v_cvt_f32_u32_sdwa v31, v16 dst_sel:DWORD dst_unused:UNUSED_PAD src0_sel:WORD_1
	v_cvt_f32_u32_sdwa v28, v17 dst_sel:DWORD dst_unused:UNUSED_PAD src0_sel:WORD_0
	v_cvt_f32_u32_sdwa v29, v17 dst_sel:DWORD dst_unused:UNUSED_PAD src0_sel:WORD_1
	s_waitcnt vmcnt(2)
	v_cvt_f32_u32_sdwa v26, v10 dst_sel:DWORD dst_unused:UNUSED_PAD src0_sel:WORD_0
	v_cvt_f32_u32_sdwa v27, v10 dst_sel:DWORD dst_unused:UNUSED_PAD src0_sel:WORD_1
	v_cvt_f32_u32_sdwa v24, v11 dst_sel:DWORD dst_unused:UNUSED_PAD src0_sel:WORD_0
	v_cvt_f32_u32_sdwa v25, v11 dst_sel:DWORD dst_unused:UNUSED_PAD src0_sel:WORD_1
	;; [unrolled: 2-line block ×4, first 2 shown]
.LBB650_30:
	s_or_b64 exec, exec, s[0:1]
	s_waitcnt vmcnt(2)
	v_mul_f32_e32 v10, v19, v19
	v_fmac_f32_e32 v10, v18, v18
	v_fmac_f32_e32 v10, v32, v32
	;; [unrolled: 1-line block ×15, first 2 shown]
	s_nop 1
	v_mov_b32_dpp v11, v10 quad_perm:[1,0,3,2] row_mask:0xf bank_mask:0xf
	v_add_f32_e32 v10, v10, v11
	s_nop 1
	v_mov_b32_dpp v11, v10 quad_perm:[2,3,0,1] row_mask:0xf bank_mask:0xf
	v_add_f32_e32 v10, v10, v11
	s_nop 1
	v_mov_b32_dpp v11, v10 row_half_mirror row_mask:0xf bank_mask:0xf
	v_add_f32_e32 v10, v10, v11
	s_nop 1
	v_mov_b32_dpp v11, v10 row_mirror row_mask:0xf bank_mask:0xf
	v_add_f32_e32 v10, v10, v11
	s_nop 1
	v_mov_b32_dpp v11, v10 row_bcast:15 row_mask:0xf bank_mask:0xf
	v_add_f32_e32 v10, v10, v11
	s_nop 1
	v_mov_b32_dpp v11, v10 row_bcast:31 row_mask:0xf bank_mask:0xf
	s_and_saveexec_b64 s[0:1], s[8:9]
	s_cbranch_execz .LBB650_32
; %bb.31:
	v_lshrrev_b32_e32 v0, 4, v0
	v_add_f32_e32 v10, v10, v11
	v_and_b32_e32 v0, 60, v0
	ds_write_b32 v0, v10
.LBB650_32:
	s_or_b64 exec, exec, s[0:1]
	s_waitcnt lgkmcnt(0)
	s_barrier
	ds_read_b32 v0, v34
	s_waitcnt lgkmcnt(0)
	s_nop 0
	v_mov_b32_dpp v10, v0 quad_perm:[1,0,3,2] row_mask:0xf bank_mask:0xf
	s_and_saveexec_b64 s[0:1], vcc
	s_cbranch_execz .LBB650_17
; %bb.33:
	v_cvt_f32_u32_e32 v11, s16
	v_add_f32_e32 v0, v0, v10
	s_mov_b32 s23, 0x20000
	v_div_scale_f32 v10, s[0:1], v11, v11, v0
	v_rcp_f32_e32 v12, v10
	v_div_scale_f32 v13, vcc, v0, v11, v0
	s_mov_b32 s0, 0x800000
	v_fma_f32 v14, -v10, v12, 1.0
	v_fmac_f32_e32 v12, v14, v12
	v_mul_f32_e32 v14, v13, v12
	v_fma_f32 v15, -v10, v14, v13
	v_fmac_f32_e32 v14, v15, v12
	v_fma_f32 v10, -v10, v14, v13
	v_div_fmas_f32 v10, v10, v12, v14
	v_div_fixup_f32 v0, v10, v11, v0
	v_add_f32_e32 v0, s13, v0
	v_mul_f32_e32 v10, 0x4b800000, v0
	v_cmp_gt_f32_e32 vcc, s0, v0
	v_cndmask_b32_e32 v0, v0, v10, vcc
	v_rsq_f32_e32 v0, v0
	s_mul_hi_i32 s1, s25, s6
	s_mul_i32 s0, s25, s6
	s_lshl_b64 s[0:1], s[0:1], 1
	v_mul_f32_e32 v10, 0x45800000, v0
	v_cndmask_b32_e32 v10, v0, v10, vcc
	v_mov_b32_e32 v11, v10
	;;#ASMSTART
	v_pk_mul_f32 v[12:13], v[18:19], v[10:11]
	;;#ASMEND
	;;#ASMSTART
	v_pk_mul_f32 v[14:15], v[32:33], v[10:11]
	;;#ASMEND
	;; [unrolled: 3-line block ×4, first 2 shown]
	s_waitcnt vmcnt(1)
	v_cvt_f32_u32_sdwa v29, v6 dst_sel:DWORD dst_unused:UNUSED_PAD src0_sel:WORD_1
	v_cvt_f32_u32_sdwa v28, v6 dst_sel:DWORD dst_unused:UNUSED_PAD src0_sel:WORD_0
	v_cvt_f32_u32_sdwa v31, v7 dst_sel:DWORD dst_unused:UNUSED_PAD src0_sel:WORD_1
	v_cvt_f32_u32_sdwa v30, v7 dst_sel:DWORD dst_unused:UNUSED_PAD src0_sel:WORD_0
	;;#ASMSTART
	v_pk_mul_f32 v[26:27], v[26:27], v[10:11]
	;;#ASMEND
	;;#ASMSTART
	v_pk_mul_f32 v[24:25], v[24:25], v[10:11]
	;;#ASMEND
	;; [unrolled: 3-line block ×4, first 2 shown]
	v_cvt_f32_u32_sdwa v21, v8 dst_sel:DWORD dst_unused:UNUSED_PAD src0_sel:WORD_1
	v_cvt_f32_u32_sdwa v20, v8 dst_sel:DWORD dst_unused:UNUSED_PAD src0_sel:WORD_0
	v_pk_add_f32 v[10:11], v[28:29], 1.0 op_sel_hi:[1,0]
	;;#ASMSTART
	v_pk_mul_f32 v[10:11], v[12:13], v[10:11]
	;;#ASMEND
	v_pk_add_f32 v[12:13], v[30:31], 1.0 op_sel_hi:[1,0]
	v_cvt_f32_u32_sdwa v29, v9 dst_sel:DWORD dst_unused:UNUSED_PAD src0_sel:WORD_1
	v_cvt_f32_u32_sdwa v28, v9 dst_sel:DWORD dst_unused:UNUSED_PAD src0_sel:WORD_0
	;;#ASMSTART
	v_pk_mul_f32 v[8:9], v[14:15], v[12:13]
	;;#ASMEND
	v_pk_add_f32 v[12:13], v[20:21], 1.0 op_sel_hi:[1,0]
	;;#ASMSTART
	v_pk_mul_f32 v[12:13], v[16:17], v[12:13]
	;;#ASMEND
	s_waitcnt vmcnt(0)
	v_cvt_f32_u32_sdwa v17, v2 dst_sel:DWORD dst_unused:UNUSED_PAD src0_sel:WORD_1
	v_cvt_f32_u32_sdwa v16, v2 dst_sel:DWORD dst_unused:UNUSED_PAD src0_sel:WORD_0
	v_cvt_f32_u32_sdwa v21, v3 dst_sel:DWORD dst_unused:UNUSED_PAD src0_sel:WORD_1
	v_cvt_f32_u32_sdwa v20, v3 dst_sel:DWORD dst_unused:UNUSED_PAD src0_sel:WORD_0
	v_pk_add_f32 v[14:15], v[28:29], 1.0 op_sel_hi:[1,0]
	;;#ASMSTART
	v_pk_mul_f32 v[14:15], v[18:19], v[14:15]
	;;#ASMEND
	v_pk_add_f32 v[2:3], v[16:17], 1.0 op_sel_hi:[1,0]
	v_cvt_f32_u32_sdwa v19, v4 dst_sel:DWORD dst_unused:UNUSED_PAD src0_sel:WORD_1
	v_cvt_f32_u32_sdwa v18, v4 dst_sel:DWORD dst_unused:UNUSED_PAD src0_sel:WORD_0
	;;#ASMSTART
	v_pk_mul_f32 v[16:17], v[26:27], v[2:3]
	;;#ASMEND
	v_pk_add_f32 v[2:3], v[20:21], 1.0 op_sel_hi:[1,0]
	v_cvt_f32_u32_sdwa v21, v5 dst_sel:DWORD dst_unused:UNUSED_PAD src0_sel:WORD_1
	v_cvt_f32_u32_sdwa v20, v5 dst_sel:DWORD dst_unused:UNUSED_PAD src0_sel:WORD_0
	s_add_u32 s20, s14, s0
	;;#ASMSTART
	v_pk_mul_f32 v[24:25], v[24:25], v[2:3]
	;;#ASMEND
	v_pk_add_f32 v[2:3], v[18:19], 1.0 op_sel_hi:[1,0]
	s_addc_u32 s0, s15, s1
	;;#ASMSTART
	v_pk_mul_f32 v[18:19], v[22:23], v[2:3]
	;;#ASMEND
	v_pk_add_f32 v[2:3], v[20:21], 1.0 op_sel_hi:[1,0]
	s_and_b32 s21, s0, 0xffff
	s_mov_b32 s0, 0x7060302
	;;#ASMSTART
	v_pk_mul_f32 v[6:7], v[6:7], v[2:3]
	;;#ASMEND
	v_perm_b32 v2, v11, v10, s0
	v_perm_b32 v3, v9, v8, s0
	;; [unrolled: 1-line block ×4, first 2 shown]
	buffer_store_dwordx4 v[2:5], v1, s[20:23], 0 offen
	;;#ASMSTART
	s_nop 0
	;;#ASMEND
	s_nop 0
	v_perm_b32 v2, v17, v16, s0
	v_perm_b32 v3, v25, v24, s0
	;; [unrolled: 1-line block ×4, first 2 shown]
	buffer_store_dwordx4 v[2:5], v1, s[20:23], 16 offen
	;;#ASMSTART
	s_nop 0
	;;#ASMEND
	s_endpgm
	.section	.rodata,"a",@progbits
	.p2align	6, 0x0
	.amdhsa_kernel _ZN5aiter35fused_qk_rmsnorm_group_quant_kernelItDB8_Li128ELi16ELi4ELb1ELb1ELb1ELb1ELb0ELb0EEEvPT0_PvPT_S6_S6_PKS5_S8_S8_S8_S8_ffiiiiiiiiiiiii
		.amdhsa_group_segment_fixed_size 16
		.amdhsa_private_segment_fixed_size 0
		.amdhsa_kernarg_size 400
		.amdhsa_user_sgpr_count 6
		.amdhsa_user_sgpr_private_segment_buffer 1
		.amdhsa_user_sgpr_dispatch_ptr 0
		.amdhsa_user_sgpr_queue_ptr 0
		.amdhsa_user_sgpr_kernarg_segment_ptr 1
		.amdhsa_user_sgpr_dispatch_id 0
		.amdhsa_user_sgpr_flat_scratch_init 0
		.amdhsa_user_sgpr_kernarg_preload_length 0
		.amdhsa_user_sgpr_kernarg_preload_offset 0
		.amdhsa_user_sgpr_private_segment_size 0
		.amdhsa_uses_dynamic_stack 0
		.amdhsa_system_sgpr_private_segment_wavefront_offset 0
		.amdhsa_system_sgpr_workgroup_id_x 1
		.amdhsa_system_sgpr_workgroup_id_y 1
		.amdhsa_system_sgpr_workgroup_id_z 0
		.amdhsa_system_sgpr_workgroup_info 0
		.amdhsa_system_vgpr_workitem_id 0
		.amdhsa_next_free_vgpr 76
		.amdhsa_next_free_sgpr 32
		.amdhsa_accum_offset 76
		.amdhsa_reserve_vcc 1
		.amdhsa_reserve_flat_scratch 0
		.amdhsa_float_round_mode_32 0
		.amdhsa_float_round_mode_16_64 0
		.amdhsa_float_denorm_mode_32 3
		.amdhsa_float_denorm_mode_16_64 3
		.amdhsa_dx10_clamp 1
		.amdhsa_ieee_mode 1
		.amdhsa_fp16_overflow 0
		.amdhsa_tg_split 0
		.amdhsa_exception_fp_ieee_invalid_op 0
		.amdhsa_exception_fp_denorm_src 0
		.amdhsa_exception_fp_ieee_div_zero 0
		.amdhsa_exception_fp_ieee_overflow 0
		.amdhsa_exception_fp_ieee_underflow 0
		.amdhsa_exception_fp_ieee_inexact 0
		.amdhsa_exception_int_div_zero 0
	.end_amdhsa_kernel
	.section	.text._ZN5aiter35fused_qk_rmsnorm_group_quant_kernelItDB8_Li128ELi16ELi4ELb1ELb1ELb1ELb1ELb0ELb0EEEvPT0_PvPT_S6_S6_PKS5_S8_S8_S8_S8_ffiiiiiiiiiiiii,"axG",@progbits,_ZN5aiter35fused_qk_rmsnorm_group_quant_kernelItDB8_Li128ELi16ELi4ELb1ELb1ELb1ELb1ELb0ELb0EEEvPT0_PvPT_S6_S6_PKS5_S8_S8_S8_S8_ffiiiiiiiiiiiii,comdat
.Lfunc_end650:
	.size	_ZN5aiter35fused_qk_rmsnorm_group_quant_kernelItDB8_Li128ELi16ELi4ELb1ELb1ELb1ELb1ELb0ELb0EEEvPT0_PvPT_S6_S6_PKS5_S8_S8_S8_S8_ffiiiiiiiiiiiii, .Lfunc_end650-_ZN5aiter35fused_qk_rmsnorm_group_quant_kernelItDB8_Li128ELi16ELi4ELb1ELb1ELb1ELb1ELb0ELb0EEEvPT0_PvPT_S6_S6_PKS5_S8_S8_S8_S8_ffiiiiiiiiiiiii
                                        ; -- End function
	.section	.AMDGPU.csdata,"",@progbits
; Kernel info:
; codeLenInByte = 3536
; NumSgprs: 36
; NumVgprs: 76
; NumAgprs: 0
; TotalNumVgprs: 76
; ScratchSize: 0
; MemoryBound: 0
; FloatMode: 240
; IeeeMode: 1
; LDSByteSize: 16 bytes/workgroup (compile time only)
; SGPRBlocks: 4
; VGPRBlocks: 9
; NumSGPRsForWavesPerEU: 36
; NumVGPRsForWavesPerEU: 76
; AccumOffset: 76
; Occupancy: 6
; WaveLimiterHint : 0
; COMPUTE_PGM_RSRC2:SCRATCH_EN: 0
; COMPUTE_PGM_RSRC2:USER_SGPR: 6
; COMPUTE_PGM_RSRC2:TRAP_HANDLER: 0
; COMPUTE_PGM_RSRC2:TGID_X_EN: 1
; COMPUTE_PGM_RSRC2:TGID_Y_EN: 1
; COMPUTE_PGM_RSRC2:TGID_Z_EN: 0
; COMPUTE_PGM_RSRC2:TIDIG_COMP_CNT: 0
; COMPUTE_PGM_RSRC3_GFX90A:ACCUM_OFFSET: 18
; COMPUTE_PGM_RSRC3_GFX90A:TG_SPLIT: 0
	.section	.text._ZN5aiter35fused_qk_rmsnorm_group_quant_kernelIDF16_N4opus5fp4_tELi128ELi16ELi4ELb1ELb1ELb1ELb1ELb0ELb0EEEvPT0_PvPT_S7_S7_PKS6_S9_S9_S9_S9_ffiiiiiiiiiiiii,"axG",@progbits,_ZN5aiter35fused_qk_rmsnorm_group_quant_kernelIDF16_N4opus5fp4_tELi128ELi16ELi4ELb1ELb1ELb1ELb1ELb0ELb0EEEvPT0_PvPT_S7_S7_PKS6_S9_S9_S9_S9_ffiiiiiiiiiiiii,comdat
	.protected	_ZN5aiter35fused_qk_rmsnorm_group_quant_kernelIDF16_N4opus5fp4_tELi128ELi16ELi4ELb1ELb1ELb1ELb1ELb0ELb0EEEvPT0_PvPT_S7_S7_PKS6_S9_S9_S9_S9_ffiiiiiiiiiiiii ; -- Begin function _ZN5aiter35fused_qk_rmsnorm_group_quant_kernelIDF16_N4opus5fp4_tELi128ELi16ELi4ELb1ELb1ELb1ELb1ELb0ELb0EEEvPT0_PvPT_S7_S7_PKS6_S9_S9_S9_S9_ffiiiiiiiiiiiii
	.globl	_ZN5aiter35fused_qk_rmsnorm_group_quant_kernelIDF16_N4opus5fp4_tELi128ELi16ELi4ELb1ELb1ELb1ELb1ELb0ELb0EEEvPT0_PvPT_S7_S7_PKS6_S9_S9_S9_S9_ffiiiiiiiiiiiii
	.p2align	8
	.type	_ZN5aiter35fused_qk_rmsnorm_group_quant_kernelIDF16_N4opus5fp4_tELi128ELi16ELi4ELb1ELb1ELb1ELb1ELb0ELb0EEEvPT0_PvPT_S7_S7_PKS6_S9_S9_S9_S9_ffiiiiiiiiiiiii,@function
_ZN5aiter35fused_qk_rmsnorm_group_quant_kernelIDF16_N4opus5fp4_tELi128ELi16ELi4ELb1ELb1ELb1ELb1ELb0ELb0EEEvPT0_PvPT_S7_S7_PKS6_S9_S9_S9_S9_ffiiiiiiiiiiiii: ; @_ZN5aiter35fused_qk_rmsnorm_group_quant_kernelIDF16_N4opus5fp4_tELi128ELi16ELi4ELb1ELb1ELb1ELb1ELb0ELb0EEEvPT0_PvPT_S7_S7_PKS6_S9_S9_S9_S9_ffiiiiiiiiiiiii
; %bb.0:
	s_load_dwordx8 s[12:19], s[4:5], 0x50
	s_waitcnt lgkmcnt(0)
	s_cmp_ge_i32 s6, s14
	s_cbranch_scc1 .LBB651_17
; %bb.1:
	s_cmp_lg_u32 s7, 0
	s_cselect_b64 s[22:23], -1, 0
	s_cmp_eq_u32 s7, 0
	s_cselect_b64 s[2:3], -1, 0
	s_and_b64 s[0:1], s[2:3], exec
	s_cselect_b32 s7, s15, s16
	s_load_dwordx2 s[10:11], s[4:5], 0x30
	s_load_dwordx2 s[20:21], s[4:5], 0x48
	s_add_i32 s0, s7, 1
	s_lshr_b32 s1, s0, 31
	s_add_i32 s0, s0, s1
	s_lshl_b32 s0, s0, 1
	v_lshlrev_b32_e32 v1, 4, v0
	s_and_b32 s30, s0, -4
	v_cmp_gt_i32_e64 s[0:1], s7, v1
	v_mov_b32_e32 v6, 0
	v_mov_b32_e32 v7, 0
	;; [unrolled: 1-line block ×16, first 2 shown]
	s_and_saveexec_b64 s[8:9], s[0:1]
	s_cbranch_execz .LBB651_3
; %bb.2:
	s_load_dwordx2 s[14:15], s[4:5], 0x28
	s_load_dwordx2 s[26:27], s[4:5], 0x40
	s_and_b64 s[24:25], s[2:3], exec
	s_cselect_b32 s17, s17, s18
	s_mov_b32 s31, 0x20000
	s_waitcnt lgkmcnt(0)
	s_cselect_b32 s25, s15, s11
	s_cselect_b32 s24, s14, s10
	s_mul_hi_i32 s15, s17, s6
	s_mul_i32 s14, s17, s6
	s_lshl_b64 s[14:15], s[14:15], 1
	s_add_u32 s24, s24, s14
	s_addc_u32 s17, s25, s15
	s_and_b64 s[14:15], s[2:3], exec
	s_cselect_b32 s28, s26, s20
	s_cselect_b32 s14, s27, s21
	s_and_b32 s25, s17, 0xffff
	s_mov_b32 s26, s30
	s_mov_b32 s27, s31
	v_lshlrev_b32_e32 v18, 5, v0
	s_and_b32 s29, s14, 0xffff
	buffer_load_dwordx4 v[10:13], v18, s[24:27], 0 offen
	buffer_load_dwordx4 v[14:17], v18, s[24:27], 16 offen
	;; [unrolled: 1-line block ×4, first 2 shown]
.LBB651_3:
	s_or_b64 exec, exec, s[8:9]
	s_load_dwordx4 s[24:27], s[4:5], 0x7c
	s_and_b64 vcc, exec, s[22:23]
	s_cbranch_vccz .LBB651_7
; %bb.4:
	v_mov_b32_e32 v19, 0
	v_mov_b32_e32 v18, 0
	;; [unrolled: 1-line block ×16, first 2 shown]
	s_and_saveexec_b64 s[8:9], s[0:1]
	s_cbranch_execz .LBB651_6
; %bb.5:
	s_waitcnt vmcnt(3)
	v_cvt_f32_f16_sdwa v27, v10 dst_sel:DWORD dst_unused:UNUSED_PAD src0_sel:WORD_1
	v_cvt_f32_f16_e32 v26, v10
	v_cvt_f32_f16_sdwa v31, v11 dst_sel:DWORD dst_unused:UNUSED_PAD src0_sel:WORD_1
	v_cvt_f32_f16_e32 v30, v11
	;; [unrolled: 2-line block ×4, first 2 shown]
	s_waitcnt vmcnt(2)
	v_cvt_f32_f16_sdwa v21, v14 dst_sel:DWORD dst_unused:UNUSED_PAD src0_sel:WORD_1
	v_cvt_f32_f16_e32 v20, v14
	v_cvt_f32_f16_sdwa v25, v15 dst_sel:DWORD dst_unused:UNUSED_PAD src0_sel:WORD_1
	v_cvt_f32_f16_e32 v24, v15
	;; [unrolled: 2-line block ×4, first 2 shown]
.LBB651_6:
	s_or_b64 exec, exec, s[8:9]
	s_cbranch_execz .LBB651_8
	s_branch .LBB651_11
.LBB651_7:
                                        ; implicit-def: $vgpr19
                                        ; implicit-def: $vgpr23
                                        ; implicit-def: $vgpr25
                                        ; implicit-def: $vgpr21
                                        ; implicit-def: $vgpr33
                                        ; implicit-def: $vgpr29
                                        ; implicit-def: $vgpr31
                                        ; implicit-def: $vgpr27
.LBB651_8:
	v_mov_b32_e32 v19, 0
	v_mov_b32_e32 v18, 0
	;; [unrolled: 1-line block ×16, first 2 shown]
	s_and_saveexec_b64 s[8:9], s[0:1]
	s_cbranch_execz .LBB651_10
; %bb.9:
	s_load_dwordx2 s[14:15], s[4:5], 0x38
	s_mul_hi_i32 s29, s19, s6
	s_mul_i32 s28, s19, s6
	s_lshl_b64 s[28:29], s[28:29], 1
	s_mov_b32 s31, 0x20000
	s_waitcnt lgkmcnt(0)
	s_add_u32 s28, s14, s28
	s_addc_u32 s14, s15, s29
	s_and_b32 s29, s14, 0xffff
	v_lshlrev_b32_e32 v48, 5, v0
	buffer_load_dwordx4 v[18:21], v48, s[28:31], 16 offen
	buffer_load_dwordx4 v[22:25], v48, s[28:31], 0 offen
	s_waitcnt vmcnt(4)
	v_cvt_f32_f16_sdwa v27, v14 dst_sel:DWORD dst_unused:UNUSED_PAD src0_sel:WORD_1
	v_cvt_f32_f16_e32 v26, v14
	v_cvt_f32_f16_sdwa v29, v15 dst_sel:DWORD dst_unused:UNUSED_PAD src0_sel:WORD_1
	v_cvt_f32_f16_e32 v28, v15
	v_cvt_f32_f16_sdwa v15, v16 dst_sel:DWORD dst_unused:UNUSED_PAD src0_sel:WORD_1
	v_cvt_f32_f16_e32 v14, v16
	v_cvt_f32_f16_sdwa v31, v17 dst_sel:DWORD dst_unused:UNUSED_PAD src0_sel:WORD_1
	v_cvt_f32_f16_e32 v30, v17
	v_cvt_f32_f16_sdwa v17, v10 dst_sel:DWORD dst_unused:UNUSED_PAD src0_sel:WORD_1
	v_cvt_f32_f16_e32 v16, v10
	v_cvt_f32_f16_sdwa v33, v11 dst_sel:DWORD dst_unused:UNUSED_PAD src0_sel:WORD_1
	v_cvt_f32_f16_e32 v32, v11
	v_cvt_f32_f16_sdwa v11, v12 dst_sel:DWORD dst_unused:UNUSED_PAD src0_sel:WORD_1
	v_cvt_f32_f16_e32 v10, v12
	v_cvt_f32_f16_sdwa v35, v13 dst_sel:DWORD dst_unused:UNUSED_PAD src0_sel:WORD_1
	v_cvt_f32_f16_e32 v34, v13
	s_load_dwordx2 s[14:15], s[4:5], 0x20
	s_mul_hi_i32 s27, s26, s6
	s_mul_i32 s26, s26, s6
	s_lshl_b64 s[26:27], s[26:27], 1
	s_waitcnt lgkmcnt(0)
	s_add_u32 s28, s14, s26
	s_addc_u32 s14, s15, s27
	s_and_b32 s29, s14, 0xffff
	s_waitcnt vmcnt(1)
	v_cvt_f32_f16_e32 v12, v18
	v_cvt_f32_f16_sdwa v13, v18 dst_sel:DWORD dst_unused:UNUSED_PAD src0_sel:WORD_1
	v_cvt_f32_f16_e32 v18, v19
	v_cvt_f32_f16_sdwa v19, v19 dst_sel:DWORD dst_unused:UNUSED_PAD src0_sel:WORD_1
	;; [unrolled: 2-line block ×4, first 2 shown]
	s_waitcnt vmcnt(0)
	v_cvt_f32_f16_e32 v40, v22
	v_cvt_f32_f16_sdwa v41, v22 dst_sel:DWORD dst_unused:UNUSED_PAD src0_sel:WORD_1
	v_cvt_f32_f16_e32 v42, v23
	v_cvt_f32_f16_sdwa v43, v23 dst_sel:DWORD dst_unused:UNUSED_PAD src0_sel:WORD_1
	;; [unrolled: 2-line block ×4, first 2 shown]
	v_pk_add_f32 v[20:21], v[26:27], v[12:13]
	v_pk_add_f32 v[24:25], v[28:29], v[18:19]
	;; [unrolled: 1-line block ×8, first 2 shown]
	v_cvt_f16_f32_e32 v10, v27
	v_cvt_f16_f32_e32 v14, v26
	v_cvt_f16_f32_e32 v11, v31
	v_cvt_f16_f32_e32 v15, v30
	v_cvt_f16_f32_e32 v12, v29
	v_cvt_f16_f32_e32 v16, v28
	v_cvt_f16_f32_e32 v13, v33
	v_cvt_f16_f32_e32 v17, v32
	v_cvt_f16_f32_e32 v34, v20
	v_cvt_f16_f32_e32 v35, v21
	v_cvt_f16_f32_e32 v36, v24
	v_cvt_f16_f32_e32 v37, v25
	v_cvt_f16_f32_e32 v38, v22
	v_cvt_f16_f32_e32 v39, v23
	v_cvt_f16_f32_e32 v40, v18
	v_cvt_f16_f32_e32 v41, v19
	v_pack_b32_f16 v13, v17, v13
	v_pack_b32_f16 v12, v16, v12
	;; [unrolled: 1-line block ×8, first 2 shown]
	buffer_store_dwordx4 v[10:13], v48, s[28:31], 0 offen
	;;#ASMSTART
	s_nop 0
	;;#ASMEND
	buffer_store_dwordx4 v[14:17], v48, s[28:31], 16 offen
	;;#ASMSTART
	s_nop 0
	;;#ASMEND
.LBB651_10:
	s_or_b64 exec, exec, s[8:9]
.LBB651_11:
	s_waitcnt vmcnt(3)
	v_mul_f32_e32 v10, v27, v27
	v_fmac_f32_e32 v10, v26, v26
	v_fmac_f32_e32 v10, v30, v30
	;; [unrolled: 1-line block ×15, first 2 shown]
	v_and_b32_e32 v12, 63, v0
	v_cmp_eq_u32_e64 s[8:9], 63, v12
	v_mov_b32_dpp v11, v10 quad_perm:[1,0,3,2] row_mask:0xf bank_mask:0xf
	v_add_f32_e32 v10, v10, v11
	s_nop 1
	v_mov_b32_dpp v11, v10 quad_perm:[2,3,0,1] row_mask:0xf bank_mask:0xf
	v_add_f32_e32 v10, v10, v11
	s_nop 1
	v_mov_b32_dpp v11, v10 row_half_mirror row_mask:0xf bank_mask:0xf
	v_add_f32_e32 v10, v10, v11
	s_nop 1
	v_mov_b32_dpp v11, v10 row_mirror row_mask:0xf bank_mask:0xf
	v_add_f32_e32 v10, v10, v11
	s_nop 1
	v_mov_b32_dpp v11, v10 row_bcast:15 row_mask:0xf bank_mask:0xf
	v_add_f32_e32 v10, v10, v11
	s_nop 1
	v_mov_b32_dpp v11, v10 row_bcast:31 row_mask:0xf bank_mask:0xf
	s_and_saveexec_b64 s[14:15], s[8:9]
	s_cbranch_execz .LBB651_13
; %bb.12:
	v_add_f32_e32 v10, v10, v11
	v_lshrrev_b32_e32 v11, 4, v0
	v_and_b32_e32 v11, 60, v11
	ds_write_b32 v11, v10 offset:8
.LBB651_13:
	s_or_b64 exec, exec, s[14:15]
	v_and_b32_e32 v10, 1, v0
	v_lshlrev_b32_e32 v34, 2, v10
	s_waitcnt lgkmcnt(0)
	s_barrier
	ds_read_b32 v10, v34 offset:8
	s_load_dwordx2 s[14:15], s[4:5], 0x18
	s_waitcnt lgkmcnt(0)
	v_mov_b32_dpp v11, v10 quad_perm:[1,0,3,2] row_mask:0xf bank_mask:0xf
	s_and_saveexec_b64 s[26:27], s[0:1]
	s_cbranch_execnz .LBB651_18
; %bb.14:
	s_or_b64 exec, exec, s[26:27]
	s_mov_b64 s[2:3], -1
	s_and_b64 vcc, exec, s[22:23]
	s_cbranch_vccnz .LBB651_19
.LBB651_15:
	s_andn2_b64 vcc, exec, s[2:3]
	s_cbranch_vccz .LBB651_22
.LBB651_16:
	s_cmp_lt_i32 s16, 1
	s_cbranch_scc0 .LBB651_25
.LBB651_17:
	s_endpgm
.LBB651_18:
	v_cvt_f32_u32_e32 v12, s7
	v_add_f32_e32 v10, v10, v11
	s_waitcnt vmcnt(2)
	v_mov_b32_e32 v14, s13
	v_mov_b32_e32 v15, s12
	v_div_scale_f32 v11, s[28:29], v12, v12, v10
	v_rcp_f32_e32 v13, v11
	v_cndmask_b32_e64 v14, v14, v15, s[2:3]
	s_mov_b32 s2, 0x800000
	v_fma_f32 v15, -v11, v13, 1.0
	v_fmac_f32_e32 v13, v15, v13
	v_div_scale_f32 v15, vcc, v10, v12, v10
	v_mul_f32_e32 v16, v15, v13
	v_fma_f32 v17, -v11, v16, v15
	v_fmac_f32_e32 v16, v17, v13
	v_fma_f32 v11, -v11, v16, v15
	v_div_fmas_f32 v11, v11, v13, v16
	v_div_fixup_f32 v10, v11, v12, v10
	v_add_f32_e32 v10, v14, v10
	v_mul_f32_e32 v11, 0x4b800000, v10
	v_cmp_gt_f32_e32 vcc, s2, v10
	v_cndmask_b32_e32 v10, v10, v11, vcc
	v_rsq_f32_e32 v10, v10
	v_mul_f32_e32 v11, 0x45800000, v10
	v_cndmask_b32_e32 v10, v10, v11, vcc
	v_mov_b32_e32 v11, v10
	;;#ASMSTART
	v_pk_mul_f32 v[12:13], v[26:27], v[10:11]
	;;#ASMEND
	s_waitcnt vmcnt(1)
	v_cvt_f32_f16_sdwa v27, v6 dst_sel:DWORD dst_unused:UNUSED_PAD src0_sel:WORD_1
	v_cvt_f32_f16_e32 v26, v6
	;;#ASMSTART
	v_pk_mul_f32 v[14:15], v[30:31], v[10:11]
	;;#ASMEND
	;;#ASMSTART
	v_pk_mul_f32 v[16:17], v[28:29], v[10:11]
	;;#ASMEND
	v_cvt_f32_f16_sdwa v29, v7 dst_sel:DWORD dst_unused:UNUSED_PAD src0_sel:WORD_1
	v_cvt_f32_f16_e32 v28, v7
	;;#ASMSTART
	v_pk_mul_f32 v[32:33], v[32:33], v[10:11]
	;;#ASMEND
	;;#ASMSTART
	v_pk_mul_f32 v[20:21], v[20:21], v[10:11]
	;;#ASMEND
	;; [unrolled: 3-line block ×5, first 2 shown]
	v_pk_add_f32 v[10:11], v[26:27], 1.0 op_sel_hi:[1,0]
	;;#ASMSTART
	v_pk_mul_f32 v[26:27], v[12:13], v[10:11]
	;;#ASMEND
	v_cvt_f32_f16_sdwa v13, v8 dst_sel:DWORD dst_unused:UNUSED_PAD src0_sel:WORD_1
	v_cvt_f32_f16_e32 v12, v8
	v_cvt_f32_f16_sdwa v19, v9 dst_sel:DWORD dst_unused:UNUSED_PAD src0_sel:WORD_1
	v_cvt_f32_f16_e32 v18, v9
	v_pk_add_f32 v[10:11], v[28:29], 1.0 op_sel_hi:[1,0]
	;;#ASMSTART
	v_pk_mul_f32 v[30:31], v[14:15], v[10:11]
	;;#ASMEND
	s_waitcnt vmcnt(0)
	v_cvt_f32_f16_sdwa v11, v2 dst_sel:DWORD dst_unused:UNUSED_PAD src0_sel:WORD_1
	v_cvt_f32_f16_e32 v10, v2
	v_pk_add_f32 v[8:9], v[12:13], 1.0 op_sel_hi:[1,0]
	;;#ASMSTART
	v_pk_mul_f32 v[28:29], v[16:17], v[8:9]
	;;#ASMEND
	v_pk_add_f32 v[8:9], v[18:19], 1.0 op_sel_hi:[1,0]
	v_cvt_f32_f16_sdwa v13, v3 dst_sel:DWORD dst_unused:UNUSED_PAD src0_sel:WORD_1
	v_cvt_f32_f16_e32 v12, v3
	;;#ASMSTART
	v_pk_mul_f32 v[32:33], v[32:33], v[8:9]
	;;#ASMEND
	v_cvt_f32_f16_sdwa v9, v4 dst_sel:DWORD dst_unused:UNUSED_PAD src0_sel:WORD_1
	v_cvt_f32_f16_e32 v8, v4
	v_pk_add_f32 v[2:3], v[10:11], 1.0 op_sel_hi:[1,0]
	v_cvt_f32_f16_sdwa v11, v5 dst_sel:DWORD dst_unused:UNUSED_PAD src0_sel:WORD_1
	v_cvt_f32_f16_e32 v10, v5
	;;#ASMSTART
	v_pk_mul_f32 v[20:21], v[20:21], v[2:3]
	;;#ASMEND
	v_pk_add_f32 v[2:3], v[12:13], 1.0 op_sel_hi:[1,0]
	;;#ASMSTART
	v_pk_mul_f32 v[24:25], v[24:25], v[2:3]
	;;#ASMEND
	v_pk_add_f32 v[2:3], v[8:9], 1.0 op_sel_hi:[1,0]
	;;#ASMSTART
	v_pk_mul_f32 v[22:23], v[22:23], v[2:3]
	;;#ASMEND
	v_pk_add_f32 v[2:3], v[10:11], 1.0 op_sel_hi:[1,0]
	;;#ASMSTART
	v_pk_mul_f32 v[18:19], v[6:7], v[2:3]
	;;#ASMEND
	s_or_b64 exec, exec, s[26:27]
	s_mov_b64 s[2:3], -1
	s_and_b64 vcc, exec, s[22:23]
	s_cbranch_vccz .LBB651_15
.LBB651_19:
	s_and_saveexec_b64 s[2:3], s[0:1]
	s_cbranch_execz .LBB651_21
; %bb.20:
	s_mul_hi_i32 s23, s25, s6
	s_mul_i32 s22, s25, s6
	s_waitcnt vmcnt(0)
	v_cvt_f16_f32_e32 v2, v26
	v_cvt_f16_f32_e32 v3, v30
	;; [unrolled: 1-line block ×8, first 2 shown]
	s_lshl_b64 s[22:23], s[22:23], 1
	s_add_u32 s28, s14, s22
	s_addc_u32 s7, s15, s23
	s_and_b32 s29, s7, 0xffff
	s_mov_b32 s31, 0x20000
	v_pack_b32_f16 v5, v5, v6
	v_pack_b32_f16 v4, v4, v7
	v_pack_b32_f16 v3, v3, v8
	v_pack_b32_f16 v2, v2, v9
	v_lshlrev_b32_e32 v6, 5, v0
	buffer_store_dwordx4 v[2:5], v6, s[28:31], 0 offen
	v_cvt_f16_f32_e32 v7, v19
	v_cvt_f16_f32_e32 v2, v20
	;; [unrolled: 1-line block ×8, first 2 shown]
	v_pack_b32_f16 v5, v5, v7
	v_pack_b32_f16 v4, v4, v8
	;; [unrolled: 1-line block ×4, first 2 shown]
	;;#ASMSTART
	s_nop 0
	;;#ASMEND
	buffer_store_dwordx4 v[2:5], v6, s[28:31], 16 offen
	;;#ASMSTART
	s_nop 0
	;;#ASMEND
.LBB651_21:
	s_or_b64 exec, exec, s[2:3]
	s_cbranch_execnz .LBB651_16
.LBB651_22:
	s_and_saveexec_b64 s[2:3], s[0:1]
	s_cbranch_execz .LBB651_24
; %bb.23:
	s_load_dwordx2 s[0:1], s[4:5], 0x10
	s_mul_hi_i32 s23, s24, s6
	s_mul_i32 s22, s24, s6
	s_waitcnt vmcnt(0)
	v_cvt_f16_f32_e32 v2, v26
	v_cvt_f16_f32_e32 v3, v30
	v_cvt_f16_f32_e32 v4, v28
	v_cvt_f16_f32_e32 v5, v32
	v_cvt_f16_f32_e32 v6, v33
	v_cvt_f16_f32_e32 v7, v29
	v_cvt_f16_f32_e32 v8, v31
	v_cvt_f16_f32_e32 v9, v27
	s_lshl_b64 s[22:23], s[22:23], 1
	s_waitcnt lgkmcnt(0)
	s_add_u32 s28, s0, s22
	s_addc_u32 s0, s1, s23
	s_mov_b32 s31, 0x20000
	s_and_b32 s29, s0, 0xffff
	v_pack_b32_f16 v5, v5, v6
	v_pack_b32_f16 v4, v4, v7
	;; [unrolled: 1-line block ×4, first 2 shown]
	v_lshlrev_b32_e32 v6, 5, v0
	buffer_store_dwordx4 v[2:5], v6, s[28:31], 0 offen
	v_cvt_f16_f32_e32 v7, v19
	v_cvt_f16_f32_e32 v2, v20
	v_cvt_f16_f32_e32 v3, v24
	v_cvt_f16_f32_e32 v4, v22
	v_cvt_f16_f32_e32 v5, v18
	v_cvt_f16_f32_e32 v8, v23
	v_cvt_f16_f32_e32 v9, v25
	v_cvt_f16_f32_e32 v10, v21
	v_pack_b32_f16 v5, v5, v7
	v_pack_b32_f16 v4, v4, v8
	v_pack_b32_f16 v3, v3, v9
	v_pack_b32_f16 v2, v2, v10
	;;#ASMSTART
	s_nop 0
	;;#ASMEND
	buffer_store_dwordx4 v[2:5], v6, s[28:31], 16 offen
	;;#ASMSTART
	s_nop 0
	;;#ASMEND
.LBB651_24:
	s_or_b64 exec, exec, s[2:3]
	s_cmp_lt_i32 s16, 1
	s_cbranch_scc1 .LBB651_17
.LBB651_25:
	s_load_dword s0, s[4:5], 0x94
	s_waitcnt lgkmcnt(0)
	s_cmp_lg_u32 s0, 1
	s_cbranch_scc1 .LBB651_17
; %bb.26:
	s_lshl_b32 s0, s16, 1
	s_add_i32 s0, s0, 2
	v_cmp_gt_u32_e32 vcc, s16, v1
	s_and_b32 s22, s0, -4
	v_mov_b32_e32 v18, 0
	v_lshlrev_b32_e32 v1, 5, v0
	s_waitcnt vmcnt(2)
	v_mov_b32_e32 v14, 0
	v_mov_b32_e32 v15, 0
	;; [unrolled: 1-line block ×8, first 2 shown]
	s_waitcnt vmcnt(1)
	v_mov_b32_e32 v6, 0
	v_mov_b32_e32 v7, 0
	;; [unrolled: 1-line block ×4, first 2 shown]
	s_waitcnt vmcnt(0)
	v_mov_b32_e32 v2, 0
	v_mov_b32_e32 v3, 0
	;; [unrolled: 1-line block ×4, first 2 shown]
	s_barrier
	s_and_saveexec_b64 s[0:1], vcc
	s_cbranch_execz .LBB651_28
; %bb.27:
	s_mul_hi_i32 s3, s18, s6
	s_mul_i32 s2, s18, s6
	s_and_b32 s21, s21, 0xffff
	s_lshl_b64 s[2:3], s[2:3], 1
	s_add_u32 s28, s10, s2
	s_mov_b32 s23, 0x20000
	s_addc_u32 s2, s11, s3
	s_and_b32 s29, s2, 0xffff
	s_mov_b32 s30, s22
	s_mov_b32 s31, s23
	buffer_load_dwordx4 v[14:17], v1, s[28:31], 0 offen
	buffer_load_dwordx4 v[10:13], v1, s[28:31], 16 offen
	;; [unrolled: 1-line block ×4, first 2 shown]
.LBB651_28:
	s_or_b64 exec, exec, s[0:1]
	v_mov_b32_e32 v19, 0
	v_mov_b32_e32 v32, 0
	;; [unrolled: 1-line block ×15, first 2 shown]
	s_and_saveexec_b64 s[0:1], vcc
	s_cbranch_execz .LBB651_30
; %bb.29:
	s_waitcnt vmcnt(3)
	v_cvt_f32_f16_sdwa v19, v14 dst_sel:DWORD dst_unused:UNUSED_PAD src0_sel:WORD_1
	v_cvt_f32_f16_e32 v18, v14
	v_cvt_f32_f16_sdwa v33, v15 dst_sel:DWORD dst_unused:UNUSED_PAD src0_sel:WORD_1
	v_cvt_f32_f16_e32 v32, v15
	;; [unrolled: 2-line block ×4, first 2 shown]
	s_waitcnt vmcnt(2)
	v_cvt_f32_f16_sdwa v27, v10 dst_sel:DWORD dst_unused:UNUSED_PAD src0_sel:WORD_1
	v_cvt_f32_f16_e32 v26, v10
	v_cvt_f32_f16_sdwa v25, v11 dst_sel:DWORD dst_unused:UNUSED_PAD src0_sel:WORD_1
	v_cvt_f32_f16_e32 v24, v11
	;; [unrolled: 2-line block ×4, first 2 shown]
.LBB651_30:
	s_or_b64 exec, exec, s[0:1]
	s_waitcnt vmcnt(2)
	v_mul_f32_e32 v10, v19, v19
	v_fmac_f32_e32 v10, v18, v18
	v_fmac_f32_e32 v10, v32, v32
	;; [unrolled: 1-line block ×15, first 2 shown]
	s_nop 1
	v_mov_b32_dpp v11, v10 quad_perm:[1,0,3,2] row_mask:0xf bank_mask:0xf
	v_add_f32_e32 v10, v10, v11
	s_nop 1
	v_mov_b32_dpp v11, v10 quad_perm:[2,3,0,1] row_mask:0xf bank_mask:0xf
	v_add_f32_e32 v10, v10, v11
	s_nop 1
	v_mov_b32_dpp v11, v10 row_half_mirror row_mask:0xf bank_mask:0xf
	v_add_f32_e32 v10, v10, v11
	s_nop 1
	v_mov_b32_dpp v11, v10 row_mirror row_mask:0xf bank_mask:0xf
	v_add_f32_e32 v10, v10, v11
	s_nop 1
	v_mov_b32_dpp v11, v10 row_bcast:15 row_mask:0xf bank_mask:0xf
	v_add_f32_e32 v10, v10, v11
	s_nop 1
	v_mov_b32_dpp v11, v10 row_bcast:31 row_mask:0xf bank_mask:0xf
	s_and_saveexec_b64 s[0:1], s[8:9]
	s_cbranch_execz .LBB651_32
; %bb.31:
	v_lshrrev_b32_e32 v0, 4, v0
	v_add_f32_e32 v10, v10, v11
	v_and_b32_e32 v0, 60, v0
	ds_write_b32 v0, v10
.LBB651_32:
	s_or_b64 exec, exec, s[0:1]
	s_waitcnt lgkmcnt(0)
	s_barrier
	ds_read_b32 v0, v34
	s_waitcnt lgkmcnt(0)
	s_nop 0
	v_mov_b32_dpp v10, v0 quad_perm:[1,0,3,2] row_mask:0xf bank_mask:0xf
	s_and_saveexec_b64 s[0:1], vcc
	s_cbranch_execz .LBB651_17
; %bb.33:
	v_cvt_f32_u32_e32 v11, s16
	v_add_f32_e32 v0, v0, v10
	s_mov_b32 s23, 0x20000
	v_div_scale_f32 v10, s[0:1], v11, v11, v0
	v_rcp_f32_e32 v12, v10
	v_div_scale_f32 v13, vcc, v0, v11, v0
	s_mov_b32 s0, 0x800000
	v_fma_f32 v14, -v10, v12, 1.0
	v_fmac_f32_e32 v12, v14, v12
	v_mul_f32_e32 v14, v13, v12
	v_fma_f32 v15, -v10, v14, v13
	v_fmac_f32_e32 v14, v15, v12
	v_fma_f32 v10, -v10, v14, v13
	v_div_fmas_f32 v10, v10, v12, v14
	v_div_fixup_f32 v0, v10, v11, v0
	v_add_f32_e32 v0, s13, v0
	v_mul_f32_e32 v10, 0x4b800000, v0
	v_cmp_gt_f32_e32 vcc, s0, v0
	v_cndmask_b32_e32 v0, v0, v10, vcc
	v_rsq_f32_e32 v0, v0
	s_mul_hi_i32 s1, s25, s6
	s_mul_i32 s0, s25, s6
	s_lshl_b64 s[0:1], s[0:1], 1
	v_mul_f32_e32 v10, 0x45800000, v0
	v_cndmask_b32_e32 v10, v0, v10, vcc
	v_mov_b32_e32 v11, v10
	;;#ASMSTART
	v_pk_mul_f32 v[12:13], v[18:19], v[10:11]
	;;#ASMEND
	;;#ASMSTART
	v_pk_mul_f32 v[14:15], v[32:33], v[10:11]
	;;#ASMEND
	;; [unrolled: 3-line block ×4, first 2 shown]
	s_waitcnt vmcnt(1)
	v_cvt_f32_f16_sdwa v29, v6 dst_sel:DWORD dst_unused:UNUSED_PAD src0_sel:WORD_1
	v_cvt_f32_f16_e32 v28, v6
	v_cvt_f32_f16_sdwa v31, v7 dst_sel:DWORD dst_unused:UNUSED_PAD src0_sel:WORD_1
	v_cvt_f32_f16_e32 v30, v7
	;;#ASMSTART
	v_pk_mul_f32 v[26:27], v[26:27], v[10:11]
	;;#ASMEND
	;;#ASMSTART
	v_pk_mul_f32 v[24:25], v[24:25], v[10:11]
	;;#ASMEND
	;; [unrolled: 3-line block ×4, first 2 shown]
	v_cvt_f32_f16_sdwa v21, v8 dst_sel:DWORD dst_unused:UNUSED_PAD src0_sel:WORD_1
	v_cvt_f32_f16_e32 v20, v8
	v_pk_add_f32 v[10:11], v[28:29], 1.0 op_sel_hi:[1,0]
	;;#ASMSTART
	v_pk_mul_f32 v[10:11], v[12:13], v[10:11]
	;;#ASMEND
	v_pk_add_f32 v[12:13], v[30:31], 1.0 op_sel_hi:[1,0]
	v_cvt_f32_f16_sdwa v29, v9 dst_sel:DWORD dst_unused:UNUSED_PAD src0_sel:WORD_1
	v_cvt_f32_f16_e32 v28, v9
	;;#ASMSTART
	v_pk_mul_f32 v[8:9], v[14:15], v[12:13]
	;;#ASMEND
	v_pk_add_f32 v[12:13], v[20:21], 1.0 op_sel_hi:[1,0]
	;;#ASMSTART
	v_pk_mul_f32 v[12:13], v[16:17], v[12:13]
	;;#ASMEND
	s_waitcnt vmcnt(0)
	v_cvt_f32_f16_sdwa v17, v2 dst_sel:DWORD dst_unused:UNUSED_PAD src0_sel:WORD_1
	v_cvt_f32_f16_e32 v16, v2
	v_cvt_f32_f16_sdwa v21, v3 dst_sel:DWORD dst_unused:UNUSED_PAD src0_sel:WORD_1
	v_cvt_f32_f16_e32 v20, v3
	v_pk_add_f32 v[14:15], v[28:29], 1.0 op_sel_hi:[1,0]
	;;#ASMSTART
	v_pk_mul_f32 v[2:3], v[18:19], v[14:15]
	;;#ASMEND
	v_cvt_f32_f16_sdwa v19, v4 dst_sel:DWORD dst_unused:UNUSED_PAD src0_sel:WORD_1
	v_cvt_f32_f16_e32 v18, v4
	v_pk_add_f32 v[14:15], v[16:17], 1.0 op_sel_hi:[1,0]
	v_pk_add_f32 v[16:17], v[20:21], 1.0 op_sel_hi:[1,0]
	v_cvt_f32_f16_sdwa v21, v5 dst_sel:DWORD dst_unused:UNUSED_PAD src0_sel:WORD_1
	v_cvt_f32_f16_e32 v20, v5
	v_pk_add_f32 v[4:5], v[18:19], 1.0 op_sel_hi:[1,0]
	;;#ASMSTART
	v_pk_mul_f32 v[14:15], v[26:27], v[14:15]
	;;#ASMEND
	;;#ASMSTART
	v_pk_mul_f32 v[16:17], v[24:25], v[16:17]
	;;#ASMEND
	;; [unrolled: 3-line block ×3, first 2 shown]
	v_pk_add_f32 v[4:5], v[20:21], 1.0 op_sel_hi:[1,0]
	;;#ASMSTART
	v_pk_mul_f32 v[6:7], v[6:7], v[4:5]
	;;#ASMEND
	v_cvt_f16_f32_e32 v0, v10
	v_cvt_f16_f32_e32 v4, v11
	;; [unrolled: 1-line block ×8, first 2 shown]
	s_add_u32 s20, s14, s0
	s_addc_u32 s0, s15, s1
	s_and_b32 s21, s0, 0xffff
	v_pack_b32_f16 v2, v0, v4
	v_pack_b32_f16 v3, v5, v8
	;; [unrolled: 1-line block ×4, first 2 shown]
	buffer_store_dwordx4 v[2:5], v1, s[20:23], 0 offen
	v_cvt_f16_f32_e32 v0, v14
	v_cvt_f16_f32_e32 v2, v15
	v_cvt_f16_f32_e32 v3, v16
	v_cvt_f16_f32_e32 v4, v17
	v_cvt_f16_f32_e32 v5, v18
	v_cvt_f16_f32_e32 v8, v19
	v_cvt_f16_f32_e32 v6, v6
	v_cvt_f16_f32_e32 v7, v7
	v_pack_b32_f16 v2, v0, v2
	v_pack_b32_f16 v3, v3, v4
	;; [unrolled: 1-line block ×4, first 2 shown]
	;;#ASMSTART
	s_nop 0
	;;#ASMEND
	buffer_store_dwordx4 v[2:5], v1, s[20:23], 16 offen
	;;#ASMSTART
	s_nop 0
	;;#ASMEND
	s_endpgm
	.section	.rodata,"a",@progbits
	.p2align	6, 0x0
	.amdhsa_kernel _ZN5aiter35fused_qk_rmsnorm_group_quant_kernelIDF16_N4opus5fp4_tELi128ELi16ELi4ELb1ELb1ELb1ELb1ELb0ELb0EEEvPT0_PvPT_S7_S7_PKS6_S9_S9_S9_S9_ffiiiiiiiiiiiii
		.amdhsa_group_segment_fixed_size 16
		.amdhsa_private_segment_fixed_size 0
		.amdhsa_kernarg_size 400
		.amdhsa_user_sgpr_count 6
		.amdhsa_user_sgpr_private_segment_buffer 1
		.amdhsa_user_sgpr_dispatch_ptr 0
		.amdhsa_user_sgpr_queue_ptr 0
		.amdhsa_user_sgpr_kernarg_segment_ptr 1
		.amdhsa_user_sgpr_dispatch_id 0
		.amdhsa_user_sgpr_flat_scratch_init 0
		.amdhsa_user_sgpr_kernarg_preload_length 0
		.amdhsa_user_sgpr_kernarg_preload_offset 0
		.amdhsa_user_sgpr_private_segment_size 0
		.amdhsa_uses_dynamic_stack 0
		.amdhsa_system_sgpr_private_segment_wavefront_offset 0
		.amdhsa_system_sgpr_workgroup_id_x 1
		.amdhsa_system_sgpr_workgroup_id_y 1
		.amdhsa_system_sgpr_workgroup_id_z 0
		.amdhsa_system_sgpr_workgroup_info 0
		.amdhsa_system_vgpr_workitem_id 0
		.amdhsa_next_free_vgpr 49
		.amdhsa_next_free_sgpr 32
		.amdhsa_accum_offset 52
		.amdhsa_reserve_vcc 1
		.amdhsa_reserve_flat_scratch 0
		.amdhsa_float_round_mode_32 0
		.amdhsa_float_round_mode_16_64 0
		.amdhsa_float_denorm_mode_32 3
		.amdhsa_float_denorm_mode_16_64 3
		.amdhsa_dx10_clamp 1
		.amdhsa_ieee_mode 1
		.amdhsa_fp16_overflow 0
		.amdhsa_tg_split 0
		.amdhsa_exception_fp_ieee_invalid_op 0
		.amdhsa_exception_fp_denorm_src 0
		.amdhsa_exception_fp_ieee_div_zero 0
		.amdhsa_exception_fp_ieee_overflow 0
		.amdhsa_exception_fp_ieee_underflow 0
		.amdhsa_exception_fp_ieee_inexact 0
		.amdhsa_exception_int_div_zero 0
	.end_amdhsa_kernel
	.section	.text._ZN5aiter35fused_qk_rmsnorm_group_quant_kernelIDF16_N4opus5fp4_tELi128ELi16ELi4ELb1ELb1ELb1ELb1ELb0ELb0EEEvPT0_PvPT_S7_S7_PKS6_S9_S9_S9_S9_ffiiiiiiiiiiiii,"axG",@progbits,_ZN5aiter35fused_qk_rmsnorm_group_quant_kernelIDF16_N4opus5fp4_tELi128ELi16ELi4ELb1ELb1ELb1ELb1ELb0ELb0EEEvPT0_PvPT_S7_S7_PKS6_S9_S9_S9_S9_ffiiiiiiiiiiiii,comdat
.Lfunc_end651:
	.size	_ZN5aiter35fused_qk_rmsnorm_group_quant_kernelIDF16_N4opus5fp4_tELi128ELi16ELi4ELb1ELb1ELb1ELb1ELb0ELb0EEEvPT0_PvPT_S7_S7_PKS6_S9_S9_S9_S9_ffiiiiiiiiiiiii, .Lfunc_end651-_ZN5aiter35fused_qk_rmsnorm_group_quant_kernelIDF16_N4opus5fp4_tELi128ELi16ELi4ELb1ELb1ELb1ELb1ELb0ELb0EEEvPT0_PvPT_S7_S7_PKS6_S9_S9_S9_S9_ffiiiiiiiiiiiii
                                        ; -- End function
	.section	.AMDGPU.csdata,"",@progbits
; Kernel info:
; codeLenInByte = 3576
; NumSgprs: 36
; NumVgprs: 49
; NumAgprs: 0
; TotalNumVgprs: 49
; ScratchSize: 0
; MemoryBound: 0
; FloatMode: 240
; IeeeMode: 1
; LDSByteSize: 16 bytes/workgroup (compile time only)
; SGPRBlocks: 4
; VGPRBlocks: 6
; NumSGPRsForWavesPerEU: 36
; NumVGPRsForWavesPerEU: 49
; AccumOffset: 52
; Occupancy: 8
; WaveLimiterHint : 0
; COMPUTE_PGM_RSRC2:SCRATCH_EN: 0
; COMPUTE_PGM_RSRC2:USER_SGPR: 6
; COMPUTE_PGM_RSRC2:TRAP_HANDLER: 0
; COMPUTE_PGM_RSRC2:TGID_X_EN: 1
; COMPUTE_PGM_RSRC2:TGID_Y_EN: 1
; COMPUTE_PGM_RSRC2:TGID_Z_EN: 0
; COMPUTE_PGM_RSRC2:TIDIG_COMP_CNT: 0
; COMPUTE_PGM_RSRC3_GFX90A:ACCUM_OFFSET: 12
; COMPUTE_PGM_RSRC3_GFX90A:TG_SPLIT: 0
	.section	.text._ZN5aiter35fused_qk_rmsnorm_group_quant_kernelItN4opus5fp4_tELi128ELi16ELi4ELb1ELb1ELb1ELb1ELb0ELb0EEEvPT0_PvPT_S7_S7_PKS6_S9_S9_S9_S9_ffiiiiiiiiiiiii,"axG",@progbits,_ZN5aiter35fused_qk_rmsnorm_group_quant_kernelItN4opus5fp4_tELi128ELi16ELi4ELb1ELb1ELb1ELb1ELb0ELb0EEEvPT0_PvPT_S7_S7_PKS6_S9_S9_S9_S9_ffiiiiiiiiiiiii,comdat
	.protected	_ZN5aiter35fused_qk_rmsnorm_group_quant_kernelItN4opus5fp4_tELi128ELi16ELi4ELb1ELb1ELb1ELb1ELb0ELb0EEEvPT0_PvPT_S7_S7_PKS6_S9_S9_S9_S9_ffiiiiiiiiiiiii ; -- Begin function _ZN5aiter35fused_qk_rmsnorm_group_quant_kernelItN4opus5fp4_tELi128ELi16ELi4ELb1ELb1ELb1ELb1ELb0ELb0EEEvPT0_PvPT_S7_S7_PKS6_S9_S9_S9_S9_ffiiiiiiiiiiiii
	.globl	_ZN5aiter35fused_qk_rmsnorm_group_quant_kernelItN4opus5fp4_tELi128ELi16ELi4ELb1ELb1ELb1ELb1ELb0ELb0EEEvPT0_PvPT_S7_S7_PKS6_S9_S9_S9_S9_ffiiiiiiiiiiiii
	.p2align	8
	.type	_ZN5aiter35fused_qk_rmsnorm_group_quant_kernelItN4opus5fp4_tELi128ELi16ELi4ELb1ELb1ELb1ELb1ELb0ELb0EEEvPT0_PvPT_S7_S7_PKS6_S9_S9_S9_S9_ffiiiiiiiiiiiii,@function
_ZN5aiter35fused_qk_rmsnorm_group_quant_kernelItN4opus5fp4_tELi128ELi16ELi4ELb1ELb1ELb1ELb1ELb0ELb0EEEvPT0_PvPT_S7_S7_PKS6_S9_S9_S9_S9_ffiiiiiiiiiiiii: ; @_ZN5aiter35fused_qk_rmsnorm_group_quant_kernelItN4opus5fp4_tELi128ELi16ELi4ELb1ELb1ELb1ELb1ELb0ELb0EEEvPT0_PvPT_S7_S7_PKS6_S9_S9_S9_S9_ffiiiiiiiiiiiii
; %bb.0:
	s_load_dwordx8 s[12:19], s[4:5], 0x50
	s_waitcnt lgkmcnt(0)
	s_cmp_ge_i32 s6, s14
	s_cbranch_scc1 .LBB652_17
; %bb.1:
	s_cmp_lg_u32 s7, 0
	s_cselect_b64 s[22:23], -1, 0
	s_cmp_eq_u32 s7, 0
	s_cselect_b64 s[2:3], -1, 0
	s_and_b64 s[0:1], s[2:3], exec
	s_cselect_b32 s7, s15, s16
	s_load_dwordx2 s[10:11], s[4:5], 0x30
	s_load_dwordx2 s[20:21], s[4:5], 0x48
	s_add_i32 s0, s7, 1
	s_lshr_b32 s1, s0, 31
	s_add_i32 s0, s0, s1
	s_lshl_b32 s0, s0, 1
	v_lshlrev_b32_e32 v1, 4, v0
	s_and_b32 s30, s0, -4
	v_cmp_gt_i32_e64 s[0:1], s7, v1
	v_mov_b32_e32 v62, 0
	v_mov_b32_e32 v63, 0
	;; [unrolled: 1-line block ×16, first 2 shown]
	s_and_saveexec_b64 s[8:9], s[0:1]
	s_cbranch_execz .LBB652_3
; %bb.2:
	s_load_dwordx2 s[14:15], s[4:5], 0x28
	s_load_dwordx2 s[26:27], s[4:5], 0x40
	s_and_b64 s[24:25], s[2:3], exec
	s_cselect_b32 s17, s17, s18
	s_mov_b32 s31, 0x20000
	s_waitcnt lgkmcnt(0)
	s_cselect_b32 s25, s15, s11
	s_cselect_b32 s24, s14, s10
	s_mul_hi_i32 s15, s17, s6
	s_mul_i32 s14, s17, s6
	s_lshl_b64 s[14:15], s[14:15], 1
	s_add_u32 s24, s24, s14
	s_addc_u32 s17, s25, s15
	s_and_b64 s[14:15], s[2:3], exec
	s_cselect_b32 s28, s26, s20
	s_cselect_b32 s14, s27, s21
	s_and_b32 s25, s17, 0xffff
	s_mov_b32 s26, s30
	s_mov_b32 s27, s31
	v_lshlrev_b32_e32 v2, 5, v0
	s_and_b32 s29, s14, 0xffff
	buffer_load_dwordx4 v[66:69], v2, s[24:27], 0 offen
	buffer_load_dwordx4 v[70:73], v2, s[24:27], 16 offen
	;; [unrolled: 1-line block ×4, first 2 shown]
.LBB652_3:
	s_or_b64 exec, exec, s[8:9]
	s_load_dwordx4 s[24:27], s[4:5], 0x7c
	s_and_b64 vcc, exec, s[22:23]
	s_cbranch_vccz .LBB652_7
; %bb.4:
	v_mov_b32_e32 v75, 0
	v_mov_b32_e32 v74, 0
	;; [unrolled: 1-line block ×16, first 2 shown]
	s_and_saveexec_b64 s[8:9], s[0:1]
	s_cbranch_execz .LBB652_6
; %bb.5:
	s_waitcnt vmcnt(3)
	v_cvt_f32_u32_sdwa v2, v66 dst_sel:DWORD dst_unused:UNUSED_PAD src0_sel:WORD_0
	v_cvt_f32_u32_sdwa v3, v66 dst_sel:DWORD dst_unused:UNUSED_PAD src0_sel:WORD_1
	v_cvt_f32_u32_sdwa v6, v67 dst_sel:DWORD dst_unused:UNUSED_PAD src0_sel:WORD_0
	v_cvt_f32_u32_sdwa v7, v67 dst_sel:DWORD dst_unused:UNUSED_PAD src0_sel:WORD_1
	;; [unrolled: 2-line block ×4, first 2 shown]
	s_waitcnt vmcnt(2)
	v_cvt_f32_u32_sdwa v50, v70 dst_sel:DWORD dst_unused:UNUSED_PAD src0_sel:WORD_0
	v_cvt_f32_u32_sdwa v51, v70 dst_sel:DWORD dst_unused:UNUSED_PAD src0_sel:WORD_1
	v_cvt_f32_u32_sdwa v24, v71 dst_sel:DWORD dst_unused:UNUSED_PAD src0_sel:WORD_0
	v_cvt_f32_u32_sdwa v25, v71 dst_sel:DWORD dst_unused:UNUSED_PAD src0_sel:WORD_1
	;; [unrolled: 2-line block ×4, first 2 shown]
.LBB652_6:
	s_or_b64 exec, exec, s[8:9]
	s_cbranch_execz .LBB652_8
	s_branch .LBB652_11
.LBB652_7:
                                        ; implicit-def: $vgpr2_vgpr3_vgpr4_vgpr5_vgpr6_vgpr7_vgpr8_vgpr9_vgpr10_vgpr11_vgpr12_vgpr13_vgpr14_vgpr15_vgpr16_vgpr17
                                        ; implicit-def: $vgpr36_vgpr37_vgpr38_vgpr39_vgpr40_vgpr41_vgpr42_vgpr43_vgpr44_vgpr45_vgpr46_vgpr47_vgpr48_vgpr49_vgpr50_vgpr51
                                        ; implicit-def: $vgpr4_vgpr5_vgpr6_vgpr7_vgpr8_vgpr9_vgpr10_vgpr11_vgpr12_vgpr13_vgpr14_vgpr15_vgpr16_vgpr17_vgpr18_vgpr19
                                        ; implicit-def: $vgpr24_vgpr25_vgpr26_vgpr27_vgpr28_vgpr29_vgpr30_vgpr31_vgpr32_vgpr33_vgpr34_vgpr35_vgpr36_vgpr37_vgpr38_vgpr39
                                        ; implicit-def: $vgpr75
                                        ; implicit-def: $vgpr42_vgpr43_vgpr44_vgpr45_vgpr46_vgpr47_vgpr48_vgpr49_vgpr50_vgpr51_vgpr52_vgpr53_vgpr54_vgpr55_vgpr56_vgpr57
                                        ; implicit-def: $vgpr14_vgpr15_vgpr16_vgpr17_vgpr18_vgpr19_vgpr20_vgpr21_vgpr22_vgpr23_vgpr24_vgpr25_vgpr26_vgpr27_vgpr28_vgpr29
                                        ; implicit-def: $vgpr8_vgpr9_vgpr10_vgpr11_vgpr12_vgpr13_vgpr14_vgpr15_vgpr16_vgpr17_vgpr18_vgpr19_vgpr20_vgpr21_vgpr22_vgpr23
.LBB652_8:
	v_mov_b32_e32 v75, 0
	v_mov_b32_e32 v74, 0
	;; [unrolled: 1-line block ×16, first 2 shown]
	s_and_saveexec_b64 s[8:9], s[0:1]
	s_cbranch_execz .LBB652_10
; %bb.9:
	s_load_dwordx2 s[14:15], s[4:5], 0x38
	s_mul_hi_i32 s29, s19, s6
	s_mul_i32 s28, s19, s6
	s_lshl_b64 s[28:29], s[28:29], 1
	s_mov_b32 s31, 0x20000
	s_waitcnt lgkmcnt(0)
	s_add_u32 s28, s14, s28
	s_addc_u32 s14, s15, s29
	s_and_b32 s29, s14, 0xffff
	v_lshlrev_b32_e32 v38, 5, v0
	buffer_load_dwordx4 v[6:9], v38, s[28:31], 16 offen
	buffer_load_dwordx4 v[10:13], v38, s[28:31], 0 offen
	s_load_dwordx2 s[14:15], s[4:5], 0x20
	s_waitcnt vmcnt(5)
	v_cvt_f32_u32_sdwa v3, v66 dst_sel:DWORD dst_unused:UNUSED_PAD src0_sel:WORD_1
	v_cvt_f32_u32_sdwa v2, v66 dst_sel:DWORD dst_unused:UNUSED_PAD src0_sel:WORD_0
	v_cvt_f32_u32_sdwa v21, v67 dst_sel:DWORD dst_unused:UNUSED_PAD src0_sel:WORD_1
	v_cvt_f32_u32_sdwa v20, v67 dst_sel:DWORD dst_unused:UNUSED_PAD src0_sel:WORD_0
	;; [unrolled: 2-line block ×4, first 2 shown]
	s_waitcnt vmcnt(4)
	v_cvt_f32_u32_sdwa v5, v70 dst_sel:DWORD dst_unused:UNUSED_PAD src0_sel:WORD_1
	v_cvt_f32_u32_sdwa v4, v70 dst_sel:DWORD dst_unused:UNUSED_PAD src0_sel:WORD_0
	v_cvt_f32_u32_sdwa v15, v71 dst_sel:DWORD dst_unused:UNUSED_PAD src0_sel:WORD_1
	v_cvt_f32_u32_sdwa v14, v71 dst_sel:DWORD dst_unused:UNUSED_PAD src0_sel:WORD_0
	;; [unrolled: 2-line block ×3, first 2 shown]
	v_cvt_f32_u32_sdwa v18, v73 dst_sel:DWORD dst_unused:UNUSED_PAD src0_sel:WORD_0
	v_cvt_f32_u32_sdwa v19, v73 dst_sel:DWORD dst_unused:UNUSED_PAD src0_sel:WORD_1
	s_mul_hi_i32 s27, s26, s6
	s_mul_i32 s26, s26, s6
	s_lshl_b64 s[26:27], s[26:27], 1
	s_waitcnt lgkmcnt(0)
	s_add_u32 s28, s14, s26
	s_mov_b32 s17, 0x7060302
	s_addc_u32 s14, s15, s27
	s_and_b32 s29, s14, 0xffff
	s_waitcnt vmcnt(1)
	v_cvt_f32_u32_sdwa v27, v6 dst_sel:DWORD dst_unused:UNUSED_PAD src0_sel:WORD_1
	v_cvt_f32_u32_sdwa v26, v6 dst_sel:DWORD dst_unused:UNUSED_PAD src0_sel:WORD_0
	v_cvt_f32_u32_sdwa v29, v7 dst_sel:DWORD dst_unused:UNUSED_PAD src0_sel:WORD_1
	v_cvt_f32_u32_sdwa v28, v7 dst_sel:DWORD dst_unused:UNUSED_PAD src0_sel:WORD_0
	;; [unrolled: 2-line block ×3, first 2 shown]
	v_cvt_f32_u32_sdwa v34, v9 dst_sel:DWORD dst_unused:UNUSED_PAD src0_sel:WORD_0
	v_cvt_f32_u32_sdwa v35, v9 dst_sel:DWORD dst_unused:UNUSED_PAD src0_sel:WORD_1
	s_waitcnt vmcnt(0)
	v_cvt_f32_u32_sdwa v37, v10 dst_sel:DWORD dst_unused:UNUSED_PAD src0_sel:WORD_1
	v_cvt_f32_u32_sdwa v36, v10 dst_sel:DWORD dst_unused:UNUSED_PAD src0_sel:WORD_0
	v_cvt_f32_u32_sdwa v7, v12 dst_sel:DWORD dst_unused:UNUSED_PAD src0_sel:WORD_1
	v_cvt_f32_u32_sdwa v6, v12 dst_sel:DWORD dst_unused:UNUSED_PAD src0_sel:WORD_0
	;; [unrolled: 2-line block ×4, first 2 shown]
	v_pk_add_f32 v[40:41], v[22:23], v[6:7]
	v_pk_add_f32 v[30:31], v[24:25], v[8:9]
	;; [unrolled: 1-line block ×4, first 2 shown]
	v_perm_b32 v11, v31, v30, s17
	v_perm_b32 v10, v41, v40, s17
	;; [unrolled: 1-line block ×4, first 2 shown]
	v_pk_add_f32 v[74:75], v[18:19], v[34:35]
	v_pk_add_f32 v[20:21], v[16:17], v[32:33]
	;; [unrolled: 1-line block ×4, first 2 shown]
	buffer_store_dwordx4 v[8:11], v38, s[28:31], 0 offen
	;;#ASMSTART
	s_nop 0
	;;#ASMEND
	s_nop 0
	v_perm_b32 v11, v75, v74, s17
	v_perm_b32 v10, v21, v20, s17
	v_perm_b32 v9, v25, v24, s17
	v_perm_b32 v8, v51, v50, s17
	buffer_store_dwordx4 v[8:11], v38, s[28:31], 16 offen
	;;#ASMSTART
	s_nop 0
	;;#ASMEND
.LBB652_10:
	s_or_b64 exec, exec, s[8:9]
.LBB652_11:
	v_mul_f32_e32 v4, v3, v3
	v_fmac_f32_e32 v4, v2, v2
	v_fmac_f32_e32 v4, v6, v6
	;; [unrolled: 1-line block ×15, first 2 shown]
	s_nop 1
	v_mov_b32_dpp v5, v4 quad_perm:[1,0,3,2] row_mask:0xf bank_mask:0xf
	v_add_f32_e32 v4, v4, v5
	s_nop 1
	v_mov_b32_dpp v5, v4 quad_perm:[2,3,0,1] row_mask:0xf bank_mask:0xf
	v_add_f32_e32 v4, v4, v5
	s_nop 1
	v_mov_b32_dpp v5, v4 row_half_mirror row_mask:0xf bank_mask:0xf
	v_add_f32_e32 v4, v4, v5
	s_nop 1
	v_mov_b32_dpp v5, v4 row_mirror row_mask:0xf bank_mask:0xf
	v_add_f32_e32 v4, v4, v5
	s_nop 1
	v_mov_b32_dpp v5, v4 row_bcast:15 row_mask:0xf bank_mask:0xf
	v_add_f32_e32 v4, v4, v5
	v_and_b32_e32 v5, 63, v0
	v_cmp_eq_u32_e64 s[8:9], 63, v5
	s_nop 0
	v_mov_b32_dpp v5, v4 row_bcast:31 row_mask:0xf bank_mask:0xf
	s_and_saveexec_b64 s[14:15], s[8:9]
	s_cbranch_execz .LBB652_13
; %bb.12:
	v_add_f32_e32 v4, v4, v5
	v_lshrrev_b32_e32 v5, 4, v0
	v_and_b32_e32 v5, 60, v5
	ds_write_b32 v5, v4 offset:8
.LBB652_13:
	s_or_b64 exec, exec, s[14:15]
	v_and_b32_e32 v4, 1, v0
	v_lshlrev_b32_e32 v34, 2, v4
	s_waitcnt lgkmcnt(0)
	s_barrier
	ds_read_b32 v4, v34 offset:8
	s_load_dwordx2 s[14:15], s[4:5], 0x18
	s_waitcnt lgkmcnt(0)
	v_mov_b32_dpp v5, v4 quad_perm:[1,0,3,2] row_mask:0xf bank_mask:0xf
	s_and_saveexec_b64 s[26:27], s[0:1]
	s_cbranch_execnz .LBB652_18
; %bb.14:
	s_or_b64 exec, exec, s[26:27]
	s_mov_b64 s[2:3], -1
	s_and_b64 vcc, exec, s[22:23]
	s_cbranch_vccnz .LBB652_19
.LBB652_15:
	s_andn2_b64 vcc, exec, s[2:3]
	s_cbranch_vccz .LBB652_22
.LBB652_16:
	s_cmp_lt_i32 s16, 1
	s_cbranch_scc0 .LBB652_25
.LBB652_17:
	s_endpgm
.LBB652_18:
	v_add_f32_e32 v4, v4, v5
	v_cvt_f32_u32_e32 v5, s7
	s_waitcnt vmcnt(1)
	v_cvt_f32_u32_sdwa v15, v62 dst_sel:DWORD dst_unused:UNUSED_PAD src0_sel:WORD_1
	v_cvt_f32_u32_sdwa v14, v62 dst_sel:DWORD dst_unused:UNUSED_PAD src0_sel:WORD_0
	v_cvt_f32_u32_sdwa v23, v65 dst_sel:DWORD dst_unused:UNUSED_PAD src0_sel:WORD_1
	v_div_scale_f32 v8, s[28:29], v5, v5, v4
	v_rcp_f32_e32 v9, v8
	v_pk_add_f32 v[14:15], v[14:15], 1.0 op_sel_hi:[1,0]
	v_cvt_f32_u32_sdwa v22, v65 dst_sel:DWORD dst_unused:UNUSED_PAD src0_sel:WORD_0
	s_waitcnt vmcnt(0)
	v_cvt_f32_u32_sdwa v27, v60 dst_sel:DWORD dst_unused:UNUSED_PAD src0_sel:WORD_1
	v_fma_f32 v10, -v8, v9, 1.0
	v_fmac_f32_e32 v9, v10, v9
	v_div_scale_f32 v10, vcc, v4, v5, v4
	v_mul_f32_e32 v11, v10, v9
	v_fma_f32 v12, -v8, v11, v10
	v_fmac_f32_e32 v11, v12, v9
	v_fma_f32 v8, -v8, v11, v10
	v_div_fmas_f32 v8, v8, v9, v11
	v_div_fixup_f32 v4, v8, v5, v4
	v_mov_b32_e32 v5, s13
	v_mov_b32_e32 v8, s12
	v_cndmask_b32_e64 v5, v5, v8, s[2:3]
	v_add_f32_e32 v4, v5, v4
	s_mov_b32 s2, 0x800000
	v_mul_f32_e32 v5, 0x4b800000, v4
	v_cmp_gt_f32_e32 vcc, s2, v4
	v_cndmask_b32_e32 v4, v4, v5, vcc
	v_rsq_f32_e32 v4, v4
	v_cvt_f32_u32_sdwa v26, v60 dst_sel:DWORD dst_unused:UNUSED_PAD src0_sel:WORD_0
	v_cvt_f32_u32_sdwa v29, v61 dst_sel:DWORD dst_unused:UNUSED_PAD src0_sel:WORD_1
	v_cvt_f32_u32_sdwa v28, v61 dst_sel:DWORD dst_unused:UNUSED_PAD src0_sel:WORD_0
	v_mul_f32_e32 v5, 0x45800000, v4
	v_cndmask_b32_e32 v4, v4, v5, vcc
	v_mov_b32_e32 v5, v4
	;;#ASMSTART
	v_pk_mul_f32 v[2:3], v[2:3], v[4:5]
	;;#ASMEND
	;;#ASMSTART
	v_pk_mul_f32 v[6:7], v[6:7], v[4:5]
	;;#ASMEND
	;; [unrolled: 3-line block ×9, first 2 shown]
	v_cvt_f32_u32_sdwa v15, v63 dst_sel:DWORD dst_unused:UNUSED_PAD src0_sel:WORD_1
	v_cvt_f32_u32_sdwa v14, v63 dst_sel:DWORD dst_unused:UNUSED_PAD src0_sel:WORD_0
	v_cvt_f32_u32_sdwa v21, v64 dst_sel:DWORD dst_unused:UNUSED_PAD src0_sel:WORD_1
	v_cvt_f32_u32_sdwa v20, v64 dst_sel:DWORD dst_unused:UNUSED_PAD src0_sel:WORD_0
	v_cvt_f32_u32_sdwa v25, v59 dst_sel:DWORD dst_unused:UNUSED_PAD src0_sel:WORD_1
	v_pk_add_f32 v[14:15], v[14:15], 1.0 op_sel_hi:[1,0]
	v_cvt_f32_u32_sdwa v24, v59 dst_sel:DWORD dst_unused:UNUSED_PAD src0_sel:WORD_0
	;;#ASMSTART
	v_pk_mul_f32 v[6:7], v[6:7], v[14:15]
	;;#ASMEND
	v_pk_add_f32 v[14:15], v[20:21], 1.0 op_sel_hi:[1,0]
	v_pk_add_f32 v[20:21], v[22:23], 1.0 op_sel_hi:[1,0]
	v_cvt_f32_u32_sdwa v23, v58 dst_sel:DWORD dst_unused:UNUSED_PAD src0_sel:WORD_1
	v_cvt_f32_u32_sdwa v22, v58 dst_sel:DWORD dst_unused:UNUSED_PAD src0_sel:WORD_0
	v_pk_add_f32 v[24:25], v[24:25], 1.0 op_sel_hi:[1,0]
	v_pk_add_f32 v[26:27], v[26:27], 1.0 op_sel_hi:[1,0]
	;; [unrolled: 1-line block ×4, first 2 shown]
	;;#ASMSTART
	v_pk_mul_f32 v[40:41], v[8:9], v[14:15]
	;;#ASMEND
	;;#ASMSTART
	v_pk_mul_f32 v[30:31], v[10:11], v[20:21]
	;;#ASMEND
	;; [unrolled: 3-line block ×6, first 2 shown]
	s_or_b64 exec, exec, s[26:27]
	s_mov_b64 s[2:3], -1
	s_and_b64 vcc, exec, s[22:23]
	s_cbranch_vccz .LBB652_15
.LBB652_19:
	s_and_saveexec_b64 s[2:3], s[0:1]
	s_cbranch_execz .LBB652_21
; %bb.20:
	s_mul_hi_i32 s23, s25, s6
	s_mul_i32 s22, s25, s6
	s_lshl_b64 s[22:23], s[22:23], 1
	s_add_u32 s28, s14, s22
	s_addc_u32 s7, s15, s23
	s_and_b32 s29, s7, 0xffff
	s_mov_b32 s7, 0x7060302
	s_mov_b32 s31, 0x20000
	v_perm_b32 v11, v31, v30, s7
	v_perm_b32 v10, v41, v40, s7
	;; [unrolled: 1-line block ×4, first 2 shown]
	v_lshlrev_b32_e32 v4, 5, v0
	buffer_store_dwordx4 v[8:11], v4, s[28:31], 0 offen
	;;#ASMSTART
	s_nop 0
	;;#ASMEND
	s_nop 0
	v_perm_b32 v11, v75, v74, s7
	v_perm_b32 v10, v21, v20, s7
	;; [unrolled: 1-line block ×4, first 2 shown]
	buffer_store_dwordx4 v[8:11], v4, s[28:31], 16 offen
	;;#ASMSTART
	s_nop 0
	;;#ASMEND
.LBB652_21:
	s_or_b64 exec, exec, s[2:3]
	s_cbranch_execnz .LBB652_16
.LBB652_22:
	s_and_saveexec_b64 s[2:3], s[0:1]
	s_cbranch_execz .LBB652_24
; %bb.23:
	s_load_dwordx2 s[0:1], s[4:5], 0x10
	s_mul_hi_i32 s23, s24, s6
	s_mul_i32 s22, s24, s6
	s_lshl_b64 s[22:23], s[22:23], 1
	s_mov_b32 s7, 0x7060302
	s_waitcnt lgkmcnt(0)
	s_add_u32 s28, s0, s22
	s_addc_u32 s0, s1, s23
	v_perm_b32 v9, v31, v30, s7
	v_perm_b32 v8, v41, v40, s7
	;; [unrolled: 1-line block ×4, first 2 shown]
	s_and_b32 s29, s0, 0xffff
	s_mov_b32 s31, 0x20000
	v_lshlrev_b32_e32 v10, 5, v0
	v_perm_b32 v5, v75, v74, s7
	v_perm_b32 v4, v21, v20, s7
	;; [unrolled: 1-line block ×4, first 2 shown]
	buffer_store_dwordx4 v[6:9], v10, s[28:31], 0 offen
	;;#ASMSTART
	s_nop 0
	;;#ASMEND
	buffer_store_dwordx4 v[2:5], v10, s[28:31], 16 offen
	;;#ASMSTART
	s_nop 0
	;;#ASMEND
.LBB652_24:
	s_or_b64 exec, exec, s[2:3]
	s_cmp_lt_i32 s16, 1
	s_cbranch_scc1 .LBB652_17
.LBB652_25:
	s_load_dword s0, s[4:5], 0x94
	s_waitcnt lgkmcnt(0)
	s_cmp_lg_u32 s0, 1
	s_cbranch_scc1 .LBB652_17
; %bb.26:
	s_lshl_b32 s0, s16, 1
	s_add_i32 s0, s0, 2
	v_cmp_gt_u32_e32 vcc, s16, v1
	s_and_b32 s22, s0, -4
	v_mov_b32_e32 v18, 0
	v_lshlrev_b32_e32 v1, 5, v0
	v_mov_b32_e32 v14, 0
	v_mov_b32_e32 v15, 0
	;; [unrolled: 1-line block ×16, first 2 shown]
	s_barrier
	s_and_saveexec_b64 s[0:1], vcc
	s_cbranch_execz .LBB652_28
; %bb.27:
	s_mul_hi_i32 s3, s18, s6
	s_mul_i32 s2, s18, s6
	s_and_b32 s21, s21, 0xffff
	s_lshl_b64 s[2:3], s[2:3], 1
	s_add_u32 s28, s10, s2
	s_mov_b32 s23, 0x20000
	s_addc_u32 s2, s11, s3
	s_and_b32 s29, s2, 0xffff
	s_mov_b32 s30, s22
	s_mov_b32 s31, s23
	buffer_load_dwordx4 v[14:17], v1, s[28:31], 0 offen
	buffer_load_dwordx4 v[10:13], v1, s[28:31], 16 offen
	;; [unrolled: 1-line block ×4, first 2 shown]
.LBB652_28:
	s_or_b64 exec, exec, s[0:1]
	v_mov_b32_e32 v19, 0
	v_mov_b32_e32 v32, 0
	v_mov_b32_e32 v33, 0
	v_mov_b32_e32 v30, 0
	v_mov_b32_e32 v31, 0
	v_mov_b32_e32 v28, 0
	v_mov_b32_e32 v29, 0
	v_mov_b32_e32 v26, 0
	v_mov_b32_e32 v27, 0
	v_mov_b32_e32 v24, 0
	v_mov_b32_e32 v25, 0
	v_mov_b32_e32 v22, 0
	v_mov_b32_e32 v23, 0
	v_mov_b32_e32 v20, 0
	v_mov_b32_e32 v21, 0
	s_and_saveexec_b64 s[0:1], vcc
	s_cbranch_execz .LBB652_30
; %bb.29:
	s_waitcnt vmcnt(3)
	v_cvt_f32_u32_sdwa v18, v14 dst_sel:DWORD dst_unused:UNUSED_PAD src0_sel:WORD_0
	v_cvt_f32_u32_sdwa v19, v14 dst_sel:DWORD dst_unused:UNUSED_PAD src0_sel:WORD_1
	v_cvt_f32_u32_sdwa v32, v15 dst_sel:DWORD dst_unused:UNUSED_PAD src0_sel:WORD_0
	v_cvt_f32_u32_sdwa v33, v15 dst_sel:DWORD dst_unused:UNUSED_PAD src0_sel:WORD_1
	;; [unrolled: 2-line block ×4, first 2 shown]
	s_waitcnt vmcnt(2)
	v_cvt_f32_u32_sdwa v26, v10 dst_sel:DWORD dst_unused:UNUSED_PAD src0_sel:WORD_0
	v_cvt_f32_u32_sdwa v27, v10 dst_sel:DWORD dst_unused:UNUSED_PAD src0_sel:WORD_1
	v_cvt_f32_u32_sdwa v24, v11 dst_sel:DWORD dst_unused:UNUSED_PAD src0_sel:WORD_0
	v_cvt_f32_u32_sdwa v25, v11 dst_sel:DWORD dst_unused:UNUSED_PAD src0_sel:WORD_1
	;; [unrolled: 2-line block ×4, first 2 shown]
.LBB652_30:
	s_or_b64 exec, exec, s[0:1]
	s_waitcnt vmcnt(2)
	v_mul_f32_e32 v10, v19, v19
	v_fmac_f32_e32 v10, v18, v18
	v_fmac_f32_e32 v10, v32, v32
	;; [unrolled: 1-line block ×15, first 2 shown]
	s_nop 1
	v_mov_b32_dpp v11, v10 quad_perm:[1,0,3,2] row_mask:0xf bank_mask:0xf
	v_add_f32_e32 v10, v10, v11
	s_nop 1
	v_mov_b32_dpp v11, v10 quad_perm:[2,3,0,1] row_mask:0xf bank_mask:0xf
	v_add_f32_e32 v10, v10, v11
	s_nop 1
	v_mov_b32_dpp v11, v10 row_half_mirror row_mask:0xf bank_mask:0xf
	v_add_f32_e32 v10, v10, v11
	s_nop 1
	v_mov_b32_dpp v11, v10 row_mirror row_mask:0xf bank_mask:0xf
	v_add_f32_e32 v10, v10, v11
	s_nop 1
	v_mov_b32_dpp v11, v10 row_bcast:15 row_mask:0xf bank_mask:0xf
	v_add_f32_e32 v10, v10, v11
	s_nop 1
	v_mov_b32_dpp v11, v10 row_bcast:31 row_mask:0xf bank_mask:0xf
	s_and_saveexec_b64 s[0:1], s[8:9]
	s_cbranch_execz .LBB652_32
; %bb.31:
	v_lshrrev_b32_e32 v0, 4, v0
	v_add_f32_e32 v10, v10, v11
	v_and_b32_e32 v0, 60, v0
	ds_write_b32 v0, v10
.LBB652_32:
	s_or_b64 exec, exec, s[0:1]
	s_waitcnt lgkmcnt(0)
	s_barrier
	ds_read_b32 v0, v34
	s_waitcnt lgkmcnt(0)
	s_nop 0
	v_mov_b32_dpp v10, v0 quad_perm:[1,0,3,2] row_mask:0xf bank_mask:0xf
	s_and_saveexec_b64 s[0:1], vcc
	s_cbranch_execz .LBB652_17
; %bb.33:
	v_cvt_f32_u32_e32 v11, s16
	v_add_f32_e32 v0, v0, v10
	s_mov_b32 s23, 0x20000
	v_div_scale_f32 v10, s[0:1], v11, v11, v0
	v_rcp_f32_e32 v12, v10
	v_div_scale_f32 v13, vcc, v0, v11, v0
	s_mov_b32 s0, 0x800000
	v_fma_f32 v14, -v10, v12, 1.0
	v_fmac_f32_e32 v12, v14, v12
	v_mul_f32_e32 v14, v13, v12
	v_fma_f32 v15, -v10, v14, v13
	v_fmac_f32_e32 v14, v15, v12
	v_fma_f32 v10, -v10, v14, v13
	v_div_fmas_f32 v10, v10, v12, v14
	v_div_fixup_f32 v0, v10, v11, v0
	v_add_f32_e32 v0, s13, v0
	v_mul_f32_e32 v10, 0x4b800000, v0
	v_cmp_gt_f32_e32 vcc, s0, v0
	v_cndmask_b32_e32 v0, v0, v10, vcc
	v_rsq_f32_e32 v0, v0
	s_mul_hi_i32 s1, s25, s6
	s_mul_i32 s0, s25, s6
	s_lshl_b64 s[0:1], s[0:1], 1
	v_mul_f32_e32 v10, 0x45800000, v0
	v_cndmask_b32_e32 v10, v0, v10, vcc
	v_mov_b32_e32 v11, v10
	;;#ASMSTART
	v_pk_mul_f32 v[12:13], v[18:19], v[10:11]
	;;#ASMEND
	;;#ASMSTART
	v_pk_mul_f32 v[14:15], v[32:33], v[10:11]
	;;#ASMEND
	;; [unrolled: 3-line block ×4, first 2 shown]
	s_waitcnt vmcnt(1)
	v_cvt_f32_u32_sdwa v29, v6 dst_sel:DWORD dst_unused:UNUSED_PAD src0_sel:WORD_1
	v_cvt_f32_u32_sdwa v28, v6 dst_sel:DWORD dst_unused:UNUSED_PAD src0_sel:WORD_0
	v_cvt_f32_u32_sdwa v31, v7 dst_sel:DWORD dst_unused:UNUSED_PAD src0_sel:WORD_1
	v_cvt_f32_u32_sdwa v30, v7 dst_sel:DWORD dst_unused:UNUSED_PAD src0_sel:WORD_0
	;;#ASMSTART
	v_pk_mul_f32 v[26:27], v[26:27], v[10:11]
	;;#ASMEND
	;;#ASMSTART
	v_pk_mul_f32 v[24:25], v[24:25], v[10:11]
	;;#ASMEND
	;; [unrolled: 3-line block ×4, first 2 shown]
	v_cvt_f32_u32_sdwa v21, v8 dst_sel:DWORD dst_unused:UNUSED_PAD src0_sel:WORD_1
	v_cvt_f32_u32_sdwa v20, v8 dst_sel:DWORD dst_unused:UNUSED_PAD src0_sel:WORD_0
	v_pk_add_f32 v[10:11], v[28:29], 1.0 op_sel_hi:[1,0]
	;;#ASMSTART
	v_pk_mul_f32 v[10:11], v[12:13], v[10:11]
	;;#ASMEND
	v_pk_add_f32 v[12:13], v[30:31], 1.0 op_sel_hi:[1,0]
	v_cvt_f32_u32_sdwa v29, v9 dst_sel:DWORD dst_unused:UNUSED_PAD src0_sel:WORD_1
	v_cvt_f32_u32_sdwa v28, v9 dst_sel:DWORD dst_unused:UNUSED_PAD src0_sel:WORD_0
	;;#ASMSTART
	v_pk_mul_f32 v[8:9], v[14:15], v[12:13]
	;;#ASMEND
	v_pk_add_f32 v[12:13], v[20:21], 1.0 op_sel_hi:[1,0]
	;;#ASMSTART
	v_pk_mul_f32 v[12:13], v[16:17], v[12:13]
	;;#ASMEND
	s_waitcnt vmcnt(0)
	v_cvt_f32_u32_sdwa v17, v2 dst_sel:DWORD dst_unused:UNUSED_PAD src0_sel:WORD_1
	v_cvt_f32_u32_sdwa v16, v2 dst_sel:DWORD dst_unused:UNUSED_PAD src0_sel:WORD_0
	v_cvt_f32_u32_sdwa v21, v3 dst_sel:DWORD dst_unused:UNUSED_PAD src0_sel:WORD_1
	v_cvt_f32_u32_sdwa v20, v3 dst_sel:DWORD dst_unused:UNUSED_PAD src0_sel:WORD_0
	v_pk_add_f32 v[14:15], v[28:29], 1.0 op_sel_hi:[1,0]
	;;#ASMSTART
	v_pk_mul_f32 v[14:15], v[18:19], v[14:15]
	;;#ASMEND
	v_pk_add_f32 v[2:3], v[16:17], 1.0 op_sel_hi:[1,0]
	v_cvt_f32_u32_sdwa v19, v4 dst_sel:DWORD dst_unused:UNUSED_PAD src0_sel:WORD_1
	v_cvt_f32_u32_sdwa v18, v4 dst_sel:DWORD dst_unused:UNUSED_PAD src0_sel:WORD_0
	;;#ASMSTART
	v_pk_mul_f32 v[16:17], v[26:27], v[2:3]
	;;#ASMEND
	v_pk_add_f32 v[2:3], v[20:21], 1.0 op_sel_hi:[1,0]
	v_cvt_f32_u32_sdwa v21, v5 dst_sel:DWORD dst_unused:UNUSED_PAD src0_sel:WORD_1
	v_cvt_f32_u32_sdwa v20, v5 dst_sel:DWORD dst_unused:UNUSED_PAD src0_sel:WORD_0
	s_add_u32 s20, s14, s0
	;;#ASMSTART
	v_pk_mul_f32 v[24:25], v[24:25], v[2:3]
	;;#ASMEND
	v_pk_add_f32 v[2:3], v[18:19], 1.0 op_sel_hi:[1,0]
	s_addc_u32 s0, s15, s1
	;;#ASMSTART
	v_pk_mul_f32 v[18:19], v[22:23], v[2:3]
	;;#ASMEND
	v_pk_add_f32 v[2:3], v[20:21], 1.0 op_sel_hi:[1,0]
	s_and_b32 s21, s0, 0xffff
	s_mov_b32 s0, 0x7060302
	;;#ASMSTART
	v_pk_mul_f32 v[6:7], v[6:7], v[2:3]
	;;#ASMEND
	v_perm_b32 v2, v11, v10, s0
	v_perm_b32 v3, v9, v8, s0
	;; [unrolled: 1-line block ×4, first 2 shown]
	buffer_store_dwordx4 v[2:5], v1, s[20:23], 0 offen
	;;#ASMSTART
	s_nop 0
	;;#ASMEND
	s_nop 0
	v_perm_b32 v2, v17, v16, s0
	v_perm_b32 v3, v25, v24, s0
	;; [unrolled: 1-line block ×4, first 2 shown]
	buffer_store_dwordx4 v[2:5], v1, s[20:23], 16 offen
	;;#ASMSTART
	s_nop 0
	;;#ASMEND
	s_endpgm
	.section	.rodata,"a",@progbits
	.p2align	6, 0x0
	.amdhsa_kernel _ZN5aiter35fused_qk_rmsnorm_group_quant_kernelItN4opus5fp4_tELi128ELi16ELi4ELb1ELb1ELb1ELb1ELb0ELb0EEEvPT0_PvPT_S7_S7_PKS6_S9_S9_S9_S9_ffiiiiiiiiiiiii
		.amdhsa_group_segment_fixed_size 16
		.amdhsa_private_segment_fixed_size 0
		.amdhsa_kernarg_size 400
		.amdhsa_user_sgpr_count 6
		.amdhsa_user_sgpr_private_segment_buffer 1
		.amdhsa_user_sgpr_dispatch_ptr 0
		.amdhsa_user_sgpr_queue_ptr 0
		.amdhsa_user_sgpr_kernarg_segment_ptr 1
		.amdhsa_user_sgpr_dispatch_id 0
		.amdhsa_user_sgpr_flat_scratch_init 0
		.amdhsa_user_sgpr_kernarg_preload_length 0
		.amdhsa_user_sgpr_kernarg_preload_offset 0
		.amdhsa_user_sgpr_private_segment_size 0
		.amdhsa_uses_dynamic_stack 0
		.amdhsa_system_sgpr_private_segment_wavefront_offset 0
		.amdhsa_system_sgpr_workgroup_id_x 1
		.amdhsa_system_sgpr_workgroup_id_y 1
		.amdhsa_system_sgpr_workgroup_id_z 0
		.amdhsa_system_sgpr_workgroup_info 0
		.amdhsa_system_vgpr_workitem_id 0
		.amdhsa_next_free_vgpr 76
		.amdhsa_next_free_sgpr 32
		.amdhsa_accum_offset 76
		.amdhsa_reserve_vcc 1
		.amdhsa_reserve_flat_scratch 0
		.amdhsa_float_round_mode_32 0
		.amdhsa_float_round_mode_16_64 0
		.amdhsa_float_denorm_mode_32 3
		.amdhsa_float_denorm_mode_16_64 3
		.amdhsa_dx10_clamp 1
		.amdhsa_ieee_mode 1
		.amdhsa_fp16_overflow 0
		.amdhsa_tg_split 0
		.amdhsa_exception_fp_ieee_invalid_op 0
		.amdhsa_exception_fp_denorm_src 0
		.amdhsa_exception_fp_ieee_div_zero 0
		.amdhsa_exception_fp_ieee_overflow 0
		.amdhsa_exception_fp_ieee_underflow 0
		.amdhsa_exception_fp_ieee_inexact 0
		.amdhsa_exception_int_div_zero 0
	.end_amdhsa_kernel
	.section	.text._ZN5aiter35fused_qk_rmsnorm_group_quant_kernelItN4opus5fp4_tELi128ELi16ELi4ELb1ELb1ELb1ELb1ELb0ELb0EEEvPT0_PvPT_S7_S7_PKS6_S9_S9_S9_S9_ffiiiiiiiiiiiii,"axG",@progbits,_ZN5aiter35fused_qk_rmsnorm_group_quant_kernelItN4opus5fp4_tELi128ELi16ELi4ELb1ELb1ELb1ELb1ELb0ELb0EEEvPT0_PvPT_S7_S7_PKS6_S9_S9_S9_S9_ffiiiiiiiiiiiii,comdat
.Lfunc_end652:
	.size	_ZN5aiter35fused_qk_rmsnorm_group_quant_kernelItN4opus5fp4_tELi128ELi16ELi4ELb1ELb1ELb1ELb1ELb0ELb0EEEvPT0_PvPT_S7_S7_PKS6_S9_S9_S9_S9_ffiiiiiiiiiiiii, .Lfunc_end652-_ZN5aiter35fused_qk_rmsnorm_group_quant_kernelItN4opus5fp4_tELi128ELi16ELi4ELb1ELb1ELb1ELb1ELb0ELb0EEEvPT0_PvPT_S7_S7_PKS6_S9_S9_S9_S9_ffiiiiiiiiiiiii
                                        ; -- End function
	.section	.AMDGPU.csdata,"",@progbits
; Kernel info:
; codeLenInByte = 3536
; NumSgprs: 36
; NumVgprs: 76
; NumAgprs: 0
; TotalNumVgprs: 76
; ScratchSize: 0
; MemoryBound: 0
; FloatMode: 240
; IeeeMode: 1
; LDSByteSize: 16 bytes/workgroup (compile time only)
; SGPRBlocks: 4
; VGPRBlocks: 9
; NumSGPRsForWavesPerEU: 36
; NumVGPRsForWavesPerEU: 76
; AccumOffset: 76
; Occupancy: 6
; WaveLimiterHint : 0
; COMPUTE_PGM_RSRC2:SCRATCH_EN: 0
; COMPUTE_PGM_RSRC2:USER_SGPR: 6
; COMPUTE_PGM_RSRC2:TRAP_HANDLER: 0
; COMPUTE_PGM_RSRC2:TGID_X_EN: 1
; COMPUTE_PGM_RSRC2:TGID_Y_EN: 1
; COMPUTE_PGM_RSRC2:TGID_Z_EN: 0
; COMPUTE_PGM_RSRC2:TIDIG_COMP_CNT: 0
; COMPUTE_PGM_RSRC3_GFX90A:ACCUM_OFFSET: 18
; COMPUTE_PGM_RSRC3_GFX90A:TG_SPLIT: 0
	.section	.text._ZN5aiter35fused_qk_rmsnorm_group_quant_kernelIDF16_DB8_Li128ELi16ELi4ELb1ELb1ELb0ELb1ELb0ELb0EEEvPT0_PvPT_S6_S6_PKS5_S8_S8_S8_S8_ffiiiiiiiiiiiii,"axG",@progbits,_ZN5aiter35fused_qk_rmsnorm_group_quant_kernelIDF16_DB8_Li128ELi16ELi4ELb1ELb1ELb0ELb1ELb0ELb0EEEvPT0_PvPT_S6_S6_PKS5_S8_S8_S8_S8_ffiiiiiiiiiiiii,comdat
	.protected	_ZN5aiter35fused_qk_rmsnorm_group_quant_kernelIDF16_DB8_Li128ELi16ELi4ELb1ELb1ELb0ELb1ELb0ELb0EEEvPT0_PvPT_S6_S6_PKS5_S8_S8_S8_S8_ffiiiiiiiiiiiii ; -- Begin function _ZN5aiter35fused_qk_rmsnorm_group_quant_kernelIDF16_DB8_Li128ELi16ELi4ELb1ELb1ELb0ELb1ELb0ELb0EEEvPT0_PvPT_S6_S6_PKS5_S8_S8_S8_S8_ffiiiiiiiiiiiii
	.globl	_ZN5aiter35fused_qk_rmsnorm_group_quant_kernelIDF16_DB8_Li128ELi16ELi4ELb1ELb1ELb0ELb1ELb0ELb0EEEvPT0_PvPT_S6_S6_PKS5_S8_S8_S8_S8_ffiiiiiiiiiiiii
	.p2align	8
	.type	_ZN5aiter35fused_qk_rmsnorm_group_quant_kernelIDF16_DB8_Li128ELi16ELi4ELb1ELb1ELb0ELb1ELb0ELb0EEEvPT0_PvPT_S6_S6_PKS5_S8_S8_S8_S8_ffiiiiiiiiiiiii,@function
_ZN5aiter35fused_qk_rmsnorm_group_quant_kernelIDF16_DB8_Li128ELi16ELi4ELb1ELb1ELb0ELb1ELb0ELb0EEEvPT0_PvPT_S6_S6_PKS5_S8_S8_S8_S8_ffiiiiiiiiiiiii: ; @_ZN5aiter35fused_qk_rmsnorm_group_quant_kernelIDF16_DB8_Li128ELi16ELi4ELb1ELb1ELb0ELb1ELb0ELb0EEEvPT0_PvPT_S6_S6_PKS5_S8_S8_S8_S8_ffiiiiiiiiiiiii
; %bb.0:
	s_load_dwordx8 s[12:19], s[4:5], 0x50
	s_waitcnt lgkmcnt(0)
	s_cmp_ge_i32 s6, s14
	s_cbranch_scc1 .LBB653_17
; %bb.1:
	s_cmp_lg_u32 s7, 0
	s_cselect_b64 s[22:23], -1, 0
	s_cmp_eq_u32 s7, 0
	s_cselect_b64 s[2:3], -1, 0
	s_and_b64 s[0:1], s[2:3], exec
	s_cselect_b32 s7, s15, s16
	s_load_dwordx2 s[10:11], s[4:5], 0x30
	s_load_dwordx2 s[20:21], s[4:5], 0x48
	s_add_i32 s0, s7, 1
	s_lshr_b32 s1, s0, 31
	s_add_i32 s0, s0, s1
	s_lshl_b32 s0, s0, 1
	v_lshlrev_b32_e32 v1, 4, v0
	s_and_b32 s30, s0, -4
	v_cmp_gt_i32_e64 s[0:1], s7, v1
	v_mov_b32_e32 v6, 0
	v_mov_b32_e32 v7, 0
	;; [unrolled: 1-line block ×16, first 2 shown]
	s_and_saveexec_b64 s[8:9], s[0:1]
	s_cbranch_execz .LBB653_3
; %bb.2:
	s_load_dwordx2 s[14:15], s[4:5], 0x28
	s_load_dwordx2 s[26:27], s[4:5], 0x40
	s_and_b64 s[24:25], s[2:3], exec
	s_cselect_b32 s17, s17, s18
	s_mov_b32 s31, 0x20000
	s_waitcnt lgkmcnt(0)
	s_cselect_b32 s25, s15, s11
	s_cselect_b32 s24, s14, s10
	s_mul_hi_i32 s15, s17, s6
	s_mul_i32 s14, s17, s6
	s_lshl_b64 s[14:15], s[14:15], 1
	s_add_u32 s24, s24, s14
	s_addc_u32 s17, s25, s15
	s_and_b64 s[14:15], s[2:3], exec
	s_cselect_b32 s28, s26, s20
	s_cselect_b32 s14, s27, s21
	s_and_b32 s25, s17, 0xffff
	s_mov_b32 s26, s30
	s_mov_b32 s27, s31
	v_lshlrev_b32_e32 v18, 5, v0
	s_and_b32 s29, s14, 0xffff
	buffer_load_dwordx4 v[10:13], v18, s[24:27], 0 offen
	buffer_load_dwordx4 v[14:17], v18, s[24:27], 16 offen
	;; [unrolled: 1-line block ×4, first 2 shown]
.LBB653_3:
	s_or_b64 exec, exec, s[8:9]
	s_load_dwordx4 s[24:27], s[4:5], 0x7c
	s_and_b64 vcc, exec, s[22:23]
	s_cbranch_vccz .LBB653_7
; %bb.4:
	v_mov_b32_e32 v19, 0
	v_mov_b32_e32 v18, 0
	;; [unrolled: 1-line block ×16, first 2 shown]
	s_and_saveexec_b64 s[8:9], s[0:1]
	s_cbranch_execz .LBB653_6
; %bb.5:
	s_waitcnt vmcnt(3)
	v_cvt_f32_f16_sdwa v33, v10 dst_sel:DWORD dst_unused:UNUSED_PAD src0_sel:WORD_1
	v_cvt_f32_f16_e32 v32, v10
	v_cvt_f32_f16_sdwa v31, v11 dst_sel:DWORD dst_unused:UNUSED_PAD src0_sel:WORD_1
	v_cvt_f32_f16_e32 v30, v11
	;; [unrolled: 2-line block ×4, first 2 shown]
	s_waitcnt vmcnt(2)
	v_cvt_f32_f16_sdwa v25, v14 dst_sel:DWORD dst_unused:UNUSED_PAD src0_sel:WORD_1
	v_cvt_f32_f16_e32 v24, v14
	v_cvt_f32_f16_sdwa v23, v15 dst_sel:DWORD dst_unused:UNUSED_PAD src0_sel:WORD_1
	v_cvt_f32_f16_e32 v22, v15
	;; [unrolled: 2-line block ×4, first 2 shown]
.LBB653_6:
	s_or_b64 exec, exec, s[8:9]
	s_cbranch_execz .LBB653_8
	s_branch .LBB653_11
.LBB653_7:
                                        ; implicit-def: $vgpr19
                                        ; implicit-def: $vgpr21
                                        ; implicit-def: $vgpr23
                                        ; implicit-def: $vgpr25
                                        ; implicit-def: $vgpr29
                                        ; implicit-def: $vgpr27
                                        ; implicit-def: $vgpr31
                                        ; implicit-def: $vgpr33
.LBB653_8:
	v_mov_b32_e32 v19, 0
	v_mov_b32_e32 v18, 0
	;; [unrolled: 1-line block ×16, first 2 shown]
	s_and_saveexec_b64 s[8:9], s[0:1]
	s_cbranch_execz .LBB653_10
; %bb.9:
	s_load_dwordx2 s[14:15], s[4:5], 0x38
	s_mul_hi_i32 s29, s19, s6
	s_mul_i32 s28, s19, s6
	s_lshl_b64 s[28:29], s[28:29], 1
	s_mov_b32 s31, 0x20000
	s_waitcnt lgkmcnt(0)
	s_add_u32 s28, s14, s28
	s_addc_u32 s14, s15, s29
	s_and_b32 s29, s14, 0xffff
	v_lshlrev_b32_e32 v48, 5, v0
	buffer_load_dwordx4 v[18:21], v48, s[28:31], 16 offen
	buffer_load_dwordx4 v[22:25], v48, s[28:31], 0 offen
	s_waitcnt vmcnt(4)
	v_cvt_f32_f16_sdwa v27, v14 dst_sel:DWORD dst_unused:UNUSED_PAD src0_sel:WORD_1
	v_cvt_f32_f16_e32 v26, v14
	v_cvt_f32_f16_sdwa v29, v15 dst_sel:DWORD dst_unused:UNUSED_PAD src0_sel:WORD_1
	v_cvt_f32_f16_e32 v28, v15
	;; [unrolled: 2-line block ×8, first 2 shown]
	s_load_dwordx2 s[14:15], s[4:5], 0x20
	s_mul_hi_i32 s27, s26, s6
	s_mul_i32 s26, s26, s6
	s_lshl_b64 s[26:27], s[26:27], 1
	s_waitcnt lgkmcnt(0)
	s_add_u32 s28, s14, s26
	s_addc_u32 s14, s15, s27
	s_and_b32 s29, s14, 0xffff
	s_waitcnt vmcnt(1)
	v_cvt_f32_f16_e32 v12, v18
	v_cvt_f32_f16_sdwa v13, v18 dst_sel:DWORD dst_unused:UNUSED_PAD src0_sel:WORD_1
	v_cvt_f32_f16_e32 v18, v19
	v_cvt_f32_f16_sdwa v19, v19 dst_sel:DWORD dst_unused:UNUSED_PAD src0_sel:WORD_1
	;; [unrolled: 2-line block ×4, first 2 shown]
	s_waitcnt vmcnt(0)
	v_cvt_f32_f16_e32 v40, v22
	v_cvt_f32_f16_sdwa v41, v22 dst_sel:DWORD dst_unused:UNUSED_PAD src0_sel:WORD_1
	v_cvt_f32_f16_e32 v42, v23
	v_cvt_f32_f16_sdwa v43, v23 dst_sel:DWORD dst_unused:UNUSED_PAD src0_sel:WORD_1
	v_cvt_f32_f16_e32 v44, v24
	v_cvt_f32_f16_sdwa v45, v24 dst_sel:DWORD dst_unused:UNUSED_PAD src0_sel:WORD_1
	v_cvt_f32_f16_e32 v46, v25
	v_cvt_f32_f16_sdwa v47, v25 dst_sel:DWORD dst_unused:UNUSED_PAD src0_sel:WORD_1
	v_pk_add_f32 v[24:25], v[26:27], v[12:13]
	v_pk_add_f32 v[22:23], v[28:29], v[18:19]
	;; [unrolled: 1-line block ×8, first 2 shown]
	v_cvt_f16_f32_e32 v10, v33
	v_cvt_f16_f32_e32 v14, v32
	;; [unrolled: 1-line block ×16, first 2 shown]
	v_pack_b32_f16 v13, v17, v13
	v_pack_b32_f16 v12, v16, v12
	;; [unrolled: 1-line block ×8, first 2 shown]
	buffer_store_dwordx4 v[10:13], v48, s[28:31], 0 offen
	;;#ASMSTART
	s_nop 0
	;;#ASMEND
	buffer_store_dwordx4 v[14:17], v48, s[28:31], 16 offen
	;;#ASMSTART
	s_nop 0
	;;#ASMEND
.LBB653_10:
	s_or_b64 exec, exec, s[8:9]
.LBB653_11:
	s_waitcnt vmcnt(3)
	v_mul_f32_e32 v10, v33, v33
	v_fmac_f32_e32 v10, v32, v32
	v_fmac_f32_e32 v10, v30, v30
	;; [unrolled: 1-line block ×15, first 2 shown]
	v_and_b32_e32 v12, 63, v0
	v_cmp_eq_u32_e64 s[8:9], 63, v12
	v_mov_b32_dpp v11, v10 quad_perm:[1,0,3,2] row_mask:0xf bank_mask:0xf
	v_add_f32_e32 v10, v10, v11
	s_nop 1
	v_mov_b32_dpp v11, v10 quad_perm:[2,3,0,1] row_mask:0xf bank_mask:0xf
	v_add_f32_e32 v10, v10, v11
	s_nop 1
	v_mov_b32_dpp v11, v10 row_half_mirror row_mask:0xf bank_mask:0xf
	v_add_f32_e32 v10, v10, v11
	s_nop 1
	v_mov_b32_dpp v11, v10 row_mirror row_mask:0xf bank_mask:0xf
	v_add_f32_e32 v10, v10, v11
	s_nop 1
	v_mov_b32_dpp v11, v10 row_bcast:15 row_mask:0xf bank_mask:0xf
	v_add_f32_e32 v10, v10, v11
	s_nop 1
	v_mov_b32_dpp v11, v10 row_bcast:31 row_mask:0xf bank_mask:0xf
	s_and_saveexec_b64 s[14:15], s[8:9]
	s_cbranch_execz .LBB653_13
; %bb.12:
	v_add_f32_e32 v10, v10, v11
	v_lshrrev_b32_e32 v11, 4, v0
	v_and_b32_e32 v11, 60, v11
	ds_write_b32 v11, v10 offset:8
.LBB653_13:
	s_or_b64 exec, exec, s[14:15]
	v_and_b32_e32 v10, 1, v0
	v_lshlrev_b32_e32 v34, 2, v10
	s_waitcnt lgkmcnt(0)
	s_barrier
	ds_read_b32 v10, v34 offset:8
	s_load_dwordx2 s[14:15], s[4:5], 0x18
	s_waitcnt lgkmcnt(0)
	v_mov_b32_dpp v11, v10 quad_perm:[1,0,3,2] row_mask:0xf bank_mask:0xf
	s_and_saveexec_b64 s[26:27], s[0:1]
	s_cbranch_execnz .LBB653_18
; %bb.14:
	s_or_b64 exec, exec, s[26:27]
	s_mov_b64 s[2:3], -1
	s_and_b64 vcc, exec, s[22:23]
	s_cbranch_vccnz .LBB653_19
.LBB653_15:
	s_andn2_b64 vcc, exec, s[2:3]
	s_cbranch_vccz .LBB653_22
.LBB653_16:
	s_cmp_lt_i32 s16, 1
	s_cbranch_scc0 .LBB653_25
.LBB653_17:
	s_endpgm
.LBB653_18:
	v_cvt_f32_u32_e32 v12, s7
	v_add_f32_e32 v10, v10, v11
	s_waitcnt vmcnt(2)
	v_mov_b32_e32 v14, s13
	v_mov_b32_e32 v15, s12
	v_div_scale_f32 v11, s[28:29], v12, v12, v10
	v_rcp_f32_e32 v13, v11
	v_cndmask_b32_e64 v14, v14, v15, s[2:3]
	s_mov_b32 s2, 0x800000
	s_waitcnt vmcnt(1)
	v_cvt_f32_f16_sdwa v37, v9 dst_sel:DWORD dst_unused:UNUSED_PAD src0_sel:WORD_1
	v_fma_f32 v15, -v11, v13, 1.0
	v_fmac_f32_e32 v13, v15, v13
	v_div_scale_f32 v15, vcc, v10, v12, v10
	v_mul_f32_e32 v16, v15, v13
	v_fma_f32 v17, -v11, v16, v15
	v_fmac_f32_e32 v16, v17, v13
	v_fma_f32 v11, -v11, v16, v15
	v_div_fmas_f32 v11, v11, v13, v16
	v_div_fixup_f32 v10, v11, v12, v10
	v_add_f32_e32 v10, v14, v10
	v_mul_f32_e32 v11, 0x4b800000, v10
	v_cmp_gt_f32_e32 vcc, s2, v10
	v_cndmask_b32_e32 v10, v10, v11, vcc
	v_rsq_f32_e32 v10, v10
	v_cvt_f32_f16_e32 v36, v9
	s_waitcnt vmcnt(0)
	v_cvt_f32_f16_sdwa v9, v3 dst_sel:DWORD dst_unused:UNUSED_PAD src0_sel:WORD_1
	v_mul_f32_e32 v11, 0x45800000, v10
	v_cndmask_b32_e32 v10, v10, v11, vcc
	v_mov_b32_e32 v11, v10
	;;#ASMSTART
	v_pk_mul_f32 v[12:13], v[32:33], v[10:11]
	;;#ASMEND
	;;#ASMSTART
	v_pk_mul_f32 v[14:15], v[30:31], v[10:11]
	;;#ASMEND
	;; [unrolled: 3-line block ×8, first 2 shown]
	v_cvt_f32_f16_sdwa v19, v6 dst_sel:DWORD dst_unused:UNUSED_PAD src0_sel:WORD_1
	v_cvt_f32_f16_e32 v18, v6
	v_cvt_f32_f16_sdwa v27, v7 dst_sel:DWORD dst_unused:UNUSED_PAD src0_sel:WORD_1
	v_cvt_f32_f16_e32 v26, v7
	;; [unrolled: 2-line block ×3, first 2 shown]
	;;#ASMSTART
	v_pk_mul_f32 v[32:33], v[12:13], v[18:19]
	;;#ASMEND
	;;#ASMSTART
	v_pk_mul_f32 v[30:31], v[14:15], v[26:27]
	;;#ASMEND
	;; [unrolled: 3-line block ×4, first 2 shown]
	v_cvt_f32_f16_sdwa v7, v2 dst_sel:DWORD dst_unused:UNUSED_PAD src0_sel:WORD_1
	v_cvt_f32_f16_e32 v6, v2
	v_cvt_f32_f16_e32 v8, v3
	v_cvt_f32_f16_sdwa v3, v4 dst_sel:DWORD dst_unused:UNUSED_PAD src0_sel:WORD_1
	v_cvt_f32_f16_e32 v2, v4
	v_cvt_f32_f16_sdwa v13, v5 dst_sel:DWORD dst_unused:UNUSED_PAD src0_sel:WORD_1
	v_cvt_f32_f16_e32 v12, v5
	;;#ASMSTART
	v_pk_mul_f32 v[24:25], v[24:25], v[6:7]
	;;#ASMEND
	;;#ASMSTART
	v_pk_mul_f32 v[22:23], v[22:23], v[8:9]
	;;#ASMEND
	;; [unrolled: 3-line block ×4, first 2 shown]
	s_or_b64 exec, exec, s[26:27]
	s_mov_b64 s[2:3], -1
	s_and_b64 vcc, exec, s[22:23]
	s_cbranch_vccz .LBB653_15
.LBB653_19:
	s_and_saveexec_b64 s[2:3], s[0:1]
	s_cbranch_execz .LBB653_21
; %bb.20:
	s_mul_hi_i32 s23, s25, s6
	s_mul_i32 s22, s25, s6
	s_waitcnt vmcnt(0)
	v_cvt_f16_f32_e32 v2, v32
	v_cvt_f16_f32_e32 v3, v30
	;; [unrolled: 1-line block ×8, first 2 shown]
	s_lshl_b64 s[22:23], s[22:23], 1
	s_add_u32 s28, s14, s22
	s_addc_u32 s7, s15, s23
	s_and_b32 s29, s7, 0xffff
	s_mov_b32 s31, 0x20000
	v_pack_b32_f16 v5, v5, v6
	v_pack_b32_f16 v4, v4, v7
	;; [unrolled: 1-line block ×4, first 2 shown]
	v_lshlrev_b32_e32 v6, 5, v0
	buffer_store_dwordx4 v[2:5], v6, s[28:31], 0 offen
	v_cvt_f16_f32_e32 v7, v19
	v_cvt_f16_f32_e32 v2, v24
	;; [unrolled: 1-line block ×8, first 2 shown]
	v_pack_b32_f16 v5, v5, v7
	v_pack_b32_f16 v4, v4, v8
	;; [unrolled: 1-line block ×4, first 2 shown]
	;;#ASMSTART
	s_nop 0
	;;#ASMEND
	buffer_store_dwordx4 v[2:5], v6, s[28:31], 16 offen
	;;#ASMSTART
	s_nop 0
	;;#ASMEND
.LBB653_21:
	s_or_b64 exec, exec, s[2:3]
	s_cbranch_execnz .LBB653_16
.LBB653_22:
	s_and_saveexec_b64 s[2:3], s[0:1]
	s_cbranch_execz .LBB653_24
; %bb.23:
	s_load_dwordx2 s[0:1], s[4:5], 0x10
	s_mul_hi_i32 s23, s24, s6
	s_mul_i32 s22, s24, s6
	s_waitcnt vmcnt(0)
	v_cvt_f16_f32_e32 v2, v32
	v_cvt_f16_f32_e32 v3, v30
	;; [unrolled: 1-line block ×8, first 2 shown]
	s_lshl_b64 s[22:23], s[22:23], 1
	s_waitcnt lgkmcnt(0)
	s_add_u32 s28, s0, s22
	s_addc_u32 s0, s1, s23
	s_mov_b32 s31, 0x20000
	s_and_b32 s29, s0, 0xffff
	v_pack_b32_f16 v5, v5, v6
	v_pack_b32_f16 v4, v4, v7
	;; [unrolled: 1-line block ×4, first 2 shown]
	v_lshlrev_b32_e32 v6, 5, v0
	buffer_store_dwordx4 v[2:5], v6, s[28:31], 0 offen
	v_cvt_f16_f32_e32 v7, v19
	v_cvt_f16_f32_e32 v2, v24
	;; [unrolled: 1-line block ×8, first 2 shown]
	v_pack_b32_f16 v5, v5, v7
	v_pack_b32_f16 v4, v4, v8
	;; [unrolled: 1-line block ×4, first 2 shown]
	;;#ASMSTART
	s_nop 0
	;;#ASMEND
	buffer_store_dwordx4 v[2:5], v6, s[28:31], 16 offen
	;;#ASMSTART
	s_nop 0
	;;#ASMEND
.LBB653_24:
	s_or_b64 exec, exec, s[2:3]
	s_cmp_lt_i32 s16, 1
	s_cbranch_scc1 .LBB653_17
.LBB653_25:
	s_load_dword s0, s[4:5], 0x94
	s_waitcnt lgkmcnt(0)
	s_cmp_lg_u32 s0, 1
	s_cbranch_scc1 .LBB653_17
; %bb.26:
	s_lshl_b32 s0, s16, 1
	s_add_i32 s0, s0, 2
	v_cmp_gt_u32_e32 vcc, s16, v1
	s_and_b32 s22, s0, -4
	v_mov_b32_e32 v18, 0
	v_lshlrev_b32_e32 v1, 5, v0
	s_waitcnt vmcnt(2)
	v_mov_b32_e32 v14, 0
	v_mov_b32_e32 v15, 0
	;; [unrolled: 1-line block ×8, first 2 shown]
	s_waitcnt vmcnt(1)
	v_mov_b32_e32 v6, 0
	v_mov_b32_e32 v7, 0
	;; [unrolled: 1-line block ×4, first 2 shown]
	s_waitcnt vmcnt(0)
	v_mov_b32_e32 v2, 0
	v_mov_b32_e32 v3, 0
	;; [unrolled: 1-line block ×4, first 2 shown]
	s_barrier
	s_and_saveexec_b64 s[0:1], vcc
	s_cbranch_execz .LBB653_28
; %bb.27:
	s_mul_hi_i32 s3, s18, s6
	s_mul_i32 s2, s18, s6
	s_and_b32 s21, s21, 0xffff
	s_lshl_b64 s[2:3], s[2:3], 1
	s_add_u32 s28, s10, s2
	s_mov_b32 s23, 0x20000
	s_addc_u32 s2, s11, s3
	s_and_b32 s29, s2, 0xffff
	s_mov_b32 s30, s22
	s_mov_b32 s31, s23
	buffer_load_dwordx4 v[14:17], v1, s[28:31], 0 offen
	buffer_load_dwordx4 v[10:13], v1, s[28:31], 16 offen
	;; [unrolled: 1-line block ×4, first 2 shown]
.LBB653_28:
	s_or_b64 exec, exec, s[0:1]
	v_mov_b32_e32 v19, 0
	v_mov_b32_e32 v32, 0
	;; [unrolled: 1-line block ×15, first 2 shown]
	s_and_saveexec_b64 s[0:1], vcc
	s_cbranch_execz .LBB653_30
; %bb.29:
	s_waitcnt vmcnt(3)
	v_cvt_f32_f16_sdwa v19, v14 dst_sel:DWORD dst_unused:UNUSED_PAD src0_sel:WORD_1
	v_cvt_f32_f16_e32 v18, v14
	v_cvt_f32_f16_sdwa v33, v15 dst_sel:DWORD dst_unused:UNUSED_PAD src0_sel:WORD_1
	v_cvt_f32_f16_e32 v32, v15
	;; [unrolled: 2-line block ×4, first 2 shown]
	s_waitcnt vmcnt(2)
	v_cvt_f32_f16_sdwa v27, v10 dst_sel:DWORD dst_unused:UNUSED_PAD src0_sel:WORD_1
	v_cvt_f32_f16_e32 v26, v10
	v_cvt_f32_f16_sdwa v25, v11 dst_sel:DWORD dst_unused:UNUSED_PAD src0_sel:WORD_1
	v_cvt_f32_f16_e32 v24, v11
	;; [unrolled: 2-line block ×4, first 2 shown]
.LBB653_30:
	s_or_b64 exec, exec, s[0:1]
	s_waitcnt vmcnt(2)
	v_mul_f32_e32 v10, v19, v19
	v_fmac_f32_e32 v10, v18, v18
	v_fmac_f32_e32 v10, v32, v32
	;; [unrolled: 1-line block ×15, first 2 shown]
	s_nop 1
	v_mov_b32_dpp v11, v10 quad_perm:[1,0,3,2] row_mask:0xf bank_mask:0xf
	v_add_f32_e32 v10, v10, v11
	s_nop 1
	v_mov_b32_dpp v11, v10 quad_perm:[2,3,0,1] row_mask:0xf bank_mask:0xf
	v_add_f32_e32 v10, v10, v11
	s_nop 1
	v_mov_b32_dpp v11, v10 row_half_mirror row_mask:0xf bank_mask:0xf
	v_add_f32_e32 v10, v10, v11
	s_nop 1
	v_mov_b32_dpp v11, v10 row_mirror row_mask:0xf bank_mask:0xf
	v_add_f32_e32 v10, v10, v11
	s_nop 1
	v_mov_b32_dpp v11, v10 row_bcast:15 row_mask:0xf bank_mask:0xf
	v_add_f32_e32 v10, v10, v11
	s_nop 1
	v_mov_b32_dpp v11, v10 row_bcast:31 row_mask:0xf bank_mask:0xf
	s_and_saveexec_b64 s[0:1], s[8:9]
	s_cbranch_execz .LBB653_32
; %bb.31:
	v_lshrrev_b32_e32 v0, 4, v0
	v_add_f32_e32 v10, v10, v11
	v_and_b32_e32 v0, 60, v0
	ds_write_b32 v0, v10
.LBB653_32:
	s_or_b64 exec, exec, s[0:1]
	s_waitcnt lgkmcnt(0)
	s_barrier
	ds_read_b32 v0, v34
	s_waitcnt lgkmcnt(0)
	s_nop 0
	v_mov_b32_dpp v10, v0 quad_perm:[1,0,3,2] row_mask:0xf bank_mask:0xf
	s_and_saveexec_b64 s[0:1], vcc
	s_cbranch_execz .LBB653_17
; %bb.33:
	v_cvt_f32_u32_e32 v11, s16
	v_add_f32_e32 v0, v0, v10
	s_mov_b32 s23, 0x20000
	v_div_scale_f32 v10, s[0:1], v11, v11, v0
	v_rcp_f32_e32 v12, v10
	v_div_scale_f32 v13, vcc, v0, v11, v0
	s_mov_b32 s0, 0x800000
	v_fma_f32 v14, -v10, v12, 1.0
	v_fmac_f32_e32 v12, v14, v12
	v_mul_f32_e32 v14, v13, v12
	v_fma_f32 v15, -v10, v14, v13
	v_fmac_f32_e32 v14, v15, v12
	v_fma_f32 v10, -v10, v14, v13
	v_div_fmas_f32 v10, v10, v12, v14
	v_div_fixup_f32 v0, v10, v11, v0
	v_add_f32_e32 v0, s13, v0
	v_mul_f32_e32 v10, 0x4b800000, v0
	v_cmp_gt_f32_e32 vcc, s0, v0
	v_cndmask_b32_e32 v0, v0, v10, vcc
	v_rsq_f32_e32 v0, v0
	s_mul_hi_i32 s1, s25, s6
	s_mul_i32 s0, s25, s6
	s_lshl_b64 s[0:1], s[0:1], 1
	v_mul_f32_e32 v10, 0x45800000, v0
	v_cndmask_b32_e32 v10, v0, v10, vcc
	v_mov_b32_e32 v11, v10
	;;#ASMSTART
	v_pk_mul_f32 v[12:13], v[18:19], v[10:11]
	;;#ASMEND
	;;#ASMSTART
	v_pk_mul_f32 v[14:15], v[32:33], v[10:11]
	;;#ASMEND
	;; [unrolled: 3-line block ×8, first 2 shown]
	s_waitcnt vmcnt(1)
	v_cvt_f32_f16_sdwa v21, v6 dst_sel:DWORD dst_unused:UNUSED_PAD src0_sel:WORD_1
	v_cvt_f32_f16_e32 v20, v6
	v_cvt_f32_f16_sdwa v29, v7 dst_sel:DWORD dst_unused:UNUSED_PAD src0_sel:WORD_1
	v_cvt_f32_f16_e32 v28, v7
	;; [unrolled: 2-line block ×4, first 2 shown]
	;;#ASMSTART
	v_pk_mul_f32 v[8:9], v[12:13], v[20:21]
	;;#ASMEND
	;;#ASMSTART
	v_pk_mul_f32 v[12:13], v[14:15], v[28:29]
	;;#ASMEND
	;; [unrolled: 3-line block ×4, first 2 shown]
	s_waitcnt vmcnt(0)
	v_cvt_f32_f16_sdwa v17, v2 dst_sel:DWORD dst_unused:UNUSED_PAD src0_sel:WORD_1
	v_cvt_f32_f16_e32 v16, v2
	v_cvt_f32_f16_sdwa v19, v3 dst_sel:DWORD dst_unused:UNUSED_PAD src0_sel:WORD_1
	v_cvt_f32_f16_e32 v18, v3
	;; [unrolled: 2-line block ×4, first 2 shown]
	;;#ASMSTART
	v_pk_mul_f32 v[16:17], v[26:27], v[16:17]
	;;#ASMEND
	;;#ASMSTART
	v_pk_mul_f32 v[18:19], v[24:25], v[18:19]
	;;#ASMEND
	;; [unrolled: 3-line block ×3, first 2 shown]
	v_cvt_f16_f32_e32 v0, v8
	v_cvt_f16_f32_e32 v2, v9
	;; [unrolled: 1-line block ×8, first 2 shown]
	s_add_u32 s20, s14, s0
	s_addc_u32 s0, s15, s1
	s_and_b32 s21, s0, 0xffff
	v_pack_b32_f16 v2, v0, v2
	v_pack_b32_f16 v3, v3, v4
	;; [unrolled: 1-line block ×4, first 2 shown]
	;;#ASMSTART
	v_pk_mul_f32 v[10:11], v[10:11], v[20:21]
	;;#ASMEND
	buffer_store_dwordx4 v[2:5], v1, s[20:23], 0 offen
	v_cvt_f16_f32_e32 v0, v16
	v_cvt_f16_f32_e32 v2, v17
	;; [unrolled: 1-line block ×8, first 2 shown]
	v_pack_b32_f16 v2, v0, v2
	v_pack_b32_f16 v3, v3, v4
	;; [unrolled: 1-line block ×4, first 2 shown]
	;;#ASMSTART
	s_nop 0
	;;#ASMEND
	buffer_store_dwordx4 v[2:5], v1, s[20:23], 16 offen
	;;#ASMSTART
	s_nop 0
	;;#ASMEND
	s_endpgm
	.section	.rodata,"a",@progbits
	.p2align	6, 0x0
	.amdhsa_kernel _ZN5aiter35fused_qk_rmsnorm_group_quant_kernelIDF16_DB8_Li128ELi16ELi4ELb1ELb1ELb0ELb1ELb0ELb0EEEvPT0_PvPT_S6_S6_PKS5_S8_S8_S8_S8_ffiiiiiiiiiiiii
		.amdhsa_group_segment_fixed_size 16
		.amdhsa_private_segment_fixed_size 0
		.amdhsa_kernarg_size 400
		.amdhsa_user_sgpr_count 6
		.amdhsa_user_sgpr_private_segment_buffer 1
		.amdhsa_user_sgpr_dispatch_ptr 0
		.amdhsa_user_sgpr_queue_ptr 0
		.amdhsa_user_sgpr_kernarg_segment_ptr 1
		.amdhsa_user_sgpr_dispatch_id 0
		.amdhsa_user_sgpr_flat_scratch_init 0
		.amdhsa_user_sgpr_kernarg_preload_length 0
		.amdhsa_user_sgpr_kernarg_preload_offset 0
		.amdhsa_user_sgpr_private_segment_size 0
		.amdhsa_uses_dynamic_stack 0
		.amdhsa_system_sgpr_private_segment_wavefront_offset 0
		.amdhsa_system_sgpr_workgroup_id_x 1
		.amdhsa_system_sgpr_workgroup_id_y 1
		.amdhsa_system_sgpr_workgroup_id_z 0
		.amdhsa_system_sgpr_workgroup_info 0
		.amdhsa_system_vgpr_workitem_id 0
		.amdhsa_next_free_vgpr 49
		.amdhsa_next_free_sgpr 32
		.amdhsa_accum_offset 52
		.amdhsa_reserve_vcc 1
		.amdhsa_reserve_flat_scratch 0
		.amdhsa_float_round_mode_32 0
		.amdhsa_float_round_mode_16_64 0
		.amdhsa_float_denorm_mode_32 3
		.amdhsa_float_denorm_mode_16_64 3
		.amdhsa_dx10_clamp 1
		.amdhsa_ieee_mode 1
		.amdhsa_fp16_overflow 0
		.amdhsa_tg_split 0
		.amdhsa_exception_fp_ieee_invalid_op 0
		.amdhsa_exception_fp_denorm_src 0
		.amdhsa_exception_fp_ieee_div_zero 0
		.amdhsa_exception_fp_ieee_overflow 0
		.amdhsa_exception_fp_ieee_underflow 0
		.amdhsa_exception_fp_ieee_inexact 0
		.amdhsa_exception_int_div_zero 0
	.end_amdhsa_kernel
	.section	.text._ZN5aiter35fused_qk_rmsnorm_group_quant_kernelIDF16_DB8_Li128ELi16ELi4ELb1ELb1ELb0ELb1ELb0ELb0EEEvPT0_PvPT_S6_S6_PKS5_S8_S8_S8_S8_ffiiiiiiiiiiiii,"axG",@progbits,_ZN5aiter35fused_qk_rmsnorm_group_quant_kernelIDF16_DB8_Li128ELi16ELi4ELb1ELb1ELb0ELb1ELb0ELb0EEEvPT0_PvPT_S6_S6_PKS5_S8_S8_S8_S8_ffiiiiiiiiiiiii,comdat
.Lfunc_end653:
	.size	_ZN5aiter35fused_qk_rmsnorm_group_quant_kernelIDF16_DB8_Li128ELi16ELi4ELb1ELb1ELb0ELb1ELb0ELb0EEEvPT0_PvPT_S6_S6_PKS5_S8_S8_S8_S8_ffiiiiiiiiiiiii, .Lfunc_end653-_ZN5aiter35fused_qk_rmsnorm_group_quant_kernelIDF16_DB8_Li128ELi16ELi4ELb1ELb1ELb0ELb1ELb0ELb0EEEvPT0_PvPT_S6_S6_PKS5_S8_S8_S8_S8_ffiiiiiiiiiiiii
                                        ; -- End function
	.section	.AMDGPU.csdata,"",@progbits
; Kernel info:
; codeLenInByte = 3448
; NumSgprs: 36
; NumVgprs: 49
; NumAgprs: 0
; TotalNumVgprs: 49
; ScratchSize: 0
; MemoryBound: 0
; FloatMode: 240
; IeeeMode: 1
; LDSByteSize: 16 bytes/workgroup (compile time only)
; SGPRBlocks: 4
; VGPRBlocks: 6
; NumSGPRsForWavesPerEU: 36
; NumVGPRsForWavesPerEU: 49
; AccumOffset: 52
; Occupancy: 8
; WaveLimiterHint : 0
; COMPUTE_PGM_RSRC2:SCRATCH_EN: 0
; COMPUTE_PGM_RSRC2:USER_SGPR: 6
; COMPUTE_PGM_RSRC2:TRAP_HANDLER: 0
; COMPUTE_PGM_RSRC2:TGID_X_EN: 1
; COMPUTE_PGM_RSRC2:TGID_Y_EN: 1
; COMPUTE_PGM_RSRC2:TGID_Z_EN: 0
; COMPUTE_PGM_RSRC2:TIDIG_COMP_CNT: 0
; COMPUTE_PGM_RSRC3_GFX90A:ACCUM_OFFSET: 12
; COMPUTE_PGM_RSRC3_GFX90A:TG_SPLIT: 0
	.section	.text._ZN5aiter35fused_qk_rmsnorm_group_quant_kernelItDB8_Li128ELi16ELi4ELb1ELb1ELb0ELb1ELb0ELb0EEEvPT0_PvPT_S6_S6_PKS5_S8_S8_S8_S8_ffiiiiiiiiiiiii,"axG",@progbits,_ZN5aiter35fused_qk_rmsnorm_group_quant_kernelItDB8_Li128ELi16ELi4ELb1ELb1ELb0ELb1ELb0ELb0EEEvPT0_PvPT_S6_S6_PKS5_S8_S8_S8_S8_ffiiiiiiiiiiiii,comdat
	.protected	_ZN5aiter35fused_qk_rmsnorm_group_quant_kernelItDB8_Li128ELi16ELi4ELb1ELb1ELb0ELb1ELb0ELb0EEEvPT0_PvPT_S6_S6_PKS5_S8_S8_S8_S8_ffiiiiiiiiiiiii ; -- Begin function _ZN5aiter35fused_qk_rmsnorm_group_quant_kernelItDB8_Li128ELi16ELi4ELb1ELb1ELb0ELb1ELb0ELb0EEEvPT0_PvPT_S6_S6_PKS5_S8_S8_S8_S8_ffiiiiiiiiiiiii
	.globl	_ZN5aiter35fused_qk_rmsnorm_group_quant_kernelItDB8_Li128ELi16ELi4ELb1ELb1ELb0ELb1ELb0ELb0EEEvPT0_PvPT_S6_S6_PKS5_S8_S8_S8_S8_ffiiiiiiiiiiiii
	.p2align	8
	.type	_ZN5aiter35fused_qk_rmsnorm_group_quant_kernelItDB8_Li128ELi16ELi4ELb1ELb1ELb0ELb1ELb0ELb0EEEvPT0_PvPT_S6_S6_PKS5_S8_S8_S8_S8_ffiiiiiiiiiiiii,@function
_ZN5aiter35fused_qk_rmsnorm_group_quant_kernelItDB8_Li128ELi16ELi4ELb1ELb1ELb0ELb1ELb0ELb0EEEvPT0_PvPT_S6_S6_PKS5_S8_S8_S8_S8_ffiiiiiiiiiiiii: ; @_ZN5aiter35fused_qk_rmsnorm_group_quant_kernelItDB8_Li128ELi16ELi4ELb1ELb1ELb0ELb1ELb0ELb0EEEvPT0_PvPT_S6_S6_PKS5_S8_S8_S8_S8_ffiiiiiiiiiiiii
; %bb.0:
	s_load_dwordx8 s[12:19], s[4:5], 0x50
	s_waitcnt lgkmcnt(0)
	s_cmp_ge_i32 s6, s14
	s_cbranch_scc1 .LBB654_17
; %bb.1:
	s_cmp_lg_u32 s7, 0
	s_cselect_b64 s[22:23], -1, 0
	s_cmp_eq_u32 s7, 0
	s_cselect_b64 s[2:3], -1, 0
	s_and_b64 s[0:1], s[2:3], exec
	s_cselect_b32 s7, s15, s16
	s_load_dwordx2 s[10:11], s[4:5], 0x30
	s_load_dwordx2 s[20:21], s[4:5], 0x48
	s_add_i32 s0, s7, 1
	s_lshr_b32 s1, s0, 31
	s_add_i32 s0, s0, s1
	s_lshl_b32 s0, s0, 1
	v_lshlrev_b32_e32 v1, 4, v0
	s_and_b32 s30, s0, -4
	v_cmp_gt_i32_e64 s[0:1], s7, v1
	v_mov_b32_e32 v76, 0
	v_mov_b32_e32 v77, 0
	;; [unrolled: 1-line block ×16, first 2 shown]
	s_and_saveexec_b64 s[8:9], s[0:1]
	s_cbranch_execz .LBB654_3
; %bb.2:
	s_load_dwordx2 s[14:15], s[4:5], 0x28
	s_load_dwordx2 s[26:27], s[4:5], 0x40
	s_and_b64 s[24:25], s[2:3], exec
	s_cselect_b32 s17, s17, s18
	s_mov_b32 s31, 0x20000
	s_waitcnt lgkmcnt(0)
	s_cselect_b32 s25, s15, s11
	s_cselect_b32 s24, s14, s10
	s_mul_hi_i32 s15, s17, s6
	s_mul_i32 s14, s17, s6
	s_lshl_b64 s[14:15], s[14:15], 1
	s_add_u32 s24, s24, s14
	s_addc_u32 s17, s25, s15
	s_and_b64 s[14:15], s[2:3], exec
	s_cselect_b32 s28, s26, s20
	s_cselect_b32 s14, s27, s21
	s_and_b32 s25, s17, 0xffff
	s_mov_b32 s26, s30
	s_mov_b32 s27, s31
	v_lshlrev_b32_e32 v2, 5, v0
	s_and_b32 s29, s14, 0xffff
	buffer_load_dwordx4 v[80:83], v2, s[24:27], 0 offen
	buffer_load_dwordx4 v[84:87], v2, s[24:27], 16 offen
	;; [unrolled: 1-line block ×4, first 2 shown]
.LBB654_3:
	s_or_b64 exec, exec, s[8:9]
	s_load_dwordx4 s[24:27], s[4:5], 0x7c
	s_and_b64 vcc, exec, s[22:23]
	s_cbranch_vccz .LBB654_7
; %bb.4:
	v_mov_b32_e32 v89, 0
	v_mov_b32_e32 v88, 0
	;; [unrolled: 1-line block ×16, first 2 shown]
	s_and_saveexec_b64 s[8:9], s[0:1]
	s_cbranch_execz .LBB654_6
; %bb.5:
	s_waitcnt vmcnt(3)
	v_cvt_f32_u32_sdwa v18, v80 dst_sel:DWORD dst_unused:UNUSED_PAD src0_sel:WORD_0
	v_cvt_f32_u32_sdwa v19, v80 dst_sel:DWORD dst_unused:UNUSED_PAD src0_sel:WORD_1
	v_cvt_f32_u32_sdwa v4, v81 dst_sel:DWORD dst_unused:UNUSED_PAD src0_sel:WORD_0
	v_cvt_f32_u32_sdwa v5, v81 dst_sel:DWORD dst_unused:UNUSED_PAD src0_sel:WORD_1
	;; [unrolled: 2-line block ×4, first 2 shown]
	s_waitcnt vmcnt(2)
	v_cvt_f32_u32_sdwa v64, v84 dst_sel:DWORD dst_unused:UNUSED_PAD src0_sel:WORD_0
	v_cvt_f32_u32_sdwa v65, v84 dst_sel:DWORD dst_unused:UNUSED_PAD src0_sel:WORD_1
	v_cvt_f32_u32_sdwa v48, v85 dst_sel:DWORD dst_unused:UNUSED_PAD src0_sel:WORD_0
	v_cvt_f32_u32_sdwa v49, v85 dst_sel:DWORD dst_unused:UNUSED_PAD src0_sel:WORD_1
	;; [unrolled: 2-line block ×4, first 2 shown]
.LBB654_6:
	s_or_b64 exec, exec, s[8:9]
	s_cbranch_execz .LBB654_8
	s_branch .LBB654_11
.LBB654_7:
                                        ; implicit-def: $vgpr18_vgpr19_vgpr20_vgpr21_vgpr22_vgpr23_vgpr24_vgpr25_vgpr26_vgpr27_vgpr28_vgpr29_vgpr30_vgpr31_vgpr32_vgpr33
                                        ; implicit-def: $vgpr50_vgpr51_vgpr52_vgpr53_vgpr54_vgpr55_vgpr56_vgpr57_vgpr58_vgpr59_vgpr60_vgpr61_vgpr62_vgpr63_vgpr64_vgpr65
                                        ; implicit-def: $vgpr30_vgpr31_vgpr32_vgpr33_vgpr34_vgpr35_vgpr36_vgpr37_vgpr38_vgpr39_vgpr40_vgpr41_vgpr42_vgpr43_vgpr44_vgpr45
                                        ; implicit-def: $vgpr89
                                        ; implicit-def: $vgpr2_vgpr3_vgpr4_vgpr5_vgpr6_vgpr7_vgpr8_vgpr9_vgpr10_vgpr11_vgpr12_vgpr13_vgpr14_vgpr15_vgpr16_vgpr17
                                        ; implicit-def: $vgpr56_vgpr57_vgpr58_vgpr59_vgpr60_vgpr61_vgpr62_vgpr63_vgpr64_vgpr65_vgpr66_vgpr67_vgpr68_vgpr69_vgpr70_vgpr71
                                        ; implicit-def: $vgpr38_vgpr39_vgpr40_vgpr41_vgpr42_vgpr43_vgpr44_vgpr45_vgpr46_vgpr47_vgpr48_vgpr49_vgpr50_vgpr51_vgpr52_vgpr53
                                        ; implicit-def: $vgpr20_vgpr21_vgpr22_vgpr23_vgpr24_vgpr25_vgpr26_vgpr27_vgpr28_vgpr29_vgpr30_vgpr31_vgpr32_vgpr33_vgpr34_vgpr35
.LBB654_8:
	v_mov_b32_e32 v89, 0
	v_mov_b32_e32 v88, 0
	;; [unrolled: 1-line block ×16, first 2 shown]
	s_and_saveexec_b64 s[8:9], s[0:1]
	s_cbranch_execz .LBB654_10
; %bb.9:
	s_load_dwordx2 s[14:15], s[4:5], 0x38
	s_mul_hi_i32 s29, s19, s6
	s_mul_i32 s28, s19, s6
	s_lshl_b64 s[28:29], s[28:29], 1
	s_mov_b32 s31, 0x20000
	s_waitcnt lgkmcnt(0)
	s_add_u32 s28, s14, s28
	s_addc_u32 s14, s15, s29
	s_and_b32 s29, s14, 0xffff
	v_lshlrev_b32_e32 v38, 5, v0
	buffer_load_dwordx4 v[4:7], v38, s[28:31], 16 offen
	buffer_load_dwordx4 v[8:11], v38, s[28:31], 0 offen
	s_load_dwordx2 s[14:15], s[4:5], 0x20
	s_waitcnt vmcnt(5)
	v_cvt_f32_u32_sdwa v19, v80 dst_sel:DWORD dst_unused:UNUSED_PAD src0_sel:WORD_1
	v_cvt_f32_u32_sdwa v18, v80 dst_sel:DWORD dst_unused:UNUSED_PAD src0_sel:WORD_0
	v_cvt_f32_u32_sdwa v21, v81 dst_sel:DWORD dst_unused:UNUSED_PAD src0_sel:WORD_1
	v_cvt_f32_u32_sdwa v20, v81 dst_sel:DWORD dst_unused:UNUSED_PAD src0_sel:WORD_0
	;; [unrolled: 2-line block ×4, first 2 shown]
	s_waitcnt vmcnt(4)
	v_cvt_f32_u32_sdwa v3, v84 dst_sel:DWORD dst_unused:UNUSED_PAD src0_sel:WORD_1
	v_cvt_f32_u32_sdwa v2, v84 dst_sel:DWORD dst_unused:UNUSED_PAD src0_sel:WORD_0
	v_cvt_f32_u32_sdwa v13, v85 dst_sel:DWORD dst_unused:UNUSED_PAD src0_sel:WORD_1
	v_cvt_f32_u32_sdwa v12, v85 dst_sel:DWORD dst_unused:UNUSED_PAD src0_sel:WORD_0
	;; [unrolled: 2-line block ×3, first 2 shown]
	v_cvt_f32_u32_sdwa v16, v87 dst_sel:DWORD dst_unused:UNUSED_PAD src0_sel:WORD_0
	v_cvt_f32_u32_sdwa v17, v87 dst_sel:DWORD dst_unused:UNUSED_PAD src0_sel:WORD_1
	s_mul_hi_i32 s27, s26, s6
	s_mul_i32 s26, s26, s6
	s_lshl_b64 s[26:27], s[26:27], 1
	s_waitcnt lgkmcnt(0)
	s_add_u32 s28, s14, s26
	s_mov_b32 s17, 0x7060302
	s_addc_u32 s14, s15, s27
	s_and_b32 s29, s14, 0xffff
	s_waitcnt vmcnt(1)
	v_cvt_f32_u32_sdwa v27, v4 dst_sel:DWORD dst_unused:UNUSED_PAD src0_sel:WORD_1
	v_cvt_f32_u32_sdwa v26, v4 dst_sel:DWORD dst_unused:UNUSED_PAD src0_sel:WORD_0
	v_cvt_f32_u32_sdwa v29, v5 dst_sel:DWORD dst_unused:UNUSED_PAD src0_sel:WORD_1
	v_cvt_f32_u32_sdwa v28, v5 dst_sel:DWORD dst_unused:UNUSED_PAD src0_sel:WORD_0
	;; [unrolled: 2-line block ×3, first 2 shown]
	v_cvt_f32_u32_sdwa v32, v7 dst_sel:DWORD dst_unused:UNUSED_PAD src0_sel:WORD_0
	v_cvt_f32_u32_sdwa v33, v7 dst_sel:DWORD dst_unused:UNUSED_PAD src0_sel:WORD_1
	s_waitcnt vmcnt(0)
	v_cvt_f32_u32_sdwa v35, v8 dst_sel:DWORD dst_unused:UNUSED_PAD src0_sel:WORD_1
	v_cvt_f32_u32_sdwa v34, v8 dst_sel:DWORD dst_unused:UNUSED_PAD src0_sel:WORD_0
	v_cvt_f32_u32_sdwa v5, v10 dst_sel:DWORD dst_unused:UNUSED_PAD src0_sel:WORD_1
	v_cvt_f32_u32_sdwa v4, v10 dst_sel:DWORD dst_unused:UNUSED_PAD src0_sel:WORD_0
	;; [unrolled: 2-line block ×4, first 2 shown]
	v_pk_add_f32 v[54:55], v[22:23], v[4:5]
	v_pk_add_f32 v[36:37], v[24:25], v[6:7]
	;; [unrolled: 1-line block ×4, first 2 shown]
	v_perm_b32 v9, v37, v36, s17
	v_perm_b32 v8, v55, v54, s17
	;; [unrolled: 1-line block ×4, first 2 shown]
	v_pk_add_f32 v[88:89], v[16:17], v[32:33]
	v_pk_add_f32 v[32:33], v[14:15], v[30:31]
	;; [unrolled: 1-line block ×4, first 2 shown]
	buffer_store_dwordx4 v[6:9], v38, s[28:31], 0 offen
	;;#ASMSTART
	s_nop 0
	;;#ASMEND
	s_nop 0
	v_perm_b32 v9, v89, v88, s17
	v_perm_b32 v8, v33, v32, s17
	v_perm_b32 v7, v49, v48, s17
	v_perm_b32 v6, v65, v64, s17
	buffer_store_dwordx4 v[6:9], v38, s[28:31], 16 offen
	;;#ASMSTART
	s_nop 0
	;;#ASMEND
.LBB654_10:
	s_or_b64 exec, exec, s[8:9]
.LBB654_11:
	v_mul_f32_e32 v2, v19, v19
	v_fmac_f32_e32 v2, v18, v18
	v_fmac_f32_e32 v2, v4, v4
	;; [unrolled: 1-line block ×15, first 2 shown]
	s_nop 1
	v_mov_b32_dpp v3, v2 quad_perm:[1,0,3,2] row_mask:0xf bank_mask:0xf
	v_add_f32_e32 v2, v2, v3
	s_nop 1
	v_mov_b32_dpp v3, v2 quad_perm:[2,3,0,1] row_mask:0xf bank_mask:0xf
	v_add_f32_e32 v2, v2, v3
	s_nop 1
	v_mov_b32_dpp v3, v2 row_half_mirror row_mask:0xf bank_mask:0xf
	v_add_f32_e32 v2, v2, v3
	s_nop 1
	v_mov_b32_dpp v3, v2 row_mirror row_mask:0xf bank_mask:0xf
	v_add_f32_e32 v2, v2, v3
	s_nop 1
	v_mov_b32_dpp v3, v2 row_bcast:15 row_mask:0xf bank_mask:0xf
	v_add_f32_e32 v2, v2, v3
	v_and_b32_e32 v3, 63, v0
	v_cmp_eq_u32_e64 s[8:9], 63, v3
	s_nop 0
	v_mov_b32_dpp v3, v2 row_bcast:31 row_mask:0xf bank_mask:0xf
	s_and_saveexec_b64 s[14:15], s[8:9]
	s_cbranch_execz .LBB654_13
; %bb.12:
	v_add_f32_e32 v2, v2, v3
	v_lshrrev_b32_e32 v3, 4, v0
	v_and_b32_e32 v3, 60, v3
	ds_write_b32 v3, v2 offset:8
.LBB654_13:
	s_or_b64 exec, exec, s[14:15]
	v_and_b32_e32 v2, 1, v0
	v_lshlrev_b32_e32 v34, 2, v2
	s_waitcnt lgkmcnt(0)
	s_barrier
	ds_read_b32 v2, v34 offset:8
	s_load_dwordx2 s[14:15], s[4:5], 0x18
	s_waitcnt lgkmcnt(0)
	v_mov_b32_dpp v3, v2 quad_perm:[1,0,3,2] row_mask:0xf bank_mask:0xf
	s_and_saveexec_b64 s[26:27], s[0:1]
	s_cbranch_execnz .LBB654_18
; %bb.14:
	s_or_b64 exec, exec, s[26:27]
	s_mov_b64 s[2:3], -1
	s_and_b64 vcc, exec, s[22:23]
	s_cbranch_vccnz .LBB654_19
.LBB654_15:
	s_andn2_b64 vcc, exec, s[2:3]
	s_cbranch_vccz .LBB654_22
.LBB654_16:
	s_cmp_lt_i32 s16, 1
	s_cbranch_scc0 .LBB654_25
.LBB654_17:
	s_endpgm
.LBB654_18:
	v_add_f32_e32 v2, v2, v3
	v_cvt_f32_u32_e32 v3, s7
	s_waitcnt vmcnt(1)
	v_cvt_f32_u32_sdwa v17, v76 dst_sel:DWORD dst_unused:UNUSED_PAD src0_sel:WORD_1
	v_cvt_f32_u32_sdwa v16, v76 dst_sel:DWORD dst_unused:UNUSED_PAD src0_sel:WORD_0
	v_cvt_f32_u32_sdwa v21, v77 dst_sel:DWORD dst_unused:UNUSED_PAD src0_sel:WORD_1
	v_div_scale_f32 v6, s[28:29], v3, v3, v2
	v_rcp_f32_e32 v7, v6
	v_cvt_f32_u32_sdwa v20, v77 dst_sel:DWORD dst_unused:UNUSED_PAD src0_sel:WORD_0
	s_waitcnt vmcnt(0)
	v_cvt_f32_u32_sdwa v25, v73 dst_sel:DWORD dst_unused:UNUSED_PAD src0_sel:WORD_1
	v_cvt_f32_u32_sdwa v24, v73 dst_sel:DWORD dst_unused:UNUSED_PAD src0_sel:WORD_0
	v_fma_f32 v8, -v6, v7, 1.0
	v_fmac_f32_e32 v7, v8, v7
	v_div_scale_f32 v8, vcc, v2, v3, v2
	v_mul_f32_e32 v9, v8, v7
	v_fma_f32 v10, -v6, v9, v8
	v_fmac_f32_e32 v9, v10, v7
	v_fma_f32 v6, -v6, v9, v8
	v_div_fmas_f32 v6, v6, v7, v9
	v_div_fixup_f32 v2, v6, v3, v2
	v_mov_b32_e32 v3, s13
	v_mov_b32_e32 v6, s12
	v_cndmask_b32_e64 v3, v3, v6, s[2:3]
	v_add_f32_e32 v2, v3, v2
	s_mov_b32 s2, 0x800000
	v_mul_f32_e32 v3, 0x4b800000, v2
	v_cmp_gt_f32_e32 vcc, s2, v2
	v_cndmask_b32_e32 v2, v2, v3, vcc
	v_rsq_f32_e32 v2, v2
	v_cvt_f32_u32_sdwa v27, v74 dst_sel:DWORD dst_unused:UNUSED_PAD src0_sel:WORD_1
	v_cvt_f32_u32_sdwa v26, v74 dst_sel:DWORD dst_unused:UNUSED_PAD src0_sel:WORD_0
	v_cvt_f32_u32_sdwa v29, v75 dst_sel:DWORD dst_unused:UNUSED_PAD src0_sel:WORD_1
	v_mul_f32_e32 v3, 0x45800000, v2
	v_cndmask_b32_e32 v2, v2, v3, vcc
	v_mov_b32_e32 v3, v2
	;;#ASMSTART
	v_pk_mul_f32 v[6:7], v[18:19], v[2:3]
	;;#ASMEND
	;;#ASMSTART
	v_pk_mul_f32 v[4:5], v[4:5], v[2:3]
	;;#ASMEND
	;; [unrolled: 3-line block ×10, first 2 shown]
	v_cvt_f32_u32_sdwa v7, v78 dst_sel:DWORD dst_unused:UNUSED_PAD src0_sel:WORD_1
	v_cvt_f32_u32_sdwa v6, v78 dst_sel:DWORD dst_unused:UNUSED_PAD src0_sel:WORD_0
	v_cvt_f32_u32_sdwa v17, v79 dst_sel:DWORD dst_unused:UNUSED_PAD src0_sel:WORD_1
	v_cvt_f32_u32_sdwa v16, v79 dst_sel:DWORD dst_unused:UNUSED_PAD src0_sel:WORD_0
	;; [unrolled: 2-line block ×3, first 2 shown]
	v_cvt_f32_u32_sdwa v28, v75 dst_sel:DWORD dst_unused:UNUSED_PAD src0_sel:WORD_0
	;;#ASMSTART
	v_pk_mul_f32 v[54:55], v[8:9], v[6:7]
	;;#ASMEND
	;;#ASMSTART
	v_pk_mul_f32 v[36:37], v[10:11], v[16:17]
	;;#ASMEND
	;; [unrolled: 3-line block ×6, first 2 shown]
	s_or_b64 exec, exec, s[26:27]
	s_mov_b64 s[2:3], -1
	s_and_b64 vcc, exec, s[22:23]
	s_cbranch_vccz .LBB654_15
.LBB654_19:
	s_and_saveexec_b64 s[2:3], s[0:1]
	s_cbranch_execz .LBB654_21
; %bb.20:
	s_mul_hi_i32 s23, s25, s6
	s_mul_i32 s22, s25, s6
	s_lshl_b64 s[22:23], s[22:23], 1
	s_add_u32 s28, s14, s22
	s_addc_u32 s7, s15, s23
	s_and_b32 s29, s7, 0xffff
	s_mov_b32 s7, 0x7060302
	s_mov_b32 s31, 0x20000
	v_perm_b32 v9, v37, v36, s7
	v_perm_b32 v8, v55, v54, s7
	;; [unrolled: 1-line block ×4, first 2 shown]
	v_lshlrev_b32_e32 v2, 5, v0
	buffer_store_dwordx4 v[6:9], v2, s[28:31], 0 offen
	;;#ASMSTART
	s_nop 0
	;;#ASMEND
	s_nop 0
	v_perm_b32 v9, v89, v88, s7
	v_perm_b32 v8, v33, v32, s7
	;; [unrolled: 1-line block ×4, first 2 shown]
	buffer_store_dwordx4 v[6:9], v2, s[28:31], 16 offen
	;;#ASMSTART
	s_nop 0
	;;#ASMEND
.LBB654_21:
	s_or_b64 exec, exec, s[2:3]
	s_cbranch_execnz .LBB654_16
.LBB654_22:
	s_and_saveexec_b64 s[2:3], s[0:1]
	s_cbranch_execz .LBB654_24
; %bb.23:
	s_load_dwordx2 s[0:1], s[4:5], 0x10
	s_mul_hi_i32 s23, s24, s6
	s_mul_i32 s22, s24, s6
	s_lshl_b64 s[22:23], s[22:23], 1
	s_mov_b32 s7, 0x7060302
	s_waitcnt lgkmcnt(0)
	s_add_u32 s28, s0, s22
	s_addc_u32 s0, s1, s23
	v_perm_b32 v7, v37, v36, s7
	v_perm_b32 v6, v55, v54, s7
	;; [unrolled: 1-line block ×4, first 2 shown]
	s_and_b32 s29, s0, 0xffff
	s_mov_b32 s31, 0x20000
	v_lshlrev_b32_e32 v8, 5, v0
	buffer_store_dwordx4 v[4:7], v8, s[28:31], 0 offen
	v_perm_b32 v3, v49, v48, s7
	v_perm_b32 v5, v89, v88, s7
	;; [unrolled: 1-line block ×4, first 2 shown]
	;;#ASMSTART
	s_nop 0
	;;#ASMEND
	buffer_store_dwordx4 v[2:5], v8, s[28:31], 16 offen
	;;#ASMSTART
	s_nop 0
	;;#ASMEND
.LBB654_24:
	s_or_b64 exec, exec, s[2:3]
	s_cmp_lt_i32 s16, 1
	s_cbranch_scc1 .LBB654_17
.LBB654_25:
	s_load_dword s0, s[4:5], 0x94
	s_waitcnt lgkmcnt(0)
	s_cmp_lg_u32 s0, 1
	s_cbranch_scc1 .LBB654_17
; %bb.26:
	s_lshl_b32 s0, s16, 1
	s_add_i32 s0, s0, 2
	v_cmp_gt_u32_e32 vcc, s16, v1
	s_and_b32 s22, s0, -4
	v_mov_b32_e32 v18, 0
	v_lshlrev_b32_e32 v1, 5, v0
	v_mov_b32_e32 v14, 0
	v_mov_b32_e32 v15, 0
	;; [unrolled: 1-line block ×16, first 2 shown]
	s_barrier
	s_and_saveexec_b64 s[0:1], vcc
	s_cbranch_execz .LBB654_28
; %bb.27:
	s_mul_hi_i32 s3, s18, s6
	s_mul_i32 s2, s18, s6
	s_and_b32 s21, s21, 0xffff
	s_lshl_b64 s[2:3], s[2:3], 1
	s_add_u32 s28, s10, s2
	s_mov_b32 s23, 0x20000
	s_addc_u32 s2, s11, s3
	s_and_b32 s29, s2, 0xffff
	s_mov_b32 s30, s22
	s_mov_b32 s31, s23
	buffer_load_dwordx4 v[14:17], v1, s[28:31], 0 offen
	buffer_load_dwordx4 v[10:13], v1, s[28:31], 16 offen
	;; [unrolled: 1-line block ×4, first 2 shown]
.LBB654_28:
	s_or_b64 exec, exec, s[0:1]
	v_mov_b32_e32 v19, 0
	v_mov_b32_e32 v32, 0
	;; [unrolled: 1-line block ×15, first 2 shown]
	s_and_saveexec_b64 s[0:1], vcc
	s_cbranch_execz .LBB654_30
; %bb.29:
	s_waitcnt vmcnt(3)
	v_cvt_f32_u32_sdwa v18, v14 dst_sel:DWORD dst_unused:UNUSED_PAD src0_sel:WORD_0
	v_cvt_f32_u32_sdwa v19, v14 dst_sel:DWORD dst_unused:UNUSED_PAD src0_sel:WORD_1
	v_cvt_f32_u32_sdwa v32, v15 dst_sel:DWORD dst_unused:UNUSED_PAD src0_sel:WORD_0
	v_cvt_f32_u32_sdwa v33, v15 dst_sel:DWORD dst_unused:UNUSED_PAD src0_sel:WORD_1
	;; [unrolled: 2-line block ×4, first 2 shown]
	s_waitcnt vmcnt(2)
	v_cvt_f32_u32_sdwa v26, v10 dst_sel:DWORD dst_unused:UNUSED_PAD src0_sel:WORD_0
	v_cvt_f32_u32_sdwa v27, v10 dst_sel:DWORD dst_unused:UNUSED_PAD src0_sel:WORD_1
	v_cvt_f32_u32_sdwa v24, v11 dst_sel:DWORD dst_unused:UNUSED_PAD src0_sel:WORD_0
	v_cvt_f32_u32_sdwa v25, v11 dst_sel:DWORD dst_unused:UNUSED_PAD src0_sel:WORD_1
	;; [unrolled: 2-line block ×4, first 2 shown]
.LBB654_30:
	s_or_b64 exec, exec, s[0:1]
	s_waitcnt vmcnt(2)
	v_mul_f32_e32 v10, v19, v19
	v_fmac_f32_e32 v10, v18, v18
	v_fmac_f32_e32 v10, v32, v32
	;; [unrolled: 1-line block ×15, first 2 shown]
	s_nop 1
	v_mov_b32_dpp v11, v10 quad_perm:[1,0,3,2] row_mask:0xf bank_mask:0xf
	v_add_f32_e32 v10, v10, v11
	s_nop 1
	v_mov_b32_dpp v11, v10 quad_perm:[2,3,0,1] row_mask:0xf bank_mask:0xf
	v_add_f32_e32 v10, v10, v11
	s_nop 1
	v_mov_b32_dpp v11, v10 row_half_mirror row_mask:0xf bank_mask:0xf
	v_add_f32_e32 v10, v10, v11
	s_nop 1
	v_mov_b32_dpp v11, v10 row_mirror row_mask:0xf bank_mask:0xf
	v_add_f32_e32 v10, v10, v11
	s_nop 1
	v_mov_b32_dpp v11, v10 row_bcast:15 row_mask:0xf bank_mask:0xf
	v_add_f32_e32 v10, v10, v11
	s_nop 1
	v_mov_b32_dpp v11, v10 row_bcast:31 row_mask:0xf bank_mask:0xf
	s_and_saveexec_b64 s[0:1], s[8:9]
	s_cbranch_execz .LBB654_32
; %bb.31:
	v_lshrrev_b32_e32 v0, 4, v0
	v_add_f32_e32 v10, v10, v11
	v_and_b32_e32 v0, 60, v0
	ds_write_b32 v0, v10
.LBB654_32:
	s_or_b64 exec, exec, s[0:1]
	s_waitcnt lgkmcnt(0)
	s_barrier
	ds_read_b32 v0, v34
	s_waitcnt lgkmcnt(0)
	s_nop 0
	v_mov_b32_dpp v10, v0 quad_perm:[1,0,3,2] row_mask:0xf bank_mask:0xf
	s_and_saveexec_b64 s[0:1], vcc
	s_cbranch_execz .LBB654_17
; %bb.33:
	v_cvt_f32_u32_e32 v11, s16
	v_add_f32_e32 v0, v0, v10
	s_mov_b32 s23, 0x20000
	v_div_scale_f32 v10, s[0:1], v11, v11, v0
	v_rcp_f32_e32 v12, v10
	v_div_scale_f32 v13, vcc, v0, v11, v0
	s_mov_b32 s0, 0x800000
	v_fma_f32 v14, -v10, v12, 1.0
	v_fmac_f32_e32 v12, v14, v12
	v_mul_f32_e32 v14, v13, v12
	v_fma_f32 v15, -v10, v14, v13
	v_fmac_f32_e32 v14, v15, v12
	v_fma_f32 v10, -v10, v14, v13
	v_div_fmas_f32 v10, v10, v12, v14
	v_div_fixup_f32 v0, v10, v11, v0
	v_add_f32_e32 v0, s13, v0
	v_mul_f32_e32 v10, 0x4b800000, v0
	v_cmp_gt_f32_e32 vcc, s0, v0
	v_cndmask_b32_e32 v0, v0, v10, vcc
	v_rsq_f32_e32 v0, v0
	s_mul_hi_i32 s1, s25, s6
	s_mul_i32 s0, s25, s6
	s_lshl_b64 s[0:1], s[0:1], 1
	v_mul_f32_e32 v10, 0x45800000, v0
	v_cndmask_b32_e32 v10, v0, v10, vcc
	v_mov_b32_e32 v11, v10
	s_add_u32 s20, s14, s0
	;;#ASMSTART
	v_pk_mul_f32 v[12:13], v[18:19], v[10:11]
	;;#ASMEND
	;;#ASMSTART
	v_pk_mul_f32 v[14:15], v[32:33], v[10:11]
	;;#ASMEND
	;; [unrolled: 3-line block ×8, first 2 shown]
	s_waitcnt vmcnt(1)
	v_cvt_f32_u32_sdwa v21, v6 dst_sel:DWORD dst_unused:UNUSED_PAD src0_sel:WORD_1
	v_cvt_f32_u32_sdwa v20, v6 dst_sel:DWORD dst_unused:UNUSED_PAD src0_sel:WORD_0
	v_cvt_f32_u32_sdwa v29, v7 dst_sel:DWORD dst_unused:UNUSED_PAD src0_sel:WORD_1
	v_cvt_f32_u32_sdwa v28, v7 dst_sel:DWORD dst_unused:UNUSED_PAD src0_sel:WORD_0
	;; [unrolled: 2-line block ×3, first 2 shown]
	s_addc_u32 s0, s15, s1
	v_cvt_f32_u32_sdwa v31, v9 dst_sel:DWORD dst_unused:UNUSED_PAD src0_sel:WORD_1
	v_cvt_f32_u32_sdwa v30, v9 dst_sel:DWORD dst_unused:UNUSED_PAD src0_sel:WORD_0
	;;#ASMSTART
	v_pk_mul_f32 v[8:9], v[12:13], v[20:21]
	;;#ASMEND
	;;#ASMSTART
	v_pk_mul_f32 v[12:13], v[14:15], v[28:29]
	;;#ASMEND
	;; [unrolled: 3-line block ×4, first 2 shown]
	s_waitcnt vmcnt(0)
	v_cvt_f32_u32_sdwa v17, v2 dst_sel:DWORD dst_unused:UNUSED_PAD src0_sel:WORD_1
	v_cvt_f32_u32_sdwa v16, v2 dst_sel:DWORD dst_unused:UNUSED_PAD src0_sel:WORD_0
	v_cvt_f32_u32_sdwa v19, v3 dst_sel:DWORD dst_unused:UNUSED_PAD src0_sel:WORD_1
	v_cvt_f32_u32_sdwa v18, v3 dst_sel:DWORD dst_unused:UNUSED_PAD src0_sel:WORD_0
	;; [unrolled: 2-line block ×3, first 2 shown]
	s_and_b32 s21, s0, 0xffff
	s_mov_b32 s0, 0x7060302
	v_cvt_f32_u32_sdwa v21, v5 dst_sel:DWORD dst_unused:UNUSED_PAD src0_sel:WORD_1
	v_cvt_f32_u32_sdwa v20, v5 dst_sel:DWORD dst_unused:UNUSED_PAD src0_sel:WORD_0
	;;#ASMSTART
	v_pk_mul_f32 v[16:17], v[26:27], v[16:17]
	;;#ASMEND
	;;#ASMSTART
	v_pk_mul_f32 v[18:19], v[24:25], v[18:19]
	;;#ASMEND
	;; [unrolled: 3-line block ×3, first 2 shown]
	v_perm_b32 v2, v9, v8, s0
	v_perm_b32 v3, v13, v12, s0
	;; [unrolled: 1-line block ×4, first 2 shown]
	;;#ASMSTART
	v_pk_mul_f32 v[10:11], v[10:11], v[20:21]
	;;#ASMEND
	buffer_store_dwordx4 v[2:5], v1, s[20:23], 0 offen
	;;#ASMSTART
	s_nop 0
	;;#ASMEND
	s_nop 0
	v_perm_b32 v2, v17, v16, s0
	v_perm_b32 v3, v19, v18, s0
	;; [unrolled: 1-line block ×4, first 2 shown]
	buffer_store_dwordx4 v[2:5], v1, s[20:23], 16 offen
	;;#ASMSTART
	s_nop 0
	;;#ASMEND
	s_endpgm
	.section	.rodata,"a",@progbits
	.p2align	6, 0x0
	.amdhsa_kernel _ZN5aiter35fused_qk_rmsnorm_group_quant_kernelItDB8_Li128ELi16ELi4ELb1ELb1ELb0ELb1ELb0ELb0EEEvPT0_PvPT_S6_S6_PKS5_S8_S8_S8_S8_ffiiiiiiiiiiiii
		.amdhsa_group_segment_fixed_size 16
		.amdhsa_private_segment_fixed_size 0
		.amdhsa_kernarg_size 400
		.amdhsa_user_sgpr_count 6
		.amdhsa_user_sgpr_private_segment_buffer 1
		.amdhsa_user_sgpr_dispatch_ptr 0
		.amdhsa_user_sgpr_queue_ptr 0
		.amdhsa_user_sgpr_kernarg_segment_ptr 1
		.amdhsa_user_sgpr_dispatch_id 0
		.amdhsa_user_sgpr_flat_scratch_init 0
		.amdhsa_user_sgpr_kernarg_preload_length 0
		.amdhsa_user_sgpr_kernarg_preload_offset 0
		.amdhsa_user_sgpr_private_segment_size 0
		.amdhsa_uses_dynamic_stack 0
		.amdhsa_system_sgpr_private_segment_wavefront_offset 0
		.amdhsa_system_sgpr_workgroup_id_x 1
		.amdhsa_system_sgpr_workgroup_id_y 1
		.amdhsa_system_sgpr_workgroup_id_z 0
		.amdhsa_system_sgpr_workgroup_info 0
		.amdhsa_system_vgpr_workitem_id 0
		.amdhsa_next_free_vgpr 90
		.amdhsa_next_free_sgpr 32
		.amdhsa_accum_offset 92
		.amdhsa_reserve_vcc 1
		.amdhsa_reserve_flat_scratch 0
		.amdhsa_float_round_mode_32 0
		.amdhsa_float_round_mode_16_64 0
		.amdhsa_float_denorm_mode_32 3
		.amdhsa_float_denorm_mode_16_64 3
		.amdhsa_dx10_clamp 1
		.amdhsa_ieee_mode 1
		.amdhsa_fp16_overflow 0
		.amdhsa_tg_split 0
		.amdhsa_exception_fp_ieee_invalid_op 0
		.amdhsa_exception_fp_denorm_src 0
		.amdhsa_exception_fp_ieee_div_zero 0
		.amdhsa_exception_fp_ieee_overflow 0
		.amdhsa_exception_fp_ieee_underflow 0
		.amdhsa_exception_fp_ieee_inexact 0
		.amdhsa_exception_int_div_zero 0
	.end_amdhsa_kernel
	.section	.text._ZN5aiter35fused_qk_rmsnorm_group_quant_kernelItDB8_Li128ELi16ELi4ELb1ELb1ELb0ELb1ELb0ELb0EEEvPT0_PvPT_S6_S6_PKS5_S8_S8_S8_S8_ffiiiiiiiiiiiii,"axG",@progbits,_ZN5aiter35fused_qk_rmsnorm_group_quant_kernelItDB8_Li128ELi16ELi4ELb1ELb1ELb0ELb1ELb0ELb0EEEvPT0_PvPT_S6_S6_PKS5_S8_S8_S8_S8_ffiiiiiiiiiiiii,comdat
.Lfunc_end654:
	.size	_ZN5aiter35fused_qk_rmsnorm_group_quant_kernelItDB8_Li128ELi16ELi4ELb1ELb1ELb0ELb1ELb0ELb0EEEvPT0_PvPT_S6_S6_PKS5_S8_S8_S8_S8_ffiiiiiiiiiiiii, .Lfunc_end654-_ZN5aiter35fused_qk_rmsnorm_group_quant_kernelItDB8_Li128ELi16ELi4ELb1ELb1ELb0ELb1ELb0ELb0EEEvPT0_PvPT_S6_S6_PKS5_S8_S8_S8_S8_ffiiiiiiiiiiiii
                                        ; -- End function
	.section	.AMDGPU.csdata,"",@progbits
; Kernel info:
; codeLenInByte = 3408
; NumSgprs: 36
; NumVgprs: 90
; NumAgprs: 0
; TotalNumVgprs: 90
; ScratchSize: 0
; MemoryBound: 0
; FloatMode: 240
; IeeeMode: 1
; LDSByteSize: 16 bytes/workgroup (compile time only)
; SGPRBlocks: 4
; VGPRBlocks: 11
; NumSGPRsForWavesPerEU: 36
; NumVGPRsForWavesPerEU: 90
; AccumOffset: 92
; Occupancy: 5
; WaveLimiterHint : 0
; COMPUTE_PGM_RSRC2:SCRATCH_EN: 0
; COMPUTE_PGM_RSRC2:USER_SGPR: 6
; COMPUTE_PGM_RSRC2:TRAP_HANDLER: 0
; COMPUTE_PGM_RSRC2:TGID_X_EN: 1
; COMPUTE_PGM_RSRC2:TGID_Y_EN: 1
; COMPUTE_PGM_RSRC2:TGID_Z_EN: 0
; COMPUTE_PGM_RSRC2:TIDIG_COMP_CNT: 0
; COMPUTE_PGM_RSRC3_GFX90A:ACCUM_OFFSET: 22
; COMPUTE_PGM_RSRC3_GFX90A:TG_SPLIT: 0
	.section	.text._ZN5aiter35fused_qk_rmsnorm_group_quant_kernelIDF16_N4opus5fp4_tELi128ELi16ELi4ELb1ELb1ELb0ELb1ELb0ELb0EEEvPT0_PvPT_S7_S7_PKS6_S9_S9_S9_S9_ffiiiiiiiiiiiii,"axG",@progbits,_ZN5aiter35fused_qk_rmsnorm_group_quant_kernelIDF16_N4opus5fp4_tELi128ELi16ELi4ELb1ELb1ELb0ELb1ELb0ELb0EEEvPT0_PvPT_S7_S7_PKS6_S9_S9_S9_S9_ffiiiiiiiiiiiii,comdat
	.protected	_ZN5aiter35fused_qk_rmsnorm_group_quant_kernelIDF16_N4opus5fp4_tELi128ELi16ELi4ELb1ELb1ELb0ELb1ELb0ELb0EEEvPT0_PvPT_S7_S7_PKS6_S9_S9_S9_S9_ffiiiiiiiiiiiii ; -- Begin function _ZN5aiter35fused_qk_rmsnorm_group_quant_kernelIDF16_N4opus5fp4_tELi128ELi16ELi4ELb1ELb1ELb0ELb1ELb0ELb0EEEvPT0_PvPT_S7_S7_PKS6_S9_S9_S9_S9_ffiiiiiiiiiiiii
	.globl	_ZN5aiter35fused_qk_rmsnorm_group_quant_kernelIDF16_N4opus5fp4_tELi128ELi16ELi4ELb1ELb1ELb0ELb1ELb0ELb0EEEvPT0_PvPT_S7_S7_PKS6_S9_S9_S9_S9_ffiiiiiiiiiiiii
	.p2align	8
	.type	_ZN5aiter35fused_qk_rmsnorm_group_quant_kernelIDF16_N4opus5fp4_tELi128ELi16ELi4ELb1ELb1ELb0ELb1ELb0ELb0EEEvPT0_PvPT_S7_S7_PKS6_S9_S9_S9_S9_ffiiiiiiiiiiiii,@function
_ZN5aiter35fused_qk_rmsnorm_group_quant_kernelIDF16_N4opus5fp4_tELi128ELi16ELi4ELb1ELb1ELb0ELb1ELb0ELb0EEEvPT0_PvPT_S7_S7_PKS6_S9_S9_S9_S9_ffiiiiiiiiiiiii: ; @_ZN5aiter35fused_qk_rmsnorm_group_quant_kernelIDF16_N4opus5fp4_tELi128ELi16ELi4ELb1ELb1ELb0ELb1ELb0ELb0EEEvPT0_PvPT_S7_S7_PKS6_S9_S9_S9_S9_ffiiiiiiiiiiiii
; %bb.0:
	s_load_dwordx8 s[12:19], s[4:5], 0x50
	s_waitcnt lgkmcnt(0)
	s_cmp_ge_i32 s6, s14
	s_cbranch_scc1 .LBB655_17
; %bb.1:
	s_cmp_lg_u32 s7, 0
	s_cselect_b64 s[22:23], -1, 0
	s_cmp_eq_u32 s7, 0
	s_cselect_b64 s[2:3], -1, 0
	s_and_b64 s[0:1], s[2:3], exec
	s_cselect_b32 s7, s15, s16
	s_load_dwordx2 s[10:11], s[4:5], 0x30
	s_load_dwordx2 s[20:21], s[4:5], 0x48
	s_add_i32 s0, s7, 1
	s_lshr_b32 s1, s0, 31
	s_add_i32 s0, s0, s1
	s_lshl_b32 s0, s0, 1
	v_lshlrev_b32_e32 v1, 4, v0
	s_and_b32 s30, s0, -4
	v_cmp_gt_i32_e64 s[0:1], s7, v1
	v_mov_b32_e32 v6, 0
	v_mov_b32_e32 v7, 0
	;; [unrolled: 1-line block ×16, first 2 shown]
	s_and_saveexec_b64 s[8:9], s[0:1]
	s_cbranch_execz .LBB655_3
; %bb.2:
	s_load_dwordx2 s[14:15], s[4:5], 0x28
	s_load_dwordx2 s[26:27], s[4:5], 0x40
	s_and_b64 s[24:25], s[2:3], exec
	s_cselect_b32 s17, s17, s18
	s_mov_b32 s31, 0x20000
	s_waitcnt lgkmcnt(0)
	s_cselect_b32 s25, s15, s11
	s_cselect_b32 s24, s14, s10
	s_mul_hi_i32 s15, s17, s6
	s_mul_i32 s14, s17, s6
	s_lshl_b64 s[14:15], s[14:15], 1
	s_add_u32 s24, s24, s14
	s_addc_u32 s17, s25, s15
	s_and_b64 s[14:15], s[2:3], exec
	s_cselect_b32 s28, s26, s20
	s_cselect_b32 s14, s27, s21
	s_and_b32 s25, s17, 0xffff
	s_mov_b32 s26, s30
	s_mov_b32 s27, s31
	v_lshlrev_b32_e32 v18, 5, v0
	s_and_b32 s29, s14, 0xffff
	buffer_load_dwordx4 v[10:13], v18, s[24:27], 0 offen
	buffer_load_dwordx4 v[14:17], v18, s[24:27], 16 offen
	;; [unrolled: 1-line block ×4, first 2 shown]
.LBB655_3:
	s_or_b64 exec, exec, s[8:9]
	s_load_dwordx4 s[24:27], s[4:5], 0x7c
	s_and_b64 vcc, exec, s[22:23]
	s_cbranch_vccz .LBB655_7
; %bb.4:
	v_mov_b32_e32 v19, 0
	v_mov_b32_e32 v18, 0
	;; [unrolled: 1-line block ×16, first 2 shown]
	s_and_saveexec_b64 s[8:9], s[0:1]
	s_cbranch_execz .LBB655_6
; %bb.5:
	s_waitcnt vmcnt(3)
	v_cvt_f32_f16_sdwa v33, v10 dst_sel:DWORD dst_unused:UNUSED_PAD src0_sel:WORD_1
	v_cvt_f32_f16_e32 v32, v10
	v_cvt_f32_f16_sdwa v31, v11 dst_sel:DWORD dst_unused:UNUSED_PAD src0_sel:WORD_1
	v_cvt_f32_f16_e32 v30, v11
	;; [unrolled: 2-line block ×4, first 2 shown]
	s_waitcnt vmcnt(2)
	v_cvt_f32_f16_sdwa v25, v14 dst_sel:DWORD dst_unused:UNUSED_PAD src0_sel:WORD_1
	v_cvt_f32_f16_e32 v24, v14
	v_cvt_f32_f16_sdwa v23, v15 dst_sel:DWORD dst_unused:UNUSED_PAD src0_sel:WORD_1
	v_cvt_f32_f16_e32 v22, v15
	;; [unrolled: 2-line block ×4, first 2 shown]
.LBB655_6:
	s_or_b64 exec, exec, s[8:9]
	s_cbranch_execz .LBB655_8
	s_branch .LBB655_11
.LBB655_7:
                                        ; implicit-def: $vgpr19
                                        ; implicit-def: $vgpr21
                                        ; implicit-def: $vgpr23
                                        ; implicit-def: $vgpr25
                                        ; implicit-def: $vgpr29
                                        ; implicit-def: $vgpr27
                                        ; implicit-def: $vgpr31
                                        ; implicit-def: $vgpr33
.LBB655_8:
	v_mov_b32_e32 v19, 0
	v_mov_b32_e32 v18, 0
	;; [unrolled: 1-line block ×16, first 2 shown]
	s_and_saveexec_b64 s[8:9], s[0:1]
	s_cbranch_execz .LBB655_10
; %bb.9:
	s_load_dwordx2 s[14:15], s[4:5], 0x38
	s_mul_hi_i32 s29, s19, s6
	s_mul_i32 s28, s19, s6
	s_lshl_b64 s[28:29], s[28:29], 1
	s_mov_b32 s31, 0x20000
	s_waitcnt lgkmcnt(0)
	s_add_u32 s28, s14, s28
	s_addc_u32 s14, s15, s29
	s_and_b32 s29, s14, 0xffff
	v_lshlrev_b32_e32 v48, 5, v0
	buffer_load_dwordx4 v[18:21], v48, s[28:31], 16 offen
	buffer_load_dwordx4 v[22:25], v48, s[28:31], 0 offen
	s_waitcnt vmcnt(4)
	v_cvt_f32_f16_sdwa v27, v14 dst_sel:DWORD dst_unused:UNUSED_PAD src0_sel:WORD_1
	v_cvt_f32_f16_e32 v26, v14
	v_cvt_f32_f16_sdwa v29, v15 dst_sel:DWORD dst_unused:UNUSED_PAD src0_sel:WORD_1
	v_cvt_f32_f16_e32 v28, v15
	;; [unrolled: 2-line block ×8, first 2 shown]
	s_load_dwordx2 s[14:15], s[4:5], 0x20
	s_mul_hi_i32 s27, s26, s6
	s_mul_i32 s26, s26, s6
	s_lshl_b64 s[26:27], s[26:27], 1
	s_waitcnt lgkmcnt(0)
	s_add_u32 s28, s14, s26
	s_addc_u32 s14, s15, s27
	s_and_b32 s29, s14, 0xffff
	s_waitcnt vmcnt(1)
	v_cvt_f32_f16_e32 v12, v18
	v_cvt_f32_f16_sdwa v13, v18 dst_sel:DWORD dst_unused:UNUSED_PAD src0_sel:WORD_1
	v_cvt_f32_f16_e32 v18, v19
	v_cvt_f32_f16_sdwa v19, v19 dst_sel:DWORD dst_unused:UNUSED_PAD src0_sel:WORD_1
	;; [unrolled: 2-line block ×4, first 2 shown]
	s_waitcnt vmcnt(0)
	v_cvt_f32_f16_e32 v40, v22
	v_cvt_f32_f16_sdwa v41, v22 dst_sel:DWORD dst_unused:UNUSED_PAD src0_sel:WORD_1
	v_cvt_f32_f16_e32 v42, v23
	v_cvt_f32_f16_sdwa v43, v23 dst_sel:DWORD dst_unused:UNUSED_PAD src0_sel:WORD_1
	;; [unrolled: 2-line block ×4, first 2 shown]
	v_pk_add_f32 v[24:25], v[26:27], v[12:13]
	v_pk_add_f32 v[22:23], v[28:29], v[18:19]
	v_pk_add_f32 v[20:21], v[14:15], v[32:33]
	v_pk_add_f32 v[18:19], v[30:31], v[38:39]
	v_pk_add_f32 v[32:33], v[16:17], v[40:41]
	v_pk_add_f32 v[30:31], v[34:35], v[42:43]
	v_pk_add_f32 v[26:27], v[10:11], v[44:45]
	v_pk_add_f32 v[28:29], v[36:37], v[46:47]
	v_cvt_f16_f32_e32 v10, v33
	v_cvt_f16_f32_e32 v14, v32
	;; [unrolled: 1-line block ×16, first 2 shown]
	v_pack_b32_f16 v13, v17, v13
	v_pack_b32_f16 v12, v16, v12
	v_pack_b32_f16 v11, v15, v11
	v_pack_b32_f16 v10, v14, v10
	v_pack_b32_f16 v17, v40, v41
	v_pack_b32_f16 v16, v38, v39
	v_pack_b32_f16 v15, v36, v37
	v_pack_b32_f16 v14, v34, v35
	buffer_store_dwordx4 v[10:13], v48, s[28:31], 0 offen
	;;#ASMSTART
	s_nop 0
	;;#ASMEND
	buffer_store_dwordx4 v[14:17], v48, s[28:31], 16 offen
	;;#ASMSTART
	s_nop 0
	;;#ASMEND
.LBB655_10:
	s_or_b64 exec, exec, s[8:9]
.LBB655_11:
	s_waitcnt vmcnt(3)
	v_mul_f32_e32 v10, v33, v33
	v_fmac_f32_e32 v10, v32, v32
	v_fmac_f32_e32 v10, v30, v30
	;; [unrolled: 1-line block ×15, first 2 shown]
	v_and_b32_e32 v12, 63, v0
	v_cmp_eq_u32_e64 s[8:9], 63, v12
	v_mov_b32_dpp v11, v10 quad_perm:[1,0,3,2] row_mask:0xf bank_mask:0xf
	v_add_f32_e32 v10, v10, v11
	s_nop 1
	v_mov_b32_dpp v11, v10 quad_perm:[2,3,0,1] row_mask:0xf bank_mask:0xf
	v_add_f32_e32 v10, v10, v11
	s_nop 1
	v_mov_b32_dpp v11, v10 row_half_mirror row_mask:0xf bank_mask:0xf
	v_add_f32_e32 v10, v10, v11
	s_nop 1
	v_mov_b32_dpp v11, v10 row_mirror row_mask:0xf bank_mask:0xf
	v_add_f32_e32 v10, v10, v11
	s_nop 1
	v_mov_b32_dpp v11, v10 row_bcast:15 row_mask:0xf bank_mask:0xf
	v_add_f32_e32 v10, v10, v11
	s_nop 1
	v_mov_b32_dpp v11, v10 row_bcast:31 row_mask:0xf bank_mask:0xf
	s_and_saveexec_b64 s[14:15], s[8:9]
	s_cbranch_execz .LBB655_13
; %bb.12:
	v_add_f32_e32 v10, v10, v11
	v_lshrrev_b32_e32 v11, 4, v0
	v_and_b32_e32 v11, 60, v11
	ds_write_b32 v11, v10 offset:8
.LBB655_13:
	s_or_b64 exec, exec, s[14:15]
	v_and_b32_e32 v10, 1, v0
	v_lshlrev_b32_e32 v34, 2, v10
	s_waitcnt lgkmcnt(0)
	s_barrier
	ds_read_b32 v10, v34 offset:8
	s_load_dwordx2 s[14:15], s[4:5], 0x18
	s_waitcnt lgkmcnt(0)
	v_mov_b32_dpp v11, v10 quad_perm:[1,0,3,2] row_mask:0xf bank_mask:0xf
	s_and_saveexec_b64 s[26:27], s[0:1]
	s_cbranch_execnz .LBB655_18
; %bb.14:
	s_or_b64 exec, exec, s[26:27]
	s_mov_b64 s[2:3], -1
	s_and_b64 vcc, exec, s[22:23]
	s_cbranch_vccnz .LBB655_19
.LBB655_15:
	s_andn2_b64 vcc, exec, s[2:3]
	s_cbranch_vccz .LBB655_22
.LBB655_16:
	s_cmp_lt_i32 s16, 1
	s_cbranch_scc0 .LBB655_25
.LBB655_17:
	s_endpgm
.LBB655_18:
	v_cvt_f32_u32_e32 v12, s7
	v_add_f32_e32 v10, v10, v11
	s_waitcnt vmcnt(2)
	v_mov_b32_e32 v14, s13
	v_mov_b32_e32 v15, s12
	v_div_scale_f32 v11, s[28:29], v12, v12, v10
	v_rcp_f32_e32 v13, v11
	v_cndmask_b32_e64 v14, v14, v15, s[2:3]
	s_mov_b32 s2, 0x800000
	s_waitcnt vmcnt(1)
	v_cvt_f32_f16_sdwa v37, v9 dst_sel:DWORD dst_unused:UNUSED_PAD src0_sel:WORD_1
	v_fma_f32 v15, -v11, v13, 1.0
	v_fmac_f32_e32 v13, v15, v13
	v_div_scale_f32 v15, vcc, v10, v12, v10
	v_mul_f32_e32 v16, v15, v13
	v_fma_f32 v17, -v11, v16, v15
	v_fmac_f32_e32 v16, v17, v13
	v_fma_f32 v11, -v11, v16, v15
	v_div_fmas_f32 v11, v11, v13, v16
	v_div_fixup_f32 v10, v11, v12, v10
	v_add_f32_e32 v10, v14, v10
	v_mul_f32_e32 v11, 0x4b800000, v10
	v_cmp_gt_f32_e32 vcc, s2, v10
	v_cndmask_b32_e32 v10, v10, v11, vcc
	v_rsq_f32_e32 v10, v10
	v_cvt_f32_f16_e32 v36, v9
	s_waitcnt vmcnt(0)
	v_cvt_f32_f16_sdwa v9, v3 dst_sel:DWORD dst_unused:UNUSED_PAD src0_sel:WORD_1
	v_mul_f32_e32 v11, 0x45800000, v10
	v_cndmask_b32_e32 v10, v10, v11, vcc
	v_mov_b32_e32 v11, v10
	;;#ASMSTART
	v_pk_mul_f32 v[12:13], v[32:33], v[10:11]
	;;#ASMEND
	;;#ASMSTART
	v_pk_mul_f32 v[14:15], v[30:31], v[10:11]
	;;#ASMEND
	;; [unrolled: 3-line block ×8, first 2 shown]
	v_cvt_f32_f16_sdwa v19, v6 dst_sel:DWORD dst_unused:UNUSED_PAD src0_sel:WORD_1
	v_cvt_f32_f16_e32 v18, v6
	v_cvt_f32_f16_sdwa v27, v7 dst_sel:DWORD dst_unused:UNUSED_PAD src0_sel:WORD_1
	v_cvt_f32_f16_e32 v26, v7
	;; [unrolled: 2-line block ×3, first 2 shown]
	;;#ASMSTART
	v_pk_mul_f32 v[32:33], v[12:13], v[18:19]
	;;#ASMEND
	;;#ASMSTART
	v_pk_mul_f32 v[30:31], v[14:15], v[26:27]
	;;#ASMEND
	;; [unrolled: 3-line block ×4, first 2 shown]
	v_cvt_f32_f16_sdwa v7, v2 dst_sel:DWORD dst_unused:UNUSED_PAD src0_sel:WORD_1
	v_cvt_f32_f16_e32 v6, v2
	v_cvt_f32_f16_e32 v8, v3
	v_cvt_f32_f16_sdwa v3, v4 dst_sel:DWORD dst_unused:UNUSED_PAD src0_sel:WORD_1
	v_cvt_f32_f16_e32 v2, v4
	v_cvt_f32_f16_sdwa v13, v5 dst_sel:DWORD dst_unused:UNUSED_PAD src0_sel:WORD_1
	v_cvt_f32_f16_e32 v12, v5
	;;#ASMSTART
	v_pk_mul_f32 v[24:25], v[24:25], v[6:7]
	;;#ASMEND
	;;#ASMSTART
	v_pk_mul_f32 v[22:23], v[22:23], v[8:9]
	;;#ASMEND
	;; [unrolled: 3-line block ×4, first 2 shown]
	s_or_b64 exec, exec, s[26:27]
	s_mov_b64 s[2:3], -1
	s_and_b64 vcc, exec, s[22:23]
	s_cbranch_vccz .LBB655_15
.LBB655_19:
	s_and_saveexec_b64 s[2:3], s[0:1]
	s_cbranch_execz .LBB655_21
; %bb.20:
	s_mul_hi_i32 s23, s25, s6
	s_mul_i32 s22, s25, s6
	s_waitcnt vmcnt(0)
	v_cvt_f16_f32_e32 v2, v32
	v_cvt_f16_f32_e32 v3, v30
	;; [unrolled: 1-line block ×8, first 2 shown]
	s_lshl_b64 s[22:23], s[22:23], 1
	s_add_u32 s28, s14, s22
	s_addc_u32 s7, s15, s23
	s_and_b32 s29, s7, 0xffff
	s_mov_b32 s31, 0x20000
	v_pack_b32_f16 v5, v5, v6
	v_pack_b32_f16 v4, v4, v7
	v_pack_b32_f16 v3, v3, v8
	v_pack_b32_f16 v2, v2, v9
	v_lshlrev_b32_e32 v6, 5, v0
	buffer_store_dwordx4 v[2:5], v6, s[28:31], 0 offen
	v_cvt_f16_f32_e32 v7, v19
	v_cvt_f16_f32_e32 v2, v24
	;; [unrolled: 1-line block ×8, first 2 shown]
	v_pack_b32_f16 v5, v5, v7
	v_pack_b32_f16 v4, v4, v8
	v_pack_b32_f16 v3, v3, v9
	v_pack_b32_f16 v2, v2, v10
	;;#ASMSTART
	s_nop 0
	;;#ASMEND
	buffer_store_dwordx4 v[2:5], v6, s[28:31], 16 offen
	;;#ASMSTART
	s_nop 0
	;;#ASMEND
.LBB655_21:
	s_or_b64 exec, exec, s[2:3]
	s_cbranch_execnz .LBB655_16
.LBB655_22:
	s_and_saveexec_b64 s[2:3], s[0:1]
	s_cbranch_execz .LBB655_24
; %bb.23:
	s_load_dwordx2 s[0:1], s[4:5], 0x10
	s_mul_hi_i32 s23, s24, s6
	s_mul_i32 s22, s24, s6
	s_waitcnt vmcnt(0)
	v_cvt_f16_f32_e32 v2, v32
	v_cvt_f16_f32_e32 v3, v30
	;; [unrolled: 1-line block ×8, first 2 shown]
	s_lshl_b64 s[22:23], s[22:23], 1
	s_waitcnt lgkmcnt(0)
	s_add_u32 s28, s0, s22
	s_addc_u32 s0, s1, s23
	s_mov_b32 s31, 0x20000
	s_and_b32 s29, s0, 0xffff
	v_pack_b32_f16 v5, v5, v6
	v_pack_b32_f16 v4, v4, v7
	;; [unrolled: 1-line block ×4, first 2 shown]
	v_lshlrev_b32_e32 v6, 5, v0
	buffer_store_dwordx4 v[2:5], v6, s[28:31], 0 offen
	v_cvt_f16_f32_e32 v7, v19
	v_cvt_f16_f32_e32 v2, v24
	;; [unrolled: 1-line block ×8, first 2 shown]
	v_pack_b32_f16 v5, v5, v7
	v_pack_b32_f16 v4, v4, v8
	;; [unrolled: 1-line block ×4, first 2 shown]
	;;#ASMSTART
	s_nop 0
	;;#ASMEND
	buffer_store_dwordx4 v[2:5], v6, s[28:31], 16 offen
	;;#ASMSTART
	s_nop 0
	;;#ASMEND
.LBB655_24:
	s_or_b64 exec, exec, s[2:3]
	s_cmp_lt_i32 s16, 1
	s_cbranch_scc1 .LBB655_17
.LBB655_25:
	s_load_dword s0, s[4:5], 0x94
	s_waitcnt lgkmcnt(0)
	s_cmp_lg_u32 s0, 1
	s_cbranch_scc1 .LBB655_17
; %bb.26:
	s_lshl_b32 s0, s16, 1
	s_add_i32 s0, s0, 2
	v_cmp_gt_u32_e32 vcc, s16, v1
	s_and_b32 s22, s0, -4
	v_mov_b32_e32 v18, 0
	v_lshlrev_b32_e32 v1, 5, v0
	s_waitcnt vmcnt(2)
	v_mov_b32_e32 v14, 0
	v_mov_b32_e32 v15, 0
	;; [unrolled: 1-line block ×8, first 2 shown]
	s_waitcnt vmcnt(1)
	v_mov_b32_e32 v6, 0
	v_mov_b32_e32 v7, 0
	;; [unrolled: 1-line block ×4, first 2 shown]
	s_waitcnt vmcnt(0)
	v_mov_b32_e32 v2, 0
	v_mov_b32_e32 v3, 0
	;; [unrolled: 1-line block ×4, first 2 shown]
	s_barrier
	s_and_saveexec_b64 s[0:1], vcc
	s_cbranch_execz .LBB655_28
; %bb.27:
	s_mul_hi_i32 s3, s18, s6
	s_mul_i32 s2, s18, s6
	s_and_b32 s21, s21, 0xffff
	s_lshl_b64 s[2:3], s[2:3], 1
	s_add_u32 s28, s10, s2
	s_mov_b32 s23, 0x20000
	s_addc_u32 s2, s11, s3
	s_and_b32 s29, s2, 0xffff
	s_mov_b32 s30, s22
	s_mov_b32 s31, s23
	buffer_load_dwordx4 v[14:17], v1, s[28:31], 0 offen
	buffer_load_dwordx4 v[10:13], v1, s[28:31], 16 offen
	;; [unrolled: 1-line block ×4, first 2 shown]
.LBB655_28:
	s_or_b64 exec, exec, s[0:1]
	v_mov_b32_e32 v19, 0
	v_mov_b32_e32 v32, 0
	;; [unrolled: 1-line block ×15, first 2 shown]
	s_and_saveexec_b64 s[0:1], vcc
	s_cbranch_execz .LBB655_30
; %bb.29:
	s_waitcnt vmcnt(3)
	v_cvt_f32_f16_sdwa v19, v14 dst_sel:DWORD dst_unused:UNUSED_PAD src0_sel:WORD_1
	v_cvt_f32_f16_e32 v18, v14
	v_cvt_f32_f16_sdwa v33, v15 dst_sel:DWORD dst_unused:UNUSED_PAD src0_sel:WORD_1
	v_cvt_f32_f16_e32 v32, v15
	;; [unrolled: 2-line block ×4, first 2 shown]
	s_waitcnt vmcnt(2)
	v_cvt_f32_f16_sdwa v27, v10 dst_sel:DWORD dst_unused:UNUSED_PAD src0_sel:WORD_1
	v_cvt_f32_f16_e32 v26, v10
	v_cvt_f32_f16_sdwa v25, v11 dst_sel:DWORD dst_unused:UNUSED_PAD src0_sel:WORD_1
	v_cvt_f32_f16_e32 v24, v11
	;; [unrolled: 2-line block ×4, first 2 shown]
.LBB655_30:
	s_or_b64 exec, exec, s[0:1]
	s_waitcnt vmcnt(2)
	v_mul_f32_e32 v10, v19, v19
	v_fmac_f32_e32 v10, v18, v18
	v_fmac_f32_e32 v10, v32, v32
	;; [unrolled: 1-line block ×15, first 2 shown]
	s_nop 1
	v_mov_b32_dpp v11, v10 quad_perm:[1,0,3,2] row_mask:0xf bank_mask:0xf
	v_add_f32_e32 v10, v10, v11
	s_nop 1
	v_mov_b32_dpp v11, v10 quad_perm:[2,3,0,1] row_mask:0xf bank_mask:0xf
	v_add_f32_e32 v10, v10, v11
	s_nop 1
	v_mov_b32_dpp v11, v10 row_half_mirror row_mask:0xf bank_mask:0xf
	v_add_f32_e32 v10, v10, v11
	s_nop 1
	v_mov_b32_dpp v11, v10 row_mirror row_mask:0xf bank_mask:0xf
	v_add_f32_e32 v10, v10, v11
	s_nop 1
	v_mov_b32_dpp v11, v10 row_bcast:15 row_mask:0xf bank_mask:0xf
	v_add_f32_e32 v10, v10, v11
	s_nop 1
	v_mov_b32_dpp v11, v10 row_bcast:31 row_mask:0xf bank_mask:0xf
	s_and_saveexec_b64 s[0:1], s[8:9]
	s_cbranch_execz .LBB655_32
; %bb.31:
	v_lshrrev_b32_e32 v0, 4, v0
	v_add_f32_e32 v10, v10, v11
	v_and_b32_e32 v0, 60, v0
	ds_write_b32 v0, v10
.LBB655_32:
	s_or_b64 exec, exec, s[0:1]
	s_waitcnt lgkmcnt(0)
	s_barrier
	ds_read_b32 v0, v34
	s_waitcnt lgkmcnt(0)
	s_nop 0
	v_mov_b32_dpp v10, v0 quad_perm:[1,0,3,2] row_mask:0xf bank_mask:0xf
	s_and_saveexec_b64 s[0:1], vcc
	s_cbranch_execz .LBB655_17
; %bb.33:
	v_cvt_f32_u32_e32 v11, s16
	v_add_f32_e32 v0, v0, v10
	s_mov_b32 s23, 0x20000
	v_div_scale_f32 v10, s[0:1], v11, v11, v0
	v_rcp_f32_e32 v12, v10
	v_div_scale_f32 v13, vcc, v0, v11, v0
	s_mov_b32 s0, 0x800000
	v_fma_f32 v14, -v10, v12, 1.0
	v_fmac_f32_e32 v12, v14, v12
	v_mul_f32_e32 v14, v13, v12
	v_fma_f32 v15, -v10, v14, v13
	v_fmac_f32_e32 v14, v15, v12
	v_fma_f32 v10, -v10, v14, v13
	v_div_fmas_f32 v10, v10, v12, v14
	v_div_fixup_f32 v0, v10, v11, v0
	v_add_f32_e32 v0, s13, v0
	v_mul_f32_e32 v10, 0x4b800000, v0
	v_cmp_gt_f32_e32 vcc, s0, v0
	v_cndmask_b32_e32 v0, v0, v10, vcc
	v_rsq_f32_e32 v0, v0
	s_mul_hi_i32 s1, s25, s6
	s_mul_i32 s0, s25, s6
	s_lshl_b64 s[0:1], s[0:1], 1
	v_mul_f32_e32 v10, 0x45800000, v0
	v_cndmask_b32_e32 v10, v0, v10, vcc
	v_mov_b32_e32 v11, v10
	;;#ASMSTART
	v_pk_mul_f32 v[12:13], v[18:19], v[10:11]
	;;#ASMEND
	;;#ASMSTART
	v_pk_mul_f32 v[14:15], v[32:33], v[10:11]
	;;#ASMEND
	;;#ASMSTART
	v_pk_mul_f32 v[16:17], v[30:31], v[10:11]
	;;#ASMEND
	;;#ASMSTART
	v_pk_mul_f32 v[18:19], v[28:29], v[10:11]
	;;#ASMEND
	;;#ASMSTART
	v_pk_mul_f32 v[26:27], v[26:27], v[10:11]
	;;#ASMEND
	;;#ASMSTART
	v_pk_mul_f32 v[24:25], v[24:25], v[10:11]
	;;#ASMEND
	;;#ASMSTART
	v_pk_mul_f32 v[22:23], v[22:23], v[10:11]
	;;#ASMEND
	;;#ASMSTART
	v_pk_mul_f32 v[10:11], v[20:21], v[10:11]
	;;#ASMEND
	s_waitcnt vmcnt(1)
	v_cvt_f32_f16_sdwa v21, v6 dst_sel:DWORD dst_unused:UNUSED_PAD src0_sel:WORD_1
	v_cvt_f32_f16_e32 v20, v6
	v_cvt_f32_f16_sdwa v29, v7 dst_sel:DWORD dst_unused:UNUSED_PAD src0_sel:WORD_1
	v_cvt_f32_f16_e32 v28, v7
	;; [unrolled: 2-line block ×4, first 2 shown]
	;;#ASMSTART
	v_pk_mul_f32 v[8:9], v[12:13], v[20:21]
	;;#ASMEND
	;;#ASMSTART
	v_pk_mul_f32 v[12:13], v[14:15], v[28:29]
	;;#ASMEND
	;; [unrolled: 3-line block ×4, first 2 shown]
	s_waitcnt vmcnt(0)
	v_cvt_f32_f16_sdwa v17, v2 dst_sel:DWORD dst_unused:UNUSED_PAD src0_sel:WORD_1
	v_cvt_f32_f16_e32 v16, v2
	v_cvt_f32_f16_sdwa v19, v3 dst_sel:DWORD dst_unused:UNUSED_PAD src0_sel:WORD_1
	v_cvt_f32_f16_e32 v18, v3
	;; [unrolled: 2-line block ×4, first 2 shown]
	;;#ASMSTART
	v_pk_mul_f32 v[16:17], v[26:27], v[16:17]
	;;#ASMEND
	;;#ASMSTART
	v_pk_mul_f32 v[18:19], v[24:25], v[18:19]
	;;#ASMEND
	;; [unrolled: 3-line block ×3, first 2 shown]
	v_cvt_f16_f32_e32 v0, v8
	v_cvt_f16_f32_e32 v2, v9
	;; [unrolled: 1-line block ×8, first 2 shown]
	s_add_u32 s20, s14, s0
	s_addc_u32 s0, s15, s1
	s_and_b32 s21, s0, 0xffff
	v_pack_b32_f16 v2, v0, v2
	v_pack_b32_f16 v3, v3, v4
	;; [unrolled: 1-line block ×4, first 2 shown]
	;;#ASMSTART
	v_pk_mul_f32 v[10:11], v[10:11], v[20:21]
	;;#ASMEND
	buffer_store_dwordx4 v[2:5], v1, s[20:23], 0 offen
	v_cvt_f16_f32_e32 v0, v16
	v_cvt_f16_f32_e32 v2, v17
	;; [unrolled: 1-line block ×8, first 2 shown]
	v_pack_b32_f16 v2, v0, v2
	v_pack_b32_f16 v3, v3, v4
	;; [unrolled: 1-line block ×4, first 2 shown]
	;;#ASMSTART
	s_nop 0
	;;#ASMEND
	buffer_store_dwordx4 v[2:5], v1, s[20:23], 16 offen
	;;#ASMSTART
	s_nop 0
	;;#ASMEND
	s_endpgm
	.section	.rodata,"a",@progbits
	.p2align	6, 0x0
	.amdhsa_kernel _ZN5aiter35fused_qk_rmsnorm_group_quant_kernelIDF16_N4opus5fp4_tELi128ELi16ELi4ELb1ELb1ELb0ELb1ELb0ELb0EEEvPT0_PvPT_S7_S7_PKS6_S9_S9_S9_S9_ffiiiiiiiiiiiii
		.amdhsa_group_segment_fixed_size 16
		.amdhsa_private_segment_fixed_size 0
		.amdhsa_kernarg_size 400
		.amdhsa_user_sgpr_count 6
		.amdhsa_user_sgpr_private_segment_buffer 1
		.amdhsa_user_sgpr_dispatch_ptr 0
		.amdhsa_user_sgpr_queue_ptr 0
		.amdhsa_user_sgpr_kernarg_segment_ptr 1
		.amdhsa_user_sgpr_dispatch_id 0
		.amdhsa_user_sgpr_flat_scratch_init 0
		.amdhsa_user_sgpr_kernarg_preload_length 0
		.amdhsa_user_sgpr_kernarg_preload_offset 0
		.amdhsa_user_sgpr_private_segment_size 0
		.amdhsa_uses_dynamic_stack 0
		.amdhsa_system_sgpr_private_segment_wavefront_offset 0
		.amdhsa_system_sgpr_workgroup_id_x 1
		.amdhsa_system_sgpr_workgroup_id_y 1
		.amdhsa_system_sgpr_workgroup_id_z 0
		.amdhsa_system_sgpr_workgroup_info 0
		.amdhsa_system_vgpr_workitem_id 0
		.amdhsa_next_free_vgpr 49
		.amdhsa_next_free_sgpr 32
		.amdhsa_accum_offset 52
		.amdhsa_reserve_vcc 1
		.amdhsa_reserve_flat_scratch 0
		.amdhsa_float_round_mode_32 0
		.amdhsa_float_round_mode_16_64 0
		.amdhsa_float_denorm_mode_32 3
		.amdhsa_float_denorm_mode_16_64 3
		.amdhsa_dx10_clamp 1
		.amdhsa_ieee_mode 1
		.amdhsa_fp16_overflow 0
		.amdhsa_tg_split 0
		.amdhsa_exception_fp_ieee_invalid_op 0
		.amdhsa_exception_fp_denorm_src 0
		.amdhsa_exception_fp_ieee_div_zero 0
		.amdhsa_exception_fp_ieee_overflow 0
		.amdhsa_exception_fp_ieee_underflow 0
		.amdhsa_exception_fp_ieee_inexact 0
		.amdhsa_exception_int_div_zero 0
	.end_amdhsa_kernel
	.section	.text._ZN5aiter35fused_qk_rmsnorm_group_quant_kernelIDF16_N4opus5fp4_tELi128ELi16ELi4ELb1ELb1ELb0ELb1ELb0ELb0EEEvPT0_PvPT_S7_S7_PKS6_S9_S9_S9_S9_ffiiiiiiiiiiiii,"axG",@progbits,_ZN5aiter35fused_qk_rmsnorm_group_quant_kernelIDF16_N4opus5fp4_tELi128ELi16ELi4ELb1ELb1ELb0ELb1ELb0ELb0EEEvPT0_PvPT_S7_S7_PKS6_S9_S9_S9_S9_ffiiiiiiiiiiiii,comdat
.Lfunc_end655:
	.size	_ZN5aiter35fused_qk_rmsnorm_group_quant_kernelIDF16_N4opus5fp4_tELi128ELi16ELi4ELb1ELb1ELb0ELb1ELb0ELb0EEEvPT0_PvPT_S7_S7_PKS6_S9_S9_S9_S9_ffiiiiiiiiiiiii, .Lfunc_end655-_ZN5aiter35fused_qk_rmsnorm_group_quant_kernelIDF16_N4opus5fp4_tELi128ELi16ELi4ELb1ELb1ELb0ELb1ELb0ELb0EEEvPT0_PvPT_S7_S7_PKS6_S9_S9_S9_S9_ffiiiiiiiiiiiii
                                        ; -- End function
	.section	.AMDGPU.csdata,"",@progbits
; Kernel info:
; codeLenInByte = 3448
; NumSgprs: 36
; NumVgprs: 49
; NumAgprs: 0
; TotalNumVgprs: 49
; ScratchSize: 0
; MemoryBound: 0
; FloatMode: 240
; IeeeMode: 1
; LDSByteSize: 16 bytes/workgroup (compile time only)
; SGPRBlocks: 4
; VGPRBlocks: 6
; NumSGPRsForWavesPerEU: 36
; NumVGPRsForWavesPerEU: 49
; AccumOffset: 52
; Occupancy: 8
; WaveLimiterHint : 0
; COMPUTE_PGM_RSRC2:SCRATCH_EN: 0
; COMPUTE_PGM_RSRC2:USER_SGPR: 6
; COMPUTE_PGM_RSRC2:TRAP_HANDLER: 0
; COMPUTE_PGM_RSRC2:TGID_X_EN: 1
; COMPUTE_PGM_RSRC2:TGID_Y_EN: 1
; COMPUTE_PGM_RSRC2:TGID_Z_EN: 0
; COMPUTE_PGM_RSRC2:TIDIG_COMP_CNT: 0
; COMPUTE_PGM_RSRC3_GFX90A:ACCUM_OFFSET: 12
; COMPUTE_PGM_RSRC3_GFX90A:TG_SPLIT: 0
	.section	.text._ZN5aiter35fused_qk_rmsnorm_group_quant_kernelItN4opus5fp4_tELi128ELi16ELi4ELb1ELb1ELb0ELb1ELb0ELb0EEEvPT0_PvPT_S7_S7_PKS6_S9_S9_S9_S9_ffiiiiiiiiiiiii,"axG",@progbits,_ZN5aiter35fused_qk_rmsnorm_group_quant_kernelItN4opus5fp4_tELi128ELi16ELi4ELb1ELb1ELb0ELb1ELb0ELb0EEEvPT0_PvPT_S7_S7_PKS6_S9_S9_S9_S9_ffiiiiiiiiiiiii,comdat
	.protected	_ZN5aiter35fused_qk_rmsnorm_group_quant_kernelItN4opus5fp4_tELi128ELi16ELi4ELb1ELb1ELb0ELb1ELb0ELb0EEEvPT0_PvPT_S7_S7_PKS6_S9_S9_S9_S9_ffiiiiiiiiiiiii ; -- Begin function _ZN5aiter35fused_qk_rmsnorm_group_quant_kernelItN4opus5fp4_tELi128ELi16ELi4ELb1ELb1ELb0ELb1ELb0ELb0EEEvPT0_PvPT_S7_S7_PKS6_S9_S9_S9_S9_ffiiiiiiiiiiiii
	.globl	_ZN5aiter35fused_qk_rmsnorm_group_quant_kernelItN4opus5fp4_tELi128ELi16ELi4ELb1ELb1ELb0ELb1ELb0ELb0EEEvPT0_PvPT_S7_S7_PKS6_S9_S9_S9_S9_ffiiiiiiiiiiiii
	.p2align	8
	.type	_ZN5aiter35fused_qk_rmsnorm_group_quant_kernelItN4opus5fp4_tELi128ELi16ELi4ELb1ELb1ELb0ELb1ELb0ELb0EEEvPT0_PvPT_S7_S7_PKS6_S9_S9_S9_S9_ffiiiiiiiiiiiii,@function
_ZN5aiter35fused_qk_rmsnorm_group_quant_kernelItN4opus5fp4_tELi128ELi16ELi4ELb1ELb1ELb0ELb1ELb0ELb0EEEvPT0_PvPT_S7_S7_PKS6_S9_S9_S9_S9_ffiiiiiiiiiiiii: ; @_ZN5aiter35fused_qk_rmsnorm_group_quant_kernelItN4opus5fp4_tELi128ELi16ELi4ELb1ELb1ELb0ELb1ELb0ELb0EEEvPT0_PvPT_S7_S7_PKS6_S9_S9_S9_S9_ffiiiiiiiiiiiii
; %bb.0:
	s_load_dwordx8 s[12:19], s[4:5], 0x50
	s_waitcnt lgkmcnt(0)
	s_cmp_ge_i32 s6, s14
	s_cbranch_scc1 .LBB656_17
; %bb.1:
	s_cmp_lg_u32 s7, 0
	s_cselect_b64 s[22:23], -1, 0
	s_cmp_eq_u32 s7, 0
	s_cselect_b64 s[2:3], -1, 0
	s_and_b64 s[0:1], s[2:3], exec
	s_cselect_b32 s7, s15, s16
	s_load_dwordx2 s[10:11], s[4:5], 0x30
	s_load_dwordx2 s[20:21], s[4:5], 0x48
	s_add_i32 s0, s7, 1
	s_lshr_b32 s1, s0, 31
	s_add_i32 s0, s0, s1
	s_lshl_b32 s0, s0, 1
	v_lshlrev_b32_e32 v1, 4, v0
	s_and_b32 s30, s0, -4
	v_cmp_gt_i32_e64 s[0:1], s7, v1
	v_mov_b32_e32 v76, 0
	v_mov_b32_e32 v77, 0
	;; [unrolled: 1-line block ×16, first 2 shown]
	s_and_saveexec_b64 s[8:9], s[0:1]
	s_cbranch_execz .LBB656_3
; %bb.2:
	s_load_dwordx2 s[14:15], s[4:5], 0x28
	s_load_dwordx2 s[26:27], s[4:5], 0x40
	s_and_b64 s[24:25], s[2:3], exec
	s_cselect_b32 s17, s17, s18
	s_mov_b32 s31, 0x20000
	s_waitcnt lgkmcnt(0)
	s_cselect_b32 s25, s15, s11
	s_cselect_b32 s24, s14, s10
	s_mul_hi_i32 s15, s17, s6
	s_mul_i32 s14, s17, s6
	s_lshl_b64 s[14:15], s[14:15], 1
	s_add_u32 s24, s24, s14
	s_addc_u32 s17, s25, s15
	s_and_b64 s[14:15], s[2:3], exec
	s_cselect_b32 s28, s26, s20
	s_cselect_b32 s14, s27, s21
	s_and_b32 s25, s17, 0xffff
	s_mov_b32 s26, s30
	s_mov_b32 s27, s31
	v_lshlrev_b32_e32 v2, 5, v0
	s_and_b32 s29, s14, 0xffff
	buffer_load_dwordx4 v[80:83], v2, s[24:27], 0 offen
	buffer_load_dwordx4 v[84:87], v2, s[24:27], 16 offen
	buffer_load_dwordx4 v[76:79], v2, s[28:31], 0 offen
	buffer_load_dwordx4 v[72:75], v2, s[28:31], 16 offen
.LBB656_3:
	s_or_b64 exec, exec, s[8:9]
	s_load_dwordx4 s[24:27], s[4:5], 0x7c
	s_and_b64 vcc, exec, s[22:23]
	s_cbranch_vccz .LBB656_7
; %bb.4:
	v_mov_b32_e32 v89, 0
	v_mov_b32_e32 v88, 0
	;; [unrolled: 1-line block ×16, first 2 shown]
	s_and_saveexec_b64 s[8:9], s[0:1]
	s_cbranch_execz .LBB656_6
; %bb.5:
	s_waitcnt vmcnt(3)
	v_cvt_f32_u32_sdwa v18, v80 dst_sel:DWORD dst_unused:UNUSED_PAD src0_sel:WORD_0
	v_cvt_f32_u32_sdwa v19, v80 dst_sel:DWORD dst_unused:UNUSED_PAD src0_sel:WORD_1
	v_cvt_f32_u32_sdwa v4, v81 dst_sel:DWORD dst_unused:UNUSED_PAD src0_sel:WORD_0
	v_cvt_f32_u32_sdwa v5, v81 dst_sel:DWORD dst_unused:UNUSED_PAD src0_sel:WORD_1
	;; [unrolled: 2-line block ×4, first 2 shown]
	s_waitcnt vmcnt(2)
	v_cvt_f32_u32_sdwa v64, v84 dst_sel:DWORD dst_unused:UNUSED_PAD src0_sel:WORD_0
	v_cvt_f32_u32_sdwa v65, v84 dst_sel:DWORD dst_unused:UNUSED_PAD src0_sel:WORD_1
	v_cvt_f32_u32_sdwa v48, v85 dst_sel:DWORD dst_unused:UNUSED_PAD src0_sel:WORD_0
	v_cvt_f32_u32_sdwa v49, v85 dst_sel:DWORD dst_unused:UNUSED_PAD src0_sel:WORD_1
	;; [unrolled: 2-line block ×4, first 2 shown]
.LBB656_6:
	s_or_b64 exec, exec, s[8:9]
	s_cbranch_execz .LBB656_8
	s_branch .LBB656_11
.LBB656_7:
                                        ; implicit-def: $vgpr18_vgpr19_vgpr20_vgpr21_vgpr22_vgpr23_vgpr24_vgpr25_vgpr26_vgpr27_vgpr28_vgpr29_vgpr30_vgpr31_vgpr32_vgpr33
                                        ; implicit-def: $vgpr50_vgpr51_vgpr52_vgpr53_vgpr54_vgpr55_vgpr56_vgpr57_vgpr58_vgpr59_vgpr60_vgpr61_vgpr62_vgpr63_vgpr64_vgpr65
                                        ; implicit-def: $vgpr30_vgpr31_vgpr32_vgpr33_vgpr34_vgpr35_vgpr36_vgpr37_vgpr38_vgpr39_vgpr40_vgpr41_vgpr42_vgpr43_vgpr44_vgpr45
                                        ; implicit-def: $vgpr89
                                        ; implicit-def: $vgpr2_vgpr3_vgpr4_vgpr5_vgpr6_vgpr7_vgpr8_vgpr9_vgpr10_vgpr11_vgpr12_vgpr13_vgpr14_vgpr15_vgpr16_vgpr17
                                        ; implicit-def: $vgpr56_vgpr57_vgpr58_vgpr59_vgpr60_vgpr61_vgpr62_vgpr63_vgpr64_vgpr65_vgpr66_vgpr67_vgpr68_vgpr69_vgpr70_vgpr71
                                        ; implicit-def: $vgpr38_vgpr39_vgpr40_vgpr41_vgpr42_vgpr43_vgpr44_vgpr45_vgpr46_vgpr47_vgpr48_vgpr49_vgpr50_vgpr51_vgpr52_vgpr53
                                        ; implicit-def: $vgpr20_vgpr21_vgpr22_vgpr23_vgpr24_vgpr25_vgpr26_vgpr27_vgpr28_vgpr29_vgpr30_vgpr31_vgpr32_vgpr33_vgpr34_vgpr35
.LBB656_8:
	v_mov_b32_e32 v89, 0
	v_mov_b32_e32 v88, 0
	;; [unrolled: 1-line block ×16, first 2 shown]
	s_and_saveexec_b64 s[8:9], s[0:1]
	s_cbranch_execz .LBB656_10
; %bb.9:
	s_load_dwordx2 s[14:15], s[4:5], 0x38
	s_mul_hi_i32 s29, s19, s6
	s_mul_i32 s28, s19, s6
	s_lshl_b64 s[28:29], s[28:29], 1
	s_mov_b32 s31, 0x20000
	s_waitcnt lgkmcnt(0)
	s_add_u32 s28, s14, s28
	s_addc_u32 s14, s15, s29
	s_and_b32 s29, s14, 0xffff
	v_lshlrev_b32_e32 v38, 5, v0
	buffer_load_dwordx4 v[4:7], v38, s[28:31], 16 offen
	buffer_load_dwordx4 v[8:11], v38, s[28:31], 0 offen
	s_load_dwordx2 s[14:15], s[4:5], 0x20
	s_waitcnt vmcnt(5)
	v_cvt_f32_u32_sdwa v19, v80 dst_sel:DWORD dst_unused:UNUSED_PAD src0_sel:WORD_1
	v_cvt_f32_u32_sdwa v18, v80 dst_sel:DWORD dst_unused:UNUSED_PAD src0_sel:WORD_0
	v_cvt_f32_u32_sdwa v21, v81 dst_sel:DWORD dst_unused:UNUSED_PAD src0_sel:WORD_1
	v_cvt_f32_u32_sdwa v20, v81 dst_sel:DWORD dst_unused:UNUSED_PAD src0_sel:WORD_0
	;; [unrolled: 2-line block ×4, first 2 shown]
	s_waitcnt vmcnt(4)
	v_cvt_f32_u32_sdwa v3, v84 dst_sel:DWORD dst_unused:UNUSED_PAD src0_sel:WORD_1
	v_cvt_f32_u32_sdwa v2, v84 dst_sel:DWORD dst_unused:UNUSED_PAD src0_sel:WORD_0
	v_cvt_f32_u32_sdwa v13, v85 dst_sel:DWORD dst_unused:UNUSED_PAD src0_sel:WORD_1
	v_cvt_f32_u32_sdwa v12, v85 dst_sel:DWORD dst_unused:UNUSED_PAD src0_sel:WORD_0
	;; [unrolled: 2-line block ×3, first 2 shown]
	v_cvt_f32_u32_sdwa v16, v87 dst_sel:DWORD dst_unused:UNUSED_PAD src0_sel:WORD_0
	v_cvt_f32_u32_sdwa v17, v87 dst_sel:DWORD dst_unused:UNUSED_PAD src0_sel:WORD_1
	s_mul_hi_i32 s27, s26, s6
	s_mul_i32 s26, s26, s6
	s_lshl_b64 s[26:27], s[26:27], 1
	s_waitcnt lgkmcnt(0)
	s_add_u32 s28, s14, s26
	s_mov_b32 s17, 0x7060302
	s_addc_u32 s14, s15, s27
	s_and_b32 s29, s14, 0xffff
	s_waitcnt vmcnt(1)
	v_cvt_f32_u32_sdwa v27, v4 dst_sel:DWORD dst_unused:UNUSED_PAD src0_sel:WORD_1
	v_cvt_f32_u32_sdwa v26, v4 dst_sel:DWORD dst_unused:UNUSED_PAD src0_sel:WORD_0
	v_cvt_f32_u32_sdwa v29, v5 dst_sel:DWORD dst_unused:UNUSED_PAD src0_sel:WORD_1
	v_cvt_f32_u32_sdwa v28, v5 dst_sel:DWORD dst_unused:UNUSED_PAD src0_sel:WORD_0
	v_cvt_f32_u32_sdwa v31, v6 dst_sel:DWORD dst_unused:UNUSED_PAD src0_sel:WORD_1
	v_cvt_f32_u32_sdwa v30, v6 dst_sel:DWORD dst_unused:UNUSED_PAD src0_sel:WORD_0
	v_cvt_f32_u32_sdwa v32, v7 dst_sel:DWORD dst_unused:UNUSED_PAD src0_sel:WORD_0
	v_cvt_f32_u32_sdwa v33, v7 dst_sel:DWORD dst_unused:UNUSED_PAD src0_sel:WORD_1
	s_waitcnt vmcnt(0)
	v_cvt_f32_u32_sdwa v35, v8 dst_sel:DWORD dst_unused:UNUSED_PAD src0_sel:WORD_1
	v_cvt_f32_u32_sdwa v34, v8 dst_sel:DWORD dst_unused:UNUSED_PAD src0_sel:WORD_0
	v_cvt_f32_u32_sdwa v5, v10 dst_sel:DWORD dst_unused:UNUSED_PAD src0_sel:WORD_1
	v_cvt_f32_u32_sdwa v4, v10 dst_sel:DWORD dst_unused:UNUSED_PAD src0_sel:WORD_0
	;; [unrolled: 2-line block ×4, first 2 shown]
	v_pk_add_f32 v[54:55], v[22:23], v[4:5]
	v_pk_add_f32 v[36:37], v[24:25], v[6:7]
	;; [unrolled: 1-line block ×4, first 2 shown]
	v_perm_b32 v9, v37, v36, s17
	v_perm_b32 v8, v55, v54, s17
	;; [unrolled: 1-line block ×4, first 2 shown]
	v_pk_add_f32 v[88:89], v[16:17], v[32:33]
	v_pk_add_f32 v[32:33], v[14:15], v[30:31]
	;; [unrolled: 1-line block ×4, first 2 shown]
	buffer_store_dwordx4 v[6:9], v38, s[28:31], 0 offen
	;;#ASMSTART
	s_nop 0
	;;#ASMEND
	s_nop 0
	v_perm_b32 v9, v89, v88, s17
	v_perm_b32 v8, v33, v32, s17
	;; [unrolled: 1-line block ×4, first 2 shown]
	buffer_store_dwordx4 v[6:9], v38, s[28:31], 16 offen
	;;#ASMSTART
	s_nop 0
	;;#ASMEND
.LBB656_10:
	s_or_b64 exec, exec, s[8:9]
.LBB656_11:
	v_mul_f32_e32 v2, v19, v19
	v_fmac_f32_e32 v2, v18, v18
	v_fmac_f32_e32 v2, v4, v4
	;; [unrolled: 1-line block ×15, first 2 shown]
	s_nop 1
	v_mov_b32_dpp v3, v2 quad_perm:[1,0,3,2] row_mask:0xf bank_mask:0xf
	v_add_f32_e32 v2, v2, v3
	s_nop 1
	v_mov_b32_dpp v3, v2 quad_perm:[2,3,0,1] row_mask:0xf bank_mask:0xf
	v_add_f32_e32 v2, v2, v3
	s_nop 1
	v_mov_b32_dpp v3, v2 row_half_mirror row_mask:0xf bank_mask:0xf
	v_add_f32_e32 v2, v2, v3
	s_nop 1
	v_mov_b32_dpp v3, v2 row_mirror row_mask:0xf bank_mask:0xf
	v_add_f32_e32 v2, v2, v3
	s_nop 1
	v_mov_b32_dpp v3, v2 row_bcast:15 row_mask:0xf bank_mask:0xf
	v_add_f32_e32 v2, v2, v3
	v_and_b32_e32 v3, 63, v0
	v_cmp_eq_u32_e64 s[8:9], 63, v3
	s_nop 0
	v_mov_b32_dpp v3, v2 row_bcast:31 row_mask:0xf bank_mask:0xf
	s_and_saveexec_b64 s[14:15], s[8:9]
	s_cbranch_execz .LBB656_13
; %bb.12:
	v_add_f32_e32 v2, v2, v3
	v_lshrrev_b32_e32 v3, 4, v0
	v_and_b32_e32 v3, 60, v3
	ds_write_b32 v3, v2 offset:8
.LBB656_13:
	s_or_b64 exec, exec, s[14:15]
	v_and_b32_e32 v2, 1, v0
	v_lshlrev_b32_e32 v34, 2, v2
	s_waitcnt lgkmcnt(0)
	s_barrier
	ds_read_b32 v2, v34 offset:8
	s_load_dwordx2 s[14:15], s[4:5], 0x18
	s_waitcnt lgkmcnt(0)
	v_mov_b32_dpp v3, v2 quad_perm:[1,0,3,2] row_mask:0xf bank_mask:0xf
	s_and_saveexec_b64 s[26:27], s[0:1]
	s_cbranch_execnz .LBB656_18
; %bb.14:
	s_or_b64 exec, exec, s[26:27]
	s_mov_b64 s[2:3], -1
	s_and_b64 vcc, exec, s[22:23]
	s_cbranch_vccnz .LBB656_19
.LBB656_15:
	s_andn2_b64 vcc, exec, s[2:3]
	s_cbranch_vccz .LBB656_22
.LBB656_16:
	s_cmp_lt_i32 s16, 1
	s_cbranch_scc0 .LBB656_25
.LBB656_17:
	s_endpgm
.LBB656_18:
	v_add_f32_e32 v2, v2, v3
	v_cvt_f32_u32_e32 v3, s7
	s_waitcnt vmcnt(1)
	v_cvt_f32_u32_sdwa v17, v76 dst_sel:DWORD dst_unused:UNUSED_PAD src0_sel:WORD_1
	v_cvt_f32_u32_sdwa v16, v76 dst_sel:DWORD dst_unused:UNUSED_PAD src0_sel:WORD_0
	v_cvt_f32_u32_sdwa v21, v77 dst_sel:DWORD dst_unused:UNUSED_PAD src0_sel:WORD_1
	v_div_scale_f32 v6, s[28:29], v3, v3, v2
	v_rcp_f32_e32 v7, v6
	v_cvt_f32_u32_sdwa v20, v77 dst_sel:DWORD dst_unused:UNUSED_PAD src0_sel:WORD_0
	s_waitcnt vmcnt(0)
	v_cvt_f32_u32_sdwa v25, v73 dst_sel:DWORD dst_unused:UNUSED_PAD src0_sel:WORD_1
	v_cvt_f32_u32_sdwa v24, v73 dst_sel:DWORD dst_unused:UNUSED_PAD src0_sel:WORD_0
	v_fma_f32 v8, -v6, v7, 1.0
	v_fmac_f32_e32 v7, v8, v7
	v_div_scale_f32 v8, vcc, v2, v3, v2
	v_mul_f32_e32 v9, v8, v7
	v_fma_f32 v10, -v6, v9, v8
	v_fmac_f32_e32 v9, v10, v7
	v_fma_f32 v6, -v6, v9, v8
	v_div_fmas_f32 v6, v6, v7, v9
	v_div_fixup_f32 v2, v6, v3, v2
	v_mov_b32_e32 v3, s13
	v_mov_b32_e32 v6, s12
	v_cndmask_b32_e64 v3, v3, v6, s[2:3]
	v_add_f32_e32 v2, v3, v2
	s_mov_b32 s2, 0x800000
	v_mul_f32_e32 v3, 0x4b800000, v2
	v_cmp_gt_f32_e32 vcc, s2, v2
	v_cndmask_b32_e32 v2, v2, v3, vcc
	v_rsq_f32_e32 v2, v2
	v_cvt_f32_u32_sdwa v27, v74 dst_sel:DWORD dst_unused:UNUSED_PAD src0_sel:WORD_1
	v_cvt_f32_u32_sdwa v26, v74 dst_sel:DWORD dst_unused:UNUSED_PAD src0_sel:WORD_0
	v_cvt_f32_u32_sdwa v29, v75 dst_sel:DWORD dst_unused:UNUSED_PAD src0_sel:WORD_1
	v_mul_f32_e32 v3, 0x45800000, v2
	v_cndmask_b32_e32 v2, v2, v3, vcc
	v_mov_b32_e32 v3, v2
	;;#ASMSTART
	v_pk_mul_f32 v[6:7], v[18:19], v[2:3]
	;;#ASMEND
	;;#ASMSTART
	v_pk_mul_f32 v[4:5], v[4:5], v[2:3]
	;;#ASMEND
	;; [unrolled: 3-line block ×10, first 2 shown]
	v_cvt_f32_u32_sdwa v7, v78 dst_sel:DWORD dst_unused:UNUSED_PAD src0_sel:WORD_1
	v_cvt_f32_u32_sdwa v6, v78 dst_sel:DWORD dst_unused:UNUSED_PAD src0_sel:WORD_0
	v_cvt_f32_u32_sdwa v17, v79 dst_sel:DWORD dst_unused:UNUSED_PAD src0_sel:WORD_1
	v_cvt_f32_u32_sdwa v16, v79 dst_sel:DWORD dst_unused:UNUSED_PAD src0_sel:WORD_0
	;; [unrolled: 2-line block ×3, first 2 shown]
	v_cvt_f32_u32_sdwa v28, v75 dst_sel:DWORD dst_unused:UNUSED_PAD src0_sel:WORD_0
	;;#ASMSTART
	v_pk_mul_f32 v[54:55], v[8:9], v[6:7]
	;;#ASMEND
	;;#ASMSTART
	v_pk_mul_f32 v[36:37], v[10:11], v[16:17]
	;;#ASMEND
	;; [unrolled: 3-line block ×6, first 2 shown]
	s_or_b64 exec, exec, s[26:27]
	s_mov_b64 s[2:3], -1
	s_and_b64 vcc, exec, s[22:23]
	s_cbranch_vccz .LBB656_15
.LBB656_19:
	s_and_saveexec_b64 s[2:3], s[0:1]
	s_cbranch_execz .LBB656_21
; %bb.20:
	s_mul_hi_i32 s23, s25, s6
	s_mul_i32 s22, s25, s6
	s_lshl_b64 s[22:23], s[22:23], 1
	s_add_u32 s28, s14, s22
	s_addc_u32 s7, s15, s23
	s_and_b32 s29, s7, 0xffff
	s_mov_b32 s7, 0x7060302
	s_mov_b32 s31, 0x20000
	v_perm_b32 v9, v37, v36, s7
	v_perm_b32 v8, v55, v54, s7
	;; [unrolled: 1-line block ×4, first 2 shown]
	v_lshlrev_b32_e32 v2, 5, v0
	buffer_store_dwordx4 v[6:9], v2, s[28:31], 0 offen
	;;#ASMSTART
	s_nop 0
	;;#ASMEND
	s_nop 0
	v_perm_b32 v9, v89, v88, s7
	v_perm_b32 v8, v33, v32, s7
	;; [unrolled: 1-line block ×4, first 2 shown]
	buffer_store_dwordx4 v[6:9], v2, s[28:31], 16 offen
	;;#ASMSTART
	s_nop 0
	;;#ASMEND
.LBB656_21:
	s_or_b64 exec, exec, s[2:3]
	s_cbranch_execnz .LBB656_16
.LBB656_22:
	s_and_saveexec_b64 s[2:3], s[0:1]
	s_cbranch_execz .LBB656_24
; %bb.23:
	s_load_dwordx2 s[0:1], s[4:5], 0x10
	s_mul_hi_i32 s23, s24, s6
	s_mul_i32 s22, s24, s6
	s_lshl_b64 s[22:23], s[22:23], 1
	s_mov_b32 s7, 0x7060302
	s_waitcnt lgkmcnt(0)
	s_add_u32 s28, s0, s22
	s_addc_u32 s0, s1, s23
	v_perm_b32 v7, v37, v36, s7
	v_perm_b32 v6, v55, v54, s7
	;; [unrolled: 1-line block ×4, first 2 shown]
	s_and_b32 s29, s0, 0xffff
	s_mov_b32 s31, 0x20000
	v_lshlrev_b32_e32 v8, 5, v0
	buffer_store_dwordx4 v[4:7], v8, s[28:31], 0 offen
	v_perm_b32 v3, v49, v48, s7
	v_perm_b32 v5, v89, v88, s7
	;; [unrolled: 1-line block ×4, first 2 shown]
	;;#ASMSTART
	s_nop 0
	;;#ASMEND
	buffer_store_dwordx4 v[2:5], v8, s[28:31], 16 offen
	;;#ASMSTART
	s_nop 0
	;;#ASMEND
.LBB656_24:
	s_or_b64 exec, exec, s[2:3]
	s_cmp_lt_i32 s16, 1
	s_cbranch_scc1 .LBB656_17
.LBB656_25:
	s_load_dword s0, s[4:5], 0x94
	s_waitcnt lgkmcnt(0)
	s_cmp_lg_u32 s0, 1
	s_cbranch_scc1 .LBB656_17
; %bb.26:
	s_lshl_b32 s0, s16, 1
	s_add_i32 s0, s0, 2
	v_cmp_gt_u32_e32 vcc, s16, v1
	s_and_b32 s22, s0, -4
	v_mov_b32_e32 v18, 0
	v_lshlrev_b32_e32 v1, 5, v0
	v_mov_b32_e32 v14, 0
	v_mov_b32_e32 v15, 0
	;; [unrolled: 1-line block ×16, first 2 shown]
	s_barrier
	s_and_saveexec_b64 s[0:1], vcc
	s_cbranch_execz .LBB656_28
; %bb.27:
	s_mul_hi_i32 s3, s18, s6
	s_mul_i32 s2, s18, s6
	s_and_b32 s21, s21, 0xffff
	s_lshl_b64 s[2:3], s[2:3], 1
	s_add_u32 s28, s10, s2
	s_mov_b32 s23, 0x20000
	s_addc_u32 s2, s11, s3
	s_and_b32 s29, s2, 0xffff
	s_mov_b32 s30, s22
	s_mov_b32 s31, s23
	buffer_load_dwordx4 v[14:17], v1, s[28:31], 0 offen
	buffer_load_dwordx4 v[10:13], v1, s[28:31], 16 offen
	;; [unrolled: 1-line block ×4, first 2 shown]
.LBB656_28:
	s_or_b64 exec, exec, s[0:1]
	v_mov_b32_e32 v19, 0
	v_mov_b32_e32 v32, 0
	;; [unrolled: 1-line block ×15, first 2 shown]
	s_and_saveexec_b64 s[0:1], vcc
	s_cbranch_execz .LBB656_30
; %bb.29:
	s_waitcnt vmcnt(3)
	v_cvt_f32_u32_sdwa v18, v14 dst_sel:DWORD dst_unused:UNUSED_PAD src0_sel:WORD_0
	v_cvt_f32_u32_sdwa v19, v14 dst_sel:DWORD dst_unused:UNUSED_PAD src0_sel:WORD_1
	v_cvt_f32_u32_sdwa v32, v15 dst_sel:DWORD dst_unused:UNUSED_PAD src0_sel:WORD_0
	v_cvt_f32_u32_sdwa v33, v15 dst_sel:DWORD dst_unused:UNUSED_PAD src0_sel:WORD_1
	;; [unrolled: 2-line block ×4, first 2 shown]
	s_waitcnt vmcnt(2)
	v_cvt_f32_u32_sdwa v26, v10 dst_sel:DWORD dst_unused:UNUSED_PAD src0_sel:WORD_0
	v_cvt_f32_u32_sdwa v27, v10 dst_sel:DWORD dst_unused:UNUSED_PAD src0_sel:WORD_1
	v_cvt_f32_u32_sdwa v24, v11 dst_sel:DWORD dst_unused:UNUSED_PAD src0_sel:WORD_0
	v_cvt_f32_u32_sdwa v25, v11 dst_sel:DWORD dst_unused:UNUSED_PAD src0_sel:WORD_1
	;; [unrolled: 2-line block ×4, first 2 shown]
.LBB656_30:
	s_or_b64 exec, exec, s[0:1]
	s_waitcnt vmcnt(2)
	v_mul_f32_e32 v10, v19, v19
	v_fmac_f32_e32 v10, v18, v18
	v_fmac_f32_e32 v10, v32, v32
	;; [unrolled: 1-line block ×15, first 2 shown]
	s_nop 1
	v_mov_b32_dpp v11, v10 quad_perm:[1,0,3,2] row_mask:0xf bank_mask:0xf
	v_add_f32_e32 v10, v10, v11
	s_nop 1
	v_mov_b32_dpp v11, v10 quad_perm:[2,3,0,1] row_mask:0xf bank_mask:0xf
	v_add_f32_e32 v10, v10, v11
	s_nop 1
	v_mov_b32_dpp v11, v10 row_half_mirror row_mask:0xf bank_mask:0xf
	v_add_f32_e32 v10, v10, v11
	s_nop 1
	v_mov_b32_dpp v11, v10 row_mirror row_mask:0xf bank_mask:0xf
	v_add_f32_e32 v10, v10, v11
	s_nop 1
	v_mov_b32_dpp v11, v10 row_bcast:15 row_mask:0xf bank_mask:0xf
	v_add_f32_e32 v10, v10, v11
	s_nop 1
	v_mov_b32_dpp v11, v10 row_bcast:31 row_mask:0xf bank_mask:0xf
	s_and_saveexec_b64 s[0:1], s[8:9]
	s_cbranch_execz .LBB656_32
; %bb.31:
	v_lshrrev_b32_e32 v0, 4, v0
	v_add_f32_e32 v10, v10, v11
	v_and_b32_e32 v0, 60, v0
	ds_write_b32 v0, v10
.LBB656_32:
	s_or_b64 exec, exec, s[0:1]
	s_waitcnt lgkmcnt(0)
	s_barrier
	ds_read_b32 v0, v34
	s_waitcnt lgkmcnt(0)
	s_nop 0
	v_mov_b32_dpp v10, v0 quad_perm:[1,0,3,2] row_mask:0xf bank_mask:0xf
	s_and_saveexec_b64 s[0:1], vcc
	s_cbranch_execz .LBB656_17
; %bb.33:
	v_cvt_f32_u32_e32 v11, s16
	v_add_f32_e32 v0, v0, v10
	s_mov_b32 s23, 0x20000
	v_div_scale_f32 v10, s[0:1], v11, v11, v0
	v_rcp_f32_e32 v12, v10
	v_div_scale_f32 v13, vcc, v0, v11, v0
	s_mov_b32 s0, 0x800000
	v_fma_f32 v14, -v10, v12, 1.0
	v_fmac_f32_e32 v12, v14, v12
	v_mul_f32_e32 v14, v13, v12
	v_fma_f32 v15, -v10, v14, v13
	v_fmac_f32_e32 v14, v15, v12
	v_fma_f32 v10, -v10, v14, v13
	v_div_fmas_f32 v10, v10, v12, v14
	v_div_fixup_f32 v0, v10, v11, v0
	v_add_f32_e32 v0, s13, v0
	v_mul_f32_e32 v10, 0x4b800000, v0
	v_cmp_gt_f32_e32 vcc, s0, v0
	v_cndmask_b32_e32 v0, v0, v10, vcc
	v_rsq_f32_e32 v0, v0
	s_mul_hi_i32 s1, s25, s6
	s_mul_i32 s0, s25, s6
	s_lshl_b64 s[0:1], s[0:1], 1
	v_mul_f32_e32 v10, 0x45800000, v0
	v_cndmask_b32_e32 v10, v0, v10, vcc
	v_mov_b32_e32 v11, v10
	s_add_u32 s20, s14, s0
	;;#ASMSTART
	v_pk_mul_f32 v[12:13], v[18:19], v[10:11]
	;;#ASMEND
	;;#ASMSTART
	v_pk_mul_f32 v[14:15], v[32:33], v[10:11]
	;;#ASMEND
	;; [unrolled: 3-line block ×8, first 2 shown]
	s_waitcnt vmcnt(1)
	v_cvt_f32_u32_sdwa v21, v6 dst_sel:DWORD dst_unused:UNUSED_PAD src0_sel:WORD_1
	v_cvt_f32_u32_sdwa v20, v6 dst_sel:DWORD dst_unused:UNUSED_PAD src0_sel:WORD_0
	v_cvt_f32_u32_sdwa v29, v7 dst_sel:DWORD dst_unused:UNUSED_PAD src0_sel:WORD_1
	v_cvt_f32_u32_sdwa v28, v7 dst_sel:DWORD dst_unused:UNUSED_PAD src0_sel:WORD_0
	;; [unrolled: 2-line block ×3, first 2 shown]
	s_addc_u32 s0, s15, s1
	v_cvt_f32_u32_sdwa v31, v9 dst_sel:DWORD dst_unused:UNUSED_PAD src0_sel:WORD_1
	v_cvt_f32_u32_sdwa v30, v9 dst_sel:DWORD dst_unused:UNUSED_PAD src0_sel:WORD_0
	;;#ASMSTART
	v_pk_mul_f32 v[8:9], v[12:13], v[20:21]
	;;#ASMEND
	;;#ASMSTART
	v_pk_mul_f32 v[12:13], v[14:15], v[28:29]
	;;#ASMEND
	;; [unrolled: 3-line block ×4, first 2 shown]
	s_waitcnt vmcnt(0)
	v_cvt_f32_u32_sdwa v17, v2 dst_sel:DWORD dst_unused:UNUSED_PAD src0_sel:WORD_1
	v_cvt_f32_u32_sdwa v16, v2 dst_sel:DWORD dst_unused:UNUSED_PAD src0_sel:WORD_0
	v_cvt_f32_u32_sdwa v19, v3 dst_sel:DWORD dst_unused:UNUSED_PAD src0_sel:WORD_1
	v_cvt_f32_u32_sdwa v18, v3 dst_sel:DWORD dst_unused:UNUSED_PAD src0_sel:WORD_0
	;; [unrolled: 2-line block ×3, first 2 shown]
	s_and_b32 s21, s0, 0xffff
	s_mov_b32 s0, 0x7060302
	v_cvt_f32_u32_sdwa v21, v5 dst_sel:DWORD dst_unused:UNUSED_PAD src0_sel:WORD_1
	v_cvt_f32_u32_sdwa v20, v5 dst_sel:DWORD dst_unused:UNUSED_PAD src0_sel:WORD_0
	;;#ASMSTART
	v_pk_mul_f32 v[16:17], v[26:27], v[16:17]
	;;#ASMEND
	;;#ASMSTART
	v_pk_mul_f32 v[18:19], v[24:25], v[18:19]
	;;#ASMEND
	;; [unrolled: 3-line block ×3, first 2 shown]
	v_perm_b32 v2, v9, v8, s0
	v_perm_b32 v3, v13, v12, s0
	;; [unrolled: 1-line block ×4, first 2 shown]
	;;#ASMSTART
	v_pk_mul_f32 v[10:11], v[10:11], v[20:21]
	;;#ASMEND
	buffer_store_dwordx4 v[2:5], v1, s[20:23], 0 offen
	;;#ASMSTART
	s_nop 0
	;;#ASMEND
	s_nop 0
	v_perm_b32 v2, v17, v16, s0
	v_perm_b32 v3, v19, v18, s0
	;; [unrolled: 1-line block ×4, first 2 shown]
	buffer_store_dwordx4 v[2:5], v1, s[20:23], 16 offen
	;;#ASMSTART
	s_nop 0
	;;#ASMEND
	s_endpgm
	.section	.rodata,"a",@progbits
	.p2align	6, 0x0
	.amdhsa_kernel _ZN5aiter35fused_qk_rmsnorm_group_quant_kernelItN4opus5fp4_tELi128ELi16ELi4ELb1ELb1ELb0ELb1ELb0ELb0EEEvPT0_PvPT_S7_S7_PKS6_S9_S9_S9_S9_ffiiiiiiiiiiiii
		.amdhsa_group_segment_fixed_size 16
		.amdhsa_private_segment_fixed_size 0
		.amdhsa_kernarg_size 400
		.amdhsa_user_sgpr_count 6
		.amdhsa_user_sgpr_private_segment_buffer 1
		.amdhsa_user_sgpr_dispatch_ptr 0
		.amdhsa_user_sgpr_queue_ptr 0
		.amdhsa_user_sgpr_kernarg_segment_ptr 1
		.amdhsa_user_sgpr_dispatch_id 0
		.amdhsa_user_sgpr_flat_scratch_init 0
		.amdhsa_user_sgpr_kernarg_preload_length 0
		.amdhsa_user_sgpr_kernarg_preload_offset 0
		.amdhsa_user_sgpr_private_segment_size 0
		.amdhsa_uses_dynamic_stack 0
		.amdhsa_system_sgpr_private_segment_wavefront_offset 0
		.amdhsa_system_sgpr_workgroup_id_x 1
		.amdhsa_system_sgpr_workgroup_id_y 1
		.amdhsa_system_sgpr_workgroup_id_z 0
		.amdhsa_system_sgpr_workgroup_info 0
		.amdhsa_system_vgpr_workitem_id 0
		.amdhsa_next_free_vgpr 90
		.amdhsa_next_free_sgpr 32
		.amdhsa_accum_offset 92
		.amdhsa_reserve_vcc 1
		.amdhsa_reserve_flat_scratch 0
		.amdhsa_float_round_mode_32 0
		.amdhsa_float_round_mode_16_64 0
		.amdhsa_float_denorm_mode_32 3
		.amdhsa_float_denorm_mode_16_64 3
		.amdhsa_dx10_clamp 1
		.amdhsa_ieee_mode 1
		.amdhsa_fp16_overflow 0
		.amdhsa_tg_split 0
		.amdhsa_exception_fp_ieee_invalid_op 0
		.amdhsa_exception_fp_denorm_src 0
		.amdhsa_exception_fp_ieee_div_zero 0
		.amdhsa_exception_fp_ieee_overflow 0
		.amdhsa_exception_fp_ieee_underflow 0
		.amdhsa_exception_fp_ieee_inexact 0
		.amdhsa_exception_int_div_zero 0
	.end_amdhsa_kernel
	.section	.text._ZN5aiter35fused_qk_rmsnorm_group_quant_kernelItN4opus5fp4_tELi128ELi16ELi4ELb1ELb1ELb0ELb1ELb0ELb0EEEvPT0_PvPT_S7_S7_PKS6_S9_S9_S9_S9_ffiiiiiiiiiiiii,"axG",@progbits,_ZN5aiter35fused_qk_rmsnorm_group_quant_kernelItN4opus5fp4_tELi128ELi16ELi4ELb1ELb1ELb0ELb1ELb0ELb0EEEvPT0_PvPT_S7_S7_PKS6_S9_S9_S9_S9_ffiiiiiiiiiiiii,comdat
.Lfunc_end656:
	.size	_ZN5aiter35fused_qk_rmsnorm_group_quant_kernelItN4opus5fp4_tELi128ELi16ELi4ELb1ELb1ELb0ELb1ELb0ELb0EEEvPT0_PvPT_S7_S7_PKS6_S9_S9_S9_S9_ffiiiiiiiiiiiii, .Lfunc_end656-_ZN5aiter35fused_qk_rmsnorm_group_quant_kernelItN4opus5fp4_tELi128ELi16ELi4ELb1ELb1ELb0ELb1ELb0ELb0EEEvPT0_PvPT_S7_S7_PKS6_S9_S9_S9_S9_ffiiiiiiiiiiiii
                                        ; -- End function
	.section	.AMDGPU.csdata,"",@progbits
; Kernel info:
; codeLenInByte = 3408
; NumSgprs: 36
; NumVgprs: 90
; NumAgprs: 0
; TotalNumVgprs: 90
; ScratchSize: 0
; MemoryBound: 0
; FloatMode: 240
; IeeeMode: 1
; LDSByteSize: 16 bytes/workgroup (compile time only)
; SGPRBlocks: 4
; VGPRBlocks: 11
; NumSGPRsForWavesPerEU: 36
; NumVGPRsForWavesPerEU: 90
; AccumOffset: 92
; Occupancy: 5
; WaveLimiterHint : 0
; COMPUTE_PGM_RSRC2:SCRATCH_EN: 0
; COMPUTE_PGM_RSRC2:USER_SGPR: 6
; COMPUTE_PGM_RSRC2:TRAP_HANDLER: 0
; COMPUTE_PGM_RSRC2:TGID_X_EN: 1
; COMPUTE_PGM_RSRC2:TGID_Y_EN: 1
; COMPUTE_PGM_RSRC2:TGID_Z_EN: 0
; COMPUTE_PGM_RSRC2:TIDIG_COMP_CNT: 0
; COMPUTE_PGM_RSRC3_GFX90A:ACCUM_OFFSET: 22
; COMPUTE_PGM_RSRC3_GFX90A:TG_SPLIT: 0
	.section	.text._ZN5aiter35fused_qk_rmsnorm_group_quant_kernelIDF16_DB8_Li128ELi16ELi4ELb0ELb1ELb1ELb1ELb0ELb0EEEvPT0_PvPT_S6_S6_PKS5_S8_S8_S8_S8_ffiiiiiiiiiiiii,"axG",@progbits,_ZN5aiter35fused_qk_rmsnorm_group_quant_kernelIDF16_DB8_Li128ELi16ELi4ELb0ELb1ELb1ELb1ELb0ELb0EEEvPT0_PvPT_S6_S6_PKS5_S8_S8_S8_S8_ffiiiiiiiiiiiii,comdat
	.protected	_ZN5aiter35fused_qk_rmsnorm_group_quant_kernelIDF16_DB8_Li128ELi16ELi4ELb0ELb1ELb1ELb1ELb0ELb0EEEvPT0_PvPT_S6_S6_PKS5_S8_S8_S8_S8_ffiiiiiiiiiiiii ; -- Begin function _ZN5aiter35fused_qk_rmsnorm_group_quant_kernelIDF16_DB8_Li128ELi16ELi4ELb0ELb1ELb1ELb1ELb0ELb0EEEvPT0_PvPT_S6_S6_PKS5_S8_S8_S8_S8_ffiiiiiiiiiiiii
	.globl	_ZN5aiter35fused_qk_rmsnorm_group_quant_kernelIDF16_DB8_Li128ELi16ELi4ELb0ELb1ELb1ELb1ELb0ELb0EEEvPT0_PvPT_S6_S6_PKS5_S8_S8_S8_S8_ffiiiiiiiiiiiii
	.p2align	8
	.type	_ZN5aiter35fused_qk_rmsnorm_group_quant_kernelIDF16_DB8_Li128ELi16ELi4ELb0ELb1ELb1ELb1ELb0ELb0EEEvPT0_PvPT_S6_S6_PKS5_S8_S8_S8_S8_ffiiiiiiiiiiiii,@function
_ZN5aiter35fused_qk_rmsnorm_group_quant_kernelIDF16_DB8_Li128ELi16ELi4ELb0ELb1ELb1ELb1ELb0ELb0EEEvPT0_PvPT_S6_S6_PKS5_S8_S8_S8_S8_ffiiiiiiiiiiiii: ; @_ZN5aiter35fused_qk_rmsnorm_group_quant_kernelIDF16_DB8_Li128ELi16ELi4ELb0ELb1ELb1ELb1ELb0ELb0EEEvPT0_PvPT_S6_S6_PKS5_S8_S8_S8_S8_ffiiiiiiiiiiiii
; %bb.0:
	s_load_dwordx4 s[12:15], s[4:5], 0x50
	s_waitcnt lgkmcnt(0)
	s_cmp_ge_i32 s6, s14
	s_cbranch_scc1 .LBB657_12
; %bb.1:
	s_load_dwordx2 s[24:25], s[4:5], 0x30
	s_load_dwordx2 s[8:9], s[4:5], 0x48
	s_load_dwordx4 s[16:19], s[4:5], 0x60
	s_cmp_lg_u32 s7, 0
	s_cselect_b64 s[10:11], -1, 0
	s_cmp_eq_u32 s7, 0
	s_cselect_b64 vcc, -1, 0
	s_and_b64 s[0:1], vcc, exec
	s_waitcnt lgkmcnt(0)
	s_cselect_b32 s7, s15, s16
	s_add_i32 s0, s7, 1
	s_lshr_b32 s1, s0, 31
	s_add_i32 s0, s0, s1
	s_lshl_b32 s0, s0, 1
	v_lshlrev_b32_e32 v1, 4, v0
	s_and_b32 s22, s0, -4
	v_cmp_gt_i32_e64 s[2:3], s7, v1
	v_mov_b32_e32 v18, 0
	v_mov_b32_e32 v6, 0
	;; [unrolled: 1-line block ×17, first 2 shown]
	s_and_saveexec_b64 s[0:1], s[2:3]
	s_cbranch_execz .LBB657_3
; %bb.2:
	s_load_dwordx2 s[14:15], s[4:5], 0x28
	s_load_dwordx2 s[20:21], s[4:5], 0x40
	s_and_b64 s[26:27], vcc, exec
	s_cselect_b32 s17, s17, s18
	s_mov_b32 s30, s22
	s_waitcnt lgkmcnt(0)
	s_cselect_b32 s19, s15, s25
	s_cselect_b32 s23, s14, s24
	s_mul_hi_i32 s15, s17, s6
	s_mul_i32 s14, s17, s6
	s_lshl_b64 s[14:15], s[14:15], 1
	s_add_u32 s28, s23, s14
	s_addc_u32 s17, s19, s15
	s_and_b64 s[14:15], vcc, exec
	s_mov_b32 s23, 0x20000
	s_cselect_b32 s20, s20, s8
	s_cselect_b32 s14, s21, s9
	s_and_b32 s29, s17, 0xffff
	s_mov_b32 s31, s23
	v_lshlrev_b32_e32 v19, 5, v0
	s_and_b32 s21, s14, 0xffff
	buffer_load_dwordx4 v[14:17], v19, s[28:31], 0 offen
	buffer_load_dwordx4 v[10:13], v19, s[28:31], 16 offen
	;; [unrolled: 1-line block ×4, first 2 shown]
.LBB657_3:
	s_or_b64 exec, exec, s[0:1]
	v_mov_b32_e32 v19, 0
	v_mov_b32_e32 v22, 0
	;; [unrolled: 1-line block ×15, first 2 shown]
	s_and_saveexec_b64 s[0:1], s[2:3]
	s_cbranch_execz .LBB657_5
; %bb.4:
	s_waitcnt vmcnt(3)
	v_cvt_f32_f16_sdwa v19, v14 dst_sel:DWORD dst_unused:UNUSED_PAD src0_sel:WORD_1
	v_cvt_f32_f16_e32 v18, v14
	v_cvt_f32_f16_sdwa v23, v15 dst_sel:DWORD dst_unused:UNUSED_PAD src0_sel:WORD_1
	v_cvt_f32_f16_e32 v22, v15
	;; [unrolled: 2-line block ×4, first 2 shown]
	s_waitcnt vmcnt(2)
	v_cvt_f32_f16_sdwa v21, v10 dst_sel:DWORD dst_unused:UNUSED_PAD src0_sel:WORD_1
	v_cvt_f32_f16_e32 v20, v10
	v_cvt_f32_f16_sdwa v29, v11 dst_sel:DWORD dst_unused:UNUSED_PAD src0_sel:WORD_1
	v_cvt_f32_f16_e32 v28, v11
	;; [unrolled: 2-line block ×4, first 2 shown]
.LBB657_5:
	s_or_b64 exec, exec, s[0:1]
	s_waitcnt vmcnt(2)
	v_mul_f32_e32 v10, v19, v19
	v_fmac_f32_e32 v10, v18, v18
	v_fmac_f32_e32 v10, v22, v22
	;; [unrolled: 1-line block ×15, first 2 shown]
	v_and_b32_e32 v12, 63, v0
	v_cmp_eq_u32_e64 s[0:1], 63, v12
	v_mov_b32_dpp v11, v10 quad_perm:[1,0,3,2] row_mask:0xf bank_mask:0xf
	v_add_f32_e32 v10, v10, v11
	s_nop 1
	v_mov_b32_dpp v11, v10 quad_perm:[2,3,0,1] row_mask:0xf bank_mask:0xf
	v_add_f32_e32 v10, v10, v11
	s_nop 1
	v_mov_b32_dpp v11, v10 row_half_mirror row_mask:0xf bank_mask:0xf
	v_add_f32_e32 v10, v10, v11
	s_nop 1
	v_mov_b32_dpp v11, v10 row_mirror row_mask:0xf bank_mask:0xf
	v_add_f32_e32 v10, v10, v11
	s_nop 1
	v_mov_b32_dpp v11, v10 row_bcast:15 row_mask:0xf bank_mask:0xf
	v_add_f32_e32 v10, v10, v11
	s_nop 1
	v_mov_b32_dpp v11, v10 row_bcast:31 row_mask:0xf bank_mask:0xf
	s_and_saveexec_b64 s[14:15], s[0:1]
	s_cbranch_execz .LBB657_7
; %bb.6:
	v_add_f32_e32 v10, v10, v11
	v_lshrrev_b32_e32 v11, 4, v0
	v_and_b32_e32 v11, 60, v11
	ds_write_b32 v11, v10 offset:8
.LBB657_7:
	s_or_b64 exec, exec, s[14:15]
	v_and_b32_e32 v10, 1, v0
	v_lshlrev_b32_e32 v34, 2, v10
	s_waitcnt lgkmcnt(0)
	s_barrier
	ds_read_b32 v10, v34 offset:8
	s_load_dwordx2 s[14:15], s[4:5], 0x18
	s_waitcnt lgkmcnt(0)
	v_mov_b32_dpp v11, v10 quad_perm:[1,0,3,2] row_mask:0xf bank_mask:0xf
	s_and_saveexec_b64 s[20:21], s[2:3]
	s_cbranch_execz .LBB657_9
; %bb.8:
	v_cvt_f32_u32_e32 v12, s7
	v_add_f32_e32 v10, v10, v11
	v_mov_b32_e32 v14, s13
	v_mov_b32_e32 v15, s12
	v_div_scale_f32 v11, s[26:27], v12, v12, v10
	v_rcp_f32_e32 v13, v11
	v_cndmask_b32_e32 v14, v14, v15, vcc
	s_mov_b32 s7, 0x800000
	v_fma_f32 v15, -v11, v13, 1.0
	v_fmac_f32_e32 v13, v15, v13
	v_div_scale_f32 v15, vcc, v10, v12, v10
	v_mul_f32_e32 v16, v15, v13
	v_fma_f32 v17, -v11, v16, v15
	v_fmac_f32_e32 v16, v17, v13
	v_fma_f32 v11, -v11, v16, v15
	v_div_fmas_f32 v11, v11, v13, v16
	v_div_fixup_f32 v10, v11, v12, v10
	v_add_f32_e32 v10, v14, v10
	v_mul_f32_e32 v11, 0x4b800000, v10
	v_cmp_gt_f32_e32 vcc, s7, v10
	v_cndmask_b32_e32 v10, v10, v11, vcc
	v_rsq_f32_e32 v10, v10
	v_mul_f32_e32 v11, 0x45800000, v10
	v_cndmask_b32_e32 v10, v10, v11, vcc
	v_mov_b32_e32 v11, v10
	;;#ASMSTART
	v_pk_mul_f32 v[12:13], v[18:19], v[10:11]
	;;#ASMEND
	s_waitcnt vmcnt(1)
	v_cvt_f32_f16_sdwa v19, v6 dst_sel:DWORD dst_unused:UNUSED_PAD src0_sel:WORD_1
	v_cvt_f32_f16_e32 v18, v6
	;;#ASMSTART
	v_pk_mul_f32 v[14:15], v[22:23], v[10:11]
	;;#ASMEND
	v_cvt_f32_f16_sdwa v23, v7 dst_sel:DWORD dst_unused:UNUSED_PAD src0_sel:WORD_1
	v_cvt_f32_f16_e32 v22, v7
	;;#ASMSTART
	v_pk_mul_f32 v[16:17], v[24:25], v[10:11]
	;;#ASMEND
	;;#ASMSTART
	v_pk_mul_f32 v[32:33], v[32:33], v[10:11]
	;;#ASMEND
	;; [unrolled: 3-line block ×6, first 2 shown]
	v_pk_add_f32 v[10:11], v[18:19], 1.0 op_sel_hi:[1,0]
	;;#ASMSTART
	v_pk_mul_f32 v[18:19], v[12:13], v[10:11]
	;;#ASMEND
	v_cvt_f32_f16_sdwa v13, v8 dst_sel:DWORD dst_unused:UNUSED_PAD src0_sel:WORD_1
	v_cvt_f32_f16_e32 v12, v8
	v_cvt_f32_f16_sdwa v27, v9 dst_sel:DWORD dst_unused:UNUSED_PAD src0_sel:WORD_1
	v_cvt_f32_f16_e32 v26, v9
	v_pk_add_f32 v[10:11], v[22:23], 1.0 op_sel_hi:[1,0]
	;;#ASMSTART
	v_pk_mul_f32 v[22:23], v[14:15], v[10:11]
	;;#ASMEND
	s_waitcnt vmcnt(0)
	v_cvt_f32_f16_sdwa v11, v2 dst_sel:DWORD dst_unused:UNUSED_PAD src0_sel:WORD_1
	v_cvt_f32_f16_e32 v10, v2
	v_pk_add_f32 v[8:9], v[12:13], 1.0 op_sel_hi:[1,0]
	;;#ASMSTART
	v_pk_mul_f32 v[24:25], v[16:17], v[8:9]
	;;#ASMEND
	v_pk_add_f32 v[8:9], v[26:27], 1.0 op_sel_hi:[1,0]
	v_cvt_f32_f16_sdwa v13, v3 dst_sel:DWORD dst_unused:UNUSED_PAD src0_sel:WORD_1
	v_cvt_f32_f16_e32 v12, v3
	;;#ASMSTART
	v_pk_mul_f32 v[32:33], v[32:33], v[8:9]
	;;#ASMEND
	v_cvt_f32_f16_sdwa v9, v4 dst_sel:DWORD dst_unused:UNUSED_PAD src0_sel:WORD_1
	v_cvt_f32_f16_e32 v8, v4
	v_pk_add_f32 v[2:3], v[10:11], 1.0 op_sel_hi:[1,0]
	v_cvt_f32_f16_sdwa v11, v5 dst_sel:DWORD dst_unused:UNUSED_PAD src0_sel:WORD_1
	v_cvt_f32_f16_e32 v10, v5
	;;#ASMSTART
	v_pk_mul_f32 v[20:21], v[20:21], v[2:3]
	;;#ASMEND
	v_pk_add_f32 v[2:3], v[12:13], 1.0 op_sel_hi:[1,0]
	;;#ASMSTART
	v_pk_mul_f32 v[28:29], v[28:29], v[2:3]
	;;#ASMEND
	v_pk_add_f32 v[2:3], v[8:9], 1.0 op_sel_hi:[1,0]
	;;#ASMSTART
	v_pk_mul_f32 v[30:31], v[30:31], v[2:3]
	;;#ASMEND
	v_pk_add_f32 v[2:3], v[10:11], 1.0 op_sel_hi:[1,0]
	;;#ASMSTART
	v_pk_mul_f32 v[26:27], v[6:7], v[2:3]
	;;#ASMEND
.LBB657_9:
	s_or_b64 exec, exec, s[20:21]
	s_load_dwordx2 s[26:27], s[4:5], 0x7c
	s_mov_b64 s[20:21], -1
	s_and_b64 vcc, exec, s[10:11]
	s_cbranch_vccnz .LBB657_13
; %bb.10:
	s_andn2_b64 vcc, exec, s[20:21]
	s_cbranch_vccz .LBB657_16
.LBB657_11:
	s_cmp_lt_i32 s16, 1
	s_cbranch_scc0 .LBB657_19
.LBB657_12:
	s_endpgm
.LBB657_13:
	s_and_saveexec_b64 s[10:11], s[2:3]
	s_cbranch_execz .LBB657_15
; %bb.14:
	s_waitcnt lgkmcnt(0)
	s_mul_hi_i32 s21, s27, s6
	s_mul_i32 s20, s27, s6
	s_waitcnt vmcnt(0)
	v_cvt_f16_f32_e32 v2, v18
	v_cvt_f16_f32_e32 v3, v22
	;; [unrolled: 1-line block ×8, first 2 shown]
	s_lshl_b64 s[20:21], s[20:21], 1
	s_add_u32 s20, s14, s20
	s_addc_u32 s7, s15, s21
	s_and_b32 s21, s7, 0xffff
	s_mov_b32 s23, 0x20000
	v_pack_b32_f16 v5, v5, v6
	v_pack_b32_f16 v4, v4, v7
	;; [unrolled: 1-line block ×4, first 2 shown]
	v_lshlrev_b32_e32 v6, 5, v0
	buffer_store_dwordx4 v[2:5], v6, s[20:23], 0 offen
	v_cvt_f16_f32_e32 v7, v27
	v_cvt_f16_f32_e32 v2, v20
	;; [unrolled: 1-line block ×8, first 2 shown]
	v_pack_b32_f16 v5, v5, v7
	v_pack_b32_f16 v4, v4, v8
	;; [unrolled: 1-line block ×4, first 2 shown]
	;;#ASMSTART
	s_nop 0
	;;#ASMEND
	buffer_store_dwordx4 v[2:5], v6, s[20:23], 16 offen
	;;#ASMSTART
	s_nop 0
	;;#ASMEND
.LBB657_15:
	s_or_b64 exec, exec, s[10:11]
	s_cbranch_execnz .LBB657_11
.LBB657_16:
	s_and_saveexec_b64 s[10:11], s[2:3]
	s_cbranch_execz .LBB657_18
; %bb.17:
	s_load_dwordx2 s[2:3], s[4:5], 0x10
	s_waitcnt lgkmcnt(0)
	s_mul_hi_i32 s21, s26, s6
	s_mul_i32 s20, s26, s6
	s_waitcnt vmcnt(0)
	v_cvt_f16_f32_e32 v2, v18
	v_cvt_f16_f32_e32 v3, v22
	;; [unrolled: 1-line block ×8, first 2 shown]
	s_lshl_b64 s[20:21], s[20:21], 1
	s_add_u32 s20, s2, s20
	s_addc_u32 s2, s3, s21
	s_mov_b32 s23, 0x20000
	s_and_b32 s21, s2, 0xffff
	v_pack_b32_f16 v5, v5, v6
	v_pack_b32_f16 v4, v4, v7
	;; [unrolled: 1-line block ×4, first 2 shown]
	v_lshlrev_b32_e32 v6, 5, v0
	buffer_store_dwordx4 v[2:5], v6, s[20:23], 0 offen
	v_cvt_f16_f32_e32 v7, v27
	v_cvt_f16_f32_e32 v2, v20
	;; [unrolled: 1-line block ×8, first 2 shown]
	v_pack_b32_f16 v5, v5, v7
	v_pack_b32_f16 v4, v4, v8
	;; [unrolled: 1-line block ×4, first 2 shown]
	;;#ASMSTART
	s_nop 0
	;;#ASMEND
	buffer_store_dwordx4 v[2:5], v6, s[20:23], 16 offen
	;;#ASMSTART
	s_nop 0
	;;#ASMEND
.LBB657_18:
	s_or_b64 exec, exec, s[10:11]
	s_cmp_lt_i32 s16, 1
	s_cbranch_scc1 .LBB657_12
.LBB657_19:
	s_load_dword s2, s[4:5], 0x94
	s_waitcnt lgkmcnt(0)
	s_cmp_lg_u32 s2, 1
	s_cbranch_scc1 .LBB657_12
; %bb.20:
	s_lshl_b32 s2, s16, 1
	s_add_i32 s2, s2, 2
	v_cmp_gt_u32_e32 vcc, s16, v1
	s_and_b32 s10, s2, -4
	v_mov_b32_e32 v18, 0
	v_lshlrev_b32_e32 v1, 5, v0
	v_mov_b32_e32 v14, 0
	v_mov_b32_e32 v15, 0
	v_mov_b32_e32 v16, 0
	v_mov_b32_e32 v17, 0
	v_mov_b32_e32 v10, 0
	v_mov_b32_e32 v11, 0
	v_mov_b32_e32 v12, 0
	v_mov_b32_e32 v13, 0
	s_waitcnt vmcnt(1)
	v_mov_b32_e32 v6, 0
	v_mov_b32_e32 v7, 0
	;; [unrolled: 1-line block ×4, first 2 shown]
	s_waitcnt vmcnt(0)
	v_mov_b32_e32 v2, 0
	v_mov_b32_e32 v3, 0
	;; [unrolled: 1-line block ×4, first 2 shown]
	s_barrier
	s_and_saveexec_b64 s[2:3], vcc
	s_cbranch_execz .LBB657_22
; %bb.21:
	s_mul_hi_i32 s5, s18, s6
	s_mul_i32 s4, s18, s6
	s_and_b32 s9, s9, 0xffff
	s_lshl_b64 s[4:5], s[4:5], 1
	s_add_u32 s20, s24, s4
	s_mov_b32 s11, 0x20000
	s_addc_u32 s4, s25, s5
	s_and_b32 s21, s4, 0xffff
	s_mov_b32 s22, s10
	s_mov_b32 s23, s11
	buffer_load_dwordx4 v[14:17], v1, s[20:23], 0 offen
	buffer_load_dwordx4 v[10:13], v1, s[20:23], 16 offen
	;; [unrolled: 1-line block ×4, first 2 shown]
.LBB657_22:
	s_or_b64 exec, exec, s[2:3]
	v_mov_b32_e32 v19, 0
	v_mov_b32_e32 v32, 0
	;; [unrolled: 1-line block ×15, first 2 shown]
	s_and_saveexec_b64 s[2:3], vcc
	s_cbranch_execz .LBB657_24
; %bb.23:
	s_waitcnt vmcnt(3)
	v_cvt_f32_f16_sdwa v19, v14 dst_sel:DWORD dst_unused:UNUSED_PAD src0_sel:WORD_1
	v_cvt_f32_f16_e32 v18, v14
	v_cvt_f32_f16_sdwa v33, v15 dst_sel:DWORD dst_unused:UNUSED_PAD src0_sel:WORD_1
	v_cvt_f32_f16_e32 v32, v15
	;; [unrolled: 2-line block ×4, first 2 shown]
	s_waitcnt vmcnt(2)
	v_cvt_f32_f16_sdwa v27, v10 dst_sel:DWORD dst_unused:UNUSED_PAD src0_sel:WORD_1
	v_cvt_f32_f16_e32 v26, v10
	v_cvt_f32_f16_sdwa v25, v11 dst_sel:DWORD dst_unused:UNUSED_PAD src0_sel:WORD_1
	v_cvt_f32_f16_e32 v24, v11
	;; [unrolled: 2-line block ×4, first 2 shown]
.LBB657_24:
	s_or_b64 exec, exec, s[2:3]
	s_waitcnt vmcnt(2)
	v_mul_f32_e32 v10, v19, v19
	v_fmac_f32_e32 v10, v18, v18
	v_fmac_f32_e32 v10, v32, v32
	v_fmac_f32_e32 v10, v33, v33
	v_fmac_f32_e32 v10, v30, v30
	v_fmac_f32_e32 v10, v31, v31
	v_fmac_f32_e32 v10, v28, v28
	v_fmac_f32_e32 v10, v29, v29
	v_fmac_f32_e32 v10, v26, v26
	v_fmac_f32_e32 v10, v27, v27
	v_fmac_f32_e32 v10, v24, v24
	v_fmac_f32_e32 v10, v25, v25
	v_fmac_f32_e32 v10, v22, v22
	v_fmac_f32_e32 v10, v23, v23
	v_fmac_f32_e32 v10, v20, v20
	v_fmac_f32_e32 v10, v21, v21
	s_nop 1
	v_mov_b32_dpp v11, v10 quad_perm:[1,0,3,2] row_mask:0xf bank_mask:0xf
	v_add_f32_e32 v10, v10, v11
	s_nop 1
	v_mov_b32_dpp v11, v10 quad_perm:[2,3,0,1] row_mask:0xf bank_mask:0xf
	v_add_f32_e32 v10, v10, v11
	s_nop 1
	v_mov_b32_dpp v11, v10 row_half_mirror row_mask:0xf bank_mask:0xf
	v_add_f32_e32 v10, v10, v11
	s_nop 1
	v_mov_b32_dpp v11, v10 row_mirror row_mask:0xf bank_mask:0xf
	v_add_f32_e32 v10, v10, v11
	s_nop 1
	v_mov_b32_dpp v11, v10 row_bcast:15 row_mask:0xf bank_mask:0xf
	v_add_f32_e32 v10, v10, v11
	s_nop 1
	v_mov_b32_dpp v11, v10 row_bcast:31 row_mask:0xf bank_mask:0xf
	s_and_saveexec_b64 s[2:3], s[0:1]
	s_cbranch_execz .LBB657_26
; %bb.25:
	v_lshrrev_b32_e32 v0, 4, v0
	v_add_f32_e32 v10, v10, v11
	v_and_b32_e32 v0, 60, v0
	ds_write_b32 v0, v10
.LBB657_26:
	s_or_b64 exec, exec, s[2:3]
	s_waitcnt lgkmcnt(0)
	s_barrier
	ds_read_b32 v0, v34
	s_waitcnt lgkmcnt(0)
	s_nop 0
	v_mov_b32_dpp v10, v0 quad_perm:[1,0,3,2] row_mask:0xf bank_mask:0xf
	s_and_saveexec_b64 s[0:1], vcc
	s_cbranch_execz .LBB657_12
; %bb.27:
	v_cvt_f32_u32_e32 v11, s16
	v_add_f32_e32 v0, v0, v10
	s_mov_b32 s11, 0x20000
	v_div_scale_f32 v10, s[0:1], v11, v11, v0
	v_rcp_f32_e32 v12, v10
	v_div_scale_f32 v13, vcc, v0, v11, v0
	s_mov_b32 s0, 0x800000
	v_fma_f32 v14, -v10, v12, 1.0
	v_fmac_f32_e32 v12, v14, v12
	v_mul_f32_e32 v14, v13, v12
	v_fma_f32 v15, -v10, v14, v13
	v_fmac_f32_e32 v14, v15, v12
	v_fma_f32 v10, -v10, v14, v13
	v_div_fmas_f32 v10, v10, v12, v14
	v_div_fixup_f32 v0, v10, v11, v0
	v_add_f32_e32 v0, s13, v0
	v_mul_f32_e32 v10, 0x4b800000, v0
	v_cmp_gt_f32_e32 vcc, s0, v0
	v_cndmask_b32_e32 v0, v0, v10, vcc
	v_rsq_f32_e32 v0, v0
	s_mul_hi_i32 s1, s27, s6
	s_mul_i32 s0, s27, s6
	s_lshl_b64 s[0:1], s[0:1], 1
	v_mul_f32_e32 v10, 0x45800000, v0
	v_cndmask_b32_e32 v10, v0, v10, vcc
	v_mov_b32_e32 v11, v10
	;;#ASMSTART
	v_pk_mul_f32 v[12:13], v[18:19], v[10:11]
	;;#ASMEND
	;;#ASMSTART
	v_pk_mul_f32 v[14:15], v[32:33], v[10:11]
	;;#ASMEND
	;; [unrolled: 3-line block ×4, first 2 shown]
	s_waitcnt vmcnt(1)
	v_cvt_f32_f16_sdwa v29, v6 dst_sel:DWORD dst_unused:UNUSED_PAD src0_sel:WORD_1
	v_cvt_f32_f16_e32 v28, v6
	v_cvt_f32_f16_sdwa v31, v7 dst_sel:DWORD dst_unused:UNUSED_PAD src0_sel:WORD_1
	v_cvt_f32_f16_e32 v30, v7
	;;#ASMSTART
	v_pk_mul_f32 v[26:27], v[26:27], v[10:11]
	;;#ASMEND
	;;#ASMSTART
	v_pk_mul_f32 v[24:25], v[24:25], v[10:11]
	;;#ASMEND
	;; [unrolled: 3-line block ×4, first 2 shown]
	v_cvt_f32_f16_sdwa v21, v8 dst_sel:DWORD dst_unused:UNUSED_PAD src0_sel:WORD_1
	v_cvt_f32_f16_e32 v20, v8
	v_pk_add_f32 v[10:11], v[28:29], 1.0 op_sel_hi:[1,0]
	;;#ASMSTART
	v_pk_mul_f32 v[10:11], v[12:13], v[10:11]
	;;#ASMEND
	v_pk_add_f32 v[12:13], v[30:31], 1.0 op_sel_hi:[1,0]
	v_cvt_f32_f16_sdwa v29, v9 dst_sel:DWORD dst_unused:UNUSED_PAD src0_sel:WORD_1
	v_cvt_f32_f16_e32 v28, v9
	;;#ASMSTART
	v_pk_mul_f32 v[8:9], v[14:15], v[12:13]
	;;#ASMEND
	v_pk_add_f32 v[12:13], v[20:21], 1.0 op_sel_hi:[1,0]
	;;#ASMSTART
	v_pk_mul_f32 v[12:13], v[16:17], v[12:13]
	;;#ASMEND
	s_waitcnt vmcnt(0)
	v_cvt_f32_f16_sdwa v17, v2 dst_sel:DWORD dst_unused:UNUSED_PAD src0_sel:WORD_1
	v_cvt_f32_f16_e32 v16, v2
	v_cvt_f32_f16_sdwa v21, v3 dst_sel:DWORD dst_unused:UNUSED_PAD src0_sel:WORD_1
	v_cvt_f32_f16_e32 v20, v3
	v_pk_add_f32 v[14:15], v[28:29], 1.0 op_sel_hi:[1,0]
	;;#ASMSTART
	v_pk_mul_f32 v[2:3], v[18:19], v[14:15]
	;;#ASMEND
	v_cvt_f32_f16_sdwa v19, v4 dst_sel:DWORD dst_unused:UNUSED_PAD src0_sel:WORD_1
	v_cvt_f32_f16_e32 v18, v4
	v_pk_add_f32 v[14:15], v[16:17], 1.0 op_sel_hi:[1,0]
	v_pk_add_f32 v[16:17], v[20:21], 1.0 op_sel_hi:[1,0]
	v_cvt_f32_f16_sdwa v21, v5 dst_sel:DWORD dst_unused:UNUSED_PAD src0_sel:WORD_1
	v_cvt_f32_f16_e32 v20, v5
	v_pk_add_f32 v[4:5], v[18:19], 1.0 op_sel_hi:[1,0]
	;;#ASMSTART
	v_pk_mul_f32 v[14:15], v[26:27], v[14:15]
	;;#ASMEND
	;;#ASMSTART
	v_pk_mul_f32 v[16:17], v[24:25], v[16:17]
	;;#ASMEND
	;; [unrolled: 3-line block ×3, first 2 shown]
	v_pk_add_f32 v[4:5], v[20:21], 1.0 op_sel_hi:[1,0]
	;;#ASMSTART
	v_pk_mul_f32 v[6:7], v[6:7], v[4:5]
	;;#ASMEND
	v_cvt_f16_f32_e32 v0, v10
	v_cvt_f16_f32_e32 v4, v11
	;; [unrolled: 1-line block ×8, first 2 shown]
	s_add_u32 s8, s14, s0
	s_addc_u32 s0, s15, s1
	s_and_b32 s9, s0, 0xffff
	v_pack_b32_f16 v2, v0, v4
	v_pack_b32_f16 v3, v5, v8
	;; [unrolled: 1-line block ×4, first 2 shown]
	buffer_store_dwordx4 v[2:5], v1, s[8:11], 0 offen
	v_cvt_f16_f32_e32 v0, v14
	v_cvt_f16_f32_e32 v2, v15
	;; [unrolled: 1-line block ×8, first 2 shown]
	v_pack_b32_f16 v2, v0, v2
	v_pack_b32_f16 v3, v3, v4
	;; [unrolled: 1-line block ×4, first 2 shown]
	;;#ASMSTART
	s_nop 0
	;;#ASMEND
	buffer_store_dwordx4 v[2:5], v1, s[8:11], 16 offen
	;;#ASMSTART
	s_nop 0
	;;#ASMEND
	s_endpgm
	.section	.rodata,"a",@progbits
	.p2align	6, 0x0
	.amdhsa_kernel _ZN5aiter35fused_qk_rmsnorm_group_quant_kernelIDF16_DB8_Li128ELi16ELi4ELb0ELb1ELb1ELb1ELb0ELb0EEEvPT0_PvPT_S6_S6_PKS5_S8_S8_S8_S8_ffiiiiiiiiiiiii
		.amdhsa_group_segment_fixed_size 16
		.amdhsa_private_segment_fixed_size 0
		.amdhsa_kernarg_size 400
		.amdhsa_user_sgpr_count 6
		.amdhsa_user_sgpr_private_segment_buffer 1
		.amdhsa_user_sgpr_dispatch_ptr 0
		.amdhsa_user_sgpr_queue_ptr 0
		.amdhsa_user_sgpr_kernarg_segment_ptr 1
		.amdhsa_user_sgpr_dispatch_id 0
		.amdhsa_user_sgpr_flat_scratch_init 0
		.amdhsa_user_sgpr_kernarg_preload_length 0
		.amdhsa_user_sgpr_kernarg_preload_offset 0
		.amdhsa_user_sgpr_private_segment_size 0
		.amdhsa_uses_dynamic_stack 0
		.amdhsa_system_sgpr_private_segment_wavefront_offset 0
		.amdhsa_system_sgpr_workgroup_id_x 1
		.amdhsa_system_sgpr_workgroup_id_y 1
		.amdhsa_system_sgpr_workgroup_id_z 0
		.amdhsa_system_sgpr_workgroup_info 0
		.amdhsa_system_vgpr_workitem_id 0
		.amdhsa_next_free_vgpr 35
		.amdhsa_next_free_sgpr 32
		.amdhsa_accum_offset 36
		.amdhsa_reserve_vcc 1
		.amdhsa_reserve_flat_scratch 0
		.amdhsa_float_round_mode_32 0
		.amdhsa_float_round_mode_16_64 0
		.amdhsa_float_denorm_mode_32 3
		.amdhsa_float_denorm_mode_16_64 3
		.amdhsa_dx10_clamp 1
		.amdhsa_ieee_mode 1
		.amdhsa_fp16_overflow 0
		.amdhsa_tg_split 0
		.amdhsa_exception_fp_ieee_invalid_op 0
		.amdhsa_exception_fp_denorm_src 0
		.amdhsa_exception_fp_ieee_div_zero 0
		.amdhsa_exception_fp_ieee_overflow 0
		.amdhsa_exception_fp_ieee_underflow 0
		.amdhsa_exception_fp_ieee_inexact 0
		.amdhsa_exception_int_div_zero 0
	.end_amdhsa_kernel
	.section	.text._ZN5aiter35fused_qk_rmsnorm_group_quant_kernelIDF16_DB8_Li128ELi16ELi4ELb0ELb1ELb1ELb1ELb0ELb0EEEvPT0_PvPT_S6_S6_PKS5_S8_S8_S8_S8_ffiiiiiiiiiiiii,"axG",@progbits,_ZN5aiter35fused_qk_rmsnorm_group_quant_kernelIDF16_DB8_Li128ELi16ELi4ELb0ELb1ELb1ELb1ELb0ELb0EEEvPT0_PvPT_S6_S6_PKS5_S8_S8_S8_S8_ffiiiiiiiiiiiii,comdat
.Lfunc_end657:
	.size	_ZN5aiter35fused_qk_rmsnorm_group_quant_kernelIDF16_DB8_Li128ELi16ELi4ELb0ELb1ELb1ELb1ELb0ELb0EEEvPT0_PvPT_S6_S6_PKS5_S8_S8_S8_S8_ffiiiiiiiiiiiii, .Lfunc_end657-_ZN5aiter35fused_qk_rmsnorm_group_quant_kernelIDF16_DB8_Li128ELi16ELi4ELb0ELb1ELb1ELb1ELb0ELb0EEEvPT0_PvPT_S6_S6_PKS5_S8_S8_S8_S8_ffiiiiiiiiiiiii
                                        ; -- End function
	.section	.AMDGPU.csdata,"",@progbits
; Kernel info:
; codeLenInByte = 2936
; NumSgprs: 36
; NumVgprs: 35
; NumAgprs: 0
; TotalNumVgprs: 35
; ScratchSize: 0
; MemoryBound: 0
; FloatMode: 240
; IeeeMode: 1
; LDSByteSize: 16 bytes/workgroup (compile time only)
; SGPRBlocks: 4
; VGPRBlocks: 4
; NumSGPRsForWavesPerEU: 36
; NumVGPRsForWavesPerEU: 35
; AccumOffset: 36
; Occupancy: 8
; WaveLimiterHint : 0
; COMPUTE_PGM_RSRC2:SCRATCH_EN: 0
; COMPUTE_PGM_RSRC2:USER_SGPR: 6
; COMPUTE_PGM_RSRC2:TRAP_HANDLER: 0
; COMPUTE_PGM_RSRC2:TGID_X_EN: 1
; COMPUTE_PGM_RSRC2:TGID_Y_EN: 1
; COMPUTE_PGM_RSRC2:TGID_Z_EN: 0
; COMPUTE_PGM_RSRC2:TIDIG_COMP_CNT: 0
; COMPUTE_PGM_RSRC3_GFX90A:ACCUM_OFFSET: 8
; COMPUTE_PGM_RSRC3_GFX90A:TG_SPLIT: 0
	.section	.text._ZN5aiter35fused_qk_rmsnorm_group_quant_kernelItDB8_Li128ELi16ELi4ELb0ELb1ELb1ELb1ELb0ELb0EEEvPT0_PvPT_S6_S6_PKS5_S8_S8_S8_S8_ffiiiiiiiiiiiii,"axG",@progbits,_ZN5aiter35fused_qk_rmsnorm_group_quant_kernelItDB8_Li128ELi16ELi4ELb0ELb1ELb1ELb1ELb0ELb0EEEvPT0_PvPT_S6_S6_PKS5_S8_S8_S8_S8_ffiiiiiiiiiiiii,comdat
	.protected	_ZN5aiter35fused_qk_rmsnorm_group_quant_kernelItDB8_Li128ELi16ELi4ELb0ELb1ELb1ELb1ELb0ELb0EEEvPT0_PvPT_S6_S6_PKS5_S8_S8_S8_S8_ffiiiiiiiiiiiii ; -- Begin function _ZN5aiter35fused_qk_rmsnorm_group_quant_kernelItDB8_Li128ELi16ELi4ELb0ELb1ELb1ELb1ELb0ELb0EEEvPT0_PvPT_S6_S6_PKS5_S8_S8_S8_S8_ffiiiiiiiiiiiii
	.globl	_ZN5aiter35fused_qk_rmsnorm_group_quant_kernelItDB8_Li128ELi16ELi4ELb0ELb1ELb1ELb1ELb0ELb0EEEvPT0_PvPT_S6_S6_PKS5_S8_S8_S8_S8_ffiiiiiiiiiiiii
	.p2align	8
	.type	_ZN5aiter35fused_qk_rmsnorm_group_quant_kernelItDB8_Li128ELi16ELi4ELb0ELb1ELb1ELb1ELb0ELb0EEEvPT0_PvPT_S6_S6_PKS5_S8_S8_S8_S8_ffiiiiiiiiiiiii,@function
_ZN5aiter35fused_qk_rmsnorm_group_quant_kernelItDB8_Li128ELi16ELi4ELb0ELb1ELb1ELb1ELb0ELb0EEEvPT0_PvPT_S6_S6_PKS5_S8_S8_S8_S8_ffiiiiiiiiiiiii: ; @_ZN5aiter35fused_qk_rmsnorm_group_quant_kernelItDB8_Li128ELi16ELi4ELb0ELb1ELb1ELb1ELb0ELb0EEEvPT0_PvPT_S6_S6_PKS5_S8_S8_S8_S8_ffiiiiiiiiiiiii
; %bb.0:
	s_load_dwordx4 s[12:15], s[4:5], 0x50
	s_waitcnt lgkmcnt(0)
	s_cmp_ge_i32 s6, s14
	s_cbranch_scc1 .LBB658_12
; %bb.1:
	s_load_dwordx2 s[24:25], s[4:5], 0x30
	s_load_dwordx2 s[8:9], s[4:5], 0x48
	s_load_dwordx4 s[16:19], s[4:5], 0x60
	s_cmp_lg_u32 s7, 0
	s_cselect_b64 s[10:11], -1, 0
	s_cmp_eq_u32 s7, 0
	s_cselect_b64 vcc, -1, 0
	s_and_b64 s[0:1], vcc, exec
	s_waitcnt lgkmcnt(0)
	s_cselect_b32 s7, s15, s16
	s_add_i32 s0, s7, 1
	s_lshr_b32 s1, s0, 31
	s_add_i32 s0, s0, s1
	s_lshl_b32 s0, s0, 1
	v_lshlrev_b32_e32 v1, 4, v0
	s_and_b32 s22, s0, -4
	v_cmp_gt_i32_e64 s[2:3], s7, v1
	v_mov_b32_e32 v18, 0
	v_mov_b32_e32 v6, 0
	;; [unrolled: 1-line block ×17, first 2 shown]
	s_and_saveexec_b64 s[0:1], s[2:3]
	s_cbranch_execz .LBB658_3
; %bb.2:
	s_load_dwordx2 s[14:15], s[4:5], 0x28
	s_load_dwordx2 s[20:21], s[4:5], 0x40
	s_and_b64 s[26:27], vcc, exec
	s_cselect_b32 s17, s17, s18
	s_mov_b32 s30, s22
	s_waitcnt lgkmcnt(0)
	s_cselect_b32 s19, s15, s25
	s_cselect_b32 s23, s14, s24
	s_mul_hi_i32 s15, s17, s6
	s_mul_i32 s14, s17, s6
	s_lshl_b64 s[14:15], s[14:15], 1
	s_add_u32 s28, s23, s14
	s_addc_u32 s17, s19, s15
	s_and_b64 s[14:15], vcc, exec
	s_mov_b32 s23, 0x20000
	s_cselect_b32 s20, s20, s8
	s_cselect_b32 s14, s21, s9
	s_and_b32 s29, s17, 0xffff
	s_mov_b32 s31, s23
	v_lshlrev_b32_e32 v19, 5, v0
	s_and_b32 s21, s14, 0xffff
	buffer_load_dwordx4 v[14:17], v19, s[28:31], 0 offen
	buffer_load_dwordx4 v[10:13], v19, s[28:31], 16 offen
	;; [unrolled: 1-line block ×4, first 2 shown]
.LBB658_3:
	s_or_b64 exec, exec, s[0:1]
	v_mov_b32_e32 v19, 0
	v_mov_b32_e32 v20, 0
	;; [unrolled: 1-line block ×15, first 2 shown]
	s_and_saveexec_b64 s[0:1], s[2:3]
	s_cbranch_execz .LBB658_5
; %bb.4:
	s_waitcnt vmcnt(3)
	v_cvt_f32_u32_sdwa v18, v14 dst_sel:DWORD dst_unused:UNUSED_PAD src0_sel:WORD_0
	v_cvt_f32_u32_sdwa v19, v14 dst_sel:DWORD dst_unused:UNUSED_PAD src0_sel:WORD_1
	v_cvt_f32_u32_sdwa v20, v15 dst_sel:DWORD dst_unused:UNUSED_PAD src0_sel:WORD_0
	v_cvt_f32_u32_sdwa v21, v15 dst_sel:DWORD dst_unused:UNUSED_PAD src0_sel:WORD_1
	;; [unrolled: 2-line block ×4, first 2 shown]
	s_waitcnt vmcnt(2)
	v_cvt_f32_u32_sdwa v24, v10 dst_sel:DWORD dst_unused:UNUSED_PAD src0_sel:WORD_0
	v_cvt_f32_u32_sdwa v25, v10 dst_sel:DWORD dst_unused:UNUSED_PAD src0_sel:WORD_1
	v_cvt_f32_u32_sdwa v30, v11 dst_sel:DWORD dst_unused:UNUSED_PAD src0_sel:WORD_0
	v_cvt_f32_u32_sdwa v31, v11 dst_sel:DWORD dst_unused:UNUSED_PAD src0_sel:WORD_1
	v_cvt_f32_u32_sdwa v32, v12 dst_sel:DWORD dst_unused:UNUSED_PAD src0_sel:WORD_0
	v_cvt_f32_u32_sdwa v33, v12 dst_sel:DWORD dst_unused:UNUSED_PAD src0_sel:WORD_1
	v_cvt_f32_u32_sdwa v28, v13 dst_sel:DWORD dst_unused:UNUSED_PAD src0_sel:WORD_0
	v_cvt_f32_u32_sdwa v29, v13 dst_sel:DWORD dst_unused:UNUSED_PAD src0_sel:WORD_1
.LBB658_5:
	s_or_b64 exec, exec, s[0:1]
	s_waitcnt vmcnt(2)
	v_mul_f32_e32 v10, v19, v19
	v_fmac_f32_e32 v10, v18, v18
	v_fmac_f32_e32 v10, v20, v20
	;; [unrolled: 1-line block ×15, first 2 shown]
	v_and_b32_e32 v12, 63, v0
	v_cmp_eq_u32_e64 s[0:1], 63, v12
	v_mov_b32_dpp v11, v10 quad_perm:[1,0,3,2] row_mask:0xf bank_mask:0xf
	v_add_f32_e32 v10, v10, v11
	s_nop 1
	v_mov_b32_dpp v11, v10 quad_perm:[2,3,0,1] row_mask:0xf bank_mask:0xf
	v_add_f32_e32 v10, v10, v11
	s_nop 1
	v_mov_b32_dpp v11, v10 row_half_mirror row_mask:0xf bank_mask:0xf
	v_add_f32_e32 v10, v10, v11
	s_nop 1
	v_mov_b32_dpp v11, v10 row_mirror row_mask:0xf bank_mask:0xf
	v_add_f32_e32 v10, v10, v11
	s_nop 1
	v_mov_b32_dpp v11, v10 row_bcast:15 row_mask:0xf bank_mask:0xf
	v_add_f32_e32 v10, v10, v11
	s_nop 1
	v_mov_b32_dpp v11, v10 row_bcast:31 row_mask:0xf bank_mask:0xf
	s_and_saveexec_b64 s[14:15], s[0:1]
	s_cbranch_execz .LBB658_7
; %bb.6:
	v_add_f32_e32 v10, v10, v11
	v_lshrrev_b32_e32 v11, 4, v0
	v_and_b32_e32 v11, 60, v11
	ds_write_b32 v11, v10 offset:8
.LBB658_7:
	s_or_b64 exec, exec, s[14:15]
	v_and_b32_e32 v10, 1, v0
	v_lshlrev_b32_e32 v34, 2, v10
	s_waitcnt lgkmcnt(0)
	s_barrier
	ds_read_b32 v10, v34 offset:8
	s_load_dwordx2 s[14:15], s[4:5], 0x18
	s_waitcnt lgkmcnt(0)
	v_mov_b32_dpp v11, v10 quad_perm:[1,0,3,2] row_mask:0xf bank_mask:0xf
	s_and_saveexec_b64 s[20:21], s[2:3]
	s_cbranch_execz .LBB658_9
; %bb.8:
	v_cvt_f32_u32_e32 v12, s7
	v_add_f32_e32 v10, v10, v11
	v_mov_b32_e32 v14, s13
	v_mov_b32_e32 v15, s12
	v_div_scale_f32 v11, s[26:27], v12, v12, v10
	v_rcp_f32_e32 v13, v11
	v_cndmask_b32_e32 v14, v14, v15, vcc
	s_mov_b32 s7, 0x800000
	v_fma_f32 v15, -v11, v13, 1.0
	v_fmac_f32_e32 v13, v15, v13
	v_div_scale_f32 v15, vcc, v10, v12, v10
	v_mul_f32_e32 v16, v15, v13
	v_fma_f32 v17, -v11, v16, v15
	v_fmac_f32_e32 v16, v17, v13
	v_fma_f32 v11, -v11, v16, v15
	v_div_fmas_f32 v11, v11, v13, v16
	v_div_fixup_f32 v10, v11, v12, v10
	v_add_f32_e32 v10, v14, v10
	v_mul_f32_e32 v11, 0x4b800000, v10
	v_cmp_gt_f32_e32 vcc, s7, v10
	v_cndmask_b32_e32 v10, v10, v11, vcc
	v_rsq_f32_e32 v10, v10
	v_mul_f32_e32 v11, 0x45800000, v10
	v_cndmask_b32_e32 v10, v10, v11, vcc
	v_mov_b32_e32 v11, v10
	;;#ASMSTART
	v_pk_mul_f32 v[12:13], v[18:19], v[10:11]
	;;#ASMEND
	s_waitcnt vmcnt(1)
	v_cvt_f32_u32_sdwa v19, v6 dst_sel:DWORD dst_unused:UNUSED_PAD src0_sel:WORD_1
	v_cvt_f32_u32_sdwa v18, v6 dst_sel:DWORD dst_unused:UNUSED_PAD src0_sel:WORD_0
	;;#ASMSTART
	v_pk_mul_f32 v[14:15], v[20:21], v[10:11]
	;;#ASMEND
	v_cvt_f32_u32_sdwa v21, v7 dst_sel:DWORD dst_unused:UNUSED_PAD src0_sel:WORD_1
	v_cvt_f32_u32_sdwa v20, v7 dst_sel:DWORD dst_unused:UNUSED_PAD src0_sel:WORD_0
	;;#ASMSTART
	v_pk_mul_f32 v[16:17], v[22:23], v[10:11]
	;;#ASMEND
	;;#ASMSTART
	v_pk_mul_f32 v[26:27], v[26:27], v[10:11]
	;;#ASMEND
	;; [unrolled: 3-line block ×6, first 2 shown]
	v_pk_add_f32 v[10:11], v[18:19], 1.0 op_sel_hi:[1,0]
	;;#ASMSTART
	v_pk_mul_f32 v[18:19], v[12:13], v[10:11]
	;;#ASMEND
	v_cvt_f32_u32_sdwa v13, v8 dst_sel:DWORD dst_unused:UNUSED_PAD src0_sel:WORD_1
	v_cvt_f32_u32_sdwa v12, v8 dst_sel:DWORD dst_unused:UNUSED_PAD src0_sel:WORD_0
	v_cvt_f32_u32_sdwa v29, v9 dst_sel:DWORD dst_unused:UNUSED_PAD src0_sel:WORD_1
	v_cvt_f32_u32_sdwa v28, v9 dst_sel:DWORD dst_unused:UNUSED_PAD src0_sel:WORD_0
	v_pk_add_f32 v[10:11], v[20:21], 1.0 op_sel_hi:[1,0]
	;;#ASMSTART
	v_pk_mul_f32 v[20:21], v[14:15], v[10:11]
	;;#ASMEND
	s_waitcnt vmcnt(0)
	v_cvt_f32_u32_sdwa v11, v2 dst_sel:DWORD dst_unused:UNUSED_PAD src0_sel:WORD_1
	v_cvt_f32_u32_sdwa v10, v2 dst_sel:DWORD dst_unused:UNUSED_PAD src0_sel:WORD_0
	v_pk_add_f32 v[8:9], v[12:13], 1.0 op_sel_hi:[1,0]
	;;#ASMSTART
	v_pk_mul_f32 v[22:23], v[16:17], v[8:9]
	;;#ASMEND
	v_pk_add_f32 v[8:9], v[28:29], 1.0 op_sel_hi:[1,0]
	v_cvt_f32_u32_sdwa v13, v3 dst_sel:DWORD dst_unused:UNUSED_PAD src0_sel:WORD_1
	v_cvt_f32_u32_sdwa v12, v3 dst_sel:DWORD dst_unused:UNUSED_PAD src0_sel:WORD_0
	;;#ASMSTART
	v_pk_mul_f32 v[26:27], v[26:27], v[8:9]
	;;#ASMEND
	v_cvt_f32_u32_sdwa v9, v4 dst_sel:DWORD dst_unused:UNUSED_PAD src0_sel:WORD_1
	v_cvt_f32_u32_sdwa v8, v4 dst_sel:DWORD dst_unused:UNUSED_PAD src0_sel:WORD_0
	v_pk_add_f32 v[2:3], v[10:11], 1.0 op_sel_hi:[1,0]
	v_cvt_f32_u32_sdwa v11, v5 dst_sel:DWORD dst_unused:UNUSED_PAD src0_sel:WORD_1
	v_cvt_f32_u32_sdwa v10, v5 dst_sel:DWORD dst_unused:UNUSED_PAD src0_sel:WORD_0
	;;#ASMSTART
	v_pk_mul_f32 v[24:25], v[24:25], v[2:3]
	;;#ASMEND
	v_pk_add_f32 v[2:3], v[12:13], 1.0 op_sel_hi:[1,0]
	;;#ASMSTART
	v_pk_mul_f32 v[30:31], v[30:31], v[2:3]
	;;#ASMEND
	v_pk_add_f32 v[2:3], v[8:9], 1.0 op_sel_hi:[1,0]
	;; [unrolled: 4-line block ×3, first 2 shown]
	;;#ASMSTART
	v_pk_mul_f32 v[28:29], v[6:7], v[2:3]
	;;#ASMEND
.LBB658_9:
	s_or_b64 exec, exec, s[20:21]
	s_load_dwordx2 s[26:27], s[4:5], 0x7c
	s_mov_b64 s[20:21], -1
	s_and_b64 vcc, exec, s[10:11]
	s_cbranch_vccnz .LBB658_13
; %bb.10:
	s_andn2_b64 vcc, exec, s[20:21]
	s_cbranch_vccz .LBB658_16
.LBB658_11:
	s_cmp_lt_i32 s16, 1
	s_cbranch_scc0 .LBB658_19
.LBB658_12:
	s_endpgm
.LBB658_13:
	s_and_saveexec_b64 s[10:11], s[2:3]
	s_cbranch_execz .LBB658_15
; %bb.14:
	s_waitcnt lgkmcnt(0)
	s_mul_hi_i32 s21, s27, s6
	s_mul_i32 s20, s27, s6
	s_lshl_b64 s[20:21], s[20:21], 1
	s_add_u32 s20, s14, s20
	s_addc_u32 s7, s15, s21
	s_and_b32 s21, s7, 0xffff
	s_mov_b32 s7, 0x7060302
	s_mov_b32 s23, 0x20000
	s_waitcnt vmcnt(0)
	v_perm_b32 v5, v27, v26, s7
	v_perm_b32 v4, v23, v22, s7
	;; [unrolled: 1-line block ×4, first 2 shown]
	v_lshlrev_b32_e32 v6, 5, v0
	buffer_store_dwordx4 v[2:5], v6, s[20:23], 0 offen
	;;#ASMSTART
	s_nop 0
	;;#ASMEND
	s_nop 0
	v_perm_b32 v5, v29, v28, s7
	v_perm_b32 v4, v33, v32, s7
	;; [unrolled: 1-line block ×4, first 2 shown]
	buffer_store_dwordx4 v[2:5], v6, s[20:23], 16 offen
	;;#ASMSTART
	s_nop 0
	;;#ASMEND
.LBB658_15:
	s_or_b64 exec, exec, s[10:11]
	s_cbranch_execnz .LBB658_11
.LBB658_16:
	s_and_saveexec_b64 s[10:11], s[2:3]
	s_cbranch_execz .LBB658_18
; %bb.17:
	s_load_dwordx2 s[2:3], s[4:5], 0x10
	s_waitcnt lgkmcnt(0)
	s_mul_hi_i32 s21, s26, s6
	s_mul_i32 s20, s26, s6
	s_lshl_b64 s[20:21], s[20:21], 1
	s_mov_b32 s23, 0x20000
	s_add_u32 s20, s2, s20
	s_addc_u32 s2, s3, s21
	s_and_b32 s21, s2, 0xffff
	s_mov_b32 s2, 0x7060302
	s_waitcnt vmcnt(0)
	v_perm_b32 v5, v27, v26, s2
	v_perm_b32 v4, v23, v22, s2
	;; [unrolled: 1-line block ×4, first 2 shown]
	v_lshlrev_b32_e32 v6, 5, v0
	buffer_store_dwordx4 v[2:5], v6, s[20:23], 0 offen
	;;#ASMSTART
	s_nop 0
	;;#ASMEND
	s_nop 0
	v_perm_b32 v5, v29, v28, s2
	v_perm_b32 v4, v33, v32, s2
	;; [unrolled: 1-line block ×4, first 2 shown]
	buffer_store_dwordx4 v[2:5], v6, s[20:23], 16 offen
	;;#ASMSTART
	s_nop 0
	;;#ASMEND
.LBB658_18:
	s_or_b64 exec, exec, s[10:11]
	s_cmp_lt_i32 s16, 1
	s_cbranch_scc1 .LBB658_12
.LBB658_19:
	s_load_dword s2, s[4:5], 0x94
	s_waitcnt lgkmcnt(0)
	s_cmp_lg_u32 s2, 1
	s_cbranch_scc1 .LBB658_12
; %bb.20:
	s_lshl_b32 s2, s16, 1
	s_add_i32 s2, s2, 2
	v_cmp_gt_u32_e32 vcc, s16, v1
	s_and_b32 s10, s2, -4
	v_mov_b32_e32 v18, 0
	v_lshlrev_b32_e32 v1, 5, v0
	v_mov_b32_e32 v14, 0
	v_mov_b32_e32 v15, 0
	;; [unrolled: 1-line block ×8, first 2 shown]
	s_waitcnt vmcnt(1)
	v_mov_b32_e32 v6, 0
	v_mov_b32_e32 v7, 0
	;; [unrolled: 1-line block ×4, first 2 shown]
	s_waitcnt vmcnt(0)
	v_mov_b32_e32 v2, 0
	v_mov_b32_e32 v3, 0
	;; [unrolled: 1-line block ×4, first 2 shown]
	s_barrier
	s_and_saveexec_b64 s[2:3], vcc
	s_cbranch_execz .LBB658_22
; %bb.21:
	s_mul_hi_i32 s5, s18, s6
	s_mul_i32 s4, s18, s6
	s_and_b32 s9, s9, 0xffff
	s_lshl_b64 s[4:5], s[4:5], 1
	s_add_u32 s20, s24, s4
	s_mov_b32 s11, 0x20000
	s_addc_u32 s4, s25, s5
	s_and_b32 s21, s4, 0xffff
	s_mov_b32 s22, s10
	s_mov_b32 s23, s11
	buffer_load_dwordx4 v[14:17], v1, s[20:23], 0 offen
	buffer_load_dwordx4 v[10:13], v1, s[20:23], 16 offen
	;; [unrolled: 1-line block ×4, first 2 shown]
.LBB658_22:
	s_or_b64 exec, exec, s[2:3]
	v_mov_b32_e32 v19, 0
	v_mov_b32_e32 v32, 0
	;; [unrolled: 1-line block ×15, first 2 shown]
	s_and_saveexec_b64 s[2:3], vcc
	s_cbranch_execz .LBB658_24
; %bb.23:
	s_waitcnt vmcnt(3)
	v_cvt_f32_u32_sdwa v18, v14 dst_sel:DWORD dst_unused:UNUSED_PAD src0_sel:WORD_0
	v_cvt_f32_u32_sdwa v19, v14 dst_sel:DWORD dst_unused:UNUSED_PAD src0_sel:WORD_1
	v_cvt_f32_u32_sdwa v32, v15 dst_sel:DWORD dst_unused:UNUSED_PAD src0_sel:WORD_0
	v_cvt_f32_u32_sdwa v33, v15 dst_sel:DWORD dst_unused:UNUSED_PAD src0_sel:WORD_1
	;; [unrolled: 2-line block ×4, first 2 shown]
	s_waitcnt vmcnt(2)
	v_cvt_f32_u32_sdwa v26, v10 dst_sel:DWORD dst_unused:UNUSED_PAD src0_sel:WORD_0
	v_cvt_f32_u32_sdwa v27, v10 dst_sel:DWORD dst_unused:UNUSED_PAD src0_sel:WORD_1
	v_cvt_f32_u32_sdwa v24, v11 dst_sel:DWORD dst_unused:UNUSED_PAD src0_sel:WORD_0
	v_cvt_f32_u32_sdwa v25, v11 dst_sel:DWORD dst_unused:UNUSED_PAD src0_sel:WORD_1
	;; [unrolled: 2-line block ×4, first 2 shown]
.LBB658_24:
	s_or_b64 exec, exec, s[2:3]
	s_waitcnt vmcnt(2)
	v_mul_f32_e32 v10, v19, v19
	v_fmac_f32_e32 v10, v18, v18
	v_fmac_f32_e32 v10, v32, v32
	;; [unrolled: 1-line block ×15, first 2 shown]
	s_nop 1
	v_mov_b32_dpp v11, v10 quad_perm:[1,0,3,2] row_mask:0xf bank_mask:0xf
	v_add_f32_e32 v10, v10, v11
	s_nop 1
	v_mov_b32_dpp v11, v10 quad_perm:[2,3,0,1] row_mask:0xf bank_mask:0xf
	v_add_f32_e32 v10, v10, v11
	s_nop 1
	v_mov_b32_dpp v11, v10 row_half_mirror row_mask:0xf bank_mask:0xf
	v_add_f32_e32 v10, v10, v11
	s_nop 1
	v_mov_b32_dpp v11, v10 row_mirror row_mask:0xf bank_mask:0xf
	v_add_f32_e32 v10, v10, v11
	s_nop 1
	v_mov_b32_dpp v11, v10 row_bcast:15 row_mask:0xf bank_mask:0xf
	v_add_f32_e32 v10, v10, v11
	s_nop 1
	v_mov_b32_dpp v11, v10 row_bcast:31 row_mask:0xf bank_mask:0xf
	s_and_saveexec_b64 s[2:3], s[0:1]
	s_cbranch_execz .LBB658_26
; %bb.25:
	v_lshrrev_b32_e32 v0, 4, v0
	v_add_f32_e32 v10, v10, v11
	v_and_b32_e32 v0, 60, v0
	ds_write_b32 v0, v10
.LBB658_26:
	s_or_b64 exec, exec, s[2:3]
	s_waitcnt lgkmcnt(0)
	s_barrier
	ds_read_b32 v0, v34
	s_waitcnt lgkmcnt(0)
	s_nop 0
	v_mov_b32_dpp v10, v0 quad_perm:[1,0,3,2] row_mask:0xf bank_mask:0xf
	s_and_saveexec_b64 s[0:1], vcc
	s_cbranch_execz .LBB658_12
; %bb.27:
	v_cvt_f32_u32_e32 v11, s16
	v_add_f32_e32 v0, v0, v10
	s_mov_b32 s11, 0x20000
	v_div_scale_f32 v10, s[0:1], v11, v11, v0
	v_rcp_f32_e32 v12, v10
	v_div_scale_f32 v13, vcc, v0, v11, v0
	s_mov_b32 s0, 0x800000
	v_fma_f32 v14, -v10, v12, 1.0
	v_fmac_f32_e32 v12, v14, v12
	v_mul_f32_e32 v14, v13, v12
	v_fma_f32 v15, -v10, v14, v13
	v_fmac_f32_e32 v14, v15, v12
	v_fma_f32 v10, -v10, v14, v13
	v_div_fmas_f32 v10, v10, v12, v14
	v_div_fixup_f32 v0, v10, v11, v0
	v_add_f32_e32 v0, s13, v0
	v_mul_f32_e32 v10, 0x4b800000, v0
	v_cmp_gt_f32_e32 vcc, s0, v0
	v_cndmask_b32_e32 v0, v0, v10, vcc
	v_rsq_f32_e32 v0, v0
	s_mul_hi_i32 s1, s27, s6
	s_mul_i32 s0, s27, s6
	s_lshl_b64 s[0:1], s[0:1], 1
	v_mul_f32_e32 v10, 0x45800000, v0
	v_cndmask_b32_e32 v10, v0, v10, vcc
	v_mov_b32_e32 v11, v10
	;;#ASMSTART
	v_pk_mul_f32 v[12:13], v[18:19], v[10:11]
	;;#ASMEND
	;;#ASMSTART
	v_pk_mul_f32 v[14:15], v[32:33], v[10:11]
	;;#ASMEND
	;; [unrolled: 3-line block ×4, first 2 shown]
	s_waitcnt vmcnt(1)
	v_cvt_f32_u32_sdwa v29, v6 dst_sel:DWORD dst_unused:UNUSED_PAD src0_sel:WORD_1
	v_cvt_f32_u32_sdwa v28, v6 dst_sel:DWORD dst_unused:UNUSED_PAD src0_sel:WORD_0
	v_cvt_f32_u32_sdwa v31, v7 dst_sel:DWORD dst_unused:UNUSED_PAD src0_sel:WORD_1
	v_cvt_f32_u32_sdwa v30, v7 dst_sel:DWORD dst_unused:UNUSED_PAD src0_sel:WORD_0
	;;#ASMSTART
	v_pk_mul_f32 v[26:27], v[26:27], v[10:11]
	;;#ASMEND
	;;#ASMSTART
	v_pk_mul_f32 v[24:25], v[24:25], v[10:11]
	;;#ASMEND
	;; [unrolled: 3-line block ×4, first 2 shown]
	v_cvt_f32_u32_sdwa v21, v8 dst_sel:DWORD dst_unused:UNUSED_PAD src0_sel:WORD_1
	v_cvt_f32_u32_sdwa v20, v8 dst_sel:DWORD dst_unused:UNUSED_PAD src0_sel:WORD_0
	v_pk_add_f32 v[10:11], v[28:29], 1.0 op_sel_hi:[1,0]
	;;#ASMSTART
	v_pk_mul_f32 v[10:11], v[12:13], v[10:11]
	;;#ASMEND
	v_pk_add_f32 v[12:13], v[30:31], 1.0 op_sel_hi:[1,0]
	v_cvt_f32_u32_sdwa v29, v9 dst_sel:DWORD dst_unused:UNUSED_PAD src0_sel:WORD_1
	v_cvt_f32_u32_sdwa v28, v9 dst_sel:DWORD dst_unused:UNUSED_PAD src0_sel:WORD_0
	;;#ASMSTART
	v_pk_mul_f32 v[8:9], v[14:15], v[12:13]
	;;#ASMEND
	v_pk_add_f32 v[12:13], v[20:21], 1.0 op_sel_hi:[1,0]
	;;#ASMSTART
	v_pk_mul_f32 v[12:13], v[16:17], v[12:13]
	;;#ASMEND
	s_waitcnt vmcnt(0)
	v_cvt_f32_u32_sdwa v17, v2 dst_sel:DWORD dst_unused:UNUSED_PAD src0_sel:WORD_1
	v_cvt_f32_u32_sdwa v16, v2 dst_sel:DWORD dst_unused:UNUSED_PAD src0_sel:WORD_0
	v_cvt_f32_u32_sdwa v21, v3 dst_sel:DWORD dst_unused:UNUSED_PAD src0_sel:WORD_1
	v_cvt_f32_u32_sdwa v20, v3 dst_sel:DWORD dst_unused:UNUSED_PAD src0_sel:WORD_0
	v_pk_add_f32 v[14:15], v[28:29], 1.0 op_sel_hi:[1,0]
	;;#ASMSTART
	v_pk_mul_f32 v[14:15], v[18:19], v[14:15]
	;;#ASMEND
	v_pk_add_f32 v[2:3], v[16:17], 1.0 op_sel_hi:[1,0]
	v_cvt_f32_u32_sdwa v19, v4 dst_sel:DWORD dst_unused:UNUSED_PAD src0_sel:WORD_1
	v_cvt_f32_u32_sdwa v18, v4 dst_sel:DWORD dst_unused:UNUSED_PAD src0_sel:WORD_0
	;;#ASMSTART
	v_pk_mul_f32 v[16:17], v[26:27], v[2:3]
	;;#ASMEND
	v_pk_add_f32 v[2:3], v[20:21], 1.0 op_sel_hi:[1,0]
	v_cvt_f32_u32_sdwa v21, v5 dst_sel:DWORD dst_unused:UNUSED_PAD src0_sel:WORD_1
	v_cvt_f32_u32_sdwa v20, v5 dst_sel:DWORD dst_unused:UNUSED_PAD src0_sel:WORD_0
	s_add_u32 s8, s14, s0
	;;#ASMSTART
	v_pk_mul_f32 v[24:25], v[24:25], v[2:3]
	;;#ASMEND
	v_pk_add_f32 v[2:3], v[18:19], 1.0 op_sel_hi:[1,0]
	s_addc_u32 s0, s15, s1
	;;#ASMSTART
	v_pk_mul_f32 v[18:19], v[22:23], v[2:3]
	;;#ASMEND
	v_pk_add_f32 v[2:3], v[20:21], 1.0 op_sel_hi:[1,0]
	s_and_b32 s9, s0, 0xffff
	s_mov_b32 s0, 0x7060302
	;;#ASMSTART
	v_pk_mul_f32 v[6:7], v[6:7], v[2:3]
	;;#ASMEND
	v_perm_b32 v2, v11, v10, s0
	v_perm_b32 v3, v9, v8, s0
	;; [unrolled: 1-line block ×4, first 2 shown]
	buffer_store_dwordx4 v[2:5], v1, s[8:11], 0 offen
	;;#ASMSTART
	s_nop 0
	;;#ASMEND
	s_nop 0
	v_perm_b32 v2, v17, v16, s0
	v_perm_b32 v3, v25, v24, s0
	;; [unrolled: 1-line block ×4, first 2 shown]
	buffer_store_dwordx4 v[2:5], v1, s[8:11], 16 offen
	;;#ASMSTART
	s_nop 0
	;;#ASMEND
	s_endpgm
	.section	.rodata,"a",@progbits
	.p2align	6, 0x0
	.amdhsa_kernel _ZN5aiter35fused_qk_rmsnorm_group_quant_kernelItDB8_Li128ELi16ELi4ELb0ELb1ELb1ELb1ELb0ELb0EEEvPT0_PvPT_S6_S6_PKS5_S8_S8_S8_S8_ffiiiiiiiiiiiii
		.amdhsa_group_segment_fixed_size 16
		.amdhsa_private_segment_fixed_size 0
		.amdhsa_kernarg_size 400
		.amdhsa_user_sgpr_count 6
		.amdhsa_user_sgpr_private_segment_buffer 1
		.amdhsa_user_sgpr_dispatch_ptr 0
		.amdhsa_user_sgpr_queue_ptr 0
		.amdhsa_user_sgpr_kernarg_segment_ptr 1
		.amdhsa_user_sgpr_dispatch_id 0
		.amdhsa_user_sgpr_flat_scratch_init 0
		.amdhsa_user_sgpr_kernarg_preload_length 0
		.amdhsa_user_sgpr_kernarg_preload_offset 0
		.amdhsa_user_sgpr_private_segment_size 0
		.amdhsa_uses_dynamic_stack 0
		.amdhsa_system_sgpr_private_segment_wavefront_offset 0
		.amdhsa_system_sgpr_workgroup_id_x 1
		.amdhsa_system_sgpr_workgroup_id_y 1
		.amdhsa_system_sgpr_workgroup_id_z 0
		.amdhsa_system_sgpr_workgroup_info 0
		.amdhsa_system_vgpr_workitem_id 0
		.amdhsa_next_free_vgpr 35
		.amdhsa_next_free_sgpr 32
		.amdhsa_accum_offset 36
		.amdhsa_reserve_vcc 1
		.amdhsa_reserve_flat_scratch 0
		.amdhsa_float_round_mode_32 0
		.amdhsa_float_round_mode_16_64 0
		.amdhsa_float_denorm_mode_32 3
		.amdhsa_float_denorm_mode_16_64 3
		.amdhsa_dx10_clamp 1
		.amdhsa_ieee_mode 1
		.amdhsa_fp16_overflow 0
		.amdhsa_tg_split 0
		.amdhsa_exception_fp_ieee_invalid_op 0
		.amdhsa_exception_fp_denorm_src 0
		.amdhsa_exception_fp_ieee_div_zero 0
		.amdhsa_exception_fp_ieee_overflow 0
		.amdhsa_exception_fp_ieee_underflow 0
		.amdhsa_exception_fp_ieee_inexact 0
		.amdhsa_exception_int_div_zero 0
	.end_amdhsa_kernel
	.section	.text._ZN5aiter35fused_qk_rmsnorm_group_quant_kernelItDB8_Li128ELi16ELi4ELb0ELb1ELb1ELb1ELb0ELb0EEEvPT0_PvPT_S6_S6_PKS5_S8_S8_S8_S8_ffiiiiiiiiiiiii,"axG",@progbits,_ZN5aiter35fused_qk_rmsnorm_group_quant_kernelItDB8_Li128ELi16ELi4ELb0ELb1ELb1ELb1ELb0ELb0EEEvPT0_PvPT_S6_S6_PKS5_S8_S8_S8_S8_ffiiiiiiiiiiiii,comdat
.Lfunc_end658:
	.size	_ZN5aiter35fused_qk_rmsnorm_group_quant_kernelItDB8_Li128ELi16ELi4ELb0ELb1ELb1ELb1ELb0ELb0EEEvPT0_PvPT_S6_S6_PKS5_S8_S8_S8_S8_ffiiiiiiiiiiiii, .Lfunc_end658-_ZN5aiter35fused_qk_rmsnorm_group_quant_kernelItDB8_Li128ELi16ELi4ELb0ELb1ELb1ELb1ELb0ELb0EEEvPT0_PvPT_S6_S6_PKS5_S8_S8_S8_S8_ffiiiiiiiiiiiii
                                        ; -- End function
	.section	.AMDGPU.csdata,"",@progbits
; Kernel info:
; codeLenInByte = 2908
; NumSgprs: 36
; NumVgprs: 35
; NumAgprs: 0
; TotalNumVgprs: 35
; ScratchSize: 0
; MemoryBound: 0
; FloatMode: 240
; IeeeMode: 1
; LDSByteSize: 16 bytes/workgroup (compile time only)
; SGPRBlocks: 4
; VGPRBlocks: 4
; NumSGPRsForWavesPerEU: 36
; NumVGPRsForWavesPerEU: 35
; AccumOffset: 36
; Occupancy: 8
; WaveLimiterHint : 0
; COMPUTE_PGM_RSRC2:SCRATCH_EN: 0
; COMPUTE_PGM_RSRC2:USER_SGPR: 6
; COMPUTE_PGM_RSRC2:TRAP_HANDLER: 0
; COMPUTE_PGM_RSRC2:TGID_X_EN: 1
; COMPUTE_PGM_RSRC2:TGID_Y_EN: 1
; COMPUTE_PGM_RSRC2:TGID_Z_EN: 0
; COMPUTE_PGM_RSRC2:TIDIG_COMP_CNT: 0
; COMPUTE_PGM_RSRC3_GFX90A:ACCUM_OFFSET: 8
; COMPUTE_PGM_RSRC3_GFX90A:TG_SPLIT: 0
	.section	.text._ZN5aiter35fused_qk_rmsnorm_group_quant_kernelIDF16_N4opus5fp4_tELi128ELi16ELi4ELb0ELb1ELb1ELb1ELb0ELb0EEEvPT0_PvPT_S7_S7_PKS6_S9_S9_S9_S9_ffiiiiiiiiiiiii,"axG",@progbits,_ZN5aiter35fused_qk_rmsnorm_group_quant_kernelIDF16_N4opus5fp4_tELi128ELi16ELi4ELb0ELb1ELb1ELb1ELb0ELb0EEEvPT0_PvPT_S7_S7_PKS6_S9_S9_S9_S9_ffiiiiiiiiiiiii,comdat
	.protected	_ZN5aiter35fused_qk_rmsnorm_group_quant_kernelIDF16_N4opus5fp4_tELi128ELi16ELi4ELb0ELb1ELb1ELb1ELb0ELb0EEEvPT0_PvPT_S7_S7_PKS6_S9_S9_S9_S9_ffiiiiiiiiiiiii ; -- Begin function _ZN5aiter35fused_qk_rmsnorm_group_quant_kernelIDF16_N4opus5fp4_tELi128ELi16ELi4ELb0ELb1ELb1ELb1ELb0ELb0EEEvPT0_PvPT_S7_S7_PKS6_S9_S9_S9_S9_ffiiiiiiiiiiiii
	.globl	_ZN5aiter35fused_qk_rmsnorm_group_quant_kernelIDF16_N4opus5fp4_tELi128ELi16ELi4ELb0ELb1ELb1ELb1ELb0ELb0EEEvPT0_PvPT_S7_S7_PKS6_S9_S9_S9_S9_ffiiiiiiiiiiiii
	.p2align	8
	.type	_ZN5aiter35fused_qk_rmsnorm_group_quant_kernelIDF16_N4opus5fp4_tELi128ELi16ELi4ELb0ELb1ELb1ELb1ELb0ELb0EEEvPT0_PvPT_S7_S7_PKS6_S9_S9_S9_S9_ffiiiiiiiiiiiii,@function
_ZN5aiter35fused_qk_rmsnorm_group_quant_kernelIDF16_N4opus5fp4_tELi128ELi16ELi4ELb0ELb1ELb1ELb1ELb0ELb0EEEvPT0_PvPT_S7_S7_PKS6_S9_S9_S9_S9_ffiiiiiiiiiiiii: ; @_ZN5aiter35fused_qk_rmsnorm_group_quant_kernelIDF16_N4opus5fp4_tELi128ELi16ELi4ELb0ELb1ELb1ELb1ELb0ELb0EEEvPT0_PvPT_S7_S7_PKS6_S9_S9_S9_S9_ffiiiiiiiiiiiii
; %bb.0:
	s_load_dwordx4 s[12:15], s[4:5], 0x50
	s_waitcnt lgkmcnt(0)
	s_cmp_ge_i32 s6, s14
	s_cbranch_scc1 .LBB659_12
; %bb.1:
	s_load_dwordx2 s[24:25], s[4:5], 0x30
	s_load_dwordx2 s[8:9], s[4:5], 0x48
	s_load_dwordx4 s[16:19], s[4:5], 0x60
	s_cmp_lg_u32 s7, 0
	s_cselect_b64 s[10:11], -1, 0
	s_cmp_eq_u32 s7, 0
	s_cselect_b64 vcc, -1, 0
	s_and_b64 s[0:1], vcc, exec
	s_waitcnt lgkmcnt(0)
	s_cselect_b32 s7, s15, s16
	s_add_i32 s0, s7, 1
	s_lshr_b32 s1, s0, 31
	s_add_i32 s0, s0, s1
	s_lshl_b32 s0, s0, 1
	v_lshlrev_b32_e32 v1, 4, v0
	s_and_b32 s22, s0, -4
	v_cmp_gt_i32_e64 s[2:3], s7, v1
	v_mov_b32_e32 v18, 0
	v_mov_b32_e32 v6, 0
	;; [unrolled: 1-line block ×17, first 2 shown]
	s_and_saveexec_b64 s[0:1], s[2:3]
	s_cbranch_execz .LBB659_3
; %bb.2:
	s_load_dwordx2 s[14:15], s[4:5], 0x28
	s_load_dwordx2 s[20:21], s[4:5], 0x40
	s_and_b64 s[26:27], vcc, exec
	s_cselect_b32 s17, s17, s18
	s_mov_b32 s30, s22
	s_waitcnt lgkmcnt(0)
	s_cselect_b32 s19, s15, s25
	s_cselect_b32 s23, s14, s24
	s_mul_hi_i32 s15, s17, s6
	s_mul_i32 s14, s17, s6
	s_lshl_b64 s[14:15], s[14:15], 1
	s_add_u32 s28, s23, s14
	s_addc_u32 s17, s19, s15
	s_and_b64 s[14:15], vcc, exec
	s_mov_b32 s23, 0x20000
	s_cselect_b32 s20, s20, s8
	s_cselect_b32 s14, s21, s9
	s_and_b32 s29, s17, 0xffff
	s_mov_b32 s31, s23
	v_lshlrev_b32_e32 v19, 5, v0
	s_and_b32 s21, s14, 0xffff
	buffer_load_dwordx4 v[14:17], v19, s[28:31], 0 offen
	buffer_load_dwordx4 v[10:13], v19, s[28:31], 16 offen
	;; [unrolled: 1-line block ×4, first 2 shown]
.LBB659_3:
	s_or_b64 exec, exec, s[0:1]
	v_mov_b32_e32 v19, 0
	v_mov_b32_e32 v22, 0
	;; [unrolled: 1-line block ×15, first 2 shown]
	s_and_saveexec_b64 s[0:1], s[2:3]
	s_cbranch_execz .LBB659_5
; %bb.4:
	s_waitcnt vmcnt(3)
	v_cvt_f32_f16_sdwa v19, v14 dst_sel:DWORD dst_unused:UNUSED_PAD src0_sel:WORD_1
	v_cvt_f32_f16_e32 v18, v14
	v_cvt_f32_f16_sdwa v23, v15 dst_sel:DWORD dst_unused:UNUSED_PAD src0_sel:WORD_1
	v_cvt_f32_f16_e32 v22, v15
	v_cvt_f32_f16_sdwa v25, v16 dst_sel:DWORD dst_unused:UNUSED_PAD src0_sel:WORD_1
	v_cvt_f32_f16_e32 v24, v16
	v_cvt_f32_f16_sdwa v33, v17 dst_sel:DWORD dst_unused:UNUSED_PAD src0_sel:WORD_1
	v_cvt_f32_f16_e32 v32, v17
	s_waitcnt vmcnt(2)
	v_cvt_f32_f16_sdwa v21, v10 dst_sel:DWORD dst_unused:UNUSED_PAD src0_sel:WORD_1
	v_cvt_f32_f16_e32 v20, v10
	v_cvt_f32_f16_sdwa v29, v11 dst_sel:DWORD dst_unused:UNUSED_PAD src0_sel:WORD_1
	v_cvt_f32_f16_e32 v28, v11
	v_cvt_f32_f16_sdwa v31, v12 dst_sel:DWORD dst_unused:UNUSED_PAD src0_sel:WORD_1
	v_cvt_f32_f16_e32 v30, v12
	v_cvt_f32_f16_sdwa v27, v13 dst_sel:DWORD dst_unused:UNUSED_PAD src0_sel:WORD_1
	v_cvt_f32_f16_e32 v26, v13
.LBB659_5:
	s_or_b64 exec, exec, s[0:1]
	s_waitcnt vmcnt(2)
	v_mul_f32_e32 v10, v19, v19
	v_fmac_f32_e32 v10, v18, v18
	v_fmac_f32_e32 v10, v22, v22
	;; [unrolled: 1-line block ×15, first 2 shown]
	v_and_b32_e32 v12, 63, v0
	v_cmp_eq_u32_e64 s[0:1], 63, v12
	v_mov_b32_dpp v11, v10 quad_perm:[1,0,3,2] row_mask:0xf bank_mask:0xf
	v_add_f32_e32 v10, v10, v11
	s_nop 1
	v_mov_b32_dpp v11, v10 quad_perm:[2,3,0,1] row_mask:0xf bank_mask:0xf
	v_add_f32_e32 v10, v10, v11
	s_nop 1
	v_mov_b32_dpp v11, v10 row_half_mirror row_mask:0xf bank_mask:0xf
	v_add_f32_e32 v10, v10, v11
	s_nop 1
	v_mov_b32_dpp v11, v10 row_mirror row_mask:0xf bank_mask:0xf
	v_add_f32_e32 v10, v10, v11
	s_nop 1
	v_mov_b32_dpp v11, v10 row_bcast:15 row_mask:0xf bank_mask:0xf
	v_add_f32_e32 v10, v10, v11
	s_nop 1
	v_mov_b32_dpp v11, v10 row_bcast:31 row_mask:0xf bank_mask:0xf
	s_and_saveexec_b64 s[14:15], s[0:1]
	s_cbranch_execz .LBB659_7
; %bb.6:
	v_add_f32_e32 v10, v10, v11
	v_lshrrev_b32_e32 v11, 4, v0
	v_and_b32_e32 v11, 60, v11
	ds_write_b32 v11, v10 offset:8
.LBB659_7:
	s_or_b64 exec, exec, s[14:15]
	v_and_b32_e32 v10, 1, v0
	v_lshlrev_b32_e32 v34, 2, v10
	s_waitcnt lgkmcnt(0)
	s_barrier
	ds_read_b32 v10, v34 offset:8
	s_load_dwordx2 s[14:15], s[4:5], 0x18
	s_waitcnt lgkmcnt(0)
	v_mov_b32_dpp v11, v10 quad_perm:[1,0,3,2] row_mask:0xf bank_mask:0xf
	s_and_saveexec_b64 s[20:21], s[2:3]
	s_cbranch_execz .LBB659_9
; %bb.8:
	v_cvt_f32_u32_e32 v12, s7
	v_add_f32_e32 v10, v10, v11
	v_mov_b32_e32 v14, s13
	v_mov_b32_e32 v15, s12
	v_div_scale_f32 v11, s[26:27], v12, v12, v10
	v_rcp_f32_e32 v13, v11
	v_cndmask_b32_e32 v14, v14, v15, vcc
	s_mov_b32 s7, 0x800000
	v_fma_f32 v15, -v11, v13, 1.0
	v_fmac_f32_e32 v13, v15, v13
	v_div_scale_f32 v15, vcc, v10, v12, v10
	v_mul_f32_e32 v16, v15, v13
	v_fma_f32 v17, -v11, v16, v15
	v_fmac_f32_e32 v16, v17, v13
	v_fma_f32 v11, -v11, v16, v15
	v_div_fmas_f32 v11, v11, v13, v16
	v_div_fixup_f32 v10, v11, v12, v10
	v_add_f32_e32 v10, v14, v10
	v_mul_f32_e32 v11, 0x4b800000, v10
	v_cmp_gt_f32_e32 vcc, s7, v10
	v_cndmask_b32_e32 v10, v10, v11, vcc
	v_rsq_f32_e32 v10, v10
	v_mul_f32_e32 v11, 0x45800000, v10
	v_cndmask_b32_e32 v10, v10, v11, vcc
	v_mov_b32_e32 v11, v10
	;;#ASMSTART
	v_pk_mul_f32 v[12:13], v[18:19], v[10:11]
	;;#ASMEND
	s_waitcnt vmcnt(1)
	v_cvt_f32_f16_sdwa v19, v6 dst_sel:DWORD dst_unused:UNUSED_PAD src0_sel:WORD_1
	v_cvt_f32_f16_e32 v18, v6
	;;#ASMSTART
	v_pk_mul_f32 v[14:15], v[22:23], v[10:11]
	;;#ASMEND
	v_cvt_f32_f16_sdwa v23, v7 dst_sel:DWORD dst_unused:UNUSED_PAD src0_sel:WORD_1
	v_cvt_f32_f16_e32 v22, v7
	;;#ASMSTART
	v_pk_mul_f32 v[16:17], v[24:25], v[10:11]
	;;#ASMEND
	;;#ASMSTART
	v_pk_mul_f32 v[32:33], v[32:33], v[10:11]
	;;#ASMEND
	;; [unrolled: 3-line block ×6, first 2 shown]
	v_pk_add_f32 v[10:11], v[18:19], 1.0 op_sel_hi:[1,0]
	;;#ASMSTART
	v_pk_mul_f32 v[18:19], v[12:13], v[10:11]
	;;#ASMEND
	v_cvt_f32_f16_sdwa v13, v8 dst_sel:DWORD dst_unused:UNUSED_PAD src0_sel:WORD_1
	v_cvt_f32_f16_e32 v12, v8
	v_cvt_f32_f16_sdwa v27, v9 dst_sel:DWORD dst_unused:UNUSED_PAD src0_sel:WORD_1
	v_cvt_f32_f16_e32 v26, v9
	v_pk_add_f32 v[10:11], v[22:23], 1.0 op_sel_hi:[1,0]
	;;#ASMSTART
	v_pk_mul_f32 v[22:23], v[14:15], v[10:11]
	;;#ASMEND
	s_waitcnt vmcnt(0)
	v_cvt_f32_f16_sdwa v11, v2 dst_sel:DWORD dst_unused:UNUSED_PAD src0_sel:WORD_1
	v_cvt_f32_f16_e32 v10, v2
	v_pk_add_f32 v[8:9], v[12:13], 1.0 op_sel_hi:[1,0]
	;;#ASMSTART
	v_pk_mul_f32 v[24:25], v[16:17], v[8:9]
	;;#ASMEND
	v_pk_add_f32 v[8:9], v[26:27], 1.0 op_sel_hi:[1,0]
	v_cvt_f32_f16_sdwa v13, v3 dst_sel:DWORD dst_unused:UNUSED_PAD src0_sel:WORD_1
	v_cvt_f32_f16_e32 v12, v3
	;;#ASMSTART
	v_pk_mul_f32 v[32:33], v[32:33], v[8:9]
	;;#ASMEND
	v_cvt_f32_f16_sdwa v9, v4 dst_sel:DWORD dst_unused:UNUSED_PAD src0_sel:WORD_1
	v_cvt_f32_f16_e32 v8, v4
	v_pk_add_f32 v[2:3], v[10:11], 1.0 op_sel_hi:[1,0]
	v_cvt_f32_f16_sdwa v11, v5 dst_sel:DWORD dst_unused:UNUSED_PAD src0_sel:WORD_1
	v_cvt_f32_f16_e32 v10, v5
	;;#ASMSTART
	v_pk_mul_f32 v[20:21], v[20:21], v[2:3]
	;;#ASMEND
	v_pk_add_f32 v[2:3], v[12:13], 1.0 op_sel_hi:[1,0]
	;;#ASMSTART
	v_pk_mul_f32 v[28:29], v[28:29], v[2:3]
	;;#ASMEND
	v_pk_add_f32 v[2:3], v[8:9], 1.0 op_sel_hi:[1,0]
	;; [unrolled: 4-line block ×3, first 2 shown]
	;;#ASMSTART
	v_pk_mul_f32 v[26:27], v[6:7], v[2:3]
	;;#ASMEND
.LBB659_9:
	s_or_b64 exec, exec, s[20:21]
	s_load_dwordx2 s[26:27], s[4:5], 0x7c
	s_mov_b64 s[20:21], -1
	s_and_b64 vcc, exec, s[10:11]
	s_cbranch_vccnz .LBB659_13
; %bb.10:
	s_andn2_b64 vcc, exec, s[20:21]
	s_cbranch_vccz .LBB659_16
.LBB659_11:
	s_cmp_lt_i32 s16, 1
	s_cbranch_scc0 .LBB659_19
.LBB659_12:
	s_endpgm
.LBB659_13:
	s_and_saveexec_b64 s[10:11], s[2:3]
	s_cbranch_execz .LBB659_15
; %bb.14:
	s_waitcnt lgkmcnt(0)
	s_mul_hi_i32 s21, s27, s6
	s_mul_i32 s20, s27, s6
	s_waitcnt vmcnt(0)
	v_cvt_f16_f32_e32 v2, v18
	v_cvt_f16_f32_e32 v3, v22
	;; [unrolled: 1-line block ×8, first 2 shown]
	s_lshl_b64 s[20:21], s[20:21], 1
	s_add_u32 s20, s14, s20
	s_addc_u32 s7, s15, s21
	s_and_b32 s21, s7, 0xffff
	s_mov_b32 s23, 0x20000
	v_pack_b32_f16 v5, v5, v6
	v_pack_b32_f16 v4, v4, v7
	;; [unrolled: 1-line block ×4, first 2 shown]
	v_lshlrev_b32_e32 v6, 5, v0
	buffer_store_dwordx4 v[2:5], v6, s[20:23], 0 offen
	v_cvt_f16_f32_e32 v7, v27
	v_cvt_f16_f32_e32 v2, v20
	;; [unrolled: 1-line block ×8, first 2 shown]
	v_pack_b32_f16 v5, v5, v7
	v_pack_b32_f16 v4, v4, v8
	;; [unrolled: 1-line block ×4, first 2 shown]
	;;#ASMSTART
	s_nop 0
	;;#ASMEND
	buffer_store_dwordx4 v[2:5], v6, s[20:23], 16 offen
	;;#ASMSTART
	s_nop 0
	;;#ASMEND
.LBB659_15:
	s_or_b64 exec, exec, s[10:11]
	s_cbranch_execnz .LBB659_11
.LBB659_16:
	s_and_saveexec_b64 s[10:11], s[2:3]
	s_cbranch_execz .LBB659_18
; %bb.17:
	s_load_dwordx2 s[2:3], s[4:5], 0x10
	s_waitcnt lgkmcnt(0)
	s_mul_hi_i32 s21, s26, s6
	s_mul_i32 s20, s26, s6
	s_waitcnt vmcnt(0)
	v_cvt_f16_f32_e32 v2, v18
	v_cvt_f16_f32_e32 v3, v22
	;; [unrolled: 1-line block ×8, first 2 shown]
	s_lshl_b64 s[20:21], s[20:21], 1
	s_add_u32 s20, s2, s20
	s_addc_u32 s2, s3, s21
	s_mov_b32 s23, 0x20000
	s_and_b32 s21, s2, 0xffff
	v_pack_b32_f16 v5, v5, v6
	v_pack_b32_f16 v4, v4, v7
	;; [unrolled: 1-line block ×4, first 2 shown]
	v_lshlrev_b32_e32 v6, 5, v0
	buffer_store_dwordx4 v[2:5], v6, s[20:23], 0 offen
	v_cvt_f16_f32_e32 v7, v27
	v_cvt_f16_f32_e32 v2, v20
	;; [unrolled: 1-line block ×8, first 2 shown]
	v_pack_b32_f16 v5, v5, v7
	v_pack_b32_f16 v4, v4, v8
	;; [unrolled: 1-line block ×4, first 2 shown]
	;;#ASMSTART
	s_nop 0
	;;#ASMEND
	buffer_store_dwordx4 v[2:5], v6, s[20:23], 16 offen
	;;#ASMSTART
	s_nop 0
	;;#ASMEND
.LBB659_18:
	s_or_b64 exec, exec, s[10:11]
	s_cmp_lt_i32 s16, 1
	s_cbranch_scc1 .LBB659_12
.LBB659_19:
	s_load_dword s2, s[4:5], 0x94
	s_waitcnt lgkmcnt(0)
	s_cmp_lg_u32 s2, 1
	s_cbranch_scc1 .LBB659_12
; %bb.20:
	s_lshl_b32 s2, s16, 1
	s_add_i32 s2, s2, 2
	v_cmp_gt_u32_e32 vcc, s16, v1
	s_and_b32 s10, s2, -4
	v_mov_b32_e32 v18, 0
	v_lshlrev_b32_e32 v1, 5, v0
	v_mov_b32_e32 v14, 0
	v_mov_b32_e32 v15, 0
	;; [unrolled: 1-line block ×8, first 2 shown]
	s_waitcnt vmcnt(1)
	v_mov_b32_e32 v6, 0
	v_mov_b32_e32 v7, 0
	;; [unrolled: 1-line block ×4, first 2 shown]
	s_waitcnt vmcnt(0)
	v_mov_b32_e32 v2, 0
	v_mov_b32_e32 v3, 0
	;; [unrolled: 1-line block ×4, first 2 shown]
	s_barrier
	s_and_saveexec_b64 s[2:3], vcc
	s_cbranch_execz .LBB659_22
; %bb.21:
	s_mul_hi_i32 s5, s18, s6
	s_mul_i32 s4, s18, s6
	s_and_b32 s9, s9, 0xffff
	s_lshl_b64 s[4:5], s[4:5], 1
	s_add_u32 s20, s24, s4
	s_mov_b32 s11, 0x20000
	s_addc_u32 s4, s25, s5
	s_and_b32 s21, s4, 0xffff
	s_mov_b32 s22, s10
	s_mov_b32 s23, s11
	buffer_load_dwordx4 v[14:17], v1, s[20:23], 0 offen
	buffer_load_dwordx4 v[10:13], v1, s[20:23], 16 offen
	;; [unrolled: 1-line block ×4, first 2 shown]
.LBB659_22:
	s_or_b64 exec, exec, s[2:3]
	v_mov_b32_e32 v19, 0
	v_mov_b32_e32 v32, 0
	;; [unrolled: 1-line block ×15, first 2 shown]
	s_and_saveexec_b64 s[2:3], vcc
	s_cbranch_execz .LBB659_24
; %bb.23:
	s_waitcnt vmcnt(3)
	v_cvt_f32_f16_sdwa v19, v14 dst_sel:DWORD dst_unused:UNUSED_PAD src0_sel:WORD_1
	v_cvt_f32_f16_e32 v18, v14
	v_cvt_f32_f16_sdwa v33, v15 dst_sel:DWORD dst_unused:UNUSED_PAD src0_sel:WORD_1
	v_cvt_f32_f16_e32 v32, v15
	;; [unrolled: 2-line block ×4, first 2 shown]
	s_waitcnt vmcnt(2)
	v_cvt_f32_f16_sdwa v27, v10 dst_sel:DWORD dst_unused:UNUSED_PAD src0_sel:WORD_1
	v_cvt_f32_f16_e32 v26, v10
	v_cvt_f32_f16_sdwa v25, v11 dst_sel:DWORD dst_unused:UNUSED_PAD src0_sel:WORD_1
	v_cvt_f32_f16_e32 v24, v11
	;; [unrolled: 2-line block ×4, first 2 shown]
.LBB659_24:
	s_or_b64 exec, exec, s[2:3]
	s_waitcnt vmcnt(2)
	v_mul_f32_e32 v10, v19, v19
	v_fmac_f32_e32 v10, v18, v18
	v_fmac_f32_e32 v10, v32, v32
	;; [unrolled: 1-line block ×15, first 2 shown]
	s_nop 1
	v_mov_b32_dpp v11, v10 quad_perm:[1,0,3,2] row_mask:0xf bank_mask:0xf
	v_add_f32_e32 v10, v10, v11
	s_nop 1
	v_mov_b32_dpp v11, v10 quad_perm:[2,3,0,1] row_mask:0xf bank_mask:0xf
	v_add_f32_e32 v10, v10, v11
	s_nop 1
	v_mov_b32_dpp v11, v10 row_half_mirror row_mask:0xf bank_mask:0xf
	v_add_f32_e32 v10, v10, v11
	s_nop 1
	v_mov_b32_dpp v11, v10 row_mirror row_mask:0xf bank_mask:0xf
	v_add_f32_e32 v10, v10, v11
	s_nop 1
	v_mov_b32_dpp v11, v10 row_bcast:15 row_mask:0xf bank_mask:0xf
	v_add_f32_e32 v10, v10, v11
	s_nop 1
	v_mov_b32_dpp v11, v10 row_bcast:31 row_mask:0xf bank_mask:0xf
	s_and_saveexec_b64 s[2:3], s[0:1]
	s_cbranch_execz .LBB659_26
; %bb.25:
	v_lshrrev_b32_e32 v0, 4, v0
	v_add_f32_e32 v10, v10, v11
	v_and_b32_e32 v0, 60, v0
	ds_write_b32 v0, v10
.LBB659_26:
	s_or_b64 exec, exec, s[2:3]
	s_waitcnt lgkmcnt(0)
	s_barrier
	ds_read_b32 v0, v34
	s_waitcnt lgkmcnt(0)
	s_nop 0
	v_mov_b32_dpp v10, v0 quad_perm:[1,0,3,2] row_mask:0xf bank_mask:0xf
	s_and_saveexec_b64 s[0:1], vcc
	s_cbranch_execz .LBB659_12
; %bb.27:
	v_cvt_f32_u32_e32 v11, s16
	v_add_f32_e32 v0, v0, v10
	s_mov_b32 s11, 0x20000
	v_div_scale_f32 v10, s[0:1], v11, v11, v0
	v_rcp_f32_e32 v12, v10
	v_div_scale_f32 v13, vcc, v0, v11, v0
	s_mov_b32 s0, 0x800000
	v_fma_f32 v14, -v10, v12, 1.0
	v_fmac_f32_e32 v12, v14, v12
	v_mul_f32_e32 v14, v13, v12
	v_fma_f32 v15, -v10, v14, v13
	v_fmac_f32_e32 v14, v15, v12
	v_fma_f32 v10, -v10, v14, v13
	v_div_fmas_f32 v10, v10, v12, v14
	v_div_fixup_f32 v0, v10, v11, v0
	v_add_f32_e32 v0, s13, v0
	v_mul_f32_e32 v10, 0x4b800000, v0
	v_cmp_gt_f32_e32 vcc, s0, v0
	v_cndmask_b32_e32 v0, v0, v10, vcc
	v_rsq_f32_e32 v0, v0
	s_mul_hi_i32 s1, s27, s6
	s_mul_i32 s0, s27, s6
	s_lshl_b64 s[0:1], s[0:1], 1
	v_mul_f32_e32 v10, 0x45800000, v0
	v_cndmask_b32_e32 v10, v0, v10, vcc
	v_mov_b32_e32 v11, v10
	;;#ASMSTART
	v_pk_mul_f32 v[12:13], v[18:19], v[10:11]
	;;#ASMEND
	;;#ASMSTART
	v_pk_mul_f32 v[14:15], v[32:33], v[10:11]
	;;#ASMEND
	;; [unrolled: 3-line block ×4, first 2 shown]
	s_waitcnt vmcnt(1)
	v_cvt_f32_f16_sdwa v29, v6 dst_sel:DWORD dst_unused:UNUSED_PAD src0_sel:WORD_1
	v_cvt_f32_f16_e32 v28, v6
	v_cvt_f32_f16_sdwa v31, v7 dst_sel:DWORD dst_unused:UNUSED_PAD src0_sel:WORD_1
	v_cvt_f32_f16_e32 v30, v7
	;;#ASMSTART
	v_pk_mul_f32 v[26:27], v[26:27], v[10:11]
	;;#ASMEND
	;;#ASMSTART
	v_pk_mul_f32 v[24:25], v[24:25], v[10:11]
	;;#ASMEND
	;; [unrolled: 3-line block ×4, first 2 shown]
	v_cvt_f32_f16_sdwa v21, v8 dst_sel:DWORD dst_unused:UNUSED_PAD src0_sel:WORD_1
	v_cvt_f32_f16_e32 v20, v8
	v_pk_add_f32 v[10:11], v[28:29], 1.0 op_sel_hi:[1,0]
	;;#ASMSTART
	v_pk_mul_f32 v[10:11], v[12:13], v[10:11]
	;;#ASMEND
	v_pk_add_f32 v[12:13], v[30:31], 1.0 op_sel_hi:[1,0]
	v_cvt_f32_f16_sdwa v29, v9 dst_sel:DWORD dst_unused:UNUSED_PAD src0_sel:WORD_1
	v_cvt_f32_f16_e32 v28, v9
	;;#ASMSTART
	v_pk_mul_f32 v[8:9], v[14:15], v[12:13]
	;;#ASMEND
	v_pk_add_f32 v[12:13], v[20:21], 1.0 op_sel_hi:[1,0]
	;;#ASMSTART
	v_pk_mul_f32 v[12:13], v[16:17], v[12:13]
	;;#ASMEND
	s_waitcnt vmcnt(0)
	v_cvt_f32_f16_sdwa v17, v2 dst_sel:DWORD dst_unused:UNUSED_PAD src0_sel:WORD_1
	v_cvt_f32_f16_e32 v16, v2
	v_cvt_f32_f16_sdwa v21, v3 dst_sel:DWORD dst_unused:UNUSED_PAD src0_sel:WORD_1
	v_cvt_f32_f16_e32 v20, v3
	v_pk_add_f32 v[14:15], v[28:29], 1.0 op_sel_hi:[1,0]
	;;#ASMSTART
	v_pk_mul_f32 v[2:3], v[18:19], v[14:15]
	;;#ASMEND
	v_cvt_f32_f16_sdwa v19, v4 dst_sel:DWORD dst_unused:UNUSED_PAD src0_sel:WORD_1
	v_cvt_f32_f16_e32 v18, v4
	v_pk_add_f32 v[14:15], v[16:17], 1.0 op_sel_hi:[1,0]
	v_pk_add_f32 v[16:17], v[20:21], 1.0 op_sel_hi:[1,0]
	v_cvt_f32_f16_sdwa v21, v5 dst_sel:DWORD dst_unused:UNUSED_PAD src0_sel:WORD_1
	v_cvt_f32_f16_e32 v20, v5
	v_pk_add_f32 v[4:5], v[18:19], 1.0 op_sel_hi:[1,0]
	;;#ASMSTART
	v_pk_mul_f32 v[14:15], v[26:27], v[14:15]
	;;#ASMEND
	;;#ASMSTART
	v_pk_mul_f32 v[16:17], v[24:25], v[16:17]
	;;#ASMEND
	;; [unrolled: 3-line block ×3, first 2 shown]
	v_pk_add_f32 v[4:5], v[20:21], 1.0 op_sel_hi:[1,0]
	;;#ASMSTART
	v_pk_mul_f32 v[6:7], v[6:7], v[4:5]
	;;#ASMEND
	v_cvt_f16_f32_e32 v0, v10
	v_cvt_f16_f32_e32 v4, v11
	;; [unrolled: 1-line block ×8, first 2 shown]
	s_add_u32 s8, s14, s0
	s_addc_u32 s0, s15, s1
	s_and_b32 s9, s0, 0xffff
	v_pack_b32_f16 v2, v0, v4
	v_pack_b32_f16 v3, v5, v8
	;; [unrolled: 1-line block ×4, first 2 shown]
	buffer_store_dwordx4 v[2:5], v1, s[8:11], 0 offen
	v_cvt_f16_f32_e32 v0, v14
	v_cvt_f16_f32_e32 v2, v15
	;; [unrolled: 1-line block ×8, first 2 shown]
	v_pack_b32_f16 v2, v0, v2
	v_pack_b32_f16 v3, v3, v4
	;; [unrolled: 1-line block ×4, first 2 shown]
	;;#ASMSTART
	s_nop 0
	;;#ASMEND
	buffer_store_dwordx4 v[2:5], v1, s[8:11], 16 offen
	;;#ASMSTART
	s_nop 0
	;;#ASMEND
	s_endpgm
	.section	.rodata,"a",@progbits
	.p2align	6, 0x0
	.amdhsa_kernel _ZN5aiter35fused_qk_rmsnorm_group_quant_kernelIDF16_N4opus5fp4_tELi128ELi16ELi4ELb0ELb1ELb1ELb1ELb0ELb0EEEvPT0_PvPT_S7_S7_PKS6_S9_S9_S9_S9_ffiiiiiiiiiiiii
		.amdhsa_group_segment_fixed_size 16
		.amdhsa_private_segment_fixed_size 0
		.amdhsa_kernarg_size 400
		.amdhsa_user_sgpr_count 6
		.amdhsa_user_sgpr_private_segment_buffer 1
		.amdhsa_user_sgpr_dispatch_ptr 0
		.amdhsa_user_sgpr_queue_ptr 0
		.amdhsa_user_sgpr_kernarg_segment_ptr 1
		.amdhsa_user_sgpr_dispatch_id 0
		.amdhsa_user_sgpr_flat_scratch_init 0
		.amdhsa_user_sgpr_kernarg_preload_length 0
		.amdhsa_user_sgpr_kernarg_preload_offset 0
		.amdhsa_user_sgpr_private_segment_size 0
		.amdhsa_uses_dynamic_stack 0
		.amdhsa_system_sgpr_private_segment_wavefront_offset 0
		.amdhsa_system_sgpr_workgroup_id_x 1
		.amdhsa_system_sgpr_workgroup_id_y 1
		.amdhsa_system_sgpr_workgroup_id_z 0
		.amdhsa_system_sgpr_workgroup_info 0
		.amdhsa_system_vgpr_workitem_id 0
		.amdhsa_next_free_vgpr 35
		.amdhsa_next_free_sgpr 32
		.amdhsa_accum_offset 36
		.amdhsa_reserve_vcc 1
		.amdhsa_reserve_flat_scratch 0
		.amdhsa_float_round_mode_32 0
		.amdhsa_float_round_mode_16_64 0
		.amdhsa_float_denorm_mode_32 3
		.amdhsa_float_denorm_mode_16_64 3
		.amdhsa_dx10_clamp 1
		.amdhsa_ieee_mode 1
		.amdhsa_fp16_overflow 0
		.amdhsa_tg_split 0
		.amdhsa_exception_fp_ieee_invalid_op 0
		.amdhsa_exception_fp_denorm_src 0
		.amdhsa_exception_fp_ieee_div_zero 0
		.amdhsa_exception_fp_ieee_overflow 0
		.amdhsa_exception_fp_ieee_underflow 0
		.amdhsa_exception_fp_ieee_inexact 0
		.amdhsa_exception_int_div_zero 0
	.end_amdhsa_kernel
	.section	.text._ZN5aiter35fused_qk_rmsnorm_group_quant_kernelIDF16_N4opus5fp4_tELi128ELi16ELi4ELb0ELb1ELb1ELb1ELb0ELb0EEEvPT0_PvPT_S7_S7_PKS6_S9_S9_S9_S9_ffiiiiiiiiiiiii,"axG",@progbits,_ZN5aiter35fused_qk_rmsnorm_group_quant_kernelIDF16_N4opus5fp4_tELi128ELi16ELi4ELb0ELb1ELb1ELb1ELb0ELb0EEEvPT0_PvPT_S7_S7_PKS6_S9_S9_S9_S9_ffiiiiiiiiiiiii,comdat
.Lfunc_end659:
	.size	_ZN5aiter35fused_qk_rmsnorm_group_quant_kernelIDF16_N4opus5fp4_tELi128ELi16ELi4ELb0ELb1ELb1ELb1ELb0ELb0EEEvPT0_PvPT_S7_S7_PKS6_S9_S9_S9_S9_ffiiiiiiiiiiiii, .Lfunc_end659-_ZN5aiter35fused_qk_rmsnorm_group_quant_kernelIDF16_N4opus5fp4_tELi128ELi16ELi4ELb0ELb1ELb1ELb1ELb0ELb0EEEvPT0_PvPT_S7_S7_PKS6_S9_S9_S9_S9_ffiiiiiiiiiiiii
                                        ; -- End function
	.section	.AMDGPU.csdata,"",@progbits
; Kernel info:
; codeLenInByte = 2936
; NumSgprs: 36
; NumVgprs: 35
; NumAgprs: 0
; TotalNumVgprs: 35
; ScratchSize: 0
; MemoryBound: 0
; FloatMode: 240
; IeeeMode: 1
; LDSByteSize: 16 bytes/workgroup (compile time only)
; SGPRBlocks: 4
; VGPRBlocks: 4
; NumSGPRsForWavesPerEU: 36
; NumVGPRsForWavesPerEU: 35
; AccumOffset: 36
; Occupancy: 8
; WaveLimiterHint : 0
; COMPUTE_PGM_RSRC2:SCRATCH_EN: 0
; COMPUTE_PGM_RSRC2:USER_SGPR: 6
; COMPUTE_PGM_RSRC2:TRAP_HANDLER: 0
; COMPUTE_PGM_RSRC2:TGID_X_EN: 1
; COMPUTE_PGM_RSRC2:TGID_Y_EN: 1
; COMPUTE_PGM_RSRC2:TGID_Z_EN: 0
; COMPUTE_PGM_RSRC2:TIDIG_COMP_CNT: 0
; COMPUTE_PGM_RSRC3_GFX90A:ACCUM_OFFSET: 8
; COMPUTE_PGM_RSRC3_GFX90A:TG_SPLIT: 0
	.section	.text._ZN5aiter35fused_qk_rmsnorm_group_quant_kernelItN4opus5fp4_tELi128ELi16ELi4ELb0ELb1ELb1ELb1ELb0ELb0EEEvPT0_PvPT_S7_S7_PKS6_S9_S9_S9_S9_ffiiiiiiiiiiiii,"axG",@progbits,_ZN5aiter35fused_qk_rmsnorm_group_quant_kernelItN4opus5fp4_tELi128ELi16ELi4ELb0ELb1ELb1ELb1ELb0ELb0EEEvPT0_PvPT_S7_S7_PKS6_S9_S9_S9_S9_ffiiiiiiiiiiiii,comdat
	.protected	_ZN5aiter35fused_qk_rmsnorm_group_quant_kernelItN4opus5fp4_tELi128ELi16ELi4ELb0ELb1ELb1ELb1ELb0ELb0EEEvPT0_PvPT_S7_S7_PKS6_S9_S9_S9_S9_ffiiiiiiiiiiiii ; -- Begin function _ZN5aiter35fused_qk_rmsnorm_group_quant_kernelItN4opus5fp4_tELi128ELi16ELi4ELb0ELb1ELb1ELb1ELb0ELb0EEEvPT0_PvPT_S7_S7_PKS6_S9_S9_S9_S9_ffiiiiiiiiiiiii
	.globl	_ZN5aiter35fused_qk_rmsnorm_group_quant_kernelItN4opus5fp4_tELi128ELi16ELi4ELb0ELb1ELb1ELb1ELb0ELb0EEEvPT0_PvPT_S7_S7_PKS6_S9_S9_S9_S9_ffiiiiiiiiiiiii
	.p2align	8
	.type	_ZN5aiter35fused_qk_rmsnorm_group_quant_kernelItN4opus5fp4_tELi128ELi16ELi4ELb0ELb1ELb1ELb1ELb0ELb0EEEvPT0_PvPT_S7_S7_PKS6_S9_S9_S9_S9_ffiiiiiiiiiiiii,@function
_ZN5aiter35fused_qk_rmsnorm_group_quant_kernelItN4opus5fp4_tELi128ELi16ELi4ELb0ELb1ELb1ELb1ELb0ELb0EEEvPT0_PvPT_S7_S7_PKS6_S9_S9_S9_S9_ffiiiiiiiiiiiii: ; @_ZN5aiter35fused_qk_rmsnorm_group_quant_kernelItN4opus5fp4_tELi128ELi16ELi4ELb0ELb1ELb1ELb1ELb0ELb0EEEvPT0_PvPT_S7_S7_PKS6_S9_S9_S9_S9_ffiiiiiiiiiiiii
; %bb.0:
	s_load_dwordx4 s[12:15], s[4:5], 0x50
	s_waitcnt lgkmcnt(0)
	s_cmp_ge_i32 s6, s14
	s_cbranch_scc1 .LBB660_12
; %bb.1:
	s_load_dwordx2 s[24:25], s[4:5], 0x30
	s_load_dwordx2 s[8:9], s[4:5], 0x48
	s_load_dwordx4 s[16:19], s[4:5], 0x60
	s_cmp_lg_u32 s7, 0
	s_cselect_b64 s[10:11], -1, 0
	s_cmp_eq_u32 s7, 0
	s_cselect_b64 vcc, -1, 0
	s_and_b64 s[0:1], vcc, exec
	s_waitcnt lgkmcnt(0)
	s_cselect_b32 s7, s15, s16
	s_add_i32 s0, s7, 1
	s_lshr_b32 s1, s0, 31
	s_add_i32 s0, s0, s1
	s_lshl_b32 s0, s0, 1
	v_lshlrev_b32_e32 v1, 4, v0
	s_and_b32 s22, s0, -4
	v_cmp_gt_i32_e64 s[2:3], s7, v1
	v_mov_b32_e32 v18, 0
	v_mov_b32_e32 v6, 0
	;; [unrolled: 1-line block ×17, first 2 shown]
	s_and_saveexec_b64 s[0:1], s[2:3]
	s_cbranch_execz .LBB660_3
; %bb.2:
	s_load_dwordx2 s[14:15], s[4:5], 0x28
	s_load_dwordx2 s[20:21], s[4:5], 0x40
	s_and_b64 s[26:27], vcc, exec
	s_cselect_b32 s17, s17, s18
	s_mov_b32 s30, s22
	s_waitcnt lgkmcnt(0)
	s_cselect_b32 s19, s15, s25
	s_cselect_b32 s23, s14, s24
	s_mul_hi_i32 s15, s17, s6
	s_mul_i32 s14, s17, s6
	s_lshl_b64 s[14:15], s[14:15], 1
	s_add_u32 s28, s23, s14
	s_addc_u32 s17, s19, s15
	s_and_b64 s[14:15], vcc, exec
	s_mov_b32 s23, 0x20000
	s_cselect_b32 s20, s20, s8
	s_cselect_b32 s14, s21, s9
	s_and_b32 s29, s17, 0xffff
	s_mov_b32 s31, s23
	v_lshlrev_b32_e32 v19, 5, v0
	s_and_b32 s21, s14, 0xffff
	buffer_load_dwordx4 v[14:17], v19, s[28:31], 0 offen
	buffer_load_dwordx4 v[10:13], v19, s[28:31], 16 offen
	;; [unrolled: 1-line block ×4, first 2 shown]
.LBB660_3:
	s_or_b64 exec, exec, s[0:1]
	v_mov_b32_e32 v19, 0
	v_mov_b32_e32 v20, 0
	;; [unrolled: 1-line block ×15, first 2 shown]
	s_and_saveexec_b64 s[0:1], s[2:3]
	s_cbranch_execz .LBB660_5
; %bb.4:
	s_waitcnt vmcnt(3)
	v_cvt_f32_u32_sdwa v18, v14 dst_sel:DWORD dst_unused:UNUSED_PAD src0_sel:WORD_0
	v_cvt_f32_u32_sdwa v19, v14 dst_sel:DWORD dst_unused:UNUSED_PAD src0_sel:WORD_1
	v_cvt_f32_u32_sdwa v20, v15 dst_sel:DWORD dst_unused:UNUSED_PAD src0_sel:WORD_0
	v_cvt_f32_u32_sdwa v21, v15 dst_sel:DWORD dst_unused:UNUSED_PAD src0_sel:WORD_1
	;; [unrolled: 2-line block ×4, first 2 shown]
	s_waitcnt vmcnt(2)
	v_cvt_f32_u32_sdwa v24, v10 dst_sel:DWORD dst_unused:UNUSED_PAD src0_sel:WORD_0
	v_cvt_f32_u32_sdwa v25, v10 dst_sel:DWORD dst_unused:UNUSED_PAD src0_sel:WORD_1
	v_cvt_f32_u32_sdwa v30, v11 dst_sel:DWORD dst_unused:UNUSED_PAD src0_sel:WORD_0
	v_cvt_f32_u32_sdwa v31, v11 dst_sel:DWORD dst_unused:UNUSED_PAD src0_sel:WORD_1
	v_cvt_f32_u32_sdwa v32, v12 dst_sel:DWORD dst_unused:UNUSED_PAD src0_sel:WORD_0
	v_cvt_f32_u32_sdwa v33, v12 dst_sel:DWORD dst_unused:UNUSED_PAD src0_sel:WORD_1
	v_cvt_f32_u32_sdwa v28, v13 dst_sel:DWORD dst_unused:UNUSED_PAD src0_sel:WORD_0
	v_cvt_f32_u32_sdwa v29, v13 dst_sel:DWORD dst_unused:UNUSED_PAD src0_sel:WORD_1
.LBB660_5:
	s_or_b64 exec, exec, s[0:1]
	s_waitcnt vmcnt(2)
	v_mul_f32_e32 v10, v19, v19
	v_fmac_f32_e32 v10, v18, v18
	v_fmac_f32_e32 v10, v20, v20
	;; [unrolled: 1-line block ×15, first 2 shown]
	v_and_b32_e32 v12, 63, v0
	v_cmp_eq_u32_e64 s[0:1], 63, v12
	v_mov_b32_dpp v11, v10 quad_perm:[1,0,3,2] row_mask:0xf bank_mask:0xf
	v_add_f32_e32 v10, v10, v11
	s_nop 1
	v_mov_b32_dpp v11, v10 quad_perm:[2,3,0,1] row_mask:0xf bank_mask:0xf
	v_add_f32_e32 v10, v10, v11
	s_nop 1
	v_mov_b32_dpp v11, v10 row_half_mirror row_mask:0xf bank_mask:0xf
	v_add_f32_e32 v10, v10, v11
	s_nop 1
	v_mov_b32_dpp v11, v10 row_mirror row_mask:0xf bank_mask:0xf
	v_add_f32_e32 v10, v10, v11
	s_nop 1
	v_mov_b32_dpp v11, v10 row_bcast:15 row_mask:0xf bank_mask:0xf
	v_add_f32_e32 v10, v10, v11
	s_nop 1
	v_mov_b32_dpp v11, v10 row_bcast:31 row_mask:0xf bank_mask:0xf
	s_and_saveexec_b64 s[14:15], s[0:1]
	s_cbranch_execz .LBB660_7
; %bb.6:
	v_add_f32_e32 v10, v10, v11
	v_lshrrev_b32_e32 v11, 4, v0
	v_and_b32_e32 v11, 60, v11
	ds_write_b32 v11, v10 offset:8
.LBB660_7:
	s_or_b64 exec, exec, s[14:15]
	v_and_b32_e32 v10, 1, v0
	v_lshlrev_b32_e32 v34, 2, v10
	s_waitcnt lgkmcnt(0)
	s_barrier
	ds_read_b32 v10, v34 offset:8
	s_load_dwordx2 s[14:15], s[4:5], 0x18
	s_waitcnt lgkmcnt(0)
	v_mov_b32_dpp v11, v10 quad_perm:[1,0,3,2] row_mask:0xf bank_mask:0xf
	s_and_saveexec_b64 s[20:21], s[2:3]
	s_cbranch_execz .LBB660_9
; %bb.8:
	v_cvt_f32_u32_e32 v12, s7
	v_add_f32_e32 v10, v10, v11
	v_mov_b32_e32 v14, s13
	v_mov_b32_e32 v15, s12
	v_div_scale_f32 v11, s[26:27], v12, v12, v10
	v_rcp_f32_e32 v13, v11
	v_cndmask_b32_e32 v14, v14, v15, vcc
	s_mov_b32 s7, 0x800000
	v_fma_f32 v15, -v11, v13, 1.0
	v_fmac_f32_e32 v13, v15, v13
	v_div_scale_f32 v15, vcc, v10, v12, v10
	v_mul_f32_e32 v16, v15, v13
	v_fma_f32 v17, -v11, v16, v15
	v_fmac_f32_e32 v16, v17, v13
	v_fma_f32 v11, -v11, v16, v15
	v_div_fmas_f32 v11, v11, v13, v16
	v_div_fixup_f32 v10, v11, v12, v10
	v_add_f32_e32 v10, v14, v10
	v_mul_f32_e32 v11, 0x4b800000, v10
	v_cmp_gt_f32_e32 vcc, s7, v10
	v_cndmask_b32_e32 v10, v10, v11, vcc
	v_rsq_f32_e32 v10, v10
	v_mul_f32_e32 v11, 0x45800000, v10
	v_cndmask_b32_e32 v10, v10, v11, vcc
	v_mov_b32_e32 v11, v10
	;;#ASMSTART
	v_pk_mul_f32 v[12:13], v[18:19], v[10:11]
	;;#ASMEND
	s_waitcnt vmcnt(1)
	v_cvt_f32_u32_sdwa v19, v6 dst_sel:DWORD dst_unused:UNUSED_PAD src0_sel:WORD_1
	v_cvt_f32_u32_sdwa v18, v6 dst_sel:DWORD dst_unused:UNUSED_PAD src0_sel:WORD_0
	;;#ASMSTART
	v_pk_mul_f32 v[14:15], v[20:21], v[10:11]
	;;#ASMEND
	v_cvt_f32_u32_sdwa v21, v7 dst_sel:DWORD dst_unused:UNUSED_PAD src0_sel:WORD_1
	v_cvt_f32_u32_sdwa v20, v7 dst_sel:DWORD dst_unused:UNUSED_PAD src0_sel:WORD_0
	;;#ASMSTART
	v_pk_mul_f32 v[16:17], v[22:23], v[10:11]
	;;#ASMEND
	;;#ASMSTART
	v_pk_mul_f32 v[26:27], v[26:27], v[10:11]
	;;#ASMEND
	;;#ASMSTART
	v_pk_mul_f32 v[24:25], v[24:25], v[10:11]
	;;#ASMEND
	;;#ASMSTART
	v_pk_mul_f32 v[30:31], v[30:31], v[10:11]
	;;#ASMEND
	;;#ASMSTART
	v_pk_mul_f32 v[32:33], v[32:33], v[10:11]
	;;#ASMEND
	;;#ASMSTART
	v_pk_mul_f32 v[6:7], v[28:29], v[10:11]
	;;#ASMEND
	v_pk_add_f32 v[10:11], v[18:19], 1.0 op_sel_hi:[1,0]
	;;#ASMSTART
	v_pk_mul_f32 v[18:19], v[12:13], v[10:11]
	;;#ASMEND
	v_cvt_f32_u32_sdwa v13, v8 dst_sel:DWORD dst_unused:UNUSED_PAD src0_sel:WORD_1
	v_cvt_f32_u32_sdwa v12, v8 dst_sel:DWORD dst_unused:UNUSED_PAD src0_sel:WORD_0
	v_cvt_f32_u32_sdwa v29, v9 dst_sel:DWORD dst_unused:UNUSED_PAD src0_sel:WORD_1
	v_cvt_f32_u32_sdwa v28, v9 dst_sel:DWORD dst_unused:UNUSED_PAD src0_sel:WORD_0
	v_pk_add_f32 v[10:11], v[20:21], 1.0 op_sel_hi:[1,0]
	;;#ASMSTART
	v_pk_mul_f32 v[20:21], v[14:15], v[10:11]
	;;#ASMEND
	s_waitcnt vmcnt(0)
	v_cvt_f32_u32_sdwa v11, v2 dst_sel:DWORD dst_unused:UNUSED_PAD src0_sel:WORD_1
	v_cvt_f32_u32_sdwa v10, v2 dst_sel:DWORD dst_unused:UNUSED_PAD src0_sel:WORD_0
	v_pk_add_f32 v[8:9], v[12:13], 1.0 op_sel_hi:[1,0]
	;;#ASMSTART
	v_pk_mul_f32 v[22:23], v[16:17], v[8:9]
	;;#ASMEND
	v_pk_add_f32 v[8:9], v[28:29], 1.0 op_sel_hi:[1,0]
	v_cvt_f32_u32_sdwa v13, v3 dst_sel:DWORD dst_unused:UNUSED_PAD src0_sel:WORD_1
	v_cvt_f32_u32_sdwa v12, v3 dst_sel:DWORD dst_unused:UNUSED_PAD src0_sel:WORD_0
	;;#ASMSTART
	v_pk_mul_f32 v[26:27], v[26:27], v[8:9]
	;;#ASMEND
	v_cvt_f32_u32_sdwa v9, v4 dst_sel:DWORD dst_unused:UNUSED_PAD src0_sel:WORD_1
	v_cvt_f32_u32_sdwa v8, v4 dst_sel:DWORD dst_unused:UNUSED_PAD src0_sel:WORD_0
	v_pk_add_f32 v[2:3], v[10:11], 1.0 op_sel_hi:[1,0]
	v_cvt_f32_u32_sdwa v11, v5 dst_sel:DWORD dst_unused:UNUSED_PAD src0_sel:WORD_1
	v_cvt_f32_u32_sdwa v10, v5 dst_sel:DWORD dst_unused:UNUSED_PAD src0_sel:WORD_0
	;;#ASMSTART
	v_pk_mul_f32 v[24:25], v[24:25], v[2:3]
	;;#ASMEND
	v_pk_add_f32 v[2:3], v[12:13], 1.0 op_sel_hi:[1,0]
	;;#ASMSTART
	v_pk_mul_f32 v[30:31], v[30:31], v[2:3]
	;;#ASMEND
	v_pk_add_f32 v[2:3], v[8:9], 1.0 op_sel_hi:[1,0]
	;; [unrolled: 4-line block ×3, first 2 shown]
	;;#ASMSTART
	v_pk_mul_f32 v[28:29], v[6:7], v[2:3]
	;;#ASMEND
.LBB660_9:
	s_or_b64 exec, exec, s[20:21]
	s_load_dwordx2 s[26:27], s[4:5], 0x7c
	s_mov_b64 s[20:21], -1
	s_and_b64 vcc, exec, s[10:11]
	s_cbranch_vccnz .LBB660_13
; %bb.10:
	s_andn2_b64 vcc, exec, s[20:21]
	s_cbranch_vccz .LBB660_16
.LBB660_11:
	s_cmp_lt_i32 s16, 1
	s_cbranch_scc0 .LBB660_19
.LBB660_12:
	s_endpgm
.LBB660_13:
	s_and_saveexec_b64 s[10:11], s[2:3]
	s_cbranch_execz .LBB660_15
; %bb.14:
	s_waitcnt lgkmcnt(0)
	s_mul_hi_i32 s21, s27, s6
	s_mul_i32 s20, s27, s6
	s_lshl_b64 s[20:21], s[20:21], 1
	s_add_u32 s20, s14, s20
	s_addc_u32 s7, s15, s21
	s_and_b32 s21, s7, 0xffff
	s_mov_b32 s7, 0x7060302
	s_mov_b32 s23, 0x20000
	s_waitcnt vmcnt(0)
	v_perm_b32 v5, v27, v26, s7
	v_perm_b32 v4, v23, v22, s7
	;; [unrolled: 1-line block ×4, first 2 shown]
	v_lshlrev_b32_e32 v6, 5, v0
	buffer_store_dwordx4 v[2:5], v6, s[20:23], 0 offen
	;;#ASMSTART
	s_nop 0
	;;#ASMEND
	s_nop 0
	v_perm_b32 v5, v29, v28, s7
	v_perm_b32 v4, v33, v32, s7
	v_perm_b32 v3, v31, v30, s7
	v_perm_b32 v2, v25, v24, s7
	buffer_store_dwordx4 v[2:5], v6, s[20:23], 16 offen
	;;#ASMSTART
	s_nop 0
	;;#ASMEND
.LBB660_15:
	s_or_b64 exec, exec, s[10:11]
	s_cbranch_execnz .LBB660_11
.LBB660_16:
	s_and_saveexec_b64 s[10:11], s[2:3]
	s_cbranch_execz .LBB660_18
; %bb.17:
	s_load_dwordx2 s[2:3], s[4:5], 0x10
	s_waitcnt lgkmcnt(0)
	s_mul_hi_i32 s21, s26, s6
	s_mul_i32 s20, s26, s6
	s_lshl_b64 s[20:21], s[20:21], 1
	s_mov_b32 s23, 0x20000
	s_add_u32 s20, s2, s20
	s_addc_u32 s2, s3, s21
	s_and_b32 s21, s2, 0xffff
	s_mov_b32 s2, 0x7060302
	s_waitcnt vmcnt(0)
	v_perm_b32 v5, v27, v26, s2
	v_perm_b32 v4, v23, v22, s2
	;; [unrolled: 1-line block ×4, first 2 shown]
	v_lshlrev_b32_e32 v6, 5, v0
	buffer_store_dwordx4 v[2:5], v6, s[20:23], 0 offen
	;;#ASMSTART
	s_nop 0
	;;#ASMEND
	s_nop 0
	v_perm_b32 v5, v29, v28, s2
	v_perm_b32 v4, v33, v32, s2
	;; [unrolled: 1-line block ×4, first 2 shown]
	buffer_store_dwordx4 v[2:5], v6, s[20:23], 16 offen
	;;#ASMSTART
	s_nop 0
	;;#ASMEND
.LBB660_18:
	s_or_b64 exec, exec, s[10:11]
	s_cmp_lt_i32 s16, 1
	s_cbranch_scc1 .LBB660_12
.LBB660_19:
	s_load_dword s2, s[4:5], 0x94
	s_waitcnt lgkmcnt(0)
	s_cmp_lg_u32 s2, 1
	s_cbranch_scc1 .LBB660_12
; %bb.20:
	s_lshl_b32 s2, s16, 1
	s_add_i32 s2, s2, 2
	v_cmp_gt_u32_e32 vcc, s16, v1
	s_and_b32 s10, s2, -4
	v_mov_b32_e32 v18, 0
	v_lshlrev_b32_e32 v1, 5, v0
	v_mov_b32_e32 v14, 0
	v_mov_b32_e32 v15, 0
	;; [unrolled: 1-line block ×8, first 2 shown]
	s_waitcnt vmcnt(1)
	v_mov_b32_e32 v6, 0
	v_mov_b32_e32 v7, 0
	;; [unrolled: 1-line block ×4, first 2 shown]
	s_waitcnt vmcnt(0)
	v_mov_b32_e32 v2, 0
	v_mov_b32_e32 v3, 0
	v_mov_b32_e32 v4, 0
	v_mov_b32_e32 v5, 0
	s_barrier
	s_and_saveexec_b64 s[2:3], vcc
	s_cbranch_execz .LBB660_22
; %bb.21:
	s_mul_hi_i32 s5, s18, s6
	s_mul_i32 s4, s18, s6
	s_and_b32 s9, s9, 0xffff
	s_lshl_b64 s[4:5], s[4:5], 1
	s_add_u32 s20, s24, s4
	s_mov_b32 s11, 0x20000
	s_addc_u32 s4, s25, s5
	s_and_b32 s21, s4, 0xffff
	s_mov_b32 s22, s10
	s_mov_b32 s23, s11
	buffer_load_dwordx4 v[14:17], v1, s[20:23], 0 offen
	buffer_load_dwordx4 v[10:13], v1, s[20:23], 16 offen
	;; [unrolled: 1-line block ×4, first 2 shown]
.LBB660_22:
	s_or_b64 exec, exec, s[2:3]
	v_mov_b32_e32 v19, 0
	v_mov_b32_e32 v32, 0
	;; [unrolled: 1-line block ×15, first 2 shown]
	s_and_saveexec_b64 s[2:3], vcc
	s_cbranch_execz .LBB660_24
; %bb.23:
	s_waitcnt vmcnt(3)
	v_cvt_f32_u32_sdwa v18, v14 dst_sel:DWORD dst_unused:UNUSED_PAD src0_sel:WORD_0
	v_cvt_f32_u32_sdwa v19, v14 dst_sel:DWORD dst_unused:UNUSED_PAD src0_sel:WORD_1
	v_cvt_f32_u32_sdwa v32, v15 dst_sel:DWORD dst_unused:UNUSED_PAD src0_sel:WORD_0
	v_cvt_f32_u32_sdwa v33, v15 dst_sel:DWORD dst_unused:UNUSED_PAD src0_sel:WORD_1
	;; [unrolled: 2-line block ×4, first 2 shown]
	s_waitcnt vmcnt(2)
	v_cvt_f32_u32_sdwa v26, v10 dst_sel:DWORD dst_unused:UNUSED_PAD src0_sel:WORD_0
	v_cvt_f32_u32_sdwa v27, v10 dst_sel:DWORD dst_unused:UNUSED_PAD src0_sel:WORD_1
	v_cvt_f32_u32_sdwa v24, v11 dst_sel:DWORD dst_unused:UNUSED_PAD src0_sel:WORD_0
	v_cvt_f32_u32_sdwa v25, v11 dst_sel:DWORD dst_unused:UNUSED_PAD src0_sel:WORD_1
	;; [unrolled: 2-line block ×4, first 2 shown]
.LBB660_24:
	s_or_b64 exec, exec, s[2:3]
	s_waitcnt vmcnt(2)
	v_mul_f32_e32 v10, v19, v19
	v_fmac_f32_e32 v10, v18, v18
	v_fmac_f32_e32 v10, v32, v32
	;; [unrolled: 1-line block ×15, first 2 shown]
	s_nop 1
	v_mov_b32_dpp v11, v10 quad_perm:[1,0,3,2] row_mask:0xf bank_mask:0xf
	v_add_f32_e32 v10, v10, v11
	s_nop 1
	v_mov_b32_dpp v11, v10 quad_perm:[2,3,0,1] row_mask:0xf bank_mask:0xf
	v_add_f32_e32 v10, v10, v11
	s_nop 1
	v_mov_b32_dpp v11, v10 row_half_mirror row_mask:0xf bank_mask:0xf
	v_add_f32_e32 v10, v10, v11
	s_nop 1
	v_mov_b32_dpp v11, v10 row_mirror row_mask:0xf bank_mask:0xf
	v_add_f32_e32 v10, v10, v11
	s_nop 1
	v_mov_b32_dpp v11, v10 row_bcast:15 row_mask:0xf bank_mask:0xf
	v_add_f32_e32 v10, v10, v11
	s_nop 1
	v_mov_b32_dpp v11, v10 row_bcast:31 row_mask:0xf bank_mask:0xf
	s_and_saveexec_b64 s[2:3], s[0:1]
	s_cbranch_execz .LBB660_26
; %bb.25:
	v_lshrrev_b32_e32 v0, 4, v0
	v_add_f32_e32 v10, v10, v11
	v_and_b32_e32 v0, 60, v0
	ds_write_b32 v0, v10
.LBB660_26:
	s_or_b64 exec, exec, s[2:3]
	s_waitcnt lgkmcnt(0)
	s_barrier
	ds_read_b32 v0, v34
	s_waitcnt lgkmcnt(0)
	s_nop 0
	v_mov_b32_dpp v10, v0 quad_perm:[1,0,3,2] row_mask:0xf bank_mask:0xf
	s_and_saveexec_b64 s[0:1], vcc
	s_cbranch_execz .LBB660_12
; %bb.27:
	v_cvt_f32_u32_e32 v11, s16
	v_add_f32_e32 v0, v0, v10
	s_mov_b32 s11, 0x20000
	v_div_scale_f32 v10, s[0:1], v11, v11, v0
	v_rcp_f32_e32 v12, v10
	v_div_scale_f32 v13, vcc, v0, v11, v0
	s_mov_b32 s0, 0x800000
	v_fma_f32 v14, -v10, v12, 1.0
	v_fmac_f32_e32 v12, v14, v12
	v_mul_f32_e32 v14, v13, v12
	v_fma_f32 v15, -v10, v14, v13
	v_fmac_f32_e32 v14, v15, v12
	v_fma_f32 v10, -v10, v14, v13
	v_div_fmas_f32 v10, v10, v12, v14
	v_div_fixup_f32 v0, v10, v11, v0
	v_add_f32_e32 v0, s13, v0
	v_mul_f32_e32 v10, 0x4b800000, v0
	v_cmp_gt_f32_e32 vcc, s0, v0
	v_cndmask_b32_e32 v0, v0, v10, vcc
	v_rsq_f32_e32 v0, v0
	s_mul_hi_i32 s1, s27, s6
	s_mul_i32 s0, s27, s6
	s_lshl_b64 s[0:1], s[0:1], 1
	v_mul_f32_e32 v10, 0x45800000, v0
	v_cndmask_b32_e32 v10, v0, v10, vcc
	v_mov_b32_e32 v11, v10
	;;#ASMSTART
	v_pk_mul_f32 v[12:13], v[18:19], v[10:11]
	;;#ASMEND
	;;#ASMSTART
	v_pk_mul_f32 v[14:15], v[32:33], v[10:11]
	;;#ASMEND
	;;#ASMSTART
	v_pk_mul_f32 v[16:17], v[30:31], v[10:11]
	;;#ASMEND
	;;#ASMSTART
	v_pk_mul_f32 v[18:19], v[28:29], v[10:11]
	;;#ASMEND
	s_waitcnt vmcnt(1)
	v_cvt_f32_u32_sdwa v29, v6 dst_sel:DWORD dst_unused:UNUSED_PAD src0_sel:WORD_1
	v_cvt_f32_u32_sdwa v28, v6 dst_sel:DWORD dst_unused:UNUSED_PAD src0_sel:WORD_0
	v_cvt_f32_u32_sdwa v31, v7 dst_sel:DWORD dst_unused:UNUSED_PAD src0_sel:WORD_1
	v_cvt_f32_u32_sdwa v30, v7 dst_sel:DWORD dst_unused:UNUSED_PAD src0_sel:WORD_0
	;;#ASMSTART
	v_pk_mul_f32 v[26:27], v[26:27], v[10:11]
	;;#ASMEND
	;;#ASMSTART
	v_pk_mul_f32 v[24:25], v[24:25], v[10:11]
	;;#ASMEND
	;; [unrolled: 3-line block ×4, first 2 shown]
	v_cvt_f32_u32_sdwa v21, v8 dst_sel:DWORD dst_unused:UNUSED_PAD src0_sel:WORD_1
	v_cvt_f32_u32_sdwa v20, v8 dst_sel:DWORD dst_unused:UNUSED_PAD src0_sel:WORD_0
	v_pk_add_f32 v[10:11], v[28:29], 1.0 op_sel_hi:[1,0]
	;;#ASMSTART
	v_pk_mul_f32 v[10:11], v[12:13], v[10:11]
	;;#ASMEND
	v_pk_add_f32 v[12:13], v[30:31], 1.0 op_sel_hi:[1,0]
	v_cvt_f32_u32_sdwa v29, v9 dst_sel:DWORD dst_unused:UNUSED_PAD src0_sel:WORD_1
	v_cvt_f32_u32_sdwa v28, v9 dst_sel:DWORD dst_unused:UNUSED_PAD src0_sel:WORD_0
	;;#ASMSTART
	v_pk_mul_f32 v[8:9], v[14:15], v[12:13]
	;;#ASMEND
	v_pk_add_f32 v[12:13], v[20:21], 1.0 op_sel_hi:[1,0]
	;;#ASMSTART
	v_pk_mul_f32 v[12:13], v[16:17], v[12:13]
	;;#ASMEND
	s_waitcnt vmcnt(0)
	v_cvt_f32_u32_sdwa v17, v2 dst_sel:DWORD dst_unused:UNUSED_PAD src0_sel:WORD_1
	v_cvt_f32_u32_sdwa v16, v2 dst_sel:DWORD dst_unused:UNUSED_PAD src0_sel:WORD_0
	v_cvt_f32_u32_sdwa v21, v3 dst_sel:DWORD dst_unused:UNUSED_PAD src0_sel:WORD_1
	v_cvt_f32_u32_sdwa v20, v3 dst_sel:DWORD dst_unused:UNUSED_PAD src0_sel:WORD_0
	v_pk_add_f32 v[14:15], v[28:29], 1.0 op_sel_hi:[1,0]
	;;#ASMSTART
	v_pk_mul_f32 v[14:15], v[18:19], v[14:15]
	;;#ASMEND
	v_pk_add_f32 v[2:3], v[16:17], 1.0 op_sel_hi:[1,0]
	v_cvt_f32_u32_sdwa v19, v4 dst_sel:DWORD dst_unused:UNUSED_PAD src0_sel:WORD_1
	v_cvt_f32_u32_sdwa v18, v4 dst_sel:DWORD dst_unused:UNUSED_PAD src0_sel:WORD_0
	;;#ASMSTART
	v_pk_mul_f32 v[16:17], v[26:27], v[2:3]
	;;#ASMEND
	v_pk_add_f32 v[2:3], v[20:21], 1.0 op_sel_hi:[1,0]
	v_cvt_f32_u32_sdwa v21, v5 dst_sel:DWORD dst_unused:UNUSED_PAD src0_sel:WORD_1
	v_cvt_f32_u32_sdwa v20, v5 dst_sel:DWORD dst_unused:UNUSED_PAD src0_sel:WORD_0
	s_add_u32 s8, s14, s0
	;;#ASMSTART
	v_pk_mul_f32 v[24:25], v[24:25], v[2:3]
	;;#ASMEND
	v_pk_add_f32 v[2:3], v[18:19], 1.0 op_sel_hi:[1,0]
	s_addc_u32 s0, s15, s1
	;;#ASMSTART
	v_pk_mul_f32 v[18:19], v[22:23], v[2:3]
	;;#ASMEND
	v_pk_add_f32 v[2:3], v[20:21], 1.0 op_sel_hi:[1,0]
	s_and_b32 s9, s0, 0xffff
	s_mov_b32 s0, 0x7060302
	;;#ASMSTART
	v_pk_mul_f32 v[6:7], v[6:7], v[2:3]
	;;#ASMEND
	v_perm_b32 v2, v11, v10, s0
	v_perm_b32 v3, v9, v8, s0
	v_perm_b32 v4, v13, v12, s0
	v_perm_b32 v5, v15, v14, s0
	buffer_store_dwordx4 v[2:5], v1, s[8:11], 0 offen
	;;#ASMSTART
	s_nop 0
	;;#ASMEND
	s_nop 0
	v_perm_b32 v2, v17, v16, s0
	v_perm_b32 v3, v25, v24, s0
	;; [unrolled: 1-line block ×4, first 2 shown]
	buffer_store_dwordx4 v[2:5], v1, s[8:11], 16 offen
	;;#ASMSTART
	s_nop 0
	;;#ASMEND
	s_endpgm
	.section	.rodata,"a",@progbits
	.p2align	6, 0x0
	.amdhsa_kernel _ZN5aiter35fused_qk_rmsnorm_group_quant_kernelItN4opus5fp4_tELi128ELi16ELi4ELb0ELb1ELb1ELb1ELb0ELb0EEEvPT0_PvPT_S7_S7_PKS6_S9_S9_S9_S9_ffiiiiiiiiiiiii
		.amdhsa_group_segment_fixed_size 16
		.amdhsa_private_segment_fixed_size 0
		.amdhsa_kernarg_size 400
		.amdhsa_user_sgpr_count 6
		.amdhsa_user_sgpr_private_segment_buffer 1
		.amdhsa_user_sgpr_dispatch_ptr 0
		.amdhsa_user_sgpr_queue_ptr 0
		.amdhsa_user_sgpr_kernarg_segment_ptr 1
		.amdhsa_user_sgpr_dispatch_id 0
		.amdhsa_user_sgpr_flat_scratch_init 0
		.amdhsa_user_sgpr_kernarg_preload_length 0
		.amdhsa_user_sgpr_kernarg_preload_offset 0
		.amdhsa_user_sgpr_private_segment_size 0
		.amdhsa_uses_dynamic_stack 0
		.amdhsa_system_sgpr_private_segment_wavefront_offset 0
		.amdhsa_system_sgpr_workgroup_id_x 1
		.amdhsa_system_sgpr_workgroup_id_y 1
		.amdhsa_system_sgpr_workgroup_id_z 0
		.amdhsa_system_sgpr_workgroup_info 0
		.amdhsa_system_vgpr_workitem_id 0
		.amdhsa_next_free_vgpr 35
		.amdhsa_next_free_sgpr 32
		.amdhsa_accum_offset 36
		.amdhsa_reserve_vcc 1
		.amdhsa_reserve_flat_scratch 0
		.amdhsa_float_round_mode_32 0
		.amdhsa_float_round_mode_16_64 0
		.amdhsa_float_denorm_mode_32 3
		.amdhsa_float_denorm_mode_16_64 3
		.amdhsa_dx10_clamp 1
		.amdhsa_ieee_mode 1
		.amdhsa_fp16_overflow 0
		.amdhsa_tg_split 0
		.amdhsa_exception_fp_ieee_invalid_op 0
		.amdhsa_exception_fp_denorm_src 0
		.amdhsa_exception_fp_ieee_div_zero 0
		.amdhsa_exception_fp_ieee_overflow 0
		.amdhsa_exception_fp_ieee_underflow 0
		.amdhsa_exception_fp_ieee_inexact 0
		.amdhsa_exception_int_div_zero 0
	.end_amdhsa_kernel
	.section	.text._ZN5aiter35fused_qk_rmsnorm_group_quant_kernelItN4opus5fp4_tELi128ELi16ELi4ELb0ELb1ELb1ELb1ELb0ELb0EEEvPT0_PvPT_S7_S7_PKS6_S9_S9_S9_S9_ffiiiiiiiiiiiii,"axG",@progbits,_ZN5aiter35fused_qk_rmsnorm_group_quant_kernelItN4opus5fp4_tELi128ELi16ELi4ELb0ELb1ELb1ELb1ELb0ELb0EEEvPT0_PvPT_S7_S7_PKS6_S9_S9_S9_S9_ffiiiiiiiiiiiii,comdat
.Lfunc_end660:
	.size	_ZN5aiter35fused_qk_rmsnorm_group_quant_kernelItN4opus5fp4_tELi128ELi16ELi4ELb0ELb1ELb1ELb1ELb0ELb0EEEvPT0_PvPT_S7_S7_PKS6_S9_S9_S9_S9_ffiiiiiiiiiiiii, .Lfunc_end660-_ZN5aiter35fused_qk_rmsnorm_group_quant_kernelItN4opus5fp4_tELi128ELi16ELi4ELb0ELb1ELb1ELb1ELb0ELb0EEEvPT0_PvPT_S7_S7_PKS6_S9_S9_S9_S9_ffiiiiiiiiiiiii
                                        ; -- End function
	.section	.AMDGPU.csdata,"",@progbits
; Kernel info:
; codeLenInByte = 2908
; NumSgprs: 36
; NumVgprs: 35
; NumAgprs: 0
; TotalNumVgprs: 35
; ScratchSize: 0
; MemoryBound: 0
; FloatMode: 240
; IeeeMode: 1
; LDSByteSize: 16 bytes/workgroup (compile time only)
; SGPRBlocks: 4
; VGPRBlocks: 4
; NumSGPRsForWavesPerEU: 36
; NumVGPRsForWavesPerEU: 35
; AccumOffset: 36
; Occupancy: 8
; WaveLimiterHint : 0
; COMPUTE_PGM_RSRC2:SCRATCH_EN: 0
; COMPUTE_PGM_RSRC2:USER_SGPR: 6
; COMPUTE_PGM_RSRC2:TRAP_HANDLER: 0
; COMPUTE_PGM_RSRC2:TGID_X_EN: 1
; COMPUTE_PGM_RSRC2:TGID_Y_EN: 1
; COMPUTE_PGM_RSRC2:TGID_Z_EN: 0
; COMPUTE_PGM_RSRC2:TIDIG_COMP_CNT: 0
; COMPUTE_PGM_RSRC3_GFX90A:ACCUM_OFFSET: 8
; COMPUTE_PGM_RSRC3_GFX90A:TG_SPLIT: 0
	.section	.text._ZN5aiter35fused_qk_rmsnorm_group_quant_kernelIDF16_DB8_Li128ELi16ELi4ELb0ELb1ELb0ELb1ELb0ELb0EEEvPT0_PvPT_S6_S6_PKS5_S8_S8_S8_S8_ffiiiiiiiiiiiii,"axG",@progbits,_ZN5aiter35fused_qk_rmsnorm_group_quant_kernelIDF16_DB8_Li128ELi16ELi4ELb0ELb1ELb0ELb1ELb0ELb0EEEvPT0_PvPT_S6_S6_PKS5_S8_S8_S8_S8_ffiiiiiiiiiiiii,comdat
	.protected	_ZN5aiter35fused_qk_rmsnorm_group_quant_kernelIDF16_DB8_Li128ELi16ELi4ELb0ELb1ELb0ELb1ELb0ELb0EEEvPT0_PvPT_S6_S6_PKS5_S8_S8_S8_S8_ffiiiiiiiiiiiii ; -- Begin function _ZN5aiter35fused_qk_rmsnorm_group_quant_kernelIDF16_DB8_Li128ELi16ELi4ELb0ELb1ELb0ELb1ELb0ELb0EEEvPT0_PvPT_S6_S6_PKS5_S8_S8_S8_S8_ffiiiiiiiiiiiii
	.globl	_ZN5aiter35fused_qk_rmsnorm_group_quant_kernelIDF16_DB8_Li128ELi16ELi4ELb0ELb1ELb0ELb1ELb0ELb0EEEvPT0_PvPT_S6_S6_PKS5_S8_S8_S8_S8_ffiiiiiiiiiiiii
	.p2align	8
	.type	_ZN5aiter35fused_qk_rmsnorm_group_quant_kernelIDF16_DB8_Li128ELi16ELi4ELb0ELb1ELb0ELb1ELb0ELb0EEEvPT0_PvPT_S6_S6_PKS5_S8_S8_S8_S8_ffiiiiiiiiiiiii,@function
_ZN5aiter35fused_qk_rmsnorm_group_quant_kernelIDF16_DB8_Li128ELi16ELi4ELb0ELb1ELb0ELb1ELb0ELb0EEEvPT0_PvPT_S6_S6_PKS5_S8_S8_S8_S8_ffiiiiiiiiiiiii: ; @_ZN5aiter35fused_qk_rmsnorm_group_quant_kernelIDF16_DB8_Li128ELi16ELi4ELb0ELb1ELb0ELb1ELb0ELb0EEEvPT0_PvPT_S6_S6_PKS5_S8_S8_S8_S8_ffiiiiiiiiiiiii
; %bb.0:
	s_load_dwordx4 s[12:15], s[4:5], 0x50
	s_waitcnt lgkmcnt(0)
	s_cmp_ge_i32 s6, s14
	s_cbranch_scc1 .LBB661_12
; %bb.1:
	s_load_dwordx2 s[24:25], s[4:5], 0x30
	s_load_dwordx2 s[8:9], s[4:5], 0x48
	s_load_dwordx4 s[16:19], s[4:5], 0x60
	s_cmp_lg_u32 s7, 0
	s_cselect_b64 s[10:11], -1, 0
	s_cmp_eq_u32 s7, 0
	s_cselect_b64 vcc, -1, 0
	s_and_b64 s[0:1], vcc, exec
	s_waitcnt lgkmcnt(0)
	s_cselect_b32 s7, s15, s16
	s_add_i32 s0, s7, 1
	s_lshr_b32 s1, s0, 31
	s_add_i32 s0, s0, s1
	s_lshl_b32 s0, s0, 1
	v_lshlrev_b32_e32 v1, 4, v0
	s_and_b32 s22, s0, -4
	v_cmp_gt_i32_e64 s[2:3], s7, v1
	v_mov_b32_e32 v18, 0
	v_mov_b32_e32 v6, 0
	;; [unrolled: 1-line block ×17, first 2 shown]
	s_and_saveexec_b64 s[0:1], s[2:3]
	s_cbranch_execz .LBB661_3
; %bb.2:
	s_load_dwordx2 s[14:15], s[4:5], 0x28
	s_load_dwordx2 s[20:21], s[4:5], 0x40
	s_and_b64 s[26:27], vcc, exec
	s_cselect_b32 s17, s17, s18
	s_mov_b32 s30, s22
	s_waitcnt lgkmcnt(0)
	s_cselect_b32 s19, s15, s25
	s_cselect_b32 s23, s14, s24
	s_mul_hi_i32 s15, s17, s6
	s_mul_i32 s14, s17, s6
	s_lshl_b64 s[14:15], s[14:15], 1
	s_add_u32 s28, s23, s14
	s_addc_u32 s17, s19, s15
	s_and_b64 s[14:15], vcc, exec
	s_mov_b32 s23, 0x20000
	s_cselect_b32 s20, s20, s8
	s_cselect_b32 s14, s21, s9
	s_and_b32 s29, s17, 0xffff
	s_mov_b32 s31, s23
	v_lshlrev_b32_e32 v19, 5, v0
	s_and_b32 s21, s14, 0xffff
	buffer_load_dwordx4 v[14:17], v19, s[28:31], 0 offen
	buffer_load_dwordx4 v[10:13], v19, s[28:31], 16 offen
	;; [unrolled: 1-line block ×4, first 2 shown]
.LBB661_3:
	s_or_b64 exec, exec, s[0:1]
	v_mov_b32_e32 v19, 0
	v_mov_b32_e32 v20, 0
	;; [unrolled: 1-line block ×15, first 2 shown]
	s_and_saveexec_b64 s[0:1], s[2:3]
	s_cbranch_execz .LBB661_5
; %bb.4:
	s_waitcnt vmcnt(3)
	v_cvt_f32_f16_sdwa v19, v14 dst_sel:DWORD dst_unused:UNUSED_PAD src0_sel:WORD_1
	v_cvt_f32_f16_e32 v18, v14
	v_cvt_f32_f16_sdwa v21, v15 dst_sel:DWORD dst_unused:UNUSED_PAD src0_sel:WORD_1
	v_cvt_f32_f16_e32 v20, v15
	;; [unrolled: 2-line block ×4, first 2 shown]
	s_waitcnt vmcnt(2)
	v_cvt_f32_f16_sdwa v25, v10 dst_sel:DWORD dst_unused:UNUSED_PAD src0_sel:WORD_1
	v_cvt_f32_f16_e32 v24, v10
	v_cvt_f32_f16_sdwa v29, v11 dst_sel:DWORD dst_unused:UNUSED_PAD src0_sel:WORD_1
	v_cvt_f32_f16_e32 v28, v11
	;; [unrolled: 2-line block ×4, first 2 shown]
.LBB661_5:
	s_or_b64 exec, exec, s[0:1]
	s_waitcnt vmcnt(2)
	v_mul_f32_e32 v10, v19, v19
	v_fmac_f32_e32 v10, v18, v18
	v_fmac_f32_e32 v10, v20, v20
	;; [unrolled: 1-line block ×15, first 2 shown]
	v_and_b32_e32 v12, 63, v0
	v_cmp_eq_u32_e64 s[0:1], 63, v12
	v_mov_b32_dpp v11, v10 quad_perm:[1,0,3,2] row_mask:0xf bank_mask:0xf
	v_add_f32_e32 v10, v10, v11
	s_nop 1
	v_mov_b32_dpp v11, v10 quad_perm:[2,3,0,1] row_mask:0xf bank_mask:0xf
	v_add_f32_e32 v10, v10, v11
	s_nop 1
	v_mov_b32_dpp v11, v10 row_half_mirror row_mask:0xf bank_mask:0xf
	v_add_f32_e32 v10, v10, v11
	s_nop 1
	v_mov_b32_dpp v11, v10 row_mirror row_mask:0xf bank_mask:0xf
	v_add_f32_e32 v10, v10, v11
	s_nop 1
	v_mov_b32_dpp v11, v10 row_bcast:15 row_mask:0xf bank_mask:0xf
	v_add_f32_e32 v10, v10, v11
	s_nop 1
	v_mov_b32_dpp v11, v10 row_bcast:31 row_mask:0xf bank_mask:0xf
	s_and_saveexec_b64 s[14:15], s[0:1]
	s_cbranch_execz .LBB661_7
; %bb.6:
	v_add_f32_e32 v10, v10, v11
	v_lshrrev_b32_e32 v11, 4, v0
	v_and_b32_e32 v11, 60, v11
	ds_write_b32 v11, v10 offset:8
.LBB661_7:
	s_or_b64 exec, exec, s[14:15]
	v_and_b32_e32 v10, 1, v0
	v_lshlrev_b32_e32 v34, 2, v10
	s_waitcnt lgkmcnt(0)
	s_barrier
	ds_read_b32 v10, v34 offset:8
	s_load_dwordx2 s[14:15], s[4:5], 0x18
	s_waitcnt lgkmcnt(0)
	v_mov_b32_dpp v11, v10 quad_perm:[1,0,3,2] row_mask:0xf bank_mask:0xf
	s_and_saveexec_b64 s[20:21], s[2:3]
	s_cbranch_execz .LBB661_9
; %bb.8:
	v_cvt_f32_u32_e32 v12, s7
	v_add_f32_e32 v10, v10, v11
	v_mov_b32_e32 v14, s13
	v_mov_b32_e32 v15, s12
	v_div_scale_f32 v11, s[26:27], v12, v12, v10
	v_rcp_f32_e32 v13, v11
	v_cndmask_b32_e32 v14, v14, v15, vcc
	s_mov_b32 s7, 0x800000
	v_fma_f32 v15, -v11, v13, 1.0
	v_fmac_f32_e32 v13, v15, v13
	v_div_scale_f32 v15, vcc, v10, v12, v10
	v_mul_f32_e32 v16, v15, v13
	v_fma_f32 v17, -v11, v16, v15
	v_fmac_f32_e32 v16, v17, v13
	v_fma_f32 v11, -v11, v16, v15
	v_div_fmas_f32 v11, v11, v13, v16
	v_div_fixup_f32 v10, v11, v12, v10
	v_add_f32_e32 v10, v14, v10
	v_mul_f32_e32 v11, 0x4b800000, v10
	v_cmp_gt_f32_e32 vcc, s7, v10
	v_cndmask_b32_e32 v10, v10, v11, vcc
	v_rsq_f32_e32 v10, v10
	v_mul_f32_e32 v11, 0x45800000, v10
	v_cndmask_b32_e32 v10, v10, v11, vcc
	v_mov_b32_e32 v11, v10
	;;#ASMSTART
	v_pk_mul_f32 v[12:13], v[18:19], v[10:11]
	;;#ASMEND
	;;#ASMSTART
	v_pk_mul_f32 v[14:15], v[20:21], v[10:11]
	;;#ASMEND
	;; [unrolled: 3-line block ×8, first 2 shown]
	s_waitcnt vmcnt(1)
	v_cvt_f32_f16_sdwa v19, v6 dst_sel:DWORD dst_unused:UNUSED_PAD src0_sel:WORD_1
	v_cvt_f32_f16_e32 v18, v6
	v_cvt_f32_f16_sdwa v21, v7 dst_sel:DWORD dst_unused:UNUSED_PAD src0_sel:WORD_1
	v_cvt_f32_f16_e32 v20, v7
	;; [unrolled: 2-line block ×4, first 2 shown]
	;;#ASMSTART
	v_pk_mul_f32 v[18:19], v[12:13], v[18:19]
	;;#ASMEND
	;;#ASMSTART
	v_pk_mul_f32 v[20:21], v[14:15], v[20:21]
	;;#ASMEND
	;; [unrolled: 3-line block ×4, first 2 shown]
	s_waitcnt vmcnt(0)
	v_cvt_f32_f16_sdwa v7, v2 dst_sel:DWORD dst_unused:UNUSED_PAD src0_sel:WORD_1
	v_cvt_f32_f16_e32 v6, v2
	v_cvt_f32_f16_sdwa v9, v3 dst_sel:DWORD dst_unused:UNUSED_PAD src0_sel:WORD_1
	v_cvt_f32_f16_e32 v8, v3
	;; [unrolled: 2-line block ×4, first 2 shown]
	;;#ASMSTART
	v_pk_mul_f32 v[24:25], v[24:25], v[6:7]
	;;#ASMEND
	;;#ASMSTART
	v_pk_mul_f32 v[28:29], v[28:29], v[8:9]
	;;#ASMEND
	;;#ASMSTART
	v_pk_mul_f32 v[30:31], v[30:31], v[2:3]
	;;#ASMEND
	;;#ASMSTART
	v_pk_mul_f32 v[32:33], v[10:11], v[12:13]
	;;#ASMEND
.LBB661_9:
	s_or_b64 exec, exec, s[20:21]
	s_load_dwordx2 s[26:27], s[4:5], 0x7c
	s_mov_b64 s[20:21], -1
	s_and_b64 vcc, exec, s[10:11]
	s_cbranch_vccnz .LBB661_13
; %bb.10:
	s_andn2_b64 vcc, exec, s[20:21]
	s_cbranch_vccz .LBB661_16
.LBB661_11:
	s_cmp_lt_i32 s16, 1
	s_cbranch_scc0 .LBB661_19
.LBB661_12:
	s_endpgm
.LBB661_13:
	s_and_saveexec_b64 s[10:11], s[2:3]
	s_cbranch_execz .LBB661_15
; %bb.14:
	s_waitcnt lgkmcnt(0)
	s_mul_hi_i32 s21, s27, s6
	s_mul_i32 s20, s27, s6
	s_waitcnt vmcnt(0)
	v_cvt_f16_f32_e32 v2, v18
	v_cvt_f16_f32_e32 v3, v20
	v_cvt_f16_f32_e32 v4, v22
	v_cvt_f16_f32_e32 v5, v26
	v_cvt_f16_f32_e32 v6, v27
	v_cvt_f16_f32_e32 v7, v23
	v_cvt_f16_f32_e32 v8, v21
	v_cvt_f16_f32_e32 v9, v19
	s_lshl_b64 s[20:21], s[20:21], 1
	s_add_u32 s20, s14, s20
	s_addc_u32 s7, s15, s21
	s_and_b32 s21, s7, 0xffff
	s_mov_b32 s23, 0x20000
	v_pack_b32_f16 v5, v5, v6
	v_pack_b32_f16 v4, v4, v7
	;; [unrolled: 1-line block ×4, first 2 shown]
	v_lshlrev_b32_e32 v6, 5, v0
	buffer_store_dwordx4 v[2:5], v6, s[20:23], 0 offen
	v_cvt_f16_f32_e32 v7, v33
	v_cvt_f16_f32_e32 v2, v24
	;; [unrolled: 1-line block ×8, first 2 shown]
	v_pack_b32_f16 v5, v5, v7
	v_pack_b32_f16 v4, v4, v8
	;; [unrolled: 1-line block ×4, first 2 shown]
	;;#ASMSTART
	s_nop 0
	;;#ASMEND
	buffer_store_dwordx4 v[2:5], v6, s[20:23], 16 offen
	;;#ASMSTART
	s_nop 0
	;;#ASMEND
.LBB661_15:
	s_or_b64 exec, exec, s[10:11]
	s_cbranch_execnz .LBB661_11
.LBB661_16:
	s_and_saveexec_b64 s[10:11], s[2:3]
	s_cbranch_execz .LBB661_18
; %bb.17:
	s_load_dwordx2 s[2:3], s[4:5], 0x10
	s_waitcnt lgkmcnt(0)
	s_mul_hi_i32 s21, s26, s6
	s_mul_i32 s20, s26, s6
	s_waitcnt vmcnt(0)
	v_cvt_f16_f32_e32 v2, v18
	v_cvt_f16_f32_e32 v3, v20
	;; [unrolled: 1-line block ×8, first 2 shown]
	s_lshl_b64 s[20:21], s[20:21], 1
	s_add_u32 s20, s2, s20
	s_addc_u32 s2, s3, s21
	s_mov_b32 s23, 0x20000
	s_and_b32 s21, s2, 0xffff
	v_pack_b32_f16 v5, v5, v6
	v_pack_b32_f16 v4, v4, v7
	;; [unrolled: 1-line block ×4, first 2 shown]
	v_lshlrev_b32_e32 v6, 5, v0
	buffer_store_dwordx4 v[2:5], v6, s[20:23], 0 offen
	v_cvt_f16_f32_e32 v7, v33
	v_cvt_f16_f32_e32 v2, v24
	v_cvt_f16_f32_e32 v3, v28
	v_cvt_f16_f32_e32 v4, v30
	v_cvt_f16_f32_e32 v5, v32
	v_cvt_f16_f32_e32 v8, v31
	v_cvt_f16_f32_e32 v9, v29
	v_cvt_f16_f32_e32 v10, v25
	v_pack_b32_f16 v5, v5, v7
	v_pack_b32_f16 v4, v4, v8
	;; [unrolled: 1-line block ×4, first 2 shown]
	;;#ASMSTART
	s_nop 0
	;;#ASMEND
	buffer_store_dwordx4 v[2:5], v6, s[20:23], 16 offen
	;;#ASMSTART
	s_nop 0
	;;#ASMEND
.LBB661_18:
	s_or_b64 exec, exec, s[10:11]
	s_cmp_lt_i32 s16, 1
	s_cbranch_scc1 .LBB661_12
.LBB661_19:
	s_load_dword s2, s[4:5], 0x94
	s_waitcnt lgkmcnt(0)
	s_cmp_lg_u32 s2, 1
	s_cbranch_scc1 .LBB661_12
; %bb.20:
	s_lshl_b32 s2, s16, 1
	s_add_i32 s2, s2, 2
	v_cmp_gt_u32_e32 vcc, s16, v1
	s_and_b32 s10, s2, -4
	v_mov_b32_e32 v18, 0
	v_lshlrev_b32_e32 v1, 5, v0
	v_mov_b32_e32 v14, 0
	v_mov_b32_e32 v15, 0
	;; [unrolled: 1-line block ×8, first 2 shown]
	s_waitcnt vmcnt(1)
	v_mov_b32_e32 v6, 0
	v_mov_b32_e32 v7, 0
	;; [unrolled: 1-line block ×4, first 2 shown]
	s_waitcnt vmcnt(0)
	v_mov_b32_e32 v2, 0
	v_mov_b32_e32 v3, 0
	;; [unrolled: 1-line block ×4, first 2 shown]
	s_barrier
	s_and_saveexec_b64 s[2:3], vcc
	s_cbranch_execz .LBB661_22
; %bb.21:
	s_mul_hi_i32 s5, s18, s6
	s_mul_i32 s4, s18, s6
	s_and_b32 s9, s9, 0xffff
	s_lshl_b64 s[4:5], s[4:5], 1
	s_add_u32 s20, s24, s4
	s_mov_b32 s11, 0x20000
	s_addc_u32 s4, s25, s5
	s_and_b32 s21, s4, 0xffff
	s_mov_b32 s22, s10
	s_mov_b32 s23, s11
	buffer_load_dwordx4 v[14:17], v1, s[20:23], 0 offen
	buffer_load_dwordx4 v[10:13], v1, s[20:23], 16 offen
	;; [unrolled: 1-line block ×4, first 2 shown]
.LBB661_22:
	s_or_b64 exec, exec, s[2:3]
	v_mov_b32_e32 v19, 0
	v_mov_b32_e32 v32, 0
	;; [unrolled: 1-line block ×15, first 2 shown]
	s_and_saveexec_b64 s[2:3], vcc
	s_cbranch_execz .LBB661_24
; %bb.23:
	s_waitcnt vmcnt(3)
	v_cvt_f32_f16_sdwa v19, v14 dst_sel:DWORD dst_unused:UNUSED_PAD src0_sel:WORD_1
	v_cvt_f32_f16_e32 v18, v14
	v_cvt_f32_f16_sdwa v33, v15 dst_sel:DWORD dst_unused:UNUSED_PAD src0_sel:WORD_1
	v_cvt_f32_f16_e32 v32, v15
	;; [unrolled: 2-line block ×4, first 2 shown]
	s_waitcnt vmcnt(2)
	v_cvt_f32_f16_sdwa v27, v10 dst_sel:DWORD dst_unused:UNUSED_PAD src0_sel:WORD_1
	v_cvt_f32_f16_e32 v26, v10
	v_cvt_f32_f16_sdwa v25, v11 dst_sel:DWORD dst_unused:UNUSED_PAD src0_sel:WORD_1
	v_cvt_f32_f16_e32 v24, v11
	;; [unrolled: 2-line block ×4, first 2 shown]
.LBB661_24:
	s_or_b64 exec, exec, s[2:3]
	s_waitcnt vmcnt(2)
	v_mul_f32_e32 v10, v19, v19
	v_fmac_f32_e32 v10, v18, v18
	v_fmac_f32_e32 v10, v32, v32
	;; [unrolled: 1-line block ×15, first 2 shown]
	s_nop 1
	v_mov_b32_dpp v11, v10 quad_perm:[1,0,3,2] row_mask:0xf bank_mask:0xf
	v_add_f32_e32 v10, v10, v11
	s_nop 1
	v_mov_b32_dpp v11, v10 quad_perm:[2,3,0,1] row_mask:0xf bank_mask:0xf
	v_add_f32_e32 v10, v10, v11
	s_nop 1
	v_mov_b32_dpp v11, v10 row_half_mirror row_mask:0xf bank_mask:0xf
	v_add_f32_e32 v10, v10, v11
	s_nop 1
	v_mov_b32_dpp v11, v10 row_mirror row_mask:0xf bank_mask:0xf
	v_add_f32_e32 v10, v10, v11
	s_nop 1
	v_mov_b32_dpp v11, v10 row_bcast:15 row_mask:0xf bank_mask:0xf
	v_add_f32_e32 v10, v10, v11
	s_nop 1
	v_mov_b32_dpp v11, v10 row_bcast:31 row_mask:0xf bank_mask:0xf
	s_and_saveexec_b64 s[2:3], s[0:1]
	s_cbranch_execz .LBB661_26
; %bb.25:
	v_lshrrev_b32_e32 v0, 4, v0
	v_add_f32_e32 v10, v10, v11
	v_and_b32_e32 v0, 60, v0
	ds_write_b32 v0, v10
.LBB661_26:
	s_or_b64 exec, exec, s[2:3]
	s_waitcnt lgkmcnt(0)
	s_barrier
	ds_read_b32 v0, v34
	s_waitcnt lgkmcnt(0)
	s_nop 0
	v_mov_b32_dpp v10, v0 quad_perm:[1,0,3,2] row_mask:0xf bank_mask:0xf
	s_and_saveexec_b64 s[0:1], vcc
	s_cbranch_execz .LBB661_12
; %bb.27:
	v_cvt_f32_u32_e32 v11, s16
	v_add_f32_e32 v0, v0, v10
	s_mov_b32 s11, 0x20000
	v_div_scale_f32 v10, s[0:1], v11, v11, v0
	v_rcp_f32_e32 v12, v10
	v_div_scale_f32 v13, vcc, v0, v11, v0
	s_mov_b32 s0, 0x800000
	v_fma_f32 v14, -v10, v12, 1.0
	v_fmac_f32_e32 v12, v14, v12
	v_mul_f32_e32 v14, v13, v12
	v_fma_f32 v15, -v10, v14, v13
	v_fmac_f32_e32 v14, v15, v12
	v_fma_f32 v10, -v10, v14, v13
	v_div_fmas_f32 v10, v10, v12, v14
	v_div_fixup_f32 v0, v10, v11, v0
	v_add_f32_e32 v0, s13, v0
	v_mul_f32_e32 v10, 0x4b800000, v0
	v_cmp_gt_f32_e32 vcc, s0, v0
	v_cndmask_b32_e32 v0, v0, v10, vcc
	v_rsq_f32_e32 v0, v0
	s_mul_hi_i32 s1, s27, s6
	s_mul_i32 s0, s27, s6
	s_lshl_b64 s[0:1], s[0:1], 1
	v_mul_f32_e32 v10, 0x45800000, v0
	v_cndmask_b32_e32 v10, v0, v10, vcc
	v_mov_b32_e32 v11, v10
	;;#ASMSTART
	v_pk_mul_f32 v[12:13], v[18:19], v[10:11]
	;;#ASMEND
	;;#ASMSTART
	v_pk_mul_f32 v[14:15], v[32:33], v[10:11]
	;;#ASMEND
	;; [unrolled: 3-line block ×8, first 2 shown]
	s_waitcnt vmcnt(1)
	v_cvt_f32_f16_sdwa v21, v6 dst_sel:DWORD dst_unused:UNUSED_PAD src0_sel:WORD_1
	v_cvt_f32_f16_e32 v20, v6
	v_cvt_f32_f16_sdwa v29, v7 dst_sel:DWORD dst_unused:UNUSED_PAD src0_sel:WORD_1
	v_cvt_f32_f16_e32 v28, v7
	;; [unrolled: 2-line block ×4, first 2 shown]
	;;#ASMSTART
	v_pk_mul_f32 v[8:9], v[12:13], v[20:21]
	;;#ASMEND
	;;#ASMSTART
	v_pk_mul_f32 v[12:13], v[14:15], v[28:29]
	;;#ASMEND
	;;#ASMSTART
	v_pk_mul_f32 v[6:7], v[16:17], v[6:7]
	;;#ASMEND
	;;#ASMSTART
	v_pk_mul_f32 v[14:15], v[18:19], v[30:31]
	;;#ASMEND
	s_waitcnt vmcnt(0)
	v_cvt_f32_f16_sdwa v17, v2 dst_sel:DWORD dst_unused:UNUSED_PAD src0_sel:WORD_1
	v_cvt_f32_f16_e32 v16, v2
	v_cvt_f32_f16_sdwa v19, v3 dst_sel:DWORD dst_unused:UNUSED_PAD src0_sel:WORD_1
	v_cvt_f32_f16_e32 v18, v3
	v_cvt_f32_f16_sdwa v3, v4 dst_sel:DWORD dst_unused:UNUSED_PAD src0_sel:WORD_1
	v_cvt_f32_f16_e32 v2, v4
	v_cvt_f32_f16_sdwa v21, v5 dst_sel:DWORD dst_unused:UNUSED_PAD src0_sel:WORD_1
	v_cvt_f32_f16_e32 v20, v5
	;;#ASMSTART
	v_pk_mul_f32 v[16:17], v[26:27], v[16:17]
	;;#ASMEND
	;;#ASMSTART
	v_pk_mul_f32 v[18:19], v[24:25], v[18:19]
	;;#ASMEND
	;; [unrolled: 3-line block ×3, first 2 shown]
	v_cvt_f16_f32_e32 v0, v8
	v_cvt_f16_f32_e32 v2, v9
	;; [unrolled: 1-line block ×8, first 2 shown]
	s_add_u32 s8, s14, s0
	s_addc_u32 s0, s15, s1
	s_and_b32 s9, s0, 0xffff
	v_pack_b32_f16 v2, v0, v2
	v_pack_b32_f16 v3, v3, v4
	;; [unrolled: 1-line block ×4, first 2 shown]
	;;#ASMSTART
	v_pk_mul_f32 v[10:11], v[10:11], v[20:21]
	;;#ASMEND
	buffer_store_dwordx4 v[2:5], v1, s[8:11], 0 offen
	v_cvt_f16_f32_e32 v0, v16
	v_cvt_f16_f32_e32 v2, v17
	;; [unrolled: 1-line block ×8, first 2 shown]
	v_pack_b32_f16 v2, v0, v2
	v_pack_b32_f16 v3, v3, v4
	;; [unrolled: 1-line block ×4, first 2 shown]
	;;#ASMSTART
	s_nop 0
	;;#ASMEND
	buffer_store_dwordx4 v[2:5], v1, s[8:11], 16 offen
	;;#ASMSTART
	s_nop 0
	;;#ASMEND
	s_endpgm
	.section	.rodata,"a",@progbits
	.p2align	6, 0x0
	.amdhsa_kernel _ZN5aiter35fused_qk_rmsnorm_group_quant_kernelIDF16_DB8_Li128ELi16ELi4ELb0ELb1ELb0ELb1ELb0ELb0EEEvPT0_PvPT_S6_S6_PKS5_S8_S8_S8_S8_ffiiiiiiiiiiiii
		.amdhsa_group_segment_fixed_size 16
		.amdhsa_private_segment_fixed_size 0
		.amdhsa_kernarg_size 400
		.amdhsa_user_sgpr_count 6
		.amdhsa_user_sgpr_private_segment_buffer 1
		.amdhsa_user_sgpr_dispatch_ptr 0
		.amdhsa_user_sgpr_queue_ptr 0
		.amdhsa_user_sgpr_kernarg_segment_ptr 1
		.amdhsa_user_sgpr_dispatch_id 0
		.amdhsa_user_sgpr_flat_scratch_init 0
		.amdhsa_user_sgpr_kernarg_preload_length 0
		.amdhsa_user_sgpr_kernarg_preload_offset 0
		.amdhsa_user_sgpr_private_segment_size 0
		.amdhsa_uses_dynamic_stack 0
		.amdhsa_system_sgpr_private_segment_wavefront_offset 0
		.amdhsa_system_sgpr_workgroup_id_x 1
		.amdhsa_system_sgpr_workgroup_id_y 1
		.amdhsa_system_sgpr_workgroup_id_z 0
		.amdhsa_system_sgpr_workgroup_info 0
		.amdhsa_system_vgpr_workitem_id 0
		.amdhsa_next_free_vgpr 35
		.amdhsa_next_free_sgpr 32
		.amdhsa_accum_offset 36
		.amdhsa_reserve_vcc 1
		.amdhsa_reserve_flat_scratch 0
		.amdhsa_float_round_mode_32 0
		.amdhsa_float_round_mode_16_64 0
		.amdhsa_float_denorm_mode_32 3
		.amdhsa_float_denorm_mode_16_64 3
		.amdhsa_dx10_clamp 1
		.amdhsa_ieee_mode 1
		.amdhsa_fp16_overflow 0
		.amdhsa_tg_split 0
		.amdhsa_exception_fp_ieee_invalid_op 0
		.amdhsa_exception_fp_denorm_src 0
		.amdhsa_exception_fp_ieee_div_zero 0
		.amdhsa_exception_fp_ieee_overflow 0
		.amdhsa_exception_fp_ieee_underflow 0
		.amdhsa_exception_fp_ieee_inexact 0
		.amdhsa_exception_int_div_zero 0
	.end_amdhsa_kernel
	.section	.text._ZN5aiter35fused_qk_rmsnorm_group_quant_kernelIDF16_DB8_Li128ELi16ELi4ELb0ELb1ELb0ELb1ELb0ELb0EEEvPT0_PvPT_S6_S6_PKS5_S8_S8_S8_S8_ffiiiiiiiiiiiii,"axG",@progbits,_ZN5aiter35fused_qk_rmsnorm_group_quant_kernelIDF16_DB8_Li128ELi16ELi4ELb0ELb1ELb0ELb1ELb0ELb0EEEvPT0_PvPT_S6_S6_PKS5_S8_S8_S8_S8_ffiiiiiiiiiiiii,comdat
.Lfunc_end661:
	.size	_ZN5aiter35fused_qk_rmsnorm_group_quant_kernelIDF16_DB8_Li128ELi16ELi4ELb0ELb1ELb0ELb1ELb0ELb0EEEvPT0_PvPT_S6_S6_PKS5_S8_S8_S8_S8_ffiiiiiiiiiiiii, .Lfunc_end661-_ZN5aiter35fused_qk_rmsnorm_group_quant_kernelIDF16_DB8_Li128ELi16ELi4ELb0ELb1ELb0ELb1ELb0ELb0EEEvPT0_PvPT_S6_S6_PKS5_S8_S8_S8_S8_ffiiiiiiiiiiiii
                                        ; -- End function
	.section	.AMDGPU.csdata,"",@progbits
; Kernel info:
; codeLenInByte = 2808
; NumSgprs: 36
; NumVgprs: 35
; NumAgprs: 0
; TotalNumVgprs: 35
; ScratchSize: 0
; MemoryBound: 0
; FloatMode: 240
; IeeeMode: 1
; LDSByteSize: 16 bytes/workgroup (compile time only)
; SGPRBlocks: 4
; VGPRBlocks: 4
; NumSGPRsForWavesPerEU: 36
; NumVGPRsForWavesPerEU: 35
; AccumOffset: 36
; Occupancy: 8
; WaveLimiterHint : 0
; COMPUTE_PGM_RSRC2:SCRATCH_EN: 0
; COMPUTE_PGM_RSRC2:USER_SGPR: 6
; COMPUTE_PGM_RSRC2:TRAP_HANDLER: 0
; COMPUTE_PGM_RSRC2:TGID_X_EN: 1
; COMPUTE_PGM_RSRC2:TGID_Y_EN: 1
; COMPUTE_PGM_RSRC2:TGID_Z_EN: 0
; COMPUTE_PGM_RSRC2:TIDIG_COMP_CNT: 0
; COMPUTE_PGM_RSRC3_GFX90A:ACCUM_OFFSET: 8
; COMPUTE_PGM_RSRC3_GFX90A:TG_SPLIT: 0
	.section	.text._ZN5aiter35fused_qk_rmsnorm_group_quant_kernelItDB8_Li128ELi16ELi4ELb0ELb1ELb0ELb1ELb0ELb0EEEvPT0_PvPT_S6_S6_PKS5_S8_S8_S8_S8_ffiiiiiiiiiiiii,"axG",@progbits,_ZN5aiter35fused_qk_rmsnorm_group_quant_kernelItDB8_Li128ELi16ELi4ELb0ELb1ELb0ELb1ELb0ELb0EEEvPT0_PvPT_S6_S6_PKS5_S8_S8_S8_S8_ffiiiiiiiiiiiii,comdat
	.protected	_ZN5aiter35fused_qk_rmsnorm_group_quant_kernelItDB8_Li128ELi16ELi4ELb0ELb1ELb0ELb1ELb0ELb0EEEvPT0_PvPT_S6_S6_PKS5_S8_S8_S8_S8_ffiiiiiiiiiiiii ; -- Begin function _ZN5aiter35fused_qk_rmsnorm_group_quant_kernelItDB8_Li128ELi16ELi4ELb0ELb1ELb0ELb1ELb0ELb0EEEvPT0_PvPT_S6_S6_PKS5_S8_S8_S8_S8_ffiiiiiiiiiiiii
	.globl	_ZN5aiter35fused_qk_rmsnorm_group_quant_kernelItDB8_Li128ELi16ELi4ELb0ELb1ELb0ELb1ELb0ELb0EEEvPT0_PvPT_S6_S6_PKS5_S8_S8_S8_S8_ffiiiiiiiiiiiii
	.p2align	8
	.type	_ZN5aiter35fused_qk_rmsnorm_group_quant_kernelItDB8_Li128ELi16ELi4ELb0ELb1ELb0ELb1ELb0ELb0EEEvPT0_PvPT_S6_S6_PKS5_S8_S8_S8_S8_ffiiiiiiiiiiiii,@function
_ZN5aiter35fused_qk_rmsnorm_group_quant_kernelItDB8_Li128ELi16ELi4ELb0ELb1ELb0ELb1ELb0ELb0EEEvPT0_PvPT_S6_S6_PKS5_S8_S8_S8_S8_ffiiiiiiiiiiiii: ; @_ZN5aiter35fused_qk_rmsnorm_group_quant_kernelItDB8_Li128ELi16ELi4ELb0ELb1ELb0ELb1ELb0ELb0EEEvPT0_PvPT_S6_S6_PKS5_S8_S8_S8_S8_ffiiiiiiiiiiiii
; %bb.0:
	s_load_dwordx4 s[12:15], s[4:5], 0x50
	s_waitcnt lgkmcnt(0)
	s_cmp_ge_i32 s6, s14
	s_cbranch_scc1 .LBB662_12
; %bb.1:
	s_load_dwordx2 s[24:25], s[4:5], 0x30
	s_load_dwordx2 s[8:9], s[4:5], 0x48
	s_load_dwordx4 s[16:19], s[4:5], 0x60
	s_cmp_lg_u32 s7, 0
	s_cselect_b64 s[10:11], -1, 0
	s_cmp_eq_u32 s7, 0
	s_cselect_b64 vcc, -1, 0
	s_and_b64 s[0:1], vcc, exec
	s_waitcnt lgkmcnt(0)
	s_cselect_b32 s7, s15, s16
	s_add_i32 s0, s7, 1
	s_lshr_b32 s1, s0, 31
	s_add_i32 s0, s0, s1
	s_lshl_b32 s0, s0, 1
	v_lshlrev_b32_e32 v1, 4, v0
	s_and_b32 s22, s0, -4
	v_cmp_gt_i32_e64 s[2:3], s7, v1
	v_mov_b32_e32 v18, 0
	v_mov_b32_e32 v6, 0
	;; [unrolled: 1-line block ×17, first 2 shown]
	s_and_saveexec_b64 s[0:1], s[2:3]
	s_cbranch_execz .LBB662_3
; %bb.2:
	s_load_dwordx2 s[14:15], s[4:5], 0x28
	s_load_dwordx2 s[20:21], s[4:5], 0x40
	s_and_b64 s[26:27], vcc, exec
	s_cselect_b32 s17, s17, s18
	s_mov_b32 s30, s22
	s_waitcnt lgkmcnt(0)
	s_cselect_b32 s19, s15, s25
	s_cselect_b32 s23, s14, s24
	s_mul_hi_i32 s15, s17, s6
	s_mul_i32 s14, s17, s6
	s_lshl_b64 s[14:15], s[14:15], 1
	s_add_u32 s28, s23, s14
	s_addc_u32 s17, s19, s15
	s_and_b64 s[14:15], vcc, exec
	s_mov_b32 s23, 0x20000
	s_cselect_b32 s20, s20, s8
	s_cselect_b32 s14, s21, s9
	s_and_b32 s29, s17, 0xffff
	s_mov_b32 s31, s23
	v_lshlrev_b32_e32 v19, 5, v0
	s_and_b32 s21, s14, 0xffff
	buffer_load_dwordx4 v[14:17], v19, s[28:31], 0 offen
	buffer_load_dwordx4 v[10:13], v19, s[28:31], 16 offen
	;; [unrolled: 1-line block ×4, first 2 shown]
.LBB662_3:
	s_or_b64 exec, exec, s[0:1]
	v_mov_b32_e32 v19, 0
	v_mov_b32_e32 v20, 0
	;; [unrolled: 1-line block ×15, first 2 shown]
	s_and_saveexec_b64 s[0:1], s[2:3]
	s_cbranch_execz .LBB662_5
; %bb.4:
	s_waitcnt vmcnt(3)
	v_cvt_f32_u32_sdwa v18, v14 dst_sel:DWORD dst_unused:UNUSED_PAD src0_sel:WORD_0
	v_cvt_f32_u32_sdwa v19, v14 dst_sel:DWORD dst_unused:UNUSED_PAD src0_sel:WORD_1
	v_cvt_f32_u32_sdwa v20, v15 dst_sel:DWORD dst_unused:UNUSED_PAD src0_sel:WORD_0
	v_cvt_f32_u32_sdwa v21, v15 dst_sel:DWORD dst_unused:UNUSED_PAD src0_sel:WORD_1
	;; [unrolled: 2-line block ×4, first 2 shown]
	s_waitcnt vmcnt(2)
	v_cvt_f32_u32_sdwa v26, v10 dst_sel:DWORD dst_unused:UNUSED_PAD src0_sel:WORD_0
	v_cvt_f32_u32_sdwa v27, v10 dst_sel:DWORD dst_unused:UNUSED_PAD src0_sel:WORD_1
	v_cvt_f32_u32_sdwa v28, v11 dst_sel:DWORD dst_unused:UNUSED_PAD src0_sel:WORD_0
	v_cvt_f32_u32_sdwa v29, v11 dst_sel:DWORD dst_unused:UNUSED_PAD src0_sel:WORD_1
	;; [unrolled: 2-line block ×4, first 2 shown]
.LBB662_5:
	s_or_b64 exec, exec, s[0:1]
	s_waitcnt vmcnt(2)
	v_mul_f32_e32 v10, v19, v19
	v_fmac_f32_e32 v10, v18, v18
	v_fmac_f32_e32 v10, v20, v20
	;; [unrolled: 1-line block ×15, first 2 shown]
	v_and_b32_e32 v12, 63, v0
	v_cmp_eq_u32_e64 s[0:1], 63, v12
	v_mov_b32_dpp v11, v10 quad_perm:[1,0,3,2] row_mask:0xf bank_mask:0xf
	v_add_f32_e32 v10, v10, v11
	s_nop 1
	v_mov_b32_dpp v11, v10 quad_perm:[2,3,0,1] row_mask:0xf bank_mask:0xf
	v_add_f32_e32 v10, v10, v11
	s_nop 1
	v_mov_b32_dpp v11, v10 row_half_mirror row_mask:0xf bank_mask:0xf
	v_add_f32_e32 v10, v10, v11
	s_nop 1
	v_mov_b32_dpp v11, v10 row_mirror row_mask:0xf bank_mask:0xf
	v_add_f32_e32 v10, v10, v11
	s_nop 1
	v_mov_b32_dpp v11, v10 row_bcast:15 row_mask:0xf bank_mask:0xf
	v_add_f32_e32 v10, v10, v11
	s_nop 1
	v_mov_b32_dpp v11, v10 row_bcast:31 row_mask:0xf bank_mask:0xf
	s_and_saveexec_b64 s[14:15], s[0:1]
	s_cbranch_execz .LBB662_7
; %bb.6:
	v_add_f32_e32 v10, v10, v11
	v_lshrrev_b32_e32 v11, 4, v0
	v_and_b32_e32 v11, 60, v11
	ds_write_b32 v11, v10 offset:8
.LBB662_7:
	s_or_b64 exec, exec, s[14:15]
	v_and_b32_e32 v10, 1, v0
	v_lshlrev_b32_e32 v34, 2, v10
	s_waitcnt lgkmcnt(0)
	s_barrier
	ds_read_b32 v10, v34 offset:8
	s_load_dwordx2 s[14:15], s[4:5], 0x18
	s_waitcnt lgkmcnt(0)
	v_mov_b32_dpp v11, v10 quad_perm:[1,0,3,2] row_mask:0xf bank_mask:0xf
	s_and_saveexec_b64 s[20:21], s[2:3]
	s_cbranch_execz .LBB662_9
; %bb.8:
	v_cvt_f32_u32_e32 v12, s7
	v_add_f32_e32 v10, v10, v11
	v_mov_b32_e32 v14, s13
	v_mov_b32_e32 v15, s12
	v_div_scale_f32 v11, s[26:27], v12, v12, v10
	v_rcp_f32_e32 v13, v11
	v_cndmask_b32_e32 v14, v14, v15, vcc
	s_mov_b32 s7, 0x800000
	v_fma_f32 v15, -v11, v13, 1.0
	v_fmac_f32_e32 v13, v15, v13
	v_div_scale_f32 v15, vcc, v10, v12, v10
	v_mul_f32_e32 v16, v15, v13
	v_fma_f32 v17, -v11, v16, v15
	v_fmac_f32_e32 v16, v17, v13
	v_fma_f32 v11, -v11, v16, v15
	v_div_fmas_f32 v11, v11, v13, v16
	v_div_fixup_f32 v10, v11, v12, v10
	v_add_f32_e32 v10, v14, v10
	v_mul_f32_e32 v11, 0x4b800000, v10
	v_cmp_gt_f32_e32 vcc, s7, v10
	v_cndmask_b32_e32 v10, v10, v11, vcc
	v_rsq_f32_e32 v10, v10
	v_mul_f32_e32 v11, 0x45800000, v10
	v_cndmask_b32_e32 v10, v10, v11, vcc
	v_mov_b32_e32 v11, v10
	;;#ASMSTART
	v_pk_mul_f32 v[12:13], v[18:19], v[10:11]
	;;#ASMEND
	;;#ASMSTART
	v_pk_mul_f32 v[14:15], v[20:21], v[10:11]
	;;#ASMEND
	;; [unrolled: 3-line block ×8, first 2 shown]
	s_waitcnt vmcnt(1)
	v_cvt_f32_u32_sdwa v19, v6 dst_sel:DWORD dst_unused:UNUSED_PAD src0_sel:WORD_1
	v_cvt_f32_u32_sdwa v18, v6 dst_sel:DWORD dst_unused:UNUSED_PAD src0_sel:WORD_0
	v_cvt_f32_u32_sdwa v21, v7 dst_sel:DWORD dst_unused:UNUSED_PAD src0_sel:WORD_1
	v_cvt_f32_u32_sdwa v20, v7 dst_sel:DWORD dst_unused:UNUSED_PAD src0_sel:WORD_0
	;; [unrolled: 2-line block ×4, first 2 shown]
	;;#ASMSTART
	v_pk_mul_f32 v[18:19], v[12:13], v[18:19]
	;;#ASMEND
	;;#ASMSTART
	v_pk_mul_f32 v[20:21], v[14:15], v[20:21]
	;;#ASMEND
	;; [unrolled: 3-line block ×4, first 2 shown]
	s_waitcnt vmcnt(0)
	v_cvt_f32_u32_sdwa v7, v2 dst_sel:DWORD dst_unused:UNUSED_PAD src0_sel:WORD_1
	v_cvt_f32_u32_sdwa v6, v2 dst_sel:DWORD dst_unused:UNUSED_PAD src0_sel:WORD_0
	v_cvt_f32_u32_sdwa v9, v3 dst_sel:DWORD dst_unused:UNUSED_PAD src0_sel:WORD_1
	v_cvt_f32_u32_sdwa v8, v3 dst_sel:DWORD dst_unused:UNUSED_PAD src0_sel:WORD_0
	;; [unrolled: 2-line block ×4, first 2 shown]
	;;#ASMSTART
	v_pk_mul_f32 v[26:27], v[26:27], v[6:7]
	;;#ASMEND
	;;#ASMSTART
	v_pk_mul_f32 v[28:29], v[28:29], v[8:9]
	;;#ASMEND
	;;#ASMSTART
	v_pk_mul_f32 v[30:31], v[30:31], v[2:3]
	;;#ASMEND
	;;#ASMSTART
	v_pk_mul_f32 v[32:33], v[10:11], v[12:13]
	;;#ASMEND
.LBB662_9:
	s_or_b64 exec, exec, s[20:21]
	s_load_dwordx2 s[26:27], s[4:5], 0x7c
	s_mov_b64 s[20:21], -1
	s_and_b64 vcc, exec, s[10:11]
	s_cbranch_vccnz .LBB662_13
; %bb.10:
	s_andn2_b64 vcc, exec, s[20:21]
	s_cbranch_vccz .LBB662_16
.LBB662_11:
	s_cmp_lt_i32 s16, 1
	s_cbranch_scc0 .LBB662_19
.LBB662_12:
	s_endpgm
.LBB662_13:
	s_and_saveexec_b64 s[10:11], s[2:3]
	s_cbranch_execz .LBB662_15
; %bb.14:
	s_waitcnt lgkmcnt(0)
	s_mul_hi_i32 s21, s27, s6
	s_mul_i32 s20, s27, s6
	s_lshl_b64 s[20:21], s[20:21], 1
	s_add_u32 s20, s14, s20
	s_addc_u32 s7, s15, s21
	s_and_b32 s21, s7, 0xffff
	s_mov_b32 s7, 0x7060302
	s_mov_b32 s23, 0x20000
	s_waitcnt vmcnt(0)
	v_perm_b32 v5, v25, v24, s7
	v_perm_b32 v4, v23, v22, s7
	;; [unrolled: 1-line block ×4, first 2 shown]
	v_lshlrev_b32_e32 v6, 5, v0
	buffer_store_dwordx4 v[2:5], v6, s[20:23], 0 offen
	;;#ASMSTART
	s_nop 0
	;;#ASMEND
	s_nop 0
	v_perm_b32 v5, v33, v32, s7
	v_perm_b32 v4, v31, v30, s7
	;; [unrolled: 1-line block ×4, first 2 shown]
	buffer_store_dwordx4 v[2:5], v6, s[20:23], 16 offen
	;;#ASMSTART
	s_nop 0
	;;#ASMEND
.LBB662_15:
	s_or_b64 exec, exec, s[10:11]
	s_cbranch_execnz .LBB662_11
.LBB662_16:
	s_and_saveexec_b64 s[10:11], s[2:3]
	s_cbranch_execz .LBB662_18
; %bb.17:
	s_load_dwordx2 s[2:3], s[4:5], 0x10
	s_waitcnt lgkmcnt(0)
	s_mul_hi_i32 s21, s26, s6
	s_mul_i32 s20, s26, s6
	s_lshl_b64 s[20:21], s[20:21], 1
	s_mov_b32 s23, 0x20000
	s_add_u32 s20, s2, s20
	s_addc_u32 s2, s3, s21
	s_and_b32 s21, s2, 0xffff
	s_mov_b32 s2, 0x7060302
	s_waitcnt vmcnt(0)
	v_perm_b32 v5, v25, v24, s2
	v_perm_b32 v4, v23, v22, s2
	;; [unrolled: 1-line block ×4, first 2 shown]
	v_lshlrev_b32_e32 v6, 5, v0
	buffer_store_dwordx4 v[2:5], v6, s[20:23], 0 offen
	;;#ASMSTART
	s_nop 0
	;;#ASMEND
	s_nop 0
	v_perm_b32 v5, v33, v32, s2
	v_perm_b32 v4, v31, v30, s2
	;; [unrolled: 1-line block ×4, first 2 shown]
	buffer_store_dwordx4 v[2:5], v6, s[20:23], 16 offen
	;;#ASMSTART
	s_nop 0
	;;#ASMEND
.LBB662_18:
	s_or_b64 exec, exec, s[10:11]
	s_cmp_lt_i32 s16, 1
	s_cbranch_scc1 .LBB662_12
.LBB662_19:
	s_load_dword s2, s[4:5], 0x94
	s_waitcnt lgkmcnt(0)
	s_cmp_lg_u32 s2, 1
	s_cbranch_scc1 .LBB662_12
; %bb.20:
	s_lshl_b32 s2, s16, 1
	s_add_i32 s2, s2, 2
	v_cmp_gt_u32_e32 vcc, s16, v1
	s_and_b32 s10, s2, -4
	v_mov_b32_e32 v18, 0
	v_lshlrev_b32_e32 v1, 5, v0
	v_mov_b32_e32 v14, 0
	v_mov_b32_e32 v15, 0
	;; [unrolled: 1-line block ×8, first 2 shown]
	s_waitcnt vmcnt(1)
	v_mov_b32_e32 v6, 0
	v_mov_b32_e32 v7, 0
	;; [unrolled: 1-line block ×4, first 2 shown]
	s_waitcnt vmcnt(0)
	v_mov_b32_e32 v2, 0
	v_mov_b32_e32 v3, 0
	;; [unrolled: 1-line block ×4, first 2 shown]
	s_barrier
	s_and_saveexec_b64 s[2:3], vcc
	s_cbranch_execz .LBB662_22
; %bb.21:
	s_mul_hi_i32 s5, s18, s6
	s_mul_i32 s4, s18, s6
	s_and_b32 s9, s9, 0xffff
	s_lshl_b64 s[4:5], s[4:5], 1
	s_add_u32 s20, s24, s4
	s_mov_b32 s11, 0x20000
	s_addc_u32 s4, s25, s5
	s_and_b32 s21, s4, 0xffff
	s_mov_b32 s22, s10
	s_mov_b32 s23, s11
	buffer_load_dwordx4 v[14:17], v1, s[20:23], 0 offen
	buffer_load_dwordx4 v[10:13], v1, s[20:23], 16 offen
	;; [unrolled: 1-line block ×4, first 2 shown]
.LBB662_22:
	s_or_b64 exec, exec, s[2:3]
	v_mov_b32_e32 v19, 0
	v_mov_b32_e32 v32, 0
	;; [unrolled: 1-line block ×15, first 2 shown]
	s_and_saveexec_b64 s[2:3], vcc
	s_cbranch_execz .LBB662_24
; %bb.23:
	s_waitcnt vmcnt(3)
	v_cvt_f32_u32_sdwa v18, v14 dst_sel:DWORD dst_unused:UNUSED_PAD src0_sel:WORD_0
	v_cvt_f32_u32_sdwa v19, v14 dst_sel:DWORD dst_unused:UNUSED_PAD src0_sel:WORD_1
	v_cvt_f32_u32_sdwa v32, v15 dst_sel:DWORD dst_unused:UNUSED_PAD src0_sel:WORD_0
	v_cvt_f32_u32_sdwa v33, v15 dst_sel:DWORD dst_unused:UNUSED_PAD src0_sel:WORD_1
	;; [unrolled: 2-line block ×4, first 2 shown]
	s_waitcnt vmcnt(2)
	v_cvt_f32_u32_sdwa v26, v10 dst_sel:DWORD dst_unused:UNUSED_PAD src0_sel:WORD_0
	v_cvt_f32_u32_sdwa v27, v10 dst_sel:DWORD dst_unused:UNUSED_PAD src0_sel:WORD_1
	v_cvt_f32_u32_sdwa v24, v11 dst_sel:DWORD dst_unused:UNUSED_PAD src0_sel:WORD_0
	v_cvt_f32_u32_sdwa v25, v11 dst_sel:DWORD dst_unused:UNUSED_PAD src0_sel:WORD_1
	;; [unrolled: 2-line block ×4, first 2 shown]
.LBB662_24:
	s_or_b64 exec, exec, s[2:3]
	s_waitcnt vmcnt(2)
	v_mul_f32_e32 v10, v19, v19
	v_fmac_f32_e32 v10, v18, v18
	v_fmac_f32_e32 v10, v32, v32
	;; [unrolled: 1-line block ×15, first 2 shown]
	s_nop 1
	v_mov_b32_dpp v11, v10 quad_perm:[1,0,3,2] row_mask:0xf bank_mask:0xf
	v_add_f32_e32 v10, v10, v11
	s_nop 1
	v_mov_b32_dpp v11, v10 quad_perm:[2,3,0,1] row_mask:0xf bank_mask:0xf
	v_add_f32_e32 v10, v10, v11
	s_nop 1
	v_mov_b32_dpp v11, v10 row_half_mirror row_mask:0xf bank_mask:0xf
	v_add_f32_e32 v10, v10, v11
	s_nop 1
	v_mov_b32_dpp v11, v10 row_mirror row_mask:0xf bank_mask:0xf
	v_add_f32_e32 v10, v10, v11
	s_nop 1
	v_mov_b32_dpp v11, v10 row_bcast:15 row_mask:0xf bank_mask:0xf
	v_add_f32_e32 v10, v10, v11
	s_nop 1
	v_mov_b32_dpp v11, v10 row_bcast:31 row_mask:0xf bank_mask:0xf
	s_and_saveexec_b64 s[2:3], s[0:1]
	s_cbranch_execz .LBB662_26
; %bb.25:
	v_lshrrev_b32_e32 v0, 4, v0
	v_add_f32_e32 v10, v10, v11
	v_and_b32_e32 v0, 60, v0
	ds_write_b32 v0, v10
.LBB662_26:
	s_or_b64 exec, exec, s[2:3]
	s_waitcnt lgkmcnt(0)
	s_barrier
	ds_read_b32 v0, v34
	s_waitcnt lgkmcnt(0)
	s_nop 0
	v_mov_b32_dpp v10, v0 quad_perm:[1,0,3,2] row_mask:0xf bank_mask:0xf
	s_and_saveexec_b64 s[0:1], vcc
	s_cbranch_execz .LBB662_12
; %bb.27:
	v_cvt_f32_u32_e32 v11, s16
	v_add_f32_e32 v0, v0, v10
	s_mov_b32 s11, 0x20000
	v_div_scale_f32 v10, s[0:1], v11, v11, v0
	v_rcp_f32_e32 v12, v10
	v_div_scale_f32 v13, vcc, v0, v11, v0
	s_mov_b32 s0, 0x800000
	v_fma_f32 v14, -v10, v12, 1.0
	v_fmac_f32_e32 v12, v14, v12
	v_mul_f32_e32 v14, v13, v12
	v_fma_f32 v15, -v10, v14, v13
	v_fmac_f32_e32 v14, v15, v12
	v_fma_f32 v10, -v10, v14, v13
	v_div_fmas_f32 v10, v10, v12, v14
	v_div_fixup_f32 v0, v10, v11, v0
	v_add_f32_e32 v0, s13, v0
	v_mul_f32_e32 v10, 0x4b800000, v0
	v_cmp_gt_f32_e32 vcc, s0, v0
	v_cndmask_b32_e32 v0, v0, v10, vcc
	v_rsq_f32_e32 v0, v0
	s_mul_hi_i32 s1, s27, s6
	s_mul_i32 s0, s27, s6
	s_lshl_b64 s[0:1], s[0:1], 1
	v_mul_f32_e32 v10, 0x45800000, v0
	v_cndmask_b32_e32 v10, v0, v10, vcc
	v_mov_b32_e32 v11, v10
	s_add_u32 s8, s14, s0
	;;#ASMSTART
	v_pk_mul_f32 v[12:13], v[18:19], v[10:11]
	;;#ASMEND
	;;#ASMSTART
	v_pk_mul_f32 v[14:15], v[32:33], v[10:11]
	;;#ASMEND
	;; [unrolled: 3-line block ×8, first 2 shown]
	s_waitcnt vmcnt(1)
	v_cvt_f32_u32_sdwa v21, v6 dst_sel:DWORD dst_unused:UNUSED_PAD src0_sel:WORD_1
	v_cvt_f32_u32_sdwa v20, v6 dst_sel:DWORD dst_unused:UNUSED_PAD src0_sel:WORD_0
	v_cvt_f32_u32_sdwa v29, v7 dst_sel:DWORD dst_unused:UNUSED_PAD src0_sel:WORD_1
	v_cvt_f32_u32_sdwa v28, v7 dst_sel:DWORD dst_unused:UNUSED_PAD src0_sel:WORD_0
	;; [unrolled: 2-line block ×3, first 2 shown]
	s_addc_u32 s0, s15, s1
	v_cvt_f32_u32_sdwa v31, v9 dst_sel:DWORD dst_unused:UNUSED_PAD src0_sel:WORD_1
	v_cvt_f32_u32_sdwa v30, v9 dst_sel:DWORD dst_unused:UNUSED_PAD src0_sel:WORD_0
	;;#ASMSTART
	v_pk_mul_f32 v[8:9], v[12:13], v[20:21]
	;;#ASMEND
	;;#ASMSTART
	v_pk_mul_f32 v[12:13], v[14:15], v[28:29]
	;;#ASMEND
	;; [unrolled: 3-line block ×4, first 2 shown]
	s_waitcnt vmcnt(0)
	v_cvt_f32_u32_sdwa v17, v2 dst_sel:DWORD dst_unused:UNUSED_PAD src0_sel:WORD_1
	v_cvt_f32_u32_sdwa v16, v2 dst_sel:DWORD dst_unused:UNUSED_PAD src0_sel:WORD_0
	v_cvt_f32_u32_sdwa v19, v3 dst_sel:DWORD dst_unused:UNUSED_PAD src0_sel:WORD_1
	v_cvt_f32_u32_sdwa v18, v3 dst_sel:DWORD dst_unused:UNUSED_PAD src0_sel:WORD_0
	;; [unrolled: 2-line block ×3, first 2 shown]
	s_and_b32 s9, s0, 0xffff
	s_mov_b32 s0, 0x7060302
	v_cvt_f32_u32_sdwa v21, v5 dst_sel:DWORD dst_unused:UNUSED_PAD src0_sel:WORD_1
	v_cvt_f32_u32_sdwa v20, v5 dst_sel:DWORD dst_unused:UNUSED_PAD src0_sel:WORD_0
	;;#ASMSTART
	v_pk_mul_f32 v[16:17], v[26:27], v[16:17]
	;;#ASMEND
	;;#ASMSTART
	v_pk_mul_f32 v[18:19], v[24:25], v[18:19]
	;;#ASMEND
	;; [unrolled: 3-line block ×3, first 2 shown]
	v_perm_b32 v2, v9, v8, s0
	v_perm_b32 v3, v13, v12, s0
	;; [unrolled: 1-line block ×4, first 2 shown]
	;;#ASMSTART
	v_pk_mul_f32 v[10:11], v[10:11], v[20:21]
	;;#ASMEND
	buffer_store_dwordx4 v[2:5], v1, s[8:11], 0 offen
	;;#ASMSTART
	s_nop 0
	;;#ASMEND
	s_nop 0
	v_perm_b32 v2, v17, v16, s0
	v_perm_b32 v3, v19, v18, s0
	;; [unrolled: 1-line block ×4, first 2 shown]
	buffer_store_dwordx4 v[2:5], v1, s[8:11], 16 offen
	;;#ASMSTART
	s_nop 0
	;;#ASMEND
	s_endpgm
	.section	.rodata,"a",@progbits
	.p2align	6, 0x0
	.amdhsa_kernel _ZN5aiter35fused_qk_rmsnorm_group_quant_kernelItDB8_Li128ELi16ELi4ELb0ELb1ELb0ELb1ELb0ELb0EEEvPT0_PvPT_S6_S6_PKS5_S8_S8_S8_S8_ffiiiiiiiiiiiii
		.amdhsa_group_segment_fixed_size 16
		.amdhsa_private_segment_fixed_size 0
		.amdhsa_kernarg_size 400
		.amdhsa_user_sgpr_count 6
		.amdhsa_user_sgpr_private_segment_buffer 1
		.amdhsa_user_sgpr_dispatch_ptr 0
		.amdhsa_user_sgpr_queue_ptr 0
		.amdhsa_user_sgpr_kernarg_segment_ptr 1
		.amdhsa_user_sgpr_dispatch_id 0
		.amdhsa_user_sgpr_flat_scratch_init 0
		.amdhsa_user_sgpr_kernarg_preload_length 0
		.amdhsa_user_sgpr_kernarg_preload_offset 0
		.amdhsa_user_sgpr_private_segment_size 0
		.amdhsa_uses_dynamic_stack 0
		.amdhsa_system_sgpr_private_segment_wavefront_offset 0
		.amdhsa_system_sgpr_workgroup_id_x 1
		.amdhsa_system_sgpr_workgroup_id_y 1
		.amdhsa_system_sgpr_workgroup_id_z 0
		.amdhsa_system_sgpr_workgroup_info 0
		.amdhsa_system_vgpr_workitem_id 0
		.amdhsa_next_free_vgpr 35
		.amdhsa_next_free_sgpr 32
		.amdhsa_accum_offset 36
		.amdhsa_reserve_vcc 1
		.amdhsa_reserve_flat_scratch 0
		.amdhsa_float_round_mode_32 0
		.amdhsa_float_round_mode_16_64 0
		.amdhsa_float_denorm_mode_32 3
		.amdhsa_float_denorm_mode_16_64 3
		.amdhsa_dx10_clamp 1
		.amdhsa_ieee_mode 1
		.amdhsa_fp16_overflow 0
		.amdhsa_tg_split 0
		.amdhsa_exception_fp_ieee_invalid_op 0
		.amdhsa_exception_fp_denorm_src 0
		.amdhsa_exception_fp_ieee_div_zero 0
		.amdhsa_exception_fp_ieee_overflow 0
		.amdhsa_exception_fp_ieee_underflow 0
		.amdhsa_exception_fp_ieee_inexact 0
		.amdhsa_exception_int_div_zero 0
	.end_amdhsa_kernel
	.section	.text._ZN5aiter35fused_qk_rmsnorm_group_quant_kernelItDB8_Li128ELi16ELi4ELb0ELb1ELb0ELb1ELb0ELb0EEEvPT0_PvPT_S6_S6_PKS5_S8_S8_S8_S8_ffiiiiiiiiiiiii,"axG",@progbits,_ZN5aiter35fused_qk_rmsnorm_group_quant_kernelItDB8_Li128ELi16ELi4ELb0ELb1ELb0ELb1ELb0ELb0EEEvPT0_PvPT_S6_S6_PKS5_S8_S8_S8_S8_ffiiiiiiiiiiiii,comdat
.Lfunc_end662:
	.size	_ZN5aiter35fused_qk_rmsnorm_group_quant_kernelItDB8_Li128ELi16ELi4ELb0ELb1ELb0ELb1ELb0ELb0EEEvPT0_PvPT_S6_S6_PKS5_S8_S8_S8_S8_ffiiiiiiiiiiiii, .Lfunc_end662-_ZN5aiter35fused_qk_rmsnorm_group_quant_kernelItDB8_Li128ELi16ELi4ELb0ELb1ELb0ELb1ELb0ELb0EEEvPT0_PvPT_S6_S6_PKS5_S8_S8_S8_S8_ffiiiiiiiiiiiii
                                        ; -- End function
	.section	.AMDGPU.csdata,"",@progbits
; Kernel info:
; codeLenInByte = 2780
; NumSgprs: 36
; NumVgprs: 35
; NumAgprs: 0
; TotalNumVgprs: 35
; ScratchSize: 0
; MemoryBound: 0
; FloatMode: 240
; IeeeMode: 1
; LDSByteSize: 16 bytes/workgroup (compile time only)
; SGPRBlocks: 4
; VGPRBlocks: 4
; NumSGPRsForWavesPerEU: 36
; NumVGPRsForWavesPerEU: 35
; AccumOffset: 36
; Occupancy: 8
; WaveLimiterHint : 0
; COMPUTE_PGM_RSRC2:SCRATCH_EN: 0
; COMPUTE_PGM_RSRC2:USER_SGPR: 6
; COMPUTE_PGM_RSRC2:TRAP_HANDLER: 0
; COMPUTE_PGM_RSRC2:TGID_X_EN: 1
; COMPUTE_PGM_RSRC2:TGID_Y_EN: 1
; COMPUTE_PGM_RSRC2:TGID_Z_EN: 0
; COMPUTE_PGM_RSRC2:TIDIG_COMP_CNT: 0
; COMPUTE_PGM_RSRC3_GFX90A:ACCUM_OFFSET: 8
; COMPUTE_PGM_RSRC3_GFX90A:TG_SPLIT: 0
	.section	.text._ZN5aiter35fused_qk_rmsnorm_group_quant_kernelIDF16_N4opus5fp4_tELi128ELi16ELi4ELb0ELb1ELb0ELb1ELb0ELb0EEEvPT0_PvPT_S7_S7_PKS6_S9_S9_S9_S9_ffiiiiiiiiiiiii,"axG",@progbits,_ZN5aiter35fused_qk_rmsnorm_group_quant_kernelIDF16_N4opus5fp4_tELi128ELi16ELi4ELb0ELb1ELb0ELb1ELb0ELb0EEEvPT0_PvPT_S7_S7_PKS6_S9_S9_S9_S9_ffiiiiiiiiiiiii,comdat
	.protected	_ZN5aiter35fused_qk_rmsnorm_group_quant_kernelIDF16_N4opus5fp4_tELi128ELi16ELi4ELb0ELb1ELb0ELb1ELb0ELb0EEEvPT0_PvPT_S7_S7_PKS6_S9_S9_S9_S9_ffiiiiiiiiiiiii ; -- Begin function _ZN5aiter35fused_qk_rmsnorm_group_quant_kernelIDF16_N4opus5fp4_tELi128ELi16ELi4ELb0ELb1ELb0ELb1ELb0ELb0EEEvPT0_PvPT_S7_S7_PKS6_S9_S9_S9_S9_ffiiiiiiiiiiiii
	.globl	_ZN5aiter35fused_qk_rmsnorm_group_quant_kernelIDF16_N4opus5fp4_tELi128ELi16ELi4ELb0ELb1ELb0ELb1ELb0ELb0EEEvPT0_PvPT_S7_S7_PKS6_S9_S9_S9_S9_ffiiiiiiiiiiiii
	.p2align	8
	.type	_ZN5aiter35fused_qk_rmsnorm_group_quant_kernelIDF16_N4opus5fp4_tELi128ELi16ELi4ELb0ELb1ELb0ELb1ELb0ELb0EEEvPT0_PvPT_S7_S7_PKS6_S9_S9_S9_S9_ffiiiiiiiiiiiii,@function
_ZN5aiter35fused_qk_rmsnorm_group_quant_kernelIDF16_N4opus5fp4_tELi128ELi16ELi4ELb0ELb1ELb0ELb1ELb0ELb0EEEvPT0_PvPT_S7_S7_PKS6_S9_S9_S9_S9_ffiiiiiiiiiiiii: ; @_ZN5aiter35fused_qk_rmsnorm_group_quant_kernelIDF16_N4opus5fp4_tELi128ELi16ELi4ELb0ELb1ELb0ELb1ELb0ELb0EEEvPT0_PvPT_S7_S7_PKS6_S9_S9_S9_S9_ffiiiiiiiiiiiii
; %bb.0:
	s_load_dwordx4 s[12:15], s[4:5], 0x50
	s_waitcnt lgkmcnt(0)
	s_cmp_ge_i32 s6, s14
	s_cbranch_scc1 .LBB663_12
; %bb.1:
	s_load_dwordx2 s[24:25], s[4:5], 0x30
	s_load_dwordx2 s[8:9], s[4:5], 0x48
	s_load_dwordx4 s[16:19], s[4:5], 0x60
	s_cmp_lg_u32 s7, 0
	s_cselect_b64 s[10:11], -1, 0
	s_cmp_eq_u32 s7, 0
	s_cselect_b64 vcc, -1, 0
	s_and_b64 s[0:1], vcc, exec
	s_waitcnt lgkmcnt(0)
	s_cselect_b32 s7, s15, s16
	s_add_i32 s0, s7, 1
	s_lshr_b32 s1, s0, 31
	s_add_i32 s0, s0, s1
	s_lshl_b32 s0, s0, 1
	v_lshlrev_b32_e32 v1, 4, v0
	s_and_b32 s22, s0, -4
	v_cmp_gt_i32_e64 s[2:3], s7, v1
	v_mov_b32_e32 v18, 0
	v_mov_b32_e32 v6, 0
	v_mov_b32_e32 v7, 0
	v_mov_b32_e32 v8, 0
	v_mov_b32_e32 v9, 0
	v_mov_b32_e32 v2, 0
	v_mov_b32_e32 v3, 0
	v_mov_b32_e32 v4, 0
	v_mov_b32_e32 v5, 0
	v_mov_b32_e32 v14, 0
	v_mov_b32_e32 v15, 0
	v_mov_b32_e32 v16, 0
	v_mov_b32_e32 v17, 0
	v_mov_b32_e32 v10, 0
	v_mov_b32_e32 v11, 0
	v_mov_b32_e32 v12, 0
	v_mov_b32_e32 v13, 0
	s_and_saveexec_b64 s[0:1], s[2:3]
	s_cbranch_execz .LBB663_3
; %bb.2:
	s_load_dwordx2 s[14:15], s[4:5], 0x28
	s_load_dwordx2 s[20:21], s[4:5], 0x40
	s_and_b64 s[26:27], vcc, exec
	s_cselect_b32 s17, s17, s18
	s_mov_b32 s30, s22
	s_waitcnt lgkmcnt(0)
	s_cselect_b32 s19, s15, s25
	s_cselect_b32 s23, s14, s24
	s_mul_hi_i32 s15, s17, s6
	s_mul_i32 s14, s17, s6
	s_lshl_b64 s[14:15], s[14:15], 1
	s_add_u32 s28, s23, s14
	s_addc_u32 s17, s19, s15
	s_and_b64 s[14:15], vcc, exec
	s_mov_b32 s23, 0x20000
	s_cselect_b32 s20, s20, s8
	s_cselect_b32 s14, s21, s9
	s_and_b32 s29, s17, 0xffff
	s_mov_b32 s31, s23
	v_lshlrev_b32_e32 v19, 5, v0
	s_and_b32 s21, s14, 0xffff
	buffer_load_dwordx4 v[14:17], v19, s[28:31], 0 offen
	buffer_load_dwordx4 v[10:13], v19, s[28:31], 16 offen
	buffer_load_dwordx4 v[6:9], v19, s[20:23], 0 offen
	buffer_load_dwordx4 v[2:5], v19, s[20:23], 16 offen
.LBB663_3:
	s_or_b64 exec, exec, s[0:1]
	v_mov_b32_e32 v19, 0
	v_mov_b32_e32 v20, 0
	;; [unrolled: 1-line block ×15, first 2 shown]
	s_and_saveexec_b64 s[0:1], s[2:3]
	s_cbranch_execz .LBB663_5
; %bb.4:
	s_waitcnt vmcnt(3)
	v_cvt_f32_f16_sdwa v19, v14 dst_sel:DWORD dst_unused:UNUSED_PAD src0_sel:WORD_1
	v_cvt_f32_f16_e32 v18, v14
	v_cvt_f32_f16_sdwa v21, v15 dst_sel:DWORD dst_unused:UNUSED_PAD src0_sel:WORD_1
	v_cvt_f32_f16_e32 v20, v15
	;; [unrolled: 2-line block ×4, first 2 shown]
	s_waitcnt vmcnt(2)
	v_cvt_f32_f16_sdwa v25, v10 dst_sel:DWORD dst_unused:UNUSED_PAD src0_sel:WORD_1
	v_cvt_f32_f16_e32 v24, v10
	v_cvt_f32_f16_sdwa v29, v11 dst_sel:DWORD dst_unused:UNUSED_PAD src0_sel:WORD_1
	v_cvt_f32_f16_e32 v28, v11
	;; [unrolled: 2-line block ×4, first 2 shown]
.LBB663_5:
	s_or_b64 exec, exec, s[0:1]
	s_waitcnt vmcnt(2)
	v_mul_f32_e32 v10, v19, v19
	v_fmac_f32_e32 v10, v18, v18
	v_fmac_f32_e32 v10, v20, v20
	;; [unrolled: 1-line block ×15, first 2 shown]
	v_and_b32_e32 v12, 63, v0
	v_cmp_eq_u32_e64 s[0:1], 63, v12
	v_mov_b32_dpp v11, v10 quad_perm:[1,0,3,2] row_mask:0xf bank_mask:0xf
	v_add_f32_e32 v10, v10, v11
	s_nop 1
	v_mov_b32_dpp v11, v10 quad_perm:[2,3,0,1] row_mask:0xf bank_mask:0xf
	v_add_f32_e32 v10, v10, v11
	s_nop 1
	v_mov_b32_dpp v11, v10 row_half_mirror row_mask:0xf bank_mask:0xf
	v_add_f32_e32 v10, v10, v11
	s_nop 1
	v_mov_b32_dpp v11, v10 row_mirror row_mask:0xf bank_mask:0xf
	v_add_f32_e32 v10, v10, v11
	s_nop 1
	v_mov_b32_dpp v11, v10 row_bcast:15 row_mask:0xf bank_mask:0xf
	v_add_f32_e32 v10, v10, v11
	s_nop 1
	v_mov_b32_dpp v11, v10 row_bcast:31 row_mask:0xf bank_mask:0xf
	s_and_saveexec_b64 s[14:15], s[0:1]
	s_cbranch_execz .LBB663_7
; %bb.6:
	v_add_f32_e32 v10, v10, v11
	v_lshrrev_b32_e32 v11, 4, v0
	v_and_b32_e32 v11, 60, v11
	ds_write_b32 v11, v10 offset:8
.LBB663_7:
	s_or_b64 exec, exec, s[14:15]
	v_and_b32_e32 v10, 1, v0
	v_lshlrev_b32_e32 v34, 2, v10
	s_waitcnt lgkmcnt(0)
	s_barrier
	ds_read_b32 v10, v34 offset:8
	s_load_dwordx2 s[14:15], s[4:5], 0x18
	s_waitcnt lgkmcnt(0)
	v_mov_b32_dpp v11, v10 quad_perm:[1,0,3,2] row_mask:0xf bank_mask:0xf
	s_and_saveexec_b64 s[20:21], s[2:3]
	s_cbranch_execz .LBB663_9
; %bb.8:
	v_cvt_f32_u32_e32 v12, s7
	v_add_f32_e32 v10, v10, v11
	v_mov_b32_e32 v14, s13
	v_mov_b32_e32 v15, s12
	v_div_scale_f32 v11, s[26:27], v12, v12, v10
	v_rcp_f32_e32 v13, v11
	v_cndmask_b32_e32 v14, v14, v15, vcc
	s_mov_b32 s7, 0x800000
	v_fma_f32 v15, -v11, v13, 1.0
	v_fmac_f32_e32 v13, v15, v13
	v_div_scale_f32 v15, vcc, v10, v12, v10
	v_mul_f32_e32 v16, v15, v13
	v_fma_f32 v17, -v11, v16, v15
	v_fmac_f32_e32 v16, v17, v13
	v_fma_f32 v11, -v11, v16, v15
	v_div_fmas_f32 v11, v11, v13, v16
	v_div_fixup_f32 v10, v11, v12, v10
	v_add_f32_e32 v10, v14, v10
	v_mul_f32_e32 v11, 0x4b800000, v10
	v_cmp_gt_f32_e32 vcc, s7, v10
	v_cndmask_b32_e32 v10, v10, v11, vcc
	v_rsq_f32_e32 v10, v10
	v_mul_f32_e32 v11, 0x45800000, v10
	v_cndmask_b32_e32 v10, v10, v11, vcc
	v_mov_b32_e32 v11, v10
	;;#ASMSTART
	v_pk_mul_f32 v[12:13], v[18:19], v[10:11]
	;;#ASMEND
	;;#ASMSTART
	v_pk_mul_f32 v[14:15], v[20:21], v[10:11]
	;;#ASMEND
	;; [unrolled: 3-line block ×8, first 2 shown]
	s_waitcnt vmcnt(1)
	v_cvt_f32_f16_sdwa v19, v6 dst_sel:DWORD dst_unused:UNUSED_PAD src0_sel:WORD_1
	v_cvt_f32_f16_e32 v18, v6
	v_cvt_f32_f16_sdwa v21, v7 dst_sel:DWORD dst_unused:UNUSED_PAD src0_sel:WORD_1
	v_cvt_f32_f16_e32 v20, v7
	v_cvt_f32_f16_sdwa v7, v8 dst_sel:DWORD dst_unused:UNUSED_PAD src0_sel:WORD_1
	v_cvt_f32_f16_e32 v6, v8
	v_cvt_f32_f16_sdwa v33, v9 dst_sel:DWORD dst_unused:UNUSED_PAD src0_sel:WORD_1
	v_cvt_f32_f16_e32 v32, v9
	;;#ASMSTART
	v_pk_mul_f32 v[18:19], v[12:13], v[18:19]
	;;#ASMEND
	;;#ASMSTART
	v_pk_mul_f32 v[20:21], v[14:15], v[20:21]
	;;#ASMEND
	;; [unrolled: 3-line block ×4, first 2 shown]
	s_waitcnt vmcnt(0)
	v_cvt_f32_f16_sdwa v7, v2 dst_sel:DWORD dst_unused:UNUSED_PAD src0_sel:WORD_1
	v_cvt_f32_f16_e32 v6, v2
	v_cvt_f32_f16_sdwa v9, v3 dst_sel:DWORD dst_unused:UNUSED_PAD src0_sel:WORD_1
	v_cvt_f32_f16_e32 v8, v3
	;; [unrolled: 2-line block ×4, first 2 shown]
	;;#ASMSTART
	v_pk_mul_f32 v[24:25], v[24:25], v[6:7]
	;;#ASMEND
	;;#ASMSTART
	v_pk_mul_f32 v[28:29], v[28:29], v[8:9]
	;;#ASMEND
	;; [unrolled: 3-line block ×4, first 2 shown]
.LBB663_9:
	s_or_b64 exec, exec, s[20:21]
	s_load_dwordx2 s[26:27], s[4:5], 0x7c
	s_mov_b64 s[20:21], -1
	s_and_b64 vcc, exec, s[10:11]
	s_cbranch_vccnz .LBB663_13
; %bb.10:
	s_andn2_b64 vcc, exec, s[20:21]
	s_cbranch_vccz .LBB663_16
.LBB663_11:
	s_cmp_lt_i32 s16, 1
	s_cbranch_scc0 .LBB663_19
.LBB663_12:
	s_endpgm
.LBB663_13:
	s_and_saveexec_b64 s[10:11], s[2:3]
	s_cbranch_execz .LBB663_15
; %bb.14:
	s_waitcnt lgkmcnt(0)
	s_mul_hi_i32 s21, s27, s6
	s_mul_i32 s20, s27, s6
	s_waitcnt vmcnt(0)
	v_cvt_f16_f32_e32 v2, v18
	v_cvt_f16_f32_e32 v3, v20
	;; [unrolled: 1-line block ×8, first 2 shown]
	s_lshl_b64 s[20:21], s[20:21], 1
	s_add_u32 s20, s14, s20
	s_addc_u32 s7, s15, s21
	s_and_b32 s21, s7, 0xffff
	s_mov_b32 s23, 0x20000
	v_pack_b32_f16 v5, v5, v6
	v_pack_b32_f16 v4, v4, v7
	;; [unrolled: 1-line block ×4, first 2 shown]
	v_lshlrev_b32_e32 v6, 5, v0
	buffer_store_dwordx4 v[2:5], v6, s[20:23], 0 offen
	v_cvt_f16_f32_e32 v7, v33
	v_cvt_f16_f32_e32 v2, v24
	;; [unrolled: 1-line block ×8, first 2 shown]
	v_pack_b32_f16 v5, v5, v7
	v_pack_b32_f16 v4, v4, v8
	;; [unrolled: 1-line block ×4, first 2 shown]
	;;#ASMSTART
	s_nop 0
	;;#ASMEND
	buffer_store_dwordx4 v[2:5], v6, s[20:23], 16 offen
	;;#ASMSTART
	s_nop 0
	;;#ASMEND
.LBB663_15:
	s_or_b64 exec, exec, s[10:11]
	s_cbranch_execnz .LBB663_11
.LBB663_16:
	s_and_saveexec_b64 s[10:11], s[2:3]
	s_cbranch_execz .LBB663_18
; %bb.17:
	s_load_dwordx2 s[2:3], s[4:5], 0x10
	s_waitcnt lgkmcnt(0)
	s_mul_hi_i32 s21, s26, s6
	s_mul_i32 s20, s26, s6
	s_waitcnt vmcnt(0)
	v_cvt_f16_f32_e32 v2, v18
	v_cvt_f16_f32_e32 v3, v20
	;; [unrolled: 1-line block ×8, first 2 shown]
	s_lshl_b64 s[20:21], s[20:21], 1
	s_add_u32 s20, s2, s20
	s_addc_u32 s2, s3, s21
	s_mov_b32 s23, 0x20000
	s_and_b32 s21, s2, 0xffff
	v_pack_b32_f16 v5, v5, v6
	v_pack_b32_f16 v4, v4, v7
	;; [unrolled: 1-line block ×4, first 2 shown]
	v_lshlrev_b32_e32 v6, 5, v0
	buffer_store_dwordx4 v[2:5], v6, s[20:23], 0 offen
	v_cvt_f16_f32_e32 v7, v33
	v_cvt_f16_f32_e32 v2, v24
	;; [unrolled: 1-line block ×8, first 2 shown]
	v_pack_b32_f16 v5, v5, v7
	v_pack_b32_f16 v4, v4, v8
	;; [unrolled: 1-line block ×4, first 2 shown]
	;;#ASMSTART
	s_nop 0
	;;#ASMEND
	buffer_store_dwordx4 v[2:5], v6, s[20:23], 16 offen
	;;#ASMSTART
	s_nop 0
	;;#ASMEND
.LBB663_18:
	s_or_b64 exec, exec, s[10:11]
	s_cmp_lt_i32 s16, 1
	s_cbranch_scc1 .LBB663_12
.LBB663_19:
	s_load_dword s2, s[4:5], 0x94
	s_waitcnt lgkmcnt(0)
	s_cmp_lg_u32 s2, 1
	s_cbranch_scc1 .LBB663_12
; %bb.20:
	s_lshl_b32 s2, s16, 1
	s_add_i32 s2, s2, 2
	v_cmp_gt_u32_e32 vcc, s16, v1
	s_and_b32 s10, s2, -4
	v_mov_b32_e32 v18, 0
	v_lshlrev_b32_e32 v1, 5, v0
	v_mov_b32_e32 v14, 0
	v_mov_b32_e32 v15, 0
	;; [unrolled: 1-line block ×8, first 2 shown]
	s_waitcnt vmcnt(1)
	v_mov_b32_e32 v6, 0
	v_mov_b32_e32 v7, 0
	;; [unrolled: 1-line block ×4, first 2 shown]
	s_waitcnt vmcnt(0)
	v_mov_b32_e32 v2, 0
	v_mov_b32_e32 v3, 0
	;; [unrolled: 1-line block ×4, first 2 shown]
	s_barrier
	s_and_saveexec_b64 s[2:3], vcc
	s_cbranch_execz .LBB663_22
; %bb.21:
	s_mul_hi_i32 s5, s18, s6
	s_mul_i32 s4, s18, s6
	s_and_b32 s9, s9, 0xffff
	s_lshl_b64 s[4:5], s[4:5], 1
	s_add_u32 s20, s24, s4
	s_mov_b32 s11, 0x20000
	s_addc_u32 s4, s25, s5
	s_and_b32 s21, s4, 0xffff
	s_mov_b32 s22, s10
	s_mov_b32 s23, s11
	buffer_load_dwordx4 v[14:17], v1, s[20:23], 0 offen
	buffer_load_dwordx4 v[10:13], v1, s[20:23], 16 offen
	;; [unrolled: 1-line block ×4, first 2 shown]
.LBB663_22:
	s_or_b64 exec, exec, s[2:3]
	v_mov_b32_e32 v19, 0
	v_mov_b32_e32 v32, 0
	v_mov_b32_e32 v33, 0
	v_mov_b32_e32 v30, 0
	v_mov_b32_e32 v31, 0
	v_mov_b32_e32 v28, 0
	v_mov_b32_e32 v29, 0
	v_mov_b32_e32 v26, 0
	v_mov_b32_e32 v27, 0
	v_mov_b32_e32 v24, 0
	v_mov_b32_e32 v25, 0
	v_mov_b32_e32 v22, 0
	v_mov_b32_e32 v23, 0
	v_mov_b32_e32 v20, 0
	v_mov_b32_e32 v21, 0
	s_and_saveexec_b64 s[2:3], vcc
	s_cbranch_execz .LBB663_24
; %bb.23:
	s_waitcnt vmcnt(3)
	v_cvt_f32_f16_sdwa v19, v14 dst_sel:DWORD dst_unused:UNUSED_PAD src0_sel:WORD_1
	v_cvt_f32_f16_e32 v18, v14
	v_cvt_f32_f16_sdwa v33, v15 dst_sel:DWORD dst_unused:UNUSED_PAD src0_sel:WORD_1
	v_cvt_f32_f16_e32 v32, v15
	;; [unrolled: 2-line block ×4, first 2 shown]
	s_waitcnt vmcnt(2)
	v_cvt_f32_f16_sdwa v27, v10 dst_sel:DWORD dst_unused:UNUSED_PAD src0_sel:WORD_1
	v_cvt_f32_f16_e32 v26, v10
	v_cvt_f32_f16_sdwa v25, v11 dst_sel:DWORD dst_unused:UNUSED_PAD src0_sel:WORD_1
	v_cvt_f32_f16_e32 v24, v11
	;; [unrolled: 2-line block ×4, first 2 shown]
.LBB663_24:
	s_or_b64 exec, exec, s[2:3]
	s_waitcnt vmcnt(2)
	v_mul_f32_e32 v10, v19, v19
	v_fmac_f32_e32 v10, v18, v18
	v_fmac_f32_e32 v10, v32, v32
	;; [unrolled: 1-line block ×15, first 2 shown]
	s_nop 1
	v_mov_b32_dpp v11, v10 quad_perm:[1,0,3,2] row_mask:0xf bank_mask:0xf
	v_add_f32_e32 v10, v10, v11
	s_nop 1
	v_mov_b32_dpp v11, v10 quad_perm:[2,3,0,1] row_mask:0xf bank_mask:0xf
	v_add_f32_e32 v10, v10, v11
	s_nop 1
	v_mov_b32_dpp v11, v10 row_half_mirror row_mask:0xf bank_mask:0xf
	v_add_f32_e32 v10, v10, v11
	s_nop 1
	v_mov_b32_dpp v11, v10 row_mirror row_mask:0xf bank_mask:0xf
	v_add_f32_e32 v10, v10, v11
	s_nop 1
	v_mov_b32_dpp v11, v10 row_bcast:15 row_mask:0xf bank_mask:0xf
	v_add_f32_e32 v10, v10, v11
	s_nop 1
	v_mov_b32_dpp v11, v10 row_bcast:31 row_mask:0xf bank_mask:0xf
	s_and_saveexec_b64 s[2:3], s[0:1]
	s_cbranch_execz .LBB663_26
; %bb.25:
	v_lshrrev_b32_e32 v0, 4, v0
	v_add_f32_e32 v10, v10, v11
	v_and_b32_e32 v0, 60, v0
	ds_write_b32 v0, v10
.LBB663_26:
	s_or_b64 exec, exec, s[2:3]
	s_waitcnt lgkmcnt(0)
	s_barrier
	ds_read_b32 v0, v34
	s_waitcnt lgkmcnt(0)
	s_nop 0
	v_mov_b32_dpp v10, v0 quad_perm:[1,0,3,2] row_mask:0xf bank_mask:0xf
	s_and_saveexec_b64 s[0:1], vcc
	s_cbranch_execz .LBB663_12
; %bb.27:
	v_cvt_f32_u32_e32 v11, s16
	v_add_f32_e32 v0, v0, v10
	s_mov_b32 s11, 0x20000
	v_div_scale_f32 v10, s[0:1], v11, v11, v0
	v_rcp_f32_e32 v12, v10
	v_div_scale_f32 v13, vcc, v0, v11, v0
	s_mov_b32 s0, 0x800000
	v_fma_f32 v14, -v10, v12, 1.0
	v_fmac_f32_e32 v12, v14, v12
	v_mul_f32_e32 v14, v13, v12
	v_fma_f32 v15, -v10, v14, v13
	v_fmac_f32_e32 v14, v15, v12
	v_fma_f32 v10, -v10, v14, v13
	v_div_fmas_f32 v10, v10, v12, v14
	v_div_fixup_f32 v0, v10, v11, v0
	v_add_f32_e32 v0, s13, v0
	v_mul_f32_e32 v10, 0x4b800000, v0
	v_cmp_gt_f32_e32 vcc, s0, v0
	v_cndmask_b32_e32 v0, v0, v10, vcc
	v_rsq_f32_e32 v0, v0
	s_mul_hi_i32 s1, s27, s6
	s_mul_i32 s0, s27, s6
	s_lshl_b64 s[0:1], s[0:1], 1
	v_mul_f32_e32 v10, 0x45800000, v0
	v_cndmask_b32_e32 v10, v0, v10, vcc
	v_mov_b32_e32 v11, v10
	;;#ASMSTART
	v_pk_mul_f32 v[12:13], v[18:19], v[10:11]
	;;#ASMEND
	;;#ASMSTART
	v_pk_mul_f32 v[14:15], v[32:33], v[10:11]
	;;#ASMEND
	;; [unrolled: 3-line block ×8, first 2 shown]
	s_waitcnt vmcnt(1)
	v_cvt_f32_f16_sdwa v21, v6 dst_sel:DWORD dst_unused:UNUSED_PAD src0_sel:WORD_1
	v_cvt_f32_f16_e32 v20, v6
	v_cvt_f32_f16_sdwa v29, v7 dst_sel:DWORD dst_unused:UNUSED_PAD src0_sel:WORD_1
	v_cvt_f32_f16_e32 v28, v7
	;; [unrolled: 2-line block ×4, first 2 shown]
	;;#ASMSTART
	v_pk_mul_f32 v[8:9], v[12:13], v[20:21]
	;;#ASMEND
	;;#ASMSTART
	v_pk_mul_f32 v[12:13], v[14:15], v[28:29]
	;;#ASMEND
	;;#ASMSTART
	v_pk_mul_f32 v[6:7], v[16:17], v[6:7]
	;;#ASMEND
	;;#ASMSTART
	v_pk_mul_f32 v[14:15], v[18:19], v[30:31]
	;;#ASMEND
	s_waitcnt vmcnt(0)
	v_cvt_f32_f16_sdwa v17, v2 dst_sel:DWORD dst_unused:UNUSED_PAD src0_sel:WORD_1
	v_cvt_f32_f16_e32 v16, v2
	v_cvt_f32_f16_sdwa v19, v3 dst_sel:DWORD dst_unused:UNUSED_PAD src0_sel:WORD_1
	v_cvt_f32_f16_e32 v18, v3
	;; [unrolled: 2-line block ×4, first 2 shown]
	;;#ASMSTART
	v_pk_mul_f32 v[16:17], v[26:27], v[16:17]
	;;#ASMEND
	;;#ASMSTART
	v_pk_mul_f32 v[18:19], v[24:25], v[18:19]
	;;#ASMEND
	;; [unrolled: 3-line block ×3, first 2 shown]
	v_cvt_f16_f32_e32 v0, v8
	v_cvt_f16_f32_e32 v2, v9
	;; [unrolled: 1-line block ×8, first 2 shown]
	s_add_u32 s8, s14, s0
	s_addc_u32 s0, s15, s1
	s_and_b32 s9, s0, 0xffff
	v_pack_b32_f16 v2, v0, v2
	v_pack_b32_f16 v3, v3, v4
	;; [unrolled: 1-line block ×4, first 2 shown]
	;;#ASMSTART
	v_pk_mul_f32 v[10:11], v[10:11], v[20:21]
	;;#ASMEND
	buffer_store_dwordx4 v[2:5], v1, s[8:11], 0 offen
	v_cvt_f16_f32_e32 v0, v16
	v_cvt_f16_f32_e32 v2, v17
	;; [unrolled: 1-line block ×8, first 2 shown]
	v_pack_b32_f16 v2, v0, v2
	v_pack_b32_f16 v3, v3, v4
	;; [unrolled: 1-line block ×4, first 2 shown]
	;;#ASMSTART
	s_nop 0
	;;#ASMEND
	buffer_store_dwordx4 v[2:5], v1, s[8:11], 16 offen
	;;#ASMSTART
	s_nop 0
	;;#ASMEND
	s_endpgm
	.section	.rodata,"a",@progbits
	.p2align	6, 0x0
	.amdhsa_kernel _ZN5aiter35fused_qk_rmsnorm_group_quant_kernelIDF16_N4opus5fp4_tELi128ELi16ELi4ELb0ELb1ELb0ELb1ELb0ELb0EEEvPT0_PvPT_S7_S7_PKS6_S9_S9_S9_S9_ffiiiiiiiiiiiii
		.amdhsa_group_segment_fixed_size 16
		.amdhsa_private_segment_fixed_size 0
		.amdhsa_kernarg_size 400
		.amdhsa_user_sgpr_count 6
		.amdhsa_user_sgpr_private_segment_buffer 1
		.amdhsa_user_sgpr_dispatch_ptr 0
		.amdhsa_user_sgpr_queue_ptr 0
		.amdhsa_user_sgpr_kernarg_segment_ptr 1
		.amdhsa_user_sgpr_dispatch_id 0
		.amdhsa_user_sgpr_flat_scratch_init 0
		.amdhsa_user_sgpr_kernarg_preload_length 0
		.amdhsa_user_sgpr_kernarg_preload_offset 0
		.amdhsa_user_sgpr_private_segment_size 0
		.amdhsa_uses_dynamic_stack 0
		.amdhsa_system_sgpr_private_segment_wavefront_offset 0
		.amdhsa_system_sgpr_workgroup_id_x 1
		.amdhsa_system_sgpr_workgroup_id_y 1
		.amdhsa_system_sgpr_workgroup_id_z 0
		.amdhsa_system_sgpr_workgroup_info 0
		.amdhsa_system_vgpr_workitem_id 0
		.amdhsa_next_free_vgpr 35
		.amdhsa_next_free_sgpr 32
		.amdhsa_accum_offset 36
		.amdhsa_reserve_vcc 1
		.amdhsa_reserve_flat_scratch 0
		.amdhsa_float_round_mode_32 0
		.amdhsa_float_round_mode_16_64 0
		.amdhsa_float_denorm_mode_32 3
		.amdhsa_float_denorm_mode_16_64 3
		.amdhsa_dx10_clamp 1
		.amdhsa_ieee_mode 1
		.amdhsa_fp16_overflow 0
		.amdhsa_tg_split 0
		.amdhsa_exception_fp_ieee_invalid_op 0
		.amdhsa_exception_fp_denorm_src 0
		.amdhsa_exception_fp_ieee_div_zero 0
		.amdhsa_exception_fp_ieee_overflow 0
		.amdhsa_exception_fp_ieee_underflow 0
		.amdhsa_exception_fp_ieee_inexact 0
		.amdhsa_exception_int_div_zero 0
	.end_amdhsa_kernel
	.section	.text._ZN5aiter35fused_qk_rmsnorm_group_quant_kernelIDF16_N4opus5fp4_tELi128ELi16ELi4ELb0ELb1ELb0ELb1ELb0ELb0EEEvPT0_PvPT_S7_S7_PKS6_S9_S9_S9_S9_ffiiiiiiiiiiiii,"axG",@progbits,_ZN5aiter35fused_qk_rmsnorm_group_quant_kernelIDF16_N4opus5fp4_tELi128ELi16ELi4ELb0ELb1ELb0ELb1ELb0ELb0EEEvPT0_PvPT_S7_S7_PKS6_S9_S9_S9_S9_ffiiiiiiiiiiiii,comdat
.Lfunc_end663:
	.size	_ZN5aiter35fused_qk_rmsnorm_group_quant_kernelIDF16_N4opus5fp4_tELi128ELi16ELi4ELb0ELb1ELb0ELb1ELb0ELb0EEEvPT0_PvPT_S7_S7_PKS6_S9_S9_S9_S9_ffiiiiiiiiiiiii, .Lfunc_end663-_ZN5aiter35fused_qk_rmsnorm_group_quant_kernelIDF16_N4opus5fp4_tELi128ELi16ELi4ELb0ELb1ELb0ELb1ELb0ELb0EEEvPT0_PvPT_S7_S7_PKS6_S9_S9_S9_S9_ffiiiiiiiiiiiii
                                        ; -- End function
	.section	.AMDGPU.csdata,"",@progbits
; Kernel info:
; codeLenInByte = 2808
; NumSgprs: 36
; NumVgprs: 35
; NumAgprs: 0
; TotalNumVgprs: 35
; ScratchSize: 0
; MemoryBound: 0
; FloatMode: 240
; IeeeMode: 1
; LDSByteSize: 16 bytes/workgroup (compile time only)
; SGPRBlocks: 4
; VGPRBlocks: 4
; NumSGPRsForWavesPerEU: 36
; NumVGPRsForWavesPerEU: 35
; AccumOffset: 36
; Occupancy: 8
; WaveLimiterHint : 0
; COMPUTE_PGM_RSRC2:SCRATCH_EN: 0
; COMPUTE_PGM_RSRC2:USER_SGPR: 6
; COMPUTE_PGM_RSRC2:TRAP_HANDLER: 0
; COMPUTE_PGM_RSRC2:TGID_X_EN: 1
; COMPUTE_PGM_RSRC2:TGID_Y_EN: 1
; COMPUTE_PGM_RSRC2:TGID_Z_EN: 0
; COMPUTE_PGM_RSRC2:TIDIG_COMP_CNT: 0
; COMPUTE_PGM_RSRC3_GFX90A:ACCUM_OFFSET: 8
; COMPUTE_PGM_RSRC3_GFX90A:TG_SPLIT: 0
	.section	.text._ZN5aiter35fused_qk_rmsnorm_group_quant_kernelItN4opus5fp4_tELi128ELi16ELi4ELb0ELb1ELb0ELb1ELb0ELb0EEEvPT0_PvPT_S7_S7_PKS6_S9_S9_S9_S9_ffiiiiiiiiiiiii,"axG",@progbits,_ZN5aiter35fused_qk_rmsnorm_group_quant_kernelItN4opus5fp4_tELi128ELi16ELi4ELb0ELb1ELb0ELb1ELb0ELb0EEEvPT0_PvPT_S7_S7_PKS6_S9_S9_S9_S9_ffiiiiiiiiiiiii,comdat
	.protected	_ZN5aiter35fused_qk_rmsnorm_group_quant_kernelItN4opus5fp4_tELi128ELi16ELi4ELb0ELb1ELb0ELb1ELb0ELb0EEEvPT0_PvPT_S7_S7_PKS6_S9_S9_S9_S9_ffiiiiiiiiiiiii ; -- Begin function _ZN5aiter35fused_qk_rmsnorm_group_quant_kernelItN4opus5fp4_tELi128ELi16ELi4ELb0ELb1ELb0ELb1ELb0ELb0EEEvPT0_PvPT_S7_S7_PKS6_S9_S9_S9_S9_ffiiiiiiiiiiiii
	.globl	_ZN5aiter35fused_qk_rmsnorm_group_quant_kernelItN4opus5fp4_tELi128ELi16ELi4ELb0ELb1ELb0ELb1ELb0ELb0EEEvPT0_PvPT_S7_S7_PKS6_S9_S9_S9_S9_ffiiiiiiiiiiiii
	.p2align	8
	.type	_ZN5aiter35fused_qk_rmsnorm_group_quant_kernelItN4opus5fp4_tELi128ELi16ELi4ELb0ELb1ELb0ELb1ELb0ELb0EEEvPT0_PvPT_S7_S7_PKS6_S9_S9_S9_S9_ffiiiiiiiiiiiii,@function
_ZN5aiter35fused_qk_rmsnorm_group_quant_kernelItN4opus5fp4_tELi128ELi16ELi4ELb0ELb1ELb0ELb1ELb0ELb0EEEvPT0_PvPT_S7_S7_PKS6_S9_S9_S9_S9_ffiiiiiiiiiiiii: ; @_ZN5aiter35fused_qk_rmsnorm_group_quant_kernelItN4opus5fp4_tELi128ELi16ELi4ELb0ELb1ELb0ELb1ELb0ELb0EEEvPT0_PvPT_S7_S7_PKS6_S9_S9_S9_S9_ffiiiiiiiiiiiii
; %bb.0:
	s_load_dwordx4 s[12:15], s[4:5], 0x50
	s_waitcnt lgkmcnt(0)
	s_cmp_ge_i32 s6, s14
	s_cbranch_scc1 .LBB664_12
; %bb.1:
	s_load_dwordx2 s[24:25], s[4:5], 0x30
	s_load_dwordx2 s[8:9], s[4:5], 0x48
	s_load_dwordx4 s[16:19], s[4:5], 0x60
	s_cmp_lg_u32 s7, 0
	s_cselect_b64 s[10:11], -1, 0
	s_cmp_eq_u32 s7, 0
	s_cselect_b64 vcc, -1, 0
	s_and_b64 s[0:1], vcc, exec
	s_waitcnt lgkmcnt(0)
	s_cselect_b32 s7, s15, s16
	s_add_i32 s0, s7, 1
	s_lshr_b32 s1, s0, 31
	s_add_i32 s0, s0, s1
	s_lshl_b32 s0, s0, 1
	v_lshlrev_b32_e32 v1, 4, v0
	s_and_b32 s22, s0, -4
	v_cmp_gt_i32_e64 s[2:3], s7, v1
	v_mov_b32_e32 v18, 0
	v_mov_b32_e32 v6, 0
	;; [unrolled: 1-line block ×17, first 2 shown]
	s_and_saveexec_b64 s[0:1], s[2:3]
	s_cbranch_execz .LBB664_3
; %bb.2:
	s_load_dwordx2 s[14:15], s[4:5], 0x28
	s_load_dwordx2 s[20:21], s[4:5], 0x40
	s_and_b64 s[26:27], vcc, exec
	s_cselect_b32 s17, s17, s18
	s_mov_b32 s30, s22
	s_waitcnt lgkmcnt(0)
	s_cselect_b32 s19, s15, s25
	s_cselect_b32 s23, s14, s24
	s_mul_hi_i32 s15, s17, s6
	s_mul_i32 s14, s17, s6
	s_lshl_b64 s[14:15], s[14:15], 1
	s_add_u32 s28, s23, s14
	s_addc_u32 s17, s19, s15
	s_and_b64 s[14:15], vcc, exec
	s_mov_b32 s23, 0x20000
	s_cselect_b32 s20, s20, s8
	s_cselect_b32 s14, s21, s9
	s_and_b32 s29, s17, 0xffff
	s_mov_b32 s31, s23
	v_lshlrev_b32_e32 v19, 5, v0
	s_and_b32 s21, s14, 0xffff
	buffer_load_dwordx4 v[14:17], v19, s[28:31], 0 offen
	buffer_load_dwordx4 v[10:13], v19, s[28:31], 16 offen
	;; [unrolled: 1-line block ×4, first 2 shown]
.LBB664_3:
	s_or_b64 exec, exec, s[0:1]
	v_mov_b32_e32 v19, 0
	v_mov_b32_e32 v20, 0
	;; [unrolled: 1-line block ×15, first 2 shown]
	s_and_saveexec_b64 s[0:1], s[2:3]
	s_cbranch_execz .LBB664_5
; %bb.4:
	s_waitcnt vmcnt(3)
	v_cvt_f32_u32_sdwa v18, v14 dst_sel:DWORD dst_unused:UNUSED_PAD src0_sel:WORD_0
	v_cvt_f32_u32_sdwa v19, v14 dst_sel:DWORD dst_unused:UNUSED_PAD src0_sel:WORD_1
	v_cvt_f32_u32_sdwa v20, v15 dst_sel:DWORD dst_unused:UNUSED_PAD src0_sel:WORD_0
	v_cvt_f32_u32_sdwa v21, v15 dst_sel:DWORD dst_unused:UNUSED_PAD src0_sel:WORD_1
	;; [unrolled: 2-line block ×4, first 2 shown]
	s_waitcnt vmcnt(2)
	v_cvt_f32_u32_sdwa v26, v10 dst_sel:DWORD dst_unused:UNUSED_PAD src0_sel:WORD_0
	v_cvt_f32_u32_sdwa v27, v10 dst_sel:DWORD dst_unused:UNUSED_PAD src0_sel:WORD_1
	v_cvt_f32_u32_sdwa v28, v11 dst_sel:DWORD dst_unused:UNUSED_PAD src0_sel:WORD_0
	v_cvt_f32_u32_sdwa v29, v11 dst_sel:DWORD dst_unused:UNUSED_PAD src0_sel:WORD_1
	;; [unrolled: 2-line block ×4, first 2 shown]
.LBB664_5:
	s_or_b64 exec, exec, s[0:1]
	s_waitcnt vmcnt(2)
	v_mul_f32_e32 v10, v19, v19
	v_fmac_f32_e32 v10, v18, v18
	v_fmac_f32_e32 v10, v20, v20
	v_fmac_f32_e32 v10, v21, v21
	v_fmac_f32_e32 v10, v22, v22
	v_fmac_f32_e32 v10, v23, v23
	v_fmac_f32_e32 v10, v24, v24
	v_fmac_f32_e32 v10, v25, v25
	v_fmac_f32_e32 v10, v26, v26
	v_fmac_f32_e32 v10, v27, v27
	v_fmac_f32_e32 v10, v28, v28
	v_fmac_f32_e32 v10, v29, v29
	v_fmac_f32_e32 v10, v30, v30
	v_fmac_f32_e32 v10, v31, v31
	v_fmac_f32_e32 v10, v32, v32
	v_fmac_f32_e32 v10, v33, v33
	v_and_b32_e32 v12, 63, v0
	v_cmp_eq_u32_e64 s[0:1], 63, v12
	v_mov_b32_dpp v11, v10 quad_perm:[1,0,3,2] row_mask:0xf bank_mask:0xf
	v_add_f32_e32 v10, v10, v11
	s_nop 1
	v_mov_b32_dpp v11, v10 quad_perm:[2,3,0,1] row_mask:0xf bank_mask:0xf
	v_add_f32_e32 v10, v10, v11
	s_nop 1
	v_mov_b32_dpp v11, v10 row_half_mirror row_mask:0xf bank_mask:0xf
	v_add_f32_e32 v10, v10, v11
	s_nop 1
	v_mov_b32_dpp v11, v10 row_mirror row_mask:0xf bank_mask:0xf
	v_add_f32_e32 v10, v10, v11
	s_nop 1
	v_mov_b32_dpp v11, v10 row_bcast:15 row_mask:0xf bank_mask:0xf
	v_add_f32_e32 v10, v10, v11
	s_nop 1
	v_mov_b32_dpp v11, v10 row_bcast:31 row_mask:0xf bank_mask:0xf
	s_and_saveexec_b64 s[14:15], s[0:1]
	s_cbranch_execz .LBB664_7
; %bb.6:
	v_add_f32_e32 v10, v10, v11
	v_lshrrev_b32_e32 v11, 4, v0
	v_and_b32_e32 v11, 60, v11
	ds_write_b32 v11, v10 offset:8
.LBB664_7:
	s_or_b64 exec, exec, s[14:15]
	v_and_b32_e32 v10, 1, v0
	v_lshlrev_b32_e32 v34, 2, v10
	s_waitcnt lgkmcnt(0)
	s_barrier
	ds_read_b32 v10, v34 offset:8
	s_load_dwordx2 s[14:15], s[4:5], 0x18
	s_waitcnt lgkmcnt(0)
	v_mov_b32_dpp v11, v10 quad_perm:[1,0,3,2] row_mask:0xf bank_mask:0xf
	s_and_saveexec_b64 s[20:21], s[2:3]
	s_cbranch_execz .LBB664_9
; %bb.8:
	v_cvt_f32_u32_e32 v12, s7
	v_add_f32_e32 v10, v10, v11
	v_mov_b32_e32 v14, s13
	v_mov_b32_e32 v15, s12
	v_div_scale_f32 v11, s[26:27], v12, v12, v10
	v_rcp_f32_e32 v13, v11
	v_cndmask_b32_e32 v14, v14, v15, vcc
	s_mov_b32 s7, 0x800000
	v_fma_f32 v15, -v11, v13, 1.0
	v_fmac_f32_e32 v13, v15, v13
	v_div_scale_f32 v15, vcc, v10, v12, v10
	v_mul_f32_e32 v16, v15, v13
	v_fma_f32 v17, -v11, v16, v15
	v_fmac_f32_e32 v16, v17, v13
	v_fma_f32 v11, -v11, v16, v15
	v_div_fmas_f32 v11, v11, v13, v16
	v_div_fixup_f32 v10, v11, v12, v10
	v_add_f32_e32 v10, v14, v10
	v_mul_f32_e32 v11, 0x4b800000, v10
	v_cmp_gt_f32_e32 vcc, s7, v10
	v_cndmask_b32_e32 v10, v10, v11, vcc
	v_rsq_f32_e32 v10, v10
	v_mul_f32_e32 v11, 0x45800000, v10
	v_cndmask_b32_e32 v10, v10, v11, vcc
	v_mov_b32_e32 v11, v10
	;;#ASMSTART
	v_pk_mul_f32 v[12:13], v[18:19], v[10:11]
	;;#ASMEND
	;;#ASMSTART
	v_pk_mul_f32 v[14:15], v[20:21], v[10:11]
	;;#ASMEND
	;; [unrolled: 3-line block ×8, first 2 shown]
	s_waitcnt vmcnt(1)
	v_cvt_f32_u32_sdwa v19, v6 dst_sel:DWORD dst_unused:UNUSED_PAD src0_sel:WORD_1
	v_cvt_f32_u32_sdwa v18, v6 dst_sel:DWORD dst_unused:UNUSED_PAD src0_sel:WORD_0
	v_cvt_f32_u32_sdwa v21, v7 dst_sel:DWORD dst_unused:UNUSED_PAD src0_sel:WORD_1
	v_cvt_f32_u32_sdwa v20, v7 dst_sel:DWORD dst_unused:UNUSED_PAD src0_sel:WORD_0
	;; [unrolled: 2-line block ×4, first 2 shown]
	;;#ASMSTART
	v_pk_mul_f32 v[18:19], v[12:13], v[18:19]
	;;#ASMEND
	;;#ASMSTART
	v_pk_mul_f32 v[20:21], v[14:15], v[20:21]
	;;#ASMEND
	;; [unrolled: 3-line block ×4, first 2 shown]
	s_waitcnt vmcnt(0)
	v_cvt_f32_u32_sdwa v7, v2 dst_sel:DWORD dst_unused:UNUSED_PAD src0_sel:WORD_1
	v_cvt_f32_u32_sdwa v6, v2 dst_sel:DWORD dst_unused:UNUSED_PAD src0_sel:WORD_0
	v_cvt_f32_u32_sdwa v9, v3 dst_sel:DWORD dst_unused:UNUSED_PAD src0_sel:WORD_1
	v_cvt_f32_u32_sdwa v8, v3 dst_sel:DWORD dst_unused:UNUSED_PAD src0_sel:WORD_0
	;; [unrolled: 2-line block ×4, first 2 shown]
	;;#ASMSTART
	v_pk_mul_f32 v[26:27], v[26:27], v[6:7]
	;;#ASMEND
	;;#ASMSTART
	v_pk_mul_f32 v[28:29], v[28:29], v[8:9]
	;;#ASMEND
	;; [unrolled: 3-line block ×4, first 2 shown]
.LBB664_9:
	s_or_b64 exec, exec, s[20:21]
	s_load_dwordx2 s[26:27], s[4:5], 0x7c
	s_mov_b64 s[20:21], -1
	s_and_b64 vcc, exec, s[10:11]
	s_cbranch_vccnz .LBB664_13
; %bb.10:
	s_andn2_b64 vcc, exec, s[20:21]
	s_cbranch_vccz .LBB664_16
.LBB664_11:
	s_cmp_lt_i32 s16, 1
	s_cbranch_scc0 .LBB664_19
.LBB664_12:
	s_endpgm
.LBB664_13:
	s_and_saveexec_b64 s[10:11], s[2:3]
	s_cbranch_execz .LBB664_15
; %bb.14:
	s_waitcnt lgkmcnt(0)
	s_mul_hi_i32 s21, s27, s6
	s_mul_i32 s20, s27, s6
	s_lshl_b64 s[20:21], s[20:21], 1
	s_add_u32 s20, s14, s20
	s_addc_u32 s7, s15, s21
	s_and_b32 s21, s7, 0xffff
	s_mov_b32 s7, 0x7060302
	s_mov_b32 s23, 0x20000
	s_waitcnt vmcnt(0)
	v_perm_b32 v5, v25, v24, s7
	v_perm_b32 v4, v23, v22, s7
	;; [unrolled: 1-line block ×4, first 2 shown]
	v_lshlrev_b32_e32 v6, 5, v0
	buffer_store_dwordx4 v[2:5], v6, s[20:23], 0 offen
	;;#ASMSTART
	s_nop 0
	;;#ASMEND
	s_nop 0
	v_perm_b32 v5, v33, v32, s7
	v_perm_b32 v4, v31, v30, s7
	;; [unrolled: 1-line block ×4, first 2 shown]
	buffer_store_dwordx4 v[2:5], v6, s[20:23], 16 offen
	;;#ASMSTART
	s_nop 0
	;;#ASMEND
.LBB664_15:
	s_or_b64 exec, exec, s[10:11]
	s_cbranch_execnz .LBB664_11
.LBB664_16:
	s_and_saveexec_b64 s[10:11], s[2:3]
	s_cbranch_execz .LBB664_18
; %bb.17:
	s_load_dwordx2 s[2:3], s[4:5], 0x10
	s_waitcnt lgkmcnt(0)
	s_mul_hi_i32 s21, s26, s6
	s_mul_i32 s20, s26, s6
	s_lshl_b64 s[20:21], s[20:21], 1
	s_mov_b32 s23, 0x20000
	s_add_u32 s20, s2, s20
	s_addc_u32 s2, s3, s21
	s_and_b32 s21, s2, 0xffff
	s_mov_b32 s2, 0x7060302
	s_waitcnt vmcnt(0)
	v_perm_b32 v5, v25, v24, s2
	v_perm_b32 v4, v23, v22, s2
	;; [unrolled: 1-line block ×4, first 2 shown]
	v_lshlrev_b32_e32 v6, 5, v0
	buffer_store_dwordx4 v[2:5], v6, s[20:23], 0 offen
	;;#ASMSTART
	s_nop 0
	;;#ASMEND
	s_nop 0
	v_perm_b32 v5, v33, v32, s2
	v_perm_b32 v4, v31, v30, s2
	v_perm_b32 v3, v29, v28, s2
	v_perm_b32 v2, v27, v26, s2
	buffer_store_dwordx4 v[2:5], v6, s[20:23], 16 offen
	;;#ASMSTART
	s_nop 0
	;;#ASMEND
.LBB664_18:
	s_or_b64 exec, exec, s[10:11]
	s_cmp_lt_i32 s16, 1
	s_cbranch_scc1 .LBB664_12
.LBB664_19:
	s_load_dword s2, s[4:5], 0x94
	s_waitcnt lgkmcnt(0)
	s_cmp_lg_u32 s2, 1
	s_cbranch_scc1 .LBB664_12
; %bb.20:
	s_lshl_b32 s2, s16, 1
	s_add_i32 s2, s2, 2
	v_cmp_gt_u32_e32 vcc, s16, v1
	s_and_b32 s10, s2, -4
	v_mov_b32_e32 v18, 0
	v_lshlrev_b32_e32 v1, 5, v0
	v_mov_b32_e32 v14, 0
	v_mov_b32_e32 v15, 0
	;; [unrolled: 1-line block ×8, first 2 shown]
	s_waitcnt vmcnt(1)
	v_mov_b32_e32 v6, 0
	v_mov_b32_e32 v7, 0
	;; [unrolled: 1-line block ×4, first 2 shown]
	s_waitcnt vmcnt(0)
	v_mov_b32_e32 v2, 0
	v_mov_b32_e32 v3, 0
	;; [unrolled: 1-line block ×4, first 2 shown]
	s_barrier
	s_and_saveexec_b64 s[2:3], vcc
	s_cbranch_execz .LBB664_22
; %bb.21:
	s_mul_hi_i32 s5, s18, s6
	s_mul_i32 s4, s18, s6
	s_and_b32 s9, s9, 0xffff
	s_lshl_b64 s[4:5], s[4:5], 1
	s_add_u32 s20, s24, s4
	s_mov_b32 s11, 0x20000
	s_addc_u32 s4, s25, s5
	s_and_b32 s21, s4, 0xffff
	s_mov_b32 s22, s10
	s_mov_b32 s23, s11
	buffer_load_dwordx4 v[14:17], v1, s[20:23], 0 offen
	buffer_load_dwordx4 v[10:13], v1, s[20:23], 16 offen
	;; [unrolled: 1-line block ×4, first 2 shown]
.LBB664_22:
	s_or_b64 exec, exec, s[2:3]
	v_mov_b32_e32 v19, 0
	v_mov_b32_e32 v32, 0
	;; [unrolled: 1-line block ×15, first 2 shown]
	s_and_saveexec_b64 s[2:3], vcc
	s_cbranch_execz .LBB664_24
; %bb.23:
	s_waitcnt vmcnt(3)
	v_cvt_f32_u32_sdwa v18, v14 dst_sel:DWORD dst_unused:UNUSED_PAD src0_sel:WORD_0
	v_cvt_f32_u32_sdwa v19, v14 dst_sel:DWORD dst_unused:UNUSED_PAD src0_sel:WORD_1
	v_cvt_f32_u32_sdwa v32, v15 dst_sel:DWORD dst_unused:UNUSED_PAD src0_sel:WORD_0
	v_cvt_f32_u32_sdwa v33, v15 dst_sel:DWORD dst_unused:UNUSED_PAD src0_sel:WORD_1
	;; [unrolled: 2-line block ×4, first 2 shown]
	s_waitcnt vmcnt(2)
	v_cvt_f32_u32_sdwa v26, v10 dst_sel:DWORD dst_unused:UNUSED_PAD src0_sel:WORD_0
	v_cvt_f32_u32_sdwa v27, v10 dst_sel:DWORD dst_unused:UNUSED_PAD src0_sel:WORD_1
	v_cvt_f32_u32_sdwa v24, v11 dst_sel:DWORD dst_unused:UNUSED_PAD src0_sel:WORD_0
	v_cvt_f32_u32_sdwa v25, v11 dst_sel:DWORD dst_unused:UNUSED_PAD src0_sel:WORD_1
	;; [unrolled: 2-line block ×4, first 2 shown]
.LBB664_24:
	s_or_b64 exec, exec, s[2:3]
	s_waitcnt vmcnt(2)
	v_mul_f32_e32 v10, v19, v19
	v_fmac_f32_e32 v10, v18, v18
	v_fmac_f32_e32 v10, v32, v32
	;; [unrolled: 1-line block ×15, first 2 shown]
	s_nop 1
	v_mov_b32_dpp v11, v10 quad_perm:[1,0,3,2] row_mask:0xf bank_mask:0xf
	v_add_f32_e32 v10, v10, v11
	s_nop 1
	v_mov_b32_dpp v11, v10 quad_perm:[2,3,0,1] row_mask:0xf bank_mask:0xf
	v_add_f32_e32 v10, v10, v11
	s_nop 1
	v_mov_b32_dpp v11, v10 row_half_mirror row_mask:0xf bank_mask:0xf
	v_add_f32_e32 v10, v10, v11
	s_nop 1
	v_mov_b32_dpp v11, v10 row_mirror row_mask:0xf bank_mask:0xf
	v_add_f32_e32 v10, v10, v11
	s_nop 1
	v_mov_b32_dpp v11, v10 row_bcast:15 row_mask:0xf bank_mask:0xf
	v_add_f32_e32 v10, v10, v11
	s_nop 1
	v_mov_b32_dpp v11, v10 row_bcast:31 row_mask:0xf bank_mask:0xf
	s_and_saveexec_b64 s[2:3], s[0:1]
	s_cbranch_execz .LBB664_26
; %bb.25:
	v_lshrrev_b32_e32 v0, 4, v0
	v_add_f32_e32 v10, v10, v11
	v_and_b32_e32 v0, 60, v0
	ds_write_b32 v0, v10
.LBB664_26:
	s_or_b64 exec, exec, s[2:3]
	s_waitcnt lgkmcnt(0)
	s_barrier
	ds_read_b32 v0, v34
	s_waitcnt lgkmcnt(0)
	s_nop 0
	v_mov_b32_dpp v10, v0 quad_perm:[1,0,3,2] row_mask:0xf bank_mask:0xf
	s_and_saveexec_b64 s[0:1], vcc
	s_cbranch_execz .LBB664_12
; %bb.27:
	v_cvt_f32_u32_e32 v11, s16
	v_add_f32_e32 v0, v0, v10
	s_mov_b32 s11, 0x20000
	v_div_scale_f32 v10, s[0:1], v11, v11, v0
	v_rcp_f32_e32 v12, v10
	v_div_scale_f32 v13, vcc, v0, v11, v0
	s_mov_b32 s0, 0x800000
	v_fma_f32 v14, -v10, v12, 1.0
	v_fmac_f32_e32 v12, v14, v12
	v_mul_f32_e32 v14, v13, v12
	v_fma_f32 v15, -v10, v14, v13
	v_fmac_f32_e32 v14, v15, v12
	v_fma_f32 v10, -v10, v14, v13
	v_div_fmas_f32 v10, v10, v12, v14
	v_div_fixup_f32 v0, v10, v11, v0
	v_add_f32_e32 v0, s13, v0
	v_mul_f32_e32 v10, 0x4b800000, v0
	v_cmp_gt_f32_e32 vcc, s0, v0
	v_cndmask_b32_e32 v0, v0, v10, vcc
	v_rsq_f32_e32 v0, v0
	s_mul_hi_i32 s1, s27, s6
	s_mul_i32 s0, s27, s6
	s_lshl_b64 s[0:1], s[0:1], 1
	v_mul_f32_e32 v10, 0x45800000, v0
	v_cndmask_b32_e32 v10, v0, v10, vcc
	v_mov_b32_e32 v11, v10
	s_add_u32 s8, s14, s0
	;;#ASMSTART
	v_pk_mul_f32 v[12:13], v[18:19], v[10:11]
	;;#ASMEND
	;;#ASMSTART
	v_pk_mul_f32 v[14:15], v[32:33], v[10:11]
	;;#ASMEND
	;;#ASMSTART
	v_pk_mul_f32 v[16:17], v[30:31], v[10:11]
	;;#ASMEND
	;;#ASMSTART
	v_pk_mul_f32 v[18:19], v[28:29], v[10:11]
	;;#ASMEND
	;;#ASMSTART
	v_pk_mul_f32 v[26:27], v[26:27], v[10:11]
	;;#ASMEND
	;;#ASMSTART
	v_pk_mul_f32 v[24:25], v[24:25], v[10:11]
	;;#ASMEND
	;;#ASMSTART
	v_pk_mul_f32 v[22:23], v[22:23], v[10:11]
	;;#ASMEND
	;;#ASMSTART
	v_pk_mul_f32 v[10:11], v[20:21], v[10:11]
	;;#ASMEND
	s_waitcnt vmcnt(1)
	v_cvt_f32_u32_sdwa v21, v6 dst_sel:DWORD dst_unused:UNUSED_PAD src0_sel:WORD_1
	v_cvt_f32_u32_sdwa v20, v6 dst_sel:DWORD dst_unused:UNUSED_PAD src0_sel:WORD_0
	v_cvt_f32_u32_sdwa v29, v7 dst_sel:DWORD dst_unused:UNUSED_PAD src0_sel:WORD_1
	v_cvt_f32_u32_sdwa v28, v7 dst_sel:DWORD dst_unused:UNUSED_PAD src0_sel:WORD_0
	;; [unrolled: 2-line block ×3, first 2 shown]
	s_addc_u32 s0, s15, s1
	v_cvt_f32_u32_sdwa v31, v9 dst_sel:DWORD dst_unused:UNUSED_PAD src0_sel:WORD_1
	v_cvt_f32_u32_sdwa v30, v9 dst_sel:DWORD dst_unused:UNUSED_PAD src0_sel:WORD_0
	;;#ASMSTART
	v_pk_mul_f32 v[8:9], v[12:13], v[20:21]
	;;#ASMEND
	;;#ASMSTART
	v_pk_mul_f32 v[12:13], v[14:15], v[28:29]
	;;#ASMEND
	;; [unrolled: 3-line block ×4, first 2 shown]
	s_waitcnt vmcnt(0)
	v_cvt_f32_u32_sdwa v17, v2 dst_sel:DWORD dst_unused:UNUSED_PAD src0_sel:WORD_1
	v_cvt_f32_u32_sdwa v16, v2 dst_sel:DWORD dst_unused:UNUSED_PAD src0_sel:WORD_0
	v_cvt_f32_u32_sdwa v19, v3 dst_sel:DWORD dst_unused:UNUSED_PAD src0_sel:WORD_1
	v_cvt_f32_u32_sdwa v18, v3 dst_sel:DWORD dst_unused:UNUSED_PAD src0_sel:WORD_0
	;; [unrolled: 2-line block ×3, first 2 shown]
	s_and_b32 s9, s0, 0xffff
	s_mov_b32 s0, 0x7060302
	v_cvt_f32_u32_sdwa v21, v5 dst_sel:DWORD dst_unused:UNUSED_PAD src0_sel:WORD_1
	v_cvt_f32_u32_sdwa v20, v5 dst_sel:DWORD dst_unused:UNUSED_PAD src0_sel:WORD_0
	;;#ASMSTART
	v_pk_mul_f32 v[16:17], v[26:27], v[16:17]
	;;#ASMEND
	;;#ASMSTART
	v_pk_mul_f32 v[18:19], v[24:25], v[18:19]
	;;#ASMEND
	;; [unrolled: 3-line block ×3, first 2 shown]
	v_perm_b32 v2, v9, v8, s0
	v_perm_b32 v3, v13, v12, s0
	;; [unrolled: 1-line block ×4, first 2 shown]
	;;#ASMSTART
	v_pk_mul_f32 v[10:11], v[10:11], v[20:21]
	;;#ASMEND
	buffer_store_dwordx4 v[2:5], v1, s[8:11], 0 offen
	;;#ASMSTART
	s_nop 0
	;;#ASMEND
	s_nop 0
	v_perm_b32 v2, v17, v16, s0
	v_perm_b32 v3, v19, v18, s0
	;; [unrolled: 1-line block ×4, first 2 shown]
	buffer_store_dwordx4 v[2:5], v1, s[8:11], 16 offen
	;;#ASMSTART
	s_nop 0
	;;#ASMEND
	s_endpgm
	.section	.rodata,"a",@progbits
	.p2align	6, 0x0
	.amdhsa_kernel _ZN5aiter35fused_qk_rmsnorm_group_quant_kernelItN4opus5fp4_tELi128ELi16ELi4ELb0ELb1ELb0ELb1ELb0ELb0EEEvPT0_PvPT_S7_S7_PKS6_S9_S9_S9_S9_ffiiiiiiiiiiiii
		.amdhsa_group_segment_fixed_size 16
		.amdhsa_private_segment_fixed_size 0
		.amdhsa_kernarg_size 400
		.amdhsa_user_sgpr_count 6
		.amdhsa_user_sgpr_private_segment_buffer 1
		.amdhsa_user_sgpr_dispatch_ptr 0
		.amdhsa_user_sgpr_queue_ptr 0
		.amdhsa_user_sgpr_kernarg_segment_ptr 1
		.amdhsa_user_sgpr_dispatch_id 0
		.amdhsa_user_sgpr_flat_scratch_init 0
		.amdhsa_user_sgpr_kernarg_preload_length 0
		.amdhsa_user_sgpr_kernarg_preload_offset 0
		.amdhsa_user_sgpr_private_segment_size 0
		.amdhsa_uses_dynamic_stack 0
		.amdhsa_system_sgpr_private_segment_wavefront_offset 0
		.amdhsa_system_sgpr_workgroup_id_x 1
		.amdhsa_system_sgpr_workgroup_id_y 1
		.amdhsa_system_sgpr_workgroup_id_z 0
		.amdhsa_system_sgpr_workgroup_info 0
		.amdhsa_system_vgpr_workitem_id 0
		.amdhsa_next_free_vgpr 35
		.amdhsa_next_free_sgpr 32
		.amdhsa_accum_offset 36
		.amdhsa_reserve_vcc 1
		.amdhsa_reserve_flat_scratch 0
		.amdhsa_float_round_mode_32 0
		.amdhsa_float_round_mode_16_64 0
		.amdhsa_float_denorm_mode_32 3
		.amdhsa_float_denorm_mode_16_64 3
		.amdhsa_dx10_clamp 1
		.amdhsa_ieee_mode 1
		.amdhsa_fp16_overflow 0
		.amdhsa_tg_split 0
		.amdhsa_exception_fp_ieee_invalid_op 0
		.amdhsa_exception_fp_denorm_src 0
		.amdhsa_exception_fp_ieee_div_zero 0
		.amdhsa_exception_fp_ieee_overflow 0
		.amdhsa_exception_fp_ieee_underflow 0
		.amdhsa_exception_fp_ieee_inexact 0
		.amdhsa_exception_int_div_zero 0
	.end_amdhsa_kernel
	.section	.text._ZN5aiter35fused_qk_rmsnorm_group_quant_kernelItN4opus5fp4_tELi128ELi16ELi4ELb0ELb1ELb0ELb1ELb0ELb0EEEvPT0_PvPT_S7_S7_PKS6_S9_S9_S9_S9_ffiiiiiiiiiiiii,"axG",@progbits,_ZN5aiter35fused_qk_rmsnorm_group_quant_kernelItN4opus5fp4_tELi128ELi16ELi4ELb0ELb1ELb0ELb1ELb0ELb0EEEvPT0_PvPT_S7_S7_PKS6_S9_S9_S9_S9_ffiiiiiiiiiiiii,comdat
.Lfunc_end664:
	.size	_ZN5aiter35fused_qk_rmsnorm_group_quant_kernelItN4opus5fp4_tELi128ELi16ELi4ELb0ELb1ELb0ELb1ELb0ELb0EEEvPT0_PvPT_S7_S7_PKS6_S9_S9_S9_S9_ffiiiiiiiiiiiii, .Lfunc_end664-_ZN5aiter35fused_qk_rmsnorm_group_quant_kernelItN4opus5fp4_tELi128ELi16ELi4ELb0ELb1ELb0ELb1ELb0ELb0EEEvPT0_PvPT_S7_S7_PKS6_S9_S9_S9_S9_ffiiiiiiiiiiiii
                                        ; -- End function
	.section	.AMDGPU.csdata,"",@progbits
; Kernel info:
; codeLenInByte = 2780
; NumSgprs: 36
; NumVgprs: 35
; NumAgprs: 0
; TotalNumVgprs: 35
; ScratchSize: 0
; MemoryBound: 0
; FloatMode: 240
; IeeeMode: 1
; LDSByteSize: 16 bytes/workgroup (compile time only)
; SGPRBlocks: 4
; VGPRBlocks: 4
; NumSGPRsForWavesPerEU: 36
; NumVGPRsForWavesPerEU: 35
; AccumOffset: 36
; Occupancy: 8
; WaveLimiterHint : 0
; COMPUTE_PGM_RSRC2:SCRATCH_EN: 0
; COMPUTE_PGM_RSRC2:USER_SGPR: 6
; COMPUTE_PGM_RSRC2:TRAP_HANDLER: 0
; COMPUTE_PGM_RSRC2:TGID_X_EN: 1
; COMPUTE_PGM_RSRC2:TGID_Y_EN: 1
; COMPUTE_PGM_RSRC2:TGID_Z_EN: 0
; COMPUTE_PGM_RSRC2:TIDIG_COMP_CNT: 0
; COMPUTE_PGM_RSRC3_GFX90A:ACCUM_OFFSET: 8
; COMPUTE_PGM_RSRC3_GFX90A:TG_SPLIT: 0
	.section	.text._ZN5aiter35fused_qk_rmsnorm_group_quant_kernelIDF16_DB8_Li128ELi16ELi4ELb1ELb1ELb1ELb0ELb0ELb0EEEvPT0_PvPT_S6_S6_PKS5_S8_S8_S8_S8_ffiiiiiiiiiiiii,"axG",@progbits,_ZN5aiter35fused_qk_rmsnorm_group_quant_kernelIDF16_DB8_Li128ELi16ELi4ELb1ELb1ELb1ELb0ELb0ELb0EEEvPT0_PvPT_S6_S6_PKS5_S8_S8_S8_S8_ffiiiiiiiiiiiii,comdat
	.protected	_ZN5aiter35fused_qk_rmsnorm_group_quant_kernelIDF16_DB8_Li128ELi16ELi4ELb1ELb1ELb1ELb0ELb0ELb0EEEvPT0_PvPT_S6_S6_PKS5_S8_S8_S8_S8_ffiiiiiiiiiiiii ; -- Begin function _ZN5aiter35fused_qk_rmsnorm_group_quant_kernelIDF16_DB8_Li128ELi16ELi4ELb1ELb1ELb1ELb0ELb0ELb0EEEvPT0_PvPT_S6_S6_PKS5_S8_S8_S8_S8_ffiiiiiiiiiiiii
	.globl	_ZN5aiter35fused_qk_rmsnorm_group_quant_kernelIDF16_DB8_Li128ELi16ELi4ELb1ELb1ELb1ELb0ELb0ELb0EEEvPT0_PvPT_S6_S6_PKS5_S8_S8_S8_S8_ffiiiiiiiiiiiii
	.p2align	8
	.type	_ZN5aiter35fused_qk_rmsnorm_group_quant_kernelIDF16_DB8_Li128ELi16ELi4ELb1ELb1ELb1ELb0ELb0ELb0EEEvPT0_PvPT_S6_S6_PKS5_S8_S8_S8_S8_ffiiiiiiiiiiiii,@function
_ZN5aiter35fused_qk_rmsnorm_group_quant_kernelIDF16_DB8_Li128ELi16ELi4ELb1ELb1ELb1ELb0ELb0ELb0EEEvPT0_PvPT_S6_S6_PKS5_S8_S8_S8_S8_ffiiiiiiiiiiiii: ; @_ZN5aiter35fused_qk_rmsnorm_group_quant_kernelIDF16_DB8_Li128ELi16ELi4ELb1ELb1ELb1ELb0ELb0ELb0EEEvPT0_PvPT_S6_S6_PKS5_S8_S8_S8_S8_ffiiiiiiiiiiiii
; %bb.0:
	s_load_dwordx8 s[20:27], s[4:5], 0x50
	s_waitcnt lgkmcnt(0)
	s_cmp_ge_i32 s6, s22
	s_cbranch_scc1 .LBB665_17
; %bb.1:
	s_cmp_lg_u32 s7, 0
	s_cselect_b64 s[10:11], -1, 0
	s_cmp_eq_u32 s7, 0
	s_cselect_b64 s[8:9], -1, 0
	s_and_b64 s[0:1], s[8:9], exec
	s_load_dwordx2 s[28:29], s[4:5], 0x48
	s_load_dwordx2 s[34:35], s[4:5], 0x30
	s_load_dwordx8 s[12:19], s[4:5], 0x70
	s_cselect_b32 s7, s23, s24
	s_add_i32 s0, s7, 1
	s_lshr_b32 s1, s0, 31
	s_add_i32 s0, s0, s1
	s_lshl_b32 s0, s0, 1
	v_lshlrev_b32_e32 v1, 4, v0
	s_and_b32 s38, s0, -4
	v_cmp_gt_i32_e64 s[0:1], s7, v1
	v_mov_b32_e32 v76, 0
	v_mov_b32_e32 v77, 0
	;; [unrolled: 1-line block ×16, first 2 shown]
	s_and_saveexec_b64 s[2:3], s[0:1]
	s_cbranch_execz .LBB665_3
; %bb.2:
	s_waitcnt lgkmcnt(0)
	s_load_dwordx2 s[18:19], s[4:5], 0x28
	s_load_dwordx2 s[30:31], s[4:5], 0x40
	s_and_b64 s[36:37], s[8:9], exec
	s_cselect_b32 s22, s25, s26
	s_mov_b32 s39, 0x20000
	s_waitcnt lgkmcnt(0)
	s_cselect_b32 s25, s19, s35
	s_cselect_b32 s33, s18, s34
	s_mul_hi_i32 s19, s22, s6
	s_mul_i32 s18, s22, s6
	s_lshl_b64 s[18:19], s[18:19], 1
	s_add_u32 s40, s33, s18
	s_addc_u32 s22, s25, s19
	s_and_b64 s[18:19], s[8:9], exec
	s_cselect_b32 s36, s30, s28
	s_cselect_b32 s18, s31, s29
	s_and_b32 s41, s22, 0xffff
	s_mov_b32 s42, s38
	s_mov_b32 s43, s39
	v_lshlrev_b32_e32 v2, 5, v0
	s_and_b32 s37, s18, 0xffff
	buffer_load_dwordx4 v[80:83], v2, s[40:43], 0 offen
	buffer_load_dwordx4 v[84:87], v2, s[40:43], 16 offen
	;; [unrolled: 1-line block ×4, first 2 shown]
.LBB665_3:
	s_or_b64 exec, exec, s[2:3]
	s_and_b64 vcc, exec, s[10:11]
	s_cbranch_vccz .LBB665_7
; %bb.4:
	v_mov_b32_e32 v89, 0
	v_mov_b32_e32 v88, 0
	;; [unrolled: 1-line block ×16, first 2 shown]
	s_and_saveexec_b64 s[2:3], s[0:1]
	s_cbranch_execz .LBB665_6
; %bb.5:
	s_waitcnt vmcnt(3)
	v_cvt_f32_f16_sdwa v49, v80 dst_sel:DWORD dst_unused:UNUSED_PAD src0_sel:WORD_1
	v_cvt_f32_f16_e32 v48, v80
	v_cvt_f32_f16_sdwa v35, v81 dst_sel:DWORD dst_unused:UNUSED_PAD src0_sel:WORD_1
	v_cvt_f32_f16_e32 v34, v81
	;; [unrolled: 2-line block ×4, first 2 shown]
	s_waitcnt vmcnt(2)
	v_cvt_f32_f16_sdwa v65, v84 dst_sel:DWORD dst_unused:UNUSED_PAD src0_sel:WORD_1
	v_cvt_f32_f16_e32 v64, v84
	v_cvt_f32_f16_sdwa v19, v85 dst_sel:DWORD dst_unused:UNUSED_PAD src0_sel:WORD_1
	v_cvt_f32_f16_e32 v18, v85
	;; [unrolled: 2-line block ×4, first 2 shown]
.LBB665_6:
	s_or_b64 exec, exec, s[2:3]
	s_cbranch_execz .LBB665_8
	s_branch .LBB665_11
.LBB665_7:
                                        ; implicit-def: $vgpr32_vgpr33_vgpr34_vgpr35_vgpr36_vgpr37_vgpr38_vgpr39_vgpr40_vgpr41_vgpr42_vgpr43_vgpr44_vgpr45_vgpr46_vgpr47
                                        ; implicit-def: $vgpr48_vgpr49_vgpr50_vgpr51_vgpr52_vgpr53_vgpr54_vgpr55_vgpr56_vgpr57_vgpr58_vgpr59_vgpr60_vgpr61_vgpr62_vgpr63
                                        ; implicit-def: $vgpr18_vgpr19_vgpr20_vgpr21_vgpr22_vgpr23_vgpr24_vgpr25_vgpr26_vgpr27_vgpr28_vgpr29_vgpr30_vgpr31_vgpr32_vgpr33
                                        ; implicit-def: $vgpr50_vgpr51_vgpr52_vgpr53_vgpr54_vgpr55_vgpr56_vgpr57_vgpr58_vgpr59_vgpr60_vgpr61_vgpr62_vgpr63_vgpr64_vgpr65
                                        ; implicit-def: $vgpr89
                                        ; implicit-def: $vgpr8_vgpr9_vgpr10_vgpr11_vgpr12_vgpr13_vgpr14_vgpr15_vgpr16_vgpr17_vgpr18_vgpr19_vgpr20_vgpr21_vgpr22_vgpr23
                                        ; implicit-def: $vgpr56_vgpr57_vgpr58_vgpr59_vgpr60_vgpr61_vgpr62_vgpr63_vgpr64_vgpr65_vgpr66_vgpr67_vgpr68_vgpr69_vgpr70_vgpr71
                                        ; implicit-def: $vgpr2_vgpr3_vgpr4_vgpr5_vgpr6_vgpr7_vgpr8_vgpr9_vgpr10_vgpr11_vgpr12_vgpr13_vgpr14_vgpr15_vgpr16_vgpr17
.LBB665_8:
	v_mov_b32_e32 v89, 0
	v_mov_b32_e32 v88, 0
	;; [unrolled: 1-line block ×16, first 2 shown]
	s_and_saveexec_b64 s[2:3], s[0:1]
	s_cbranch_execz .LBB665_10
; %bb.9:
	s_waitcnt lgkmcnt(0)
	s_load_dwordx2 s[18:19], s[4:5], 0x38
	s_mul_hi_i32 s31, s27, s6
	s_mul_i32 s30, s27, s6
	s_lshl_b64 s[30:31], s[30:31], 1
	s_mov_b32 s39, 0x20000
	s_waitcnt lgkmcnt(0)
	s_add_u32 s36, s18, s30
	s_addc_u32 s18, s19, s31
	s_and_b32 s37, s18, 0xffff
	v_lshlrev_b32_e32 v38, 5, v0
	buffer_load_dwordx4 v[6:9], v38, s[36:39], 16 offen
	buffer_load_dwordx4 v[10:13], v38, s[36:39], 0 offen
	s_waitcnt vmcnt(5)
	v_cvt_f32_f16_sdwa v23, v82 dst_sel:DWORD dst_unused:UNUSED_PAD src0_sel:WORD_1
	v_cvt_f32_f16_e32 v22, v82
	v_cvt_f32_f16_sdwa v25, v83 dst_sel:DWORD dst_unused:UNUSED_PAD src0_sel:WORD_1
	v_cvt_f32_f16_e32 v24, v83
	;; [unrolled: 2-line block ×4, first 2 shown]
	s_load_dwordx2 s[18:19], s[4:5], 0x20
	s_waitcnt vmcnt(4)
	v_cvt_f32_f16_sdwa v3, v84 dst_sel:DWORD dst_unused:UNUSED_PAD src0_sel:WORD_1
	v_cvt_f32_f16_e32 v2, v84
	v_cvt_f32_f16_sdwa v5, v85 dst_sel:DWORD dst_unused:UNUSED_PAD src0_sel:WORD_1
	v_cvt_f32_f16_e32 v4, v85
	;; [unrolled: 2-line block ×4, first 2 shown]
	s_mul_hi_i32 s31, s17, s6
	s_mul_i32 s30, s17, s6
	s_lshl_b64 s[30:31], s[30:31], 1
	s_waitcnt lgkmcnt(0)
	s_add_u32 s36, s18, s30
	s_addc_u32 s17, s19, s31
	s_and_b32 s37, s17, 0xffff
	s_waitcnt vmcnt(1)
	v_cvt_f32_f16_e32 v26, v6
	v_cvt_f32_f16_sdwa v27, v6 dst_sel:DWORD dst_unused:UNUSED_PAD src0_sel:WORD_1
	v_cvt_f32_f16_e32 v28, v7
	v_cvt_f32_f16_sdwa v29, v7 dst_sel:DWORD dst_unused:UNUSED_PAD src0_sel:WORD_1
	v_cvt_f32_f16_e32 v30, v8
	v_cvt_f32_f16_sdwa v31, v8 dst_sel:DWORD dst_unused:UNUSED_PAD src0_sel:WORD_1
	v_cvt_f32_f16_e32 v32, v9
	v_cvt_f32_f16_sdwa v33, v9 dst_sel:DWORD dst_unused:UNUSED_PAD src0_sel:WORD_1
	s_waitcnt vmcnt(0)
	v_cvt_f32_f16_e32 v6, v12
	v_cvt_f32_f16_sdwa v7, v12 dst_sel:DWORD dst_unused:UNUSED_PAD src0_sel:WORD_1
	v_cvt_f32_f16_e32 v8, v13
	v_cvt_f32_f16_sdwa v9, v13 dst_sel:DWORD dst_unused:UNUSED_PAD src0_sel:WORD_1
	;; [unrolled: 2-line block ×4, first 2 shown]
	v_pk_add_f32 v[54:55], v[22:23], v[6:7]
	v_pk_add_f32 v[24:25], v[24:25], v[8:9]
	v_cvt_f16_f32_e32 v6, v55
	v_cvt_f16_f32_e32 v7, v25
	;; [unrolled: 1-line block ×4, first 2 shown]
	v_pk_add_f32 v[34:35], v[20:21], v[10:11]
	v_pk_add_f32 v[48:49], v[18:19], v[36:37]
	v_pack_b32_f16 v9, v8, v7
	v_pack_b32_f16 v8, v12, v6
	v_cvt_f16_f32_e32 v6, v35
	v_cvt_f16_f32_e32 v7, v34
	;; [unrolled: 1-line block ×3, first 2 shown]
	v_pk_add_f32 v[88:89], v[16:17], v[32:33]
	v_pk_add_f32 v[14:15], v[14:15], v[30:31]
	v_pack_b32_f16 v7, v7, v6
	v_cvt_f16_f32_e32 v6, v49
	v_pk_add_f32 v[18:19], v[4:5], v[28:29]
	v_pk_add_f32 v[64:65], v[2:3], v[26:27]
	v_cvt_f16_f32_e32 v4, v18
	v_pack_b32_f16 v6, v10, v6
	buffer_store_dwordx4 v[6:9], v38, s[36:39], 0 offen
	v_cvt_f16_f32_e32 v5, v19
	v_cvt_f16_f32_e32 v6, v14
	v_cvt_f16_f32_e32 v7, v88
	v_cvt_f16_f32_e32 v8, v89
	v_cvt_f16_f32_e32 v9, v15
	v_cvt_f16_f32_e32 v2, v64
	v_cvt_f16_f32_e32 v3, v65
	v_pack_b32_f16 v7, v7, v8
	v_pack_b32_f16 v6, v6, v9
	;; [unrolled: 1-line block ×4, first 2 shown]
	;;#ASMSTART
	s_nop 0
	;;#ASMEND
	buffer_store_dwordx4 v[4:7], v38, s[36:39], 16 offen
	;;#ASMSTART
	s_nop 0
	;;#ASMEND
.LBB665_10:
	s_or_b64 exec, exec, s[2:3]
.LBB665_11:
	v_mul_f32_e32 v2, v49, v49
	v_fmac_f32_e32 v2, v48, v48
	v_fmac_f32_e32 v2, v34, v34
	;; [unrolled: 1-line block ×15, first 2 shown]
	s_nop 1
	v_mov_b32_dpp v3, v2 quad_perm:[1,0,3,2] row_mask:0xf bank_mask:0xf
	v_add_f32_e32 v2, v2, v3
	s_nop 1
	v_mov_b32_dpp v3, v2 quad_perm:[2,3,0,1] row_mask:0xf bank_mask:0xf
	v_add_f32_e32 v2, v2, v3
	s_nop 1
	v_mov_b32_dpp v3, v2 row_half_mirror row_mask:0xf bank_mask:0xf
	v_add_f32_e32 v2, v2, v3
	s_nop 1
	v_mov_b32_dpp v3, v2 row_mirror row_mask:0xf bank_mask:0xf
	v_add_f32_e32 v2, v2, v3
	s_nop 1
	v_mov_b32_dpp v3, v2 row_bcast:15 row_mask:0xf bank_mask:0xf
	v_add_f32_e32 v2, v2, v3
	v_and_b32_e32 v3, 63, v0
	v_cmp_eq_u32_e64 s[2:3], 63, v3
	s_nop 0
	v_mov_b32_dpp v3, v2 row_bcast:31 row_mask:0xf bank_mask:0xf
	s_waitcnt lgkmcnt(0)
	s_and_saveexec_b64 s[18:19], s[2:3]
	s_cbranch_execz .LBB665_13
; %bb.12:
	v_add_f32_e32 v2, v2, v3
	v_lshrrev_b32_e32 v3, 4, v0
	v_and_b32_e32 v3, 60, v3
	ds_write_b32 v3, v2 offset:8
.LBB665_13:
	s_or_b64 exec, exec, s[18:19]
	v_and_b32_e32 v2, 1, v0
	v_lshlrev_b32_e32 v36, 2, v2
	s_waitcnt lgkmcnt(0)
	s_barrier
	ds_read_b32 v2, v36 offset:8
	s_load_dwordx2 s[18:19], s[4:5], 0x18
	s_waitcnt lgkmcnt(0)
	v_mov_b32_dpp v3, v2 quad_perm:[1,0,3,2] row_mask:0xf bank_mask:0xf
	s_and_saveexec_b64 s[30:31], s[0:1]
	s_cbranch_execnz .LBB665_18
; %bb.14:
	s_or_b64 exec, exec, s[30:31]
	s_mov_b64 s[8:9], -1
	s_and_b64 vcc, exec, s[10:11]
	s_cbranch_vccnz .LBB665_19
.LBB665_15:
	s_andn2_b64 vcc, exec, s[8:9]
	s_cbranch_vccz .LBB665_22
.LBB665_16:
	s_cmp_lt_i32 s24, 1
	s_cbranch_scc0 .LBB665_31
.LBB665_17:
	s_endpgm
.LBB665_18:
	v_add_f32_e32 v2, v2, v3
	v_cvt_f32_u32_e32 v3, s7
	s_mov_b32 s7, 0x800000
	s_waitcnt vmcnt(1)
	v_cvt_f32_f16_sdwa v17, v76 dst_sel:DWORD dst_unused:UNUSED_PAD src0_sel:WORD_1
	v_cvt_f32_f16_e32 v16, v76
	v_div_scale_f32 v4, s[36:37], v3, v3, v2
	v_rcp_f32_e32 v5, v4
	v_pk_add_f32 v[16:17], v[16:17], 1.0 op_sel_hi:[1,0]
	v_cvt_f32_f16_sdwa v21, v79 dst_sel:DWORD dst_unused:UNUSED_PAD src0_sel:WORD_1
	v_cvt_f32_f16_e32 v20, v79
	v_fma_f32 v6, -v4, v5, 1.0
	v_fmac_f32_e32 v5, v6, v5
	v_div_scale_f32 v6, vcc, v2, v3, v2
	v_mul_f32_e32 v7, v6, v5
	v_fma_f32 v8, -v4, v7, v6
	v_fmac_f32_e32 v7, v8, v5
	v_fma_f32 v4, -v4, v7, v6
	v_div_fmas_f32 v4, v4, v5, v7
	v_div_fixup_f32 v2, v4, v3, v2
	v_mov_b32_e32 v3, s21
	v_mov_b32_e32 v4, s20
	v_cndmask_b32_e64 v3, v3, v4, s[8:9]
	v_add_f32_e32 v2, v3, v2
	v_mul_f32_e32 v3, 0x4b800000, v2
	v_cmp_gt_f32_e32 vcc, s7, v2
	v_cndmask_b32_e32 v2, v2, v3, vcc
	v_rsq_f32_e32 v2, v2
	s_waitcnt vmcnt(0)
	v_cvt_f32_f16_sdwa v23, v74 dst_sel:DWORD dst_unused:UNUSED_PAD src0_sel:WORD_1
	v_cvt_f32_f16_e32 v22, v74
	v_mul_f32_e32 v3, 0x45800000, v2
	v_cndmask_b32_e32 v2, v2, v3, vcc
	v_mov_b32_e32 v3, v2
	;;#ASMSTART
	v_pk_mul_f32 v[4:5], v[48:49], v[2:3]
	;;#ASMEND
	;;#ASMSTART
	v_pk_mul_f32 v[6:7], v[34:35], v[2:3]
	;;#ASMEND
	;; [unrolled: 3-line block ×9, first 2 shown]
	v_cvt_f32_f16_sdwa v5, v77 dst_sel:DWORD dst_unused:UNUSED_PAD src0_sel:WORD_1
	v_cvt_f32_f16_e32 v4, v77
	v_cvt_f32_f16_sdwa v17, v78 dst_sel:DWORD dst_unused:UNUSED_PAD src0_sel:WORD_1
	v_cvt_f32_f16_e32 v16, v78
	v_cvt_f32_f16_sdwa v25, v75 dst_sel:DWORD dst_unused:UNUSED_PAD src0_sel:WORD_1
	v_pk_add_f32 v[4:5], v[4:5], 1.0 op_sel_hi:[1,0]
	;;#ASMSTART
	v_pk_mul_f32 v[34:35], v[6:7], v[4:5]
	;;#ASMEND
	v_pk_add_f32 v[4:5], v[16:17], 1.0 op_sel_hi:[1,0]
	v_pk_add_f32 v[6:7], v[20:21], 1.0 op_sel_hi:[1,0]
	v_cvt_f32_f16_sdwa v17, v72 dst_sel:DWORD dst_unused:UNUSED_PAD src0_sel:WORD_1
	v_cvt_f32_f16_e32 v16, v72
	v_cvt_f32_f16_sdwa v21, v73 dst_sel:DWORD dst_unused:UNUSED_PAD src0_sel:WORD_1
	v_cvt_f32_f16_e32 v20, v73
	v_cvt_f32_f16_e32 v24, v75
	v_pk_add_f32 v[16:17], v[16:17], 1.0 op_sel_hi:[1,0]
	v_pk_add_f32 v[22:23], v[22:23], 1.0 op_sel_hi:[1,0]
	;; [unrolled: 1-line block ×4, first 2 shown]
	;;#ASMSTART
	v_pk_mul_f32 v[54:55], v[8:9], v[4:5]
	;;#ASMEND
	;;#ASMSTART
	v_pk_mul_f32 v[24:25], v[10:11], v[6:7]
	;;#ASMEND
	;;#ASMSTART
	v_pk_mul_f32 v[64:65], v[12:13], v[16:17]
	;;#ASMEND
	;;#ASMSTART
	v_pk_mul_f32 v[18:19], v[18:19], v[20:21]
	;;#ASMEND
	;;#ASMSTART
	v_pk_mul_f32 v[14:15], v[14:15], v[22:23]
	;;#ASMEND
	;;#ASMSTART
	v_pk_mul_f32 v[88:89], v[2:3], v[26:27]
	;;#ASMEND
	s_or_b64 exec, exec, s[30:31]
	s_mov_b64 s[8:9], -1
	s_and_b64 vcc, exec, s[10:11]
	s_cbranch_vccz .LBB665_15
.LBB665_19:
	s_and_saveexec_b64 s[8:9], s[0:1]
	s_cbranch_execz .LBB665_21
; %bb.20:
	v_cvt_f16_f32_e32 v2, v54
	v_cvt_f16_f32_e32 v3, v24
	;; [unrolled: 1-line block ×4, first 2 shown]
	s_mul_hi_i32 s11, s16, s6
	s_mul_i32 s10, s16, s6
	v_pack_b32_f16 v5, v3, v4
	v_pack_b32_f16 v4, v2, v6
	v_cvt_f16_f32_e32 v2, v34
	v_cvt_f16_f32_e32 v3, v35
	;; [unrolled: 1-line block ×3, first 2 shown]
	s_lshl_b64 s[10:11], s[10:11], 1
	s_add_u32 s36, s18, s10
	v_pack_b32_f16 v3, v2, v3
	v_cvt_f16_f32_e32 v2, v48
	s_addc_u32 s7, s19, s11
	s_and_b32 s37, s7, 0xffff
	s_mov_b32 s39, 0x20000
	v_pack_b32_f16 v2, v2, v6
	v_lshlrev_b32_e32 v6, 5, v0
	buffer_store_dwordx4 v[2:5], v6, s[36:39], 0 offen
	v_cvt_f16_f32_e32 v7, v15
	v_cvt_f16_f32_e32 v2, v14
	;; [unrolled: 1-line block ×4, first 2 shown]
	;;#ASMSTART
	s_nop 0
	;;#ASMEND
	v_pack_b32_f16 v5, v3, v4
	v_pack_b32_f16 v4, v2, v7
	v_cvt_f16_f32_e32 v2, v18
	v_cvt_f16_f32_e32 v3, v19
	v_cvt_f16_f32_e32 v7, v65
	v_pack_b32_f16 v3, v2, v3
	v_cvt_f16_f32_e32 v2, v64
	v_pack_b32_f16 v2, v2, v7
	buffer_store_dwordx4 v[2:5], v6, s[36:39], 16 offen
	;;#ASMSTART
	s_nop 0
	;;#ASMEND
.LBB665_21:
	s_or_b64 exec, exec, s[8:9]
	s_cbranch_execnz .LBB665_16
.LBB665_22:
	v_mov_b32_e32 v2, 0
	s_and_saveexec_b64 s[8:9], s[0:1]
	s_cbranch_execz .LBB665_24
; %bb.23:
	v_cvt_f16_f32_e32 v2, v54
	v_cvt_f16_f32_e32 v3, v24
	;; [unrolled: 1-line block ×4, first 2 shown]
	s_load_dwordx2 s[10:11], s[4:5], 0x10
	s_mul_hi_i32 s31, s15, s6
	v_pack_b32_f16 v5, v3, v4
	v_pack_b32_f16 v4, v2, v6
	v_cvt_f16_f32_e32 v2, v34
	v_cvt_f16_f32_e32 v3, v35
	;; [unrolled: 1-line block ×3, first 2 shown]
	s_mul_i32 s30, s15, s6
	s_lshl_b64 s[30:31], s[30:31], 1
	v_pack_b32_f16 v3, v2, v3
	v_cvt_f16_f32_e32 v2, v48
	s_waitcnt lgkmcnt(0)
	s_add_u32 s36, s10, s30
	s_addc_u32 s7, s11, s31
	s_and_b32 s37, s7, 0xffff
	v_pack_b32_f16 v2, v2, v6
	s_mov_b32 s39, 0x20000
	v_lshlrev_b32_e32 v6, 5, v0
	buffer_store_dwordx4 v[2:5], v6, s[36:39], 0 offen
	v_cvt_f16_f32_e32 v7, v15
	v_cvt_f16_f32_e32 v2, v14
	v_cvt_f16_f32_e32 v3, v88
	v_cvt_f16_f32_e32 v4, v89
	;;#ASMSTART
	s_nop 0
	;;#ASMEND
	v_pack_b32_f16 v5, v3, v4
	v_pack_b32_f16 v4, v2, v7
	v_cvt_f16_f32_e32 v2, v18
	v_cvt_f16_f32_e32 v3, v19
	;; [unrolled: 1-line block ×3, first 2 shown]
	v_pack_b32_f16 v3, v2, v3
	v_cvt_f16_f32_e32 v2, v64
	v_pack_b32_f16 v2, v2, v7
	buffer_store_dwordx4 v[2:5], v6, s[36:39], 16 offen
	;;#ASMSTART
	s_nop 0
	;;#ASMEND
	s_nop 0
	v_mov_b32_e32 v2, 0x2edbe6ff
.LBB665_24:
	s_or_b64 exec, exec, s[8:9]
	s_and_saveexec_b64 s[8:9], s[0:1]
	s_cbranch_execz .LBB665_26
; %bb.25:
	v_and_b32_e32 v3, 0x7fffffff, v48
	v_and_b32_e32 v4, 0x7fffffff, v49
	;;#ASMSTART
	v_max3_f32 v2, v2, v3, v4

	;;#ASMEND
	v_and_b32_e32 v3, 0x7fffffff, v34
	v_and_b32_e32 v4, 0x7fffffff, v35
	;;#ASMSTART
	v_max3_f32 v2, v2, v3, v4

	;;#ASMEND
	;; [unrolled: 6-line block ×8, first 2 shown]
.LBB665_26:
	s_or_b64 exec, exec, s[8:9]
	;;#ASMSTART
	v_max_f32 v3, v2, v2 quad_perm:[1,0,3,2] row_mask:0xf bank_mask:0xf bound_ctrl:1
	;;#ASMEND
	;;#ASMSTART
	v_max_f32 v2, v3, v3 quad_perm:[2,3,0,1] row_mask:0xf bank_mask:0xf bound_ctrl:1
	;;#ASMEND
	v_and_b32_e32 v3, 3, v0
	v_cmp_eq_u32_e32 vcc, 0, v3
	v_cmp_gt_i32_e64 s[8:9], s23, v1
	v_mul_f32_e32 v2, 0x3b124925, v2
	s_and_b64 s[10:11], vcc, s[8:9]
	s_and_saveexec_b64 s[8:9], s[10:11]
	s_cbranch_execz .LBB665_28
; %bb.27:
	s_load_dwordx2 s[10:11], s[4:5], 0x8
	v_lshrrev_b32_e32 v3, 2, v0
	s_mul_hi_i32 s31, s13, s6
	s_mul_i32 s30, s13, s6
	v_mad_i64_i32 v[4:5], s[14:15], s14, v3, 0
	s_lshl_b64 s[14:15], s[30:31], 2
	s_waitcnt lgkmcnt(0)
	s_add_u32 s7, s10, s14
	s_addc_u32 s10, s11, s15
	v_lshlrev_b64 v[4:5], 2, v[4:5]
	v_mov_b32_e32 v3, s10
	v_add_co_u32_e32 v4, vcc, s7, v4
	v_addc_co_u32_e32 v5, vcc, v3, v5, vcc
	global_store_dword v[4:5], v2, off
.LBB665_28:
	s_or_b64 exec, exec, s[8:9]
	;;#ASMSTART
	v_rcp_f32 v2, v2
	;;#ASMEND
	s_and_saveexec_b64 s[14:15], s[0:1]
	s_cbranch_execz .LBB665_30
; %bb.29:
	v_mov_b32_e32 v3, v2
	;;#ASMSTART
	v_pk_mul_f32 v[4:5], v[48:49], v[2:3]
	;;#ASMEND
	v_mov_b32_e32 v10, 0xc3e00000
	v_mov_b32_e32 v11, 0x43e00000
	;;#ASMSTART
	v_med3_f32 v4, v4, v10, v11
v_med3_f32 v5, v5, v10, v11
v_cvt_pk_fp8_f32 v6, v4, v5
	;;#ASMEND
	;;#ASMSTART
	v_pk_mul_f32 v[4:5], v[34:35], v[2:3]
	;;#ASMEND
	;;#ASMSTART
	v_med3_f32 v4, v4, v10, v11
v_med3_f32 v5, v5, v10, v11
v_cvt_pk_fp8_f32 v7, v4, v5
	;;#ASMEND
	;;#ASMSTART
	v_pk_mul_f32 v[4:5], v[54:55], v[2:3]
	;;#ASMEND
	;; [unrolled: 8-line block ×3, first 2 shown]
	;;#ASMSTART
	v_med3_f32 v4, v4, v10, v11
v_med3_f32 v5, v5, v10, v11
v_cvt_pk_fp8_f32 v9, v4, v5
	;;#ASMEND
	s_mov_b32 s0, 0x5040100
	v_perm_b32 v4, v7, v6, s0
	s_mov_b32 s0, 0x1060504
	v_perm_b32 v4, v4, v7, s0
	s_load_dwordx2 s[0:1], s[4:5], 0x0
	s_mov_b32 s7, 0x1000504
	;;#ASMSTART
	v_pk_mul_f32 v[6:7], v[64:65], v[2:3]
	;;#ASMEND
	v_perm_b32 v5, v8, v9, s7
	s_mul_i32 s8, s12, s6
	;;#ASMSTART
	v_med3_f32 v6, v6, v10, v11
v_med3_f32 v7, v7, v10, v11
v_cvt_pk_fp8_f32 v8, v6, v7
	;;#ASMEND
	s_mul_hi_i32 s9, s12, s6
	s_waitcnt lgkmcnt(0)
	s_add_u32 s8, s0, s8
	;;#ASMSTART
	v_pk_mul_f32 v[6:7], v[18:19], v[2:3]
	;;#ASMEND
	s_addc_u32 s0, s1, s9
	s_add_i32 s1, s23, 3
	;;#ASMSTART
	v_med3_f32 v6, v6, v10, v11
v_med3_f32 v7, v7, v10, v11
v_cvt_pk_fp8_f32 v9, v6, v7
	;;#ASMEND
	s_ashr_i32 s9, s1, 31
	v_perm_b32 v6, v8, v9, s7
	;;#ASMSTART
	v_pk_mul_f32 v[8:9], v[14:15], v[2:3]
	;;#ASMEND
	v_mov_b32_e32 v7, v9
	s_lshr_b32 s9, s9, 30
	;;#ASMSTART
	v_med3_f32 v8, v8, v10, v11
v_med3_f32 v7, v7, v10, v11
v_cvt_pk_fp8_f32 v9, v8, v7
	;;#ASMEND
	;;#ASMSTART
	v_pk_mul_f32 v[2:3], v[88:89], v[2:3]
	;;#ASMEND
	s_add_i32 s1, s1, s9
	;;#ASMSTART
	v_med3_f32 v2, v2, v10, v11
v_med3_f32 v3, v3, v10, v11
v_cvt_pk_fp8_f32 v7, v2, v3
	;;#ASMEND
	s_and_b32 s10, s1, -4
	s_and_b32 s9, s0, 0xffff
	s_mov_b32 s11, 0x20000
	v_perm_b32 v7, v9, v7, s7
	buffer_store_dwordx4 v[4:7], v1, s[8:11], 0 offen
	;;#ASMSTART
	s_nop 0
	;;#ASMEND
.LBB665_30:
	s_or_b64 exec, exec, s[14:15]
	s_cmp_lt_i32 s24, 1
	s_cbranch_scc1 .LBB665_17
.LBB665_31:
	s_load_dword s0, s[4:5], 0x94
	s_waitcnt lgkmcnt(0)
	s_cmp_lg_u32 s0, 1
	s_cbranch_scc1 .LBB665_17
; %bb.32:
	s_lshl_b32 s0, s24, 1
	s_add_i32 s0, s0, 2
	v_cmp_gt_u32_e32 vcc, s24, v1
	s_and_b32 s30, s0, -4
	v_mov_b32_e32 v18, 0
	v_lshlrev_b32_e32 v1, 5, v0
	v_mov_b32_e32 v14, 0
	v_mov_b32_e32 v15, 0
	;; [unrolled: 1-line block ×16, first 2 shown]
	s_barrier
	s_and_saveexec_b64 s[0:1], vcc
	s_cbranch_execz .LBB665_34
; %bb.33:
	s_mul_hi_i32 s5, s26, s6
	s_mul_i32 s4, s26, s6
	s_and_b32 s29, s29, 0xffff
	s_lshl_b64 s[4:5], s[4:5], 1
	s_add_u32 s8, s34, s4
	s_mov_b32 s31, 0x20000
	s_addc_u32 s4, s35, s5
	s_and_b32 s9, s4, 0xffff
	s_mov_b32 s10, s30
	s_mov_b32 s11, s31
	buffer_load_dwordx4 v[14:17], v1, s[8:11], 0 offen
	buffer_load_dwordx4 v[10:13], v1, s[8:11], 16 offen
	;; [unrolled: 1-line block ×4, first 2 shown]
.LBB665_34:
	s_or_b64 exec, exec, s[0:1]
	v_mov_b32_e32 v19, 0
	v_mov_b32_e32 v32, 0
	;; [unrolled: 1-line block ×15, first 2 shown]
	s_and_saveexec_b64 s[0:1], vcc
	s_cbranch_execz .LBB665_36
; %bb.35:
	s_waitcnt vmcnt(3)
	v_cvt_f32_f16_sdwa v19, v14 dst_sel:DWORD dst_unused:UNUSED_PAD src0_sel:WORD_1
	v_cvt_f32_f16_e32 v18, v14
	v_cvt_f32_f16_sdwa v33, v15 dst_sel:DWORD dst_unused:UNUSED_PAD src0_sel:WORD_1
	v_cvt_f32_f16_e32 v32, v15
	;; [unrolled: 2-line block ×4, first 2 shown]
	s_waitcnt vmcnt(2)
	v_cvt_f32_f16_sdwa v27, v10 dst_sel:DWORD dst_unused:UNUSED_PAD src0_sel:WORD_1
	v_cvt_f32_f16_e32 v26, v10
	v_cvt_f32_f16_sdwa v25, v11 dst_sel:DWORD dst_unused:UNUSED_PAD src0_sel:WORD_1
	v_cvt_f32_f16_e32 v24, v11
	;; [unrolled: 2-line block ×4, first 2 shown]
.LBB665_36:
	s_or_b64 exec, exec, s[0:1]
	s_waitcnt vmcnt(2)
	v_mul_f32_e32 v10, v19, v19
	v_fmac_f32_e32 v10, v18, v18
	v_fmac_f32_e32 v10, v32, v32
	;; [unrolled: 1-line block ×15, first 2 shown]
	s_nop 1
	v_mov_b32_dpp v11, v10 quad_perm:[1,0,3,2] row_mask:0xf bank_mask:0xf
	v_add_f32_e32 v10, v10, v11
	s_nop 1
	v_mov_b32_dpp v11, v10 quad_perm:[2,3,0,1] row_mask:0xf bank_mask:0xf
	v_add_f32_e32 v10, v10, v11
	s_nop 1
	v_mov_b32_dpp v11, v10 row_half_mirror row_mask:0xf bank_mask:0xf
	v_add_f32_e32 v10, v10, v11
	s_nop 1
	v_mov_b32_dpp v11, v10 row_mirror row_mask:0xf bank_mask:0xf
	v_add_f32_e32 v10, v10, v11
	s_nop 1
	v_mov_b32_dpp v11, v10 row_bcast:15 row_mask:0xf bank_mask:0xf
	v_add_f32_e32 v10, v10, v11
	s_nop 1
	v_mov_b32_dpp v11, v10 row_bcast:31 row_mask:0xf bank_mask:0xf
	s_and_saveexec_b64 s[0:1], s[2:3]
	s_cbranch_execz .LBB665_38
; %bb.37:
	v_lshrrev_b32_e32 v0, 4, v0
	v_add_f32_e32 v10, v10, v11
	v_and_b32_e32 v0, 60, v0
	ds_write_b32 v0, v10
.LBB665_38:
	s_or_b64 exec, exec, s[0:1]
	s_waitcnt lgkmcnt(0)
	s_barrier
	ds_read_b32 v0, v36
	s_waitcnt lgkmcnt(0)
	s_nop 0
	v_mov_b32_dpp v10, v0 quad_perm:[1,0,3,2] row_mask:0xf bank_mask:0xf
	s_and_saveexec_b64 s[0:1], vcc
	s_cbranch_execz .LBB665_17
; %bb.39:
	v_cvt_f32_u32_e32 v11, s24
	v_add_f32_e32 v0, v0, v10
	s_mov_b32 s31, 0x20000
	v_div_scale_f32 v10, s[0:1], v11, v11, v0
	v_rcp_f32_e32 v12, v10
	v_div_scale_f32 v13, vcc, v0, v11, v0
	s_mov_b32 s0, 0x800000
	v_fma_f32 v14, -v10, v12, 1.0
	v_fmac_f32_e32 v12, v14, v12
	v_mul_f32_e32 v14, v13, v12
	v_fma_f32 v15, -v10, v14, v13
	v_fmac_f32_e32 v14, v15, v12
	v_fma_f32 v10, -v10, v14, v13
	v_div_fmas_f32 v10, v10, v12, v14
	v_div_fixup_f32 v0, v10, v11, v0
	v_add_f32_e32 v0, s21, v0
	v_mul_f32_e32 v10, 0x4b800000, v0
	v_cmp_gt_f32_e32 vcc, s0, v0
	v_cndmask_b32_e32 v0, v0, v10, vcc
	v_rsq_f32_e32 v0, v0
	s_mul_hi_i32 s1, s16, s6
	s_mul_i32 s0, s16, s6
	s_lshl_b64 s[0:1], s[0:1], 1
	v_mul_f32_e32 v10, 0x45800000, v0
	v_cndmask_b32_e32 v10, v0, v10, vcc
	v_mov_b32_e32 v11, v10
	;;#ASMSTART
	v_pk_mul_f32 v[12:13], v[18:19], v[10:11]
	;;#ASMEND
	;;#ASMSTART
	v_pk_mul_f32 v[14:15], v[32:33], v[10:11]
	;;#ASMEND
	;; [unrolled: 3-line block ×4, first 2 shown]
	s_waitcnt vmcnt(1)
	v_cvt_f32_f16_sdwa v29, v6 dst_sel:DWORD dst_unused:UNUSED_PAD src0_sel:WORD_1
	v_cvt_f32_f16_e32 v28, v6
	v_cvt_f32_f16_sdwa v31, v7 dst_sel:DWORD dst_unused:UNUSED_PAD src0_sel:WORD_1
	v_cvt_f32_f16_e32 v30, v7
	;;#ASMSTART
	v_pk_mul_f32 v[26:27], v[26:27], v[10:11]
	;;#ASMEND
	;;#ASMSTART
	v_pk_mul_f32 v[24:25], v[24:25], v[10:11]
	;;#ASMEND
	;; [unrolled: 3-line block ×4, first 2 shown]
	v_cvt_f32_f16_sdwa v21, v8 dst_sel:DWORD dst_unused:UNUSED_PAD src0_sel:WORD_1
	v_cvt_f32_f16_e32 v20, v8
	v_pk_add_f32 v[10:11], v[28:29], 1.0 op_sel_hi:[1,0]
	;;#ASMSTART
	v_pk_mul_f32 v[10:11], v[12:13], v[10:11]
	;;#ASMEND
	v_pk_add_f32 v[12:13], v[30:31], 1.0 op_sel_hi:[1,0]
	v_cvt_f32_f16_sdwa v29, v9 dst_sel:DWORD dst_unused:UNUSED_PAD src0_sel:WORD_1
	v_cvt_f32_f16_e32 v28, v9
	;;#ASMSTART
	v_pk_mul_f32 v[8:9], v[14:15], v[12:13]
	;;#ASMEND
	v_pk_add_f32 v[12:13], v[20:21], 1.0 op_sel_hi:[1,0]
	;;#ASMSTART
	v_pk_mul_f32 v[12:13], v[16:17], v[12:13]
	;;#ASMEND
	s_waitcnt vmcnt(0)
	v_cvt_f32_f16_sdwa v17, v2 dst_sel:DWORD dst_unused:UNUSED_PAD src0_sel:WORD_1
	v_cvt_f32_f16_e32 v16, v2
	v_cvt_f32_f16_sdwa v21, v3 dst_sel:DWORD dst_unused:UNUSED_PAD src0_sel:WORD_1
	v_cvt_f32_f16_e32 v20, v3
	v_pk_add_f32 v[14:15], v[28:29], 1.0 op_sel_hi:[1,0]
	;;#ASMSTART
	v_pk_mul_f32 v[2:3], v[18:19], v[14:15]
	;;#ASMEND
	v_cvt_f32_f16_sdwa v19, v4 dst_sel:DWORD dst_unused:UNUSED_PAD src0_sel:WORD_1
	v_cvt_f32_f16_e32 v18, v4
	v_pk_add_f32 v[14:15], v[16:17], 1.0 op_sel_hi:[1,0]
	v_pk_add_f32 v[16:17], v[20:21], 1.0 op_sel_hi:[1,0]
	v_cvt_f32_f16_sdwa v21, v5 dst_sel:DWORD dst_unused:UNUSED_PAD src0_sel:WORD_1
	v_cvt_f32_f16_e32 v20, v5
	v_pk_add_f32 v[4:5], v[18:19], 1.0 op_sel_hi:[1,0]
	;;#ASMSTART
	v_pk_mul_f32 v[14:15], v[26:27], v[14:15]
	;;#ASMEND
	;;#ASMSTART
	v_pk_mul_f32 v[16:17], v[24:25], v[16:17]
	;;#ASMEND
	;; [unrolled: 3-line block ×3, first 2 shown]
	v_pk_add_f32 v[4:5], v[20:21], 1.0 op_sel_hi:[1,0]
	;;#ASMSTART
	v_pk_mul_f32 v[6:7], v[6:7], v[4:5]
	;;#ASMEND
	v_cvt_f16_f32_e32 v0, v10
	v_cvt_f16_f32_e32 v4, v11
	;; [unrolled: 1-line block ×8, first 2 shown]
	s_add_u32 s28, s18, s0
	s_addc_u32 s0, s19, s1
	s_and_b32 s29, s0, 0xffff
	v_pack_b32_f16 v2, v0, v4
	v_pack_b32_f16 v3, v5, v8
	;; [unrolled: 1-line block ×4, first 2 shown]
	buffer_store_dwordx4 v[2:5], v1, s[28:31], 0 offen
	v_cvt_f16_f32_e32 v0, v14
	v_cvt_f16_f32_e32 v2, v15
	;; [unrolled: 1-line block ×8, first 2 shown]
	v_pack_b32_f16 v2, v0, v2
	v_pack_b32_f16 v3, v3, v4
	;; [unrolled: 1-line block ×4, first 2 shown]
	;;#ASMSTART
	s_nop 0
	;;#ASMEND
	buffer_store_dwordx4 v[2:5], v1, s[28:31], 16 offen
	;;#ASMSTART
	s_nop 0
	;;#ASMEND
	s_endpgm
	.section	.rodata,"a",@progbits
	.p2align	6, 0x0
	.amdhsa_kernel _ZN5aiter35fused_qk_rmsnorm_group_quant_kernelIDF16_DB8_Li128ELi16ELi4ELb1ELb1ELb1ELb0ELb0ELb0EEEvPT0_PvPT_S6_S6_PKS5_S8_S8_S8_S8_ffiiiiiiiiiiiii
		.amdhsa_group_segment_fixed_size 16
		.amdhsa_private_segment_fixed_size 0
		.amdhsa_kernarg_size 400
		.amdhsa_user_sgpr_count 6
		.amdhsa_user_sgpr_private_segment_buffer 1
		.amdhsa_user_sgpr_dispatch_ptr 0
		.amdhsa_user_sgpr_queue_ptr 0
		.amdhsa_user_sgpr_kernarg_segment_ptr 1
		.amdhsa_user_sgpr_dispatch_id 0
		.amdhsa_user_sgpr_flat_scratch_init 0
		.amdhsa_user_sgpr_kernarg_preload_length 0
		.amdhsa_user_sgpr_kernarg_preload_offset 0
		.amdhsa_user_sgpr_private_segment_size 0
		.amdhsa_uses_dynamic_stack 0
		.amdhsa_system_sgpr_private_segment_wavefront_offset 0
		.amdhsa_system_sgpr_workgroup_id_x 1
		.amdhsa_system_sgpr_workgroup_id_y 1
		.amdhsa_system_sgpr_workgroup_id_z 0
		.amdhsa_system_sgpr_workgroup_info 0
		.amdhsa_system_vgpr_workitem_id 0
		.amdhsa_next_free_vgpr 90
		.amdhsa_next_free_sgpr 44
		.amdhsa_accum_offset 92
		.amdhsa_reserve_vcc 1
		.amdhsa_reserve_flat_scratch 0
		.amdhsa_float_round_mode_32 0
		.amdhsa_float_round_mode_16_64 0
		.amdhsa_float_denorm_mode_32 3
		.amdhsa_float_denorm_mode_16_64 3
		.amdhsa_dx10_clamp 1
		.amdhsa_ieee_mode 1
		.amdhsa_fp16_overflow 0
		.amdhsa_tg_split 0
		.amdhsa_exception_fp_ieee_invalid_op 0
		.amdhsa_exception_fp_denorm_src 0
		.amdhsa_exception_fp_ieee_div_zero 0
		.amdhsa_exception_fp_ieee_overflow 0
		.amdhsa_exception_fp_ieee_underflow 0
		.amdhsa_exception_fp_ieee_inexact 0
		.amdhsa_exception_int_div_zero 0
	.end_amdhsa_kernel
	.section	.text._ZN5aiter35fused_qk_rmsnorm_group_quant_kernelIDF16_DB8_Li128ELi16ELi4ELb1ELb1ELb1ELb0ELb0ELb0EEEvPT0_PvPT_S6_S6_PKS5_S8_S8_S8_S8_ffiiiiiiiiiiiii,"axG",@progbits,_ZN5aiter35fused_qk_rmsnorm_group_quant_kernelIDF16_DB8_Li128ELi16ELi4ELb1ELb1ELb1ELb0ELb0ELb0EEEvPT0_PvPT_S6_S6_PKS5_S8_S8_S8_S8_ffiiiiiiiiiiiii,comdat
.Lfunc_end665:
	.size	_ZN5aiter35fused_qk_rmsnorm_group_quant_kernelIDF16_DB8_Li128ELi16ELi4ELb1ELb1ELb1ELb0ELb0ELb0EEEvPT0_PvPT_S6_S6_PKS5_S8_S8_S8_S8_ffiiiiiiiiiiiii, .Lfunc_end665-_ZN5aiter35fused_qk_rmsnorm_group_quant_kernelIDF16_DB8_Li128ELi16ELi4ELb1ELb1ELb1ELb0ELb0ELb0EEEvPT0_PvPT_S6_S6_PKS5_S8_S8_S8_S8_ffiiiiiiiiiiiii
                                        ; -- End function
	.section	.AMDGPU.csdata,"",@progbits
; Kernel info:
; codeLenInByte = 4360
; NumSgprs: 48
; NumVgprs: 90
; NumAgprs: 0
; TotalNumVgprs: 90
; ScratchSize: 0
; MemoryBound: 0
; FloatMode: 240
; IeeeMode: 1
; LDSByteSize: 16 bytes/workgroup (compile time only)
; SGPRBlocks: 5
; VGPRBlocks: 11
; NumSGPRsForWavesPerEU: 48
; NumVGPRsForWavesPerEU: 90
; AccumOffset: 92
; Occupancy: 5
; WaveLimiterHint : 0
; COMPUTE_PGM_RSRC2:SCRATCH_EN: 0
; COMPUTE_PGM_RSRC2:USER_SGPR: 6
; COMPUTE_PGM_RSRC2:TRAP_HANDLER: 0
; COMPUTE_PGM_RSRC2:TGID_X_EN: 1
; COMPUTE_PGM_RSRC2:TGID_Y_EN: 1
; COMPUTE_PGM_RSRC2:TGID_Z_EN: 0
; COMPUTE_PGM_RSRC2:TIDIG_COMP_CNT: 0
; COMPUTE_PGM_RSRC3_GFX90A:ACCUM_OFFSET: 22
; COMPUTE_PGM_RSRC3_GFX90A:TG_SPLIT: 0
	.section	.text._ZN5aiter35fused_qk_rmsnorm_group_quant_kernelItDB8_Li128ELi16ELi4ELb1ELb1ELb1ELb0ELb0ELb0EEEvPT0_PvPT_S6_S6_PKS5_S8_S8_S8_S8_ffiiiiiiiiiiiii,"axG",@progbits,_ZN5aiter35fused_qk_rmsnorm_group_quant_kernelItDB8_Li128ELi16ELi4ELb1ELb1ELb1ELb0ELb0ELb0EEEvPT0_PvPT_S6_S6_PKS5_S8_S8_S8_S8_ffiiiiiiiiiiiii,comdat
	.protected	_ZN5aiter35fused_qk_rmsnorm_group_quant_kernelItDB8_Li128ELi16ELi4ELb1ELb1ELb1ELb0ELb0ELb0EEEvPT0_PvPT_S6_S6_PKS5_S8_S8_S8_S8_ffiiiiiiiiiiiii ; -- Begin function _ZN5aiter35fused_qk_rmsnorm_group_quant_kernelItDB8_Li128ELi16ELi4ELb1ELb1ELb1ELb0ELb0ELb0EEEvPT0_PvPT_S6_S6_PKS5_S8_S8_S8_S8_ffiiiiiiiiiiiii
	.globl	_ZN5aiter35fused_qk_rmsnorm_group_quant_kernelItDB8_Li128ELi16ELi4ELb1ELb1ELb1ELb0ELb0ELb0EEEvPT0_PvPT_S6_S6_PKS5_S8_S8_S8_S8_ffiiiiiiiiiiiii
	.p2align	8
	.type	_ZN5aiter35fused_qk_rmsnorm_group_quant_kernelItDB8_Li128ELi16ELi4ELb1ELb1ELb1ELb0ELb0ELb0EEEvPT0_PvPT_S6_S6_PKS5_S8_S8_S8_S8_ffiiiiiiiiiiiii,@function
_ZN5aiter35fused_qk_rmsnorm_group_quant_kernelItDB8_Li128ELi16ELi4ELb1ELb1ELb1ELb0ELb0ELb0EEEvPT0_PvPT_S6_S6_PKS5_S8_S8_S8_S8_ffiiiiiiiiiiiii: ; @_ZN5aiter35fused_qk_rmsnorm_group_quant_kernelItDB8_Li128ELi16ELi4ELb1ELb1ELb1ELb0ELb0ELb0EEEvPT0_PvPT_S6_S6_PKS5_S8_S8_S8_S8_ffiiiiiiiiiiiii
; %bb.0:
	s_load_dwordx8 s[20:27], s[4:5], 0x50
	s_waitcnt lgkmcnt(0)
	s_cmp_ge_i32 s6, s22
	s_cbranch_scc1 .LBB666_17
; %bb.1:
	s_cmp_lg_u32 s7, 0
	s_cselect_b64 s[10:11], -1, 0
	s_cmp_eq_u32 s7, 0
	s_cselect_b64 s[8:9], -1, 0
	s_and_b64 s[0:1], s[8:9], exec
	s_load_dwordx2 s[28:29], s[4:5], 0x48
	s_load_dwordx2 s[34:35], s[4:5], 0x30
	s_load_dwordx8 s[12:19], s[4:5], 0x70
	s_cselect_b32 s7, s23, s24
	s_add_i32 s0, s7, 1
	s_lshr_b32 s1, s0, 31
	s_add_i32 s0, s0, s1
	s_lshl_b32 s0, s0, 1
	v_lshlrev_b32_e32 v1, 4, v0
	s_and_b32 s38, s0, -4
	v_cmp_gt_i32_e64 s[0:1], s7, v1
	v_mov_b32_e32 v74, 0
	v_mov_b32_e32 v75, 0
	;; [unrolled: 1-line block ×16, first 2 shown]
	s_and_saveexec_b64 s[2:3], s[0:1]
	s_cbranch_execz .LBB666_3
; %bb.2:
	s_waitcnt lgkmcnt(0)
	s_load_dwordx2 s[18:19], s[4:5], 0x28
	s_load_dwordx2 s[30:31], s[4:5], 0x40
	s_and_b64 s[36:37], s[8:9], exec
	s_cselect_b32 s22, s25, s26
	s_mov_b32 s39, 0x20000
	s_waitcnt lgkmcnt(0)
	s_cselect_b32 s25, s19, s35
	s_cselect_b32 s33, s18, s34
	s_mul_hi_i32 s19, s22, s6
	s_mul_i32 s18, s22, s6
	s_lshl_b64 s[18:19], s[18:19], 1
	s_add_u32 s40, s33, s18
	s_addc_u32 s22, s25, s19
	s_and_b64 s[18:19], s[8:9], exec
	s_cselect_b32 s36, s30, s28
	s_cselect_b32 s18, s31, s29
	s_and_b32 s41, s22, 0xffff
	s_mov_b32 s42, s38
	s_mov_b32 s43, s39
	v_lshlrev_b32_e32 v2, 5, v0
	s_and_b32 s37, s18, 0xffff
	buffer_load_dwordx4 v[78:81], v2, s[40:43], 0 offen
	buffer_load_dwordx4 v[82:85], v2, s[40:43], 16 offen
	;; [unrolled: 1-line block ×4, first 2 shown]
.LBB666_3:
	s_or_b64 exec, exec, s[2:3]
	s_and_b64 vcc, exec, s[10:11]
	s_cbranch_vccz .LBB666_7
; %bb.4:
	v_mov_b32_e32 v87, 0
	v_mov_b32_e32 v86, 0
	v_mov_b32_e32 v15, 0
	v_mov_b32_e32 v14, 0
	v_mov_b32_e32 v19, 0
	v_mov_b32_e32 v18, 0
	v_mov_b32_e32 v45, 0
	v_mov_b32_e32 v44, 0
	v_mov_b32_e32 v25, 0
	v_mov_b32_e32 v24, 0
	v_mov_b32_e32 v59, 0
	v_mov_b32_e32 v58, 0
	v_mov_b32_e32 v35, 0
	v_mov_b32_e32 v34, 0
	v_mov_b32_e32 v53, 0
	v_mov_b32_e32 v52, 0
	s_and_saveexec_b64 s[2:3], s[0:1]
	s_cbranch_execz .LBB666_6
; %bb.5:
	s_waitcnt vmcnt(3)
	v_cvt_f32_u32_sdwa v52, v78 dst_sel:DWORD dst_unused:UNUSED_PAD src0_sel:WORD_0
	v_cvt_f32_u32_sdwa v53, v78 dst_sel:DWORD dst_unused:UNUSED_PAD src0_sel:WORD_1
	v_cvt_f32_u32_sdwa v34, v79 dst_sel:DWORD dst_unused:UNUSED_PAD src0_sel:WORD_0
	v_cvt_f32_u32_sdwa v35, v79 dst_sel:DWORD dst_unused:UNUSED_PAD src0_sel:WORD_1
	;; [unrolled: 2-line block ×4, first 2 shown]
	s_waitcnt vmcnt(2)
	v_cvt_f32_u32_sdwa v44, v82 dst_sel:DWORD dst_unused:UNUSED_PAD src0_sel:WORD_0
	v_cvt_f32_u32_sdwa v45, v82 dst_sel:DWORD dst_unused:UNUSED_PAD src0_sel:WORD_1
	v_cvt_f32_u32_sdwa v18, v83 dst_sel:DWORD dst_unused:UNUSED_PAD src0_sel:WORD_0
	v_cvt_f32_u32_sdwa v19, v83 dst_sel:DWORD dst_unused:UNUSED_PAD src0_sel:WORD_1
	v_cvt_f32_u32_sdwa v14, v84 dst_sel:DWORD dst_unused:UNUSED_PAD src0_sel:WORD_0
	v_cvt_f32_u32_sdwa v15, v84 dst_sel:DWORD dst_unused:UNUSED_PAD src0_sel:WORD_1
	v_cvt_f32_u32_sdwa v86, v85 dst_sel:DWORD dst_unused:UNUSED_PAD src0_sel:WORD_0
	v_cvt_f32_u32_sdwa v87, v85 dst_sel:DWORD dst_unused:UNUSED_PAD src0_sel:WORD_1
.LBB666_6:
	s_or_b64 exec, exec, s[2:3]
	s_cbranch_execz .LBB666_8
	s_branch .LBB666_11
.LBB666_7:
                                        ; implicit-def: $vgpr32_vgpr33_vgpr34_vgpr35_vgpr36_vgpr37_vgpr38_vgpr39_vgpr40_vgpr41_vgpr42_vgpr43_vgpr44_vgpr45_vgpr46_vgpr47
                                        ; implicit-def: $vgpr18_vgpr19_vgpr20_vgpr21_vgpr22_vgpr23_vgpr24_vgpr25_vgpr26_vgpr27_vgpr28_vgpr29_vgpr30_vgpr31_vgpr32_vgpr33
                                        ; implicit-def: $vgpr52_vgpr53_vgpr54_vgpr55_vgpr56_vgpr57_vgpr58_vgpr59_vgpr60_vgpr61_vgpr62_vgpr63_vgpr64_vgpr65_vgpr66_vgpr67
                                        ; implicit-def: $vgpr87
                                        ; implicit-def: $vgpr54_vgpr55_vgpr56_vgpr57_vgpr58_vgpr59_vgpr60_vgpr61_vgpr62_vgpr63_vgpr64_vgpr65_vgpr66_vgpr67_vgpr68_vgpr69
                                        ; implicit-def: $vgpr8_vgpr9_vgpr10_vgpr11_vgpr12_vgpr13_vgpr14_vgpr15_vgpr16_vgpr17_vgpr18_vgpr19_vgpr20_vgpr21_vgpr22_vgpr23
                                        ; implicit-def: $vgpr36_vgpr37_vgpr38_vgpr39_vgpr40_vgpr41_vgpr42_vgpr43_vgpr44_vgpr45_vgpr46_vgpr47_vgpr48_vgpr49_vgpr50_vgpr51
                                        ; implicit-def: $vgpr2_vgpr3_vgpr4_vgpr5_vgpr6_vgpr7_vgpr8_vgpr9_vgpr10_vgpr11_vgpr12_vgpr13_vgpr14_vgpr15_vgpr16_vgpr17
.LBB666_8:
	v_mov_b32_e32 v87, 0
	v_mov_b32_e32 v86, 0
	;; [unrolled: 1-line block ×16, first 2 shown]
	s_and_saveexec_b64 s[2:3], s[0:1]
	s_cbranch_execz .LBB666_10
; %bb.9:
	s_waitcnt lgkmcnt(0)
	s_load_dwordx2 s[18:19], s[4:5], 0x38
	s_mul_hi_i32 s31, s27, s6
	s_mul_i32 s30, s27, s6
	s_lshl_b64 s[30:31], s[30:31], 1
	s_mov_b32 s39, 0x20000
	s_waitcnt lgkmcnt(0)
	s_add_u32 s36, s18, s30
	s_addc_u32 s18, s19, s31
	s_and_b32 s37, s18, 0xffff
	v_lshlrev_b32_e32 v38, 5, v0
	buffer_load_dwordx4 v[4:7], v38, s[36:39], 16 offen
	buffer_load_dwordx4 v[8:11], v38, s[36:39], 0 offen
	s_load_dwordx2 s[18:19], s[4:5], 0x20
	s_waitcnt vmcnt(5)
	v_cvt_f32_u32_sdwa v19, v78 dst_sel:DWORD dst_unused:UNUSED_PAD src0_sel:WORD_1
	v_cvt_f32_u32_sdwa v18, v78 dst_sel:DWORD dst_unused:UNUSED_PAD src0_sel:WORD_0
	v_cvt_f32_u32_sdwa v21, v79 dst_sel:DWORD dst_unused:UNUSED_PAD src0_sel:WORD_1
	v_cvt_f32_u32_sdwa v20, v79 dst_sel:DWORD dst_unused:UNUSED_PAD src0_sel:WORD_0
	v_cvt_f32_u32_sdwa v23, v80 dst_sel:DWORD dst_unused:UNUSED_PAD src0_sel:WORD_1
	v_cvt_f32_u32_sdwa v22, v80 dst_sel:DWORD dst_unused:UNUSED_PAD src0_sel:WORD_0
	v_cvt_f32_u32_sdwa v25, v81 dst_sel:DWORD dst_unused:UNUSED_PAD src0_sel:WORD_1
	v_cvt_f32_u32_sdwa v24, v81 dst_sel:DWORD dst_unused:UNUSED_PAD src0_sel:WORD_0
	s_waitcnt vmcnt(4)
	v_cvt_f32_u32_sdwa v3, v82 dst_sel:DWORD dst_unused:UNUSED_PAD src0_sel:WORD_1
	v_cvt_f32_u32_sdwa v2, v82 dst_sel:DWORD dst_unused:UNUSED_PAD src0_sel:WORD_0
	v_cvt_f32_u32_sdwa v13, v83 dst_sel:DWORD dst_unused:UNUSED_PAD src0_sel:WORD_1
	v_cvt_f32_u32_sdwa v12, v83 dst_sel:DWORD dst_unused:UNUSED_PAD src0_sel:WORD_0
	v_cvt_f32_u32_sdwa v15, v84 dst_sel:DWORD dst_unused:UNUSED_PAD src0_sel:WORD_1
	v_cvt_f32_u32_sdwa v14, v84 dst_sel:DWORD dst_unused:UNUSED_PAD src0_sel:WORD_0
	v_cvt_f32_u32_sdwa v16, v85 dst_sel:DWORD dst_unused:UNUSED_PAD src0_sel:WORD_0
	v_cvt_f32_u32_sdwa v17, v85 dst_sel:DWORD dst_unused:UNUSED_PAD src0_sel:WORD_1
	s_mul_hi_i32 s31, s17, s6
	s_mul_i32 s30, s17, s6
	s_lshl_b64 s[30:31], s[30:31], 1
	s_waitcnt lgkmcnt(0)
	s_add_u32 s36, s18, s30
	s_mov_b32 s17, 0x7060302
	s_addc_u32 s18, s19, s31
	s_and_b32 s37, s18, 0xffff
	s_waitcnt vmcnt(1)
	v_cvt_f32_u32_sdwa v27, v4 dst_sel:DWORD dst_unused:UNUSED_PAD src0_sel:WORD_1
	v_cvt_f32_u32_sdwa v26, v4 dst_sel:DWORD dst_unused:UNUSED_PAD src0_sel:WORD_0
	v_cvt_f32_u32_sdwa v29, v5 dst_sel:DWORD dst_unused:UNUSED_PAD src0_sel:WORD_1
	v_cvt_f32_u32_sdwa v28, v5 dst_sel:DWORD dst_unused:UNUSED_PAD src0_sel:WORD_0
	;; [unrolled: 2-line block ×3, first 2 shown]
	v_cvt_f32_u32_sdwa v32, v7 dst_sel:DWORD dst_unused:UNUSED_PAD src0_sel:WORD_0
	v_cvt_f32_u32_sdwa v33, v7 dst_sel:DWORD dst_unused:UNUSED_PAD src0_sel:WORD_1
	s_waitcnt vmcnt(0)
	v_cvt_f32_u32_sdwa v37, v8 dst_sel:DWORD dst_unused:UNUSED_PAD src0_sel:WORD_1
	v_cvt_f32_u32_sdwa v36, v8 dst_sel:DWORD dst_unused:UNUSED_PAD src0_sel:WORD_0
	v_cvt_f32_u32_sdwa v5, v10 dst_sel:DWORD dst_unused:UNUSED_PAD src0_sel:WORD_1
	v_cvt_f32_u32_sdwa v4, v10 dst_sel:DWORD dst_unused:UNUSED_PAD src0_sel:WORD_0
	;; [unrolled: 2-line block ×4, first 2 shown]
	v_pk_add_f32 v[58:59], v[22:23], v[4:5]
	v_pk_add_f32 v[24:25], v[24:25], v[6:7]
	;; [unrolled: 1-line block ×4, first 2 shown]
	v_perm_b32 v7, v25, v24, s17
	v_perm_b32 v6, v59, v58, s17
	;; [unrolled: 1-line block ×4, first 2 shown]
	v_pk_add_f32 v[86:87], v[16:17], v[32:33]
	v_pk_add_f32 v[14:15], v[14:15], v[30:31]
	;; [unrolled: 1-line block ×4, first 2 shown]
	buffer_store_dwordx4 v[4:7], v38, s[36:39], 0 offen
	;;#ASMSTART
	s_nop 0
	;;#ASMEND
	s_nop 0
	v_perm_b32 v7, v87, v86, s17
	v_perm_b32 v6, v15, v14, s17
	;; [unrolled: 1-line block ×4, first 2 shown]
	buffer_store_dwordx4 v[4:7], v38, s[36:39], 16 offen
	;;#ASMSTART
	s_nop 0
	;;#ASMEND
.LBB666_10:
	s_or_b64 exec, exec, s[2:3]
.LBB666_11:
	v_mul_f32_e32 v2, v53, v53
	v_fmac_f32_e32 v2, v52, v52
	v_fmac_f32_e32 v2, v34, v34
	;; [unrolled: 1-line block ×15, first 2 shown]
	s_nop 1
	v_mov_b32_dpp v3, v2 quad_perm:[1,0,3,2] row_mask:0xf bank_mask:0xf
	v_add_f32_e32 v2, v2, v3
	s_nop 1
	v_mov_b32_dpp v3, v2 quad_perm:[2,3,0,1] row_mask:0xf bank_mask:0xf
	v_add_f32_e32 v2, v2, v3
	s_nop 1
	v_mov_b32_dpp v3, v2 row_half_mirror row_mask:0xf bank_mask:0xf
	v_add_f32_e32 v2, v2, v3
	s_nop 1
	v_mov_b32_dpp v3, v2 row_mirror row_mask:0xf bank_mask:0xf
	v_add_f32_e32 v2, v2, v3
	s_nop 1
	v_mov_b32_dpp v3, v2 row_bcast:15 row_mask:0xf bank_mask:0xf
	v_add_f32_e32 v2, v2, v3
	v_and_b32_e32 v3, 63, v0
	v_cmp_eq_u32_e64 s[2:3], 63, v3
	s_nop 0
	v_mov_b32_dpp v3, v2 row_bcast:31 row_mask:0xf bank_mask:0xf
	s_waitcnt lgkmcnt(0)
	s_and_saveexec_b64 s[18:19], s[2:3]
	s_cbranch_execz .LBB666_13
; %bb.12:
	v_add_f32_e32 v2, v2, v3
	v_lshrrev_b32_e32 v3, 4, v0
	v_and_b32_e32 v3, 60, v3
	ds_write_b32 v3, v2 offset:8
.LBB666_13:
	s_or_b64 exec, exec, s[18:19]
	v_and_b32_e32 v2, 1, v0
	v_lshlrev_b32_e32 v36, 2, v2
	s_waitcnt lgkmcnt(0)
	s_barrier
	ds_read_b32 v2, v36 offset:8
	s_load_dwordx2 s[18:19], s[4:5], 0x18
	s_waitcnt lgkmcnt(0)
	v_mov_b32_dpp v3, v2 quad_perm:[1,0,3,2] row_mask:0xf bank_mask:0xf
	s_and_saveexec_b64 s[30:31], s[0:1]
	s_cbranch_execnz .LBB666_18
; %bb.14:
	s_or_b64 exec, exec, s[30:31]
	s_mov_b64 s[8:9], -1
	s_and_b64 vcc, exec, s[10:11]
	s_cbranch_vccnz .LBB666_19
.LBB666_15:
	s_andn2_b64 vcc, exec, s[8:9]
	s_cbranch_vccz .LBB666_22
.LBB666_16:
	s_cmp_lt_i32 s24, 1
	s_cbranch_scc0 .LBB666_31
.LBB666_17:
	s_endpgm
.LBB666_18:
	v_add_f32_e32 v2, v2, v3
	v_cvt_f32_u32_e32 v3, s7
	s_mov_b32 s7, 0x800000
	s_waitcnt vmcnt(1)
	v_cvt_f32_u32_sdwa v17, v74 dst_sel:DWORD dst_unused:UNUSED_PAD src0_sel:WORD_1
	v_cvt_f32_u32_sdwa v16, v74 dst_sel:DWORD dst_unused:UNUSED_PAD src0_sel:WORD_0
	v_div_scale_f32 v4, s[36:37], v3, v3, v2
	v_rcp_f32_e32 v5, v4
	v_pk_add_f32 v[16:17], v[16:17], 1.0 op_sel_hi:[1,0]
	v_cvt_f32_u32_sdwa v21, v77 dst_sel:DWORD dst_unused:UNUSED_PAD src0_sel:WORD_1
	v_cvt_f32_u32_sdwa v20, v77 dst_sel:DWORD dst_unused:UNUSED_PAD src0_sel:WORD_0
	v_fma_f32 v6, -v4, v5, 1.0
	v_fmac_f32_e32 v5, v6, v5
	v_div_scale_f32 v6, vcc, v2, v3, v2
	v_mul_f32_e32 v7, v6, v5
	v_fma_f32 v8, -v4, v7, v6
	v_fmac_f32_e32 v7, v8, v5
	v_fma_f32 v4, -v4, v7, v6
	v_div_fmas_f32 v4, v4, v5, v7
	v_div_fixup_f32 v2, v4, v3, v2
	v_mov_b32_e32 v3, s21
	v_mov_b32_e32 v4, s20
	v_cndmask_b32_e64 v3, v3, v4, s[8:9]
	v_add_f32_e32 v2, v3, v2
	v_mul_f32_e32 v3, 0x4b800000, v2
	v_cmp_gt_f32_e32 vcc, s7, v2
	v_cndmask_b32_e32 v2, v2, v3, vcc
	v_rsq_f32_e32 v2, v2
	s_waitcnt vmcnt(0)
	v_cvt_f32_u32_sdwa v23, v72 dst_sel:DWORD dst_unused:UNUSED_PAD src0_sel:WORD_1
	v_cvt_f32_u32_sdwa v22, v72 dst_sel:DWORD dst_unused:UNUSED_PAD src0_sel:WORD_0
	v_mul_f32_e32 v3, 0x45800000, v2
	v_cndmask_b32_e32 v2, v2, v3, vcc
	v_mov_b32_e32 v3, v2
	;;#ASMSTART
	v_pk_mul_f32 v[4:5], v[52:53], v[2:3]
	;;#ASMEND
	;;#ASMSTART
	v_pk_mul_f32 v[6:7], v[34:35], v[2:3]
	;;#ASMEND
	;; [unrolled: 3-line block ×9, first 2 shown]
	v_cvt_f32_u32_sdwa v5, v75 dst_sel:DWORD dst_unused:UNUSED_PAD src0_sel:WORD_1
	v_cvt_f32_u32_sdwa v4, v75 dst_sel:DWORD dst_unused:UNUSED_PAD src0_sel:WORD_0
	v_cvt_f32_u32_sdwa v17, v76 dst_sel:DWORD dst_unused:UNUSED_PAD src0_sel:WORD_1
	v_cvt_f32_u32_sdwa v16, v76 dst_sel:DWORD dst_unused:UNUSED_PAD src0_sel:WORD_0
	v_cvt_f32_u32_sdwa v25, v73 dst_sel:DWORD dst_unused:UNUSED_PAD src0_sel:WORD_1
	v_pk_add_f32 v[4:5], v[4:5], 1.0 op_sel_hi:[1,0]
	;;#ASMSTART
	v_pk_mul_f32 v[34:35], v[6:7], v[4:5]
	;;#ASMEND
	v_pk_add_f32 v[4:5], v[16:17], 1.0 op_sel_hi:[1,0]
	v_pk_add_f32 v[6:7], v[20:21], 1.0 op_sel_hi:[1,0]
	v_cvt_f32_u32_sdwa v17, v70 dst_sel:DWORD dst_unused:UNUSED_PAD src0_sel:WORD_1
	v_cvt_f32_u32_sdwa v16, v70 dst_sel:DWORD dst_unused:UNUSED_PAD src0_sel:WORD_0
	v_cvt_f32_u32_sdwa v21, v71 dst_sel:DWORD dst_unused:UNUSED_PAD src0_sel:WORD_1
	v_cvt_f32_u32_sdwa v20, v71 dst_sel:DWORD dst_unused:UNUSED_PAD src0_sel:WORD_0
	v_cvt_f32_u32_sdwa v24, v73 dst_sel:DWORD dst_unused:UNUSED_PAD src0_sel:WORD_0
	v_pk_add_f32 v[16:17], v[16:17], 1.0 op_sel_hi:[1,0]
	v_pk_add_f32 v[22:23], v[22:23], 1.0 op_sel_hi:[1,0]
	;; [unrolled: 1-line block ×4, first 2 shown]
	;;#ASMSTART
	v_pk_mul_f32 v[58:59], v[8:9], v[4:5]
	;;#ASMEND
	;;#ASMSTART
	v_pk_mul_f32 v[24:25], v[10:11], v[6:7]
	;;#ASMEND
	;; [unrolled: 3-line block ×6, first 2 shown]
	s_or_b64 exec, exec, s[30:31]
	s_mov_b64 s[8:9], -1
	s_and_b64 vcc, exec, s[10:11]
	s_cbranch_vccz .LBB666_15
.LBB666_19:
	s_and_saveexec_b64 s[8:9], s[0:1]
	s_cbranch_execz .LBB666_21
; %bb.20:
	s_mul_hi_i32 s11, s16, s6
	s_mul_i32 s10, s16, s6
	s_lshl_b64 s[10:11], s[10:11], 1
	s_add_u32 s36, s18, s10
	s_addc_u32 s7, s19, s11
	s_and_b32 s37, s7, 0xffff
	s_mov_b32 s7, 0x7060302
	s_mov_b32 s39, 0x20000
	v_perm_b32 v5, v25, v24, s7
	v_perm_b32 v4, v59, v58, s7
	;; [unrolled: 1-line block ×4, first 2 shown]
	v_lshlrev_b32_e32 v6, 5, v0
	buffer_store_dwordx4 v[2:5], v6, s[36:39], 0 offen
	;;#ASMSTART
	s_nop 0
	;;#ASMEND
	s_nop 0
	v_perm_b32 v5, v87, v86, s7
	v_perm_b32 v4, v15, v14, s7
	;; [unrolled: 1-line block ×4, first 2 shown]
	buffer_store_dwordx4 v[2:5], v6, s[36:39], 16 offen
	;;#ASMSTART
	s_nop 0
	;;#ASMEND
.LBB666_21:
	s_or_b64 exec, exec, s[8:9]
	s_cbranch_execnz .LBB666_16
.LBB666_22:
	v_mov_b32_e32 v2, 0
	s_and_saveexec_b64 s[8:9], s[0:1]
	s_cbranch_execz .LBB666_24
; %bb.23:
	s_load_dwordx2 s[10:11], s[4:5], 0x10
	s_mul_hi_i32 s31, s15, s6
	s_mul_i32 s30, s15, s6
	s_lshl_b64 s[30:31], s[30:31], 1
	s_mov_b32 s39, 0x20000
	s_waitcnt lgkmcnt(0)
	s_add_u32 s36, s10, s30
	s_addc_u32 s7, s11, s31
	s_and_b32 s37, s7, 0xffff
	s_mov_b32 s7, 0x7060302
	v_perm_b32 v5, v25, v24, s7
	v_perm_b32 v4, v59, v58, s7
	;; [unrolled: 1-line block ×4, first 2 shown]
	v_lshlrev_b32_e32 v6, 5, v0
	buffer_store_dwordx4 v[2:5], v6, s[36:39], 0 offen
	;;#ASMSTART
	s_nop 0
	;;#ASMEND
	s_nop 0
	v_perm_b32 v5, v87, v86, s7
	v_perm_b32 v4, v15, v14, s7
	;; [unrolled: 1-line block ×4, first 2 shown]
	buffer_store_dwordx4 v[2:5], v6, s[36:39], 16 offen
	;;#ASMSTART
	s_nop 0
	;;#ASMEND
	s_nop 0
	v_mov_b32_e32 v2, 0x2edbe6ff
.LBB666_24:
	s_or_b64 exec, exec, s[8:9]
	s_and_saveexec_b64 s[8:9], s[0:1]
	s_cbranch_execz .LBB666_26
; %bb.25:
	v_and_b32_e32 v3, 0x7fffffff, v52
	v_and_b32_e32 v4, 0x7fffffff, v53
	;;#ASMSTART
	v_max3_f32 v2, v2, v3, v4

	;;#ASMEND
	v_and_b32_e32 v3, 0x7fffffff, v34
	v_and_b32_e32 v4, 0x7fffffff, v35
	;;#ASMSTART
	v_max3_f32 v2, v2, v3, v4

	;;#ASMEND
	v_and_b32_e32 v3, 0x7fffffff, v58
	v_and_b32_e32 v4, 0x7fffffff, v59
	;;#ASMSTART
	v_max3_f32 v2, v2, v3, v4

	;;#ASMEND
	v_and_b32_e32 v3, 0x7fffffff, v24
	v_and_b32_e32 v4, 0x7fffffff, v25
	;;#ASMSTART
	v_max3_f32 v2, v2, v3, v4

	;;#ASMEND
	v_and_b32_e32 v3, 0x7fffffff, v44
	v_and_b32_e32 v4, 0x7fffffff, v45
	;;#ASMSTART
	v_max3_f32 v2, v2, v3, v4

	;;#ASMEND
	v_and_b32_e32 v3, 0x7fffffff, v18
	v_and_b32_e32 v4, 0x7fffffff, v19
	;;#ASMSTART
	v_max3_f32 v2, v2, v3, v4

	;;#ASMEND
	v_and_b32_e32 v3, 0x7fffffff, v14
	v_and_b32_e32 v4, 0x7fffffff, v15
	;;#ASMSTART
	v_max3_f32 v2, v2, v3, v4

	;;#ASMEND
	v_and_b32_e32 v3, 0x7fffffff, v86
	v_and_b32_e32 v4, 0x7fffffff, v87
	;;#ASMSTART
	v_max3_f32 v2, v2, v3, v4

	;;#ASMEND
.LBB666_26:
	s_or_b64 exec, exec, s[8:9]
	;;#ASMSTART
	v_max_f32 v3, v2, v2 quad_perm:[1,0,3,2] row_mask:0xf bank_mask:0xf bound_ctrl:1
	;;#ASMEND
	;;#ASMSTART
	v_max_f32 v2, v3, v3 quad_perm:[2,3,0,1] row_mask:0xf bank_mask:0xf bound_ctrl:1
	;;#ASMEND
	v_and_b32_e32 v3, 3, v0
	v_cmp_eq_u32_e32 vcc, 0, v3
	v_cmp_gt_i32_e64 s[8:9], s23, v1
	v_mul_f32_e32 v2, 0x3b124925, v2
	s_and_b64 s[10:11], vcc, s[8:9]
	s_and_saveexec_b64 s[8:9], s[10:11]
	s_cbranch_execz .LBB666_28
; %bb.27:
	s_load_dwordx2 s[10:11], s[4:5], 0x8
	v_lshrrev_b32_e32 v3, 2, v0
	s_mul_hi_i32 s31, s13, s6
	s_mul_i32 s30, s13, s6
	v_mad_i64_i32 v[4:5], s[14:15], s14, v3, 0
	s_lshl_b64 s[14:15], s[30:31], 2
	s_waitcnt lgkmcnt(0)
	s_add_u32 s7, s10, s14
	s_addc_u32 s10, s11, s15
	v_lshlrev_b64 v[4:5], 2, v[4:5]
	v_mov_b32_e32 v3, s10
	v_add_co_u32_e32 v4, vcc, s7, v4
	v_addc_co_u32_e32 v5, vcc, v3, v5, vcc
	global_store_dword v[4:5], v2, off
.LBB666_28:
	s_or_b64 exec, exec, s[8:9]
	;;#ASMSTART
	v_rcp_f32 v2, v2
	;;#ASMEND
	s_and_saveexec_b64 s[14:15], s[0:1]
	s_cbranch_execz .LBB666_30
; %bb.29:
	v_mov_b32_e32 v3, v2
	;;#ASMSTART
	v_pk_mul_f32 v[4:5], v[52:53], v[2:3]
	;;#ASMEND
	v_mov_b32_e32 v10, 0xc3e00000
	v_mov_b32_e32 v11, 0x43e00000
	;;#ASMSTART
	v_med3_f32 v4, v4, v10, v11
v_med3_f32 v5, v5, v10, v11
v_cvt_pk_fp8_f32 v6, v4, v5
	;;#ASMEND
	;;#ASMSTART
	v_pk_mul_f32 v[4:5], v[34:35], v[2:3]
	;;#ASMEND
	;;#ASMSTART
	v_med3_f32 v4, v4, v10, v11
v_med3_f32 v5, v5, v10, v11
v_cvt_pk_fp8_f32 v7, v4, v5
	;;#ASMEND
	;;#ASMSTART
	v_pk_mul_f32 v[4:5], v[58:59], v[2:3]
	;;#ASMEND
	;; [unrolled: 8-line block ×3, first 2 shown]
	;;#ASMSTART
	v_med3_f32 v4, v4, v10, v11
v_med3_f32 v5, v5, v10, v11
v_cvt_pk_fp8_f32 v9, v4, v5
	;;#ASMEND
	s_mov_b32 s0, 0x5040100
	v_perm_b32 v4, v7, v6, s0
	s_mov_b32 s0, 0x1060504
	v_perm_b32 v4, v4, v7, s0
	s_load_dwordx2 s[0:1], s[4:5], 0x0
	s_mov_b32 s7, 0x1000504
	;;#ASMSTART
	v_pk_mul_f32 v[6:7], v[44:45], v[2:3]
	;;#ASMEND
	v_perm_b32 v5, v8, v9, s7
	s_mul_i32 s8, s12, s6
	;;#ASMSTART
	v_med3_f32 v6, v6, v10, v11
v_med3_f32 v7, v7, v10, v11
v_cvt_pk_fp8_f32 v8, v6, v7
	;;#ASMEND
	s_mul_hi_i32 s9, s12, s6
	s_waitcnt lgkmcnt(0)
	s_add_u32 s8, s0, s8
	;;#ASMSTART
	v_pk_mul_f32 v[6:7], v[18:19], v[2:3]
	;;#ASMEND
	s_addc_u32 s0, s1, s9
	s_add_i32 s1, s23, 3
	;;#ASMSTART
	v_med3_f32 v6, v6, v10, v11
v_med3_f32 v7, v7, v10, v11
v_cvt_pk_fp8_f32 v9, v6, v7
	;;#ASMEND
	s_ashr_i32 s9, s1, 31
	v_perm_b32 v6, v8, v9, s7
	;;#ASMSTART
	v_pk_mul_f32 v[8:9], v[14:15], v[2:3]
	;;#ASMEND
	v_mov_b32_e32 v7, v9
	s_lshr_b32 s9, s9, 30
	;;#ASMSTART
	v_med3_f32 v8, v8, v10, v11
v_med3_f32 v7, v7, v10, v11
v_cvt_pk_fp8_f32 v9, v8, v7
	;;#ASMEND
	;;#ASMSTART
	v_pk_mul_f32 v[2:3], v[86:87], v[2:3]
	;;#ASMEND
	s_add_i32 s1, s1, s9
	;;#ASMSTART
	v_med3_f32 v2, v2, v10, v11
v_med3_f32 v3, v3, v10, v11
v_cvt_pk_fp8_f32 v7, v2, v3
	;;#ASMEND
	s_and_b32 s10, s1, -4
	s_and_b32 s9, s0, 0xffff
	s_mov_b32 s11, 0x20000
	v_perm_b32 v7, v9, v7, s7
	buffer_store_dwordx4 v[4:7], v1, s[8:11], 0 offen
	;;#ASMSTART
	s_nop 0
	;;#ASMEND
.LBB666_30:
	s_or_b64 exec, exec, s[14:15]
	s_cmp_lt_i32 s24, 1
	s_cbranch_scc1 .LBB666_17
.LBB666_31:
	s_load_dword s0, s[4:5], 0x94
	s_waitcnt lgkmcnt(0)
	s_cmp_lg_u32 s0, 1
	s_cbranch_scc1 .LBB666_17
; %bb.32:
	s_lshl_b32 s0, s24, 1
	s_add_i32 s0, s0, 2
	v_cmp_gt_u32_e32 vcc, s24, v1
	s_and_b32 s30, s0, -4
	v_mov_b32_e32 v18, 0
	v_lshlrev_b32_e32 v1, 5, v0
	v_mov_b32_e32 v14, 0
	v_mov_b32_e32 v15, 0
	;; [unrolled: 1-line block ×16, first 2 shown]
	s_barrier
	s_and_saveexec_b64 s[0:1], vcc
	s_cbranch_execz .LBB666_34
; %bb.33:
	s_mul_hi_i32 s5, s26, s6
	s_mul_i32 s4, s26, s6
	s_and_b32 s29, s29, 0xffff
	s_lshl_b64 s[4:5], s[4:5], 1
	s_add_u32 s8, s34, s4
	s_mov_b32 s31, 0x20000
	s_addc_u32 s4, s35, s5
	s_and_b32 s9, s4, 0xffff
	s_mov_b32 s10, s30
	s_mov_b32 s11, s31
	buffer_load_dwordx4 v[14:17], v1, s[8:11], 0 offen
	buffer_load_dwordx4 v[10:13], v1, s[8:11], 16 offen
	;; [unrolled: 1-line block ×4, first 2 shown]
.LBB666_34:
	s_or_b64 exec, exec, s[0:1]
	v_mov_b32_e32 v19, 0
	v_mov_b32_e32 v32, 0
	;; [unrolled: 1-line block ×15, first 2 shown]
	s_and_saveexec_b64 s[0:1], vcc
	s_cbranch_execz .LBB666_36
; %bb.35:
	s_waitcnt vmcnt(3)
	v_cvt_f32_u32_sdwa v18, v14 dst_sel:DWORD dst_unused:UNUSED_PAD src0_sel:WORD_0
	v_cvt_f32_u32_sdwa v19, v14 dst_sel:DWORD dst_unused:UNUSED_PAD src0_sel:WORD_1
	v_cvt_f32_u32_sdwa v32, v15 dst_sel:DWORD dst_unused:UNUSED_PAD src0_sel:WORD_0
	v_cvt_f32_u32_sdwa v33, v15 dst_sel:DWORD dst_unused:UNUSED_PAD src0_sel:WORD_1
	v_cvt_f32_u32_sdwa v30, v16 dst_sel:DWORD dst_unused:UNUSED_PAD src0_sel:WORD_0
	v_cvt_f32_u32_sdwa v31, v16 dst_sel:DWORD dst_unused:UNUSED_PAD src0_sel:WORD_1
	v_cvt_f32_u32_sdwa v28, v17 dst_sel:DWORD dst_unused:UNUSED_PAD src0_sel:WORD_0
	v_cvt_f32_u32_sdwa v29, v17 dst_sel:DWORD dst_unused:UNUSED_PAD src0_sel:WORD_1
	s_waitcnt vmcnt(2)
	v_cvt_f32_u32_sdwa v26, v10 dst_sel:DWORD dst_unused:UNUSED_PAD src0_sel:WORD_0
	v_cvt_f32_u32_sdwa v27, v10 dst_sel:DWORD dst_unused:UNUSED_PAD src0_sel:WORD_1
	v_cvt_f32_u32_sdwa v24, v11 dst_sel:DWORD dst_unused:UNUSED_PAD src0_sel:WORD_0
	v_cvt_f32_u32_sdwa v25, v11 dst_sel:DWORD dst_unused:UNUSED_PAD src0_sel:WORD_1
	;; [unrolled: 2-line block ×4, first 2 shown]
.LBB666_36:
	s_or_b64 exec, exec, s[0:1]
	s_waitcnt vmcnt(2)
	v_mul_f32_e32 v10, v19, v19
	v_fmac_f32_e32 v10, v18, v18
	v_fmac_f32_e32 v10, v32, v32
	v_fmac_f32_e32 v10, v33, v33
	v_fmac_f32_e32 v10, v30, v30
	v_fmac_f32_e32 v10, v31, v31
	v_fmac_f32_e32 v10, v28, v28
	v_fmac_f32_e32 v10, v29, v29
	v_fmac_f32_e32 v10, v26, v26
	v_fmac_f32_e32 v10, v27, v27
	v_fmac_f32_e32 v10, v24, v24
	v_fmac_f32_e32 v10, v25, v25
	v_fmac_f32_e32 v10, v22, v22
	v_fmac_f32_e32 v10, v23, v23
	v_fmac_f32_e32 v10, v20, v20
	v_fmac_f32_e32 v10, v21, v21
	s_nop 1
	v_mov_b32_dpp v11, v10 quad_perm:[1,0,3,2] row_mask:0xf bank_mask:0xf
	v_add_f32_e32 v10, v10, v11
	s_nop 1
	v_mov_b32_dpp v11, v10 quad_perm:[2,3,0,1] row_mask:0xf bank_mask:0xf
	v_add_f32_e32 v10, v10, v11
	s_nop 1
	v_mov_b32_dpp v11, v10 row_half_mirror row_mask:0xf bank_mask:0xf
	v_add_f32_e32 v10, v10, v11
	s_nop 1
	v_mov_b32_dpp v11, v10 row_mirror row_mask:0xf bank_mask:0xf
	v_add_f32_e32 v10, v10, v11
	s_nop 1
	v_mov_b32_dpp v11, v10 row_bcast:15 row_mask:0xf bank_mask:0xf
	v_add_f32_e32 v10, v10, v11
	s_nop 1
	v_mov_b32_dpp v11, v10 row_bcast:31 row_mask:0xf bank_mask:0xf
	s_and_saveexec_b64 s[0:1], s[2:3]
	s_cbranch_execz .LBB666_38
; %bb.37:
	v_lshrrev_b32_e32 v0, 4, v0
	v_add_f32_e32 v10, v10, v11
	v_and_b32_e32 v0, 60, v0
	ds_write_b32 v0, v10
.LBB666_38:
	s_or_b64 exec, exec, s[0:1]
	s_waitcnt lgkmcnt(0)
	s_barrier
	ds_read_b32 v0, v36
	s_waitcnt lgkmcnt(0)
	s_nop 0
	v_mov_b32_dpp v10, v0 quad_perm:[1,0,3,2] row_mask:0xf bank_mask:0xf
	s_and_saveexec_b64 s[0:1], vcc
	s_cbranch_execz .LBB666_17
; %bb.39:
	v_cvt_f32_u32_e32 v11, s24
	v_add_f32_e32 v0, v0, v10
	s_mov_b32 s31, 0x20000
	v_div_scale_f32 v10, s[0:1], v11, v11, v0
	v_rcp_f32_e32 v12, v10
	v_div_scale_f32 v13, vcc, v0, v11, v0
	s_mov_b32 s0, 0x800000
	v_fma_f32 v14, -v10, v12, 1.0
	v_fmac_f32_e32 v12, v14, v12
	v_mul_f32_e32 v14, v13, v12
	v_fma_f32 v15, -v10, v14, v13
	v_fmac_f32_e32 v14, v15, v12
	v_fma_f32 v10, -v10, v14, v13
	v_div_fmas_f32 v10, v10, v12, v14
	v_div_fixup_f32 v0, v10, v11, v0
	v_add_f32_e32 v0, s21, v0
	v_mul_f32_e32 v10, 0x4b800000, v0
	v_cmp_gt_f32_e32 vcc, s0, v0
	v_cndmask_b32_e32 v0, v0, v10, vcc
	v_rsq_f32_e32 v0, v0
	s_mul_hi_i32 s1, s16, s6
	s_mul_i32 s0, s16, s6
	s_lshl_b64 s[0:1], s[0:1], 1
	v_mul_f32_e32 v10, 0x45800000, v0
	v_cndmask_b32_e32 v10, v0, v10, vcc
	v_mov_b32_e32 v11, v10
	;;#ASMSTART
	v_pk_mul_f32 v[12:13], v[18:19], v[10:11]
	;;#ASMEND
	;;#ASMSTART
	v_pk_mul_f32 v[14:15], v[32:33], v[10:11]
	;;#ASMEND
	;; [unrolled: 3-line block ×4, first 2 shown]
	s_waitcnt vmcnt(1)
	v_cvt_f32_u32_sdwa v29, v6 dst_sel:DWORD dst_unused:UNUSED_PAD src0_sel:WORD_1
	v_cvt_f32_u32_sdwa v28, v6 dst_sel:DWORD dst_unused:UNUSED_PAD src0_sel:WORD_0
	v_cvt_f32_u32_sdwa v31, v7 dst_sel:DWORD dst_unused:UNUSED_PAD src0_sel:WORD_1
	v_cvt_f32_u32_sdwa v30, v7 dst_sel:DWORD dst_unused:UNUSED_PAD src0_sel:WORD_0
	;;#ASMSTART
	v_pk_mul_f32 v[26:27], v[26:27], v[10:11]
	;;#ASMEND
	;;#ASMSTART
	v_pk_mul_f32 v[24:25], v[24:25], v[10:11]
	;;#ASMEND
	;; [unrolled: 3-line block ×4, first 2 shown]
	v_cvt_f32_u32_sdwa v21, v8 dst_sel:DWORD dst_unused:UNUSED_PAD src0_sel:WORD_1
	v_cvt_f32_u32_sdwa v20, v8 dst_sel:DWORD dst_unused:UNUSED_PAD src0_sel:WORD_0
	v_pk_add_f32 v[10:11], v[28:29], 1.0 op_sel_hi:[1,0]
	;;#ASMSTART
	v_pk_mul_f32 v[10:11], v[12:13], v[10:11]
	;;#ASMEND
	v_pk_add_f32 v[12:13], v[30:31], 1.0 op_sel_hi:[1,0]
	v_cvt_f32_u32_sdwa v29, v9 dst_sel:DWORD dst_unused:UNUSED_PAD src0_sel:WORD_1
	v_cvt_f32_u32_sdwa v28, v9 dst_sel:DWORD dst_unused:UNUSED_PAD src0_sel:WORD_0
	;;#ASMSTART
	v_pk_mul_f32 v[8:9], v[14:15], v[12:13]
	;;#ASMEND
	v_pk_add_f32 v[12:13], v[20:21], 1.0 op_sel_hi:[1,0]
	;;#ASMSTART
	v_pk_mul_f32 v[12:13], v[16:17], v[12:13]
	;;#ASMEND
	s_waitcnt vmcnt(0)
	v_cvt_f32_u32_sdwa v17, v2 dst_sel:DWORD dst_unused:UNUSED_PAD src0_sel:WORD_1
	v_cvt_f32_u32_sdwa v16, v2 dst_sel:DWORD dst_unused:UNUSED_PAD src0_sel:WORD_0
	v_cvt_f32_u32_sdwa v21, v3 dst_sel:DWORD dst_unused:UNUSED_PAD src0_sel:WORD_1
	v_cvt_f32_u32_sdwa v20, v3 dst_sel:DWORD dst_unused:UNUSED_PAD src0_sel:WORD_0
	v_pk_add_f32 v[14:15], v[28:29], 1.0 op_sel_hi:[1,0]
	;;#ASMSTART
	v_pk_mul_f32 v[14:15], v[18:19], v[14:15]
	;;#ASMEND
	v_pk_add_f32 v[2:3], v[16:17], 1.0 op_sel_hi:[1,0]
	v_cvt_f32_u32_sdwa v19, v4 dst_sel:DWORD dst_unused:UNUSED_PAD src0_sel:WORD_1
	v_cvt_f32_u32_sdwa v18, v4 dst_sel:DWORD dst_unused:UNUSED_PAD src0_sel:WORD_0
	;;#ASMSTART
	v_pk_mul_f32 v[16:17], v[26:27], v[2:3]
	;;#ASMEND
	v_pk_add_f32 v[2:3], v[20:21], 1.0 op_sel_hi:[1,0]
	v_cvt_f32_u32_sdwa v21, v5 dst_sel:DWORD dst_unused:UNUSED_PAD src0_sel:WORD_1
	v_cvt_f32_u32_sdwa v20, v5 dst_sel:DWORD dst_unused:UNUSED_PAD src0_sel:WORD_0
	s_add_u32 s28, s18, s0
	;;#ASMSTART
	v_pk_mul_f32 v[24:25], v[24:25], v[2:3]
	;;#ASMEND
	v_pk_add_f32 v[2:3], v[18:19], 1.0 op_sel_hi:[1,0]
	s_addc_u32 s0, s19, s1
	;;#ASMSTART
	v_pk_mul_f32 v[18:19], v[22:23], v[2:3]
	;;#ASMEND
	v_pk_add_f32 v[2:3], v[20:21], 1.0 op_sel_hi:[1,0]
	s_and_b32 s29, s0, 0xffff
	s_mov_b32 s0, 0x7060302
	;;#ASMSTART
	v_pk_mul_f32 v[6:7], v[6:7], v[2:3]
	;;#ASMEND
	v_perm_b32 v2, v11, v10, s0
	v_perm_b32 v3, v9, v8, s0
	;; [unrolled: 1-line block ×4, first 2 shown]
	buffer_store_dwordx4 v[2:5], v1, s[28:31], 0 offen
	;;#ASMSTART
	s_nop 0
	;;#ASMEND
	s_nop 0
	v_perm_b32 v2, v17, v16, s0
	v_perm_b32 v3, v25, v24, s0
	;; [unrolled: 1-line block ×4, first 2 shown]
	buffer_store_dwordx4 v[2:5], v1, s[28:31], 16 offen
	;;#ASMSTART
	s_nop 0
	;;#ASMEND
	s_endpgm
	.section	.rodata,"a",@progbits
	.p2align	6, 0x0
	.amdhsa_kernel _ZN5aiter35fused_qk_rmsnorm_group_quant_kernelItDB8_Li128ELi16ELi4ELb1ELb1ELb1ELb0ELb0ELb0EEEvPT0_PvPT_S6_S6_PKS5_S8_S8_S8_S8_ffiiiiiiiiiiiii
		.amdhsa_group_segment_fixed_size 16
		.amdhsa_private_segment_fixed_size 0
		.amdhsa_kernarg_size 400
		.amdhsa_user_sgpr_count 6
		.amdhsa_user_sgpr_private_segment_buffer 1
		.amdhsa_user_sgpr_dispatch_ptr 0
		.amdhsa_user_sgpr_queue_ptr 0
		.amdhsa_user_sgpr_kernarg_segment_ptr 1
		.amdhsa_user_sgpr_dispatch_id 0
		.amdhsa_user_sgpr_flat_scratch_init 0
		.amdhsa_user_sgpr_kernarg_preload_length 0
		.amdhsa_user_sgpr_kernarg_preload_offset 0
		.amdhsa_user_sgpr_private_segment_size 0
		.amdhsa_uses_dynamic_stack 0
		.amdhsa_system_sgpr_private_segment_wavefront_offset 0
		.amdhsa_system_sgpr_workgroup_id_x 1
		.amdhsa_system_sgpr_workgroup_id_y 1
		.amdhsa_system_sgpr_workgroup_id_z 0
		.amdhsa_system_sgpr_workgroup_info 0
		.amdhsa_system_vgpr_workitem_id 0
		.amdhsa_next_free_vgpr 88
		.amdhsa_next_free_sgpr 44
		.amdhsa_accum_offset 88
		.amdhsa_reserve_vcc 1
		.amdhsa_reserve_flat_scratch 0
		.amdhsa_float_round_mode_32 0
		.amdhsa_float_round_mode_16_64 0
		.amdhsa_float_denorm_mode_32 3
		.amdhsa_float_denorm_mode_16_64 3
		.amdhsa_dx10_clamp 1
		.amdhsa_ieee_mode 1
		.amdhsa_fp16_overflow 0
		.amdhsa_tg_split 0
		.amdhsa_exception_fp_ieee_invalid_op 0
		.amdhsa_exception_fp_denorm_src 0
		.amdhsa_exception_fp_ieee_div_zero 0
		.amdhsa_exception_fp_ieee_overflow 0
		.amdhsa_exception_fp_ieee_underflow 0
		.amdhsa_exception_fp_ieee_inexact 0
		.amdhsa_exception_int_div_zero 0
	.end_amdhsa_kernel
	.section	.text._ZN5aiter35fused_qk_rmsnorm_group_quant_kernelItDB8_Li128ELi16ELi4ELb1ELb1ELb1ELb0ELb0ELb0EEEvPT0_PvPT_S6_S6_PKS5_S8_S8_S8_S8_ffiiiiiiiiiiiii,"axG",@progbits,_ZN5aiter35fused_qk_rmsnorm_group_quant_kernelItDB8_Li128ELi16ELi4ELb1ELb1ELb1ELb0ELb0ELb0EEEvPT0_PvPT_S6_S6_PKS5_S8_S8_S8_S8_ffiiiiiiiiiiiii,comdat
.Lfunc_end666:
	.size	_ZN5aiter35fused_qk_rmsnorm_group_quant_kernelItDB8_Li128ELi16ELi4ELb1ELb1ELb1ELb0ELb0ELb0EEEvPT0_PvPT_S6_S6_PKS5_S8_S8_S8_S8_ffiiiiiiiiiiiii, .Lfunc_end666-_ZN5aiter35fused_qk_rmsnorm_group_quant_kernelItDB8_Li128ELi16ELi4ELb1ELb1ELb1ELb0ELb0ELb0EEEvPT0_PvPT_S6_S6_PKS5_S8_S8_S8_S8_ffiiiiiiiiiiiii
                                        ; -- End function
	.section	.AMDGPU.csdata,"",@progbits
; Kernel info:
; codeLenInByte = 4344
; NumSgprs: 48
; NumVgprs: 88
; NumAgprs: 0
; TotalNumVgprs: 88
; ScratchSize: 0
; MemoryBound: 0
; FloatMode: 240
; IeeeMode: 1
; LDSByteSize: 16 bytes/workgroup (compile time only)
; SGPRBlocks: 5
; VGPRBlocks: 10
; NumSGPRsForWavesPerEU: 48
; NumVGPRsForWavesPerEU: 88
; AccumOffset: 88
; Occupancy: 5
; WaveLimiterHint : 0
; COMPUTE_PGM_RSRC2:SCRATCH_EN: 0
; COMPUTE_PGM_RSRC2:USER_SGPR: 6
; COMPUTE_PGM_RSRC2:TRAP_HANDLER: 0
; COMPUTE_PGM_RSRC2:TGID_X_EN: 1
; COMPUTE_PGM_RSRC2:TGID_Y_EN: 1
; COMPUTE_PGM_RSRC2:TGID_Z_EN: 0
; COMPUTE_PGM_RSRC2:TIDIG_COMP_CNT: 0
; COMPUTE_PGM_RSRC3_GFX90A:ACCUM_OFFSET: 21
; COMPUTE_PGM_RSRC3_GFX90A:TG_SPLIT: 0
	.section	.text._ZN5aiter35fused_qk_rmsnorm_group_quant_kernelIDF16_N4opus5fp4_tELi128ELi16ELi4ELb1ELb1ELb1ELb0ELb0ELb0EEEvPT0_PvPT_S7_S7_PKS6_S9_S9_S9_S9_ffiiiiiiiiiiiii,"axG",@progbits,_ZN5aiter35fused_qk_rmsnorm_group_quant_kernelIDF16_N4opus5fp4_tELi128ELi16ELi4ELb1ELb1ELb1ELb0ELb0ELb0EEEvPT0_PvPT_S7_S7_PKS6_S9_S9_S9_S9_ffiiiiiiiiiiiii,comdat
	.protected	_ZN5aiter35fused_qk_rmsnorm_group_quant_kernelIDF16_N4opus5fp4_tELi128ELi16ELi4ELb1ELb1ELb1ELb0ELb0ELb0EEEvPT0_PvPT_S7_S7_PKS6_S9_S9_S9_S9_ffiiiiiiiiiiiii ; -- Begin function _ZN5aiter35fused_qk_rmsnorm_group_quant_kernelIDF16_N4opus5fp4_tELi128ELi16ELi4ELb1ELb1ELb1ELb0ELb0ELb0EEEvPT0_PvPT_S7_S7_PKS6_S9_S9_S9_S9_ffiiiiiiiiiiiii
	.globl	_ZN5aiter35fused_qk_rmsnorm_group_quant_kernelIDF16_N4opus5fp4_tELi128ELi16ELi4ELb1ELb1ELb1ELb0ELb0ELb0EEEvPT0_PvPT_S7_S7_PKS6_S9_S9_S9_S9_ffiiiiiiiiiiiii
	.p2align	8
	.type	_ZN5aiter35fused_qk_rmsnorm_group_quant_kernelIDF16_N4opus5fp4_tELi128ELi16ELi4ELb1ELb1ELb1ELb0ELb0ELb0EEEvPT0_PvPT_S7_S7_PKS6_S9_S9_S9_S9_ffiiiiiiiiiiiii,@function
_ZN5aiter35fused_qk_rmsnorm_group_quant_kernelIDF16_N4opus5fp4_tELi128ELi16ELi4ELb1ELb1ELb1ELb0ELb0ELb0EEEvPT0_PvPT_S7_S7_PKS6_S9_S9_S9_S9_ffiiiiiiiiiiiii: ; @_ZN5aiter35fused_qk_rmsnorm_group_quant_kernelIDF16_N4opus5fp4_tELi128ELi16ELi4ELb1ELb1ELb1ELb0ELb0ELb0EEEvPT0_PvPT_S7_S7_PKS6_S9_S9_S9_S9_ffiiiiiiiiiiiii
; %bb.0:
	s_load_dwordx8 s[20:27], s[4:5], 0x50
	s_waitcnt lgkmcnt(0)
	s_cmp_ge_i32 s6, s22
	s_cbranch_scc1 .LBB667_17
; %bb.1:
	s_cmp_lg_u32 s7, 0
	s_cselect_b64 s[30:31], -1, 0
	s_cmp_eq_u32 s7, 0
	s_cselect_b64 s[8:9], -1, 0
	s_and_b64 s[0:1], s[8:9], exec
	s_load_dwordx2 s[28:29], s[4:5], 0x48
	s_load_dwordx2 s[10:11], s[4:5], 0x30
	s_load_dwordx8 s[12:19], s[4:5], 0x70
	s_cselect_b32 s7, s23, s24
	s_add_i32 s0, s7, 1
	s_lshr_b32 s1, s0, 31
	s_add_i32 s0, s0, s1
	s_lshl_b32 s0, s0, 1
	v_lshlrev_b32_e32 v1, 4, v0
	s_and_b32 s38, s0, -4
	v_cmp_gt_i32_e64 s[0:1], s7, v1
	v_mov_b32_e32 v6, 0
	v_mov_b32_e32 v7, 0
	v_mov_b32_e32 v8, 0
	v_mov_b32_e32 v9, 0
	v_mov_b32_e32 v2, 0
	v_mov_b32_e32 v3, 0
	v_mov_b32_e32 v4, 0
	v_mov_b32_e32 v5, 0
	v_mov_b32_e32 v10, 0
	v_mov_b32_e32 v11, 0
	v_mov_b32_e32 v12, 0
	v_mov_b32_e32 v13, 0
	v_mov_b32_e32 v14, 0
	v_mov_b32_e32 v15, 0
	v_mov_b32_e32 v16, 0
	v_mov_b32_e32 v17, 0
	s_and_saveexec_b64 s[2:3], s[0:1]
	s_cbranch_execz .LBB667_3
; %bb.2:
	s_waitcnt lgkmcnt(0)
	s_load_dwordx2 s[18:19], s[4:5], 0x28
	s_load_dwordx2 s[34:35], s[4:5], 0x40
	s_and_b64 s[36:37], s[8:9], exec
	s_cselect_b32 s22, s25, s26
	s_mov_b32 s39, 0x20000
	s_waitcnt lgkmcnt(0)
	s_cselect_b32 s25, s19, s11
	s_cselect_b32 s33, s18, s10
	s_mul_hi_i32 s19, s22, s6
	s_mul_i32 s18, s22, s6
	s_lshl_b64 s[18:19], s[18:19], 1
	s_add_u32 s40, s33, s18
	s_addc_u32 s22, s25, s19
	s_and_b64 s[18:19], s[8:9], exec
	s_cselect_b32 s36, s34, s28
	s_cselect_b32 s18, s35, s29
	s_and_b32 s41, s22, 0xffff
	s_mov_b32 s42, s38
	s_mov_b32 s43, s39
	v_lshlrev_b32_e32 v18, 5, v0
	s_and_b32 s37, s18, 0xffff
	buffer_load_dwordx4 v[10:13], v18, s[40:43], 0 offen
	buffer_load_dwordx4 v[14:17], v18, s[40:43], 16 offen
	;; [unrolled: 1-line block ×4, first 2 shown]
.LBB667_3:
	s_or_b64 exec, exec, s[2:3]
	s_and_b64 vcc, exec, s[30:31]
	s_cbranch_vccz .LBB667_7
; %bb.4:
	v_mov_b32_e32 v19, 0
	v_mov_b32_e32 v18, 0
	;; [unrolled: 1-line block ×16, first 2 shown]
	s_and_saveexec_b64 s[2:3], s[0:1]
	s_cbranch_execz .LBB667_6
; %bb.5:
	s_waitcnt vmcnt(3)
	v_cvt_f32_f16_sdwa v29, v10 dst_sel:DWORD dst_unused:UNUSED_PAD src0_sel:WORD_1
	v_cvt_f32_f16_e32 v28, v10
	v_cvt_f32_f16_sdwa v33, v11 dst_sel:DWORD dst_unused:UNUSED_PAD src0_sel:WORD_1
	v_cvt_f32_f16_e32 v32, v11
	;; [unrolled: 2-line block ×4, first 2 shown]
	s_waitcnt vmcnt(2)
	v_cvt_f32_f16_sdwa v23, v14 dst_sel:DWORD dst_unused:UNUSED_PAD src0_sel:WORD_1
	v_cvt_f32_f16_e32 v22, v14
	v_cvt_f32_f16_sdwa v25, v15 dst_sel:DWORD dst_unused:UNUSED_PAD src0_sel:WORD_1
	v_cvt_f32_f16_e32 v24, v15
	;; [unrolled: 2-line block ×4, first 2 shown]
.LBB667_6:
	s_or_b64 exec, exec, s[2:3]
	s_cbranch_execz .LBB667_8
	s_branch .LBB667_11
.LBB667_7:
                                        ; implicit-def: $vgpr19
                                        ; implicit-def: $vgpr21
                                        ; implicit-def: $vgpr25
                                        ; implicit-def: $vgpr23
                                        ; implicit-def: $vgpr31
                                        ; implicit-def: $vgpr27
                                        ; implicit-def: $vgpr33
                                        ; implicit-def: $vgpr29
.LBB667_8:
	v_mov_b32_e32 v19, 0
	v_mov_b32_e32 v18, 0
	v_mov_b32_e32 v21, 0
	v_mov_b32_e32 v20, 0
	v_mov_b32_e32 v25, 0
	v_mov_b32_e32 v24, 0
	v_mov_b32_e32 v23, 0
	v_mov_b32_e32 v22, 0
	v_mov_b32_e32 v31, 0
	v_mov_b32_e32 v30, 0
	v_mov_b32_e32 v27, 0
	v_mov_b32_e32 v26, 0
	v_mov_b32_e32 v33, 0
	v_mov_b32_e32 v32, 0
	v_mov_b32_e32 v29, 0
	v_mov_b32_e32 v28, 0
	s_and_saveexec_b64 s[2:3], s[0:1]
	s_cbranch_execz .LBB667_10
; %bb.9:
	s_waitcnt lgkmcnt(0)
	s_load_dwordx2 s[18:19], s[4:5], 0x38
	s_mul_hi_i32 s35, s27, s6
	s_mul_i32 s34, s27, s6
	s_lshl_b64 s[34:35], s[34:35], 1
	s_mov_b32 s39, 0x20000
	s_waitcnt lgkmcnt(0)
	s_add_u32 s36, s18, s34
	s_addc_u32 s18, s19, s35
	s_and_b32 s37, s18, 0xffff
	v_lshlrev_b32_e32 v48, 5, v0
	buffer_load_dwordx4 v[18:21], v48, s[36:39], 16 offen
	buffer_load_dwordx4 v[22:25], v48, s[36:39], 0 offen
	s_waitcnt vmcnt(4)
	v_cvt_f32_f16_sdwa v27, v14 dst_sel:DWORD dst_unused:UNUSED_PAD src0_sel:WORD_1
	v_cvt_f32_f16_e32 v26, v14
	v_cvt_f32_f16_sdwa v29, v15 dst_sel:DWORD dst_unused:UNUSED_PAD src0_sel:WORD_1
	v_cvt_f32_f16_e32 v28, v15
	;; [unrolled: 2-line block ×8, first 2 shown]
	s_load_dwordx2 s[18:19], s[4:5], 0x20
	s_mul_hi_i32 s35, s17, s6
	s_mul_i32 s34, s17, s6
	s_lshl_b64 s[34:35], s[34:35], 1
	s_waitcnt lgkmcnt(0)
	s_add_u32 s36, s18, s34
	s_addc_u32 s17, s19, s35
	s_and_b32 s37, s17, 0xffff
	s_waitcnt vmcnt(1)
	v_cvt_f32_f16_e32 v12, v18
	v_cvt_f32_f16_sdwa v13, v18 dst_sel:DWORD dst_unused:UNUSED_PAD src0_sel:WORD_1
	v_cvt_f32_f16_e32 v18, v19
	v_cvt_f32_f16_sdwa v19, v19 dst_sel:DWORD dst_unused:UNUSED_PAD src0_sel:WORD_1
	;; [unrolled: 2-line block ×4, first 2 shown]
	s_waitcnt vmcnt(0)
	v_cvt_f32_f16_e32 v40, v22
	v_cvt_f32_f16_sdwa v41, v22 dst_sel:DWORD dst_unused:UNUSED_PAD src0_sel:WORD_1
	v_cvt_f32_f16_e32 v42, v23
	v_cvt_f32_f16_sdwa v43, v23 dst_sel:DWORD dst_unused:UNUSED_PAD src0_sel:WORD_1
	;; [unrolled: 2-line block ×4, first 2 shown]
	v_pk_add_f32 v[22:23], v[26:27], v[12:13]
	v_pk_add_f32 v[24:25], v[28:29], v[18:19]
	;; [unrolled: 1-line block ×8, first 2 shown]
	v_cvt_f16_f32_e32 v10, v29
	v_cvt_f16_f32_e32 v14, v28
	;; [unrolled: 1-line block ×16, first 2 shown]
	v_pack_b32_f16 v13, v17, v13
	v_pack_b32_f16 v12, v16, v12
	;; [unrolled: 1-line block ×8, first 2 shown]
	buffer_store_dwordx4 v[10:13], v48, s[36:39], 0 offen
	;;#ASMSTART
	s_nop 0
	;;#ASMEND
	buffer_store_dwordx4 v[14:17], v48, s[36:39], 16 offen
	;;#ASMSTART
	s_nop 0
	;;#ASMEND
.LBB667_10:
	s_or_b64 exec, exec, s[2:3]
.LBB667_11:
	s_waitcnt vmcnt(3)
	v_mul_f32_e32 v10, v29, v29
	v_fmac_f32_e32 v10, v28, v28
	v_fmac_f32_e32 v10, v32, v32
	;; [unrolled: 1-line block ×15, first 2 shown]
	v_and_b32_e32 v12, 63, v0
	v_cmp_eq_u32_e64 s[2:3], 63, v12
	v_mov_b32_dpp v11, v10 quad_perm:[1,0,3,2] row_mask:0xf bank_mask:0xf
	v_add_f32_e32 v10, v10, v11
	s_nop 1
	v_mov_b32_dpp v11, v10 quad_perm:[2,3,0,1] row_mask:0xf bank_mask:0xf
	v_add_f32_e32 v10, v10, v11
	s_nop 1
	v_mov_b32_dpp v11, v10 row_half_mirror row_mask:0xf bank_mask:0xf
	v_add_f32_e32 v10, v10, v11
	s_nop 1
	v_mov_b32_dpp v11, v10 row_mirror row_mask:0xf bank_mask:0xf
	v_add_f32_e32 v10, v10, v11
	s_nop 1
	v_mov_b32_dpp v11, v10 row_bcast:15 row_mask:0xf bank_mask:0xf
	v_add_f32_e32 v10, v10, v11
	s_nop 1
	v_mov_b32_dpp v11, v10 row_bcast:31 row_mask:0xf bank_mask:0xf
	s_waitcnt lgkmcnt(0)
	s_and_saveexec_b64 s[18:19], s[2:3]
	s_cbranch_execz .LBB667_13
; %bb.12:
	v_add_f32_e32 v10, v10, v11
	v_lshrrev_b32_e32 v11, 4, v0
	v_and_b32_e32 v11, 60, v11
	ds_write_b32 v11, v10 offset:8
.LBB667_13:
	s_or_b64 exec, exec, s[18:19]
	v_and_b32_e32 v10, 1, v0
	v_lshlrev_b32_e32 v34, 2, v10
	s_waitcnt lgkmcnt(0)
	s_barrier
	ds_read_b32 v10, v34 offset:8
	s_load_dwordx2 s[18:19], s[4:5], 0x18
	s_waitcnt lgkmcnt(0)
	v_mov_b32_dpp v11, v10 quad_perm:[1,0,3,2] row_mask:0xf bank_mask:0xf
	s_and_saveexec_b64 s[34:35], s[0:1]
	s_cbranch_execnz .LBB667_18
; %bb.14:
	s_or_b64 exec, exec, s[34:35]
	s_mov_b64 s[8:9], -1
	s_and_b64 vcc, exec, s[30:31]
	s_cbranch_vccnz .LBB667_19
.LBB667_15:
	s_andn2_b64 vcc, exec, s[8:9]
	s_cbranch_vccz .LBB667_22
.LBB667_16:
	s_cmp_lt_i32 s24, 1
	s_cbranch_scc0 .LBB667_31
.LBB667_17:
	s_endpgm
.LBB667_18:
	v_cvt_f32_u32_e32 v12, s7
	v_add_f32_e32 v10, v10, v11
	s_waitcnt vmcnt(2)
	v_mov_b32_e32 v14, s21
	v_mov_b32_e32 v15, s20
	v_div_scale_f32 v11, s[36:37], v12, v12, v10
	v_rcp_f32_e32 v13, v11
	v_cndmask_b32_e64 v14, v14, v15, s[8:9]
	s_mov_b32 s7, 0x800000
	v_fma_f32 v15, -v11, v13, 1.0
	v_fmac_f32_e32 v13, v15, v13
	v_div_scale_f32 v15, vcc, v10, v12, v10
	v_mul_f32_e32 v16, v15, v13
	v_fma_f32 v17, -v11, v16, v15
	v_fmac_f32_e32 v16, v17, v13
	v_fma_f32 v11, -v11, v16, v15
	v_div_fmas_f32 v11, v11, v13, v16
	v_div_fixup_f32 v10, v11, v12, v10
	v_add_f32_e32 v10, v14, v10
	v_mul_f32_e32 v11, 0x4b800000, v10
	v_cmp_gt_f32_e32 vcc, s7, v10
	v_cndmask_b32_e32 v10, v10, v11, vcc
	v_rsq_f32_e32 v10, v10
	v_mul_f32_e32 v11, 0x45800000, v10
	v_cndmask_b32_e32 v10, v10, v11, vcc
	v_mov_b32_e32 v11, v10
	;;#ASMSTART
	v_pk_mul_f32 v[12:13], v[28:29], v[10:11]
	;;#ASMEND
	;;#ASMSTART
	v_pk_mul_f32 v[14:15], v[32:33], v[10:11]
	;;#ASMEND
	;; [unrolled: 3-line block ×3, first 2 shown]
	s_waitcnt vmcnt(1)
	v_cvt_f32_f16_sdwa v27, v6 dst_sel:DWORD dst_unused:UNUSED_PAD src0_sel:WORD_1
	v_cvt_f32_f16_e32 v26, v6
	v_cvt_f32_f16_sdwa v33, v7 dst_sel:DWORD dst_unused:UNUSED_PAD src0_sel:WORD_1
	v_cvt_f32_f16_e32 v32, v7
	;;#ASMSTART
	v_pk_mul_f32 v[30:31], v[30:31], v[10:11]
	;;#ASMEND
	;;#ASMSTART
	v_pk_mul_f32 v[22:23], v[22:23], v[10:11]
	;;#ASMEND
	;; [unrolled: 3-line block ×5, first 2 shown]
	v_pk_add_f32 v[10:11], v[26:27], 1.0 op_sel_hi:[1,0]
	;;#ASMSTART
	v_pk_mul_f32 v[28:29], v[12:13], v[10:11]
	;;#ASMEND
	v_cvt_f32_f16_sdwa v13, v8 dst_sel:DWORD dst_unused:UNUSED_PAD src0_sel:WORD_1
	v_cvt_f32_f16_e32 v12, v8
	v_cvt_f32_f16_sdwa v19, v9 dst_sel:DWORD dst_unused:UNUSED_PAD src0_sel:WORD_1
	v_cvt_f32_f16_e32 v18, v9
	v_pk_add_f32 v[10:11], v[32:33], 1.0 op_sel_hi:[1,0]
	;;#ASMSTART
	v_pk_mul_f32 v[32:33], v[14:15], v[10:11]
	;;#ASMEND
	s_waitcnt vmcnt(0)
	v_cvt_f32_f16_sdwa v11, v2 dst_sel:DWORD dst_unused:UNUSED_PAD src0_sel:WORD_1
	v_cvt_f32_f16_e32 v10, v2
	v_pk_add_f32 v[8:9], v[12:13], 1.0 op_sel_hi:[1,0]
	;;#ASMSTART
	v_pk_mul_f32 v[26:27], v[16:17], v[8:9]
	;;#ASMEND
	v_pk_add_f32 v[8:9], v[18:19], 1.0 op_sel_hi:[1,0]
	v_cvt_f32_f16_sdwa v13, v3 dst_sel:DWORD dst_unused:UNUSED_PAD src0_sel:WORD_1
	v_cvt_f32_f16_e32 v12, v3
	;;#ASMSTART
	v_pk_mul_f32 v[30:31], v[30:31], v[8:9]
	;;#ASMEND
	v_cvt_f32_f16_sdwa v9, v4 dst_sel:DWORD dst_unused:UNUSED_PAD src0_sel:WORD_1
	v_cvt_f32_f16_e32 v8, v4
	v_pk_add_f32 v[2:3], v[10:11], 1.0 op_sel_hi:[1,0]
	v_cvt_f32_f16_sdwa v11, v5 dst_sel:DWORD dst_unused:UNUSED_PAD src0_sel:WORD_1
	v_cvt_f32_f16_e32 v10, v5
	;;#ASMSTART
	v_pk_mul_f32 v[22:23], v[22:23], v[2:3]
	;;#ASMEND
	v_pk_add_f32 v[2:3], v[12:13], 1.0 op_sel_hi:[1,0]
	;;#ASMSTART
	v_pk_mul_f32 v[24:25], v[24:25], v[2:3]
	;;#ASMEND
	v_pk_add_f32 v[2:3], v[8:9], 1.0 op_sel_hi:[1,0]
	;; [unrolled: 4-line block ×3, first 2 shown]
	;;#ASMSTART
	v_pk_mul_f32 v[18:19], v[6:7], v[2:3]
	;;#ASMEND
	s_or_b64 exec, exec, s[34:35]
	s_mov_b64 s[8:9], -1
	s_and_b64 vcc, exec, s[30:31]
	s_cbranch_vccz .LBB667_15
.LBB667_19:
	s_and_saveexec_b64 s[8:9], s[0:1]
	s_cbranch_execz .LBB667_21
; %bb.20:
	s_mul_hi_i32 s31, s16, s6
	s_mul_i32 s30, s16, s6
	s_waitcnt vmcnt(0)
	v_cvt_f16_f32_e32 v2, v28
	v_cvt_f16_f32_e32 v3, v32
	;; [unrolled: 1-line block ×8, first 2 shown]
	s_lshl_b64 s[30:31], s[30:31], 1
	s_add_u32 s36, s18, s30
	s_addc_u32 s7, s19, s31
	s_and_b32 s37, s7, 0xffff
	s_mov_b32 s39, 0x20000
	v_pack_b32_f16 v5, v5, v6
	v_pack_b32_f16 v4, v4, v7
	;; [unrolled: 1-line block ×4, first 2 shown]
	v_lshlrev_b32_e32 v6, 5, v0
	buffer_store_dwordx4 v[2:5], v6, s[36:39], 0 offen
	v_cvt_f16_f32_e32 v7, v19
	v_cvt_f16_f32_e32 v2, v22
	;; [unrolled: 1-line block ×8, first 2 shown]
	v_pack_b32_f16 v5, v5, v7
	v_pack_b32_f16 v4, v4, v8
	;; [unrolled: 1-line block ×4, first 2 shown]
	;;#ASMSTART
	s_nop 0
	;;#ASMEND
	buffer_store_dwordx4 v[2:5], v6, s[36:39], 16 offen
	;;#ASMSTART
	s_nop 0
	;;#ASMEND
.LBB667_21:
	s_or_b64 exec, exec, s[8:9]
	s_cbranch_execnz .LBB667_16
.LBB667_22:
	s_waitcnt vmcnt(0)
	v_mov_b32_e32 v2, 0
	s_and_saveexec_b64 s[8:9], s[0:1]
	s_cbranch_execz .LBB667_24
; %bb.23:
	s_load_dwordx2 s[30:31], s[4:5], 0x10
	s_mul_hi_i32 s35, s15, s6
	s_mul_i32 s34, s15, s6
	v_cvt_f16_f32_e32 v2, v28
	v_cvt_f16_f32_e32 v3, v32
	;; [unrolled: 1-line block ×8, first 2 shown]
	s_lshl_b64 s[34:35], s[34:35], 1
	s_waitcnt lgkmcnt(0)
	s_add_u32 s36, s30, s34
	s_addc_u32 s7, s31, s35
	s_mov_b32 s39, 0x20000
	s_and_b32 s37, s7, 0xffff
	v_pack_b32_f16 v5, v5, v6
	v_pack_b32_f16 v4, v4, v7
	;; [unrolled: 1-line block ×4, first 2 shown]
	v_lshlrev_b32_e32 v6, 5, v0
	buffer_store_dwordx4 v[2:5], v6, s[36:39], 0 offen
	v_cvt_f16_f32_e32 v7, v19
	v_cvt_f16_f32_e32 v2, v22
	;; [unrolled: 1-line block ×8, first 2 shown]
	v_pack_b32_f16 v5, v5, v7
	v_pack_b32_f16 v4, v4, v8
	;; [unrolled: 1-line block ×4, first 2 shown]
	;;#ASMSTART
	s_nop 0
	;;#ASMEND
	buffer_store_dwordx4 v[2:5], v6, s[36:39], 16 offen
	;;#ASMSTART
	s_nop 0
	;;#ASMEND
	s_nop 0
	v_mov_b32_e32 v2, 0x2edbe6ff
.LBB667_24:
	s_or_b64 exec, exec, s[8:9]
	s_and_saveexec_b64 s[8:9], s[0:1]
	s_cbranch_execz .LBB667_26
; %bb.25:
	v_and_b32_e32 v3, 0x7fffffff, v28
	v_and_b32_e32 v4, 0x7fffffff, v29
	;;#ASMSTART
	v_max3_f32 v2, v2, v3, v4

	;;#ASMEND
	v_and_b32_e32 v3, 0x7fffffff, v32
	v_and_b32_e32 v4, 0x7fffffff, v33
	;;#ASMSTART
	v_max3_f32 v2, v2, v3, v4

	;;#ASMEND
	v_and_b32_e32 v3, 0x7fffffff, v26
	v_and_b32_e32 v4, 0x7fffffff, v27
	;;#ASMSTART
	v_max3_f32 v2, v2, v3, v4

	;;#ASMEND
	v_and_b32_e32 v3, 0x7fffffff, v30
	v_and_b32_e32 v4, 0x7fffffff, v31
	;;#ASMSTART
	v_max3_f32 v2, v2, v3, v4

	;;#ASMEND
	v_and_b32_e32 v3, 0x7fffffff, v22
	v_and_b32_e32 v4, 0x7fffffff, v23
	;;#ASMSTART
	v_max3_f32 v2, v2, v3, v4

	;;#ASMEND
	v_and_b32_e32 v3, 0x7fffffff, v24
	v_and_b32_e32 v4, 0x7fffffff, v25
	;;#ASMSTART
	v_max3_f32 v2, v2, v3, v4

	;;#ASMEND
	v_and_b32_e32 v3, 0x7fffffff, v20
	v_and_b32_e32 v4, 0x7fffffff, v21
	;;#ASMSTART
	v_max3_f32 v2, v2, v3, v4

	;;#ASMEND
	v_and_b32_e32 v3, 0x7fffffff, v18
	v_and_b32_e32 v4, 0x7fffffff, v19
	;;#ASMSTART
	v_max3_f32 v2, v2, v3, v4

	;;#ASMEND
.LBB667_26:
	s_or_b64 exec, exec, s[8:9]
	;;#ASMSTART
	v_max_f32 v3, v2, v2 quad_perm:[1,0,3,2] row_mask:0xf bank_mask:0xf bound_ctrl:1
	;;#ASMEND
	;;#ASMSTART
	v_max_f32 v2, v3, v3 quad_perm:[2,3,0,1] row_mask:0xf bank_mask:0xf bound_ctrl:1
	;;#ASMEND
	v_and_b32_e32 v3, 3, v0
	v_cmp_eq_u32_e32 vcc, 0, v3
	v_cmp_gt_i32_e64 s[8:9], s23, v1
	s_and_b64 s[30:31], vcc, s[8:9]
	s_and_saveexec_b64 s[8:9], s[30:31]
	s_cbranch_execz .LBB667_28
; %bb.27:
	s_load_dwordx2 s[30:31], s[4:5], 0x8
	v_mul_f32_e32 v2, 0x3e2aaaab, v2
	v_lshrrev_b32_e32 v3, 23, v2
	v_and_b32_e32 v4, 0x7f800000, v2
	v_and_b32_e32 v2, 0x7fffff, v2
	v_cmp_ne_u32_e32 vcc, 0, v2
	s_mul_hi_i32 s15, s13, s6
	s_mul_i32 s13, s13, s6
	s_mov_b32 s7, 0x7f800000
	v_addc_co_u32_e32 v2, vcc, 0, v3, vcc
	s_waitcnt lgkmcnt(0)
	s_add_u32 s30, s30, s13
	v_cmp_ne_u32_e32 vcc, s7, v4
	s_addc_u32 s31, s31, s15
	v_lshrrev_b32_e32 v5, 2, v0
	v_cndmask_b32_e32 v4, -1, v2, vcc
	v_pk_mov_b32 v[2:3], s[30:31], s[30:31] op_sel:[0,1]
	v_mad_i64_i32 v[2:3], s[14:15], s14, v5, v[2:3]
	global_store_byte v[2:3], v4, off
.LBB667_28:
	s_or_b64 exec, exec, s[8:9]
	s_and_saveexec_b64 s[8:9], s[0:1]
	s_cbranch_execz .LBB667_30
; %bb.29:
	s_load_dwordx2 s[0:1], s[4:5], 0x0
	s_mul_hi_i32 s7, s12, s6
	s_mul_i32 s12, s12, s6
	v_mov_b32_e32 v2, 0
	v_lshlrev_b32_e32 v4, 3, v0
	s_waitcnt lgkmcnt(0)
	s_add_u32 s12, s0, s12
	s_addc_u32 s0, s1, s7
	s_lshr_b32 s1, s23, 31
	s_add_i32 s1, s23, s1
	s_ashr_i32 s1, s1, 1
	s_add_i32 s1, s1, 3
	s_ashr_i32 s7, s1, 31
	s_lshr_b32 s7, s7, 30
	s_add_i32 s1, s1, s7
	s_and_b32 s14, s1, -4
	s_and_b32 s13, s0, 0xffff
	s_mov_b32 s15, 0x20000
	v_mov_b32_e32 v3, v2
	buffer_store_dwordx2 v[2:3], v4, s[12:15], 0 offen
	;;#ASMSTART
	s_nop 0
	;;#ASMEND
.LBB667_30:
	s_or_b64 exec, exec, s[8:9]
	s_cmp_lt_i32 s24, 1
	s_cbranch_scc1 .LBB667_17
.LBB667_31:
	s_load_dword s0, s[4:5], 0x94
	s_waitcnt lgkmcnt(0)
	s_cmp_lg_u32 s0, 1
	s_cbranch_scc1 .LBB667_17
; %bb.32:
	s_lshl_b32 s0, s24, 1
	s_add_i32 s0, s0, 2
	v_cmp_gt_u32_e32 vcc, s24, v1
	s_and_b32 s30, s0, -4
	v_mov_b32_e32 v18, 0
	v_lshlrev_b32_e32 v1, 5, v0
	s_waitcnt vmcnt(2)
	v_mov_b32_e32 v14, 0
	v_mov_b32_e32 v15, 0
	;; [unrolled: 1-line block ×8, first 2 shown]
	s_waitcnt vmcnt(1)
	v_mov_b32_e32 v6, 0
	v_mov_b32_e32 v7, 0
	;; [unrolled: 1-line block ×4, first 2 shown]
	s_waitcnt vmcnt(0)
	v_mov_b32_e32 v2, 0
	v_mov_b32_e32 v3, 0
	;; [unrolled: 1-line block ×4, first 2 shown]
	s_barrier
	s_and_saveexec_b64 s[0:1], vcc
	s_cbranch_execz .LBB667_34
; %bb.33:
	s_mul_hi_i32 s5, s26, s6
	s_mul_i32 s4, s26, s6
	s_and_b32 s29, s29, 0xffff
	s_lshl_b64 s[4:5], s[4:5], 1
	s_add_u32 s8, s10, s4
	s_mov_b32 s31, 0x20000
	s_addc_u32 s4, s11, s5
	s_and_b32 s9, s4, 0xffff
	s_mov_b32 s10, s30
	s_mov_b32 s11, s31
	buffer_load_dwordx4 v[14:17], v1, s[8:11], 0 offen
	buffer_load_dwordx4 v[10:13], v1, s[8:11], 16 offen
	;; [unrolled: 1-line block ×4, first 2 shown]
.LBB667_34:
	s_or_b64 exec, exec, s[0:1]
	v_mov_b32_e32 v19, 0
	v_mov_b32_e32 v32, 0
	;; [unrolled: 1-line block ×15, first 2 shown]
	s_and_saveexec_b64 s[0:1], vcc
	s_cbranch_execz .LBB667_36
; %bb.35:
	s_waitcnt vmcnt(3)
	v_cvt_f32_f16_sdwa v19, v14 dst_sel:DWORD dst_unused:UNUSED_PAD src0_sel:WORD_1
	v_cvt_f32_f16_e32 v18, v14
	v_cvt_f32_f16_sdwa v33, v15 dst_sel:DWORD dst_unused:UNUSED_PAD src0_sel:WORD_1
	v_cvt_f32_f16_e32 v32, v15
	;; [unrolled: 2-line block ×4, first 2 shown]
	s_waitcnt vmcnt(2)
	v_cvt_f32_f16_sdwa v27, v10 dst_sel:DWORD dst_unused:UNUSED_PAD src0_sel:WORD_1
	v_cvt_f32_f16_e32 v26, v10
	v_cvt_f32_f16_sdwa v25, v11 dst_sel:DWORD dst_unused:UNUSED_PAD src0_sel:WORD_1
	v_cvt_f32_f16_e32 v24, v11
	;; [unrolled: 2-line block ×4, first 2 shown]
.LBB667_36:
	s_or_b64 exec, exec, s[0:1]
	s_waitcnt vmcnt(2)
	v_mul_f32_e32 v10, v19, v19
	v_fmac_f32_e32 v10, v18, v18
	v_fmac_f32_e32 v10, v32, v32
	;; [unrolled: 1-line block ×15, first 2 shown]
	s_nop 1
	v_mov_b32_dpp v11, v10 quad_perm:[1,0,3,2] row_mask:0xf bank_mask:0xf
	v_add_f32_e32 v10, v10, v11
	s_nop 1
	v_mov_b32_dpp v11, v10 quad_perm:[2,3,0,1] row_mask:0xf bank_mask:0xf
	v_add_f32_e32 v10, v10, v11
	s_nop 1
	v_mov_b32_dpp v11, v10 row_half_mirror row_mask:0xf bank_mask:0xf
	v_add_f32_e32 v10, v10, v11
	s_nop 1
	v_mov_b32_dpp v11, v10 row_mirror row_mask:0xf bank_mask:0xf
	v_add_f32_e32 v10, v10, v11
	s_nop 1
	v_mov_b32_dpp v11, v10 row_bcast:15 row_mask:0xf bank_mask:0xf
	v_add_f32_e32 v10, v10, v11
	s_nop 1
	v_mov_b32_dpp v11, v10 row_bcast:31 row_mask:0xf bank_mask:0xf
	s_and_saveexec_b64 s[0:1], s[2:3]
	s_cbranch_execz .LBB667_38
; %bb.37:
	v_lshrrev_b32_e32 v0, 4, v0
	v_add_f32_e32 v10, v10, v11
	v_and_b32_e32 v0, 60, v0
	ds_write_b32 v0, v10
.LBB667_38:
	s_or_b64 exec, exec, s[0:1]
	s_waitcnt lgkmcnt(0)
	s_barrier
	ds_read_b32 v0, v34
	s_waitcnt lgkmcnt(0)
	s_nop 0
	v_mov_b32_dpp v10, v0 quad_perm:[1,0,3,2] row_mask:0xf bank_mask:0xf
	s_and_saveexec_b64 s[0:1], vcc
	s_cbranch_execz .LBB667_17
; %bb.39:
	v_cvt_f32_u32_e32 v11, s24
	v_add_f32_e32 v0, v0, v10
	s_mov_b32 s31, 0x20000
	v_div_scale_f32 v10, s[0:1], v11, v11, v0
	v_rcp_f32_e32 v12, v10
	v_div_scale_f32 v13, vcc, v0, v11, v0
	s_mov_b32 s0, 0x800000
	v_fma_f32 v14, -v10, v12, 1.0
	v_fmac_f32_e32 v12, v14, v12
	v_mul_f32_e32 v14, v13, v12
	v_fma_f32 v15, -v10, v14, v13
	v_fmac_f32_e32 v14, v15, v12
	v_fma_f32 v10, -v10, v14, v13
	v_div_fmas_f32 v10, v10, v12, v14
	v_div_fixup_f32 v0, v10, v11, v0
	v_add_f32_e32 v0, s21, v0
	v_mul_f32_e32 v10, 0x4b800000, v0
	v_cmp_gt_f32_e32 vcc, s0, v0
	v_cndmask_b32_e32 v0, v0, v10, vcc
	v_rsq_f32_e32 v0, v0
	s_mul_hi_i32 s1, s16, s6
	s_mul_i32 s0, s16, s6
	s_lshl_b64 s[0:1], s[0:1], 1
	v_mul_f32_e32 v10, 0x45800000, v0
	v_cndmask_b32_e32 v10, v0, v10, vcc
	v_mov_b32_e32 v11, v10
	;;#ASMSTART
	v_pk_mul_f32 v[12:13], v[18:19], v[10:11]
	;;#ASMEND
	;;#ASMSTART
	v_pk_mul_f32 v[14:15], v[32:33], v[10:11]
	;;#ASMEND
	;; [unrolled: 3-line block ×4, first 2 shown]
	s_waitcnt vmcnt(1)
	v_cvt_f32_f16_sdwa v29, v6 dst_sel:DWORD dst_unused:UNUSED_PAD src0_sel:WORD_1
	v_cvt_f32_f16_e32 v28, v6
	v_cvt_f32_f16_sdwa v31, v7 dst_sel:DWORD dst_unused:UNUSED_PAD src0_sel:WORD_1
	v_cvt_f32_f16_e32 v30, v7
	;;#ASMSTART
	v_pk_mul_f32 v[26:27], v[26:27], v[10:11]
	;;#ASMEND
	;;#ASMSTART
	v_pk_mul_f32 v[24:25], v[24:25], v[10:11]
	;;#ASMEND
	;; [unrolled: 3-line block ×4, first 2 shown]
	v_cvt_f32_f16_sdwa v21, v8 dst_sel:DWORD dst_unused:UNUSED_PAD src0_sel:WORD_1
	v_cvt_f32_f16_e32 v20, v8
	v_pk_add_f32 v[10:11], v[28:29], 1.0 op_sel_hi:[1,0]
	;;#ASMSTART
	v_pk_mul_f32 v[10:11], v[12:13], v[10:11]
	;;#ASMEND
	v_pk_add_f32 v[12:13], v[30:31], 1.0 op_sel_hi:[1,0]
	v_cvt_f32_f16_sdwa v29, v9 dst_sel:DWORD dst_unused:UNUSED_PAD src0_sel:WORD_1
	v_cvt_f32_f16_e32 v28, v9
	;;#ASMSTART
	v_pk_mul_f32 v[8:9], v[14:15], v[12:13]
	;;#ASMEND
	v_pk_add_f32 v[12:13], v[20:21], 1.0 op_sel_hi:[1,0]
	;;#ASMSTART
	v_pk_mul_f32 v[12:13], v[16:17], v[12:13]
	;;#ASMEND
	s_waitcnt vmcnt(0)
	v_cvt_f32_f16_sdwa v17, v2 dst_sel:DWORD dst_unused:UNUSED_PAD src0_sel:WORD_1
	v_cvt_f32_f16_e32 v16, v2
	v_cvt_f32_f16_sdwa v21, v3 dst_sel:DWORD dst_unused:UNUSED_PAD src0_sel:WORD_1
	v_cvt_f32_f16_e32 v20, v3
	v_pk_add_f32 v[14:15], v[28:29], 1.0 op_sel_hi:[1,0]
	;;#ASMSTART
	v_pk_mul_f32 v[2:3], v[18:19], v[14:15]
	;;#ASMEND
	v_cvt_f32_f16_sdwa v19, v4 dst_sel:DWORD dst_unused:UNUSED_PAD src0_sel:WORD_1
	v_cvt_f32_f16_e32 v18, v4
	v_pk_add_f32 v[14:15], v[16:17], 1.0 op_sel_hi:[1,0]
	v_pk_add_f32 v[16:17], v[20:21], 1.0 op_sel_hi:[1,0]
	v_cvt_f32_f16_sdwa v21, v5 dst_sel:DWORD dst_unused:UNUSED_PAD src0_sel:WORD_1
	v_cvt_f32_f16_e32 v20, v5
	v_pk_add_f32 v[4:5], v[18:19], 1.0 op_sel_hi:[1,0]
	;;#ASMSTART
	v_pk_mul_f32 v[14:15], v[26:27], v[14:15]
	;;#ASMEND
	;;#ASMSTART
	v_pk_mul_f32 v[16:17], v[24:25], v[16:17]
	;;#ASMEND
	;; [unrolled: 3-line block ×3, first 2 shown]
	v_pk_add_f32 v[4:5], v[20:21], 1.0 op_sel_hi:[1,0]
	;;#ASMSTART
	v_pk_mul_f32 v[6:7], v[6:7], v[4:5]
	;;#ASMEND
	v_cvt_f16_f32_e32 v0, v10
	v_cvt_f16_f32_e32 v4, v11
	;; [unrolled: 1-line block ×8, first 2 shown]
	s_add_u32 s28, s18, s0
	s_addc_u32 s0, s19, s1
	s_and_b32 s29, s0, 0xffff
	v_pack_b32_f16 v2, v0, v4
	v_pack_b32_f16 v3, v5, v8
	v_pack_b32_f16 v4, v9, v10
	v_pack_b32_f16 v5, v11, v12
	buffer_store_dwordx4 v[2:5], v1, s[28:31], 0 offen
	v_cvt_f16_f32_e32 v0, v14
	v_cvt_f16_f32_e32 v2, v15
	v_cvt_f16_f32_e32 v3, v16
	v_cvt_f16_f32_e32 v4, v17
	v_cvt_f16_f32_e32 v5, v18
	v_cvt_f16_f32_e32 v8, v19
	v_cvt_f16_f32_e32 v6, v6
	v_cvt_f16_f32_e32 v7, v7
	v_pack_b32_f16 v2, v0, v2
	v_pack_b32_f16 v3, v3, v4
	;; [unrolled: 1-line block ×4, first 2 shown]
	;;#ASMSTART
	s_nop 0
	;;#ASMEND
	buffer_store_dwordx4 v[2:5], v1, s[28:31], 16 offen
	;;#ASMSTART
	s_nop 0
	;;#ASMEND
	s_endpgm
	.section	.rodata,"a",@progbits
	.p2align	6, 0x0
	.amdhsa_kernel _ZN5aiter35fused_qk_rmsnorm_group_quant_kernelIDF16_N4opus5fp4_tELi128ELi16ELi4ELb1ELb1ELb1ELb0ELb0ELb0EEEvPT0_PvPT_S7_S7_PKS6_S9_S9_S9_S9_ffiiiiiiiiiiiii
		.amdhsa_group_segment_fixed_size 16
		.amdhsa_private_segment_fixed_size 0
		.amdhsa_kernarg_size 400
		.amdhsa_user_sgpr_count 6
		.amdhsa_user_sgpr_private_segment_buffer 1
		.amdhsa_user_sgpr_dispatch_ptr 0
		.amdhsa_user_sgpr_queue_ptr 0
		.amdhsa_user_sgpr_kernarg_segment_ptr 1
		.amdhsa_user_sgpr_dispatch_id 0
		.amdhsa_user_sgpr_flat_scratch_init 0
		.amdhsa_user_sgpr_kernarg_preload_length 0
		.amdhsa_user_sgpr_kernarg_preload_offset 0
		.amdhsa_user_sgpr_private_segment_size 0
		.amdhsa_uses_dynamic_stack 0
		.amdhsa_system_sgpr_private_segment_wavefront_offset 0
		.amdhsa_system_sgpr_workgroup_id_x 1
		.amdhsa_system_sgpr_workgroup_id_y 1
		.amdhsa_system_sgpr_workgroup_id_z 0
		.amdhsa_system_sgpr_workgroup_info 0
		.amdhsa_system_vgpr_workitem_id 0
		.amdhsa_next_free_vgpr 49
		.amdhsa_next_free_sgpr 44
		.amdhsa_accum_offset 52
		.amdhsa_reserve_vcc 1
		.amdhsa_reserve_flat_scratch 0
		.amdhsa_float_round_mode_32 0
		.amdhsa_float_round_mode_16_64 0
		.amdhsa_float_denorm_mode_32 3
		.amdhsa_float_denorm_mode_16_64 3
		.amdhsa_dx10_clamp 1
		.amdhsa_ieee_mode 1
		.amdhsa_fp16_overflow 0
		.amdhsa_tg_split 0
		.amdhsa_exception_fp_ieee_invalid_op 0
		.amdhsa_exception_fp_denorm_src 0
		.amdhsa_exception_fp_ieee_div_zero 0
		.amdhsa_exception_fp_ieee_overflow 0
		.amdhsa_exception_fp_ieee_underflow 0
		.amdhsa_exception_fp_ieee_inexact 0
		.amdhsa_exception_int_div_zero 0
	.end_amdhsa_kernel
	.section	.text._ZN5aiter35fused_qk_rmsnorm_group_quant_kernelIDF16_N4opus5fp4_tELi128ELi16ELi4ELb1ELb1ELb1ELb0ELb0ELb0EEEvPT0_PvPT_S7_S7_PKS6_S9_S9_S9_S9_ffiiiiiiiiiiiii,"axG",@progbits,_ZN5aiter35fused_qk_rmsnorm_group_quant_kernelIDF16_N4opus5fp4_tELi128ELi16ELi4ELb1ELb1ELb1ELb0ELb0ELb0EEEvPT0_PvPT_S7_S7_PKS6_S9_S9_S9_S9_ffiiiiiiiiiiiii,comdat
.Lfunc_end667:
	.size	_ZN5aiter35fused_qk_rmsnorm_group_quant_kernelIDF16_N4opus5fp4_tELi128ELi16ELi4ELb1ELb1ELb1ELb0ELb0ELb0EEEvPT0_PvPT_S7_S7_PKS6_S9_S9_S9_S9_ffiiiiiiiiiiiii, .Lfunc_end667-_ZN5aiter35fused_qk_rmsnorm_group_quant_kernelIDF16_N4opus5fp4_tELi128ELi16ELi4ELb1ELb1ELb1ELb0ELb0ELb0EEEvPT0_PvPT_S7_S7_PKS6_S9_S9_S9_S9_ffiiiiiiiiiiiii
                                        ; -- End function
	.section	.AMDGPU.csdata,"",@progbits
; Kernel info:
; codeLenInByte = 4080
; NumSgprs: 48
; NumVgprs: 49
; NumAgprs: 0
; TotalNumVgprs: 49
; ScratchSize: 0
; MemoryBound: 0
; FloatMode: 240
; IeeeMode: 1
; LDSByteSize: 16 bytes/workgroup (compile time only)
; SGPRBlocks: 5
; VGPRBlocks: 6
; NumSGPRsForWavesPerEU: 48
; NumVGPRsForWavesPerEU: 49
; AccumOffset: 52
; Occupancy: 8
; WaveLimiterHint : 0
; COMPUTE_PGM_RSRC2:SCRATCH_EN: 0
; COMPUTE_PGM_RSRC2:USER_SGPR: 6
; COMPUTE_PGM_RSRC2:TRAP_HANDLER: 0
; COMPUTE_PGM_RSRC2:TGID_X_EN: 1
; COMPUTE_PGM_RSRC2:TGID_Y_EN: 1
; COMPUTE_PGM_RSRC2:TGID_Z_EN: 0
; COMPUTE_PGM_RSRC2:TIDIG_COMP_CNT: 0
; COMPUTE_PGM_RSRC3_GFX90A:ACCUM_OFFSET: 12
; COMPUTE_PGM_RSRC3_GFX90A:TG_SPLIT: 0
	.section	.text._ZN5aiter35fused_qk_rmsnorm_group_quant_kernelItN4opus5fp4_tELi128ELi16ELi4ELb1ELb1ELb1ELb0ELb0ELb0EEEvPT0_PvPT_S7_S7_PKS6_S9_S9_S9_S9_ffiiiiiiiiiiiii,"axG",@progbits,_ZN5aiter35fused_qk_rmsnorm_group_quant_kernelItN4opus5fp4_tELi128ELi16ELi4ELb1ELb1ELb1ELb0ELb0ELb0EEEvPT0_PvPT_S7_S7_PKS6_S9_S9_S9_S9_ffiiiiiiiiiiiii,comdat
	.protected	_ZN5aiter35fused_qk_rmsnorm_group_quant_kernelItN4opus5fp4_tELi128ELi16ELi4ELb1ELb1ELb1ELb0ELb0ELb0EEEvPT0_PvPT_S7_S7_PKS6_S9_S9_S9_S9_ffiiiiiiiiiiiii ; -- Begin function _ZN5aiter35fused_qk_rmsnorm_group_quant_kernelItN4opus5fp4_tELi128ELi16ELi4ELb1ELb1ELb1ELb0ELb0ELb0EEEvPT0_PvPT_S7_S7_PKS6_S9_S9_S9_S9_ffiiiiiiiiiiiii
	.globl	_ZN5aiter35fused_qk_rmsnorm_group_quant_kernelItN4opus5fp4_tELi128ELi16ELi4ELb1ELb1ELb1ELb0ELb0ELb0EEEvPT0_PvPT_S7_S7_PKS6_S9_S9_S9_S9_ffiiiiiiiiiiiii
	.p2align	8
	.type	_ZN5aiter35fused_qk_rmsnorm_group_quant_kernelItN4opus5fp4_tELi128ELi16ELi4ELb1ELb1ELb1ELb0ELb0ELb0EEEvPT0_PvPT_S7_S7_PKS6_S9_S9_S9_S9_ffiiiiiiiiiiiii,@function
_ZN5aiter35fused_qk_rmsnorm_group_quant_kernelItN4opus5fp4_tELi128ELi16ELi4ELb1ELb1ELb1ELb0ELb0ELb0EEEvPT0_PvPT_S7_S7_PKS6_S9_S9_S9_S9_ffiiiiiiiiiiiii: ; @_ZN5aiter35fused_qk_rmsnorm_group_quant_kernelItN4opus5fp4_tELi128ELi16ELi4ELb1ELb1ELb1ELb0ELb0ELb0EEEvPT0_PvPT_S7_S7_PKS6_S9_S9_S9_S9_ffiiiiiiiiiiiii
; %bb.0:
	s_load_dwordx8 s[20:27], s[4:5], 0x50
	s_waitcnt lgkmcnt(0)
	s_cmp_ge_i32 s6, s22
	s_cbranch_scc1 .LBB668_17
; %bb.1:
	s_load_dwordx2 s[28:29], s[4:5], 0x48
	s_load_dwordx2 s[10:11], s[4:5], 0x30
	s_load_dwordx8 s[12:19], s[4:5], 0x70
	s_cmp_lg_u32 s7, 0
	s_waitcnt lgkmcnt(0)
	s_cselect_b64 s[18:19], -1, 0
	s_cmp_eq_u32 s7, 0
	s_cselect_b64 s[8:9], -1, 0
	s_and_b64 s[0:1], s[8:9], exec
	s_cselect_b32 s7, s23, s24
	s_add_i32 s0, s7, 1
	s_lshr_b32 s1, s0, 31
	s_add_i32 s0, s0, s1
	s_lshl_b32 s0, s0, 1
	v_lshlrev_b32_e32 v1, 4, v0
	s_and_b32 s38, s0, -4
	v_cmp_gt_i32_e64 s[0:1], s7, v1
	v_mov_b32_e32 v62, 0
	v_mov_b32_e32 v63, 0
	;; [unrolled: 1-line block ×16, first 2 shown]
	s_and_saveexec_b64 s[2:3], s[0:1]
	s_cbranch_execz .LBB668_3
; %bb.2:
	s_load_dwordx2 s[30:31], s[4:5], 0x28
	s_load_dwordx2 s[34:35], s[4:5], 0x40
	s_and_b64 s[36:37], s[8:9], exec
	s_cselect_b32 s22, s25, s26
	s_mov_b32 s39, 0x20000
	s_waitcnt lgkmcnt(0)
	s_cselect_b32 s25, s31, s11
	s_cselect_b32 s33, s30, s10
	s_mul_hi_i32 s31, s22, s6
	s_mul_i32 s30, s22, s6
	s_lshl_b64 s[30:31], s[30:31], 1
	s_add_u32 s40, s33, s30
	s_addc_u32 s22, s25, s31
	s_and_b64 s[30:31], s[8:9], exec
	s_cselect_b32 s36, s34, s28
	s_cselect_b32 s25, s35, s29
	s_and_b32 s41, s22, 0xffff
	s_mov_b32 s42, s38
	s_mov_b32 s43, s39
	v_lshlrev_b32_e32 v2, 5, v0
	s_and_b32 s37, s25, 0xffff
	buffer_load_dwordx4 v[66:69], v2, s[40:43], 0 offen
	buffer_load_dwordx4 v[70:73], v2, s[40:43], 16 offen
	;; [unrolled: 1-line block ×4, first 2 shown]
.LBB668_3:
	s_or_b64 exec, exec, s[2:3]
	s_and_b64 vcc, exec, s[18:19]
	s_cbranch_vccz .LBB668_7
; %bb.4:
	v_mov_b32_e32 v75, 0
	v_mov_b32_e32 v74, 0
	v_mov_b32_e32 v21, 0
	v_mov_b32_e32 v20, 0
	v_mov_b32_e32 v25, 0
	v_mov_b32_e32 v24, 0
	v_mov_b32_e32 v51, 0
	v_mov_b32_e32 v50, 0
	v_mov_b32_e32 v31, 0
	v_mov_b32_e32 v30, 0
	v_mov_b32_e32 v41, 0
	v_mov_b32_e32 v40, 0
	v_mov_b32_e32 v7, 0
	v_mov_b32_e32 v6, 0
	v_mov_b32_e32 v3, 0
	v_mov_b32_e32 v2, 0
	s_and_saveexec_b64 s[2:3], s[0:1]
	s_cbranch_execz .LBB668_6
; %bb.5:
	s_waitcnt vmcnt(3)
	v_cvt_f32_u32_sdwa v2, v66 dst_sel:DWORD dst_unused:UNUSED_PAD src0_sel:WORD_0
	v_cvt_f32_u32_sdwa v3, v66 dst_sel:DWORD dst_unused:UNUSED_PAD src0_sel:WORD_1
	v_cvt_f32_u32_sdwa v6, v67 dst_sel:DWORD dst_unused:UNUSED_PAD src0_sel:WORD_0
	v_cvt_f32_u32_sdwa v7, v67 dst_sel:DWORD dst_unused:UNUSED_PAD src0_sel:WORD_1
	;; [unrolled: 2-line block ×4, first 2 shown]
	s_waitcnt vmcnt(2)
	v_cvt_f32_u32_sdwa v50, v70 dst_sel:DWORD dst_unused:UNUSED_PAD src0_sel:WORD_0
	v_cvt_f32_u32_sdwa v51, v70 dst_sel:DWORD dst_unused:UNUSED_PAD src0_sel:WORD_1
	v_cvt_f32_u32_sdwa v24, v71 dst_sel:DWORD dst_unused:UNUSED_PAD src0_sel:WORD_0
	v_cvt_f32_u32_sdwa v25, v71 dst_sel:DWORD dst_unused:UNUSED_PAD src0_sel:WORD_1
	;; [unrolled: 2-line block ×4, first 2 shown]
.LBB668_6:
	s_or_b64 exec, exec, s[2:3]
	s_cbranch_execz .LBB668_8
	s_branch .LBB668_11
.LBB668_7:
                                        ; implicit-def: $vgpr2_vgpr3_vgpr4_vgpr5_vgpr6_vgpr7_vgpr8_vgpr9_vgpr10_vgpr11_vgpr12_vgpr13_vgpr14_vgpr15_vgpr16_vgpr17
                                        ; implicit-def: $vgpr36_vgpr37_vgpr38_vgpr39_vgpr40_vgpr41_vgpr42_vgpr43_vgpr44_vgpr45_vgpr46_vgpr47_vgpr48_vgpr49_vgpr50_vgpr51
                                        ; implicit-def: $vgpr4_vgpr5_vgpr6_vgpr7_vgpr8_vgpr9_vgpr10_vgpr11_vgpr12_vgpr13_vgpr14_vgpr15_vgpr16_vgpr17_vgpr18_vgpr19
                                        ; implicit-def: $vgpr24_vgpr25_vgpr26_vgpr27_vgpr28_vgpr29_vgpr30_vgpr31_vgpr32_vgpr33_vgpr34_vgpr35_vgpr36_vgpr37_vgpr38_vgpr39
                                        ; implicit-def: $vgpr75
                                        ; implicit-def: $vgpr42_vgpr43_vgpr44_vgpr45_vgpr46_vgpr47_vgpr48_vgpr49_vgpr50_vgpr51_vgpr52_vgpr53_vgpr54_vgpr55_vgpr56_vgpr57
                                        ; implicit-def: $vgpr14_vgpr15_vgpr16_vgpr17_vgpr18_vgpr19_vgpr20_vgpr21_vgpr22_vgpr23_vgpr24_vgpr25_vgpr26_vgpr27_vgpr28_vgpr29
                                        ; implicit-def: $vgpr8_vgpr9_vgpr10_vgpr11_vgpr12_vgpr13_vgpr14_vgpr15_vgpr16_vgpr17_vgpr18_vgpr19_vgpr20_vgpr21_vgpr22_vgpr23
.LBB668_8:
	v_mov_b32_e32 v75, 0
	v_mov_b32_e32 v74, 0
	;; [unrolled: 1-line block ×16, first 2 shown]
	s_and_saveexec_b64 s[2:3], s[0:1]
	s_cbranch_execz .LBB668_10
; %bb.9:
	s_load_dwordx2 s[30:31], s[4:5], 0x38
	s_mul_hi_i32 s35, s27, s6
	s_mul_i32 s34, s27, s6
	s_lshl_b64 s[34:35], s[34:35], 1
	s_mov_b32 s39, 0x20000
	s_waitcnt lgkmcnt(0)
	s_add_u32 s36, s30, s34
	s_addc_u32 s22, s31, s35
	s_and_b32 s37, s22, 0xffff
	v_lshlrev_b32_e32 v38, 5, v0
	buffer_load_dwordx4 v[6:9], v38, s[36:39], 16 offen
	buffer_load_dwordx4 v[10:13], v38, s[36:39], 0 offen
	s_load_dwordx2 s[30:31], s[4:5], 0x20
	s_waitcnt vmcnt(5)
	v_cvt_f32_u32_sdwa v3, v66 dst_sel:DWORD dst_unused:UNUSED_PAD src0_sel:WORD_1
	v_cvt_f32_u32_sdwa v2, v66 dst_sel:DWORD dst_unused:UNUSED_PAD src0_sel:WORD_0
	v_cvt_f32_u32_sdwa v21, v67 dst_sel:DWORD dst_unused:UNUSED_PAD src0_sel:WORD_1
	v_cvt_f32_u32_sdwa v20, v67 dst_sel:DWORD dst_unused:UNUSED_PAD src0_sel:WORD_0
	;; [unrolled: 2-line block ×4, first 2 shown]
	s_waitcnt vmcnt(4)
	v_cvt_f32_u32_sdwa v5, v70 dst_sel:DWORD dst_unused:UNUSED_PAD src0_sel:WORD_1
	v_cvt_f32_u32_sdwa v4, v70 dst_sel:DWORD dst_unused:UNUSED_PAD src0_sel:WORD_0
	v_cvt_f32_u32_sdwa v15, v71 dst_sel:DWORD dst_unused:UNUSED_PAD src0_sel:WORD_1
	v_cvt_f32_u32_sdwa v14, v71 dst_sel:DWORD dst_unused:UNUSED_PAD src0_sel:WORD_0
	;; [unrolled: 2-line block ×3, first 2 shown]
	v_cvt_f32_u32_sdwa v18, v73 dst_sel:DWORD dst_unused:UNUSED_PAD src0_sel:WORD_0
	v_cvt_f32_u32_sdwa v19, v73 dst_sel:DWORD dst_unused:UNUSED_PAD src0_sel:WORD_1
	s_mul_hi_i32 s35, s17, s6
	s_mul_i32 s34, s17, s6
	s_lshl_b64 s[34:35], s[34:35], 1
	s_waitcnt lgkmcnt(0)
	s_add_u32 s36, s30, s34
	s_mov_b32 s17, 0x7060302
	s_addc_u32 s22, s31, s35
	s_and_b32 s37, s22, 0xffff
	s_waitcnt vmcnt(1)
	v_cvt_f32_u32_sdwa v27, v6 dst_sel:DWORD dst_unused:UNUSED_PAD src0_sel:WORD_1
	v_cvt_f32_u32_sdwa v26, v6 dst_sel:DWORD dst_unused:UNUSED_PAD src0_sel:WORD_0
	v_cvt_f32_u32_sdwa v29, v7 dst_sel:DWORD dst_unused:UNUSED_PAD src0_sel:WORD_1
	v_cvt_f32_u32_sdwa v28, v7 dst_sel:DWORD dst_unused:UNUSED_PAD src0_sel:WORD_0
	v_cvt_f32_u32_sdwa v33, v8 dst_sel:DWORD dst_unused:UNUSED_PAD src0_sel:WORD_1
	v_cvt_f32_u32_sdwa v32, v8 dst_sel:DWORD dst_unused:UNUSED_PAD src0_sel:WORD_0
	v_cvt_f32_u32_sdwa v34, v9 dst_sel:DWORD dst_unused:UNUSED_PAD src0_sel:WORD_0
	v_cvt_f32_u32_sdwa v35, v9 dst_sel:DWORD dst_unused:UNUSED_PAD src0_sel:WORD_1
	s_waitcnt vmcnt(0)
	v_cvt_f32_u32_sdwa v37, v10 dst_sel:DWORD dst_unused:UNUSED_PAD src0_sel:WORD_1
	v_cvt_f32_u32_sdwa v36, v10 dst_sel:DWORD dst_unused:UNUSED_PAD src0_sel:WORD_0
	v_cvt_f32_u32_sdwa v7, v12 dst_sel:DWORD dst_unused:UNUSED_PAD src0_sel:WORD_1
	v_cvt_f32_u32_sdwa v6, v12 dst_sel:DWORD dst_unused:UNUSED_PAD src0_sel:WORD_0
	;; [unrolled: 2-line block ×4, first 2 shown]
	v_pk_add_f32 v[40:41], v[22:23], v[6:7]
	v_pk_add_f32 v[30:31], v[24:25], v[8:9]
	v_pk_add_f32 v[2:3], v[2:3], v[36:37]
	v_pk_add_f32 v[6:7], v[20:21], v[12:13]
	v_perm_b32 v11, v31, v30, s17
	v_perm_b32 v10, v41, v40, s17
	;; [unrolled: 1-line block ×4, first 2 shown]
	v_pk_add_f32 v[74:75], v[18:19], v[34:35]
	v_pk_add_f32 v[20:21], v[16:17], v[32:33]
	;; [unrolled: 1-line block ×4, first 2 shown]
	buffer_store_dwordx4 v[8:11], v38, s[36:39], 0 offen
	;;#ASMSTART
	s_nop 0
	;;#ASMEND
	s_nop 0
	v_perm_b32 v11, v75, v74, s17
	v_perm_b32 v10, v21, v20, s17
	;; [unrolled: 1-line block ×4, first 2 shown]
	buffer_store_dwordx4 v[8:11], v38, s[36:39], 16 offen
	;;#ASMSTART
	s_nop 0
	;;#ASMEND
.LBB668_10:
	s_or_b64 exec, exec, s[2:3]
.LBB668_11:
	v_mul_f32_e32 v4, v3, v3
	v_fmac_f32_e32 v4, v2, v2
	v_fmac_f32_e32 v4, v6, v6
	;; [unrolled: 1-line block ×15, first 2 shown]
	s_nop 1
	v_mov_b32_dpp v5, v4 quad_perm:[1,0,3,2] row_mask:0xf bank_mask:0xf
	v_add_f32_e32 v4, v4, v5
	s_nop 1
	v_mov_b32_dpp v5, v4 quad_perm:[2,3,0,1] row_mask:0xf bank_mask:0xf
	v_add_f32_e32 v4, v4, v5
	s_nop 1
	v_mov_b32_dpp v5, v4 row_half_mirror row_mask:0xf bank_mask:0xf
	v_add_f32_e32 v4, v4, v5
	s_nop 1
	v_mov_b32_dpp v5, v4 row_mirror row_mask:0xf bank_mask:0xf
	v_add_f32_e32 v4, v4, v5
	s_nop 1
	v_mov_b32_dpp v5, v4 row_bcast:15 row_mask:0xf bank_mask:0xf
	v_add_f32_e32 v4, v4, v5
	v_and_b32_e32 v5, 63, v0
	v_cmp_eq_u32_e64 s[2:3], 63, v5
	s_nop 0
	v_mov_b32_dpp v5, v4 row_bcast:31 row_mask:0xf bank_mask:0xf
	s_and_saveexec_b64 s[30:31], s[2:3]
	s_cbranch_execz .LBB668_13
; %bb.12:
	v_add_f32_e32 v4, v4, v5
	v_lshrrev_b32_e32 v5, 4, v0
	v_and_b32_e32 v5, 60, v5
	ds_write_b32 v5, v4 offset:8
.LBB668_13:
	s_or_b64 exec, exec, s[30:31]
	v_and_b32_e32 v4, 1, v0
	v_lshlrev_b32_e32 v34, 2, v4
	s_waitcnt lgkmcnt(0)
	s_barrier
	ds_read_b32 v4, v34 offset:8
	s_load_dwordx2 s[34:35], s[4:5], 0x18
	s_waitcnt lgkmcnt(0)
	v_mov_b32_dpp v5, v4 quad_perm:[1,0,3,2] row_mask:0xf bank_mask:0xf
	s_and_saveexec_b64 s[30:31], s[0:1]
	s_cbranch_execnz .LBB668_18
; %bb.14:
	s_or_b64 exec, exec, s[30:31]
	s_mov_b64 s[8:9], -1
	s_and_b64 vcc, exec, s[18:19]
	s_cbranch_vccnz .LBB668_19
.LBB668_15:
	s_andn2_b64 vcc, exec, s[8:9]
	s_cbranch_vccz .LBB668_22
.LBB668_16:
	s_cmp_lt_i32 s24, 1
	s_cbranch_scc0 .LBB668_31
.LBB668_17:
	s_endpgm
.LBB668_18:
	v_add_f32_e32 v4, v4, v5
	v_cvt_f32_u32_e32 v5, s7
	s_mov_b32 s7, 0x800000
	s_waitcnt vmcnt(1)
	v_cvt_f32_u32_sdwa v15, v62 dst_sel:DWORD dst_unused:UNUSED_PAD src0_sel:WORD_1
	v_cvt_f32_u32_sdwa v14, v62 dst_sel:DWORD dst_unused:UNUSED_PAD src0_sel:WORD_0
	v_div_scale_f32 v8, s[36:37], v5, v5, v4
	v_rcp_f32_e32 v9, v8
	v_pk_add_f32 v[14:15], v[14:15], 1.0 op_sel_hi:[1,0]
	v_cvt_f32_u32_sdwa v23, v65 dst_sel:DWORD dst_unused:UNUSED_PAD src0_sel:WORD_1
	v_cvt_f32_u32_sdwa v22, v65 dst_sel:DWORD dst_unused:UNUSED_PAD src0_sel:WORD_0
	v_fma_f32 v10, -v8, v9, 1.0
	v_fmac_f32_e32 v9, v10, v9
	v_div_scale_f32 v10, vcc, v4, v5, v4
	v_mul_f32_e32 v11, v10, v9
	v_fma_f32 v12, -v8, v11, v10
	v_fmac_f32_e32 v11, v12, v9
	v_fma_f32 v8, -v8, v11, v10
	v_div_fmas_f32 v8, v8, v9, v11
	v_div_fixup_f32 v4, v8, v5, v4
	v_mov_b32_e32 v5, s21
	v_mov_b32_e32 v8, s20
	v_cndmask_b32_e64 v5, v5, v8, s[8:9]
	v_add_f32_e32 v4, v5, v4
	v_mul_f32_e32 v5, 0x4b800000, v4
	v_cmp_gt_f32_e32 vcc, s7, v4
	v_cndmask_b32_e32 v4, v4, v5, vcc
	v_rsq_f32_e32 v4, v4
	s_waitcnt vmcnt(0)
	v_cvt_f32_u32_sdwa v27, v60 dst_sel:DWORD dst_unused:UNUSED_PAD src0_sel:WORD_1
	v_cvt_f32_u32_sdwa v26, v60 dst_sel:DWORD dst_unused:UNUSED_PAD src0_sel:WORD_0
	v_cvt_f32_u32_sdwa v29, v61 dst_sel:DWORD dst_unused:UNUSED_PAD src0_sel:WORD_1
	v_mul_f32_e32 v5, 0x45800000, v4
	v_cndmask_b32_e32 v4, v4, v5, vcc
	v_mov_b32_e32 v5, v4
	;;#ASMSTART
	v_pk_mul_f32 v[2:3], v[2:3], v[4:5]
	;;#ASMEND
	;;#ASMSTART
	v_pk_mul_f32 v[6:7], v[6:7], v[4:5]
	;;#ASMEND
	;; [unrolled: 3-line block ×9, first 2 shown]
	v_cvt_f32_u32_sdwa v15, v63 dst_sel:DWORD dst_unused:UNUSED_PAD src0_sel:WORD_1
	v_cvt_f32_u32_sdwa v14, v63 dst_sel:DWORD dst_unused:UNUSED_PAD src0_sel:WORD_0
	v_cvt_f32_u32_sdwa v21, v64 dst_sel:DWORD dst_unused:UNUSED_PAD src0_sel:WORD_1
	v_cvt_f32_u32_sdwa v20, v64 dst_sel:DWORD dst_unused:UNUSED_PAD src0_sel:WORD_0
	v_cvt_f32_u32_sdwa v25, v59 dst_sel:DWORD dst_unused:UNUSED_PAD src0_sel:WORD_1
	v_pk_add_f32 v[14:15], v[14:15], 1.0 op_sel_hi:[1,0]
	v_cvt_f32_u32_sdwa v24, v59 dst_sel:DWORD dst_unused:UNUSED_PAD src0_sel:WORD_0
	;;#ASMSTART
	v_pk_mul_f32 v[6:7], v[6:7], v[14:15]
	;;#ASMEND
	v_pk_add_f32 v[14:15], v[20:21], 1.0 op_sel_hi:[1,0]
	v_pk_add_f32 v[20:21], v[22:23], 1.0 op_sel_hi:[1,0]
	v_cvt_f32_u32_sdwa v23, v58 dst_sel:DWORD dst_unused:UNUSED_PAD src0_sel:WORD_1
	v_cvt_f32_u32_sdwa v22, v58 dst_sel:DWORD dst_unused:UNUSED_PAD src0_sel:WORD_0
	v_cvt_f32_u32_sdwa v28, v61 dst_sel:DWORD dst_unused:UNUSED_PAD src0_sel:WORD_0
	v_pk_add_f32 v[24:25], v[24:25], 1.0 op_sel_hi:[1,0]
	v_pk_add_f32 v[26:27], v[26:27], 1.0 op_sel_hi:[1,0]
	;; [unrolled: 1-line block ×4, first 2 shown]
	;;#ASMSTART
	v_pk_mul_f32 v[40:41], v[8:9], v[14:15]
	;;#ASMEND
	;;#ASMSTART
	v_pk_mul_f32 v[30:31], v[10:11], v[20:21]
	;;#ASMEND
	;; [unrolled: 3-line block ×6, first 2 shown]
	s_or_b64 exec, exec, s[30:31]
	s_mov_b64 s[8:9], -1
	s_and_b64 vcc, exec, s[18:19]
	s_cbranch_vccz .LBB668_15
.LBB668_19:
	s_and_saveexec_b64 s[8:9], s[0:1]
	s_cbranch_execz .LBB668_21
; %bb.20:
	s_mul_hi_i32 s19, s16, s6
	s_mul_i32 s18, s16, s6
	s_lshl_b64 s[18:19], s[18:19], 1
	s_add_u32 s36, s34, s18
	s_addc_u32 s7, s35, s19
	s_and_b32 s37, s7, 0xffff
	s_mov_b32 s7, 0x7060302
	s_mov_b32 s39, 0x20000
	v_perm_b32 v11, v31, v30, s7
	v_perm_b32 v10, v41, v40, s7
	;; [unrolled: 1-line block ×4, first 2 shown]
	v_lshlrev_b32_e32 v4, 5, v0
	buffer_store_dwordx4 v[8:11], v4, s[36:39], 0 offen
	;;#ASMSTART
	s_nop 0
	;;#ASMEND
	s_nop 0
	v_perm_b32 v11, v75, v74, s7
	v_perm_b32 v10, v21, v20, s7
	;; [unrolled: 1-line block ×4, first 2 shown]
	buffer_store_dwordx4 v[8:11], v4, s[36:39], 16 offen
	;;#ASMSTART
	s_nop 0
	;;#ASMEND
.LBB668_21:
	s_or_b64 exec, exec, s[8:9]
	s_cbranch_execnz .LBB668_16
.LBB668_22:
	v_mov_b32_e32 v4, 0
	s_and_saveexec_b64 s[8:9], s[0:1]
	s_cbranch_execz .LBB668_24
; %bb.23:
	s_load_dwordx2 s[18:19], s[4:5], 0x10
	s_mul_hi_i32 s31, s15, s6
	s_mul_i32 s30, s15, s6
	s_lshl_b64 s[30:31], s[30:31], 1
	s_mov_b32 s39, 0x20000
	s_waitcnt lgkmcnt(0)
	s_add_u32 s36, s18, s30
	s_addc_u32 s7, s19, s31
	s_and_b32 s37, s7, 0xffff
	s_mov_b32 s7, 0x7060302
	v_perm_b32 v11, v31, v30, s7
	v_perm_b32 v10, v41, v40, s7
	;; [unrolled: 1-line block ×4, first 2 shown]
	v_lshlrev_b32_e32 v4, 5, v0
	buffer_store_dwordx4 v[8:11], v4, s[36:39], 0 offen
	;;#ASMSTART
	s_nop 0
	;;#ASMEND
	s_nop 0
	v_perm_b32 v11, v75, v74, s7
	v_perm_b32 v10, v21, v20, s7
	;; [unrolled: 1-line block ×4, first 2 shown]
	buffer_store_dwordx4 v[8:11], v4, s[36:39], 16 offen
	v_mov_b32_e32 v4, 0x2edbe6ff
	;;#ASMSTART
	s_nop 0
	;;#ASMEND
.LBB668_24:
	s_or_b64 exec, exec, s[8:9]
	s_and_saveexec_b64 s[8:9], s[0:1]
	s_cbranch_execz .LBB668_26
; %bb.25:
	v_and_b32_e32 v2, 0x7fffffff, v2
	v_and_b32_e32 v3, 0x7fffffff, v3
	;;#ASMSTART
	v_max3_f32 v2, v4, v2, v3

	;;#ASMEND
	v_and_b32_e32 v5, 0x7fffffff, v6
	v_and_b32_e32 v6, 0x7fffffff, v7
	;;#ASMSTART
	v_max3_f32 v2, v2, v5, v6

	;;#ASMEND
	;; [unrolled: 6-line block ×8, first 2 shown]
.LBB668_26:
	s_or_b64 exec, exec, s[8:9]
	;;#ASMSTART
	v_max_f32 v3, v4, v4 quad_perm:[1,0,3,2] row_mask:0xf bank_mask:0xf bound_ctrl:1
	;;#ASMEND
	;;#ASMSTART
	v_max_f32 v2, v3, v3 quad_perm:[2,3,0,1] row_mask:0xf bank_mask:0xf bound_ctrl:1
	;;#ASMEND
	v_and_b32_e32 v3, 3, v0
	v_cmp_eq_u32_e32 vcc, 0, v3
	v_cmp_gt_i32_e64 s[8:9], s23, v1
	s_and_b64 s[18:19], vcc, s[8:9]
	s_and_saveexec_b64 s[8:9], s[18:19]
	s_cbranch_execz .LBB668_28
; %bb.27:
	s_load_dwordx2 s[18:19], s[4:5], 0x8
	v_mul_f32_e32 v2, 0x3e2aaaab, v2
	v_lshrrev_b32_e32 v3, 23, v2
	v_and_b32_e32 v4, 0x7f800000, v2
	v_and_b32_e32 v2, 0x7fffff, v2
	v_cmp_ne_u32_e32 vcc, 0, v2
	s_mul_hi_i32 s15, s13, s6
	s_mul_i32 s13, s13, s6
	s_mov_b32 s7, 0x7f800000
	v_addc_co_u32_e32 v2, vcc, 0, v3, vcc
	s_waitcnt lgkmcnt(0)
	s_add_u32 s18, s18, s13
	v_cmp_ne_u32_e32 vcc, s7, v4
	s_addc_u32 s19, s19, s15
	v_lshrrev_b32_e32 v5, 2, v0
	v_cndmask_b32_e32 v4, -1, v2, vcc
	v_pk_mov_b32 v[2:3], s[18:19], s[18:19] op_sel:[0,1]
	v_mad_i64_i32 v[2:3], s[14:15], s14, v5, v[2:3]
	global_store_byte v[2:3], v4, off
.LBB668_28:
	s_or_b64 exec, exec, s[8:9]
	s_and_saveexec_b64 s[8:9], s[0:1]
	s_cbranch_execz .LBB668_30
; %bb.29:
	s_load_dwordx2 s[0:1], s[4:5], 0x0
	s_mul_hi_i32 s7, s12, s6
	s_mul_i32 s12, s12, s6
	v_mov_b32_e32 v2, 0
	v_lshlrev_b32_e32 v4, 3, v0
	s_waitcnt lgkmcnt(0)
	s_add_u32 s12, s0, s12
	s_addc_u32 s0, s1, s7
	s_lshr_b32 s1, s23, 31
	s_add_i32 s1, s23, s1
	s_ashr_i32 s1, s1, 1
	s_add_i32 s1, s1, 3
	s_ashr_i32 s7, s1, 31
	s_lshr_b32 s7, s7, 30
	s_add_i32 s1, s1, s7
	s_and_b32 s14, s1, -4
	s_and_b32 s13, s0, 0xffff
	s_mov_b32 s15, 0x20000
	v_mov_b32_e32 v3, v2
	buffer_store_dwordx2 v[2:3], v4, s[12:15], 0 offen
	;;#ASMSTART
	s_nop 0
	;;#ASMEND
.LBB668_30:
	s_or_b64 exec, exec, s[8:9]
	s_cmp_lt_i32 s24, 1
	s_cbranch_scc1 .LBB668_17
.LBB668_31:
	s_load_dword s0, s[4:5], 0x94
	s_waitcnt lgkmcnt(0)
	s_cmp_lg_u32 s0, 1
	s_cbranch_scc1 .LBB668_17
; %bb.32:
	s_lshl_b32 s0, s24, 1
	s_add_i32 s0, s0, 2
	v_cmp_gt_u32_e32 vcc, s24, v1
	s_and_b32 s30, s0, -4
	v_mov_b32_e32 v18, 0
	v_lshlrev_b32_e32 v1, 5, v0
	v_mov_b32_e32 v14, 0
	v_mov_b32_e32 v15, 0
	;; [unrolled: 1-line block ×16, first 2 shown]
	s_barrier
	s_and_saveexec_b64 s[0:1], vcc
	s_cbranch_execz .LBB668_34
; %bb.33:
	s_mul_hi_i32 s5, s26, s6
	s_mul_i32 s4, s26, s6
	s_and_b32 s29, s29, 0xffff
	s_lshl_b64 s[4:5], s[4:5], 1
	s_add_u32 s8, s10, s4
	s_mov_b32 s31, 0x20000
	s_addc_u32 s4, s11, s5
	s_and_b32 s9, s4, 0xffff
	s_mov_b32 s10, s30
	s_mov_b32 s11, s31
	buffer_load_dwordx4 v[14:17], v1, s[8:11], 0 offen
	buffer_load_dwordx4 v[10:13], v1, s[8:11], 16 offen
	;; [unrolled: 1-line block ×4, first 2 shown]
.LBB668_34:
	s_or_b64 exec, exec, s[0:1]
	v_mov_b32_e32 v19, 0
	v_mov_b32_e32 v32, 0
	;; [unrolled: 1-line block ×15, first 2 shown]
	s_and_saveexec_b64 s[0:1], vcc
	s_cbranch_execz .LBB668_36
; %bb.35:
	s_waitcnt vmcnt(3)
	v_cvt_f32_u32_sdwa v18, v14 dst_sel:DWORD dst_unused:UNUSED_PAD src0_sel:WORD_0
	v_cvt_f32_u32_sdwa v19, v14 dst_sel:DWORD dst_unused:UNUSED_PAD src0_sel:WORD_1
	v_cvt_f32_u32_sdwa v32, v15 dst_sel:DWORD dst_unused:UNUSED_PAD src0_sel:WORD_0
	v_cvt_f32_u32_sdwa v33, v15 dst_sel:DWORD dst_unused:UNUSED_PAD src0_sel:WORD_1
	;; [unrolled: 2-line block ×4, first 2 shown]
	s_waitcnt vmcnt(2)
	v_cvt_f32_u32_sdwa v26, v10 dst_sel:DWORD dst_unused:UNUSED_PAD src0_sel:WORD_0
	v_cvt_f32_u32_sdwa v27, v10 dst_sel:DWORD dst_unused:UNUSED_PAD src0_sel:WORD_1
	v_cvt_f32_u32_sdwa v24, v11 dst_sel:DWORD dst_unused:UNUSED_PAD src0_sel:WORD_0
	v_cvt_f32_u32_sdwa v25, v11 dst_sel:DWORD dst_unused:UNUSED_PAD src0_sel:WORD_1
	;; [unrolled: 2-line block ×4, first 2 shown]
.LBB668_36:
	s_or_b64 exec, exec, s[0:1]
	s_waitcnt vmcnt(2)
	v_mul_f32_e32 v10, v19, v19
	v_fmac_f32_e32 v10, v18, v18
	v_fmac_f32_e32 v10, v32, v32
	;; [unrolled: 1-line block ×15, first 2 shown]
	s_nop 1
	v_mov_b32_dpp v11, v10 quad_perm:[1,0,3,2] row_mask:0xf bank_mask:0xf
	v_add_f32_e32 v10, v10, v11
	s_nop 1
	v_mov_b32_dpp v11, v10 quad_perm:[2,3,0,1] row_mask:0xf bank_mask:0xf
	v_add_f32_e32 v10, v10, v11
	s_nop 1
	v_mov_b32_dpp v11, v10 row_half_mirror row_mask:0xf bank_mask:0xf
	v_add_f32_e32 v10, v10, v11
	s_nop 1
	v_mov_b32_dpp v11, v10 row_mirror row_mask:0xf bank_mask:0xf
	v_add_f32_e32 v10, v10, v11
	s_nop 1
	v_mov_b32_dpp v11, v10 row_bcast:15 row_mask:0xf bank_mask:0xf
	v_add_f32_e32 v10, v10, v11
	s_nop 1
	v_mov_b32_dpp v11, v10 row_bcast:31 row_mask:0xf bank_mask:0xf
	s_and_saveexec_b64 s[0:1], s[2:3]
	s_cbranch_execz .LBB668_38
; %bb.37:
	v_lshrrev_b32_e32 v0, 4, v0
	v_add_f32_e32 v10, v10, v11
	v_and_b32_e32 v0, 60, v0
	ds_write_b32 v0, v10
.LBB668_38:
	s_or_b64 exec, exec, s[0:1]
	s_waitcnt lgkmcnt(0)
	s_barrier
	ds_read_b32 v0, v34
	s_waitcnt lgkmcnt(0)
	s_nop 0
	v_mov_b32_dpp v10, v0 quad_perm:[1,0,3,2] row_mask:0xf bank_mask:0xf
	s_and_saveexec_b64 s[0:1], vcc
	s_cbranch_execz .LBB668_17
; %bb.39:
	v_cvt_f32_u32_e32 v11, s24
	v_add_f32_e32 v0, v0, v10
	s_mov_b32 s31, 0x20000
	v_div_scale_f32 v10, s[0:1], v11, v11, v0
	v_rcp_f32_e32 v12, v10
	v_div_scale_f32 v13, vcc, v0, v11, v0
	s_mov_b32 s0, 0x800000
	v_fma_f32 v14, -v10, v12, 1.0
	v_fmac_f32_e32 v12, v14, v12
	v_mul_f32_e32 v14, v13, v12
	v_fma_f32 v15, -v10, v14, v13
	v_fmac_f32_e32 v14, v15, v12
	v_fma_f32 v10, -v10, v14, v13
	v_div_fmas_f32 v10, v10, v12, v14
	v_div_fixup_f32 v0, v10, v11, v0
	v_add_f32_e32 v0, s21, v0
	v_mul_f32_e32 v10, 0x4b800000, v0
	v_cmp_gt_f32_e32 vcc, s0, v0
	v_cndmask_b32_e32 v0, v0, v10, vcc
	v_rsq_f32_e32 v0, v0
	s_mul_hi_i32 s1, s16, s6
	s_mul_i32 s0, s16, s6
	s_lshl_b64 s[0:1], s[0:1], 1
	v_mul_f32_e32 v10, 0x45800000, v0
	v_cndmask_b32_e32 v10, v0, v10, vcc
	v_mov_b32_e32 v11, v10
	;;#ASMSTART
	v_pk_mul_f32 v[12:13], v[18:19], v[10:11]
	;;#ASMEND
	;;#ASMSTART
	v_pk_mul_f32 v[14:15], v[32:33], v[10:11]
	;;#ASMEND
	;; [unrolled: 3-line block ×4, first 2 shown]
	s_waitcnt vmcnt(1)
	v_cvt_f32_u32_sdwa v29, v6 dst_sel:DWORD dst_unused:UNUSED_PAD src0_sel:WORD_1
	v_cvt_f32_u32_sdwa v28, v6 dst_sel:DWORD dst_unused:UNUSED_PAD src0_sel:WORD_0
	v_cvt_f32_u32_sdwa v31, v7 dst_sel:DWORD dst_unused:UNUSED_PAD src0_sel:WORD_1
	v_cvt_f32_u32_sdwa v30, v7 dst_sel:DWORD dst_unused:UNUSED_PAD src0_sel:WORD_0
	;;#ASMSTART
	v_pk_mul_f32 v[26:27], v[26:27], v[10:11]
	;;#ASMEND
	;;#ASMSTART
	v_pk_mul_f32 v[24:25], v[24:25], v[10:11]
	;;#ASMEND
	;; [unrolled: 3-line block ×4, first 2 shown]
	v_cvt_f32_u32_sdwa v21, v8 dst_sel:DWORD dst_unused:UNUSED_PAD src0_sel:WORD_1
	v_cvt_f32_u32_sdwa v20, v8 dst_sel:DWORD dst_unused:UNUSED_PAD src0_sel:WORD_0
	v_pk_add_f32 v[10:11], v[28:29], 1.0 op_sel_hi:[1,0]
	;;#ASMSTART
	v_pk_mul_f32 v[10:11], v[12:13], v[10:11]
	;;#ASMEND
	v_pk_add_f32 v[12:13], v[30:31], 1.0 op_sel_hi:[1,0]
	v_cvt_f32_u32_sdwa v29, v9 dst_sel:DWORD dst_unused:UNUSED_PAD src0_sel:WORD_1
	v_cvt_f32_u32_sdwa v28, v9 dst_sel:DWORD dst_unused:UNUSED_PAD src0_sel:WORD_0
	;;#ASMSTART
	v_pk_mul_f32 v[8:9], v[14:15], v[12:13]
	;;#ASMEND
	v_pk_add_f32 v[12:13], v[20:21], 1.0 op_sel_hi:[1,0]
	;;#ASMSTART
	v_pk_mul_f32 v[12:13], v[16:17], v[12:13]
	;;#ASMEND
	s_waitcnt vmcnt(0)
	v_cvt_f32_u32_sdwa v17, v2 dst_sel:DWORD dst_unused:UNUSED_PAD src0_sel:WORD_1
	v_cvt_f32_u32_sdwa v16, v2 dst_sel:DWORD dst_unused:UNUSED_PAD src0_sel:WORD_0
	v_cvt_f32_u32_sdwa v21, v3 dst_sel:DWORD dst_unused:UNUSED_PAD src0_sel:WORD_1
	v_cvt_f32_u32_sdwa v20, v3 dst_sel:DWORD dst_unused:UNUSED_PAD src0_sel:WORD_0
	v_pk_add_f32 v[14:15], v[28:29], 1.0 op_sel_hi:[1,0]
	;;#ASMSTART
	v_pk_mul_f32 v[14:15], v[18:19], v[14:15]
	;;#ASMEND
	v_pk_add_f32 v[2:3], v[16:17], 1.0 op_sel_hi:[1,0]
	v_cvt_f32_u32_sdwa v19, v4 dst_sel:DWORD dst_unused:UNUSED_PAD src0_sel:WORD_1
	v_cvt_f32_u32_sdwa v18, v4 dst_sel:DWORD dst_unused:UNUSED_PAD src0_sel:WORD_0
	;;#ASMSTART
	v_pk_mul_f32 v[16:17], v[26:27], v[2:3]
	;;#ASMEND
	v_pk_add_f32 v[2:3], v[20:21], 1.0 op_sel_hi:[1,0]
	v_cvt_f32_u32_sdwa v21, v5 dst_sel:DWORD dst_unused:UNUSED_PAD src0_sel:WORD_1
	v_cvt_f32_u32_sdwa v20, v5 dst_sel:DWORD dst_unused:UNUSED_PAD src0_sel:WORD_0
	s_add_u32 s28, s34, s0
	;;#ASMSTART
	v_pk_mul_f32 v[24:25], v[24:25], v[2:3]
	;;#ASMEND
	v_pk_add_f32 v[2:3], v[18:19], 1.0 op_sel_hi:[1,0]
	s_addc_u32 s0, s35, s1
	;;#ASMSTART
	v_pk_mul_f32 v[18:19], v[22:23], v[2:3]
	;;#ASMEND
	v_pk_add_f32 v[2:3], v[20:21], 1.0 op_sel_hi:[1,0]
	s_and_b32 s29, s0, 0xffff
	s_mov_b32 s0, 0x7060302
	;;#ASMSTART
	v_pk_mul_f32 v[6:7], v[6:7], v[2:3]
	;;#ASMEND
	v_perm_b32 v2, v11, v10, s0
	v_perm_b32 v3, v9, v8, s0
	v_perm_b32 v4, v13, v12, s0
	v_perm_b32 v5, v15, v14, s0
	buffer_store_dwordx4 v[2:5], v1, s[28:31], 0 offen
	;;#ASMSTART
	s_nop 0
	;;#ASMEND
	s_nop 0
	v_perm_b32 v2, v17, v16, s0
	v_perm_b32 v3, v25, v24, s0
	;; [unrolled: 1-line block ×4, first 2 shown]
	buffer_store_dwordx4 v[2:5], v1, s[28:31], 16 offen
	;;#ASMSTART
	s_nop 0
	;;#ASMEND
	s_endpgm
	.section	.rodata,"a",@progbits
	.p2align	6, 0x0
	.amdhsa_kernel _ZN5aiter35fused_qk_rmsnorm_group_quant_kernelItN4opus5fp4_tELi128ELi16ELi4ELb1ELb1ELb1ELb0ELb0ELb0EEEvPT0_PvPT_S7_S7_PKS6_S9_S9_S9_S9_ffiiiiiiiiiiiii
		.amdhsa_group_segment_fixed_size 16
		.amdhsa_private_segment_fixed_size 0
		.amdhsa_kernarg_size 400
		.amdhsa_user_sgpr_count 6
		.amdhsa_user_sgpr_private_segment_buffer 1
		.amdhsa_user_sgpr_dispatch_ptr 0
		.amdhsa_user_sgpr_queue_ptr 0
		.amdhsa_user_sgpr_kernarg_segment_ptr 1
		.amdhsa_user_sgpr_dispatch_id 0
		.amdhsa_user_sgpr_flat_scratch_init 0
		.amdhsa_user_sgpr_kernarg_preload_length 0
		.amdhsa_user_sgpr_kernarg_preload_offset 0
		.amdhsa_user_sgpr_private_segment_size 0
		.amdhsa_uses_dynamic_stack 0
		.amdhsa_system_sgpr_private_segment_wavefront_offset 0
		.amdhsa_system_sgpr_workgroup_id_x 1
		.amdhsa_system_sgpr_workgroup_id_y 1
		.amdhsa_system_sgpr_workgroup_id_z 0
		.amdhsa_system_sgpr_workgroup_info 0
		.amdhsa_system_vgpr_workitem_id 0
		.amdhsa_next_free_vgpr 76
		.amdhsa_next_free_sgpr 44
		.amdhsa_accum_offset 76
		.amdhsa_reserve_vcc 1
		.amdhsa_reserve_flat_scratch 0
		.amdhsa_float_round_mode_32 0
		.amdhsa_float_round_mode_16_64 0
		.amdhsa_float_denorm_mode_32 3
		.amdhsa_float_denorm_mode_16_64 3
		.amdhsa_dx10_clamp 1
		.amdhsa_ieee_mode 1
		.amdhsa_fp16_overflow 0
		.amdhsa_tg_split 0
		.amdhsa_exception_fp_ieee_invalid_op 0
		.amdhsa_exception_fp_denorm_src 0
		.amdhsa_exception_fp_ieee_div_zero 0
		.amdhsa_exception_fp_ieee_overflow 0
		.amdhsa_exception_fp_ieee_underflow 0
		.amdhsa_exception_fp_ieee_inexact 0
		.amdhsa_exception_int_div_zero 0
	.end_amdhsa_kernel
	.section	.text._ZN5aiter35fused_qk_rmsnorm_group_quant_kernelItN4opus5fp4_tELi128ELi16ELi4ELb1ELb1ELb1ELb0ELb0ELb0EEEvPT0_PvPT_S7_S7_PKS6_S9_S9_S9_S9_ffiiiiiiiiiiiii,"axG",@progbits,_ZN5aiter35fused_qk_rmsnorm_group_quant_kernelItN4opus5fp4_tELi128ELi16ELi4ELb1ELb1ELb1ELb0ELb0ELb0EEEvPT0_PvPT_S7_S7_PKS6_S9_S9_S9_S9_ffiiiiiiiiiiiii,comdat
.Lfunc_end668:
	.size	_ZN5aiter35fused_qk_rmsnorm_group_quant_kernelItN4opus5fp4_tELi128ELi16ELi4ELb1ELb1ELb1ELb0ELb0ELb0EEEvPT0_PvPT_S7_S7_PKS6_S9_S9_S9_S9_ffiiiiiiiiiiiii, .Lfunc_end668-_ZN5aiter35fused_qk_rmsnorm_group_quant_kernelItN4opus5fp4_tELi128ELi16ELi4ELb1ELb1ELb1ELb0ELb0ELb0EEEvPT0_PvPT_S7_S7_PKS6_S9_S9_S9_S9_ffiiiiiiiiiiiii
                                        ; -- End function
	.section	.AMDGPU.csdata,"",@progbits
; Kernel info:
; codeLenInByte = 4032
; NumSgprs: 48
; NumVgprs: 76
; NumAgprs: 0
; TotalNumVgprs: 76
; ScratchSize: 0
; MemoryBound: 0
; FloatMode: 240
; IeeeMode: 1
; LDSByteSize: 16 bytes/workgroup (compile time only)
; SGPRBlocks: 5
; VGPRBlocks: 9
; NumSGPRsForWavesPerEU: 48
; NumVGPRsForWavesPerEU: 76
; AccumOffset: 76
; Occupancy: 6
; WaveLimiterHint : 0
; COMPUTE_PGM_RSRC2:SCRATCH_EN: 0
; COMPUTE_PGM_RSRC2:USER_SGPR: 6
; COMPUTE_PGM_RSRC2:TRAP_HANDLER: 0
; COMPUTE_PGM_RSRC2:TGID_X_EN: 1
; COMPUTE_PGM_RSRC2:TGID_Y_EN: 1
; COMPUTE_PGM_RSRC2:TGID_Z_EN: 0
; COMPUTE_PGM_RSRC2:TIDIG_COMP_CNT: 0
; COMPUTE_PGM_RSRC3_GFX90A:ACCUM_OFFSET: 18
; COMPUTE_PGM_RSRC3_GFX90A:TG_SPLIT: 0
	.section	.text._ZN5aiter35fused_qk_rmsnorm_group_quant_kernelIDF16_DB8_Li128ELi16ELi4ELb1ELb1ELb0ELb0ELb0ELb0EEEvPT0_PvPT_S6_S6_PKS5_S8_S8_S8_S8_ffiiiiiiiiiiiii,"axG",@progbits,_ZN5aiter35fused_qk_rmsnorm_group_quant_kernelIDF16_DB8_Li128ELi16ELi4ELb1ELb1ELb0ELb0ELb0ELb0EEEvPT0_PvPT_S6_S6_PKS5_S8_S8_S8_S8_ffiiiiiiiiiiiii,comdat
	.protected	_ZN5aiter35fused_qk_rmsnorm_group_quant_kernelIDF16_DB8_Li128ELi16ELi4ELb1ELb1ELb0ELb0ELb0ELb0EEEvPT0_PvPT_S6_S6_PKS5_S8_S8_S8_S8_ffiiiiiiiiiiiii ; -- Begin function _ZN5aiter35fused_qk_rmsnorm_group_quant_kernelIDF16_DB8_Li128ELi16ELi4ELb1ELb1ELb0ELb0ELb0ELb0EEEvPT0_PvPT_S6_S6_PKS5_S8_S8_S8_S8_ffiiiiiiiiiiiii
	.globl	_ZN5aiter35fused_qk_rmsnorm_group_quant_kernelIDF16_DB8_Li128ELi16ELi4ELb1ELb1ELb0ELb0ELb0ELb0EEEvPT0_PvPT_S6_S6_PKS5_S8_S8_S8_S8_ffiiiiiiiiiiiii
	.p2align	8
	.type	_ZN5aiter35fused_qk_rmsnorm_group_quant_kernelIDF16_DB8_Li128ELi16ELi4ELb1ELb1ELb0ELb0ELb0ELb0EEEvPT0_PvPT_S6_S6_PKS5_S8_S8_S8_S8_ffiiiiiiiiiiiii,@function
_ZN5aiter35fused_qk_rmsnorm_group_quant_kernelIDF16_DB8_Li128ELi16ELi4ELb1ELb1ELb0ELb0ELb0ELb0EEEvPT0_PvPT_S6_S6_PKS5_S8_S8_S8_S8_ffiiiiiiiiiiiii: ; @_ZN5aiter35fused_qk_rmsnorm_group_quant_kernelIDF16_DB8_Li128ELi16ELi4ELb1ELb1ELb0ELb0ELb0ELb0EEEvPT0_PvPT_S6_S6_PKS5_S8_S8_S8_S8_ffiiiiiiiiiiiii
; %bb.0:
	s_load_dwordx8 s[20:27], s[4:5], 0x50
	s_waitcnt lgkmcnt(0)
	s_cmp_ge_i32 s6, s22
	s_cbranch_scc1 .LBB669_17
; %bb.1:
	s_cmp_lg_u32 s7, 0
	s_cselect_b64 s[10:11], -1, 0
	s_cmp_eq_u32 s7, 0
	s_cselect_b64 s[8:9], -1, 0
	s_and_b64 s[0:1], s[8:9], exec
	s_load_dwordx2 s[28:29], s[4:5], 0x48
	s_load_dwordx2 s[34:35], s[4:5], 0x30
	s_load_dwordx8 s[12:19], s[4:5], 0x70
	s_cselect_b32 s7, s23, s24
	s_add_i32 s0, s7, 1
	s_lshr_b32 s1, s0, 31
	s_add_i32 s0, s0, s1
	s_lshl_b32 s0, s0, 1
	v_lshlrev_b32_e32 v1, 4, v0
	s_and_b32 s38, s0, -4
	v_cmp_gt_i32_e64 s[0:1], s7, v1
	v_mov_b32_e32 v80, 0
	v_mov_b32_e32 v81, 0
	;; [unrolled: 1-line block ×16, first 2 shown]
	s_and_saveexec_b64 s[2:3], s[0:1]
	s_cbranch_execz .LBB669_3
; %bb.2:
	s_waitcnt lgkmcnt(0)
	s_load_dwordx2 s[18:19], s[4:5], 0x28
	s_load_dwordx2 s[30:31], s[4:5], 0x40
	s_and_b64 s[36:37], s[8:9], exec
	s_cselect_b32 s22, s25, s26
	s_mov_b32 s39, 0x20000
	s_waitcnt lgkmcnt(0)
	s_cselect_b32 s25, s19, s35
	s_cselect_b32 s33, s18, s34
	s_mul_hi_i32 s19, s22, s6
	s_mul_i32 s18, s22, s6
	s_lshl_b64 s[18:19], s[18:19], 1
	s_add_u32 s40, s33, s18
	s_addc_u32 s22, s25, s19
	s_and_b64 s[18:19], s[8:9], exec
	s_cselect_b32 s36, s30, s28
	s_cselect_b32 s18, s31, s29
	s_and_b32 s41, s22, 0xffff
	s_mov_b32 s42, s38
	s_mov_b32 s43, s39
	v_lshlrev_b32_e32 v2, 5, v0
	s_and_b32 s37, s18, 0xffff
	buffer_load_dwordx4 v[84:87], v2, s[40:43], 0 offen
	buffer_load_dwordx4 v[88:91], v2, s[40:43], 16 offen
	;; [unrolled: 1-line block ×4, first 2 shown]
.LBB669_3:
	s_or_b64 exec, exec, s[2:3]
	s_and_b64 vcc, exec, s[10:11]
	s_cbranch_vccz .LBB669_7
; %bb.4:
	v_mov_b32_e32 v93, 0
	v_mov_b32_e32 v92, 0
	v_mov_b32_e32 v15, 0
	v_mov_b32_e32 v14, 0
	v_mov_b32_e32 v41, 0
	v_mov_b32_e32 v40, 0
	v_mov_b32_e32 v69, 0
	v_mov_b32_e32 v68, 0
	v_mov_b32_e32 v19, 0
	v_mov_b32_e32 v18, 0
	v_mov_b32_e32 v47, 0
	v_mov_b32_e32 v46, 0
	v_mov_b32_e32 v29, 0
	v_mov_b32_e32 v28, 0
	v_mov_b32_e32 v59, 0
	v_mov_b32_e32 v58, 0
	s_and_saveexec_b64 s[2:3], s[0:1]
	s_cbranch_execz .LBB669_6
; %bb.5:
	s_waitcnt vmcnt(3)
	v_cvt_f32_f16_sdwa v59, v84 dst_sel:DWORD dst_unused:UNUSED_PAD src0_sel:WORD_1
	v_cvt_f32_f16_e32 v58, v84
	v_cvt_f32_f16_sdwa v29, v85 dst_sel:DWORD dst_unused:UNUSED_PAD src0_sel:WORD_1
	v_cvt_f32_f16_e32 v28, v85
	;; [unrolled: 2-line block ×4, first 2 shown]
	s_waitcnt vmcnt(2)
	v_cvt_f32_f16_sdwa v69, v88 dst_sel:DWORD dst_unused:UNUSED_PAD src0_sel:WORD_1
	v_cvt_f32_f16_e32 v68, v88
	v_cvt_f32_f16_sdwa v41, v89 dst_sel:DWORD dst_unused:UNUSED_PAD src0_sel:WORD_1
	v_cvt_f32_f16_e32 v40, v89
	;; [unrolled: 2-line block ×4, first 2 shown]
.LBB669_6:
	s_or_b64 exec, exec, s[2:3]
	s_cbranch_execz .LBB669_8
	s_branch .LBB669_11
.LBB669_7:
                                        ; implicit-def: $vgpr26_vgpr27_vgpr28_vgpr29_vgpr30_vgpr31_vgpr32_vgpr33_vgpr34_vgpr35_vgpr36_vgpr37_vgpr38_vgpr39_vgpr40_vgpr41
                                        ; implicit-def: $vgpr58_vgpr59_vgpr60_vgpr61_vgpr62_vgpr63_vgpr64_vgpr65_vgpr66_vgpr67_vgpr68_vgpr69_vgpr70_vgpr71_vgpr72_vgpr73
                                        ; implicit-def: $vgpr42_vgpr43_vgpr44_vgpr45_vgpr46_vgpr47_vgpr48_vgpr49_vgpr50_vgpr51_vgpr52_vgpr53_vgpr54_vgpr55_vgpr56_vgpr57
                                        ; implicit-def: $vgpr12_vgpr13_vgpr14_vgpr15_vgpr16_vgpr17_vgpr18_vgpr19_vgpr20_vgpr21_vgpr22_vgpr23_vgpr24_vgpr25_vgpr26_vgpr27
                                        ; implicit-def: $vgpr93
                                        ; implicit-def: $vgpr60_vgpr61_vgpr62_vgpr63_vgpr64_vgpr65_vgpr66_vgpr67_vgpr68_vgpr69_vgpr70_vgpr71_vgpr72_vgpr73_vgpr74_vgpr75
                                        ; implicit-def: $vgpr30_vgpr31_vgpr32_vgpr33_vgpr34_vgpr35_vgpr36_vgpr37_vgpr38_vgpr39_vgpr40_vgpr41_vgpr42_vgpr43_vgpr44_vgpr45
                                        ; implicit-def: $vgpr2_vgpr3_vgpr4_vgpr5_vgpr6_vgpr7_vgpr8_vgpr9_vgpr10_vgpr11_vgpr12_vgpr13_vgpr14_vgpr15_vgpr16_vgpr17
.LBB669_8:
	v_mov_b32_e32 v93, 0
	v_mov_b32_e32 v92, 0
	;; [unrolled: 1-line block ×16, first 2 shown]
	s_and_saveexec_b64 s[2:3], s[0:1]
	s_cbranch_execz .LBB669_10
; %bb.9:
	s_waitcnt lgkmcnt(0)
	s_load_dwordx2 s[18:19], s[4:5], 0x38
	s_mul_hi_i32 s31, s27, s6
	s_mul_i32 s30, s27, s6
	s_lshl_b64 s[30:31], s[30:31], 1
	s_mov_b32 s39, 0x20000
	s_waitcnt lgkmcnt(0)
	s_add_u32 s36, s18, s30
	s_addc_u32 s18, s19, s31
	s_and_b32 s37, s18, 0xffff
	v_lshlrev_b32_e32 v38, 5, v0
	buffer_load_dwordx4 v[6:9], v38, s[36:39], 16 offen
	buffer_load_dwordx4 v[10:13], v38, s[36:39], 0 offen
	s_waitcnt vmcnt(5)
	v_cvt_f32_f16_sdwa v19, v86 dst_sel:DWORD dst_unused:UNUSED_PAD src0_sel:WORD_1
	v_cvt_f32_f16_e32 v18, v86
	v_cvt_f32_f16_sdwa v25, v87 dst_sel:DWORD dst_unused:UNUSED_PAD src0_sel:WORD_1
	v_cvt_f32_f16_e32 v24, v87
	;; [unrolled: 2-line block ×4, first 2 shown]
	s_load_dwordx2 s[18:19], s[4:5], 0x20
	s_waitcnt vmcnt(4)
	v_cvt_f32_f16_sdwa v3, v88 dst_sel:DWORD dst_unused:UNUSED_PAD src0_sel:WORD_1
	v_cvt_f32_f16_e32 v2, v88
	v_cvt_f32_f16_sdwa v5, v89 dst_sel:DWORD dst_unused:UNUSED_PAD src0_sel:WORD_1
	v_cvt_f32_f16_e32 v4, v89
	v_cvt_f32_f16_sdwa v15, v90 dst_sel:DWORD dst_unused:UNUSED_PAD src0_sel:WORD_1
	v_cvt_f32_f16_e32 v14, v90
	v_cvt_f32_f16_sdwa v17, v91 dst_sel:DWORD dst_unused:UNUSED_PAD src0_sel:WORD_1
	v_cvt_f32_f16_e32 v16, v91
	s_mul_hi_i32 s31, s17, s6
	s_mul_i32 s30, s17, s6
	s_lshl_b64 s[30:31], s[30:31], 1
	s_waitcnt lgkmcnt(0)
	s_add_u32 s36, s18, s30
	s_addc_u32 s17, s19, s31
	s_and_b32 s37, s17, 0xffff
	s_waitcnt vmcnt(1)
	v_cvt_f32_f16_e32 v26, v6
	v_cvt_f32_f16_sdwa v27, v6 dst_sel:DWORD dst_unused:UNUSED_PAD src0_sel:WORD_1
	v_cvt_f32_f16_e32 v30, v7
	v_cvt_f32_f16_sdwa v31, v7 dst_sel:DWORD dst_unused:UNUSED_PAD src0_sel:WORD_1
	;; [unrolled: 2-line block ×4, first 2 shown]
	s_waitcnt vmcnt(0)
	v_cvt_f32_f16_e32 v6, v12
	v_cvt_f32_f16_sdwa v7, v12 dst_sel:DWORD dst_unused:UNUSED_PAD src0_sel:WORD_1
	v_cvt_f32_f16_e32 v8, v13
	v_cvt_f32_f16_sdwa v9, v13 dst_sel:DWORD dst_unused:UNUSED_PAD src0_sel:WORD_1
	;; [unrolled: 2-line block ×4, first 2 shown]
	v_pk_add_f32 v[46:47], v[18:19], v[6:7]
	v_pk_add_f32 v[18:19], v[24:25], v[8:9]
	v_cvt_f16_f32_e32 v6, v47
	v_cvt_f16_f32_e32 v7, v19
	;; [unrolled: 1-line block ×4, first 2 shown]
	v_pk_add_f32 v[28:29], v[22:23], v[10:11]
	v_pk_add_f32 v[58:59], v[20:21], v[36:37]
	v_pack_b32_f16 v9, v8, v7
	v_pack_b32_f16 v8, v12, v6
	v_cvt_f16_f32_e32 v6, v29
	v_cvt_f16_f32_e32 v7, v28
	;; [unrolled: 1-line block ×3, first 2 shown]
	v_pk_add_f32 v[92:93], v[16:17], v[34:35]
	v_pk_add_f32 v[14:15], v[14:15], v[32:33]
	v_pack_b32_f16 v7, v7, v6
	v_cvt_f16_f32_e32 v6, v59
	v_pk_add_f32 v[40:41], v[4:5], v[30:31]
	v_pk_add_f32 v[68:69], v[2:3], v[26:27]
	v_cvt_f16_f32_e32 v4, v40
	v_pack_b32_f16 v6, v10, v6
	buffer_store_dwordx4 v[6:9], v38, s[36:39], 0 offen
	v_cvt_f16_f32_e32 v5, v41
	v_cvt_f16_f32_e32 v6, v14
	;; [unrolled: 1-line block ×7, first 2 shown]
	v_pack_b32_f16 v7, v7, v8
	v_pack_b32_f16 v6, v6, v9
	;; [unrolled: 1-line block ×4, first 2 shown]
	;;#ASMSTART
	s_nop 0
	;;#ASMEND
	buffer_store_dwordx4 v[4:7], v38, s[36:39], 16 offen
	;;#ASMSTART
	s_nop 0
	;;#ASMEND
.LBB669_10:
	s_or_b64 exec, exec, s[2:3]
.LBB669_11:
	v_mul_f32_e32 v2, v59, v59
	v_fmac_f32_e32 v2, v58, v58
	v_fmac_f32_e32 v2, v28, v28
	;; [unrolled: 1-line block ×15, first 2 shown]
	s_nop 1
	v_mov_b32_dpp v3, v2 quad_perm:[1,0,3,2] row_mask:0xf bank_mask:0xf
	v_add_f32_e32 v2, v2, v3
	s_nop 1
	v_mov_b32_dpp v3, v2 quad_perm:[2,3,0,1] row_mask:0xf bank_mask:0xf
	v_add_f32_e32 v2, v2, v3
	s_nop 1
	v_mov_b32_dpp v3, v2 row_half_mirror row_mask:0xf bank_mask:0xf
	v_add_f32_e32 v2, v2, v3
	s_nop 1
	v_mov_b32_dpp v3, v2 row_mirror row_mask:0xf bank_mask:0xf
	v_add_f32_e32 v2, v2, v3
	s_nop 1
	v_mov_b32_dpp v3, v2 row_bcast:15 row_mask:0xf bank_mask:0xf
	v_add_f32_e32 v2, v2, v3
	v_and_b32_e32 v3, 63, v0
	v_cmp_eq_u32_e64 s[2:3], 63, v3
	s_nop 0
	v_mov_b32_dpp v3, v2 row_bcast:31 row_mask:0xf bank_mask:0xf
	s_waitcnt lgkmcnt(0)
	s_and_saveexec_b64 s[18:19], s[2:3]
	s_cbranch_execz .LBB669_13
; %bb.12:
	v_add_f32_e32 v2, v2, v3
	v_lshrrev_b32_e32 v3, 4, v0
	v_and_b32_e32 v3, 60, v3
	ds_write_b32 v3, v2 offset:8
.LBB669_13:
	s_or_b64 exec, exec, s[18:19]
	v_and_b32_e32 v2, 1, v0
	v_lshlrev_b32_e32 v34, 2, v2
	s_waitcnt lgkmcnt(0)
	s_barrier
	ds_read_b32 v2, v34 offset:8
	s_load_dwordx2 s[18:19], s[4:5], 0x18
	s_waitcnt lgkmcnt(0)
	v_mov_b32_dpp v3, v2 quad_perm:[1,0,3,2] row_mask:0xf bank_mask:0xf
	s_and_saveexec_b64 s[30:31], s[0:1]
	s_cbranch_execnz .LBB669_18
; %bb.14:
	s_or_b64 exec, exec, s[30:31]
	s_mov_b64 s[8:9], -1
	s_and_b64 vcc, exec, s[10:11]
	s_cbranch_vccnz .LBB669_19
.LBB669_15:
	s_andn2_b64 vcc, exec, s[8:9]
	s_cbranch_vccz .LBB669_22
.LBB669_16:
	s_cmp_lt_i32 s24, 1
	s_cbranch_scc0 .LBB669_31
.LBB669_17:
	s_endpgm
.LBB669_18:
	v_add_f32_e32 v2, v2, v3
	v_cvt_f32_u32_e32 v3, s7
	s_mov_b32 s7, 0x800000
	s_waitcnt vmcnt(1)
	v_cvt_f32_f16_sdwa v21, v81 dst_sel:DWORD dst_unused:UNUSED_PAD src0_sel:WORD_1
	v_cvt_f32_f16_e32 v20, v81
	v_div_scale_f32 v4, s[36:37], v3, v3, v2
	v_rcp_f32_e32 v5, v4
	s_waitcnt vmcnt(0)
	v_cvt_f32_f16_sdwa v23, v77 dst_sel:DWORD dst_unused:UNUSED_PAD src0_sel:WORD_1
	v_cvt_f32_f16_e32 v22, v77
	v_cvt_f32_f16_sdwa v25, v78 dst_sel:DWORD dst_unused:UNUSED_PAD src0_sel:WORD_1
	v_fma_f32 v6, -v4, v5, 1.0
	v_fmac_f32_e32 v5, v6, v5
	v_div_scale_f32 v6, vcc, v2, v3, v2
	v_mul_f32_e32 v7, v6, v5
	v_fma_f32 v8, -v4, v7, v6
	v_fmac_f32_e32 v7, v8, v5
	v_fma_f32 v4, -v4, v7, v6
	v_div_fmas_f32 v4, v4, v5, v7
	v_div_fixup_f32 v2, v4, v3, v2
	v_mov_b32_e32 v3, s21
	v_mov_b32_e32 v4, s20
	v_cndmask_b32_e64 v3, v3, v4, s[8:9]
	v_add_f32_e32 v2, v3, v2
	v_mul_f32_e32 v3, 0x4b800000, v2
	v_cmp_gt_f32_e32 vcc, s7, v2
	v_cndmask_b32_e32 v2, v2, v3, vcc
	v_rsq_f32_e32 v2, v2
	v_cvt_f32_f16_e32 v24, v78
	v_cvt_f32_f16_sdwa v27, v79 dst_sel:DWORD dst_unused:UNUSED_PAD src0_sel:WORD_1
	v_cvt_f32_f16_e32 v26, v79
	v_mul_f32_e32 v3, 0x45800000, v2
	v_cndmask_b32_e32 v2, v2, v3, vcc
	v_mov_b32_e32 v3, v2
	;;#ASMSTART
	v_pk_mul_f32 v[4:5], v[58:59], v[2:3]
	;;#ASMEND
	;;#ASMSTART
	v_pk_mul_f32 v[6:7], v[28:29], v[2:3]
	;;#ASMEND
	;; [unrolled: 3-line block ×6, first 2 shown]
	v_cvt_f32_f16_sdwa v19, v80 dst_sel:DWORD dst_unused:UNUSED_PAD src0_sel:WORD_1
	v_cvt_f32_f16_e32 v18, v80
	;;#ASMSTART
	v_pk_mul_f32 v[14:15], v[14:15], v[2:3]
	;;#ASMEND
	;;#ASMSTART
	v_pk_mul_f32 v[2:3], v[92:93], v[2:3]
	;;#ASMEND
	;; [unrolled: 3-line block ×4, first 2 shown]
	v_cvt_f32_f16_sdwa v5, v82 dst_sel:DWORD dst_unused:UNUSED_PAD src0_sel:WORD_1
	v_cvt_f32_f16_e32 v4, v82
	v_cvt_f32_f16_sdwa v7, v83 dst_sel:DWORD dst_unused:UNUSED_PAD src0_sel:WORD_1
	v_cvt_f32_f16_e32 v6, v83
	;; [unrolled: 2-line block ×3, first 2 shown]
	;;#ASMSTART
	v_pk_mul_f32 v[46:47], v[8:9], v[4:5]
	;;#ASMEND
	;;#ASMSTART
	v_pk_mul_f32 v[18:19], v[10:11], v[6:7]
	;;#ASMEND
	;; [unrolled: 3-line block ×6, first 2 shown]
	s_or_b64 exec, exec, s[30:31]
	s_mov_b64 s[8:9], -1
	s_and_b64 vcc, exec, s[10:11]
	s_cbranch_vccz .LBB669_15
.LBB669_19:
	s_and_saveexec_b64 s[8:9], s[0:1]
	s_cbranch_execz .LBB669_21
; %bb.20:
	v_cvt_f16_f32_e32 v2, v46
	v_cvt_f16_f32_e32 v3, v18
	;; [unrolled: 1-line block ×4, first 2 shown]
	s_mul_hi_i32 s11, s16, s6
	s_mul_i32 s10, s16, s6
	v_pack_b32_f16 v5, v3, v4
	v_pack_b32_f16 v4, v2, v6
	v_cvt_f16_f32_e32 v2, v28
	v_cvt_f16_f32_e32 v3, v29
	;; [unrolled: 1-line block ×3, first 2 shown]
	s_lshl_b64 s[10:11], s[10:11], 1
	s_add_u32 s36, s18, s10
	v_pack_b32_f16 v3, v2, v3
	v_cvt_f16_f32_e32 v2, v58
	s_addc_u32 s7, s19, s11
	s_and_b32 s37, s7, 0xffff
	s_mov_b32 s39, 0x20000
	v_pack_b32_f16 v2, v2, v6
	v_lshlrev_b32_e32 v6, 5, v0
	buffer_store_dwordx4 v[2:5], v6, s[36:39], 0 offen
	v_cvt_f16_f32_e32 v7, v15
	v_cvt_f16_f32_e32 v2, v14
	;; [unrolled: 1-line block ×4, first 2 shown]
	;;#ASMSTART
	s_nop 0
	;;#ASMEND
	v_pack_b32_f16 v5, v3, v4
	v_pack_b32_f16 v4, v2, v7
	v_cvt_f16_f32_e32 v2, v40
	v_cvt_f16_f32_e32 v3, v41
	;; [unrolled: 1-line block ×3, first 2 shown]
	v_pack_b32_f16 v3, v2, v3
	v_cvt_f16_f32_e32 v2, v68
	v_pack_b32_f16 v2, v2, v7
	buffer_store_dwordx4 v[2:5], v6, s[36:39], 16 offen
	;;#ASMSTART
	s_nop 0
	;;#ASMEND
.LBB669_21:
	s_or_b64 exec, exec, s[8:9]
	s_cbranch_execnz .LBB669_16
.LBB669_22:
	v_mov_b32_e32 v2, 0
	s_and_saveexec_b64 s[8:9], s[0:1]
	s_cbranch_execz .LBB669_24
; %bb.23:
	v_cvt_f16_f32_e32 v2, v46
	v_cvt_f16_f32_e32 v3, v18
	;; [unrolled: 1-line block ×4, first 2 shown]
	s_load_dwordx2 s[10:11], s[4:5], 0x10
	s_mul_hi_i32 s31, s15, s6
	v_pack_b32_f16 v5, v3, v4
	v_pack_b32_f16 v4, v2, v6
	v_cvt_f16_f32_e32 v2, v28
	v_cvt_f16_f32_e32 v3, v29
	;; [unrolled: 1-line block ×3, first 2 shown]
	s_mul_i32 s30, s15, s6
	s_lshl_b64 s[30:31], s[30:31], 1
	v_pack_b32_f16 v3, v2, v3
	v_cvt_f16_f32_e32 v2, v58
	s_waitcnt lgkmcnt(0)
	s_add_u32 s36, s10, s30
	s_addc_u32 s7, s11, s31
	s_and_b32 s37, s7, 0xffff
	v_pack_b32_f16 v2, v2, v6
	s_mov_b32 s39, 0x20000
	v_lshlrev_b32_e32 v6, 5, v0
	buffer_store_dwordx4 v[2:5], v6, s[36:39], 0 offen
	v_cvt_f16_f32_e32 v7, v15
	v_cvt_f16_f32_e32 v2, v14
	;; [unrolled: 1-line block ×4, first 2 shown]
	;;#ASMSTART
	s_nop 0
	;;#ASMEND
	v_pack_b32_f16 v5, v3, v4
	v_pack_b32_f16 v4, v2, v7
	v_cvt_f16_f32_e32 v2, v40
	v_cvt_f16_f32_e32 v3, v41
	;; [unrolled: 1-line block ×3, first 2 shown]
	v_pack_b32_f16 v3, v2, v3
	v_cvt_f16_f32_e32 v2, v68
	v_pack_b32_f16 v2, v2, v7
	buffer_store_dwordx4 v[2:5], v6, s[36:39], 16 offen
	;;#ASMSTART
	s_nop 0
	;;#ASMEND
	s_nop 0
	v_mov_b32_e32 v2, 0x2edbe6ff
.LBB669_24:
	s_or_b64 exec, exec, s[8:9]
	s_and_saveexec_b64 s[8:9], s[0:1]
	s_cbranch_execz .LBB669_26
; %bb.25:
	v_and_b32_e32 v3, 0x7fffffff, v58
	v_and_b32_e32 v4, 0x7fffffff, v59
	;;#ASMSTART
	v_max3_f32 v2, v2, v3, v4

	;;#ASMEND
	v_and_b32_e32 v3, 0x7fffffff, v28
	v_and_b32_e32 v4, 0x7fffffff, v29
	;;#ASMSTART
	v_max3_f32 v2, v2, v3, v4

	;;#ASMEND
	;; [unrolled: 6-line block ×8, first 2 shown]
.LBB669_26:
	s_or_b64 exec, exec, s[8:9]
	;;#ASMSTART
	v_max_f32 v3, v2, v2 quad_perm:[1,0,3,2] row_mask:0xf bank_mask:0xf bound_ctrl:1
	;;#ASMEND
	;;#ASMSTART
	v_max_f32 v2, v3, v3 quad_perm:[2,3,0,1] row_mask:0xf bank_mask:0xf bound_ctrl:1
	;;#ASMEND
	v_and_b32_e32 v3, 3, v0
	v_cmp_eq_u32_e32 vcc, 0, v3
	v_cmp_gt_i32_e64 s[8:9], s23, v1
	v_mul_f32_e32 v2, 0x3b124925, v2
	s_and_b64 s[10:11], vcc, s[8:9]
	s_and_saveexec_b64 s[8:9], s[10:11]
	s_cbranch_execz .LBB669_28
; %bb.27:
	s_load_dwordx2 s[10:11], s[4:5], 0x8
	v_lshrrev_b32_e32 v3, 2, v0
	s_mul_hi_i32 s31, s13, s6
	s_mul_i32 s30, s13, s6
	v_mad_i64_i32 v[4:5], s[14:15], s14, v3, 0
	s_lshl_b64 s[14:15], s[30:31], 2
	s_waitcnt lgkmcnt(0)
	s_add_u32 s7, s10, s14
	s_addc_u32 s10, s11, s15
	v_lshlrev_b64 v[4:5], 2, v[4:5]
	v_mov_b32_e32 v3, s10
	v_add_co_u32_e32 v4, vcc, s7, v4
	v_addc_co_u32_e32 v5, vcc, v3, v5, vcc
	global_store_dword v[4:5], v2, off
.LBB669_28:
	s_or_b64 exec, exec, s[8:9]
	;;#ASMSTART
	v_rcp_f32 v2, v2
	;;#ASMEND
	s_and_saveexec_b64 s[14:15], s[0:1]
	s_cbranch_execz .LBB669_30
; %bb.29:
	v_mov_b32_e32 v3, v2
	;;#ASMSTART
	v_pk_mul_f32 v[4:5], v[58:59], v[2:3]
	;;#ASMEND
	v_mov_b32_e32 v10, 0xc3e00000
	v_mov_b32_e32 v11, 0x43e00000
	;;#ASMSTART
	v_med3_f32 v4, v4, v10, v11
v_med3_f32 v5, v5, v10, v11
v_cvt_pk_fp8_f32 v6, v4, v5
	;;#ASMEND
	;;#ASMSTART
	v_pk_mul_f32 v[4:5], v[28:29], v[2:3]
	;;#ASMEND
	;;#ASMSTART
	v_med3_f32 v4, v4, v10, v11
v_med3_f32 v5, v5, v10, v11
v_cvt_pk_fp8_f32 v7, v4, v5
	;;#ASMEND
	;;#ASMSTART
	v_pk_mul_f32 v[4:5], v[46:47], v[2:3]
	;;#ASMEND
	;; [unrolled: 8-line block ×3, first 2 shown]
	;;#ASMSTART
	v_med3_f32 v4, v4, v10, v11
v_med3_f32 v5, v5, v10, v11
v_cvt_pk_fp8_f32 v9, v4, v5
	;;#ASMEND
	s_mov_b32 s0, 0x5040100
	v_perm_b32 v4, v7, v6, s0
	s_mov_b32 s0, 0x1060504
	v_perm_b32 v4, v4, v7, s0
	s_load_dwordx2 s[0:1], s[4:5], 0x0
	s_mov_b32 s7, 0x1000504
	;;#ASMSTART
	v_pk_mul_f32 v[6:7], v[68:69], v[2:3]
	;;#ASMEND
	v_perm_b32 v5, v8, v9, s7
	s_mul_i32 s8, s12, s6
	;;#ASMSTART
	v_med3_f32 v6, v6, v10, v11
v_med3_f32 v7, v7, v10, v11
v_cvt_pk_fp8_f32 v8, v6, v7
	;;#ASMEND
	s_mul_hi_i32 s9, s12, s6
	s_waitcnt lgkmcnt(0)
	s_add_u32 s8, s0, s8
	;;#ASMSTART
	v_pk_mul_f32 v[6:7], v[40:41], v[2:3]
	;;#ASMEND
	s_addc_u32 s0, s1, s9
	s_add_i32 s1, s23, 3
	;;#ASMSTART
	v_med3_f32 v6, v6, v10, v11
v_med3_f32 v7, v7, v10, v11
v_cvt_pk_fp8_f32 v9, v6, v7
	;;#ASMEND
	s_ashr_i32 s9, s1, 31
	v_perm_b32 v6, v8, v9, s7
	;;#ASMSTART
	v_pk_mul_f32 v[8:9], v[14:15], v[2:3]
	;;#ASMEND
	v_mov_b32_e32 v7, v9
	s_lshr_b32 s9, s9, 30
	;;#ASMSTART
	v_med3_f32 v8, v8, v10, v11
v_med3_f32 v7, v7, v10, v11
v_cvt_pk_fp8_f32 v9, v8, v7
	;;#ASMEND
	;;#ASMSTART
	v_pk_mul_f32 v[2:3], v[92:93], v[2:3]
	;;#ASMEND
	s_add_i32 s1, s1, s9
	;;#ASMSTART
	v_med3_f32 v2, v2, v10, v11
v_med3_f32 v3, v3, v10, v11
v_cvt_pk_fp8_f32 v7, v2, v3
	;;#ASMEND
	s_and_b32 s10, s1, -4
	s_and_b32 s9, s0, 0xffff
	s_mov_b32 s11, 0x20000
	v_perm_b32 v7, v9, v7, s7
	buffer_store_dwordx4 v[4:7], v1, s[8:11], 0 offen
	;;#ASMSTART
	s_nop 0
	;;#ASMEND
.LBB669_30:
	s_or_b64 exec, exec, s[14:15]
	s_cmp_lt_i32 s24, 1
	s_cbranch_scc1 .LBB669_17
.LBB669_31:
	s_load_dword s0, s[4:5], 0x94
	s_waitcnt lgkmcnt(0)
	s_cmp_lg_u32 s0, 1
	s_cbranch_scc1 .LBB669_17
; %bb.32:
	s_lshl_b32 s0, s24, 1
	s_add_i32 s0, s0, 2
	v_cmp_gt_u32_e32 vcc, s24, v1
	s_and_b32 s30, s0, -4
	v_mov_b32_e32 v18, 0
	v_lshlrev_b32_e32 v1, 5, v0
	v_mov_b32_e32 v14, 0
	v_mov_b32_e32 v15, 0
	;; [unrolled: 1-line block ×16, first 2 shown]
	s_barrier
	s_and_saveexec_b64 s[0:1], vcc
	s_cbranch_execz .LBB669_34
; %bb.33:
	s_mul_hi_i32 s5, s26, s6
	s_mul_i32 s4, s26, s6
	s_and_b32 s29, s29, 0xffff
	s_lshl_b64 s[4:5], s[4:5], 1
	s_add_u32 s8, s34, s4
	s_mov_b32 s31, 0x20000
	s_addc_u32 s4, s35, s5
	s_and_b32 s9, s4, 0xffff
	s_mov_b32 s10, s30
	s_mov_b32 s11, s31
	buffer_load_dwordx4 v[14:17], v1, s[8:11], 0 offen
	buffer_load_dwordx4 v[10:13], v1, s[8:11], 16 offen
	;; [unrolled: 1-line block ×4, first 2 shown]
.LBB669_34:
	s_or_b64 exec, exec, s[0:1]
	v_mov_b32_e32 v19, 0
	v_mov_b32_e32 v32, 0
	;; [unrolled: 1-line block ×15, first 2 shown]
	s_and_saveexec_b64 s[0:1], vcc
	s_cbranch_execz .LBB669_36
; %bb.35:
	s_waitcnt vmcnt(3)
	v_cvt_f32_f16_sdwa v19, v14 dst_sel:DWORD dst_unused:UNUSED_PAD src0_sel:WORD_1
	v_cvt_f32_f16_e32 v18, v14
	v_cvt_f32_f16_sdwa v33, v15 dst_sel:DWORD dst_unused:UNUSED_PAD src0_sel:WORD_1
	v_cvt_f32_f16_e32 v32, v15
	;; [unrolled: 2-line block ×4, first 2 shown]
	s_waitcnt vmcnt(2)
	v_cvt_f32_f16_sdwa v27, v10 dst_sel:DWORD dst_unused:UNUSED_PAD src0_sel:WORD_1
	v_cvt_f32_f16_e32 v26, v10
	v_cvt_f32_f16_sdwa v25, v11 dst_sel:DWORD dst_unused:UNUSED_PAD src0_sel:WORD_1
	v_cvt_f32_f16_e32 v24, v11
	;; [unrolled: 2-line block ×4, first 2 shown]
.LBB669_36:
	s_or_b64 exec, exec, s[0:1]
	s_waitcnt vmcnt(2)
	v_mul_f32_e32 v10, v19, v19
	v_fmac_f32_e32 v10, v18, v18
	v_fmac_f32_e32 v10, v32, v32
	;; [unrolled: 1-line block ×15, first 2 shown]
	s_nop 1
	v_mov_b32_dpp v11, v10 quad_perm:[1,0,3,2] row_mask:0xf bank_mask:0xf
	v_add_f32_e32 v10, v10, v11
	s_nop 1
	v_mov_b32_dpp v11, v10 quad_perm:[2,3,0,1] row_mask:0xf bank_mask:0xf
	v_add_f32_e32 v10, v10, v11
	s_nop 1
	v_mov_b32_dpp v11, v10 row_half_mirror row_mask:0xf bank_mask:0xf
	v_add_f32_e32 v10, v10, v11
	s_nop 1
	v_mov_b32_dpp v11, v10 row_mirror row_mask:0xf bank_mask:0xf
	v_add_f32_e32 v10, v10, v11
	s_nop 1
	v_mov_b32_dpp v11, v10 row_bcast:15 row_mask:0xf bank_mask:0xf
	v_add_f32_e32 v10, v10, v11
	s_nop 1
	v_mov_b32_dpp v11, v10 row_bcast:31 row_mask:0xf bank_mask:0xf
	s_and_saveexec_b64 s[0:1], s[2:3]
	s_cbranch_execz .LBB669_38
; %bb.37:
	v_lshrrev_b32_e32 v0, 4, v0
	v_add_f32_e32 v10, v10, v11
	v_and_b32_e32 v0, 60, v0
	ds_write_b32 v0, v10
.LBB669_38:
	s_or_b64 exec, exec, s[0:1]
	s_waitcnt lgkmcnt(0)
	s_barrier
	ds_read_b32 v0, v34
	s_waitcnt lgkmcnt(0)
	s_nop 0
	v_mov_b32_dpp v10, v0 quad_perm:[1,0,3,2] row_mask:0xf bank_mask:0xf
	s_and_saveexec_b64 s[0:1], vcc
	s_cbranch_execz .LBB669_17
; %bb.39:
	v_cvt_f32_u32_e32 v11, s24
	v_add_f32_e32 v0, v0, v10
	s_mov_b32 s31, 0x20000
	v_div_scale_f32 v10, s[0:1], v11, v11, v0
	v_rcp_f32_e32 v12, v10
	v_div_scale_f32 v13, vcc, v0, v11, v0
	s_mov_b32 s0, 0x800000
	v_fma_f32 v14, -v10, v12, 1.0
	v_fmac_f32_e32 v12, v14, v12
	v_mul_f32_e32 v14, v13, v12
	v_fma_f32 v15, -v10, v14, v13
	v_fmac_f32_e32 v14, v15, v12
	v_fma_f32 v10, -v10, v14, v13
	v_div_fmas_f32 v10, v10, v12, v14
	v_div_fixup_f32 v0, v10, v11, v0
	v_add_f32_e32 v0, s21, v0
	v_mul_f32_e32 v10, 0x4b800000, v0
	v_cmp_gt_f32_e32 vcc, s0, v0
	v_cndmask_b32_e32 v0, v0, v10, vcc
	v_rsq_f32_e32 v0, v0
	s_mul_hi_i32 s1, s16, s6
	s_mul_i32 s0, s16, s6
	s_lshl_b64 s[0:1], s[0:1], 1
	v_mul_f32_e32 v10, 0x45800000, v0
	v_cndmask_b32_e32 v10, v0, v10, vcc
	v_mov_b32_e32 v11, v10
	;;#ASMSTART
	v_pk_mul_f32 v[12:13], v[18:19], v[10:11]
	;;#ASMEND
	;;#ASMSTART
	v_pk_mul_f32 v[14:15], v[32:33], v[10:11]
	;;#ASMEND
	;; [unrolled: 3-line block ×8, first 2 shown]
	s_waitcnt vmcnt(1)
	v_cvt_f32_f16_sdwa v21, v6 dst_sel:DWORD dst_unused:UNUSED_PAD src0_sel:WORD_1
	v_cvt_f32_f16_e32 v20, v6
	v_cvt_f32_f16_sdwa v29, v7 dst_sel:DWORD dst_unused:UNUSED_PAD src0_sel:WORD_1
	v_cvt_f32_f16_e32 v28, v7
	;; [unrolled: 2-line block ×4, first 2 shown]
	;;#ASMSTART
	v_pk_mul_f32 v[8:9], v[12:13], v[20:21]
	;;#ASMEND
	;;#ASMSTART
	v_pk_mul_f32 v[12:13], v[14:15], v[28:29]
	;;#ASMEND
	;;#ASMSTART
	v_pk_mul_f32 v[6:7], v[16:17], v[6:7]
	;;#ASMEND
	;;#ASMSTART
	v_pk_mul_f32 v[14:15], v[18:19], v[30:31]
	;;#ASMEND
	s_waitcnt vmcnt(0)
	v_cvt_f32_f16_sdwa v17, v2 dst_sel:DWORD dst_unused:UNUSED_PAD src0_sel:WORD_1
	v_cvt_f32_f16_e32 v16, v2
	v_cvt_f32_f16_sdwa v19, v3 dst_sel:DWORD dst_unused:UNUSED_PAD src0_sel:WORD_1
	v_cvt_f32_f16_e32 v18, v3
	;; [unrolled: 2-line block ×4, first 2 shown]
	;;#ASMSTART
	v_pk_mul_f32 v[16:17], v[26:27], v[16:17]
	;;#ASMEND
	;;#ASMSTART
	v_pk_mul_f32 v[18:19], v[24:25], v[18:19]
	;;#ASMEND
	;; [unrolled: 3-line block ×3, first 2 shown]
	v_cvt_f16_f32_e32 v0, v8
	v_cvt_f16_f32_e32 v2, v9
	;; [unrolled: 1-line block ×8, first 2 shown]
	s_add_u32 s28, s18, s0
	s_addc_u32 s0, s19, s1
	s_and_b32 s29, s0, 0xffff
	v_pack_b32_f16 v2, v0, v2
	v_pack_b32_f16 v3, v3, v4
	;; [unrolled: 1-line block ×4, first 2 shown]
	;;#ASMSTART
	v_pk_mul_f32 v[10:11], v[10:11], v[20:21]
	;;#ASMEND
	buffer_store_dwordx4 v[2:5], v1, s[28:31], 0 offen
	v_cvt_f16_f32_e32 v0, v16
	v_cvt_f16_f32_e32 v2, v17
	v_cvt_f16_f32_e32 v3, v18
	v_cvt_f16_f32_e32 v4, v19
	v_cvt_f16_f32_e32 v5, v22
	v_cvt_f16_f32_e32 v6, v23
	v_cvt_f16_f32_e32 v7, v10
	v_cvt_f16_f32_e32 v8, v11
	v_pack_b32_f16 v2, v0, v2
	v_pack_b32_f16 v3, v3, v4
	v_pack_b32_f16 v4, v5, v6
	v_pack_b32_f16 v5, v7, v8
	;;#ASMSTART
	s_nop 0
	;;#ASMEND
	buffer_store_dwordx4 v[2:5], v1, s[28:31], 16 offen
	;;#ASMSTART
	s_nop 0
	;;#ASMEND
	s_endpgm
	.section	.rodata,"a",@progbits
	.p2align	6, 0x0
	.amdhsa_kernel _ZN5aiter35fused_qk_rmsnorm_group_quant_kernelIDF16_DB8_Li128ELi16ELi4ELb1ELb1ELb0ELb0ELb0ELb0EEEvPT0_PvPT_S6_S6_PKS5_S8_S8_S8_S8_ffiiiiiiiiiiiii
		.amdhsa_group_segment_fixed_size 16
		.amdhsa_private_segment_fixed_size 0
		.amdhsa_kernarg_size 400
		.amdhsa_user_sgpr_count 6
		.amdhsa_user_sgpr_private_segment_buffer 1
		.amdhsa_user_sgpr_dispatch_ptr 0
		.amdhsa_user_sgpr_queue_ptr 0
		.amdhsa_user_sgpr_kernarg_segment_ptr 1
		.amdhsa_user_sgpr_dispatch_id 0
		.amdhsa_user_sgpr_flat_scratch_init 0
		.amdhsa_user_sgpr_kernarg_preload_length 0
		.amdhsa_user_sgpr_kernarg_preload_offset 0
		.amdhsa_user_sgpr_private_segment_size 0
		.amdhsa_uses_dynamic_stack 0
		.amdhsa_system_sgpr_private_segment_wavefront_offset 0
		.amdhsa_system_sgpr_workgroup_id_x 1
		.amdhsa_system_sgpr_workgroup_id_y 1
		.amdhsa_system_sgpr_workgroup_id_z 0
		.amdhsa_system_sgpr_workgroup_info 0
		.amdhsa_system_vgpr_workitem_id 0
		.amdhsa_next_free_vgpr 94
		.amdhsa_next_free_sgpr 44
		.amdhsa_accum_offset 96
		.amdhsa_reserve_vcc 1
		.amdhsa_reserve_flat_scratch 0
		.amdhsa_float_round_mode_32 0
		.amdhsa_float_round_mode_16_64 0
		.amdhsa_float_denorm_mode_32 3
		.amdhsa_float_denorm_mode_16_64 3
		.amdhsa_dx10_clamp 1
		.amdhsa_ieee_mode 1
		.amdhsa_fp16_overflow 0
		.amdhsa_tg_split 0
		.amdhsa_exception_fp_ieee_invalid_op 0
		.amdhsa_exception_fp_denorm_src 0
		.amdhsa_exception_fp_ieee_div_zero 0
		.amdhsa_exception_fp_ieee_overflow 0
		.amdhsa_exception_fp_ieee_underflow 0
		.amdhsa_exception_fp_ieee_inexact 0
		.amdhsa_exception_int_div_zero 0
	.end_amdhsa_kernel
	.section	.text._ZN5aiter35fused_qk_rmsnorm_group_quant_kernelIDF16_DB8_Li128ELi16ELi4ELb1ELb1ELb0ELb0ELb0ELb0EEEvPT0_PvPT_S6_S6_PKS5_S8_S8_S8_S8_ffiiiiiiiiiiiii,"axG",@progbits,_ZN5aiter35fused_qk_rmsnorm_group_quant_kernelIDF16_DB8_Li128ELi16ELi4ELb1ELb1ELb0ELb0ELb0ELb0EEEvPT0_PvPT_S6_S6_PKS5_S8_S8_S8_S8_ffiiiiiiiiiiiii,comdat
.Lfunc_end669:
	.size	_ZN5aiter35fused_qk_rmsnorm_group_quant_kernelIDF16_DB8_Li128ELi16ELi4ELb1ELb1ELb0ELb0ELb0ELb0EEEvPT0_PvPT_S6_S6_PKS5_S8_S8_S8_S8_ffiiiiiiiiiiiii, .Lfunc_end669-_ZN5aiter35fused_qk_rmsnorm_group_quant_kernelIDF16_DB8_Li128ELi16ELi4ELb1ELb1ELb0ELb0ELb0ELb0EEEvPT0_PvPT_S6_S6_PKS5_S8_S8_S8_S8_ffiiiiiiiiiiiii
                                        ; -- End function
	.section	.AMDGPU.csdata,"",@progbits
; Kernel info:
; codeLenInByte = 4232
; NumSgprs: 48
; NumVgprs: 94
; NumAgprs: 0
; TotalNumVgprs: 94
; ScratchSize: 0
; MemoryBound: 0
; FloatMode: 240
; IeeeMode: 1
; LDSByteSize: 16 bytes/workgroup (compile time only)
; SGPRBlocks: 5
; VGPRBlocks: 11
; NumSGPRsForWavesPerEU: 48
; NumVGPRsForWavesPerEU: 94
; AccumOffset: 96
; Occupancy: 5
; WaveLimiterHint : 0
; COMPUTE_PGM_RSRC2:SCRATCH_EN: 0
; COMPUTE_PGM_RSRC2:USER_SGPR: 6
; COMPUTE_PGM_RSRC2:TRAP_HANDLER: 0
; COMPUTE_PGM_RSRC2:TGID_X_EN: 1
; COMPUTE_PGM_RSRC2:TGID_Y_EN: 1
; COMPUTE_PGM_RSRC2:TGID_Z_EN: 0
; COMPUTE_PGM_RSRC2:TIDIG_COMP_CNT: 0
; COMPUTE_PGM_RSRC3_GFX90A:ACCUM_OFFSET: 23
; COMPUTE_PGM_RSRC3_GFX90A:TG_SPLIT: 0
	.section	.text._ZN5aiter35fused_qk_rmsnorm_group_quant_kernelItDB8_Li128ELi16ELi4ELb1ELb1ELb0ELb0ELb0ELb0EEEvPT0_PvPT_S6_S6_PKS5_S8_S8_S8_S8_ffiiiiiiiiiiiii,"axG",@progbits,_ZN5aiter35fused_qk_rmsnorm_group_quant_kernelItDB8_Li128ELi16ELi4ELb1ELb1ELb0ELb0ELb0ELb0EEEvPT0_PvPT_S6_S6_PKS5_S8_S8_S8_S8_ffiiiiiiiiiiiii,comdat
	.protected	_ZN5aiter35fused_qk_rmsnorm_group_quant_kernelItDB8_Li128ELi16ELi4ELb1ELb1ELb0ELb0ELb0ELb0EEEvPT0_PvPT_S6_S6_PKS5_S8_S8_S8_S8_ffiiiiiiiiiiiii ; -- Begin function _ZN5aiter35fused_qk_rmsnorm_group_quant_kernelItDB8_Li128ELi16ELi4ELb1ELb1ELb0ELb0ELb0ELb0EEEvPT0_PvPT_S6_S6_PKS5_S8_S8_S8_S8_ffiiiiiiiiiiiii
	.globl	_ZN5aiter35fused_qk_rmsnorm_group_quant_kernelItDB8_Li128ELi16ELi4ELb1ELb1ELb0ELb0ELb0ELb0EEEvPT0_PvPT_S6_S6_PKS5_S8_S8_S8_S8_ffiiiiiiiiiiiii
	.p2align	8
	.type	_ZN5aiter35fused_qk_rmsnorm_group_quant_kernelItDB8_Li128ELi16ELi4ELb1ELb1ELb0ELb0ELb0ELb0EEEvPT0_PvPT_S6_S6_PKS5_S8_S8_S8_S8_ffiiiiiiiiiiiii,@function
_ZN5aiter35fused_qk_rmsnorm_group_quant_kernelItDB8_Li128ELi16ELi4ELb1ELb1ELb0ELb0ELb0ELb0EEEvPT0_PvPT_S6_S6_PKS5_S8_S8_S8_S8_ffiiiiiiiiiiiii: ; @_ZN5aiter35fused_qk_rmsnorm_group_quant_kernelItDB8_Li128ELi16ELi4ELb1ELb1ELb0ELb0ELb0ELb0EEEvPT0_PvPT_S6_S6_PKS5_S8_S8_S8_S8_ffiiiiiiiiiiiii
; %bb.0:
	s_load_dwordx8 s[20:27], s[4:5], 0x50
	s_waitcnt lgkmcnt(0)
	s_cmp_ge_i32 s6, s22
	s_cbranch_scc1 .LBB670_17
; %bb.1:
	s_cmp_lg_u32 s7, 0
	s_cselect_b64 s[10:11], -1, 0
	s_cmp_eq_u32 s7, 0
	s_cselect_b64 s[8:9], -1, 0
	s_and_b64 s[0:1], s[8:9], exec
	s_load_dwordx2 s[28:29], s[4:5], 0x48
	s_load_dwordx2 s[34:35], s[4:5], 0x30
	s_load_dwordx8 s[12:19], s[4:5], 0x70
	s_cselect_b32 s7, s23, s24
	s_add_i32 s0, s7, 1
	s_lshr_b32 s1, s0, 31
	s_add_i32 s0, s0, s1
	s_lshl_b32 s0, s0, 1
	v_lshlrev_b32_e32 v1, 4, v0
	s_and_b32 s38, s0, -4
	v_cmp_gt_i32_e64 s[0:1], s7, v1
	v_mov_b32_e32 v82, 0
	v_mov_b32_e32 v83, 0
	;; [unrolled: 1-line block ×16, first 2 shown]
	s_and_saveexec_b64 s[2:3], s[0:1]
	s_cbranch_execz .LBB670_3
; %bb.2:
	s_waitcnt lgkmcnt(0)
	s_load_dwordx2 s[18:19], s[4:5], 0x28
	s_load_dwordx2 s[30:31], s[4:5], 0x40
	s_and_b64 s[36:37], s[8:9], exec
	s_cselect_b32 s22, s25, s26
	s_mov_b32 s39, 0x20000
	s_waitcnt lgkmcnt(0)
	s_cselect_b32 s25, s19, s35
	s_cselect_b32 s33, s18, s34
	s_mul_hi_i32 s19, s22, s6
	s_mul_i32 s18, s22, s6
	s_lshl_b64 s[18:19], s[18:19], 1
	s_add_u32 s40, s33, s18
	s_addc_u32 s22, s25, s19
	s_and_b64 s[18:19], s[8:9], exec
	s_cselect_b32 s36, s30, s28
	s_cselect_b32 s18, s31, s29
	s_and_b32 s41, s22, 0xffff
	s_mov_b32 s42, s38
	s_mov_b32 s43, s39
	v_lshlrev_b32_e32 v2, 5, v0
	s_and_b32 s37, s18, 0xffff
	buffer_load_dwordx4 v[86:89], v2, s[40:43], 0 offen
	buffer_load_dwordx4 v[90:93], v2, s[40:43], 16 offen
	;; [unrolled: 1-line block ×4, first 2 shown]
.LBB670_3:
	s_or_b64 exec, exec, s[2:3]
	s_and_b64 vcc, exec, s[10:11]
	s_cbranch_vccz .LBB670_7
; %bb.4:
	v_mov_b32_e32 v95, 0
	v_mov_b32_e32 v94, 0
	;; [unrolled: 1-line block ×16, first 2 shown]
	s_and_saveexec_b64 s[2:3], s[0:1]
	s_cbranch_execz .LBB670_6
; %bb.5:
	s_waitcnt vmcnt(3)
	v_cvt_f32_u32_sdwa v62, v86 dst_sel:DWORD dst_unused:UNUSED_PAD src0_sel:WORD_0
	v_cvt_f32_u32_sdwa v63, v86 dst_sel:DWORD dst_unused:UNUSED_PAD src0_sel:WORD_1
	v_cvt_f32_u32_sdwa v24, v87 dst_sel:DWORD dst_unused:UNUSED_PAD src0_sel:WORD_0
	v_cvt_f32_u32_sdwa v25, v87 dst_sel:DWORD dst_unused:UNUSED_PAD src0_sel:WORD_1
	;; [unrolled: 2-line block ×4, first 2 shown]
	s_waitcnt vmcnt(2)
	v_cvt_f32_u32_sdwa v42, v90 dst_sel:DWORD dst_unused:UNUSED_PAD src0_sel:WORD_0
	v_cvt_f32_u32_sdwa v43, v90 dst_sel:DWORD dst_unused:UNUSED_PAD src0_sel:WORD_1
	v_cvt_f32_u32_sdwa v18, v91 dst_sel:DWORD dst_unused:UNUSED_PAD src0_sel:WORD_0
	v_cvt_f32_u32_sdwa v19, v91 dst_sel:DWORD dst_unused:UNUSED_PAD src0_sel:WORD_1
	;; [unrolled: 2-line block ×4, first 2 shown]
.LBB670_6:
	s_or_b64 exec, exec, s[2:3]
	s_cbranch_execz .LBB670_8
	s_branch .LBB670_11
.LBB670_7:
                                        ; implicit-def: $vgpr22_vgpr23_vgpr24_vgpr25_vgpr26_vgpr27_vgpr28_vgpr29_vgpr30_vgpr31_vgpr32_vgpr33_vgpr34_vgpr35_vgpr36_vgpr37
                                        ; implicit-def: $vgpr46_vgpr47_vgpr48_vgpr49_vgpr50_vgpr51_vgpr52_vgpr53_vgpr54_vgpr55_vgpr56_vgpr57_vgpr58_vgpr59_vgpr60_vgpr61
                                        ; implicit-def: $vgpr26_vgpr27_vgpr28_vgpr29_vgpr30_vgpr31_vgpr32_vgpr33_vgpr34_vgpr35_vgpr36_vgpr37_vgpr38_vgpr39_vgpr40_vgpr41
                                        ; implicit-def: $vgpr8_vgpr9_vgpr10_vgpr11_vgpr12_vgpr13_vgpr14_vgpr15_vgpr16_vgpr17_vgpr18_vgpr19_vgpr20_vgpr21_vgpr22_vgpr23
                                        ; implicit-def: $vgpr95
                                        ; implicit-def: $vgpr62_vgpr63_vgpr64_vgpr65_vgpr66_vgpr67_vgpr68_vgpr69_vgpr70_vgpr71_vgpr72_vgpr73_vgpr74_vgpr75_vgpr76_vgpr77
                                        ; implicit-def: $vgpr34_vgpr35_vgpr36_vgpr37_vgpr38_vgpr39_vgpr40_vgpr41_vgpr42_vgpr43_vgpr44_vgpr45_vgpr46_vgpr47_vgpr48_vgpr49
                                        ; implicit-def: $vgpr2_vgpr3_vgpr4_vgpr5_vgpr6_vgpr7_vgpr8_vgpr9_vgpr10_vgpr11_vgpr12_vgpr13_vgpr14_vgpr15_vgpr16_vgpr17
.LBB670_8:
	v_mov_b32_e32 v95, 0
	v_mov_b32_e32 v94, 0
	;; [unrolled: 1-line block ×16, first 2 shown]
	s_and_saveexec_b64 s[2:3], s[0:1]
	s_cbranch_execz .LBB670_10
; %bb.9:
	s_waitcnt lgkmcnt(0)
	s_load_dwordx2 s[18:19], s[4:5], 0x38
	s_mul_hi_i32 s31, s27, s6
	s_mul_i32 s30, s27, s6
	s_lshl_b64 s[30:31], s[30:31], 1
	s_mov_b32 s39, 0x20000
	s_waitcnt lgkmcnt(0)
	s_add_u32 s36, s18, s30
	s_addc_u32 s18, s19, s31
	s_and_b32 s37, s18, 0xffff
	v_lshlrev_b32_e32 v38, 5, v0
	buffer_load_dwordx4 v[4:7], v38, s[36:39], 16 offen
	buffer_load_dwordx4 v[8:11], v38, s[36:39], 0 offen
	s_load_dwordx2 s[18:19], s[4:5], 0x20
	s_waitcnt vmcnt(5)
	v_cvt_f32_u32_sdwa v19, v86 dst_sel:DWORD dst_unused:UNUSED_PAD src0_sel:WORD_1
	v_cvt_f32_u32_sdwa v18, v86 dst_sel:DWORD dst_unused:UNUSED_PAD src0_sel:WORD_0
	v_cvt_f32_u32_sdwa v21, v87 dst_sel:DWORD dst_unused:UNUSED_PAD src0_sel:WORD_1
	v_cvt_f32_u32_sdwa v20, v87 dst_sel:DWORD dst_unused:UNUSED_PAD src0_sel:WORD_0
	;; [unrolled: 2-line block ×4, first 2 shown]
	s_waitcnt vmcnt(4)
	v_cvt_f32_u32_sdwa v3, v90 dst_sel:DWORD dst_unused:UNUSED_PAD src0_sel:WORD_1
	v_cvt_f32_u32_sdwa v2, v90 dst_sel:DWORD dst_unused:UNUSED_PAD src0_sel:WORD_0
	v_cvt_f32_u32_sdwa v13, v91 dst_sel:DWORD dst_unused:UNUSED_PAD src0_sel:WORD_1
	v_cvt_f32_u32_sdwa v12, v91 dst_sel:DWORD dst_unused:UNUSED_PAD src0_sel:WORD_0
	v_cvt_f32_u32_sdwa v15, v92 dst_sel:DWORD dst_unused:UNUSED_PAD src0_sel:WORD_1
	v_cvt_f32_u32_sdwa v14, v92 dst_sel:DWORD dst_unused:UNUSED_PAD src0_sel:WORD_0
	v_cvt_f32_u32_sdwa v16, v93 dst_sel:DWORD dst_unused:UNUSED_PAD src0_sel:WORD_0
	v_cvt_f32_u32_sdwa v17, v93 dst_sel:DWORD dst_unused:UNUSED_PAD src0_sel:WORD_1
	s_mul_hi_i32 s31, s17, s6
	s_mul_i32 s30, s17, s6
	s_lshl_b64 s[30:31], s[30:31], 1
	s_waitcnt lgkmcnt(0)
	s_add_u32 s36, s18, s30
	s_mov_b32 s17, 0x7060302
	s_addc_u32 s18, s19, s31
	s_and_b32 s37, s18, 0xffff
	s_waitcnt vmcnt(1)
	v_cvt_f32_u32_sdwa v27, v4 dst_sel:DWORD dst_unused:UNUSED_PAD src0_sel:WORD_1
	v_cvt_f32_u32_sdwa v26, v4 dst_sel:DWORD dst_unused:UNUSED_PAD src0_sel:WORD_0
	v_cvt_f32_u32_sdwa v29, v5 dst_sel:DWORD dst_unused:UNUSED_PAD src0_sel:WORD_1
	v_cvt_f32_u32_sdwa v28, v5 dst_sel:DWORD dst_unused:UNUSED_PAD src0_sel:WORD_0
	;; [unrolled: 2-line block ×3, first 2 shown]
	v_cvt_f32_u32_sdwa v34, v7 dst_sel:DWORD dst_unused:UNUSED_PAD src0_sel:WORD_0
	v_cvt_f32_u32_sdwa v35, v7 dst_sel:DWORD dst_unused:UNUSED_PAD src0_sel:WORD_1
	s_waitcnt vmcnt(0)
	v_cvt_f32_u32_sdwa v37, v8 dst_sel:DWORD dst_unused:UNUSED_PAD src0_sel:WORD_1
	v_cvt_f32_u32_sdwa v36, v8 dst_sel:DWORD dst_unused:UNUSED_PAD src0_sel:WORD_0
	v_cvt_f32_u32_sdwa v5, v10 dst_sel:DWORD dst_unused:UNUSED_PAD src0_sel:WORD_1
	v_cvt_f32_u32_sdwa v4, v10 dst_sel:DWORD dst_unused:UNUSED_PAD src0_sel:WORD_0
	;; [unrolled: 2-line block ×4, first 2 shown]
	v_pk_add_f32 v[50:51], v[22:23], v[4:5]
	v_pk_add_f32 v[32:33], v[24:25], v[6:7]
	;; [unrolled: 1-line block ×4, first 2 shown]
	v_perm_b32 v7, v33, v32, s17
	v_perm_b32 v6, v51, v50, s17
	;; [unrolled: 1-line block ×4, first 2 shown]
	v_pk_add_f32 v[94:95], v[16:17], v[34:35]
	v_pk_add_f32 v[14:15], v[14:15], v[30:31]
	;; [unrolled: 1-line block ×4, first 2 shown]
	buffer_store_dwordx4 v[4:7], v38, s[36:39], 0 offen
	;;#ASMSTART
	s_nop 0
	;;#ASMEND
	s_nop 0
	v_perm_b32 v7, v95, v94, s17
	v_perm_b32 v6, v15, v14, s17
	;; [unrolled: 1-line block ×4, first 2 shown]
	buffer_store_dwordx4 v[4:7], v38, s[36:39], 16 offen
	;;#ASMSTART
	s_nop 0
	;;#ASMEND
.LBB670_10:
	s_or_b64 exec, exec, s[2:3]
.LBB670_11:
	v_mul_f32_e32 v2, v63, v63
	v_fmac_f32_e32 v2, v62, v62
	v_fmac_f32_e32 v2, v24, v24
	;; [unrolled: 1-line block ×15, first 2 shown]
	s_nop 1
	v_mov_b32_dpp v3, v2 quad_perm:[1,0,3,2] row_mask:0xf bank_mask:0xf
	v_add_f32_e32 v2, v2, v3
	s_nop 1
	v_mov_b32_dpp v3, v2 quad_perm:[2,3,0,1] row_mask:0xf bank_mask:0xf
	v_add_f32_e32 v2, v2, v3
	s_nop 1
	v_mov_b32_dpp v3, v2 row_half_mirror row_mask:0xf bank_mask:0xf
	v_add_f32_e32 v2, v2, v3
	s_nop 1
	v_mov_b32_dpp v3, v2 row_mirror row_mask:0xf bank_mask:0xf
	v_add_f32_e32 v2, v2, v3
	s_nop 1
	v_mov_b32_dpp v3, v2 row_bcast:15 row_mask:0xf bank_mask:0xf
	v_add_f32_e32 v2, v2, v3
	v_and_b32_e32 v3, 63, v0
	v_cmp_eq_u32_e64 s[2:3], 63, v3
	s_nop 0
	v_mov_b32_dpp v3, v2 row_bcast:31 row_mask:0xf bank_mask:0xf
	s_waitcnt lgkmcnt(0)
	s_and_saveexec_b64 s[18:19], s[2:3]
	s_cbranch_execz .LBB670_13
; %bb.12:
	v_add_f32_e32 v2, v2, v3
	v_lshrrev_b32_e32 v3, 4, v0
	v_and_b32_e32 v3, 60, v3
	ds_write_b32 v3, v2 offset:8
.LBB670_13:
	s_or_b64 exec, exec, s[18:19]
	v_and_b32_e32 v2, 1, v0
	v_lshlrev_b32_e32 v34, 2, v2
	s_waitcnt lgkmcnt(0)
	s_barrier
	ds_read_b32 v2, v34 offset:8
	s_load_dwordx2 s[18:19], s[4:5], 0x18
	s_waitcnt lgkmcnt(0)
	v_mov_b32_dpp v3, v2 quad_perm:[1,0,3,2] row_mask:0xf bank_mask:0xf
	s_and_saveexec_b64 s[30:31], s[0:1]
	s_cbranch_execnz .LBB670_18
; %bb.14:
	s_or_b64 exec, exec, s[30:31]
	s_mov_b64 s[8:9], -1
	s_and_b64 vcc, exec, s[10:11]
	s_cbranch_vccnz .LBB670_19
.LBB670_15:
	s_andn2_b64 vcc, exec, s[8:9]
	s_cbranch_vccz .LBB670_22
.LBB670_16:
	s_cmp_lt_i32 s24, 1
	s_cbranch_scc0 .LBB670_31
.LBB670_17:
	s_endpgm
.LBB670_18:
	v_add_f32_e32 v2, v2, v3
	v_cvt_f32_u32_e32 v3, s7
	s_mov_b32 s7, 0x800000
	s_waitcnt vmcnt(1)
	v_cvt_f32_u32_sdwa v21, v83 dst_sel:DWORD dst_unused:UNUSED_PAD src0_sel:WORD_1
	v_cvt_f32_u32_sdwa v20, v83 dst_sel:DWORD dst_unused:UNUSED_PAD src0_sel:WORD_0
	v_div_scale_f32 v4, s[36:37], v3, v3, v2
	v_rcp_f32_e32 v5, v4
	s_waitcnt vmcnt(0)
	v_cvt_f32_u32_sdwa v23, v80 dst_sel:DWORD dst_unused:UNUSED_PAD src0_sel:WORD_1
	v_cvt_f32_u32_sdwa v22, v80 dst_sel:DWORD dst_unused:UNUSED_PAD src0_sel:WORD_0
	v_cvt_f32_u32_sdwa v27, v81 dst_sel:DWORD dst_unused:UNUSED_PAD src0_sel:WORD_1
	v_fma_f32 v6, -v4, v5, 1.0
	v_fmac_f32_e32 v5, v6, v5
	v_div_scale_f32 v6, vcc, v2, v3, v2
	v_mul_f32_e32 v7, v6, v5
	v_fma_f32 v8, -v4, v7, v6
	v_fmac_f32_e32 v7, v8, v5
	v_fma_f32 v4, -v4, v7, v6
	v_div_fmas_f32 v4, v4, v5, v7
	v_div_fixup_f32 v2, v4, v3, v2
	v_mov_b32_e32 v3, s21
	v_mov_b32_e32 v4, s20
	v_cndmask_b32_e64 v3, v3, v4, s[8:9]
	v_add_f32_e32 v2, v3, v2
	v_mul_f32_e32 v3, 0x4b800000, v2
	v_cmp_gt_f32_e32 vcc, s7, v2
	v_cndmask_b32_e32 v2, v2, v3, vcc
	v_rsq_f32_e32 v2, v2
	v_cvt_f32_u32_sdwa v26, v81 dst_sel:DWORD dst_unused:UNUSED_PAD src0_sel:WORD_0
	v_mul_f32_e32 v3, 0x45800000, v2
	v_cndmask_b32_e32 v2, v2, v3, vcc
	v_mov_b32_e32 v3, v2
	;;#ASMSTART
	v_pk_mul_f32 v[4:5], v[62:63], v[2:3]
	;;#ASMEND
	;;#ASMSTART
	v_pk_mul_f32 v[6:7], v[24:25], v[2:3]
	;;#ASMEND
	;; [unrolled: 3-line block ×6, first 2 shown]
	v_cvt_f32_u32_sdwa v19, v82 dst_sel:DWORD dst_unused:UNUSED_PAD src0_sel:WORD_1
	v_cvt_f32_u32_sdwa v18, v82 dst_sel:DWORD dst_unused:UNUSED_PAD src0_sel:WORD_0
	;;#ASMSTART
	v_pk_mul_f32 v[14:15], v[14:15], v[2:3]
	;;#ASMEND
	;;#ASMSTART
	v_pk_mul_f32 v[2:3], v[94:95], v[2:3]
	;;#ASMEND
	;; [unrolled: 3-line block ×3, first 2 shown]
	v_cvt_f32_u32_sdwa v19, v78 dst_sel:DWORD dst_unused:UNUSED_PAD src0_sel:WORD_1
	v_cvt_f32_u32_sdwa v18, v78 dst_sel:DWORD dst_unused:UNUSED_PAD src0_sel:WORD_0
	;;#ASMSTART
	v_pk_mul_f32 v[24:25], v[6:7], v[20:21]
	;;#ASMEND
	v_cvt_f32_u32_sdwa v5, v84 dst_sel:DWORD dst_unused:UNUSED_PAD src0_sel:WORD_1
	v_cvt_f32_u32_sdwa v4, v84 dst_sel:DWORD dst_unused:UNUSED_PAD src0_sel:WORD_0
	v_cvt_f32_u32_sdwa v7, v85 dst_sel:DWORD dst_unused:UNUSED_PAD src0_sel:WORD_1
	v_cvt_f32_u32_sdwa v6, v85 dst_sel:DWORD dst_unused:UNUSED_PAD src0_sel:WORD_0
	v_cvt_f32_u32_sdwa v21, v79 dst_sel:DWORD dst_unused:UNUSED_PAD src0_sel:WORD_1
	v_cvt_f32_u32_sdwa v20, v79 dst_sel:DWORD dst_unused:UNUSED_PAD src0_sel:WORD_0
	;;#ASMSTART
	v_pk_mul_f32 v[50:51], v[8:9], v[4:5]
	;;#ASMEND
	;;#ASMSTART
	v_pk_mul_f32 v[32:33], v[10:11], v[6:7]
	;;#ASMEND
	;;#ASMSTART
	v_pk_mul_f32 v[42:43], v[12:13], v[18:19]
	;;#ASMEND
	;;#ASMSTART
	v_pk_mul_f32 v[18:19], v[16:17], v[20:21]
	;;#ASMEND
	;;#ASMSTART
	v_pk_mul_f32 v[14:15], v[14:15], v[22:23]
	;;#ASMEND
	;;#ASMSTART
	v_pk_mul_f32 v[94:95], v[2:3], v[26:27]
	;;#ASMEND
	s_or_b64 exec, exec, s[30:31]
	s_mov_b64 s[8:9], -1
	s_and_b64 vcc, exec, s[10:11]
	s_cbranch_vccz .LBB670_15
.LBB670_19:
	s_and_saveexec_b64 s[8:9], s[0:1]
	s_cbranch_execz .LBB670_21
; %bb.20:
	s_mul_hi_i32 s11, s16, s6
	s_mul_i32 s10, s16, s6
	s_lshl_b64 s[10:11], s[10:11], 1
	s_add_u32 s36, s18, s10
	s_addc_u32 s7, s19, s11
	s_and_b32 s37, s7, 0xffff
	s_mov_b32 s7, 0x7060302
	s_mov_b32 s39, 0x20000
	v_perm_b32 v5, v33, v32, s7
	v_perm_b32 v4, v51, v50, s7
	;; [unrolled: 1-line block ×4, first 2 shown]
	v_lshlrev_b32_e32 v6, 5, v0
	buffer_store_dwordx4 v[2:5], v6, s[36:39], 0 offen
	;;#ASMSTART
	s_nop 0
	;;#ASMEND
	s_nop 0
	v_perm_b32 v5, v95, v94, s7
	v_perm_b32 v4, v15, v14, s7
	;; [unrolled: 1-line block ×4, first 2 shown]
	buffer_store_dwordx4 v[2:5], v6, s[36:39], 16 offen
	;;#ASMSTART
	s_nop 0
	;;#ASMEND
.LBB670_21:
	s_or_b64 exec, exec, s[8:9]
	s_cbranch_execnz .LBB670_16
.LBB670_22:
	v_mov_b32_e32 v2, 0
	s_and_saveexec_b64 s[8:9], s[0:1]
	s_cbranch_execz .LBB670_24
; %bb.23:
	s_load_dwordx2 s[10:11], s[4:5], 0x10
	s_mul_hi_i32 s31, s15, s6
	s_mul_i32 s30, s15, s6
	s_lshl_b64 s[30:31], s[30:31], 1
	s_mov_b32 s39, 0x20000
	s_waitcnt lgkmcnt(0)
	s_add_u32 s36, s10, s30
	s_addc_u32 s7, s11, s31
	s_and_b32 s37, s7, 0xffff
	s_mov_b32 s7, 0x7060302
	v_perm_b32 v5, v33, v32, s7
	v_perm_b32 v4, v51, v50, s7
	v_perm_b32 v3, v25, v24, s7
	v_perm_b32 v2, v63, v62, s7
	v_lshlrev_b32_e32 v6, 5, v0
	buffer_store_dwordx4 v[2:5], v6, s[36:39], 0 offen
	;;#ASMSTART
	s_nop 0
	;;#ASMEND
	s_nop 0
	v_perm_b32 v5, v95, v94, s7
	v_perm_b32 v4, v15, v14, s7
	;; [unrolled: 1-line block ×4, first 2 shown]
	buffer_store_dwordx4 v[2:5], v6, s[36:39], 16 offen
	;;#ASMSTART
	s_nop 0
	;;#ASMEND
	s_nop 0
	v_mov_b32_e32 v2, 0x2edbe6ff
.LBB670_24:
	s_or_b64 exec, exec, s[8:9]
	s_and_saveexec_b64 s[8:9], s[0:1]
	s_cbranch_execz .LBB670_26
; %bb.25:
	v_and_b32_e32 v3, 0x7fffffff, v62
	v_and_b32_e32 v4, 0x7fffffff, v63
	;;#ASMSTART
	v_max3_f32 v2, v2, v3, v4

	;;#ASMEND
	v_and_b32_e32 v3, 0x7fffffff, v24
	v_and_b32_e32 v4, 0x7fffffff, v25
	;;#ASMSTART
	v_max3_f32 v2, v2, v3, v4

	;;#ASMEND
	;; [unrolled: 6-line block ×8, first 2 shown]
.LBB670_26:
	s_or_b64 exec, exec, s[8:9]
	;;#ASMSTART
	v_max_f32 v3, v2, v2 quad_perm:[1,0,3,2] row_mask:0xf bank_mask:0xf bound_ctrl:1
	;;#ASMEND
	;;#ASMSTART
	v_max_f32 v2, v3, v3 quad_perm:[2,3,0,1] row_mask:0xf bank_mask:0xf bound_ctrl:1
	;;#ASMEND
	v_and_b32_e32 v3, 3, v0
	v_cmp_eq_u32_e32 vcc, 0, v3
	v_cmp_gt_i32_e64 s[8:9], s23, v1
	v_mul_f32_e32 v2, 0x3b124925, v2
	s_and_b64 s[10:11], vcc, s[8:9]
	s_and_saveexec_b64 s[8:9], s[10:11]
	s_cbranch_execz .LBB670_28
; %bb.27:
	s_load_dwordx2 s[10:11], s[4:5], 0x8
	v_lshrrev_b32_e32 v3, 2, v0
	s_mul_hi_i32 s31, s13, s6
	s_mul_i32 s30, s13, s6
	v_mad_i64_i32 v[4:5], s[14:15], s14, v3, 0
	s_lshl_b64 s[14:15], s[30:31], 2
	s_waitcnt lgkmcnt(0)
	s_add_u32 s7, s10, s14
	s_addc_u32 s10, s11, s15
	v_lshlrev_b64 v[4:5], 2, v[4:5]
	v_mov_b32_e32 v3, s10
	v_add_co_u32_e32 v4, vcc, s7, v4
	v_addc_co_u32_e32 v5, vcc, v3, v5, vcc
	global_store_dword v[4:5], v2, off
.LBB670_28:
	s_or_b64 exec, exec, s[8:9]
	;;#ASMSTART
	v_rcp_f32 v2, v2
	;;#ASMEND
	s_and_saveexec_b64 s[14:15], s[0:1]
	s_cbranch_execz .LBB670_30
; %bb.29:
	v_mov_b32_e32 v3, v2
	;;#ASMSTART
	v_pk_mul_f32 v[4:5], v[62:63], v[2:3]
	;;#ASMEND
	v_mov_b32_e32 v10, 0xc3e00000
	v_mov_b32_e32 v11, 0x43e00000
	;;#ASMSTART
	v_med3_f32 v4, v4, v10, v11
v_med3_f32 v5, v5, v10, v11
v_cvt_pk_fp8_f32 v6, v4, v5
	;;#ASMEND
	;;#ASMSTART
	v_pk_mul_f32 v[4:5], v[24:25], v[2:3]
	;;#ASMEND
	;;#ASMSTART
	v_med3_f32 v4, v4, v10, v11
v_med3_f32 v5, v5, v10, v11
v_cvt_pk_fp8_f32 v7, v4, v5
	;;#ASMEND
	;;#ASMSTART
	v_pk_mul_f32 v[4:5], v[50:51], v[2:3]
	;;#ASMEND
	;; [unrolled: 8-line block ×3, first 2 shown]
	;;#ASMSTART
	v_med3_f32 v4, v4, v10, v11
v_med3_f32 v5, v5, v10, v11
v_cvt_pk_fp8_f32 v9, v4, v5
	;;#ASMEND
	s_mov_b32 s0, 0x5040100
	v_perm_b32 v4, v7, v6, s0
	s_mov_b32 s0, 0x1060504
	v_perm_b32 v4, v4, v7, s0
	s_load_dwordx2 s[0:1], s[4:5], 0x0
	s_mov_b32 s7, 0x1000504
	;;#ASMSTART
	v_pk_mul_f32 v[6:7], v[42:43], v[2:3]
	;;#ASMEND
	v_perm_b32 v5, v8, v9, s7
	s_mul_i32 s8, s12, s6
	;;#ASMSTART
	v_med3_f32 v6, v6, v10, v11
v_med3_f32 v7, v7, v10, v11
v_cvt_pk_fp8_f32 v8, v6, v7
	;;#ASMEND
	s_mul_hi_i32 s9, s12, s6
	s_waitcnt lgkmcnt(0)
	s_add_u32 s8, s0, s8
	;;#ASMSTART
	v_pk_mul_f32 v[6:7], v[18:19], v[2:3]
	;;#ASMEND
	s_addc_u32 s0, s1, s9
	s_add_i32 s1, s23, 3
	;;#ASMSTART
	v_med3_f32 v6, v6, v10, v11
v_med3_f32 v7, v7, v10, v11
v_cvt_pk_fp8_f32 v9, v6, v7
	;;#ASMEND
	s_ashr_i32 s9, s1, 31
	v_perm_b32 v6, v8, v9, s7
	;;#ASMSTART
	v_pk_mul_f32 v[8:9], v[14:15], v[2:3]
	;;#ASMEND
	v_mov_b32_e32 v7, v9
	s_lshr_b32 s9, s9, 30
	;;#ASMSTART
	v_med3_f32 v8, v8, v10, v11
v_med3_f32 v7, v7, v10, v11
v_cvt_pk_fp8_f32 v9, v8, v7
	;;#ASMEND
	;;#ASMSTART
	v_pk_mul_f32 v[2:3], v[94:95], v[2:3]
	;;#ASMEND
	s_add_i32 s1, s1, s9
	;;#ASMSTART
	v_med3_f32 v2, v2, v10, v11
v_med3_f32 v3, v3, v10, v11
v_cvt_pk_fp8_f32 v7, v2, v3
	;;#ASMEND
	s_and_b32 s10, s1, -4
	s_and_b32 s9, s0, 0xffff
	s_mov_b32 s11, 0x20000
	v_perm_b32 v7, v9, v7, s7
	buffer_store_dwordx4 v[4:7], v1, s[8:11], 0 offen
	;;#ASMSTART
	s_nop 0
	;;#ASMEND
.LBB670_30:
	s_or_b64 exec, exec, s[14:15]
	s_cmp_lt_i32 s24, 1
	s_cbranch_scc1 .LBB670_17
.LBB670_31:
	s_load_dword s0, s[4:5], 0x94
	s_waitcnt lgkmcnt(0)
	s_cmp_lg_u32 s0, 1
	s_cbranch_scc1 .LBB670_17
; %bb.32:
	s_lshl_b32 s0, s24, 1
	s_add_i32 s0, s0, 2
	v_cmp_gt_u32_e32 vcc, s24, v1
	s_and_b32 s30, s0, -4
	v_mov_b32_e32 v18, 0
	v_lshlrev_b32_e32 v1, 5, v0
	v_mov_b32_e32 v14, 0
	v_mov_b32_e32 v15, 0
	;; [unrolled: 1-line block ×16, first 2 shown]
	s_barrier
	s_and_saveexec_b64 s[0:1], vcc
	s_cbranch_execz .LBB670_34
; %bb.33:
	s_mul_hi_i32 s5, s26, s6
	s_mul_i32 s4, s26, s6
	s_and_b32 s29, s29, 0xffff
	s_lshl_b64 s[4:5], s[4:5], 1
	s_add_u32 s8, s34, s4
	s_mov_b32 s31, 0x20000
	s_addc_u32 s4, s35, s5
	s_and_b32 s9, s4, 0xffff
	s_mov_b32 s10, s30
	s_mov_b32 s11, s31
	buffer_load_dwordx4 v[14:17], v1, s[8:11], 0 offen
	buffer_load_dwordx4 v[10:13], v1, s[8:11], 16 offen
	;; [unrolled: 1-line block ×4, first 2 shown]
.LBB670_34:
	s_or_b64 exec, exec, s[0:1]
	v_mov_b32_e32 v19, 0
	v_mov_b32_e32 v32, 0
	;; [unrolled: 1-line block ×15, first 2 shown]
	s_and_saveexec_b64 s[0:1], vcc
	s_cbranch_execz .LBB670_36
; %bb.35:
	s_waitcnt vmcnt(3)
	v_cvt_f32_u32_sdwa v18, v14 dst_sel:DWORD dst_unused:UNUSED_PAD src0_sel:WORD_0
	v_cvt_f32_u32_sdwa v19, v14 dst_sel:DWORD dst_unused:UNUSED_PAD src0_sel:WORD_1
	v_cvt_f32_u32_sdwa v32, v15 dst_sel:DWORD dst_unused:UNUSED_PAD src0_sel:WORD_0
	v_cvt_f32_u32_sdwa v33, v15 dst_sel:DWORD dst_unused:UNUSED_PAD src0_sel:WORD_1
	v_cvt_f32_u32_sdwa v30, v16 dst_sel:DWORD dst_unused:UNUSED_PAD src0_sel:WORD_0
	v_cvt_f32_u32_sdwa v31, v16 dst_sel:DWORD dst_unused:UNUSED_PAD src0_sel:WORD_1
	v_cvt_f32_u32_sdwa v28, v17 dst_sel:DWORD dst_unused:UNUSED_PAD src0_sel:WORD_0
	v_cvt_f32_u32_sdwa v29, v17 dst_sel:DWORD dst_unused:UNUSED_PAD src0_sel:WORD_1
	s_waitcnt vmcnt(2)
	v_cvt_f32_u32_sdwa v26, v10 dst_sel:DWORD dst_unused:UNUSED_PAD src0_sel:WORD_0
	v_cvt_f32_u32_sdwa v27, v10 dst_sel:DWORD dst_unused:UNUSED_PAD src0_sel:WORD_1
	v_cvt_f32_u32_sdwa v24, v11 dst_sel:DWORD dst_unused:UNUSED_PAD src0_sel:WORD_0
	v_cvt_f32_u32_sdwa v25, v11 dst_sel:DWORD dst_unused:UNUSED_PAD src0_sel:WORD_1
	;; [unrolled: 2-line block ×4, first 2 shown]
.LBB670_36:
	s_or_b64 exec, exec, s[0:1]
	s_waitcnt vmcnt(2)
	v_mul_f32_e32 v10, v19, v19
	v_fmac_f32_e32 v10, v18, v18
	v_fmac_f32_e32 v10, v32, v32
	v_fmac_f32_e32 v10, v33, v33
	v_fmac_f32_e32 v10, v30, v30
	v_fmac_f32_e32 v10, v31, v31
	v_fmac_f32_e32 v10, v28, v28
	v_fmac_f32_e32 v10, v29, v29
	v_fmac_f32_e32 v10, v26, v26
	v_fmac_f32_e32 v10, v27, v27
	v_fmac_f32_e32 v10, v24, v24
	v_fmac_f32_e32 v10, v25, v25
	v_fmac_f32_e32 v10, v22, v22
	v_fmac_f32_e32 v10, v23, v23
	v_fmac_f32_e32 v10, v20, v20
	v_fmac_f32_e32 v10, v21, v21
	s_nop 1
	v_mov_b32_dpp v11, v10 quad_perm:[1,0,3,2] row_mask:0xf bank_mask:0xf
	v_add_f32_e32 v10, v10, v11
	s_nop 1
	v_mov_b32_dpp v11, v10 quad_perm:[2,3,0,1] row_mask:0xf bank_mask:0xf
	v_add_f32_e32 v10, v10, v11
	s_nop 1
	v_mov_b32_dpp v11, v10 row_half_mirror row_mask:0xf bank_mask:0xf
	v_add_f32_e32 v10, v10, v11
	s_nop 1
	v_mov_b32_dpp v11, v10 row_mirror row_mask:0xf bank_mask:0xf
	v_add_f32_e32 v10, v10, v11
	s_nop 1
	v_mov_b32_dpp v11, v10 row_bcast:15 row_mask:0xf bank_mask:0xf
	v_add_f32_e32 v10, v10, v11
	s_nop 1
	v_mov_b32_dpp v11, v10 row_bcast:31 row_mask:0xf bank_mask:0xf
	s_and_saveexec_b64 s[0:1], s[2:3]
	s_cbranch_execz .LBB670_38
; %bb.37:
	v_lshrrev_b32_e32 v0, 4, v0
	v_add_f32_e32 v10, v10, v11
	v_and_b32_e32 v0, 60, v0
	ds_write_b32 v0, v10
.LBB670_38:
	s_or_b64 exec, exec, s[0:1]
	s_waitcnt lgkmcnt(0)
	s_barrier
	ds_read_b32 v0, v34
	s_waitcnt lgkmcnt(0)
	s_nop 0
	v_mov_b32_dpp v10, v0 quad_perm:[1,0,3,2] row_mask:0xf bank_mask:0xf
	s_and_saveexec_b64 s[0:1], vcc
	s_cbranch_execz .LBB670_17
; %bb.39:
	v_cvt_f32_u32_e32 v11, s24
	v_add_f32_e32 v0, v0, v10
	s_mov_b32 s31, 0x20000
	v_div_scale_f32 v10, s[0:1], v11, v11, v0
	v_rcp_f32_e32 v12, v10
	v_div_scale_f32 v13, vcc, v0, v11, v0
	s_mov_b32 s0, 0x800000
	v_fma_f32 v14, -v10, v12, 1.0
	v_fmac_f32_e32 v12, v14, v12
	v_mul_f32_e32 v14, v13, v12
	v_fma_f32 v15, -v10, v14, v13
	v_fmac_f32_e32 v14, v15, v12
	v_fma_f32 v10, -v10, v14, v13
	v_div_fmas_f32 v10, v10, v12, v14
	v_div_fixup_f32 v0, v10, v11, v0
	v_add_f32_e32 v0, s21, v0
	v_mul_f32_e32 v10, 0x4b800000, v0
	v_cmp_gt_f32_e32 vcc, s0, v0
	v_cndmask_b32_e32 v0, v0, v10, vcc
	v_rsq_f32_e32 v0, v0
	s_mul_hi_i32 s1, s16, s6
	s_mul_i32 s0, s16, s6
	s_lshl_b64 s[0:1], s[0:1], 1
	v_mul_f32_e32 v10, 0x45800000, v0
	v_cndmask_b32_e32 v10, v0, v10, vcc
	v_mov_b32_e32 v11, v10
	s_add_u32 s28, s18, s0
	;;#ASMSTART
	v_pk_mul_f32 v[12:13], v[18:19], v[10:11]
	;;#ASMEND
	;;#ASMSTART
	v_pk_mul_f32 v[14:15], v[32:33], v[10:11]
	;;#ASMEND
	;; [unrolled: 3-line block ×8, first 2 shown]
	s_waitcnt vmcnt(1)
	v_cvt_f32_u32_sdwa v21, v6 dst_sel:DWORD dst_unused:UNUSED_PAD src0_sel:WORD_1
	v_cvt_f32_u32_sdwa v20, v6 dst_sel:DWORD dst_unused:UNUSED_PAD src0_sel:WORD_0
	v_cvt_f32_u32_sdwa v29, v7 dst_sel:DWORD dst_unused:UNUSED_PAD src0_sel:WORD_1
	v_cvt_f32_u32_sdwa v28, v7 dst_sel:DWORD dst_unused:UNUSED_PAD src0_sel:WORD_0
	;; [unrolled: 2-line block ×3, first 2 shown]
	s_addc_u32 s0, s19, s1
	v_cvt_f32_u32_sdwa v31, v9 dst_sel:DWORD dst_unused:UNUSED_PAD src0_sel:WORD_1
	v_cvt_f32_u32_sdwa v30, v9 dst_sel:DWORD dst_unused:UNUSED_PAD src0_sel:WORD_0
	;;#ASMSTART
	v_pk_mul_f32 v[8:9], v[12:13], v[20:21]
	;;#ASMEND
	;;#ASMSTART
	v_pk_mul_f32 v[12:13], v[14:15], v[28:29]
	;;#ASMEND
	;; [unrolled: 3-line block ×4, first 2 shown]
	s_waitcnt vmcnt(0)
	v_cvt_f32_u32_sdwa v17, v2 dst_sel:DWORD dst_unused:UNUSED_PAD src0_sel:WORD_1
	v_cvt_f32_u32_sdwa v16, v2 dst_sel:DWORD dst_unused:UNUSED_PAD src0_sel:WORD_0
	v_cvt_f32_u32_sdwa v19, v3 dst_sel:DWORD dst_unused:UNUSED_PAD src0_sel:WORD_1
	v_cvt_f32_u32_sdwa v18, v3 dst_sel:DWORD dst_unused:UNUSED_PAD src0_sel:WORD_0
	;; [unrolled: 2-line block ×3, first 2 shown]
	s_and_b32 s29, s0, 0xffff
	s_mov_b32 s0, 0x7060302
	v_cvt_f32_u32_sdwa v21, v5 dst_sel:DWORD dst_unused:UNUSED_PAD src0_sel:WORD_1
	v_cvt_f32_u32_sdwa v20, v5 dst_sel:DWORD dst_unused:UNUSED_PAD src0_sel:WORD_0
	;;#ASMSTART
	v_pk_mul_f32 v[16:17], v[26:27], v[16:17]
	;;#ASMEND
	;;#ASMSTART
	v_pk_mul_f32 v[18:19], v[24:25], v[18:19]
	;;#ASMEND
	;; [unrolled: 3-line block ×3, first 2 shown]
	v_perm_b32 v2, v9, v8, s0
	v_perm_b32 v3, v13, v12, s0
	;; [unrolled: 1-line block ×4, first 2 shown]
	;;#ASMSTART
	v_pk_mul_f32 v[10:11], v[10:11], v[20:21]
	;;#ASMEND
	buffer_store_dwordx4 v[2:5], v1, s[28:31], 0 offen
	;;#ASMSTART
	s_nop 0
	;;#ASMEND
	s_nop 0
	v_perm_b32 v2, v17, v16, s0
	v_perm_b32 v3, v19, v18, s0
	v_perm_b32 v4, v23, v22, s0
	v_perm_b32 v5, v11, v10, s0
	buffer_store_dwordx4 v[2:5], v1, s[28:31], 16 offen
	;;#ASMSTART
	s_nop 0
	;;#ASMEND
	s_endpgm
	.section	.rodata,"a",@progbits
	.p2align	6, 0x0
	.amdhsa_kernel _ZN5aiter35fused_qk_rmsnorm_group_quant_kernelItDB8_Li128ELi16ELi4ELb1ELb1ELb0ELb0ELb0ELb0EEEvPT0_PvPT_S6_S6_PKS5_S8_S8_S8_S8_ffiiiiiiiiiiiii
		.amdhsa_group_segment_fixed_size 16
		.amdhsa_private_segment_fixed_size 0
		.amdhsa_kernarg_size 400
		.amdhsa_user_sgpr_count 6
		.amdhsa_user_sgpr_private_segment_buffer 1
		.amdhsa_user_sgpr_dispatch_ptr 0
		.amdhsa_user_sgpr_queue_ptr 0
		.amdhsa_user_sgpr_kernarg_segment_ptr 1
		.amdhsa_user_sgpr_dispatch_id 0
		.amdhsa_user_sgpr_flat_scratch_init 0
		.amdhsa_user_sgpr_kernarg_preload_length 0
		.amdhsa_user_sgpr_kernarg_preload_offset 0
		.amdhsa_user_sgpr_private_segment_size 0
		.amdhsa_uses_dynamic_stack 0
		.amdhsa_system_sgpr_private_segment_wavefront_offset 0
		.amdhsa_system_sgpr_workgroup_id_x 1
		.amdhsa_system_sgpr_workgroup_id_y 1
		.amdhsa_system_sgpr_workgroup_id_z 0
		.amdhsa_system_sgpr_workgroup_info 0
		.amdhsa_system_vgpr_workitem_id 0
		.amdhsa_next_free_vgpr 96
		.amdhsa_next_free_sgpr 44
		.amdhsa_accum_offset 96
		.amdhsa_reserve_vcc 1
		.amdhsa_reserve_flat_scratch 0
		.amdhsa_float_round_mode_32 0
		.amdhsa_float_round_mode_16_64 0
		.amdhsa_float_denorm_mode_32 3
		.amdhsa_float_denorm_mode_16_64 3
		.amdhsa_dx10_clamp 1
		.amdhsa_ieee_mode 1
		.amdhsa_fp16_overflow 0
		.amdhsa_tg_split 0
		.amdhsa_exception_fp_ieee_invalid_op 0
		.amdhsa_exception_fp_denorm_src 0
		.amdhsa_exception_fp_ieee_div_zero 0
		.amdhsa_exception_fp_ieee_overflow 0
		.amdhsa_exception_fp_ieee_underflow 0
		.amdhsa_exception_fp_ieee_inexact 0
		.amdhsa_exception_int_div_zero 0
	.end_amdhsa_kernel
	.section	.text._ZN5aiter35fused_qk_rmsnorm_group_quant_kernelItDB8_Li128ELi16ELi4ELb1ELb1ELb0ELb0ELb0ELb0EEEvPT0_PvPT_S6_S6_PKS5_S8_S8_S8_S8_ffiiiiiiiiiiiii,"axG",@progbits,_ZN5aiter35fused_qk_rmsnorm_group_quant_kernelItDB8_Li128ELi16ELi4ELb1ELb1ELb0ELb0ELb0ELb0EEEvPT0_PvPT_S6_S6_PKS5_S8_S8_S8_S8_ffiiiiiiiiiiiii,comdat
.Lfunc_end670:
	.size	_ZN5aiter35fused_qk_rmsnorm_group_quant_kernelItDB8_Li128ELi16ELi4ELb1ELb1ELb0ELb0ELb0ELb0EEEvPT0_PvPT_S6_S6_PKS5_S8_S8_S8_S8_ffiiiiiiiiiiiii, .Lfunc_end670-_ZN5aiter35fused_qk_rmsnorm_group_quant_kernelItDB8_Li128ELi16ELi4ELb1ELb1ELb0ELb0ELb0ELb0EEEvPT0_PvPT_S6_S6_PKS5_S8_S8_S8_S8_ffiiiiiiiiiiiii
                                        ; -- End function
	.section	.AMDGPU.csdata,"",@progbits
; Kernel info:
; codeLenInByte = 4216
; NumSgprs: 48
; NumVgprs: 96
; NumAgprs: 0
; TotalNumVgprs: 96
; ScratchSize: 0
; MemoryBound: 0
; FloatMode: 240
; IeeeMode: 1
; LDSByteSize: 16 bytes/workgroup (compile time only)
; SGPRBlocks: 5
; VGPRBlocks: 11
; NumSGPRsForWavesPerEU: 48
; NumVGPRsForWavesPerEU: 96
; AccumOffset: 96
; Occupancy: 5
; WaveLimiterHint : 0
; COMPUTE_PGM_RSRC2:SCRATCH_EN: 0
; COMPUTE_PGM_RSRC2:USER_SGPR: 6
; COMPUTE_PGM_RSRC2:TRAP_HANDLER: 0
; COMPUTE_PGM_RSRC2:TGID_X_EN: 1
; COMPUTE_PGM_RSRC2:TGID_Y_EN: 1
; COMPUTE_PGM_RSRC2:TGID_Z_EN: 0
; COMPUTE_PGM_RSRC2:TIDIG_COMP_CNT: 0
; COMPUTE_PGM_RSRC3_GFX90A:ACCUM_OFFSET: 23
; COMPUTE_PGM_RSRC3_GFX90A:TG_SPLIT: 0
	.section	.text._ZN5aiter35fused_qk_rmsnorm_group_quant_kernelIDF16_N4opus5fp4_tELi128ELi16ELi4ELb1ELb1ELb0ELb0ELb0ELb0EEEvPT0_PvPT_S7_S7_PKS6_S9_S9_S9_S9_ffiiiiiiiiiiiii,"axG",@progbits,_ZN5aiter35fused_qk_rmsnorm_group_quant_kernelIDF16_N4opus5fp4_tELi128ELi16ELi4ELb1ELb1ELb0ELb0ELb0ELb0EEEvPT0_PvPT_S7_S7_PKS6_S9_S9_S9_S9_ffiiiiiiiiiiiii,comdat
	.protected	_ZN5aiter35fused_qk_rmsnorm_group_quant_kernelIDF16_N4opus5fp4_tELi128ELi16ELi4ELb1ELb1ELb0ELb0ELb0ELb0EEEvPT0_PvPT_S7_S7_PKS6_S9_S9_S9_S9_ffiiiiiiiiiiiii ; -- Begin function _ZN5aiter35fused_qk_rmsnorm_group_quant_kernelIDF16_N4opus5fp4_tELi128ELi16ELi4ELb1ELb1ELb0ELb0ELb0ELb0EEEvPT0_PvPT_S7_S7_PKS6_S9_S9_S9_S9_ffiiiiiiiiiiiii
	.globl	_ZN5aiter35fused_qk_rmsnorm_group_quant_kernelIDF16_N4opus5fp4_tELi128ELi16ELi4ELb1ELb1ELb0ELb0ELb0ELb0EEEvPT0_PvPT_S7_S7_PKS6_S9_S9_S9_S9_ffiiiiiiiiiiiii
	.p2align	8
	.type	_ZN5aiter35fused_qk_rmsnorm_group_quant_kernelIDF16_N4opus5fp4_tELi128ELi16ELi4ELb1ELb1ELb0ELb0ELb0ELb0EEEvPT0_PvPT_S7_S7_PKS6_S9_S9_S9_S9_ffiiiiiiiiiiiii,@function
_ZN5aiter35fused_qk_rmsnorm_group_quant_kernelIDF16_N4opus5fp4_tELi128ELi16ELi4ELb1ELb1ELb0ELb0ELb0ELb0EEEvPT0_PvPT_S7_S7_PKS6_S9_S9_S9_S9_ffiiiiiiiiiiiii: ; @_ZN5aiter35fused_qk_rmsnorm_group_quant_kernelIDF16_N4opus5fp4_tELi128ELi16ELi4ELb1ELb1ELb0ELb0ELb0ELb0EEEvPT0_PvPT_S7_S7_PKS6_S9_S9_S9_S9_ffiiiiiiiiiiiii
; %bb.0:
	s_load_dwordx8 s[20:27], s[4:5], 0x50
	s_waitcnt lgkmcnt(0)
	s_cmp_ge_i32 s6, s22
	s_cbranch_scc1 .LBB671_17
; %bb.1:
	s_cmp_lg_u32 s7, 0
	s_cselect_b64 s[30:31], -1, 0
	s_cmp_eq_u32 s7, 0
	s_cselect_b64 s[8:9], -1, 0
	s_and_b64 s[0:1], s[8:9], exec
	s_load_dwordx2 s[28:29], s[4:5], 0x48
	s_load_dwordx2 s[10:11], s[4:5], 0x30
	s_load_dwordx8 s[12:19], s[4:5], 0x70
	s_cselect_b32 s7, s23, s24
	s_add_i32 s0, s7, 1
	s_lshr_b32 s1, s0, 31
	s_add_i32 s0, s0, s1
	s_lshl_b32 s0, s0, 1
	v_lshlrev_b32_e32 v1, 4, v0
	s_and_b32 s38, s0, -4
	v_cmp_gt_i32_e64 s[0:1], s7, v1
	v_mov_b32_e32 v6, 0
	v_mov_b32_e32 v7, 0
	v_mov_b32_e32 v8, 0
	v_mov_b32_e32 v9, 0
	v_mov_b32_e32 v2, 0
	v_mov_b32_e32 v3, 0
	v_mov_b32_e32 v4, 0
	v_mov_b32_e32 v5, 0
	v_mov_b32_e32 v10, 0
	v_mov_b32_e32 v11, 0
	v_mov_b32_e32 v12, 0
	v_mov_b32_e32 v13, 0
	v_mov_b32_e32 v14, 0
	v_mov_b32_e32 v15, 0
	v_mov_b32_e32 v16, 0
	v_mov_b32_e32 v17, 0
	s_and_saveexec_b64 s[2:3], s[0:1]
	s_cbranch_execz .LBB671_3
; %bb.2:
	s_waitcnt lgkmcnt(0)
	s_load_dwordx2 s[18:19], s[4:5], 0x28
	s_load_dwordx2 s[34:35], s[4:5], 0x40
	s_and_b64 s[36:37], s[8:9], exec
	s_cselect_b32 s22, s25, s26
	s_mov_b32 s39, 0x20000
	s_waitcnt lgkmcnt(0)
	s_cselect_b32 s25, s19, s11
	s_cselect_b32 s33, s18, s10
	s_mul_hi_i32 s19, s22, s6
	s_mul_i32 s18, s22, s6
	s_lshl_b64 s[18:19], s[18:19], 1
	s_add_u32 s40, s33, s18
	s_addc_u32 s22, s25, s19
	s_and_b64 s[18:19], s[8:9], exec
	s_cselect_b32 s36, s34, s28
	s_cselect_b32 s18, s35, s29
	s_and_b32 s41, s22, 0xffff
	s_mov_b32 s42, s38
	s_mov_b32 s43, s39
	v_lshlrev_b32_e32 v18, 5, v0
	s_and_b32 s37, s18, 0xffff
	buffer_load_dwordx4 v[10:13], v18, s[40:43], 0 offen
	buffer_load_dwordx4 v[14:17], v18, s[40:43], 16 offen
	;; [unrolled: 1-line block ×4, first 2 shown]
.LBB671_3:
	s_or_b64 exec, exec, s[2:3]
	s_and_b64 vcc, exec, s[30:31]
	s_cbranch_vccz .LBB671_7
; %bb.4:
	v_mov_b32_e32 v19, 0
	v_mov_b32_e32 v18, 0
	;; [unrolled: 1-line block ×16, first 2 shown]
	s_and_saveexec_b64 s[2:3], s[0:1]
	s_cbranch_execz .LBB671_6
; %bb.5:
	s_waitcnt vmcnt(3)
	v_cvt_f32_f16_sdwa v33, v10 dst_sel:DWORD dst_unused:UNUSED_PAD src0_sel:WORD_1
	v_cvt_f32_f16_e32 v32, v10
	v_cvt_f32_f16_sdwa v31, v11 dst_sel:DWORD dst_unused:UNUSED_PAD src0_sel:WORD_1
	v_cvt_f32_f16_e32 v30, v11
	;; [unrolled: 2-line block ×4, first 2 shown]
	s_waitcnt vmcnt(2)
	v_cvt_f32_f16_sdwa v27, v14 dst_sel:DWORD dst_unused:UNUSED_PAD src0_sel:WORD_1
	v_cvt_f32_f16_e32 v26, v14
	v_cvt_f32_f16_sdwa v23, v15 dst_sel:DWORD dst_unused:UNUSED_PAD src0_sel:WORD_1
	v_cvt_f32_f16_e32 v22, v15
	;; [unrolled: 2-line block ×4, first 2 shown]
.LBB671_6:
	s_or_b64 exec, exec, s[2:3]
	s_cbranch_execz .LBB671_8
	s_branch .LBB671_11
.LBB671_7:
                                        ; implicit-def: $vgpr19
                                        ; implicit-def: $vgpr21
                                        ; implicit-def: $vgpr23
                                        ; implicit-def: $vgpr27
                                        ; implicit-def: $vgpr25
                                        ; implicit-def: $vgpr29
                                        ; implicit-def: $vgpr31
                                        ; implicit-def: $vgpr33
.LBB671_8:
	v_mov_b32_e32 v19, 0
	v_mov_b32_e32 v18, 0
	;; [unrolled: 1-line block ×16, first 2 shown]
	s_and_saveexec_b64 s[2:3], s[0:1]
	s_cbranch_execz .LBB671_10
; %bb.9:
	s_waitcnt lgkmcnt(0)
	s_load_dwordx2 s[18:19], s[4:5], 0x38
	s_mul_hi_i32 s35, s27, s6
	s_mul_i32 s34, s27, s6
	s_lshl_b64 s[34:35], s[34:35], 1
	s_mov_b32 s39, 0x20000
	s_waitcnt lgkmcnt(0)
	s_add_u32 s36, s18, s34
	s_addc_u32 s18, s19, s35
	s_and_b32 s37, s18, 0xffff
	v_lshlrev_b32_e32 v46, 5, v0
	buffer_load_dwordx4 v[18:21], v46, s[36:39], 16 offen
	buffer_load_dwordx4 v[22:25], v46, s[36:39], 0 offen
	s_waitcnt vmcnt(4)
	v_cvt_f32_f16_sdwa v27, v14 dst_sel:DWORD dst_unused:UNUSED_PAD src0_sel:WORD_1
	v_cvt_f32_f16_e32 v26, v14
	v_cvt_f32_f16_sdwa v29, v15 dst_sel:DWORD dst_unused:UNUSED_PAD src0_sel:WORD_1
	v_cvt_f32_f16_e32 v28, v15
	;; [unrolled: 2-line block ×8, first 2 shown]
	s_load_dwordx2 s[18:19], s[4:5], 0x20
	s_mul_hi_i32 s35, s17, s6
	s_mul_i32 s34, s17, s6
	s_lshl_b64 s[34:35], s[34:35], 1
	s_waitcnt lgkmcnt(0)
	s_add_u32 s36, s18, s34
	s_addc_u32 s17, s19, s35
	s_and_b32 s37, s17, 0xffff
	s_waitcnt vmcnt(1)
	v_cvt_f32_f16_e32 v12, v18
	v_cvt_f32_f16_sdwa v13, v18 dst_sel:DWORD dst_unused:UNUSED_PAD src0_sel:WORD_1
	v_cvt_f32_f16_e32 v18, v19
	v_cvt_f32_f16_sdwa v19, v19 dst_sel:DWORD dst_unused:UNUSED_PAD src0_sel:WORD_1
	;; [unrolled: 2-line block ×4, first 2 shown]
	s_waitcnt vmcnt(0)
	v_cvt_f32_f16_e32 v40, v22
	v_cvt_f32_f16_sdwa v41, v22 dst_sel:DWORD dst_unused:UNUSED_PAD src0_sel:WORD_1
	v_cvt_f32_f16_e32 v42, v23
	v_cvt_f32_f16_sdwa v43, v23 dst_sel:DWORD dst_unused:UNUSED_PAD src0_sel:WORD_1
	;; [unrolled: 2-line block ×4, first 2 shown]
	v_pk_add_f32 v[26:27], v[26:27], v[12:13]
	v_pk_add_f32 v[22:23], v[28:29], v[18:19]
	;; [unrolled: 1-line block ×8, first 2 shown]
	v_cvt_f16_f32_e32 v10, v33
	v_cvt_f16_f32_e32 v14, v32
	;; [unrolled: 1-line block ×16, first 2 shown]
	v_pack_b32_f16 v13, v17, v13
	v_pack_b32_f16 v12, v16, v12
	;; [unrolled: 1-line block ×8, first 2 shown]
	buffer_store_dwordx4 v[10:13], v46, s[36:39], 0 offen
	;;#ASMSTART
	s_nop 0
	;;#ASMEND
	buffer_store_dwordx4 v[14:17], v46, s[36:39], 16 offen
	;;#ASMSTART
	s_nop 0
	;;#ASMEND
.LBB671_10:
	s_or_b64 exec, exec, s[2:3]
.LBB671_11:
	s_waitcnt vmcnt(3)
	v_mul_f32_e32 v10, v33, v33
	v_fmac_f32_e32 v10, v32, v32
	v_fmac_f32_e32 v10, v30, v30
	v_fmac_f32_e32 v10, v31, v31
	v_fmac_f32_e32 v10, v28, v28
	v_fmac_f32_e32 v10, v29, v29
	v_fmac_f32_e32 v10, v24, v24
	v_fmac_f32_e32 v10, v25, v25
	v_fmac_f32_e32 v10, v26, v26
	v_fmac_f32_e32 v10, v27, v27
	v_fmac_f32_e32 v10, v22, v22
	v_fmac_f32_e32 v10, v23, v23
	v_fmac_f32_e32 v10, v20, v20
	v_fmac_f32_e32 v10, v21, v21
	v_fmac_f32_e32 v10, v18, v18
	v_fmac_f32_e32 v10, v19, v19
	v_and_b32_e32 v12, 63, v0
	v_cmp_eq_u32_e64 s[2:3], 63, v12
	v_mov_b32_dpp v11, v10 quad_perm:[1,0,3,2] row_mask:0xf bank_mask:0xf
	v_add_f32_e32 v10, v10, v11
	s_nop 1
	v_mov_b32_dpp v11, v10 quad_perm:[2,3,0,1] row_mask:0xf bank_mask:0xf
	v_add_f32_e32 v10, v10, v11
	s_nop 1
	v_mov_b32_dpp v11, v10 row_half_mirror row_mask:0xf bank_mask:0xf
	v_add_f32_e32 v10, v10, v11
	s_nop 1
	v_mov_b32_dpp v11, v10 row_mirror row_mask:0xf bank_mask:0xf
	v_add_f32_e32 v10, v10, v11
	s_nop 1
	v_mov_b32_dpp v11, v10 row_bcast:15 row_mask:0xf bank_mask:0xf
	v_add_f32_e32 v10, v10, v11
	s_nop 1
	v_mov_b32_dpp v11, v10 row_bcast:31 row_mask:0xf bank_mask:0xf
	s_waitcnt lgkmcnt(0)
	s_and_saveexec_b64 s[18:19], s[2:3]
	s_cbranch_execz .LBB671_13
; %bb.12:
	v_add_f32_e32 v10, v10, v11
	v_lshrrev_b32_e32 v11, 4, v0
	v_and_b32_e32 v11, 60, v11
	ds_write_b32 v11, v10 offset:8
.LBB671_13:
	s_or_b64 exec, exec, s[18:19]
	v_and_b32_e32 v10, 1, v0
	v_lshlrev_b32_e32 v34, 2, v10
	s_waitcnt lgkmcnt(0)
	s_barrier
	ds_read_b32 v10, v34 offset:8
	s_load_dwordx2 s[18:19], s[4:5], 0x18
	s_waitcnt lgkmcnt(0)
	v_mov_b32_dpp v11, v10 quad_perm:[1,0,3,2] row_mask:0xf bank_mask:0xf
	s_and_saveexec_b64 s[34:35], s[0:1]
	s_cbranch_execnz .LBB671_18
; %bb.14:
	s_or_b64 exec, exec, s[34:35]
	s_mov_b64 s[8:9], -1
	s_and_b64 vcc, exec, s[30:31]
	s_cbranch_vccnz .LBB671_19
.LBB671_15:
	s_andn2_b64 vcc, exec, s[8:9]
	s_cbranch_vccz .LBB671_22
.LBB671_16:
	s_cmp_lt_i32 s24, 1
	s_cbranch_scc0 .LBB671_31
.LBB671_17:
	s_endpgm
.LBB671_18:
	v_cvt_f32_u32_e32 v12, s7
	v_add_f32_e32 v10, v10, v11
	s_waitcnt vmcnt(2)
	v_mov_b32_e32 v14, s21
	v_mov_b32_e32 v15, s20
	v_div_scale_f32 v11, s[36:37], v12, v12, v10
	v_rcp_f32_e32 v13, v11
	v_cndmask_b32_e64 v14, v14, v15, s[8:9]
	s_mov_b32 s7, 0x800000
	s_waitcnt vmcnt(1)
	v_cvt_f32_f16_sdwa v37, v9 dst_sel:DWORD dst_unused:UNUSED_PAD src0_sel:WORD_1
	v_fma_f32 v15, -v11, v13, 1.0
	v_fmac_f32_e32 v13, v15, v13
	v_div_scale_f32 v15, vcc, v10, v12, v10
	v_mul_f32_e32 v16, v15, v13
	v_fma_f32 v17, -v11, v16, v15
	v_fmac_f32_e32 v16, v17, v13
	v_fma_f32 v11, -v11, v16, v15
	v_div_fmas_f32 v11, v11, v13, v16
	v_div_fixup_f32 v10, v11, v12, v10
	v_add_f32_e32 v10, v14, v10
	v_mul_f32_e32 v11, 0x4b800000, v10
	v_cmp_gt_f32_e32 vcc, s7, v10
	v_cndmask_b32_e32 v10, v10, v11, vcc
	v_rsq_f32_e32 v10, v10
	v_cvt_f32_f16_e32 v36, v9
	s_waitcnt vmcnt(0)
	v_cvt_f32_f16_sdwa v9, v3 dst_sel:DWORD dst_unused:UNUSED_PAD src0_sel:WORD_1
	v_mul_f32_e32 v11, 0x45800000, v10
	v_cndmask_b32_e32 v10, v10, v11, vcc
	v_mov_b32_e32 v11, v10
	;;#ASMSTART
	v_pk_mul_f32 v[12:13], v[32:33], v[10:11]
	;;#ASMEND
	;;#ASMSTART
	v_pk_mul_f32 v[14:15], v[30:31], v[10:11]
	;;#ASMEND
	;; [unrolled: 3-line block ×8, first 2 shown]
	v_cvt_f32_f16_sdwa v19, v6 dst_sel:DWORD dst_unused:UNUSED_PAD src0_sel:WORD_1
	v_cvt_f32_f16_e32 v18, v6
	v_cvt_f32_f16_sdwa v29, v7 dst_sel:DWORD dst_unused:UNUSED_PAD src0_sel:WORD_1
	v_cvt_f32_f16_e32 v28, v7
	;; [unrolled: 2-line block ×3, first 2 shown]
	;;#ASMSTART
	v_pk_mul_f32 v[32:33], v[12:13], v[18:19]
	;;#ASMEND
	;;#ASMSTART
	v_pk_mul_f32 v[30:31], v[14:15], v[28:29]
	;;#ASMEND
	;; [unrolled: 3-line block ×4, first 2 shown]
	v_cvt_f32_f16_sdwa v7, v2 dst_sel:DWORD dst_unused:UNUSED_PAD src0_sel:WORD_1
	v_cvt_f32_f16_e32 v6, v2
	v_cvt_f32_f16_e32 v8, v3
	v_cvt_f32_f16_sdwa v3, v4 dst_sel:DWORD dst_unused:UNUSED_PAD src0_sel:WORD_1
	v_cvt_f32_f16_e32 v2, v4
	v_cvt_f32_f16_sdwa v13, v5 dst_sel:DWORD dst_unused:UNUSED_PAD src0_sel:WORD_1
	v_cvt_f32_f16_e32 v12, v5
	;;#ASMSTART
	v_pk_mul_f32 v[26:27], v[26:27], v[6:7]
	;;#ASMEND
	;;#ASMSTART
	v_pk_mul_f32 v[22:23], v[22:23], v[8:9]
	;;#ASMEND
	;; [unrolled: 3-line block ×4, first 2 shown]
	s_or_b64 exec, exec, s[34:35]
	s_mov_b64 s[8:9], -1
	s_and_b64 vcc, exec, s[30:31]
	s_cbranch_vccz .LBB671_15
.LBB671_19:
	s_and_saveexec_b64 s[8:9], s[0:1]
	s_cbranch_execz .LBB671_21
; %bb.20:
	s_mul_hi_i32 s31, s16, s6
	s_mul_i32 s30, s16, s6
	s_waitcnt vmcnt(0)
	v_cvt_f16_f32_e32 v2, v32
	v_cvt_f16_f32_e32 v3, v30
	;; [unrolled: 1-line block ×8, first 2 shown]
	s_lshl_b64 s[30:31], s[30:31], 1
	s_add_u32 s36, s18, s30
	s_addc_u32 s7, s19, s31
	s_and_b32 s37, s7, 0xffff
	s_mov_b32 s39, 0x20000
	v_pack_b32_f16 v5, v5, v6
	v_pack_b32_f16 v4, v4, v7
	;; [unrolled: 1-line block ×4, first 2 shown]
	v_lshlrev_b32_e32 v6, 5, v0
	buffer_store_dwordx4 v[2:5], v6, s[36:39], 0 offen
	v_cvt_f16_f32_e32 v7, v19
	v_cvt_f16_f32_e32 v2, v26
	;; [unrolled: 1-line block ×8, first 2 shown]
	v_pack_b32_f16 v5, v5, v7
	v_pack_b32_f16 v4, v4, v8
	v_pack_b32_f16 v3, v3, v9
	v_pack_b32_f16 v2, v2, v10
	;;#ASMSTART
	s_nop 0
	;;#ASMEND
	buffer_store_dwordx4 v[2:5], v6, s[36:39], 16 offen
	;;#ASMSTART
	s_nop 0
	;;#ASMEND
.LBB671_21:
	s_or_b64 exec, exec, s[8:9]
	s_cbranch_execnz .LBB671_16
.LBB671_22:
	s_waitcnt vmcnt(0)
	v_mov_b32_e32 v2, 0
	s_and_saveexec_b64 s[8:9], s[0:1]
	s_cbranch_execz .LBB671_24
; %bb.23:
	s_load_dwordx2 s[30:31], s[4:5], 0x10
	s_mul_hi_i32 s35, s15, s6
	s_mul_i32 s34, s15, s6
	v_cvt_f16_f32_e32 v2, v32
	v_cvt_f16_f32_e32 v3, v30
	;; [unrolled: 1-line block ×8, first 2 shown]
	s_lshl_b64 s[34:35], s[34:35], 1
	s_waitcnt lgkmcnt(0)
	s_add_u32 s36, s30, s34
	s_addc_u32 s7, s31, s35
	s_mov_b32 s39, 0x20000
	s_and_b32 s37, s7, 0xffff
	v_pack_b32_f16 v5, v5, v6
	v_pack_b32_f16 v4, v4, v7
	;; [unrolled: 1-line block ×4, first 2 shown]
	v_lshlrev_b32_e32 v6, 5, v0
	buffer_store_dwordx4 v[2:5], v6, s[36:39], 0 offen
	v_cvt_f16_f32_e32 v7, v19
	v_cvt_f16_f32_e32 v2, v26
	v_cvt_f16_f32_e32 v3, v22
	v_cvt_f16_f32_e32 v4, v20
	v_cvt_f16_f32_e32 v5, v18
	v_cvt_f16_f32_e32 v8, v21
	v_cvt_f16_f32_e32 v9, v23
	v_cvt_f16_f32_e32 v10, v27
	v_pack_b32_f16 v5, v5, v7
	v_pack_b32_f16 v4, v4, v8
	;; [unrolled: 1-line block ×4, first 2 shown]
	;;#ASMSTART
	s_nop 0
	;;#ASMEND
	buffer_store_dwordx4 v[2:5], v6, s[36:39], 16 offen
	;;#ASMSTART
	s_nop 0
	;;#ASMEND
	s_nop 0
	v_mov_b32_e32 v2, 0x2edbe6ff
.LBB671_24:
	s_or_b64 exec, exec, s[8:9]
	s_and_saveexec_b64 s[8:9], s[0:1]
	s_cbranch_execz .LBB671_26
; %bb.25:
	v_and_b32_e32 v3, 0x7fffffff, v32
	v_and_b32_e32 v4, 0x7fffffff, v33
	;;#ASMSTART
	v_max3_f32 v2, v2, v3, v4

	;;#ASMEND
	v_and_b32_e32 v3, 0x7fffffff, v30
	v_and_b32_e32 v4, 0x7fffffff, v31
	;;#ASMSTART
	v_max3_f32 v2, v2, v3, v4

	;;#ASMEND
	;; [unrolled: 6-line block ×8, first 2 shown]
.LBB671_26:
	s_or_b64 exec, exec, s[8:9]
	;;#ASMSTART
	v_max_f32 v3, v2, v2 quad_perm:[1,0,3,2] row_mask:0xf bank_mask:0xf bound_ctrl:1
	;;#ASMEND
	;;#ASMSTART
	v_max_f32 v2, v3, v3 quad_perm:[2,3,0,1] row_mask:0xf bank_mask:0xf bound_ctrl:1
	;;#ASMEND
	v_and_b32_e32 v3, 3, v0
	v_cmp_eq_u32_e32 vcc, 0, v3
	v_cmp_gt_i32_e64 s[8:9], s23, v1
	s_and_b64 s[30:31], vcc, s[8:9]
	s_and_saveexec_b64 s[8:9], s[30:31]
	s_cbranch_execz .LBB671_28
; %bb.27:
	s_load_dwordx2 s[30:31], s[4:5], 0x8
	v_mul_f32_e32 v2, 0x3e2aaaab, v2
	v_lshrrev_b32_e32 v3, 23, v2
	v_and_b32_e32 v4, 0x7f800000, v2
	v_and_b32_e32 v2, 0x7fffff, v2
	v_cmp_ne_u32_e32 vcc, 0, v2
	s_mul_hi_i32 s15, s13, s6
	s_mul_i32 s13, s13, s6
	s_mov_b32 s7, 0x7f800000
	v_addc_co_u32_e32 v2, vcc, 0, v3, vcc
	s_waitcnt lgkmcnt(0)
	s_add_u32 s30, s30, s13
	v_cmp_ne_u32_e32 vcc, s7, v4
	s_addc_u32 s31, s31, s15
	v_lshrrev_b32_e32 v5, 2, v0
	v_cndmask_b32_e32 v4, -1, v2, vcc
	v_pk_mov_b32 v[2:3], s[30:31], s[30:31] op_sel:[0,1]
	v_mad_i64_i32 v[2:3], s[14:15], s14, v5, v[2:3]
	global_store_byte v[2:3], v4, off
.LBB671_28:
	s_or_b64 exec, exec, s[8:9]
	s_and_saveexec_b64 s[8:9], s[0:1]
	s_cbranch_execz .LBB671_30
; %bb.29:
	s_load_dwordx2 s[0:1], s[4:5], 0x0
	s_mul_hi_i32 s7, s12, s6
	s_mul_i32 s12, s12, s6
	v_mov_b32_e32 v2, 0
	v_lshlrev_b32_e32 v4, 3, v0
	s_waitcnt lgkmcnt(0)
	s_add_u32 s12, s0, s12
	s_addc_u32 s0, s1, s7
	s_lshr_b32 s1, s23, 31
	s_add_i32 s1, s23, s1
	s_ashr_i32 s1, s1, 1
	s_add_i32 s1, s1, 3
	s_ashr_i32 s7, s1, 31
	s_lshr_b32 s7, s7, 30
	s_add_i32 s1, s1, s7
	s_and_b32 s14, s1, -4
	s_and_b32 s13, s0, 0xffff
	s_mov_b32 s15, 0x20000
	v_mov_b32_e32 v3, v2
	buffer_store_dwordx2 v[2:3], v4, s[12:15], 0 offen
	;;#ASMSTART
	s_nop 0
	;;#ASMEND
.LBB671_30:
	s_or_b64 exec, exec, s[8:9]
	s_cmp_lt_i32 s24, 1
	s_cbranch_scc1 .LBB671_17
.LBB671_31:
	s_load_dword s0, s[4:5], 0x94
	s_waitcnt lgkmcnt(0)
	s_cmp_lg_u32 s0, 1
	s_cbranch_scc1 .LBB671_17
; %bb.32:
	s_lshl_b32 s0, s24, 1
	s_add_i32 s0, s0, 2
	v_cmp_gt_u32_e32 vcc, s24, v1
	s_and_b32 s30, s0, -4
	v_mov_b32_e32 v18, 0
	v_lshlrev_b32_e32 v1, 5, v0
	s_waitcnt vmcnt(2)
	v_mov_b32_e32 v14, 0
	v_mov_b32_e32 v15, 0
	;; [unrolled: 1-line block ×8, first 2 shown]
	s_waitcnt vmcnt(1)
	v_mov_b32_e32 v6, 0
	v_mov_b32_e32 v7, 0
	;; [unrolled: 1-line block ×4, first 2 shown]
	s_waitcnt vmcnt(0)
	v_mov_b32_e32 v2, 0
	v_mov_b32_e32 v3, 0
	;; [unrolled: 1-line block ×4, first 2 shown]
	s_barrier
	s_and_saveexec_b64 s[0:1], vcc
	s_cbranch_execz .LBB671_34
; %bb.33:
	s_mul_hi_i32 s5, s26, s6
	s_mul_i32 s4, s26, s6
	s_and_b32 s29, s29, 0xffff
	s_lshl_b64 s[4:5], s[4:5], 1
	s_add_u32 s8, s10, s4
	s_mov_b32 s31, 0x20000
	s_addc_u32 s4, s11, s5
	s_and_b32 s9, s4, 0xffff
	s_mov_b32 s10, s30
	s_mov_b32 s11, s31
	buffer_load_dwordx4 v[14:17], v1, s[8:11], 0 offen
	buffer_load_dwordx4 v[10:13], v1, s[8:11], 16 offen
	;; [unrolled: 1-line block ×4, first 2 shown]
.LBB671_34:
	s_or_b64 exec, exec, s[0:1]
	v_mov_b32_e32 v19, 0
	v_mov_b32_e32 v32, 0
	;; [unrolled: 1-line block ×15, first 2 shown]
	s_and_saveexec_b64 s[0:1], vcc
	s_cbranch_execz .LBB671_36
; %bb.35:
	s_waitcnt vmcnt(3)
	v_cvt_f32_f16_sdwa v19, v14 dst_sel:DWORD dst_unused:UNUSED_PAD src0_sel:WORD_1
	v_cvt_f32_f16_e32 v18, v14
	v_cvt_f32_f16_sdwa v33, v15 dst_sel:DWORD dst_unused:UNUSED_PAD src0_sel:WORD_1
	v_cvt_f32_f16_e32 v32, v15
	;; [unrolled: 2-line block ×4, first 2 shown]
	s_waitcnt vmcnt(2)
	v_cvt_f32_f16_sdwa v27, v10 dst_sel:DWORD dst_unused:UNUSED_PAD src0_sel:WORD_1
	v_cvt_f32_f16_e32 v26, v10
	v_cvt_f32_f16_sdwa v25, v11 dst_sel:DWORD dst_unused:UNUSED_PAD src0_sel:WORD_1
	v_cvt_f32_f16_e32 v24, v11
	;; [unrolled: 2-line block ×4, first 2 shown]
.LBB671_36:
	s_or_b64 exec, exec, s[0:1]
	s_waitcnt vmcnt(2)
	v_mul_f32_e32 v10, v19, v19
	v_fmac_f32_e32 v10, v18, v18
	v_fmac_f32_e32 v10, v32, v32
	;; [unrolled: 1-line block ×15, first 2 shown]
	s_nop 1
	v_mov_b32_dpp v11, v10 quad_perm:[1,0,3,2] row_mask:0xf bank_mask:0xf
	v_add_f32_e32 v10, v10, v11
	s_nop 1
	v_mov_b32_dpp v11, v10 quad_perm:[2,3,0,1] row_mask:0xf bank_mask:0xf
	v_add_f32_e32 v10, v10, v11
	s_nop 1
	v_mov_b32_dpp v11, v10 row_half_mirror row_mask:0xf bank_mask:0xf
	v_add_f32_e32 v10, v10, v11
	s_nop 1
	v_mov_b32_dpp v11, v10 row_mirror row_mask:0xf bank_mask:0xf
	v_add_f32_e32 v10, v10, v11
	s_nop 1
	v_mov_b32_dpp v11, v10 row_bcast:15 row_mask:0xf bank_mask:0xf
	v_add_f32_e32 v10, v10, v11
	s_nop 1
	v_mov_b32_dpp v11, v10 row_bcast:31 row_mask:0xf bank_mask:0xf
	s_and_saveexec_b64 s[0:1], s[2:3]
	s_cbranch_execz .LBB671_38
; %bb.37:
	v_lshrrev_b32_e32 v0, 4, v0
	v_add_f32_e32 v10, v10, v11
	v_and_b32_e32 v0, 60, v0
	ds_write_b32 v0, v10
.LBB671_38:
	s_or_b64 exec, exec, s[0:1]
	s_waitcnt lgkmcnt(0)
	s_barrier
	ds_read_b32 v0, v34
	s_waitcnt lgkmcnt(0)
	s_nop 0
	v_mov_b32_dpp v10, v0 quad_perm:[1,0,3,2] row_mask:0xf bank_mask:0xf
	s_and_saveexec_b64 s[0:1], vcc
	s_cbranch_execz .LBB671_17
; %bb.39:
	v_cvt_f32_u32_e32 v11, s24
	v_add_f32_e32 v0, v0, v10
	s_mov_b32 s31, 0x20000
	v_div_scale_f32 v10, s[0:1], v11, v11, v0
	v_rcp_f32_e32 v12, v10
	v_div_scale_f32 v13, vcc, v0, v11, v0
	s_mov_b32 s0, 0x800000
	v_fma_f32 v14, -v10, v12, 1.0
	v_fmac_f32_e32 v12, v14, v12
	v_mul_f32_e32 v14, v13, v12
	v_fma_f32 v15, -v10, v14, v13
	v_fmac_f32_e32 v14, v15, v12
	v_fma_f32 v10, -v10, v14, v13
	v_div_fmas_f32 v10, v10, v12, v14
	v_div_fixup_f32 v0, v10, v11, v0
	v_add_f32_e32 v0, s21, v0
	v_mul_f32_e32 v10, 0x4b800000, v0
	v_cmp_gt_f32_e32 vcc, s0, v0
	v_cndmask_b32_e32 v0, v0, v10, vcc
	v_rsq_f32_e32 v0, v0
	s_mul_hi_i32 s1, s16, s6
	s_mul_i32 s0, s16, s6
	s_lshl_b64 s[0:1], s[0:1], 1
	v_mul_f32_e32 v10, 0x45800000, v0
	v_cndmask_b32_e32 v10, v0, v10, vcc
	v_mov_b32_e32 v11, v10
	;;#ASMSTART
	v_pk_mul_f32 v[12:13], v[18:19], v[10:11]
	;;#ASMEND
	;;#ASMSTART
	v_pk_mul_f32 v[14:15], v[32:33], v[10:11]
	;;#ASMEND
	;; [unrolled: 3-line block ×8, first 2 shown]
	s_waitcnt vmcnt(1)
	v_cvt_f32_f16_sdwa v21, v6 dst_sel:DWORD dst_unused:UNUSED_PAD src0_sel:WORD_1
	v_cvt_f32_f16_e32 v20, v6
	v_cvt_f32_f16_sdwa v29, v7 dst_sel:DWORD dst_unused:UNUSED_PAD src0_sel:WORD_1
	v_cvt_f32_f16_e32 v28, v7
	;; [unrolled: 2-line block ×4, first 2 shown]
	;;#ASMSTART
	v_pk_mul_f32 v[8:9], v[12:13], v[20:21]
	;;#ASMEND
	;;#ASMSTART
	v_pk_mul_f32 v[12:13], v[14:15], v[28:29]
	;;#ASMEND
	;; [unrolled: 3-line block ×4, first 2 shown]
	s_waitcnt vmcnt(0)
	v_cvt_f32_f16_sdwa v17, v2 dst_sel:DWORD dst_unused:UNUSED_PAD src0_sel:WORD_1
	v_cvt_f32_f16_e32 v16, v2
	v_cvt_f32_f16_sdwa v19, v3 dst_sel:DWORD dst_unused:UNUSED_PAD src0_sel:WORD_1
	v_cvt_f32_f16_e32 v18, v3
	;; [unrolled: 2-line block ×4, first 2 shown]
	;;#ASMSTART
	v_pk_mul_f32 v[16:17], v[26:27], v[16:17]
	;;#ASMEND
	;;#ASMSTART
	v_pk_mul_f32 v[18:19], v[24:25], v[18:19]
	;;#ASMEND
	;; [unrolled: 3-line block ×3, first 2 shown]
	v_cvt_f16_f32_e32 v0, v8
	v_cvt_f16_f32_e32 v2, v9
	;; [unrolled: 1-line block ×8, first 2 shown]
	s_add_u32 s28, s18, s0
	s_addc_u32 s0, s19, s1
	s_and_b32 s29, s0, 0xffff
	v_pack_b32_f16 v2, v0, v2
	v_pack_b32_f16 v3, v3, v4
	;; [unrolled: 1-line block ×4, first 2 shown]
	;;#ASMSTART
	v_pk_mul_f32 v[10:11], v[10:11], v[20:21]
	;;#ASMEND
	buffer_store_dwordx4 v[2:5], v1, s[28:31], 0 offen
	v_cvt_f16_f32_e32 v0, v16
	v_cvt_f16_f32_e32 v2, v17
	;; [unrolled: 1-line block ×8, first 2 shown]
	v_pack_b32_f16 v2, v0, v2
	v_pack_b32_f16 v3, v3, v4
	;; [unrolled: 1-line block ×4, first 2 shown]
	;;#ASMSTART
	s_nop 0
	;;#ASMEND
	buffer_store_dwordx4 v[2:5], v1, s[28:31], 16 offen
	;;#ASMSTART
	s_nop 0
	;;#ASMEND
	s_endpgm
	.section	.rodata,"a",@progbits
	.p2align	6, 0x0
	.amdhsa_kernel _ZN5aiter35fused_qk_rmsnorm_group_quant_kernelIDF16_N4opus5fp4_tELi128ELi16ELi4ELb1ELb1ELb0ELb0ELb0ELb0EEEvPT0_PvPT_S7_S7_PKS6_S9_S9_S9_S9_ffiiiiiiiiiiiii
		.amdhsa_group_segment_fixed_size 16
		.amdhsa_private_segment_fixed_size 0
		.amdhsa_kernarg_size 400
		.amdhsa_user_sgpr_count 6
		.amdhsa_user_sgpr_private_segment_buffer 1
		.amdhsa_user_sgpr_dispatch_ptr 0
		.amdhsa_user_sgpr_queue_ptr 0
		.amdhsa_user_sgpr_kernarg_segment_ptr 1
		.amdhsa_user_sgpr_dispatch_id 0
		.amdhsa_user_sgpr_flat_scratch_init 0
		.amdhsa_user_sgpr_kernarg_preload_length 0
		.amdhsa_user_sgpr_kernarg_preload_offset 0
		.amdhsa_user_sgpr_private_segment_size 0
		.amdhsa_uses_dynamic_stack 0
		.amdhsa_system_sgpr_private_segment_wavefront_offset 0
		.amdhsa_system_sgpr_workgroup_id_x 1
		.amdhsa_system_sgpr_workgroup_id_y 1
		.amdhsa_system_sgpr_workgroup_id_z 0
		.amdhsa_system_sgpr_workgroup_info 0
		.amdhsa_system_vgpr_workitem_id 0
		.amdhsa_next_free_vgpr 47
		.amdhsa_next_free_sgpr 44
		.amdhsa_accum_offset 48
		.amdhsa_reserve_vcc 1
		.amdhsa_reserve_flat_scratch 0
		.amdhsa_float_round_mode_32 0
		.amdhsa_float_round_mode_16_64 0
		.amdhsa_float_denorm_mode_32 3
		.amdhsa_float_denorm_mode_16_64 3
		.amdhsa_dx10_clamp 1
		.amdhsa_ieee_mode 1
		.amdhsa_fp16_overflow 0
		.amdhsa_tg_split 0
		.amdhsa_exception_fp_ieee_invalid_op 0
		.amdhsa_exception_fp_denorm_src 0
		.amdhsa_exception_fp_ieee_div_zero 0
		.amdhsa_exception_fp_ieee_overflow 0
		.amdhsa_exception_fp_ieee_underflow 0
		.amdhsa_exception_fp_ieee_inexact 0
		.amdhsa_exception_int_div_zero 0
	.end_amdhsa_kernel
	.section	.text._ZN5aiter35fused_qk_rmsnorm_group_quant_kernelIDF16_N4opus5fp4_tELi128ELi16ELi4ELb1ELb1ELb0ELb0ELb0ELb0EEEvPT0_PvPT_S7_S7_PKS6_S9_S9_S9_S9_ffiiiiiiiiiiiii,"axG",@progbits,_ZN5aiter35fused_qk_rmsnorm_group_quant_kernelIDF16_N4opus5fp4_tELi128ELi16ELi4ELb1ELb1ELb0ELb0ELb0ELb0EEEvPT0_PvPT_S7_S7_PKS6_S9_S9_S9_S9_ffiiiiiiiiiiiii,comdat
.Lfunc_end671:
	.size	_ZN5aiter35fused_qk_rmsnorm_group_quant_kernelIDF16_N4opus5fp4_tELi128ELi16ELi4ELb1ELb1ELb0ELb0ELb0ELb0EEEvPT0_PvPT_S7_S7_PKS6_S9_S9_S9_S9_ffiiiiiiiiiiiii, .Lfunc_end671-_ZN5aiter35fused_qk_rmsnorm_group_quant_kernelIDF16_N4opus5fp4_tELi128ELi16ELi4ELb1ELb1ELb0ELb0ELb0ELb0EEEvPT0_PvPT_S7_S7_PKS6_S9_S9_S9_S9_ffiiiiiiiiiiiii
                                        ; -- End function
	.section	.AMDGPU.csdata,"",@progbits
; Kernel info:
; codeLenInByte = 3952
; NumSgprs: 48
; NumVgprs: 47
; NumAgprs: 0
; TotalNumVgprs: 47
; ScratchSize: 0
; MemoryBound: 0
; FloatMode: 240
; IeeeMode: 1
; LDSByteSize: 16 bytes/workgroup (compile time only)
; SGPRBlocks: 5
; VGPRBlocks: 5
; NumSGPRsForWavesPerEU: 48
; NumVGPRsForWavesPerEU: 47
; AccumOffset: 48
; Occupancy: 8
; WaveLimiterHint : 0
; COMPUTE_PGM_RSRC2:SCRATCH_EN: 0
; COMPUTE_PGM_RSRC2:USER_SGPR: 6
; COMPUTE_PGM_RSRC2:TRAP_HANDLER: 0
; COMPUTE_PGM_RSRC2:TGID_X_EN: 1
; COMPUTE_PGM_RSRC2:TGID_Y_EN: 1
; COMPUTE_PGM_RSRC2:TGID_Z_EN: 0
; COMPUTE_PGM_RSRC2:TIDIG_COMP_CNT: 0
; COMPUTE_PGM_RSRC3_GFX90A:ACCUM_OFFSET: 11
; COMPUTE_PGM_RSRC3_GFX90A:TG_SPLIT: 0
	.section	.text._ZN5aiter35fused_qk_rmsnorm_group_quant_kernelItN4opus5fp4_tELi128ELi16ELi4ELb1ELb1ELb0ELb0ELb0ELb0EEEvPT0_PvPT_S7_S7_PKS6_S9_S9_S9_S9_ffiiiiiiiiiiiii,"axG",@progbits,_ZN5aiter35fused_qk_rmsnorm_group_quant_kernelItN4opus5fp4_tELi128ELi16ELi4ELb1ELb1ELb0ELb0ELb0ELb0EEEvPT0_PvPT_S7_S7_PKS6_S9_S9_S9_S9_ffiiiiiiiiiiiii,comdat
	.protected	_ZN5aiter35fused_qk_rmsnorm_group_quant_kernelItN4opus5fp4_tELi128ELi16ELi4ELb1ELb1ELb0ELb0ELb0ELb0EEEvPT0_PvPT_S7_S7_PKS6_S9_S9_S9_S9_ffiiiiiiiiiiiii ; -- Begin function _ZN5aiter35fused_qk_rmsnorm_group_quant_kernelItN4opus5fp4_tELi128ELi16ELi4ELb1ELb1ELb0ELb0ELb0ELb0EEEvPT0_PvPT_S7_S7_PKS6_S9_S9_S9_S9_ffiiiiiiiiiiiii
	.globl	_ZN5aiter35fused_qk_rmsnorm_group_quant_kernelItN4opus5fp4_tELi128ELi16ELi4ELb1ELb1ELb0ELb0ELb0ELb0EEEvPT0_PvPT_S7_S7_PKS6_S9_S9_S9_S9_ffiiiiiiiiiiiii
	.p2align	8
	.type	_ZN5aiter35fused_qk_rmsnorm_group_quant_kernelItN4opus5fp4_tELi128ELi16ELi4ELb1ELb1ELb0ELb0ELb0ELb0EEEvPT0_PvPT_S7_S7_PKS6_S9_S9_S9_S9_ffiiiiiiiiiiiii,@function
_ZN5aiter35fused_qk_rmsnorm_group_quant_kernelItN4opus5fp4_tELi128ELi16ELi4ELb1ELb1ELb0ELb0ELb0ELb0EEEvPT0_PvPT_S7_S7_PKS6_S9_S9_S9_S9_ffiiiiiiiiiiiii: ; @_ZN5aiter35fused_qk_rmsnorm_group_quant_kernelItN4opus5fp4_tELi128ELi16ELi4ELb1ELb1ELb0ELb0ELb0ELb0EEEvPT0_PvPT_S7_S7_PKS6_S9_S9_S9_S9_ffiiiiiiiiiiiii
; %bb.0:
	s_load_dwordx8 s[20:27], s[4:5], 0x50
	s_waitcnt lgkmcnt(0)
	s_cmp_ge_i32 s6, s22
	s_cbranch_scc1 .LBB672_17
; %bb.1:
	s_load_dwordx2 s[28:29], s[4:5], 0x48
	s_load_dwordx2 s[10:11], s[4:5], 0x30
	s_load_dwordx8 s[12:19], s[4:5], 0x70
	s_cmp_lg_u32 s7, 0
	s_waitcnt lgkmcnt(0)
	s_cselect_b64 s[18:19], -1, 0
	s_cmp_eq_u32 s7, 0
	s_cselect_b64 s[8:9], -1, 0
	s_and_b64 s[0:1], s[8:9], exec
	s_cselect_b32 s7, s23, s24
	s_add_i32 s0, s7, 1
	s_lshr_b32 s1, s0, 31
	s_add_i32 s0, s0, s1
	s_lshl_b32 s0, s0, 1
	v_lshlrev_b32_e32 v1, 4, v0
	s_and_b32 s38, s0, -4
	v_cmp_gt_i32_e64 s[0:1], s7, v1
	v_mov_b32_e32 v80, 0
	v_mov_b32_e32 v81, 0
	;; [unrolled: 1-line block ×16, first 2 shown]
	s_and_saveexec_b64 s[2:3], s[0:1]
	s_cbranch_execz .LBB672_3
; %bb.2:
	s_load_dwordx2 s[30:31], s[4:5], 0x28
	s_load_dwordx2 s[34:35], s[4:5], 0x40
	s_and_b64 s[36:37], s[8:9], exec
	s_cselect_b32 s22, s25, s26
	s_mov_b32 s39, 0x20000
	s_waitcnt lgkmcnt(0)
	s_cselect_b32 s25, s31, s11
	s_cselect_b32 s33, s30, s10
	s_mul_hi_i32 s31, s22, s6
	s_mul_i32 s30, s22, s6
	s_lshl_b64 s[30:31], s[30:31], 1
	s_add_u32 s40, s33, s30
	s_addc_u32 s22, s25, s31
	s_and_b64 s[30:31], s[8:9], exec
	s_cselect_b32 s36, s34, s28
	s_cselect_b32 s25, s35, s29
	s_and_b32 s41, s22, 0xffff
	s_mov_b32 s42, s38
	s_mov_b32 s43, s39
	v_lshlrev_b32_e32 v2, 5, v0
	s_and_b32 s37, s25, 0xffff
	buffer_load_dwordx4 v[84:87], v2, s[40:43], 0 offen
	buffer_load_dwordx4 v[88:91], v2, s[40:43], 16 offen
	;; [unrolled: 1-line block ×4, first 2 shown]
.LBB672_3:
	s_or_b64 exec, exec, s[2:3]
	s_and_b64 vcc, exec, s[18:19]
	s_cbranch_vccz .LBB672_7
; %bb.4:
	v_mov_b32_e32 v93, 0
	v_mov_b32_e32 v92, 0
	;; [unrolled: 1-line block ×16, first 2 shown]
	s_and_saveexec_b64 s[2:3], s[0:1]
	s_cbranch_execz .LBB672_6
; %bb.5:
	s_waitcnt vmcnt(3)
	v_cvt_f32_u32_sdwa v32, v84 dst_sel:DWORD dst_unused:UNUSED_PAD src0_sel:WORD_0
	v_cvt_f32_u32_sdwa v33, v84 dst_sel:DWORD dst_unused:UNUSED_PAD src0_sel:WORD_1
	v_cvt_f32_u32_sdwa v18, v85 dst_sel:DWORD dst_unused:UNUSED_PAD src0_sel:WORD_0
	v_cvt_f32_u32_sdwa v19, v85 dst_sel:DWORD dst_unused:UNUSED_PAD src0_sel:WORD_1
	;; [unrolled: 2-line block ×4, first 2 shown]
	s_waitcnt vmcnt(2)
	v_cvt_f32_u32_sdwa v68, v88 dst_sel:DWORD dst_unused:UNUSED_PAD src0_sel:WORD_0
	v_cvt_f32_u32_sdwa v69, v88 dst_sel:DWORD dst_unused:UNUSED_PAD src0_sel:WORD_1
	v_cvt_f32_u32_sdwa v62, v89 dst_sel:DWORD dst_unused:UNUSED_PAD src0_sel:WORD_0
	v_cvt_f32_u32_sdwa v63, v89 dst_sel:DWORD dst_unused:UNUSED_PAD src0_sel:WORD_1
	v_cvt_f32_u32_sdwa v14, v90 dst_sel:DWORD dst_unused:UNUSED_PAD src0_sel:WORD_0
	v_cvt_f32_u32_sdwa v15, v90 dst_sel:DWORD dst_unused:UNUSED_PAD src0_sel:WORD_1
	v_cvt_f32_u32_sdwa v92, v91 dst_sel:DWORD dst_unused:UNUSED_PAD src0_sel:WORD_0
	v_cvt_f32_u32_sdwa v93, v91 dst_sel:DWORD dst_unused:UNUSED_PAD src0_sel:WORD_1
.LBB672_6:
	s_or_b64 exec, exec, s[2:3]
	s_cbranch_execz .LBB672_8
	s_branch .LBB672_11
.LBB672_7:
                                        ; implicit-def: $vgpr32_vgpr33_vgpr34_vgpr35_vgpr36_vgpr37_vgpr38_vgpr39_vgpr40_vgpr41_vgpr42_vgpr43_vgpr44_vgpr45_vgpr46_vgpr47
                                        ; implicit-def: $vgpr46_vgpr47_vgpr48_vgpr49_vgpr50_vgpr51_vgpr52_vgpr53_vgpr54_vgpr55_vgpr56_vgpr57_vgpr58_vgpr59_vgpr60_vgpr61
                                        ; implicit-def: $vgpr16_vgpr17_vgpr18_vgpr19_vgpr20_vgpr21_vgpr22_vgpr23_vgpr24_vgpr25_vgpr26_vgpr27_vgpr28_vgpr29_vgpr30_vgpr31
                                        ; implicit-def: $vgpr93
                                        ; implicit-def: $vgpr2_vgpr3_vgpr4_vgpr5_vgpr6_vgpr7_vgpr8_vgpr9_vgpr10_vgpr11_vgpr12_vgpr13_vgpr14_vgpr15_vgpr16_vgpr17
                                        ; implicit-def: $vgpr60_vgpr61_vgpr62_vgpr63_vgpr64_vgpr65_vgpr66_vgpr67_vgpr68_vgpr69_vgpr70_vgpr71_vgpr72_vgpr73_vgpr74_vgpr75
                                        ; implicit-def: $vgpr34_vgpr35_vgpr36_vgpr37_vgpr38_vgpr39_vgpr40_vgpr41_vgpr42_vgpr43_vgpr44_vgpr45_vgpr46_vgpr47_vgpr48_vgpr49
                                        ; implicit-def: $vgpr52_vgpr53_vgpr54_vgpr55_vgpr56_vgpr57_vgpr58_vgpr59_vgpr60_vgpr61_vgpr62_vgpr63_vgpr64_vgpr65_vgpr66_vgpr67
.LBB672_8:
	v_mov_b32_e32 v93, 0
	v_mov_b32_e32 v92, 0
	;; [unrolled: 1-line block ×16, first 2 shown]
	s_and_saveexec_b64 s[2:3], s[0:1]
	s_cbranch_execz .LBB672_10
; %bb.9:
	s_load_dwordx2 s[30:31], s[4:5], 0x38
	s_mul_hi_i32 s35, s27, s6
	s_mul_i32 s34, s27, s6
	s_lshl_b64 s[34:35], s[34:35], 1
	s_mov_b32 s39, 0x20000
	s_waitcnt lgkmcnt(0)
	s_add_u32 s36, s30, s34
	s_addc_u32 s22, s31, s35
	s_and_b32 s37, s22, 0xffff
	v_lshlrev_b32_e32 v36, 5, v0
	buffer_load_dwordx4 v[4:7], v36, s[36:39], 16 offen
	buffer_load_dwordx4 v[8:11], v36, s[36:39], 0 offen
	s_load_dwordx2 s[30:31], s[4:5], 0x20
	s_waitcnt vmcnt(5)
	v_cvt_f32_u32_sdwa v21, v84 dst_sel:DWORD dst_unused:UNUSED_PAD src0_sel:WORD_1
	v_cvt_f32_u32_sdwa v20, v84 dst_sel:DWORD dst_unused:UNUSED_PAD src0_sel:WORD_0
	v_cvt_f32_u32_sdwa v19, v85 dst_sel:DWORD dst_unused:UNUSED_PAD src0_sel:WORD_1
	v_cvt_f32_u32_sdwa v18, v85 dst_sel:DWORD dst_unused:UNUSED_PAD src0_sel:WORD_0
	;; [unrolled: 2-line block ×4, first 2 shown]
	s_waitcnt vmcnt(4)
	v_cvt_f32_u32_sdwa v3, v88 dst_sel:DWORD dst_unused:UNUSED_PAD src0_sel:WORD_1
	v_cvt_f32_u32_sdwa v2, v88 dst_sel:DWORD dst_unused:UNUSED_PAD src0_sel:WORD_0
	v_cvt_f32_u32_sdwa v13, v89 dst_sel:DWORD dst_unused:UNUSED_PAD src0_sel:WORD_1
	v_cvt_f32_u32_sdwa v12, v89 dst_sel:DWORD dst_unused:UNUSED_PAD src0_sel:WORD_0
	;; [unrolled: 2-line block ×3, first 2 shown]
	v_cvt_f32_u32_sdwa v16, v91 dst_sel:DWORD dst_unused:UNUSED_PAD src0_sel:WORD_0
	v_cvt_f32_u32_sdwa v17, v91 dst_sel:DWORD dst_unused:UNUSED_PAD src0_sel:WORD_1
	s_mul_hi_i32 s35, s17, s6
	s_mul_i32 s34, s17, s6
	s_lshl_b64 s[34:35], s[34:35], 1
	s_waitcnt lgkmcnt(0)
	s_add_u32 s36, s30, s34
	s_mov_b32 s17, 0x7060302
	s_addc_u32 s22, s31, s35
	s_and_b32 s37, s22, 0xffff
	s_waitcnt vmcnt(1)
	v_cvt_f32_u32_sdwa v27, v4 dst_sel:DWORD dst_unused:UNUSED_PAD src0_sel:WORD_1
	v_cvt_f32_u32_sdwa v26, v4 dst_sel:DWORD dst_unused:UNUSED_PAD src0_sel:WORD_0
	v_cvt_f32_u32_sdwa v29, v5 dst_sel:DWORD dst_unused:UNUSED_PAD src0_sel:WORD_1
	v_cvt_f32_u32_sdwa v28, v5 dst_sel:DWORD dst_unused:UNUSED_PAD src0_sel:WORD_0
	;; [unrolled: 2-line block ×3, first 2 shown]
	v_cvt_f32_u32_sdwa v34, v7 dst_sel:DWORD dst_unused:UNUSED_PAD src0_sel:WORD_0
	v_cvt_f32_u32_sdwa v35, v7 dst_sel:DWORD dst_unused:UNUSED_PAD src0_sel:WORD_1
	s_waitcnt vmcnt(0)
	v_cvt_f32_u32_sdwa v33, v8 dst_sel:DWORD dst_unused:UNUSED_PAD src0_sel:WORD_1
	v_cvt_f32_u32_sdwa v32, v8 dst_sel:DWORD dst_unused:UNUSED_PAD src0_sel:WORD_0
	v_cvt_f32_u32_sdwa v5, v10 dst_sel:DWORD dst_unused:UNUSED_PAD src0_sel:WORD_1
	v_cvt_f32_u32_sdwa v4, v10 dst_sel:DWORD dst_unused:UNUSED_PAD src0_sel:WORD_0
	;; [unrolled: 2-line block ×4, first 2 shown]
	v_pk_add_f32 v[50:51], v[22:23], v[4:5]
	v_pk_add_f32 v[40:41], v[24:25], v[6:7]
	;; [unrolled: 1-line block ×4, first 2 shown]
	v_perm_b32 v7, v41, v40, s17
	v_perm_b32 v6, v51, v50, s17
	;; [unrolled: 1-line block ×4, first 2 shown]
	v_pk_add_f32 v[92:93], v[16:17], v[34:35]
	v_pk_add_f32 v[14:15], v[14:15], v[30:31]
	v_pk_add_f32 v[62:63], v[12:13], v[28:29]
	v_pk_add_f32 v[68:69], v[2:3], v[26:27]
	buffer_store_dwordx4 v[4:7], v36, s[36:39], 0 offen
	;;#ASMSTART
	s_nop 0
	;;#ASMEND
	s_nop 0
	v_perm_b32 v7, v93, v92, s17
	v_perm_b32 v6, v15, v14, s17
	;; [unrolled: 1-line block ×4, first 2 shown]
	buffer_store_dwordx4 v[4:7], v36, s[36:39], 16 offen
	;;#ASMSTART
	s_nop 0
	;;#ASMEND
.LBB672_10:
	s_or_b64 exec, exec, s[2:3]
.LBB672_11:
	v_mul_f32_e32 v2, v33, v33
	v_fmac_f32_e32 v2, v32, v32
	v_fmac_f32_e32 v2, v18, v18
	;; [unrolled: 1-line block ×15, first 2 shown]
	s_nop 1
	v_mov_b32_dpp v3, v2 quad_perm:[1,0,3,2] row_mask:0xf bank_mask:0xf
	v_add_f32_e32 v2, v2, v3
	s_nop 1
	v_mov_b32_dpp v3, v2 quad_perm:[2,3,0,1] row_mask:0xf bank_mask:0xf
	v_add_f32_e32 v2, v2, v3
	s_nop 1
	v_mov_b32_dpp v3, v2 row_half_mirror row_mask:0xf bank_mask:0xf
	v_add_f32_e32 v2, v2, v3
	s_nop 1
	v_mov_b32_dpp v3, v2 row_mirror row_mask:0xf bank_mask:0xf
	v_add_f32_e32 v2, v2, v3
	s_nop 1
	v_mov_b32_dpp v3, v2 row_bcast:15 row_mask:0xf bank_mask:0xf
	v_add_f32_e32 v2, v2, v3
	v_and_b32_e32 v3, 63, v0
	v_cmp_eq_u32_e64 s[2:3], 63, v3
	s_nop 0
	v_mov_b32_dpp v3, v2 row_bcast:31 row_mask:0xf bank_mask:0xf
	s_and_saveexec_b64 s[30:31], s[2:3]
	s_cbranch_execz .LBB672_13
; %bb.12:
	v_add_f32_e32 v2, v2, v3
	v_lshrrev_b32_e32 v3, 4, v0
	v_and_b32_e32 v3, 60, v3
	ds_write_b32 v3, v2 offset:8
.LBB672_13:
	s_or_b64 exec, exec, s[30:31]
	v_and_b32_e32 v2, 1, v0
	v_lshlrev_b32_e32 v34, 2, v2
	s_waitcnt lgkmcnt(0)
	s_barrier
	ds_read_b32 v2, v34 offset:8
	s_load_dwordx2 s[34:35], s[4:5], 0x18
	s_waitcnt lgkmcnt(0)
	v_mov_b32_dpp v3, v2 quad_perm:[1,0,3,2] row_mask:0xf bank_mask:0xf
	s_and_saveexec_b64 s[30:31], s[0:1]
	s_cbranch_execnz .LBB672_18
; %bb.14:
	s_or_b64 exec, exec, s[30:31]
	s_mov_b64 s[8:9], -1
	s_and_b64 vcc, exec, s[18:19]
	s_cbranch_vccnz .LBB672_19
.LBB672_15:
	s_andn2_b64 vcc, exec, s[8:9]
	s_cbranch_vccz .LBB672_22
.LBB672_16:
	s_cmp_lt_i32 s24, 1
	s_cbranch_scc0 .LBB672_31
.LBB672_17:
	s_endpgm
.LBB672_18:
	v_add_f32_e32 v2, v2, v3
	v_cvt_f32_u32_e32 v3, s7
	s_mov_b32 s7, 0x800000
	s_waitcnt vmcnt(1)
	v_cvt_f32_u32_sdwa v21, v81 dst_sel:DWORD dst_unused:UNUSED_PAD src0_sel:WORD_1
	v_cvt_f32_u32_sdwa v20, v81 dst_sel:DWORD dst_unused:UNUSED_PAD src0_sel:WORD_0
	v_div_scale_f32 v4, s[36:37], v3, v3, v2
	v_rcp_f32_e32 v5, v4
	s_waitcnt vmcnt(0)
	v_cvt_f32_u32_sdwa v23, v77 dst_sel:DWORD dst_unused:UNUSED_PAD src0_sel:WORD_1
	v_cvt_f32_u32_sdwa v22, v77 dst_sel:DWORD dst_unused:UNUSED_PAD src0_sel:WORD_0
	v_cvt_f32_u32_sdwa v25, v78 dst_sel:DWORD dst_unused:UNUSED_PAD src0_sel:WORD_1
	v_fma_f32 v6, -v4, v5, 1.0
	v_fmac_f32_e32 v5, v6, v5
	v_div_scale_f32 v6, vcc, v2, v3, v2
	v_mul_f32_e32 v7, v6, v5
	v_fma_f32 v8, -v4, v7, v6
	v_fmac_f32_e32 v7, v8, v5
	v_fma_f32 v4, -v4, v7, v6
	v_div_fmas_f32 v4, v4, v5, v7
	v_div_fixup_f32 v2, v4, v3, v2
	v_mov_b32_e32 v3, s21
	v_mov_b32_e32 v4, s20
	v_cndmask_b32_e64 v3, v3, v4, s[8:9]
	v_add_f32_e32 v2, v3, v2
	v_mul_f32_e32 v3, 0x4b800000, v2
	v_cmp_gt_f32_e32 vcc, s7, v2
	v_cndmask_b32_e32 v2, v2, v3, vcc
	v_rsq_f32_e32 v2, v2
	v_cvt_f32_u32_sdwa v24, v78 dst_sel:DWORD dst_unused:UNUSED_PAD src0_sel:WORD_0
	v_cvt_f32_u32_sdwa v27, v79 dst_sel:DWORD dst_unused:UNUSED_PAD src0_sel:WORD_1
	v_cvt_f32_u32_sdwa v26, v79 dst_sel:DWORD dst_unused:UNUSED_PAD src0_sel:WORD_0
	v_mul_f32_e32 v3, 0x45800000, v2
	v_cndmask_b32_e32 v2, v2, v3, vcc
	v_mov_b32_e32 v3, v2
	;;#ASMSTART
	v_pk_mul_f32 v[4:5], v[32:33], v[2:3]
	;;#ASMEND
	;;#ASMSTART
	v_pk_mul_f32 v[6:7], v[18:19], v[2:3]
	;;#ASMEND
	;; [unrolled: 3-line block ×6, first 2 shown]
	v_cvt_f32_u32_sdwa v19, v80 dst_sel:DWORD dst_unused:UNUSED_PAD src0_sel:WORD_1
	v_cvt_f32_u32_sdwa v18, v80 dst_sel:DWORD dst_unused:UNUSED_PAD src0_sel:WORD_0
	;;#ASMSTART
	v_pk_mul_f32 v[14:15], v[14:15], v[2:3]
	;;#ASMEND
	;;#ASMSTART
	v_pk_mul_f32 v[2:3], v[92:93], v[2:3]
	;;#ASMEND
	;; [unrolled: 3-line block ×4, first 2 shown]
	v_cvt_f32_u32_sdwa v5, v82 dst_sel:DWORD dst_unused:UNUSED_PAD src0_sel:WORD_1
	v_cvt_f32_u32_sdwa v4, v82 dst_sel:DWORD dst_unused:UNUSED_PAD src0_sel:WORD_0
	v_cvt_f32_u32_sdwa v7, v83 dst_sel:DWORD dst_unused:UNUSED_PAD src0_sel:WORD_1
	v_cvt_f32_u32_sdwa v6, v83 dst_sel:DWORD dst_unused:UNUSED_PAD src0_sel:WORD_0
	v_cvt_f32_u32_sdwa v21, v76 dst_sel:DWORD dst_unused:UNUSED_PAD src0_sel:WORD_1
	v_cvt_f32_u32_sdwa v20, v76 dst_sel:DWORD dst_unused:UNUSED_PAD src0_sel:WORD_0
	;;#ASMSTART
	v_pk_mul_f32 v[50:51], v[8:9], v[4:5]
	;;#ASMEND
	;;#ASMSTART
	v_pk_mul_f32 v[40:41], v[10:11], v[6:7]
	;;#ASMEND
	;; [unrolled: 3-line block ×6, first 2 shown]
	s_or_b64 exec, exec, s[30:31]
	s_mov_b64 s[8:9], -1
	s_and_b64 vcc, exec, s[18:19]
	s_cbranch_vccz .LBB672_15
.LBB672_19:
	s_and_saveexec_b64 s[8:9], s[0:1]
	s_cbranch_execz .LBB672_21
; %bb.20:
	s_mul_hi_i32 s19, s16, s6
	s_mul_i32 s18, s16, s6
	s_lshl_b64 s[18:19], s[18:19], 1
	s_add_u32 s36, s34, s18
	s_addc_u32 s7, s35, s19
	s_and_b32 s37, s7, 0xffff
	s_mov_b32 s7, 0x7060302
	s_mov_b32 s39, 0x20000
	v_perm_b32 v5, v41, v40, s7
	v_perm_b32 v4, v51, v50, s7
	;; [unrolled: 1-line block ×4, first 2 shown]
	v_lshlrev_b32_e32 v6, 5, v0
	buffer_store_dwordx4 v[2:5], v6, s[36:39], 0 offen
	;;#ASMSTART
	s_nop 0
	;;#ASMEND
	s_nop 0
	v_perm_b32 v5, v93, v92, s7
	v_perm_b32 v4, v15, v14, s7
	;; [unrolled: 1-line block ×4, first 2 shown]
	buffer_store_dwordx4 v[2:5], v6, s[36:39], 16 offen
	;;#ASMSTART
	s_nop 0
	;;#ASMEND
.LBB672_21:
	s_or_b64 exec, exec, s[8:9]
	s_cbranch_execnz .LBB672_16
.LBB672_22:
	v_mov_b32_e32 v2, 0
	s_and_saveexec_b64 s[8:9], s[0:1]
	s_cbranch_execz .LBB672_24
; %bb.23:
	s_load_dwordx2 s[18:19], s[4:5], 0x10
	s_mul_hi_i32 s31, s15, s6
	s_mul_i32 s30, s15, s6
	s_lshl_b64 s[30:31], s[30:31], 1
	s_mov_b32 s39, 0x20000
	s_waitcnt lgkmcnt(0)
	s_add_u32 s36, s18, s30
	s_addc_u32 s7, s19, s31
	s_and_b32 s37, s7, 0xffff
	s_mov_b32 s7, 0x7060302
	v_perm_b32 v5, v41, v40, s7
	v_perm_b32 v4, v51, v50, s7
	;; [unrolled: 1-line block ×4, first 2 shown]
	v_lshlrev_b32_e32 v6, 5, v0
	buffer_store_dwordx4 v[2:5], v6, s[36:39], 0 offen
	;;#ASMSTART
	s_nop 0
	;;#ASMEND
	s_nop 0
	v_perm_b32 v5, v93, v92, s7
	v_perm_b32 v4, v15, v14, s7
	;; [unrolled: 1-line block ×4, first 2 shown]
	buffer_store_dwordx4 v[2:5], v6, s[36:39], 16 offen
	;;#ASMSTART
	s_nop 0
	;;#ASMEND
	s_nop 0
	v_mov_b32_e32 v2, 0x2edbe6ff
.LBB672_24:
	s_or_b64 exec, exec, s[8:9]
	s_and_saveexec_b64 s[8:9], s[0:1]
	s_cbranch_execz .LBB672_26
; %bb.25:
	v_and_b32_e32 v3, 0x7fffffff, v32
	v_and_b32_e32 v4, 0x7fffffff, v33
	;;#ASMSTART
	v_max3_f32 v2, v2, v3, v4

	;;#ASMEND
	v_and_b32_e32 v5, 0x7fffffff, v18
	v_and_b32_e32 v6, 0x7fffffff, v19
	;;#ASMSTART
	v_max3_f32 v2, v2, v5, v6

	;;#ASMEND
	;; [unrolled: 6-line block ×8, first 2 shown]
.LBB672_26:
	s_or_b64 exec, exec, s[8:9]
	;;#ASMSTART
	v_max_f32 v3, v2, v2 quad_perm:[1,0,3,2] row_mask:0xf bank_mask:0xf bound_ctrl:1
	;;#ASMEND
	;;#ASMSTART
	v_max_f32 v2, v3, v3 quad_perm:[2,3,0,1] row_mask:0xf bank_mask:0xf bound_ctrl:1
	;;#ASMEND
	v_and_b32_e32 v3, 3, v0
	v_cmp_eq_u32_e32 vcc, 0, v3
	v_cmp_gt_i32_e64 s[8:9], s23, v1
	s_and_b64 s[18:19], vcc, s[8:9]
	s_and_saveexec_b64 s[8:9], s[18:19]
	s_cbranch_execz .LBB672_28
; %bb.27:
	s_load_dwordx2 s[18:19], s[4:5], 0x8
	v_mul_f32_e32 v2, 0x3e2aaaab, v2
	v_lshrrev_b32_e32 v3, 23, v2
	v_and_b32_e32 v4, 0x7f800000, v2
	v_and_b32_e32 v2, 0x7fffff, v2
	v_cmp_ne_u32_e32 vcc, 0, v2
	s_mul_hi_i32 s15, s13, s6
	s_mul_i32 s13, s13, s6
	s_mov_b32 s7, 0x7f800000
	v_addc_co_u32_e32 v2, vcc, 0, v3, vcc
	s_waitcnt lgkmcnt(0)
	s_add_u32 s18, s18, s13
	v_cmp_ne_u32_e32 vcc, s7, v4
	s_addc_u32 s19, s19, s15
	v_lshrrev_b32_e32 v5, 2, v0
	v_cndmask_b32_e32 v4, -1, v2, vcc
	v_pk_mov_b32 v[2:3], s[18:19], s[18:19] op_sel:[0,1]
	v_mad_i64_i32 v[2:3], s[14:15], s14, v5, v[2:3]
	global_store_byte v[2:3], v4, off
.LBB672_28:
	s_or_b64 exec, exec, s[8:9]
	s_and_saveexec_b64 s[8:9], s[0:1]
	s_cbranch_execz .LBB672_30
; %bb.29:
	s_load_dwordx2 s[0:1], s[4:5], 0x0
	s_mul_hi_i32 s7, s12, s6
	s_mul_i32 s12, s12, s6
	v_mov_b32_e32 v2, 0
	v_lshlrev_b32_e32 v4, 3, v0
	s_waitcnt lgkmcnt(0)
	s_add_u32 s12, s0, s12
	s_addc_u32 s0, s1, s7
	s_lshr_b32 s1, s23, 31
	s_add_i32 s1, s23, s1
	s_ashr_i32 s1, s1, 1
	s_add_i32 s1, s1, 3
	s_ashr_i32 s7, s1, 31
	s_lshr_b32 s7, s7, 30
	s_add_i32 s1, s1, s7
	s_and_b32 s14, s1, -4
	s_and_b32 s13, s0, 0xffff
	s_mov_b32 s15, 0x20000
	v_mov_b32_e32 v3, v2
	buffer_store_dwordx2 v[2:3], v4, s[12:15], 0 offen
	;;#ASMSTART
	s_nop 0
	;;#ASMEND
.LBB672_30:
	s_or_b64 exec, exec, s[8:9]
	s_cmp_lt_i32 s24, 1
	s_cbranch_scc1 .LBB672_17
.LBB672_31:
	s_load_dword s0, s[4:5], 0x94
	s_waitcnt lgkmcnt(0)
	s_cmp_lg_u32 s0, 1
	s_cbranch_scc1 .LBB672_17
; %bb.32:
	s_lshl_b32 s0, s24, 1
	s_add_i32 s0, s0, 2
	v_cmp_gt_u32_e32 vcc, s24, v1
	s_and_b32 s30, s0, -4
	v_mov_b32_e32 v18, 0
	v_lshlrev_b32_e32 v1, 5, v0
	v_mov_b32_e32 v14, 0
	v_mov_b32_e32 v15, 0
	;; [unrolled: 1-line block ×16, first 2 shown]
	s_barrier
	s_and_saveexec_b64 s[0:1], vcc
	s_cbranch_execz .LBB672_34
; %bb.33:
	s_mul_hi_i32 s5, s26, s6
	s_mul_i32 s4, s26, s6
	s_and_b32 s29, s29, 0xffff
	s_lshl_b64 s[4:5], s[4:5], 1
	s_add_u32 s8, s10, s4
	s_mov_b32 s31, 0x20000
	s_addc_u32 s4, s11, s5
	s_and_b32 s9, s4, 0xffff
	s_mov_b32 s10, s30
	s_mov_b32 s11, s31
	buffer_load_dwordx4 v[14:17], v1, s[8:11], 0 offen
	buffer_load_dwordx4 v[10:13], v1, s[8:11], 16 offen
	;; [unrolled: 1-line block ×4, first 2 shown]
.LBB672_34:
	s_or_b64 exec, exec, s[0:1]
	v_mov_b32_e32 v19, 0
	v_mov_b32_e32 v32, 0
	;; [unrolled: 1-line block ×15, first 2 shown]
	s_and_saveexec_b64 s[0:1], vcc
	s_cbranch_execz .LBB672_36
; %bb.35:
	s_waitcnt vmcnt(3)
	v_cvt_f32_u32_sdwa v18, v14 dst_sel:DWORD dst_unused:UNUSED_PAD src0_sel:WORD_0
	v_cvt_f32_u32_sdwa v19, v14 dst_sel:DWORD dst_unused:UNUSED_PAD src0_sel:WORD_1
	v_cvt_f32_u32_sdwa v32, v15 dst_sel:DWORD dst_unused:UNUSED_PAD src0_sel:WORD_0
	v_cvt_f32_u32_sdwa v33, v15 dst_sel:DWORD dst_unused:UNUSED_PAD src0_sel:WORD_1
	v_cvt_f32_u32_sdwa v30, v16 dst_sel:DWORD dst_unused:UNUSED_PAD src0_sel:WORD_0
	v_cvt_f32_u32_sdwa v31, v16 dst_sel:DWORD dst_unused:UNUSED_PAD src0_sel:WORD_1
	v_cvt_f32_u32_sdwa v28, v17 dst_sel:DWORD dst_unused:UNUSED_PAD src0_sel:WORD_0
	v_cvt_f32_u32_sdwa v29, v17 dst_sel:DWORD dst_unused:UNUSED_PAD src0_sel:WORD_1
	s_waitcnt vmcnt(2)
	v_cvt_f32_u32_sdwa v26, v10 dst_sel:DWORD dst_unused:UNUSED_PAD src0_sel:WORD_0
	v_cvt_f32_u32_sdwa v27, v10 dst_sel:DWORD dst_unused:UNUSED_PAD src0_sel:WORD_1
	v_cvt_f32_u32_sdwa v24, v11 dst_sel:DWORD dst_unused:UNUSED_PAD src0_sel:WORD_0
	v_cvt_f32_u32_sdwa v25, v11 dst_sel:DWORD dst_unused:UNUSED_PAD src0_sel:WORD_1
	v_cvt_f32_u32_sdwa v22, v12 dst_sel:DWORD dst_unused:UNUSED_PAD src0_sel:WORD_0
	v_cvt_f32_u32_sdwa v23, v12 dst_sel:DWORD dst_unused:UNUSED_PAD src0_sel:WORD_1
	v_cvt_f32_u32_sdwa v20, v13 dst_sel:DWORD dst_unused:UNUSED_PAD src0_sel:WORD_0
	v_cvt_f32_u32_sdwa v21, v13 dst_sel:DWORD dst_unused:UNUSED_PAD src0_sel:WORD_1
.LBB672_36:
	s_or_b64 exec, exec, s[0:1]
	s_waitcnt vmcnt(2)
	v_mul_f32_e32 v10, v19, v19
	v_fmac_f32_e32 v10, v18, v18
	v_fmac_f32_e32 v10, v32, v32
	;; [unrolled: 1-line block ×15, first 2 shown]
	s_nop 1
	v_mov_b32_dpp v11, v10 quad_perm:[1,0,3,2] row_mask:0xf bank_mask:0xf
	v_add_f32_e32 v10, v10, v11
	s_nop 1
	v_mov_b32_dpp v11, v10 quad_perm:[2,3,0,1] row_mask:0xf bank_mask:0xf
	v_add_f32_e32 v10, v10, v11
	s_nop 1
	v_mov_b32_dpp v11, v10 row_half_mirror row_mask:0xf bank_mask:0xf
	v_add_f32_e32 v10, v10, v11
	s_nop 1
	v_mov_b32_dpp v11, v10 row_mirror row_mask:0xf bank_mask:0xf
	v_add_f32_e32 v10, v10, v11
	s_nop 1
	v_mov_b32_dpp v11, v10 row_bcast:15 row_mask:0xf bank_mask:0xf
	v_add_f32_e32 v10, v10, v11
	s_nop 1
	v_mov_b32_dpp v11, v10 row_bcast:31 row_mask:0xf bank_mask:0xf
	s_and_saveexec_b64 s[0:1], s[2:3]
	s_cbranch_execz .LBB672_38
; %bb.37:
	v_lshrrev_b32_e32 v0, 4, v0
	v_add_f32_e32 v10, v10, v11
	v_and_b32_e32 v0, 60, v0
	ds_write_b32 v0, v10
.LBB672_38:
	s_or_b64 exec, exec, s[0:1]
	s_waitcnt lgkmcnt(0)
	s_barrier
	ds_read_b32 v0, v34
	s_waitcnt lgkmcnt(0)
	s_nop 0
	v_mov_b32_dpp v10, v0 quad_perm:[1,0,3,2] row_mask:0xf bank_mask:0xf
	s_and_saveexec_b64 s[0:1], vcc
	s_cbranch_execz .LBB672_17
; %bb.39:
	v_cvt_f32_u32_e32 v11, s24
	v_add_f32_e32 v0, v0, v10
	s_mov_b32 s31, 0x20000
	v_div_scale_f32 v10, s[0:1], v11, v11, v0
	v_rcp_f32_e32 v12, v10
	v_div_scale_f32 v13, vcc, v0, v11, v0
	s_mov_b32 s0, 0x800000
	v_fma_f32 v14, -v10, v12, 1.0
	v_fmac_f32_e32 v12, v14, v12
	v_mul_f32_e32 v14, v13, v12
	v_fma_f32 v15, -v10, v14, v13
	v_fmac_f32_e32 v14, v15, v12
	v_fma_f32 v10, -v10, v14, v13
	v_div_fmas_f32 v10, v10, v12, v14
	v_div_fixup_f32 v0, v10, v11, v0
	v_add_f32_e32 v0, s21, v0
	v_mul_f32_e32 v10, 0x4b800000, v0
	v_cmp_gt_f32_e32 vcc, s0, v0
	v_cndmask_b32_e32 v0, v0, v10, vcc
	v_rsq_f32_e32 v0, v0
	s_mul_hi_i32 s1, s16, s6
	s_mul_i32 s0, s16, s6
	s_lshl_b64 s[0:1], s[0:1], 1
	v_mul_f32_e32 v10, 0x45800000, v0
	v_cndmask_b32_e32 v10, v0, v10, vcc
	v_mov_b32_e32 v11, v10
	s_add_u32 s28, s34, s0
	;;#ASMSTART
	v_pk_mul_f32 v[12:13], v[18:19], v[10:11]
	;;#ASMEND
	;;#ASMSTART
	v_pk_mul_f32 v[14:15], v[32:33], v[10:11]
	;;#ASMEND
	;; [unrolled: 3-line block ×8, first 2 shown]
	s_waitcnt vmcnt(1)
	v_cvt_f32_u32_sdwa v21, v6 dst_sel:DWORD dst_unused:UNUSED_PAD src0_sel:WORD_1
	v_cvt_f32_u32_sdwa v20, v6 dst_sel:DWORD dst_unused:UNUSED_PAD src0_sel:WORD_0
	v_cvt_f32_u32_sdwa v29, v7 dst_sel:DWORD dst_unused:UNUSED_PAD src0_sel:WORD_1
	v_cvt_f32_u32_sdwa v28, v7 dst_sel:DWORD dst_unused:UNUSED_PAD src0_sel:WORD_0
	;; [unrolled: 2-line block ×3, first 2 shown]
	s_addc_u32 s0, s35, s1
	v_cvt_f32_u32_sdwa v31, v9 dst_sel:DWORD dst_unused:UNUSED_PAD src0_sel:WORD_1
	v_cvt_f32_u32_sdwa v30, v9 dst_sel:DWORD dst_unused:UNUSED_PAD src0_sel:WORD_0
	;;#ASMSTART
	v_pk_mul_f32 v[8:9], v[12:13], v[20:21]
	;;#ASMEND
	;;#ASMSTART
	v_pk_mul_f32 v[12:13], v[14:15], v[28:29]
	;;#ASMEND
	;; [unrolled: 3-line block ×4, first 2 shown]
	s_waitcnt vmcnt(0)
	v_cvt_f32_u32_sdwa v17, v2 dst_sel:DWORD dst_unused:UNUSED_PAD src0_sel:WORD_1
	v_cvt_f32_u32_sdwa v16, v2 dst_sel:DWORD dst_unused:UNUSED_PAD src0_sel:WORD_0
	v_cvt_f32_u32_sdwa v19, v3 dst_sel:DWORD dst_unused:UNUSED_PAD src0_sel:WORD_1
	v_cvt_f32_u32_sdwa v18, v3 dst_sel:DWORD dst_unused:UNUSED_PAD src0_sel:WORD_0
	;; [unrolled: 2-line block ×3, first 2 shown]
	s_and_b32 s29, s0, 0xffff
	s_mov_b32 s0, 0x7060302
	v_cvt_f32_u32_sdwa v21, v5 dst_sel:DWORD dst_unused:UNUSED_PAD src0_sel:WORD_1
	v_cvt_f32_u32_sdwa v20, v5 dst_sel:DWORD dst_unused:UNUSED_PAD src0_sel:WORD_0
	;;#ASMSTART
	v_pk_mul_f32 v[16:17], v[26:27], v[16:17]
	;;#ASMEND
	;;#ASMSTART
	v_pk_mul_f32 v[18:19], v[24:25], v[18:19]
	;;#ASMEND
	;; [unrolled: 3-line block ×3, first 2 shown]
	v_perm_b32 v2, v9, v8, s0
	v_perm_b32 v3, v13, v12, s0
	v_perm_b32 v4, v7, v6, s0
	v_perm_b32 v5, v15, v14, s0
	;;#ASMSTART
	v_pk_mul_f32 v[10:11], v[10:11], v[20:21]
	;;#ASMEND
	buffer_store_dwordx4 v[2:5], v1, s[28:31], 0 offen
	;;#ASMSTART
	s_nop 0
	;;#ASMEND
	s_nop 0
	v_perm_b32 v2, v17, v16, s0
	v_perm_b32 v3, v19, v18, s0
	v_perm_b32 v4, v23, v22, s0
	v_perm_b32 v5, v11, v10, s0
	buffer_store_dwordx4 v[2:5], v1, s[28:31], 16 offen
	;;#ASMSTART
	s_nop 0
	;;#ASMEND
	s_endpgm
	.section	.rodata,"a",@progbits
	.p2align	6, 0x0
	.amdhsa_kernel _ZN5aiter35fused_qk_rmsnorm_group_quant_kernelItN4opus5fp4_tELi128ELi16ELi4ELb1ELb1ELb0ELb0ELb0ELb0EEEvPT0_PvPT_S7_S7_PKS6_S9_S9_S9_S9_ffiiiiiiiiiiiii
		.amdhsa_group_segment_fixed_size 16
		.amdhsa_private_segment_fixed_size 0
		.amdhsa_kernarg_size 400
		.amdhsa_user_sgpr_count 6
		.amdhsa_user_sgpr_private_segment_buffer 1
		.amdhsa_user_sgpr_dispatch_ptr 0
		.amdhsa_user_sgpr_queue_ptr 0
		.amdhsa_user_sgpr_kernarg_segment_ptr 1
		.amdhsa_user_sgpr_dispatch_id 0
		.amdhsa_user_sgpr_flat_scratch_init 0
		.amdhsa_user_sgpr_kernarg_preload_length 0
		.amdhsa_user_sgpr_kernarg_preload_offset 0
		.amdhsa_user_sgpr_private_segment_size 0
		.amdhsa_uses_dynamic_stack 0
		.amdhsa_system_sgpr_private_segment_wavefront_offset 0
		.amdhsa_system_sgpr_workgroup_id_x 1
		.amdhsa_system_sgpr_workgroup_id_y 1
		.amdhsa_system_sgpr_workgroup_id_z 0
		.amdhsa_system_sgpr_workgroup_info 0
		.amdhsa_system_vgpr_workitem_id 0
		.amdhsa_next_free_vgpr 94
		.amdhsa_next_free_sgpr 44
		.amdhsa_accum_offset 96
		.amdhsa_reserve_vcc 1
		.amdhsa_reserve_flat_scratch 0
		.amdhsa_float_round_mode_32 0
		.amdhsa_float_round_mode_16_64 0
		.amdhsa_float_denorm_mode_32 3
		.amdhsa_float_denorm_mode_16_64 3
		.amdhsa_dx10_clamp 1
		.amdhsa_ieee_mode 1
		.amdhsa_fp16_overflow 0
		.amdhsa_tg_split 0
		.amdhsa_exception_fp_ieee_invalid_op 0
		.amdhsa_exception_fp_denorm_src 0
		.amdhsa_exception_fp_ieee_div_zero 0
		.amdhsa_exception_fp_ieee_overflow 0
		.amdhsa_exception_fp_ieee_underflow 0
		.amdhsa_exception_fp_ieee_inexact 0
		.amdhsa_exception_int_div_zero 0
	.end_amdhsa_kernel
	.section	.text._ZN5aiter35fused_qk_rmsnorm_group_quant_kernelItN4opus5fp4_tELi128ELi16ELi4ELb1ELb1ELb0ELb0ELb0ELb0EEEvPT0_PvPT_S7_S7_PKS6_S9_S9_S9_S9_ffiiiiiiiiiiiii,"axG",@progbits,_ZN5aiter35fused_qk_rmsnorm_group_quant_kernelItN4opus5fp4_tELi128ELi16ELi4ELb1ELb1ELb0ELb0ELb0ELb0EEEvPT0_PvPT_S7_S7_PKS6_S9_S9_S9_S9_ffiiiiiiiiiiiii,comdat
.Lfunc_end672:
	.size	_ZN5aiter35fused_qk_rmsnorm_group_quant_kernelItN4opus5fp4_tELi128ELi16ELi4ELb1ELb1ELb0ELb0ELb0ELb0EEEvPT0_PvPT_S7_S7_PKS6_S9_S9_S9_S9_ffiiiiiiiiiiiii, .Lfunc_end672-_ZN5aiter35fused_qk_rmsnorm_group_quant_kernelItN4opus5fp4_tELi128ELi16ELi4ELb1ELb1ELb0ELb0ELb0ELb0EEEvPT0_PvPT_S7_S7_PKS6_S9_S9_S9_S9_ffiiiiiiiiiiiii
                                        ; -- End function
	.section	.AMDGPU.csdata,"",@progbits
; Kernel info:
; codeLenInByte = 3908
; NumSgprs: 48
; NumVgprs: 94
; NumAgprs: 0
; TotalNumVgprs: 94
; ScratchSize: 0
; MemoryBound: 0
; FloatMode: 240
; IeeeMode: 1
; LDSByteSize: 16 bytes/workgroup (compile time only)
; SGPRBlocks: 5
; VGPRBlocks: 11
; NumSGPRsForWavesPerEU: 48
; NumVGPRsForWavesPerEU: 94
; AccumOffset: 96
; Occupancy: 5
; WaveLimiterHint : 0
; COMPUTE_PGM_RSRC2:SCRATCH_EN: 0
; COMPUTE_PGM_RSRC2:USER_SGPR: 6
; COMPUTE_PGM_RSRC2:TRAP_HANDLER: 0
; COMPUTE_PGM_RSRC2:TGID_X_EN: 1
; COMPUTE_PGM_RSRC2:TGID_Y_EN: 1
; COMPUTE_PGM_RSRC2:TGID_Z_EN: 0
; COMPUTE_PGM_RSRC2:TIDIG_COMP_CNT: 0
; COMPUTE_PGM_RSRC3_GFX90A:ACCUM_OFFSET: 23
; COMPUTE_PGM_RSRC3_GFX90A:TG_SPLIT: 0
	.section	.text._ZN5aiter35fused_qk_rmsnorm_group_quant_kernelIDF16_DB8_Li128ELi16ELi4ELb1ELb0ELb1ELb0ELb0ELb0EEEvPT0_PvPT_S6_S6_PKS5_S8_S8_S8_S8_ffiiiiiiiiiiiii,"axG",@progbits,_ZN5aiter35fused_qk_rmsnorm_group_quant_kernelIDF16_DB8_Li128ELi16ELi4ELb1ELb0ELb1ELb0ELb0ELb0EEEvPT0_PvPT_S6_S6_PKS5_S8_S8_S8_S8_ffiiiiiiiiiiiii,comdat
	.protected	_ZN5aiter35fused_qk_rmsnorm_group_quant_kernelIDF16_DB8_Li128ELi16ELi4ELb1ELb0ELb1ELb0ELb0ELb0EEEvPT0_PvPT_S6_S6_PKS5_S8_S8_S8_S8_ffiiiiiiiiiiiii ; -- Begin function _ZN5aiter35fused_qk_rmsnorm_group_quant_kernelIDF16_DB8_Li128ELi16ELi4ELb1ELb0ELb1ELb0ELb0ELb0EEEvPT0_PvPT_S6_S6_PKS5_S8_S8_S8_S8_ffiiiiiiiiiiiii
	.globl	_ZN5aiter35fused_qk_rmsnorm_group_quant_kernelIDF16_DB8_Li128ELi16ELi4ELb1ELb0ELb1ELb0ELb0ELb0EEEvPT0_PvPT_S6_S6_PKS5_S8_S8_S8_S8_ffiiiiiiiiiiiii
	.p2align	8
	.type	_ZN5aiter35fused_qk_rmsnorm_group_quant_kernelIDF16_DB8_Li128ELi16ELi4ELb1ELb0ELb1ELb0ELb0ELb0EEEvPT0_PvPT_S6_S6_PKS5_S8_S8_S8_S8_ffiiiiiiiiiiiii,@function
_ZN5aiter35fused_qk_rmsnorm_group_quant_kernelIDF16_DB8_Li128ELi16ELi4ELb1ELb0ELb1ELb0ELb0ELb0EEEvPT0_PvPT_S6_S6_PKS5_S8_S8_S8_S8_ffiiiiiiiiiiiii: ; @_ZN5aiter35fused_qk_rmsnorm_group_quant_kernelIDF16_DB8_Li128ELi16ELi4ELb1ELb0ELb1ELb0ELb0ELb0EEEvPT0_PvPT_S6_S6_PKS5_S8_S8_S8_S8_ffiiiiiiiiiiiii
; %bb.0:
	s_load_dwordx8 s[12:19], s[4:5], 0x50
	s_waitcnt lgkmcnt(0)
	s_cmp_ge_i32 s6, s14
	s_cbranch_scc1 .LBB673_17
; %bb.1:
	s_cmp_lg_u32 s7, 0
	s_cselect_b64 s[10:11], -1, 0
	s_cmp_eq_u32 s7, 0
	s_cselect_b64 s[8:9], -1, 0
	s_and_b64 s[0:1], s[8:9], exec
	s_load_dwordx2 s[20:21], s[4:5], 0x48
	s_load_dwordx2 s[36:37], s[4:5], 0x30
	s_load_dwordx4 s[24:27], s[4:5], 0x70
	s_cselect_b32 s7, s15, s16
	s_add_i32 s0, s7, 1
	s_lshr_b32 s1, s0, 31
	s_add_i32 s0, s0, s1
	s_lshl_b32 s0, s0, 1
	v_lshlrev_b32_e32 v1, 4, v0
	s_and_b32 s30, s0, -4
	v_cmp_gt_i32_e64 s[0:1], s7, v1
	v_mov_b32_e32 v76, 0
	v_mov_b32_e32 v77, 0
	;; [unrolled: 1-line block ×16, first 2 shown]
	s_and_saveexec_b64 s[2:3], s[0:1]
	s_cbranch_execz .LBB673_3
; %bb.2:
	s_load_dwordx2 s[22:23], s[4:5], 0x28
	s_load_dwordx2 s[28:29], s[4:5], 0x40
	s_and_b64 s[34:35], s[8:9], exec
	s_cselect_b32 s14, s17, s18
	s_mov_b32 s31, 0x20000
	s_waitcnt lgkmcnt(0)
	s_cselect_b32 s17, s23, s37
	s_cselect_b32 s27, s22, s36
	s_mul_hi_i32 s23, s14, s6
	s_mul_i32 s22, s14, s6
	s_lshl_b64 s[22:23], s[22:23], 1
	s_add_u32 s40, s27, s22
	s_addc_u32 s14, s17, s23
	s_and_b64 s[22:23], s[8:9], exec
	s_cselect_b32 s28, s28, s20
	s_cselect_b32 s17, s29, s21
	s_and_b32 s41, s14, 0xffff
	s_mov_b32 s42, s30
	s_mov_b32 s43, s31
	v_lshlrev_b32_e32 v2, 5, v0
	s_and_b32 s29, s17, 0xffff
	buffer_load_dwordx4 v[80:83], v2, s[40:43], 0 offen
	buffer_load_dwordx4 v[84:87], v2, s[40:43], 16 offen
	;; [unrolled: 1-line block ×4, first 2 shown]
.LBB673_3:
	s_or_b64 exec, exec, s[2:3]
	s_load_dwordx2 s[34:35], s[4:5], 0x80
	s_and_b64 vcc, exec, s[10:11]
	s_cbranch_vccz .LBB673_7
; %bb.4:
	v_mov_b32_e32 v89, 0
	v_mov_b32_e32 v88, 0
	;; [unrolled: 1-line block ×16, first 2 shown]
	s_and_saveexec_b64 s[2:3], s[0:1]
	s_cbranch_execz .LBB673_6
; %bb.5:
	s_waitcnt vmcnt(3)
	v_cvt_f32_f16_sdwa v49, v80 dst_sel:DWORD dst_unused:UNUSED_PAD src0_sel:WORD_1
	v_cvt_f32_f16_e32 v48, v80
	v_cvt_f32_f16_sdwa v35, v81 dst_sel:DWORD dst_unused:UNUSED_PAD src0_sel:WORD_1
	v_cvt_f32_f16_e32 v34, v81
	;; [unrolled: 2-line block ×4, first 2 shown]
	s_waitcnt vmcnt(2)
	v_cvt_f32_f16_sdwa v65, v84 dst_sel:DWORD dst_unused:UNUSED_PAD src0_sel:WORD_1
	v_cvt_f32_f16_e32 v64, v84
	v_cvt_f32_f16_sdwa v19, v85 dst_sel:DWORD dst_unused:UNUSED_PAD src0_sel:WORD_1
	v_cvt_f32_f16_e32 v18, v85
	;; [unrolled: 2-line block ×4, first 2 shown]
.LBB673_6:
	s_or_b64 exec, exec, s[2:3]
	s_cbranch_execz .LBB673_8
	s_branch .LBB673_11
.LBB673_7:
                                        ; implicit-def: $vgpr32_vgpr33_vgpr34_vgpr35_vgpr36_vgpr37_vgpr38_vgpr39_vgpr40_vgpr41_vgpr42_vgpr43_vgpr44_vgpr45_vgpr46_vgpr47
                                        ; implicit-def: $vgpr48_vgpr49_vgpr50_vgpr51_vgpr52_vgpr53_vgpr54_vgpr55_vgpr56_vgpr57_vgpr58_vgpr59_vgpr60_vgpr61_vgpr62_vgpr63
                                        ; implicit-def: $vgpr18_vgpr19_vgpr20_vgpr21_vgpr22_vgpr23_vgpr24_vgpr25_vgpr26_vgpr27_vgpr28_vgpr29_vgpr30_vgpr31_vgpr32_vgpr33
                                        ; implicit-def: $vgpr50_vgpr51_vgpr52_vgpr53_vgpr54_vgpr55_vgpr56_vgpr57_vgpr58_vgpr59_vgpr60_vgpr61_vgpr62_vgpr63_vgpr64_vgpr65
                                        ; implicit-def: $vgpr89
                                        ; implicit-def: $vgpr8_vgpr9_vgpr10_vgpr11_vgpr12_vgpr13_vgpr14_vgpr15_vgpr16_vgpr17_vgpr18_vgpr19_vgpr20_vgpr21_vgpr22_vgpr23
                                        ; implicit-def: $vgpr56_vgpr57_vgpr58_vgpr59_vgpr60_vgpr61_vgpr62_vgpr63_vgpr64_vgpr65_vgpr66_vgpr67_vgpr68_vgpr69_vgpr70_vgpr71
                                        ; implicit-def: $vgpr2_vgpr3_vgpr4_vgpr5_vgpr6_vgpr7_vgpr8_vgpr9_vgpr10_vgpr11_vgpr12_vgpr13_vgpr14_vgpr15_vgpr16_vgpr17
.LBB673_8:
	v_mov_b32_e32 v89, 0
	v_mov_b32_e32 v88, 0
	v_mov_b32_e32 v15, 0
	v_mov_b32_e32 v14, 0
	v_mov_b32_e32 v19, 0
	v_mov_b32_e32 v18, 0
	v_mov_b32_e32 v65, 0
	v_mov_b32_e32 v64, 0
	v_mov_b32_e32 v25, 0
	v_mov_b32_e32 v24, 0
	v_mov_b32_e32 v55, 0
	v_mov_b32_e32 v54, 0
	v_mov_b32_e32 v35, 0
	v_mov_b32_e32 v34, 0
	v_mov_b32_e32 v49, 0
	v_mov_b32_e32 v48, 0
	s_and_saveexec_b64 s[2:3], s[0:1]
	s_cbranch_execz .LBB673_10
; %bb.9:
	s_load_dwordx2 s[22:23], s[4:5], 0x38
	s_mul_hi_i32 s29, s19, s6
	s_mul_i32 s28, s19, s6
	s_lshl_b64 s[28:29], s[28:29], 1
	s_mov_b32 s31, 0x20000
	s_waitcnt lgkmcnt(0)
	s_add_u32 s28, s22, s28
	s_addc_u32 s14, s23, s29
	s_and_b32 s29, s14, 0xffff
	v_lshlrev_b32_e32 v38, 5, v0
	buffer_load_dwordx4 v[6:9], v38, s[28:31], 16 offen
	buffer_load_dwordx4 v[10:13], v38, s[28:31], 0 offen
	s_waitcnt vmcnt(5)
	v_cvt_f32_f16_sdwa v23, v82 dst_sel:DWORD dst_unused:UNUSED_PAD src0_sel:WORD_1
	v_cvt_f32_f16_e32 v22, v82
	v_cvt_f32_f16_sdwa v25, v83 dst_sel:DWORD dst_unused:UNUSED_PAD src0_sel:WORD_1
	v_cvt_f32_f16_e32 v24, v83
	v_cvt_f32_f16_sdwa v21, v81 dst_sel:DWORD dst_unused:UNUSED_PAD src0_sel:WORD_1
	v_cvt_f32_f16_e32 v20, v81
	v_cvt_f32_f16_sdwa v19, v80 dst_sel:DWORD dst_unused:UNUSED_PAD src0_sel:WORD_1
	v_cvt_f32_f16_e32 v18, v80
	s_load_dwordx2 s[22:23], s[4:5], 0x20
	s_waitcnt vmcnt(4)
	v_cvt_f32_f16_sdwa v3, v84 dst_sel:DWORD dst_unused:UNUSED_PAD src0_sel:WORD_1
	v_cvt_f32_f16_e32 v2, v84
	v_cvt_f32_f16_sdwa v5, v85 dst_sel:DWORD dst_unused:UNUSED_PAD src0_sel:WORD_1
	v_cvt_f32_f16_e32 v4, v85
	v_cvt_f32_f16_sdwa v15, v86 dst_sel:DWORD dst_unused:UNUSED_PAD src0_sel:WORD_1
	v_cvt_f32_f16_e32 v14, v86
	v_cvt_f32_f16_sdwa v17, v87 dst_sel:DWORD dst_unused:UNUSED_PAD src0_sel:WORD_1
	v_cvt_f32_f16_e32 v16, v87
	s_mul_hi_i32 s29, s35, s6
	s_mul_i32 s28, s35, s6
	s_lshl_b64 s[28:29], s[28:29], 1
	s_waitcnt lgkmcnt(0)
	s_add_u32 s28, s22, s28
	s_addc_u32 s14, s23, s29
	s_and_b32 s29, s14, 0xffff
	s_waitcnt vmcnt(1)
	v_cvt_f32_f16_e32 v26, v6
	v_cvt_f32_f16_sdwa v27, v6 dst_sel:DWORD dst_unused:UNUSED_PAD src0_sel:WORD_1
	v_cvt_f32_f16_e32 v28, v7
	v_cvt_f32_f16_sdwa v29, v7 dst_sel:DWORD dst_unused:UNUSED_PAD src0_sel:WORD_1
	;; [unrolled: 2-line block ×4, first 2 shown]
	s_waitcnt vmcnt(0)
	v_cvt_f32_f16_e32 v6, v12
	v_cvt_f32_f16_sdwa v7, v12 dst_sel:DWORD dst_unused:UNUSED_PAD src0_sel:WORD_1
	v_cvt_f32_f16_e32 v8, v13
	v_cvt_f32_f16_sdwa v9, v13 dst_sel:DWORD dst_unused:UNUSED_PAD src0_sel:WORD_1
	;; [unrolled: 2-line block ×4, first 2 shown]
	v_pk_add_f32 v[54:55], v[22:23], v[6:7]
	v_pk_add_f32 v[24:25], v[24:25], v[8:9]
	v_cvt_f16_f32_e32 v6, v55
	v_cvt_f16_f32_e32 v7, v25
	;; [unrolled: 1-line block ×4, first 2 shown]
	v_pk_add_f32 v[34:35], v[20:21], v[10:11]
	v_pk_add_f32 v[48:49], v[18:19], v[36:37]
	v_pack_b32_f16 v9, v8, v7
	v_pack_b32_f16 v8, v12, v6
	v_cvt_f16_f32_e32 v6, v35
	v_cvt_f16_f32_e32 v7, v34
	;; [unrolled: 1-line block ×3, first 2 shown]
	v_pk_add_f32 v[88:89], v[16:17], v[32:33]
	v_pk_add_f32 v[14:15], v[14:15], v[30:31]
	v_pack_b32_f16 v7, v7, v6
	v_cvt_f16_f32_e32 v6, v49
	v_pk_add_f32 v[18:19], v[4:5], v[28:29]
	v_pk_add_f32 v[64:65], v[2:3], v[26:27]
	v_cvt_f16_f32_e32 v4, v18
	v_pack_b32_f16 v6, v10, v6
	buffer_store_dwordx4 v[6:9], v38, s[28:31], 0 offen
	v_cvt_f16_f32_e32 v5, v19
	v_cvt_f16_f32_e32 v6, v14
	;; [unrolled: 1-line block ×7, first 2 shown]
	v_pack_b32_f16 v7, v7, v8
	v_pack_b32_f16 v6, v6, v9
	;; [unrolled: 1-line block ×4, first 2 shown]
	;;#ASMSTART
	s_nop 0
	;;#ASMEND
	buffer_store_dwordx4 v[4:7], v38, s[28:31], 16 offen
	;;#ASMSTART
	s_nop 0
	;;#ASMEND
.LBB673_10:
	s_or_b64 exec, exec, s[2:3]
.LBB673_11:
	v_mul_f32_e32 v2, v49, v49
	v_fmac_f32_e32 v2, v48, v48
	v_fmac_f32_e32 v2, v34, v34
	;; [unrolled: 1-line block ×15, first 2 shown]
	s_nop 1
	v_mov_b32_dpp v3, v2 quad_perm:[1,0,3,2] row_mask:0xf bank_mask:0xf
	v_add_f32_e32 v2, v2, v3
	s_nop 1
	v_mov_b32_dpp v3, v2 quad_perm:[2,3,0,1] row_mask:0xf bank_mask:0xf
	v_add_f32_e32 v2, v2, v3
	s_nop 1
	v_mov_b32_dpp v3, v2 row_half_mirror row_mask:0xf bank_mask:0xf
	v_add_f32_e32 v2, v2, v3
	s_nop 1
	v_mov_b32_dpp v3, v2 row_mirror row_mask:0xf bank_mask:0xf
	v_add_f32_e32 v2, v2, v3
	s_nop 1
	v_mov_b32_dpp v3, v2 row_bcast:15 row_mask:0xf bank_mask:0xf
	v_add_f32_e32 v2, v2, v3
	v_and_b32_e32 v3, 63, v0
	v_cmp_eq_u32_e64 s[2:3], 63, v3
	s_nop 0
	v_mov_b32_dpp v3, v2 row_bcast:31 row_mask:0xf bank_mask:0xf
	s_and_saveexec_b64 s[22:23], s[2:3]
	s_cbranch_execz .LBB673_13
; %bb.12:
	v_add_f32_e32 v2, v2, v3
	v_lshrrev_b32_e32 v3, 4, v0
	v_and_b32_e32 v3, 60, v3
	ds_write_b32 v3, v2 offset:8
.LBB673_13:
	s_or_b64 exec, exec, s[22:23]
	v_and_b32_e32 v2, 1, v0
	v_lshlrev_b32_e32 v36, 2, v2
	s_waitcnt lgkmcnt(0)
	s_barrier
	ds_read_b32 v2, v36 offset:8
	s_load_dwordx2 s[38:39], s[4:5], 0x18
	s_waitcnt lgkmcnt(0)
	v_mov_b32_dpp v3, v2 quad_perm:[1,0,3,2] row_mask:0xf bank_mask:0xf
	s_and_saveexec_b64 s[22:23], s[0:1]
	s_cbranch_execnz .LBB673_18
; %bb.14:
	s_or_b64 exec, exec, s[22:23]
	s_mov_b64 s[8:9], -1
	s_and_b64 vcc, exec, s[10:11]
	s_cbranch_vccnz .LBB673_19
.LBB673_15:
	s_andn2_b64 vcc, exec, s[8:9]
	s_cbranch_vccz .LBB673_22
.LBB673_16:
	s_cmp_lt_i32 s16, 1
	s_cbranch_scc0 .LBB673_29
.LBB673_17:
	s_endpgm
.LBB673_18:
	v_add_f32_e32 v2, v2, v3
	v_cvt_f32_u32_e32 v3, s7
	s_mov_b32 s7, 0x800000
	s_waitcnt vmcnt(1)
	v_cvt_f32_f16_sdwa v17, v76 dst_sel:DWORD dst_unused:UNUSED_PAD src0_sel:WORD_1
	v_cvt_f32_f16_e32 v16, v76
	v_div_scale_f32 v4, s[28:29], v3, v3, v2
	v_rcp_f32_e32 v5, v4
	v_pk_add_f32 v[16:17], v[16:17], 1.0 op_sel_hi:[1,0]
	v_cvt_f32_f16_sdwa v21, v79 dst_sel:DWORD dst_unused:UNUSED_PAD src0_sel:WORD_1
	v_cvt_f32_f16_e32 v20, v79
	v_fma_f32 v6, -v4, v5, 1.0
	v_fmac_f32_e32 v5, v6, v5
	v_div_scale_f32 v6, vcc, v2, v3, v2
	v_mul_f32_e32 v7, v6, v5
	v_fma_f32 v8, -v4, v7, v6
	v_fmac_f32_e32 v7, v8, v5
	v_fma_f32 v4, -v4, v7, v6
	v_div_fmas_f32 v4, v4, v5, v7
	v_div_fixup_f32 v2, v4, v3, v2
	v_mov_b32_e32 v3, s13
	v_mov_b32_e32 v4, s12
	v_cndmask_b32_e64 v3, v3, v4, s[8:9]
	v_add_f32_e32 v2, v3, v2
	v_mul_f32_e32 v3, 0x4b800000, v2
	v_cmp_gt_f32_e32 vcc, s7, v2
	v_cndmask_b32_e32 v2, v2, v3, vcc
	v_rsq_f32_e32 v2, v2
	s_waitcnt vmcnt(0)
	v_cvt_f32_f16_sdwa v23, v74 dst_sel:DWORD dst_unused:UNUSED_PAD src0_sel:WORD_1
	v_cvt_f32_f16_e32 v22, v74
	v_mul_f32_e32 v3, 0x45800000, v2
	v_cndmask_b32_e32 v2, v2, v3, vcc
	v_mov_b32_e32 v3, v2
	;;#ASMSTART
	v_pk_mul_f32 v[4:5], v[48:49], v[2:3]
	;;#ASMEND
	;;#ASMSTART
	v_pk_mul_f32 v[6:7], v[34:35], v[2:3]
	;;#ASMEND
	;; [unrolled: 3-line block ×9, first 2 shown]
	v_cvt_f32_f16_sdwa v5, v77 dst_sel:DWORD dst_unused:UNUSED_PAD src0_sel:WORD_1
	v_cvt_f32_f16_e32 v4, v77
	v_cvt_f32_f16_sdwa v17, v78 dst_sel:DWORD dst_unused:UNUSED_PAD src0_sel:WORD_1
	v_cvt_f32_f16_e32 v16, v78
	v_cvt_f32_f16_sdwa v25, v75 dst_sel:DWORD dst_unused:UNUSED_PAD src0_sel:WORD_1
	v_pk_add_f32 v[4:5], v[4:5], 1.0 op_sel_hi:[1,0]
	;;#ASMSTART
	v_pk_mul_f32 v[34:35], v[6:7], v[4:5]
	;;#ASMEND
	v_pk_add_f32 v[4:5], v[16:17], 1.0 op_sel_hi:[1,0]
	v_pk_add_f32 v[6:7], v[20:21], 1.0 op_sel_hi:[1,0]
	v_cvt_f32_f16_sdwa v17, v72 dst_sel:DWORD dst_unused:UNUSED_PAD src0_sel:WORD_1
	v_cvt_f32_f16_e32 v16, v72
	v_cvt_f32_f16_sdwa v21, v73 dst_sel:DWORD dst_unused:UNUSED_PAD src0_sel:WORD_1
	v_cvt_f32_f16_e32 v20, v73
	v_cvt_f32_f16_e32 v24, v75
	v_pk_add_f32 v[16:17], v[16:17], 1.0 op_sel_hi:[1,0]
	v_pk_add_f32 v[22:23], v[22:23], 1.0 op_sel_hi:[1,0]
	;; [unrolled: 1-line block ×4, first 2 shown]
	;;#ASMSTART
	v_pk_mul_f32 v[54:55], v[8:9], v[4:5]
	;;#ASMEND
	;;#ASMSTART
	v_pk_mul_f32 v[24:25], v[10:11], v[6:7]
	;;#ASMEND
	;; [unrolled: 3-line block ×6, first 2 shown]
	s_or_b64 exec, exec, s[22:23]
	s_mov_b64 s[8:9], -1
	s_and_b64 vcc, exec, s[10:11]
	s_cbranch_vccz .LBB673_15
.LBB673_19:
	s_and_saveexec_b64 s[8:9], s[0:1]
	s_cbranch_execz .LBB673_21
; %bb.20:
	v_cvt_f16_f32_e32 v2, v54
	v_cvt_f16_f32_e32 v3, v24
	;; [unrolled: 1-line block ×4, first 2 shown]
	s_mul_hi_i32 s11, s34, s6
	s_mul_i32 s10, s34, s6
	v_pack_b32_f16 v5, v3, v4
	v_pack_b32_f16 v4, v2, v6
	v_cvt_f16_f32_e32 v2, v34
	v_cvt_f16_f32_e32 v3, v35
	;; [unrolled: 1-line block ×3, first 2 shown]
	s_lshl_b64 s[10:11], s[10:11], 1
	s_add_u32 s28, s38, s10
	v_pack_b32_f16 v3, v2, v3
	v_cvt_f16_f32_e32 v2, v48
	s_addc_u32 s7, s39, s11
	s_and_b32 s29, s7, 0xffff
	s_mov_b32 s31, 0x20000
	v_pack_b32_f16 v2, v2, v6
	v_lshlrev_b32_e32 v6, 5, v0
	buffer_store_dwordx4 v[2:5], v6, s[28:31], 0 offen
	v_cvt_f16_f32_e32 v7, v15
	v_cvt_f16_f32_e32 v2, v14
	;; [unrolled: 1-line block ×4, first 2 shown]
	;;#ASMSTART
	s_nop 0
	;;#ASMEND
	v_pack_b32_f16 v5, v3, v4
	v_pack_b32_f16 v4, v2, v7
	v_cvt_f16_f32_e32 v2, v18
	v_cvt_f16_f32_e32 v3, v19
	;; [unrolled: 1-line block ×3, first 2 shown]
	v_pack_b32_f16 v3, v2, v3
	v_cvt_f16_f32_e32 v2, v64
	v_pack_b32_f16 v2, v2, v7
	buffer_store_dwordx4 v[2:5], v6, s[28:31], 16 offen
	;;#ASMSTART
	s_nop 0
	;;#ASMEND
.LBB673_21:
	s_or_b64 exec, exec, s[8:9]
	s_cbranch_execnz .LBB673_16
.LBB673_22:
	v_mov_b32_e32 v2, 0
	s_and_saveexec_b64 s[8:9], s[0:1]
	s_cbranch_execz .LBB673_24
; %bb.23:
	v_and_b32_e32 v2, 0x7fffffff, v48
	v_and_b32_e32 v3, 0x7fffffff, v49
	v_mov_b32_e32 v4, 0x2edbe6ff
	;;#ASMSTART
	v_max3_f32 v2, v4, v2, v3

	;;#ASMEND
	v_and_b32_e32 v3, 0x7fffffff, v34
	v_and_b32_e32 v4, 0x7fffffff, v35
	;;#ASMSTART
	v_max3_f32 v2, v2, v3, v4

	;;#ASMEND
	v_and_b32_e32 v3, 0x7fffffff, v54
	v_and_b32_e32 v4, 0x7fffffff, v55
	;;#ASMSTART
	v_max3_f32 v2, v2, v3, v4

	;;#ASMEND
	v_and_b32_e32 v3, 0x7fffffff, v24
	v_and_b32_e32 v4, 0x7fffffff, v25
	;;#ASMSTART
	v_max3_f32 v2, v2, v3, v4

	;;#ASMEND
	v_and_b32_e32 v3, 0x7fffffff, v64
	v_and_b32_e32 v4, 0x7fffffff, v65
	;;#ASMSTART
	v_max3_f32 v2, v2, v3, v4

	;;#ASMEND
	v_and_b32_e32 v3, 0x7fffffff, v18
	v_and_b32_e32 v4, 0x7fffffff, v19
	;;#ASMSTART
	v_max3_f32 v2, v2, v3, v4

	;;#ASMEND
	v_and_b32_e32 v3, 0x7fffffff, v14
	v_and_b32_e32 v4, 0x7fffffff, v15
	;;#ASMSTART
	v_max3_f32 v2, v2, v3, v4

	;;#ASMEND
	v_and_b32_e32 v3, 0x7fffffff, v88
	v_and_b32_e32 v4, 0x7fffffff, v89
	;;#ASMSTART
	v_max3_f32 v2, v2, v3, v4

	;;#ASMEND
.LBB673_24:
	s_or_b64 exec, exec, s[8:9]
	;;#ASMSTART
	v_max_f32 v3, v2, v2 quad_perm:[1,0,3,2] row_mask:0xf bank_mask:0xf bound_ctrl:1
	;;#ASMEND
	;;#ASMSTART
	v_max_f32 v2, v3, v3 quad_perm:[2,3,0,1] row_mask:0xf bank_mask:0xf bound_ctrl:1
	;;#ASMEND
	v_and_b32_e32 v3, 3, v0
	v_cmp_eq_u32_e32 vcc, 0, v3
	v_cmp_gt_i32_e64 s[8:9], s15, v1
	v_mul_f32_e32 v2, 0x3b124925, v2
	s_and_b64 s[10:11], vcc, s[8:9]
	s_and_saveexec_b64 s[8:9], s[10:11]
	s_cbranch_execz .LBB673_26
; %bb.25:
	s_load_dwordx2 s[10:11], s[4:5], 0x8
	s_mul_hi_i32 s23, s25, s6
	s_mul_i32 s22, s25, s6
	v_lshrrev_b32_e32 v3, 2, v0
	s_lshl_b64 s[22:23], s[22:23], 2
	v_mad_i64_i32 v[4:5], s[26:27], s26, v3, 0
	s_waitcnt lgkmcnt(0)
	s_add_u32 s7, s10, s22
	s_addc_u32 s10, s11, s23
	v_lshlrev_b64 v[4:5], 2, v[4:5]
	v_mov_b32_e32 v3, s10
	v_add_co_u32_e32 v4, vcc, s7, v4
	v_addc_co_u32_e32 v5, vcc, v3, v5, vcc
	global_store_dword v[4:5], v2, off
.LBB673_26:
	s_or_b64 exec, exec, s[8:9]
	;;#ASMSTART
	v_rcp_f32 v2, v2
	;;#ASMEND
	s_and_saveexec_b64 s[22:23], s[0:1]
	s_cbranch_execz .LBB673_28
; %bb.27:
	v_mov_b32_e32 v3, v2
	;;#ASMSTART
	v_pk_mul_f32 v[4:5], v[48:49], v[2:3]
	;;#ASMEND
	v_mov_b32_e32 v10, 0xc3e00000
	v_mov_b32_e32 v11, 0x43e00000
	;;#ASMSTART
	v_med3_f32 v4, v4, v10, v11
v_med3_f32 v5, v5, v10, v11
v_cvt_pk_fp8_f32 v6, v4, v5
	;;#ASMEND
	;;#ASMSTART
	v_pk_mul_f32 v[4:5], v[34:35], v[2:3]
	;;#ASMEND
	;;#ASMSTART
	v_med3_f32 v4, v4, v10, v11
v_med3_f32 v5, v5, v10, v11
v_cvt_pk_fp8_f32 v7, v4, v5
	;;#ASMEND
	;;#ASMSTART
	v_pk_mul_f32 v[4:5], v[54:55], v[2:3]
	;;#ASMEND
	;; [unrolled: 8-line block ×3, first 2 shown]
	;;#ASMSTART
	v_med3_f32 v4, v4, v10, v11
v_med3_f32 v5, v5, v10, v11
v_cvt_pk_fp8_f32 v9, v4, v5
	;;#ASMEND
	s_mov_b32 s0, 0x5040100
	v_perm_b32 v4, v7, v6, s0
	s_mov_b32 s0, 0x1060504
	v_perm_b32 v4, v4, v7, s0
	s_load_dwordx2 s[0:1], s[4:5], 0x0
	s_mov_b32 s7, 0x1000504
	;;#ASMSTART
	v_pk_mul_f32 v[6:7], v[64:65], v[2:3]
	;;#ASMEND
	v_perm_b32 v5, v8, v9, s7
	s_mul_i32 s8, s24, s6
	;;#ASMSTART
	v_med3_f32 v6, v6, v10, v11
v_med3_f32 v7, v7, v10, v11
v_cvt_pk_fp8_f32 v8, v6, v7
	;;#ASMEND
	s_mul_hi_i32 s9, s24, s6
	s_waitcnt lgkmcnt(0)
	s_add_u32 s8, s0, s8
	;;#ASMSTART
	v_pk_mul_f32 v[6:7], v[18:19], v[2:3]
	;;#ASMEND
	s_addc_u32 s0, s1, s9
	s_add_i32 s1, s15, 3
	;;#ASMSTART
	v_med3_f32 v6, v6, v10, v11
v_med3_f32 v7, v7, v10, v11
v_cvt_pk_fp8_f32 v9, v6, v7
	;;#ASMEND
	s_ashr_i32 s9, s1, 31
	v_perm_b32 v6, v8, v9, s7
	;;#ASMSTART
	v_pk_mul_f32 v[8:9], v[14:15], v[2:3]
	;;#ASMEND
	v_mov_b32_e32 v7, v9
	s_lshr_b32 s9, s9, 30
	;;#ASMSTART
	v_med3_f32 v8, v8, v10, v11
v_med3_f32 v7, v7, v10, v11
v_cvt_pk_fp8_f32 v9, v8, v7
	;;#ASMEND
	;;#ASMSTART
	v_pk_mul_f32 v[2:3], v[88:89], v[2:3]
	;;#ASMEND
	s_add_i32 s1, s1, s9
	;;#ASMSTART
	v_med3_f32 v2, v2, v10, v11
v_med3_f32 v3, v3, v10, v11
v_cvt_pk_fp8_f32 v7, v2, v3
	;;#ASMEND
	s_and_b32 s10, s1, -4
	s_and_b32 s9, s0, 0xffff
	s_mov_b32 s11, 0x20000
	v_perm_b32 v7, v9, v7, s7
	buffer_store_dwordx4 v[4:7], v1, s[8:11], 0 offen
	;;#ASMSTART
	s_nop 0
	;;#ASMEND
.LBB673_28:
	s_or_b64 exec, exec, s[22:23]
	s_cmp_lt_i32 s16, 1
	s_cbranch_scc1 .LBB673_17
.LBB673_29:
	s_load_dword s0, s[4:5], 0x94
	s_waitcnt lgkmcnt(0)
	s_cmp_lg_u32 s0, 1
	s_cbranch_scc1 .LBB673_17
; %bb.30:
	s_lshl_b32 s0, s16, 1
	s_add_i32 s0, s0, 2
	v_cmp_gt_u32_e32 vcc, s16, v1
	s_and_b32 s22, s0, -4
	v_mov_b32_e32 v18, 0
	v_lshlrev_b32_e32 v1, 5, v0
	v_mov_b32_e32 v14, 0
	v_mov_b32_e32 v15, 0
	;; [unrolled: 1-line block ×16, first 2 shown]
	s_barrier
	s_and_saveexec_b64 s[0:1], vcc
	s_cbranch_execz .LBB673_32
; %bb.31:
	s_mul_hi_i32 s5, s18, s6
	s_mul_i32 s4, s18, s6
	s_and_b32 s21, s21, 0xffff
	s_lshl_b64 s[4:5], s[4:5], 1
	s_add_u32 s8, s36, s4
	s_mov_b32 s23, 0x20000
	s_addc_u32 s4, s37, s5
	s_and_b32 s9, s4, 0xffff
	s_mov_b32 s10, s22
	s_mov_b32 s11, s23
	buffer_load_dwordx4 v[14:17], v1, s[8:11], 0 offen
	buffer_load_dwordx4 v[10:13], v1, s[8:11], 16 offen
	;; [unrolled: 1-line block ×4, first 2 shown]
.LBB673_32:
	s_or_b64 exec, exec, s[0:1]
	v_mov_b32_e32 v19, 0
	v_mov_b32_e32 v32, 0
	;; [unrolled: 1-line block ×15, first 2 shown]
	s_and_saveexec_b64 s[0:1], vcc
	s_cbranch_execz .LBB673_34
; %bb.33:
	s_waitcnt vmcnt(3)
	v_cvt_f32_f16_sdwa v19, v14 dst_sel:DWORD dst_unused:UNUSED_PAD src0_sel:WORD_1
	v_cvt_f32_f16_e32 v18, v14
	v_cvt_f32_f16_sdwa v33, v15 dst_sel:DWORD dst_unused:UNUSED_PAD src0_sel:WORD_1
	v_cvt_f32_f16_e32 v32, v15
	v_cvt_f32_f16_sdwa v31, v16 dst_sel:DWORD dst_unused:UNUSED_PAD src0_sel:WORD_1
	v_cvt_f32_f16_e32 v30, v16
	v_cvt_f32_f16_sdwa v29, v17 dst_sel:DWORD dst_unused:UNUSED_PAD src0_sel:WORD_1
	v_cvt_f32_f16_e32 v28, v17
	s_waitcnt vmcnt(2)
	v_cvt_f32_f16_sdwa v27, v10 dst_sel:DWORD dst_unused:UNUSED_PAD src0_sel:WORD_1
	v_cvt_f32_f16_e32 v26, v10
	v_cvt_f32_f16_sdwa v25, v11 dst_sel:DWORD dst_unused:UNUSED_PAD src0_sel:WORD_1
	v_cvt_f32_f16_e32 v24, v11
	;; [unrolled: 2-line block ×4, first 2 shown]
.LBB673_34:
	s_or_b64 exec, exec, s[0:1]
	s_waitcnt vmcnt(2)
	v_mul_f32_e32 v10, v19, v19
	v_fmac_f32_e32 v10, v18, v18
	v_fmac_f32_e32 v10, v32, v32
	;; [unrolled: 1-line block ×15, first 2 shown]
	s_nop 1
	v_mov_b32_dpp v11, v10 quad_perm:[1,0,3,2] row_mask:0xf bank_mask:0xf
	v_add_f32_e32 v10, v10, v11
	s_nop 1
	v_mov_b32_dpp v11, v10 quad_perm:[2,3,0,1] row_mask:0xf bank_mask:0xf
	v_add_f32_e32 v10, v10, v11
	s_nop 1
	v_mov_b32_dpp v11, v10 row_half_mirror row_mask:0xf bank_mask:0xf
	v_add_f32_e32 v10, v10, v11
	s_nop 1
	v_mov_b32_dpp v11, v10 row_mirror row_mask:0xf bank_mask:0xf
	v_add_f32_e32 v10, v10, v11
	s_nop 1
	v_mov_b32_dpp v11, v10 row_bcast:15 row_mask:0xf bank_mask:0xf
	v_add_f32_e32 v10, v10, v11
	s_nop 1
	v_mov_b32_dpp v11, v10 row_bcast:31 row_mask:0xf bank_mask:0xf
	s_and_saveexec_b64 s[0:1], s[2:3]
	s_cbranch_execz .LBB673_36
; %bb.35:
	v_lshrrev_b32_e32 v0, 4, v0
	v_add_f32_e32 v10, v10, v11
	v_and_b32_e32 v0, 60, v0
	ds_write_b32 v0, v10
.LBB673_36:
	s_or_b64 exec, exec, s[0:1]
	s_waitcnt lgkmcnt(0)
	s_barrier
	ds_read_b32 v0, v36
	s_waitcnt lgkmcnt(0)
	s_nop 0
	v_mov_b32_dpp v10, v0 quad_perm:[1,0,3,2] row_mask:0xf bank_mask:0xf
	s_and_saveexec_b64 s[0:1], vcc
	s_cbranch_execz .LBB673_17
; %bb.37:
	v_cvt_f32_u32_e32 v11, s16
	v_add_f32_e32 v0, v0, v10
	s_mov_b32 s23, 0x20000
	v_div_scale_f32 v10, s[0:1], v11, v11, v0
	v_rcp_f32_e32 v12, v10
	v_div_scale_f32 v13, vcc, v0, v11, v0
	s_mov_b32 s0, 0x800000
	v_fma_f32 v14, -v10, v12, 1.0
	v_fmac_f32_e32 v12, v14, v12
	v_mul_f32_e32 v14, v13, v12
	v_fma_f32 v15, -v10, v14, v13
	v_fmac_f32_e32 v14, v15, v12
	v_fma_f32 v10, -v10, v14, v13
	v_div_fmas_f32 v10, v10, v12, v14
	v_div_fixup_f32 v0, v10, v11, v0
	v_add_f32_e32 v0, s13, v0
	v_mul_f32_e32 v10, 0x4b800000, v0
	v_cmp_gt_f32_e32 vcc, s0, v0
	v_cndmask_b32_e32 v0, v0, v10, vcc
	v_rsq_f32_e32 v0, v0
	s_mul_hi_i32 s1, s34, s6
	s_mul_i32 s0, s34, s6
	s_lshl_b64 s[0:1], s[0:1], 1
	v_mul_f32_e32 v10, 0x45800000, v0
	v_cndmask_b32_e32 v10, v0, v10, vcc
	v_mov_b32_e32 v11, v10
	;;#ASMSTART
	v_pk_mul_f32 v[12:13], v[18:19], v[10:11]
	;;#ASMEND
	;;#ASMSTART
	v_pk_mul_f32 v[14:15], v[32:33], v[10:11]
	;;#ASMEND
	;;#ASMSTART
	v_pk_mul_f32 v[16:17], v[30:31], v[10:11]
	;;#ASMEND
	;;#ASMSTART
	v_pk_mul_f32 v[18:19], v[28:29], v[10:11]
	;;#ASMEND
	s_waitcnt vmcnt(1)
	v_cvt_f32_f16_sdwa v29, v6 dst_sel:DWORD dst_unused:UNUSED_PAD src0_sel:WORD_1
	v_cvt_f32_f16_e32 v28, v6
	v_cvt_f32_f16_sdwa v31, v7 dst_sel:DWORD dst_unused:UNUSED_PAD src0_sel:WORD_1
	v_cvt_f32_f16_e32 v30, v7
	;;#ASMSTART
	v_pk_mul_f32 v[26:27], v[26:27], v[10:11]
	;;#ASMEND
	;;#ASMSTART
	v_pk_mul_f32 v[24:25], v[24:25], v[10:11]
	;;#ASMEND
	;; [unrolled: 3-line block ×4, first 2 shown]
	v_cvt_f32_f16_sdwa v21, v8 dst_sel:DWORD dst_unused:UNUSED_PAD src0_sel:WORD_1
	v_cvt_f32_f16_e32 v20, v8
	v_pk_add_f32 v[10:11], v[28:29], 1.0 op_sel_hi:[1,0]
	;;#ASMSTART
	v_pk_mul_f32 v[10:11], v[12:13], v[10:11]
	;;#ASMEND
	v_pk_add_f32 v[12:13], v[30:31], 1.0 op_sel_hi:[1,0]
	v_cvt_f32_f16_sdwa v29, v9 dst_sel:DWORD dst_unused:UNUSED_PAD src0_sel:WORD_1
	v_cvt_f32_f16_e32 v28, v9
	;;#ASMSTART
	v_pk_mul_f32 v[8:9], v[14:15], v[12:13]
	;;#ASMEND
	v_pk_add_f32 v[12:13], v[20:21], 1.0 op_sel_hi:[1,0]
	;;#ASMSTART
	v_pk_mul_f32 v[12:13], v[16:17], v[12:13]
	;;#ASMEND
	s_waitcnt vmcnt(0)
	v_cvt_f32_f16_sdwa v17, v2 dst_sel:DWORD dst_unused:UNUSED_PAD src0_sel:WORD_1
	v_cvt_f32_f16_e32 v16, v2
	v_cvt_f32_f16_sdwa v21, v3 dst_sel:DWORD dst_unused:UNUSED_PAD src0_sel:WORD_1
	v_cvt_f32_f16_e32 v20, v3
	v_pk_add_f32 v[14:15], v[28:29], 1.0 op_sel_hi:[1,0]
	;;#ASMSTART
	v_pk_mul_f32 v[2:3], v[18:19], v[14:15]
	;;#ASMEND
	v_cvt_f32_f16_sdwa v19, v4 dst_sel:DWORD dst_unused:UNUSED_PAD src0_sel:WORD_1
	v_cvt_f32_f16_e32 v18, v4
	v_pk_add_f32 v[14:15], v[16:17], 1.0 op_sel_hi:[1,0]
	v_pk_add_f32 v[16:17], v[20:21], 1.0 op_sel_hi:[1,0]
	v_cvt_f32_f16_sdwa v21, v5 dst_sel:DWORD dst_unused:UNUSED_PAD src0_sel:WORD_1
	v_cvt_f32_f16_e32 v20, v5
	v_pk_add_f32 v[4:5], v[18:19], 1.0 op_sel_hi:[1,0]
	;;#ASMSTART
	v_pk_mul_f32 v[14:15], v[26:27], v[14:15]
	;;#ASMEND
	;;#ASMSTART
	v_pk_mul_f32 v[16:17], v[24:25], v[16:17]
	;;#ASMEND
	;; [unrolled: 3-line block ×3, first 2 shown]
	v_pk_add_f32 v[4:5], v[20:21], 1.0 op_sel_hi:[1,0]
	;;#ASMSTART
	v_pk_mul_f32 v[6:7], v[6:7], v[4:5]
	;;#ASMEND
	v_cvt_f16_f32_e32 v0, v10
	v_cvt_f16_f32_e32 v4, v11
	;; [unrolled: 1-line block ×8, first 2 shown]
	s_add_u32 s20, s38, s0
	s_addc_u32 s0, s39, s1
	s_and_b32 s21, s0, 0xffff
	v_pack_b32_f16 v2, v0, v4
	v_pack_b32_f16 v3, v5, v8
	;; [unrolled: 1-line block ×4, first 2 shown]
	buffer_store_dwordx4 v[2:5], v1, s[20:23], 0 offen
	v_cvt_f16_f32_e32 v0, v14
	v_cvt_f16_f32_e32 v2, v15
	;; [unrolled: 1-line block ×8, first 2 shown]
	v_pack_b32_f16 v2, v0, v2
	v_pack_b32_f16 v3, v3, v4
	;; [unrolled: 1-line block ×4, first 2 shown]
	;;#ASMSTART
	s_nop 0
	;;#ASMEND
	buffer_store_dwordx4 v[2:5], v1, s[20:23], 16 offen
	;;#ASMSTART
	s_nop 0
	;;#ASMEND
	s_endpgm
	.section	.rodata,"a",@progbits
	.p2align	6, 0x0
	.amdhsa_kernel _ZN5aiter35fused_qk_rmsnorm_group_quant_kernelIDF16_DB8_Li128ELi16ELi4ELb1ELb0ELb1ELb0ELb0ELb0EEEvPT0_PvPT_S6_S6_PKS5_S8_S8_S8_S8_ffiiiiiiiiiiiii
		.amdhsa_group_segment_fixed_size 16
		.amdhsa_private_segment_fixed_size 0
		.amdhsa_kernarg_size 400
		.amdhsa_user_sgpr_count 6
		.amdhsa_user_sgpr_private_segment_buffer 1
		.amdhsa_user_sgpr_dispatch_ptr 0
		.amdhsa_user_sgpr_queue_ptr 0
		.amdhsa_user_sgpr_kernarg_segment_ptr 1
		.amdhsa_user_sgpr_dispatch_id 0
		.amdhsa_user_sgpr_flat_scratch_init 0
		.amdhsa_user_sgpr_kernarg_preload_length 0
		.amdhsa_user_sgpr_kernarg_preload_offset 0
		.amdhsa_user_sgpr_private_segment_size 0
		.amdhsa_uses_dynamic_stack 0
		.amdhsa_system_sgpr_private_segment_wavefront_offset 0
		.amdhsa_system_sgpr_workgroup_id_x 1
		.amdhsa_system_sgpr_workgroup_id_y 1
		.amdhsa_system_sgpr_workgroup_id_z 0
		.amdhsa_system_sgpr_workgroup_info 0
		.amdhsa_system_vgpr_workitem_id 0
		.amdhsa_next_free_vgpr 90
		.amdhsa_next_free_sgpr 44
		.amdhsa_accum_offset 92
		.amdhsa_reserve_vcc 1
		.amdhsa_reserve_flat_scratch 0
		.amdhsa_float_round_mode_32 0
		.amdhsa_float_round_mode_16_64 0
		.amdhsa_float_denorm_mode_32 3
		.amdhsa_float_denorm_mode_16_64 3
		.amdhsa_dx10_clamp 1
		.amdhsa_ieee_mode 1
		.amdhsa_fp16_overflow 0
		.amdhsa_tg_split 0
		.amdhsa_exception_fp_ieee_invalid_op 0
		.amdhsa_exception_fp_denorm_src 0
		.amdhsa_exception_fp_ieee_div_zero 0
		.amdhsa_exception_fp_ieee_overflow 0
		.amdhsa_exception_fp_ieee_underflow 0
		.amdhsa_exception_fp_ieee_inexact 0
		.amdhsa_exception_int_div_zero 0
	.end_amdhsa_kernel
	.section	.text._ZN5aiter35fused_qk_rmsnorm_group_quant_kernelIDF16_DB8_Li128ELi16ELi4ELb1ELb0ELb1ELb0ELb0ELb0EEEvPT0_PvPT_S6_S6_PKS5_S8_S8_S8_S8_ffiiiiiiiiiiiii,"axG",@progbits,_ZN5aiter35fused_qk_rmsnorm_group_quant_kernelIDF16_DB8_Li128ELi16ELi4ELb1ELb0ELb1ELb0ELb0ELb0EEEvPT0_PvPT_S6_S6_PKS5_S8_S8_S8_S8_ffiiiiiiiiiiiii,comdat
.Lfunc_end673:
	.size	_ZN5aiter35fused_qk_rmsnorm_group_quant_kernelIDF16_DB8_Li128ELi16ELi4ELb1ELb0ELb1ELb0ELb0ELb0EEEvPT0_PvPT_S6_S6_PKS5_S8_S8_S8_S8_ffiiiiiiiiiiiii, .Lfunc_end673-_ZN5aiter35fused_qk_rmsnorm_group_quant_kernelIDF16_DB8_Li128ELi16ELi4ELb1ELb0ELb1ELb0ELb0ELb0EEEvPT0_PvPT_S6_S6_PKS5_S8_S8_S8_S8_ffiiiiiiiiiiiii
                                        ; -- End function
	.section	.AMDGPU.csdata,"",@progbits
; Kernel info:
; codeLenInByte = 4128
; NumSgprs: 48
; NumVgprs: 90
; NumAgprs: 0
; TotalNumVgprs: 90
; ScratchSize: 0
; MemoryBound: 0
; FloatMode: 240
; IeeeMode: 1
; LDSByteSize: 16 bytes/workgroup (compile time only)
; SGPRBlocks: 5
; VGPRBlocks: 11
; NumSGPRsForWavesPerEU: 48
; NumVGPRsForWavesPerEU: 90
; AccumOffset: 92
; Occupancy: 5
; WaveLimiterHint : 0
; COMPUTE_PGM_RSRC2:SCRATCH_EN: 0
; COMPUTE_PGM_RSRC2:USER_SGPR: 6
; COMPUTE_PGM_RSRC2:TRAP_HANDLER: 0
; COMPUTE_PGM_RSRC2:TGID_X_EN: 1
; COMPUTE_PGM_RSRC2:TGID_Y_EN: 1
; COMPUTE_PGM_RSRC2:TGID_Z_EN: 0
; COMPUTE_PGM_RSRC2:TIDIG_COMP_CNT: 0
; COMPUTE_PGM_RSRC3_GFX90A:ACCUM_OFFSET: 22
; COMPUTE_PGM_RSRC3_GFX90A:TG_SPLIT: 0
	.section	.text._ZN5aiter35fused_qk_rmsnorm_group_quant_kernelItDB8_Li128ELi16ELi4ELb1ELb0ELb1ELb0ELb0ELb0EEEvPT0_PvPT_S6_S6_PKS5_S8_S8_S8_S8_ffiiiiiiiiiiiii,"axG",@progbits,_ZN5aiter35fused_qk_rmsnorm_group_quant_kernelItDB8_Li128ELi16ELi4ELb1ELb0ELb1ELb0ELb0ELb0EEEvPT0_PvPT_S6_S6_PKS5_S8_S8_S8_S8_ffiiiiiiiiiiiii,comdat
	.protected	_ZN5aiter35fused_qk_rmsnorm_group_quant_kernelItDB8_Li128ELi16ELi4ELb1ELb0ELb1ELb0ELb0ELb0EEEvPT0_PvPT_S6_S6_PKS5_S8_S8_S8_S8_ffiiiiiiiiiiiii ; -- Begin function _ZN5aiter35fused_qk_rmsnorm_group_quant_kernelItDB8_Li128ELi16ELi4ELb1ELb0ELb1ELb0ELb0ELb0EEEvPT0_PvPT_S6_S6_PKS5_S8_S8_S8_S8_ffiiiiiiiiiiiii
	.globl	_ZN5aiter35fused_qk_rmsnorm_group_quant_kernelItDB8_Li128ELi16ELi4ELb1ELb0ELb1ELb0ELb0ELb0EEEvPT0_PvPT_S6_S6_PKS5_S8_S8_S8_S8_ffiiiiiiiiiiiii
	.p2align	8
	.type	_ZN5aiter35fused_qk_rmsnorm_group_quant_kernelItDB8_Li128ELi16ELi4ELb1ELb0ELb1ELb0ELb0ELb0EEEvPT0_PvPT_S6_S6_PKS5_S8_S8_S8_S8_ffiiiiiiiiiiiii,@function
_ZN5aiter35fused_qk_rmsnorm_group_quant_kernelItDB8_Li128ELi16ELi4ELb1ELb0ELb1ELb0ELb0ELb0EEEvPT0_PvPT_S6_S6_PKS5_S8_S8_S8_S8_ffiiiiiiiiiiiii: ; @_ZN5aiter35fused_qk_rmsnorm_group_quant_kernelItDB8_Li128ELi16ELi4ELb1ELb0ELb1ELb0ELb0ELb0EEEvPT0_PvPT_S6_S6_PKS5_S8_S8_S8_S8_ffiiiiiiiiiiiii
; %bb.0:
	s_load_dwordx8 s[12:19], s[4:5], 0x50
	s_waitcnt lgkmcnt(0)
	s_cmp_ge_i32 s6, s14
	s_cbranch_scc1 .LBB674_17
; %bb.1:
	s_cmp_lg_u32 s7, 0
	s_cselect_b64 s[10:11], -1, 0
	s_cmp_eq_u32 s7, 0
	s_cselect_b64 s[8:9], -1, 0
	s_and_b64 s[0:1], s[8:9], exec
	s_load_dwordx2 s[20:21], s[4:5], 0x48
	s_load_dwordx2 s[36:37], s[4:5], 0x30
	s_load_dwordx4 s[24:27], s[4:5], 0x70
	s_cselect_b32 s7, s15, s16
	s_add_i32 s0, s7, 1
	s_lshr_b32 s1, s0, 31
	s_add_i32 s0, s0, s1
	s_lshl_b32 s0, s0, 1
	v_lshlrev_b32_e32 v1, 4, v0
	s_and_b32 s30, s0, -4
	v_cmp_gt_i32_e64 s[0:1], s7, v1
	v_mov_b32_e32 v74, 0
	v_mov_b32_e32 v75, 0
	v_mov_b32_e32 v76, 0
	v_mov_b32_e32 v77, 0
	v_mov_b32_e32 v70, 0
	v_mov_b32_e32 v71, 0
	v_mov_b32_e32 v72, 0
	v_mov_b32_e32 v73, 0
	v_mov_b32_e32 v78, 0
	v_mov_b32_e32 v79, 0
	v_mov_b32_e32 v80, 0
	v_mov_b32_e32 v81, 0
	v_mov_b32_e32 v82, 0
	v_mov_b32_e32 v83, 0
	v_mov_b32_e32 v84, 0
	v_mov_b32_e32 v85, 0
	s_and_saveexec_b64 s[2:3], s[0:1]
	s_cbranch_execz .LBB674_3
; %bb.2:
	s_load_dwordx2 s[22:23], s[4:5], 0x28
	s_load_dwordx2 s[28:29], s[4:5], 0x40
	s_and_b64 s[34:35], s[8:9], exec
	s_cselect_b32 s14, s17, s18
	s_mov_b32 s31, 0x20000
	s_waitcnt lgkmcnt(0)
	s_cselect_b32 s17, s23, s37
	s_cselect_b32 s27, s22, s36
	s_mul_hi_i32 s23, s14, s6
	s_mul_i32 s22, s14, s6
	s_lshl_b64 s[22:23], s[22:23], 1
	s_add_u32 s40, s27, s22
	s_addc_u32 s14, s17, s23
	s_and_b64 s[22:23], s[8:9], exec
	s_cselect_b32 s28, s28, s20
	s_cselect_b32 s17, s29, s21
	s_and_b32 s41, s14, 0xffff
	s_mov_b32 s42, s30
	s_mov_b32 s43, s31
	v_lshlrev_b32_e32 v2, 5, v0
	s_and_b32 s29, s17, 0xffff
	buffer_load_dwordx4 v[78:81], v2, s[40:43], 0 offen
	buffer_load_dwordx4 v[82:85], v2, s[40:43], 16 offen
	;; [unrolled: 1-line block ×4, first 2 shown]
.LBB674_3:
	s_or_b64 exec, exec, s[2:3]
	s_load_dwordx2 s[34:35], s[4:5], 0x80
	s_and_b64 vcc, exec, s[10:11]
	s_cbranch_vccz .LBB674_7
; %bb.4:
	v_mov_b32_e32 v87, 0
	v_mov_b32_e32 v86, 0
	;; [unrolled: 1-line block ×16, first 2 shown]
	s_and_saveexec_b64 s[2:3], s[0:1]
	s_cbranch_execz .LBB674_6
; %bb.5:
	s_waitcnt vmcnt(3)
	v_cvt_f32_u32_sdwa v52, v78 dst_sel:DWORD dst_unused:UNUSED_PAD src0_sel:WORD_0
	v_cvt_f32_u32_sdwa v53, v78 dst_sel:DWORD dst_unused:UNUSED_PAD src0_sel:WORD_1
	v_cvt_f32_u32_sdwa v34, v79 dst_sel:DWORD dst_unused:UNUSED_PAD src0_sel:WORD_0
	v_cvt_f32_u32_sdwa v35, v79 dst_sel:DWORD dst_unused:UNUSED_PAD src0_sel:WORD_1
	;; [unrolled: 2-line block ×4, first 2 shown]
	s_waitcnt vmcnt(2)
	v_cvt_f32_u32_sdwa v44, v82 dst_sel:DWORD dst_unused:UNUSED_PAD src0_sel:WORD_0
	v_cvt_f32_u32_sdwa v45, v82 dst_sel:DWORD dst_unused:UNUSED_PAD src0_sel:WORD_1
	v_cvt_f32_u32_sdwa v18, v83 dst_sel:DWORD dst_unused:UNUSED_PAD src0_sel:WORD_0
	v_cvt_f32_u32_sdwa v19, v83 dst_sel:DWORD dst_unused:UNUSED_PAD src0_sel:WORD_1
	v_cvt_f32_u32_sdwa v14, v84 dst_sel:DWORD dst_unused:UNUSED_PAD src0_sel:WORD_0
	v_cvt_f32_u32_sdwa v15, v84 dst_sel:DWORD dst_unused:UNUSED_PAD src0_sel:WORD_1
	v_cvt_f32_u32_sdwa v86, v85 dst_sel:DWORD dst_unused:UNUSED_PAD src0_sel:WORD_0
	v_cvt_f32_u32_sdwa v87, v85 dst_sel:DWORD dst_unused:UNUSED_PAD src0_sel:WORD_1
.LBB674_6:
	s_or_b64 exec, exec, s[2:3]
	s_cbranch_execz .LBB674_8
	s_branch .LBB674_11
.LBB674_7:
                                        ; implicit-def: $vgpr32_vgpr33_vgpr34_vgpr35_vgpr36_vgpr37_vgpr38_vgpr39_vgpr40_vgpr41_vgpr42_vgpr43_vgpr44_vgpr45_vgpr46_vgpr47
                                        ; implicit-def: $vgpr18_vgpr19_vgpr20_vgpr21_vgpr22_vgpr23_vgpr24_vgpr25_vgpr26_vgpr27_vgpr28_vgpr29_vgpr30_vgpr31_vgpr32_vgpr33
                                        ; implicit-def: $vgpr52_vgpr53_vgpr54_vgpr55_vgpr56_vgpr57_vgpr58_vgpr59_vgpr60_vgpr61_vgpr62_vgpr63_vgpr64_vgpr65_vgpr66_vgpr67
                                        ; implicit-def: $vgpr87
                                        ; implicit-def: $vgpr54_vgpr55_vgpr56_vgpr57_vgpr58_vgpr59_vgpr60_vgpr61_vgpr62_vgpr63_vgpr64_vgpr65_vgpr66_vgpr67_vgpr68_vgpr69
                                        ; implicit-def: $vgpr8_vgpr9_vgpr10_vgpr11_vgpr12_vgpr13_vgpr14_vgpr15_vgpr16_vgpr17_vgpr18_vgpr19_vgpr20_vgpr21_vgpr22_vgpr23
                                        ; implicit-def: $vgpr36_vgpr37_vgpr38_vgpr39_vgpr40_vgpr41_vgpr42_vgpr43_vgpr44_vgpr45_vgpr46_vgpr47_vgpr48_vgpr49_vgpr50_vgpr51
                                        ; implicit-def: $vgpr2_vgpr3_vgpr4_vgpr5_vgpr6_vgpr7_vgpr8_vgpr9_vgpr10_vgpr11_vgpr12_vgpr13_vgpr14_vgpr15_vgpr16_vgpr17
.LBB674_8:
	v_mov_b32_e32 v87, 0
	v_mov_b32_e32 v86, 0
	;; [unrolled: 1-line block ×16, first 2 shown]
	s_and_saveexec_b64 s[2:3], s[0:1]
	s_cbranch_execz .LBB674_10
; %bb.9:
	s_load_dwordx2 s[22:23], s[4:5], 0x38
	s_mul_hi_i32 s29, s19, s6
	s_mul_i32 s28, s19, s6
	s_lshl_b64 s[28:29], s[28:29], 1
	s_mov_b32 s31, 0x20000
	s_waitcnt lgkmcnt(0)
	s_add_u32 s28, s22, s28
	s_addc_u32 s14, s23, s29
	s_and_b32 s29, s14, 0xffff
	v_lshlrev_b32_e32 v38, 5, v0
	buffer_load_dwordx4 v[4:7], v38, s[28:31], 16 offen
	buffer_load_dwordx4 v[8:11], v38, s[28:31], 0 offen
	s_load_dwordx2 s[22:23], s[4:5], 0x20
	s_waitcnt vmcnt(5)
	v_cvt_f32_u32_sdwa v19, v78 dst_sel:DWORD dst_unused:UNUSED_PAD src0_sel:WORD_1
	v_cvt_f32_u32_sdwa v18, v78 dst_sel:DWORD dst_unused:UNUSED_PAD src0_sel:WORD_0
	v_cvt_f32_u32_sdwa v21, v79 dst_sel:DWORD dst_unused:UNUSED_PAD src0_sel:WORD_1
	v_cvt_f32_u32_sdwa v20, v79 dst_sel:DWORD dst_unused:UNUSED_PAD src0_sel:WORD_0
	;; [unrolled: 2-line block ×4, first 2 shown]
	s_waitcnt vmcnt(4)
	v_cvt_f32_u32_sdwa v3, v82 dst_sel:DWORD dst_unused:UNUSED_PAD src0_sel:WORD_1
	v_cvt_f32_u32_sdwa v2, v82 dst_sel:DWORD dst_unused:UNUSED_PAD src0_sel:WORD_0
	v_cvt_f32_u32_sdwa v13, v83 dst_sel:DWORD dst_unused:UNUSED_PAD src0_sel:WORD_1
	v_cvt_f32_u32_sdwa v12, v83 dst_sel:DWORD dst_unused:UNUSED_PAD src0_sel:WORD_0
	;; [unrolled: 2-line block ×3, first 2 shown]
	v_cvt_f32_u32_sdwa v16, v85 dst_sel:DWORD dst_unused:UNUSED_PAD src0_sel:WORD_0
	v_cvt_f32_u32_sdwa v17, v85 dst_sel:DWORD dst_unused:UNUSED_PAD src0_sel:WORD_1
	s_mul_hi_i32 s29, s35, s6
	s_mul_i32 s28, s35, s6
	s_lshl_b64 s[28:29], s[28:29], 1
	s_waitcnt lgkmcnt(0)
	s_add_u32 s28, s22, s28
	s_mov_b32 s14, 0x7060302
	s_addc_u32 s17, s23, s29
	s_and_b32 s29, s17, 0xffff
	s_waitcnt vmcnt(1)
	v_cvt_f32_u32_sdwa v27, v4 dst_sel:DWORD dst_unused:UNUSED_PAD src0_sel:WORD_1
	v_cvt_f32_u32_sdwa v26, v4 dst_sel:DWORD dst_unused:UNUSED_PAD src0_sel:WORD_0
	v_cvt_f32_u32_sdwa v29, v5 dst_sel:DWORD dst_unused:UNUSED_PAD src0_sel:WORD_1
	v_cvt_f32_u32_sdwa v28, v5 dst_sel:DWORD dst_unused:UNUSED_PAD src0_sel:WORD_0
	;; [unrolled: 2-line block ×3, first 2 shown]
	v_cvt_f32_u32_sdwa v32, v7 dst_sel:DWORD dst_unused:UNUSED_PAD src0_sel:WORD_0
	v_cvt_f32_u32_sdwa v33, v7 dst_sel:DWORD dst_unused:UNUSED_PAD src0_sel:WORD_1
	s_waitcnt vmcnt(0)
	v_cvt_f32_u32_sdwa v37, v8 dst_sel:DWORD dst_unused:UNUSED_PAD src0_sel:WORD_1
	v_cvt_f32_u32_sdwa v36, v8 dst_sel:DWORD dst_unused:UNUSED_PAD src0_sel:WORD_0
	v_cvt_f32_u32_sdwa v5, v10 dst_sel:DWORD dst_unused:UNUSED_PAD src0_sel:WORD_1
	v_cvt_f32_u32_sdwa v4, v10 dst_sel:DWORD dst_unused:UNUSED_PAD src0_sel:WORD_0
	;; [unrolled: 2-line block ×4, first 2 shown]
	v_pk_add_f32 v[58:59], v[22:23], v[4:5]
	v_pk_add_f32 v[24:25], v[24:25], v[6:7]
	v_pk_add_f32 v[52:53], v[18:19], v[36:37]
	v_pk_add_f32 v[34:35], v[20:21], v[10:11]
	v_perm_b32 v7, v25, v24, s14
	v_perm_b32 v6, v59, v58, s14
	v_perm_b32 v5, v35, v34, s14
	v_perm_b32 v4, v53, v52, s14
	v_pk_add_f32 v[86:87], v[16:17], v[32:33]
	v_pk_add_f32 v[14:15], v[14:15], v[30:31]
	;; [unrolled: 1-line block ×4, first 2 shown]
	buffer_store_dwordx4 v[4:7], v38, s[28:31], 0 offen
	;;#ASMSTART
	s_nop 0
	;;#ASMEND
	s_nop 0
	v_perm_b32 v7, v87, v86, s14
	v_perm_b32 v6, v15, v14, s14
	;; [unrolled: 1-line block ×4, first 2 shown]
	buffer_store_dwordx4 v[4:7], v38, s[28:31], 16 offen
	;;#ASMSTART
	s_nop 0
	;;#ASMEND
.LBB674_10:
	s_or_b64 exec, exec, s[2:3]
.LBB674_11:
	v_mul_f32_e32 v2, v53, v53
	v_fmac_f32_e32 v2, v52, v52
	v_fmac_f32_e32 v2, v34, v34
	v_fmac_f32_e32 v2, v35, v35
	v_fmac_f32_e32 v2, v58, v58
	v_fmac_f32_e32 v2, v59, v59
	v_fmac_f32_e32 v2, v24, v24
	v_fmac_f32_e32 v2, v25, v25
	v_fmac_f32_e32 v2, v44, v44
	v_fmac_f32_e32 v2, v45, v45
	v_fmac_f32_e32 v2, v18, v18
	v_fmac_f32_e32 v2, v19, v19
	v_fmac_f32_e32 v2, v14, v14
	v_fmac_f32_e32 v2, v15, v15
	v_fmac_f32_e32 v2, v86, v86
	v_fmac_f32_e32 v2, v87, v87
	s_nop 1
	v_mov_b32_dpp v3, v2 quad_perm:[1,0,3,2] row_mask:0xf bank_mask:0xf
	v_add_f32_e32 v2, v2, v3
	s_nop 1
	v_mov_b32_dpp v3, v2 quad_perm:[2,3,0,1] row_mask:0xf bank_mask:0xf
	v_add_f32_e32 v2, v2, v3
	s_nop 1
	v_mov_b32_dpp v3, v2 row_half_mirror row_mask:0xf bank_mask:0xf
	v_add_f32_e32 v2, v2, v3
	s_nop 1
	v_mov_b32_dpp v3, v2 row_mirror row_mask:0xf bank_mask:0xf
	v_add_f32_e32 v2, v2, v3
	s_nop 1
	v_mov_b32_dpp v3, v2 row_bcast:15 row_mask:0xf bank_mask:0xf
	v_add_f32_e32 v2, v2, v3
	v_and_b32_e32 v3, 63, v0
	v_cmp_eq_u32_e64 s[2:3], 63, v3
	s_nop 0
	v_mov_b32_dpp v3, v2 row_bcast:31 row_mask:0xf bank_mask:0xf
	s_and_saveexec_b64 s[22:23], s[2:3]
	s_cbranch_execz .LBB674_13
; %bb.12:
	v_add_f32_e32 v2, v2, v3
	v_lshrrev_b32_e32 v3, 4, v0
	v_and_b32_e32 v3, 60, v3
	ds_write_b32 v3, v2 offset:8
.LBB674_13:
	s_or_b64 exec, exec, s[22:23]
	v_and_b32_e32 v2, 1, v0
	v_lshlrev_b32_e32 v36, 2, v2
	s_waitcnt lgkmcnt(0)
	s_barrier
	ds_read_b32 v2, v36 offset:8
	s_load_dwordx2 s[38:39], s[4:5], 0x18
	s_waitcnt lgkmcnt(0)
	v_mov_b32_dpp v3, v2 quad_perm:[1,0,3,2] row_mask:0xf bank_mask:0xf
	s_and_saveexec_b64 s[22:23], s[0:1]
	s_cbranch_execnz .LBB674_18
; %bb.14:
	s_or_b64 exec, exec, s[22:23]
	s_mov_b64 s[8:9], -1
	s_and_b64 vcc, exec, s[10:11]
	s_cbranch_vccnz .LBB674_19
.LBB674_15:
	s_andn2_b64 vcc, exec, s[8:9]
	s_cbranch_vccz .LBB674_22
.LBB674_16:
	s_cmp_lt_i32 s16, 1
	s_cbranch_scc0 .LBB674_29
.LBB674_17:
	s_endpgm
.LBB674_18:
	v_add_f32_e32 v2, v2, v3
	v_cvt_f32_u32_e32 v3, s7
	s_mov_b32 s7, 0x800000
	s_waitcnt vmcnt(1)
	v_cvt_f32_u32_sdwa v17, v74 dst_sel:DWORD dst_unused:UNUSED_PAD src0_sel:WORD_1
	v_cvt_f32_u32_sdwa v16, v74 dst_sel:DWORD dst_unused:UNUSED_PAD src0_sel:WORD_0
	v_div_scale_f32 v4, s[28:29], v3, v3, v2
	v_rcp_f32_e32 v5, v4
	v_pk_add_f32 v[16:17], v[16:17], 1.0 op_sel_hi:[1,0]
	v_cvt_f32_u32_sdwa v21, v77 dst_sel:DWORD dst_unused:UNUSED_PAD src0_sel:WORD_1
	v_cvt_f32_u32_sdwa v20, v77 dst_sel:DWORD dst_unused:UNUSED_PAD src0_sel:WORD_0
	v_fma_f32 v6, -v4, v5, 1.0
	v_fmac_f32_e32 v5, v6, v5
	v_div_scale_f32 v6, vcc, v2, v3, v2
	v_mul_f32_e32 v7, v6, v5
	v_fma_f32 v8, -v4, v7, v6
	v_fmac_f32_e32 v7, v8, v5
	v_fma_f32 v4, -v4, v7, v6
	v_div_fmas_f32 v4, v4, v5, v7
	v_div_fixup_f32 v2, v4, v3, v2
	v_mov_b32_e32 v3, s13
	v_mov_b32_e32 v4, s12
	v_cndmask_b32_e64 v3, v3, v4, s[8:9]
	v_add_f32_e32 v2, v3, v2
	v_mul_f32_e32 v3, 0x4b800000, v2
	v_cmp_gt_f32_e32 vcc, s7, v2
	v_cndmask_b32_e32 v2, v2, v3, vcc
	v_rsq_f32_e32 v2, v2
	s_waitcnt vmcnt(0)
	v_cvt_f32_u32_sdwa v23, v72 dst_sel:DWORD dst_unused:UNUSED_PAD src0_sel:WORD_1
	v_cvt_f32_u32_sdwa v22, v72 dst_sel:DWORD dst_unused:UNUSED_PAD src0_sel:WORD_0
	v_mul_f32_e32 v3, 0x45800000, v2
	v_cndmask_b32_e32 v2, v2, v3, vcc
	v_mov_b32_e32 v3, v2
	;;#ASMSTART
	v_pk_mul_f32 v[4:5], v[52:53], v[2:3]
	;;#ASMEND
	;;#ASMSTART
	v_pk_mul_f32 v[6:7], v[34:35], v[2:3]
	;;#ASMEND
	;; [unrolled: 3-line block ×9, first 2 shown]
	v_cvt_f32_u32_sdwa v5, v75 dst_sel:DWORD dst_unused:UNUSED_PAD src0_sel:WORD_1
	v_cvt_f32_u32_sdwa v4, v75 dst_sel:DWORD dst_unused:UNUSED_PAD src0_sel:WORD_0
	v_cvt_f32_u32_sdwa v17, v76 dst_sel:DWORD dst_unused:UNUSED_PAD src0_sel:WORD_1
	v_cvt_f32_u32_sdwa v16, v76 dst_sel:DWORD dst_unused:UNUSED_PAD src0_sel:WORD_0
	v_cvt_f32_u32_sdwa v25, v73 dst_sel:DWORD dst_unused:UNUSED_PAD src0_sel:WORD_1
	v_pk_add_f32 v[4:5], v[4:5], 1.0 op_sel_hi:[1,0]
	;;#ASMSTART
	v_pk_mul_f32 v[34:35], v[6:7], v[4:5]
	;;#ASMEND
	v_pk_add_f32 v[4:5], v[16:17], 1.0 op_sel_hi:[1,0]
	v_pk_add_f32 v[6:7], v[20:21], 1.0 op_sel_hi:[1,0]
	v_cvt_f32_u32_sdwa v17, v70 dst_sel:DWORD dst_unused:UNUSED_PAD src0_sel:WORD_1
	v_cvt_f32_u32_sdwa v16, v70 dst_sel:DWORD dst_unused:UNUSED_PAD src0_sel:WORD_0
	v_cvt_f32_u32_sdwa v21, v71 dst_sel:DWORD dst_unused:UNUSED_PAD src0_sel:WORD_1
	v_cvt_f32_u32_sdwa v20, v71 dst_sel:DWORD dst_unused:UNUSED_PAD src0_sel:WORD_0
	v_cvt_f32_u32_sdwa v24, v73 dst_sel:DWORD dst_unused:UNUSED_PAD src0_sel:WORD_0
	v_pk_add_f32 v[16:17], v[16:17], 1.0 op_sel_hi:[1,0]
	v_pk_add_f32 v[22:23], v[22:23], 1.0 op_sel_hi:[1,0]
	;; [unrolled: 1-line block ×4, first 2 shown]
	;;#ASMSTART
	v_pk_mul_f32 v[58:59], v[8:9], v[4:5]
	;;#ASMEND
	;;#ASMSTART
	v_pk_mul_f32 v[24:25], v[10:11], v[6:7]
	;;#ASMEND
	;; [unrolled: 3-line block ×6, first 2 shown]
	s_or_b64 exec, exec, s[22:23]
	s_mov_b64 s[8:9], -1
	s_and_b64 vcc, exec, s[10:11]
	s_cbranch_vccz .LBB674_15
.LBB674_19:
	s_and_saveexec_b64 s[8:9], s[0:1]
	s_cbranch_execz .LBB674_21
; %bb.20:
	s_mul_hi_i32 s11, s34, s6
	s_mul_i32 s10, s34, s6
	s_lshl_b64 s[10:11], s[10:11], 1
	s_add_u32 s28, s38, s10
	s_addc_u32 s7, s39, s11
	s_and_b32 s29, s7, 0xffff
	s_mov_b32 s7, 0x7060302
	s_mov_b32 s31, 0x20000
	v_perm_b32 v5, v25, v24, s7
	v_perm_b32 v4, v59, v58, s7
	;; [unrolled: 1-line block ×4, first 2 shown]
	v_lshlrev_b32_e32 v6, 5, v0
	buffer_store_dwordx4 v[2:5], v6, s[28:31], 0 offen
	;;#ASMSTART
	s_nop 0
	;;#ASMEND
	s_nop 0
	v_perm_b32 v5, v87, v86, s7
	v_perm_b32 v4, v15, v14, s7
	;; [unrolled: 1-line block ×4, first 2 shown]
	buffer_store_dwordx4 v[2:5], v6, s[28:31], 16 offen
	;;#ASMSTART
	s_nop 0
	;;#ASMEND
.LBB674_21:
	s_or_b64 exec, exec, s[8:9]
	s_cbranch_execnz .LBB674_16
.LBB674_22:
	v_mov_b32_e32 v2, 0
	s_and_saveexec_b64 s[8:9], s[0:1]
	s_cbranch_execz .LBB674_24
; %bb.23:
	v_and_b32_e32 v2, 0x7fffffff, v52
	v_and_b32_e32 v3, 0x7fffffff, v53
	v_mov_b32_e32 v4, 0x2edbe6ff
	;;#ASMSTART
	v_max3_f32 v2, v4, v2, v3

	;;#ASMEND
	v_and_b32_e32 v3, 0x7fffffff, v34
	v_and_b32_e32 v4, 0x7fffffff, v35
	;;#ASMSTART
	v_max3_f32 v2, v2, v3, v4

	;;#ASMEND
	v_and_b32_e32 v3, 0x7fffffff, v58
	v_and_b32_e32 v4, 0x7fffffff, v59
	;;#ASMSTART
	v_max3_f32 v2, v2, v3, v4

	;;#ASMEND
	v_and_b32_e32 v3, 0x7fffffff, v24
	v_and_b32_e32 v4, 0x7fffffff, v25
	;;#ASMSTART
	v_max3_f32 v2, v2, v3, v4

	;;#ASMEND
	v_and_b32_e32 v3, 0x7fffffff, v44
	v_and_b32_e32 v4, 0x7fffffff, v45
	;;#ASMSTART
	v_max3_f32 v2, v2, v3, v4

	;;#ASMEND
	v_and_b32_e32 v3, 0x7fffffff, v18
	v_and_b32_e32 v4, 0x7fffffff, v19
	;;#ASMSTART
	v_max3_f32 v2, v2, v3, v4

	;;#ASMEND
	v_and_b32_e32 v3, 0x7fffffff, v14
	v_and_b32_e32 v4, 0x7fffffff, v15
	;;#ASMSTART
	v_max3_f32 v2, v2, v3, v4

	;;#ASMEND
	v_and_b32_e32 v3, 0x7fffffff, v86
	v_and_b32_e32 v4, 0x7fffffff, v87
	;;#ASMSTART
	v_max3_f32 v2, v2, v3, v4

	;;#ASMEND
.LBB674_24:
	s_or_b64 exec, exec, s[8:9]
	;;#ASMSTART
	v_max_f32 v3, v2, v2 quad_perm:[1,0,3,2] row_mask:0xf bank_mask:0xf bound_ctrl:1
	;;#ASMEND
	;;#ASMSTART
	v_max_f32 v2, v3, v3 quad_perm:[2,3,0,1] row_mask:0xf bank_mask:0xf bound_ctrl:1
	;;#ASMEND
	v_and_b32_e32 v3, 3, v0
	v_cmp_eq_u32_e32 vcc, 0, v3
	v_cmp_gt_i32_e64 s[8:9], s15, v1
	v_mul_f32_e32 v2, 0x3b124925, v2
	s_and_b64 s[10:11], vcc, s[8:9]
	s_and_saveexec_b64 s[8:9], s[10:11]
	s_cbranch_execz .LBB674_26
; %bb.25:
	s_load_dwordx2 s[10:11], s[4:5], 0x8
	s_mul_hi_i32 s23, s25, s6
	s_mul_i32 s22, s25, s6
	v_lshrrev_b32_e32 v3, 2, v0
	s_lshl_b64 s[22:23], s[22:23], 2
	v_mad_i64_i32 v[4:5], s[26:27], s26, v3, 0
	s_waitcnt lgkmcnt(0)
	s_add_u32 s7, s10, s22
	s_addc_u32 s10, s11, s23
	v_lshlrev_b64 v[4:5], 2, v[4:5]
	v_mov_b32_e32 v3, s10
	v_add_co_u32_e32 v4, vcc, s7, v4
	v_addc_co_u32_e32 v5, vcc, v3, v5, vcc
	global_store_dword v[4:5], v2, off
.LBB674_26:
	s_or_b64 exec, exec, s[8:9]
	;;#ASMSTART
	v_rcp_f32 v2, v2
	;;#ASMEND
	s_and_saveexec_b64 s[22:23], s[0:1]
	s_cbranch_execz .LBB674_28
; %bb.27:
	v_mov_b32_e32 v3, v2
	;;#ASMSTART
	v_pk_mul_f32 v[4:5], v[52:53], v[2:3]
	;;#ASMEND
	v_mov_b32_e32 v10, 0xc3e00000
	v_mov_b32_e32 v11, 0x43e00000
	;;#ASMSTART
	v_med3_f32 v4, v4, v10, v11
v_med3_f32 v5, v5, v10, v11
v_cvt_pk_fp8_f32 v6, v4, v5
	;;#ASMEND
	;;#ASMSTART
	v_pk_mul_f32 v[4:5], v[34:35], v[2:3]
	;;#ASMEND
	;;#ASMSTART
	v_med3_f32 v4, v4, v10, v11
v_med3_f32 v5, v5, v10, v11
v_cvt_pk_fp8_f32 v7, v4, v5
	;;#ASMEND
	;;#ASMSTART
	v_pk_mul_f32 v[4:5], v[58:59], v[2:3]
	;;#ASMEND
	;; [unrolled: 8-line block ×3, first 2 shown]
	;;#ASMSTART
	v_med3_f32 v4, v4, v10, v11
v_med3_f32 v5, v5, v10, v11
v_cvt_pk_fp8_f32 v9, v4, v5
	;;#ASMEND
	s_mov_b32 s0, 0x5040100
	v_perm_b32 v4, v7, v6, s0
	s_mov_b32 s0, 0x1060504
	v_perm_b32 v4, v4, v7, s0
	s_load_dwordx2 s[0:1], s[4:5], 0x0
	s_mov_b32 s7, 0x1000504
	;;#ASMSTART
	v_pk_mul_f32 v[6:7], v[44:45], v[2:3]
	;;#ASMEND
	v_perm_b32 v5, v8, v9, s7
	s_mul_i32 s8, s24, s6
	;;#ASMSTART
	v_med3_f32 v6, v6, v10, v11
v_med3_f32 v7, v7, v10, v11
v_cvt_pk_fp8_f32 v8, v6, v7
	;;#ASMEND
	s_mul_hi_i32 s9, s24, s6
	s_waitcnt lgkmcnt(0)
	s_add_u32 s8, s0, s8
	;;#ASMSTART
	v_pk_mul_f32 v[6:7], v[18:19], v[2:3]
	;;#ASMEND
	s_addc_u32 s0, s1, s9
	s_add_i32 s1, s15, 3
	;;#ASMSTART
	v_med3_f32 v6, v6, v10, v11
v_med3_f32 v7, v7, v10, v11
v_cvt_pk_fp8_f32 v9, v6, v7
	;;#ASMEND
	s_ashr_i32 s9, s1, 31
	v_perm_b32 v6, v8, v9, s7
	;;#ASMSTART
	v_pk_mul_f32 v[8:9], v[14:15], v[2:3]
	;;#ASMEND
	v_mov_b32_e32 v7, v9
	s_lshr_b32 s9, s9, 30
	;;#ASMSTART
	v_med3_f32 v8, v8, v10, v11
v_med3_f32 v7, v7, v10, v11
v_cvt_pk_fp8_f32 v9, v8, v7
	;;#ASMEND
	;;#ASMSTART
	v_pk_mul_f32 v[2:3], v[86:87], v[2:3]
	;;#ASMEND
	s_add_i32 s1, s1, s9
	;;#ASMSTART
	v_med3_f32 v2, v2, v10, v11
v_med3_f32 v3, v3, v10, v11
v_cvt_pk_fp8_f32 v7, v2, v3
	;;#ASMEND
	s_and_b32 s10, s1, -4
	s_and_b32 s9, s0, 0xffff
	s_mov_b32 s11, 0x20000
	v_perm_b32 v7, v9, v7, s7
	buffer_store_dwordx4 v[4:7], v1, s[8:11], 0 offen
	;;#ASMSTART
	s_nop 0
	;;#ASMEND
.LBB674_28:
	s_or_b64 exec, exec, s[22:23]
	s_cmp_lt_i32 s16, 1
	s_cbranch_scc1 .LBB674_17
.LBB674_29:
	s_load_dword s0, s[4:5], 0x94
	s_waitcnt lgkmcnt(0)
	s_cmp_lg_u32 s0, 1
	s_cbranch_scc1 .LBB674_17
; %bb.30:
	s_lshl_b32 s0, s16, 1
	s_add_i32 s0, s0, 2
	v_cmp_gt_u32_e32 vcc, s16, v1
	s_and_b32 s22, s0, -4
	v_mov_b32_e32 v18, 0
	v_lshlrev_b32_e32 v1, 5, v0
	v_mov_b32_e32 v14, 0
	v_mov_b32_e32 v15, 0
	;; [unrolled: 1-line block ×16, first 2 shown]
	s_barrier
	s_and_saveexec_b64 s[0:1], vcc
	s_cbranch_execz .LBB674_32
; %bb.31:
	s_mul_hi_i32 s5, s18, s6
	s_mul_i32 s4, s18, s6
	s_and_b32 s21, s21, 0xffff
	s_lshl_b64 s[4:5], s[4:5], 1
	s_add_u32 s8, s36, s4
	s_mov_b32 s23, 0x20000
	s_addc_u32 s4, s37, s5
	s_and_b32 s9, s4, 0xffff
	s_mov_b32 s10, s22
	s_mov_b32 s11, s23
	buffer_load_dwordx4 v[14:17], v1, s[8:11], 0 offen
	buffer_load_dwordx4 v[10:13], v1, s[8:11], 16 offen
	;; [unrolled: 1-line block ×4, first 2 shown]
.LBB674_32:
	s_or_b64 exec, exec, s[0:1]
	v_mov_b32_e32 v19, 0
	v_mov_b32_e32 v32, 0
	;; [unrolled: 1-line block ×15, first 2 shown]
	s_and_saveexec_b64 s[0:1], vcc
	s_cbranch_execz .LBB674_34
; %bb.33:
	s_waitcnt vmcnt(3)
	v_cvt_f32_u32_sdwa v18, v14 dst_sel:DWORD dst_unused:UNUSED_PAD src0_sel:WORD_0
	v_cvt_f32_u32_sdwa v19, v14 dst_sel:DWORD dst_unused:UNUSED_PAD src0_sel:WORD_1
	v_cvt_f32_u32_sdwa v32, v15 dst_sel:DWORD dst_unused:UNUSED_PAD src0_sel:WORD_0
	v_cvt_f32_u32_sdwa v33, v15 dst_sel:DWORD dst_unused:UNUSED_PAD src0_sel:WORD_1
	;; [unrolled: 2-line block ×4, first 2 shown]
	s_waitcnt vmcnt(2)
	v_cvt_f32_u32_sdwa v26, v10 dst_sel:DWORD dst_unused:UNUSED_PAD src0_sel:WORD_0
	v_cvt_f32_u32_sdwa v27, v10 dst_sel:DWORD dst_unused:UNUSED_PAD src0_sel:WORD_1
	v_cvt_f32_u32_sdwa v24, v11 dst_sel:DWORD dst_unused:UNUSED_PAD src0_sel:WORD_0
	v_cvt_f32_u32_sdwa v25, v11 dst_sel:DWORD dst_unused:UNUSED_PAD src0_sel:WORD_1
	;; [unrolled: 2-line block ×4, first 2 shown]
.LBB674_34:
	s_or_b64 exec, exec, s[0:1]
	s_waitcnt vmcnt(2)
	v_mul_f32_e32 v10, v19, v19
	v_fmac_f32_e32 v10, v18, v18
	v_fmac_f32_e32 v10, v32, v32
	;; [unrolled: 1-line block ×15, first 2 shown]
	s_nop 1
	v_mov_b32_dpp v11, v10 quad_perm:[1,0,3,2] row_mask:0xf bank_mask:0xf
	v_add_f32_e32 v10, v10, v11
	s_nop 1
	v_mov_b32_dpp v11, v10 quad_perm:[2,3,0,1] row_mask:0xf bank_mask:0xf
	v_add_f32_e32 v10, v10, v11
	s_nop 1
	v_mov_b32_dpp v11, v10 row_half_mirror row_mask:0xf bank_mask:0xf
	v_add_f32_e32 v10, v10, v11
	s_nop 1
	v_mov_b32_dpp v11, v10 row_mirror row_mask:0xf bank_mask:0xf
	v_add_f32_e32 v10, v10, v11
	s_nop 1
	v_mov_b32_dpp v11, v10 row_bcast:15 row_mask:0xf bank_mask:0xf
	v_add_f32_e32 v10, v10, v11
	s_nop 1
	v_mov_b32_dpp v11, v10 row_bcast:31 row_mask:0xf bank_mask:0xf
	s_and_saveexec_b64 s[0:1], s[2:3]
	s_cbranch_execz .LBB674_36
; %bb.35:
	v_lshrrev_b32_e32 v0, 4, v0
	v_add_f32_e32 v10, v10, v11
	v_and_b32_e32 v0, 60, v0
	ds_write_b32 v0, v10
.LBB674_36:
	s_or_b64 exec, exec, s[0:1]
	s_waitcnt lgkmcnt(0)
	s_barrier
	ds_read_b32 v0, v36
	s_waitcnt lgkmcnt(0)
	s_nop 0
	v_mov_b32_dpp v10, v0 quad_perm:[1,0,3,2] row_mask:0xf bank_mask:0xf
	s_and_saveexec_b64 s[0:1], vcc
	s_cbranch_execz .LBB674_17
; %bb.37:
	v_cvt_f32_u32_e32 v11, s16
	v_add_f32_e32 v0, v0, v10
	s_mov_b32 s23, 0x20000
	v_div_scale_f32 v10, s[0:1], v11, v11, v0
	v_rcp_f32_e32 v12, v10
	v_div_scale_f32 v13, vcc, v0, v11, v0
	s_mov_b32 s0, 0x800000
	v_fma_f32 v14, -v10, v12, 1.0
	v_fmac_f32_e32 v12, v14, v12
	v_mul_f32_e32 v14, v13, v12
	v_fma_f32 v15, -v10, v14, v13
	v_fmac_f32_e32 v14, v15, v12
	v_fma_f32 v10, -v10, v14, v13
	v_div_fmas_f32 v10, v10, v12, v14
	v_div_fixup_f32 v0, v10, v11, v0
	v_add_f32_e32 v0, s13, v0
	v_mul_f32_e32 v10, 0x4b800000, v0
	v_cmp_gt_f32_e32 vcc, s0, v0
	v_cndmask_b32_e32 v0, v0, v10, vcc
	v_rsq_f32_e32 v0, v0
	s_mul_hi_i32 s1, s34, s6
	s_mul_i32 s0, s34, s6
	s_lshl_b64 s[0:1], s[0:1], 1
	v_mul_f32_e32 v10, 0x45800000, v0
	v_cndmask_b32_e32 v10, v0, v10, vcc
	v_mov_b32_e32 v11, v10
	;;#ASMSTART
	v_pk_mul_f32 v[12:13], v[18:19], v[10:11]
	;;#ASMEND
	;;#ASMSTART
	v_pk_mul_f32 v[14:15], v[32:33], v[10:11]
	;;#ASMEND
	;; [unrolled: 3-line block ×4, first 2 shown]
	s_waitcnt vmcnt(1)
	v_cvt_f32_u32_sdwa v29, v6 dst_sel:DWORD dst_unused:UNUSED_PAD src0_sel:WORD_1
	v_cvt_f32_u32_sdwa v28, v6 dst_sel:DWORD dst_unused:UNUSED_PAD src0_sel:WORD_0
	v_cvt_f32_u32_sdwa v31, v7 dst_sel:DWORD dst_unused:UNUSED_PAD src0_sel:WORD_1
	v_cvt_f32_u32_sdwa v30, v7 dst_sel:DWORD dst_unused:UNUSED_PAD src0_sel:WORD_0
	;;#ASMSTART
	v_pk_mul_f32 v[26:27], v[26:27], v[10:11]
	;;#ASMEND
	;;#ASMSTART
	v_pk_mul_f32 v[24:25], v[24:25], v[10:11]
	;;#ASMEND
	;; [unrolled: 3-line block ×4, first 2 shown]
	v_cvt_f32_u32_sdwa v21, v8 dst_sel:DWORD dst_unused:UNUSED_PAD src0_sel:WORD_1
	v_cvt_f32_u32_sdwa v20, v8 dst_sel:DWORD dst_unused:UNUSED_PAD src0_sel:WORD_0
	v_pk_add_f32 v[10:11], v[28:29], 1.0 op_sel_hi:[1,0]
	;;#ASMSTART
	v_pk_mul_f32 v[10:11], v[12:13], v[10:11]
	;;#ASMEND
	v_pk_add_f32 v[12:13], v[30:31], 1.0 op_sel_hi:[1,0]
	v_cvt_f32_u32_sdwa v29, v9 dst_sel:DWORD dst_unused:UNUSED_PAD src0_sel:WORD_1
	v_cvt_f32_u32_sdwa v28, v9 dst_sel:DWORD dst_unused:UNUSED_PAD src0_sel:WORD_0
	;;#ASMSTART
	v_pk_mul_f32 v[8:9], v[14:15], v[12:13]
	;;#ASMEND
	v_pk_add_f32 v[12:13], v[20:21], 1.0 op_sel_hi:[1,0]
	;;#ASMSTART
	v_pk_mul_f32 v[12:13], v[16:17], v[12:13]
	;;#ASMEND
	s_waitcnt vmcnt(0)
	v_cvt_f32_u32_sdwa v17, v2 dst_sel:DWORD dst_unused:UNUSED_PAD src0_sel:WORD_1
	v_cvt_f32_u32_sdwa v16, v2 dst_sel:DWORD dst_unused:UNUSED_PAD src0_sel:WORD_0
	v_cvt_f32_u32_sdwa v21, v3 dst_sel:DWORD dst_unused:UNUSED_PAD src0_sel:WORD_1
	v_cvt_f32_u32_sdwa v20, v3 dst_sel:DWORD dst_unused:UNUSED_PAD src0_sel:WORD_0
	v_pk_add_f32 v[14:15], v[28:29], 1.0 op_sel_hi:[1,0]
	;;#ASMSTART
	v_pk_mul_f32 v[14:15], v[18:19], v[14:15]
	;;#ASMEND
	v_pk_add_f32 v[2:3], v[16:17], 1.0 op_sel_hi:[1,0]
	v_cvt_f32_u32_sdwa v19, v4 dst_sel:DWORD dst_unused:UNUSED_PAD src0_sel:WORD_1
	v_cvt_f32_u32_sdwa v18, v4 dst_sel:DWORD dst_unused:UNUSED_PAD src0_sel:WORD_0
	;;#ASMSTART
	v_pk_mul_f32 v[16:17], v[26:27], v[2:3]
	;;#ASMEND
	v_pk_add_f32 v[2:3], v[20:21], 1.0 op_sel_hi:[1,0]
	v_cvt_f32_u32_sdwa v21, v5 dst_sel:DWORD dst_unused:UNUSED_PAD src0_sel:WORD_1
	v_cvt_f32_u32_sdwa v20, v5 dst_sel:DWORD dst_unused:UNUSED_PAD src0_sel:WORD_0
	s_add_u32 s20, s38, s0
	;;#ASMSTART
	v_pk_mul_f32 v[24:25], v[24:25], v[2:3]
	;;#ASMEND
	v_pk_add_f32 v[2:3], v[18:19], 1.0 op_sel_hi:[1,0]
	s_addc_u32 s0, s39, s1
	;;#ASMSTART
	v_pk_mul_f32 v[18:19], v[22:23], v[2:3]
	;;#ASMEND
	v_pk_add_f32 v[2:3], v[20:21], 1.0 op_sel_hi:[1,0]
	s_and_b32 s21, s0, 0xffff
	s_mov_b32 s0, 0x7060302
	;;#ASMSTART
	v_pk_mul_f32 v[6:7], v[6:7], v[2:3]
	;;#ASMEND
	v_perm_b32 v2, v11, v10, s0
	v_perm_b32 v3, v9, v8, s0
	;; [unrolled: 1-line block ×4, first 2 shown]
	buffer_store_dwordx4 v[2:5], v1, s[20:23], 0 offen
	;;#ASMSTART
	s_nop 0
	;;#ASMEND
	s_nop 0
	v_perm_b32 v2, v17, v16, s0
	v_perm_b32 v3, v25, v24, s0
	;; [unrolled: 1-line block ×4, first 2 shown]
	buffer_store_dwordx4 v[2:5], v1, s[20:23], 16 offen
	;;#ASMSTART
	s_nop 0
	;;#ASMEND
	s_endpgm
	.section	.rodata,"a",@progbits
	.p2align	6, 0x0
	.amdhsa_kernel _ZN5aiter35fused_qk_rmsnorm_group_quant_kernelItDB8_Li128ELi16ELi4ELb1ELb0ELb1ELb0ELb0ELb0EEEvPT0_PvPT_S6_S6_PKS5_S8_S8_S8_S8_ffiiiiiiiiiiiii
		.amdhsa_group_segment_fixed_size 16
		.amdhsa_private_segment_fixed_size 0
		.amdhsa_kernarg_size 400
		.amdhsa_user_sgpr_count 6
		.amdhsa_user_sgpr_private_segment_buffer 1
		.amdhsa_user_sgpr_dispatch_ptr 0
		.amdhsa_user_sgpr_queue_ptr 0
		.amdhsa_user_sgpr_kernarg_segment_ptr 1
		.amdhsa_user_sgpr_dispatch_id 0
		.amdhsa_user_sgpr_flat_scratch_init 0
		.amdhsa_user_sgpr_kernarg_preload_length 0
		.amdhsa_user_sgpr_kernarg_preload_offset 0
		.amdhsa_user_sgpr_private_segment_size 0
		.amdhsa_uses_dynamic_stack 0
		.amdhsa_system_sgpr_private_segment_wavefront_offset 0
		.amdhsa_system_sgpr_workgroup_id_x 1
		.amdhsa_system_sgpr_workgroup_id_y 1
		.amdhsa_system_sgpr_workgroup_id_z 0
		.amdhsa_system_sgpr_workgroup_info 0
		.amdhsa_system_vgpr_workitem_id 0
		.amdhsa_next_free_vgpr 88
		.amdhsa_next_free_sgpr 44
		.amdhsa_accum_offset 88
		.amdhsa_reserve_vcc 1
		.amdhsa_reserve_flat_scratch 0
		.amdhsa_float_round_mode_32 0
		.amdhsa_float_round_mode_16_64 0
		.amdhsa_float_denorm_mode_32 3
		.amdhsa_float_denorm_mode_16_64 3
		.amdhsa_dx10_clamp 1
		.amdhsa_ieee_mode 1
		.amdhsa_fp16_overflow 0
		.amdhsa_tg_split 0
		.amdhsa_exception_fp_ieee_invalid_op 0
		.amdhsa_exception_fp_denorm_src 0
		.amdhsa_exception_fp_ieee_div_zero 0
		.amdhsa_exception_fp_ieee_overflow 0
		.amdhsa_exception_fp_ieee_underflow 0
		.amdhsa_exception_fp_ieee_inexact 0
		.amdhsa_exception_int_div_zero 0
	.end_amdhsa_kernel
	.section	.text._ZN5aiter35fused_qk_rmsnorm_group_quant_kernelItDB8_Li128ELi16ELi4ELb1ELb0ELb1ELb0ELb0ELb0EEEvPT0_PvPT_S6_S6_PKS5_S8_S8_S8_S8_ffiiiiiiiiiiiii,"axG",@progbits,_ZN5aiter35fused_qk_rmsnorm_group_quant_kernelItDB8_Li128ELi16ELi4ELb1ELb0ELb1ELb0ELb0ELb0EEEvPT0_PvPT_S6_S6_PKS5_S8_S8_S8_S8_ffiiiiiiiiiiiii,comdat
.Lfunc_end674:
	.size	_ZN5aiter35fused_qk_rmsnorm_group_quant_kernelItDB8_Li128ELi16ELi4ELb1ELb0ELb1ELb0ELb0ELb0EEEvPT0_PvPT_S6_S6_PKS5_S8_S8_S8_S8_ffiiiiiiiiiiiii, .Lfunc_end674-_ZN5aiter35fused_qk_rmsnorm_group_quant_kernelItDB8_Li128ELi16ELi4ELb1ELb0ELb1ELb0ELb0ELb0EEEvPT0_PvPT_S6_S6_PKS5_S8_S8_S8_S8_ffiiiiiiiiiiiii
                                        ; -- End function
	.section	.AMDGPU.csdata,"",@progbits
; Kernel info:
; codeLenInByte = 4164
; NumSgprs: 48
; NumVgprs: 88
; NumAgprs: 0
; TotalNumVgprs: 88
; ScratchSize: 0
; MemoryBound: 0
; FloatMode: 240
; IeeeMode: 1
; LDSByteSize: 16 bytes/workgroup (compile time only)
; SGPRBlocks: 5
; VGPRBlocks: 10
; NumSGPRsForWavesPerEU: 48
; NumVGPRsForWavesPerEU: 88
; AccumOffset: 88
; Occupancy: 5
; WaveLimiterHint : 0
; COMPUTE_PGM_RSRC2:SCRATCH_EN: 0
; COMPUTE_PGM_RSRC2:USER_SGPR: 6
; COMPUTE_PGM_RSRC2:TRAP_HANDLER: 0
; COMPUTE_PGM_RSRC2:TGID_X_EN: 1
; COMPUTE_PGM_RSRC2:TGID_Y_EN: 1
; COMPUTE_PGM_RSRC2:TGID_Z_EN: 0
; COMPUTE_PGM_RSRC2:TIDIG_COMP_CNT: 0
; COMPUTE_PGM_RSRC3_GFX90A:ACCUM_OFFSET: 21
; COMPUTE_PGM_RSRC3_GFX90A:TG_SPLIT: 0
	.section	.text._ZN5aiter35fused_qk_rmsnorm_group_quant_kernelIDF16_N4opus5fp4_tELi128ELi16ELi4ELb1ELb0ELb1ELb0ELb0ELb0EEEvPT0_PvPT_S7_S7_PKS6_S9_S9_S9_S9_ffiiiiiiiiiiiii,"axG",@progbits,_ZN5aiter35fused_qk_rmsnorm_group_quant_kernelIDF16_N4opus5fp4_tELi128ELi16ELi4ELb1ELb0ELb1ELb0ELb0ELb0EEEvPT0_PvPT_S7_S7_PKS6_S9_S9_S9_S9_ffiiiiiiiiiiiii,comdat
	.protected	_ZN5aiter35fused_qk_rmsnorm_group_quant_kernelIDF16_N4opus5fp4_tELi128ELi16ELi4ELb1ELb0ELb1ELb0ELb0ELb0EEEvPT0_PvPT_S7_S7_PKS6_S9_S9_S9_S9_ffiiiiiiiiiiiii ; -- Begin function _ZN5aiter35fused_qk_rmsnorm_group_quant_kernelIDF16_N4opus5fp4_tELi128ELi16ELi4ELb1ELb0ELb1ELb0ELb0ELb0EEEvPT0_PvPT_S7_S7_PKS6_S9_S9_S9_S9_ffiiiiiiiiiiiii
	.globl	_ZN5aiter35fused_qk_rmsnorm_group_quant_kernelIDF16_N4opus5fp4_tELi128ELi16ELi4ELb1ELb0ELb1ELb0ELb0ELb0EEEvPT0_PvPT_S7_S7_PKS6_S9_S9_S9_S9_ffiiiiiiiiiiiii
	.p2align	8
	.type	_ZN5aiter35fused_qk_rmsnorm_group_quant_kernelIDF16_N4opus5fp4_tELi128ELi16ELi4ELb1ELb0ELb1ELb0ELb0ELb0EEEvPT0_PvPT_S7_S7_PKS6_S9_S9_S9_S9_ffiiiiiiiiiiiii,@function
_ZN5aiter35fused_qk_rmsnorm_group_quant_kernelIDF16_N4opus5fp4_tELi128ELi16ELi4ELb1ELb0ELb1ELb0ELb0ELb0EEEvPT0_PvPT_S7_S7_PKS6_S9_S9_S9_S9_ffiiiiiiiiiiiii: ; @_ZN5aiter35fused_qk_rmsnorm_group_quant_kernelIDF16_N4opus5fp4_tELi128ELi16ELi4ELb1ELb0ELb1ELb0ELb0ELb0EEEvPT0_PvPT_S7_S7_PKS6_S9_S9_S9_S9_ffiiiiiiiiiiiii
; %bb.0:
	s_load_dwordx8 s[12:19], s[4:5], 0x50
	s_waitcnt lgkmcnt(0)
	s_cmp_ge_i32 s6, s14
	s_cbranch_scc1 .LBB675_17
; %bb.1:
	s_cmp_lg_u32 s7, 0
	s_cselect_b64 s[22:23], -1, 0
	s_cmp_eq_u32 s7, 0
	s_cselect_b64 s[2:3], -1, 0
	s_and_b64 s[0:1], s[2:3], exec
	s_load_dwordx2 s[20:21], s[4:5], 0x48
	s_load_dwordx2 s[34:35], s[4:5], 0x30
	s_load_dwordx4 s[24:27], s[4:5], 0x70
	s_cselect_b32 s7, s15, s16
	s_add_i32 s0, s7, 1
	s_lshr_b32 s1, s0, 31
	s_add_i32 s0, s0, s1
	s_lshl_b32 s0, s0, 1
	v_lshlrev_b32_e32 v1, 4, v0
	s_and_b32 s30, s0, -4
	v_cmp_gt_i32_e64 s[0:1], s7, v1
	v_mov_b32_e32 v6, 0
	v_mov_b32_e32 v7, 0
	;; [unrolled: 1-line block ×16, first 2 shown]
	s_and_saveexec_b64 s[8:9], s[0:1]
	s_cbranch_execz .LBB675_3
; %bb.2:
	s_load_dwordx2 s[10:11], s[4:5], 0x28
	s_load_dwordx2 s[28:29], s[4:5], 0x40
	s_and_b64 s[36:37], s[2:3], exec
	s_cselect_b32 s14, s17, s18
	s_mov_b32 s31, 0x20000
	s_waitcnt lgkmcnt(0)
	s_cselect_b32 s17, s11, s35
	s_cselect_b32 s27, s10, s34
	s_mul_hi_i32 s11, s14, s6
	s_mul_i32 s10, s14, s6
	s_lshl_b64 s[10:11], s[10:11], 1
	s_add_u32 s36, s27, s10
	s_addc_u32 s14, s17, s11
	s_and_b64 s[10:11], s[2:3], exec
	s_cselect_b32 s28, s28, s20
	s_cselect_b32 s10, s29, s21
	s_and_b32 s37, s14, 0xffff
	s_mov_b32 s38, s30
	s_mov_b32 s39, s31
	v_lshlrev_b32_e32 v18, 5, v0
	s_and_b32 s29, s10, 0xffff
	buffer_load_dwordx4 v[10:13], v18, s[36:39], 0 offen
	buffer_load_dwordx4 v[14:17], v18, s[36:39], 16 offen
	;; [unrolled: 1-line block ×4, first 2 shown]
.LBB675_3:
	s_or_b64 exec, exec, s[8:9]
	s_load_dwordx2 s[10:11], s[4:5], 0x80
	s_and_b64 vcc, exec, s[22:23]
	s_cbranch_vccz .LBB675_7
; %bb.4:
	v_mov_b32_e32 v19, 0
	v_mov_b32_e32 v18, 0
	;; [unrolled: 1-line block ×16, first 2 shown]
	s_and_saveexec_b64 s[8:9], s[0:1]
	s_cbranch_execz .LBB675_6
; %bb.5:
	s_waitcnt vmcnt(3)
	v_cvt_f32_f16_sdwa v29, v10 dst_sel:DWORD dst_unused:UNUSED_PAD src0_sel:WORD_1
	v_cvt_f32_f16_e32 v28, v10
	v_cvt_f32_f16_sdwa v33, v11 dst_sel:DWORD dst_unused:UNUSED_PAD src0_sel:WORD_1
	v_cvt_f32_f16_e32 v32, v11
	;; [unrolled: 2-line block ×4, first 2 shown]
	s_waitcnt vmcnt(2)
	v_cvt_f32_f16_sdwa v23, v14 dst_sel:DWORD dst_unused:UNUSED_PAD src0_sel:WORD_1
	v_cvt_f32_f16_e32 v22, v14
	v_cvt_f32_f16_sdwa v25, v15 dst_sel:DWORD dst_unused:UNUSED_PAD src0_sel:WORD_1
	v_cvt_f32_f16_e32 v24, v15
	;; [unrolled: 2-line block ×4, first 2 shown]
.LBB675_6:
	s_or_b64 exec, exec, s[8:9]
	s_cbranch_execz .LBB675_8
	s_branch .LBB675_11
.LBB675_7:
                                        ; implicit-def: $vgpr19
                                        ; implicit-def: $vgpr21
                                        ; implicit-def: $vgpr25
                                        ; implicit-def: $vgpr23
                                        ; implicit-def: $vgpr31
                                        ; implicit-def: $vgpr27
                                        ; implicit-def: $vgpr33
                                        ; implicit-def: $vgpr29
.LBB675_8:
	v_mov_b32_e32 v19, 0
	v_mov_b32_e32 v18, 0
	;; [unrolled: 1-line block ×16, first 2 shown]
	s_and_saveexec_b64 s[8:9], s[0:1]
	s_cbranch_execz .LBB675_10
; %bb.9:
	s_load_dwordx2 s[28:29], s[4:5], 0x38
	s_mul_hi_i32 s37, s19, s6
	s_mul_i32 s36, s19, s6
	s_lshl_b64 s[36:37], s[36:37], 1
	s_mov_b32 s31, 0x20000
	s_waitcnt lgkmcnt(0)
	s_add_u32 s28, s28, s36
	s_addc_u32 s14, s29, s37
	s_and_b32 s29, s14, 0xffff
	v_lshlrev_b32_e32 v48, 5, v0
	buffer_load_dwordx4 v[18:21], v48, s[28:31], 16 offen
	buffer_load_dwordx4 v[22:25], v48, s[28:31], 0 offen
	s_waitcnt vmcnt(4)
	v_cvt_f32_f16_sdwa v27, v14 dst_sel:DWORD dst_unused:UNUSED_PAD src0_sel:WORD_1
	v_cvt_f32_f16_e32 v26, v14
	v_cvt_f32_f16_sdwa v29, v15 dst_sel:DWORD dst_unused:UNUSED_PAD src0_sel:WORD_1
	v_cvt_f32_f16_e32 v28, v15
	v_cvt_f32_f16_sdwa v15, v16 dst_sel:DWORD dst_unused:UNUSED_PAD src0_sel:WORD_1
	v_cvt_f32_f16_e32 v14, v16
	v_cvt_f32_f16_sdwa v31, v17 dst_sel:DWORD dst_unused:UNUSED_PAD src0_sel:WORD_1
	v_cvt_f32_f16_e32 v30, v17
	v_cvt_f32_f16_sdwa v17, v10 dst_sel:DWORD dst_unused:UNUSED_PAD src0_sel:WORD_1
	v_cvt_f32_f16_e32 v16, v10
	v_cvt_f32_f16_sdwa v33, v11 dst_sel:DWORD dst_unused:UNUSED_PAD src0_sel:WORD_1
	v_cvt_f32_f16_e32 v32, v11
	v_cvt_f32_f16_sdwa v11, v12 dst_sel:DWORD dst_unused:UNUSED_PAD src0_sel:WORD_1
	v_cvt_f32_f16_e32 v10, v12
	v_cvt_f32_f16_sdwa v35, v13 dst_sel:DWORD dst_unused:UNUSED_PAD src0_sel:WORD_1
	v_cvt_f32_f16_e32 v34, v13
	s_load_dwordx2 s[28:29], s[4:5], 0x20
	s_mul_hi_i32 s37, s11, s6
	s_mul_i32 s36, s11, s6
	s_lshl_b64 s[36:37], s[36:37], 1
	s_waitcnt lgkmcnt(0)
	s_add_u32 s28, s28, s36
	s_addc_u32 s11, s29, s37
	s_and_b32 s29, s11, 0xffff
	s_waitcnt vmcnt(1)
	v_cvt_f32_f16_e32 v12, v18
	v_cvt_f32_f16_sdwa v13, v18 dst_sel:DWORD dst_unused:UNUSED_PAD src0_sel:WORD_1
	v_cvt_f32_f16_e32 v18, v19
	v_cvt_f32_f16_sdwa v19, v19 dst_sel:DWORD dst_unused:UNUSED_PAD src0_sel:WORD_1
	;; [unrolled: 2-line block ×4, first 2 shown]
	s_waitcnt vmcnt(0)
	v_cvt_f32_f16_e32 v40, v22
	v_cvt_f32_f16_sdwa v41, v22 dst_sel:DWORD dst_unused:UNUSED_PAD src0_sel:WORD_1
	v_cvt_f32_f16_e32 v42, v23
	v_cvt_f32_f16_sdwa v43, v23 dst_sel:DWORD dst_unused:UNUSED_PAD src0_sel:WORD_1
	;; [unrolled: 2-line block ×4, first 2 shown]
	v_pk_add_f32 v[22:23], v[26:27], v[12:13]
	v_pk_add_f32 v[24:25], v[28:29], v[18:19]
	;; [unrolled: 1-line block ×8, first 2 shown]
	v_cvt_f16_f32_e32 v10, v29
	v_cvt_f16_f32_e32 v14, v28
	;; [unrolled: 1-line block ×16, first 2 shown]
	v_pack_b32_f16 v13, v17, v13
	v_pack_b32_f16 v12, v16, v12
	;; [unrolled: 1-line block ×8, first 2 shown]
	buffer_store_dwordx4 v[10:13], v48, s[28:31], 0 offen
	;;#ASMSTART
	s_nop 0
	;;#ASMEND
	buffer_store_dwordx4 v[14:17], v48, s[28:31], 16 offen
	;;#ASMSTART
	s_nop 0
	;;#ASMEND
.LBB675_10:
	s_or_b64 exec, exec, s[8:9]
.LBB675_11:
	s_waitcnt vmcnt(3)
	v_mul_f32_e32 v10, v29, v29
	v_fmac_f32_e32 v10, v28, v28
	v_fmac_f32_e32 v10, v32, v32
	v_fmac_f32_e32 v10, v33, v33
	v_fmac_f32_e32 v10, v26, v26
	v_fmac_f32_e32 v10, v27, v27
	v_fmac_f32_e32 v10, v30, v30
	v_fmac_f32_e32 v10, v31, v31
	v_fmac_f32_e32 v10, v22, v22
	v_fmac_f32_e32 v10, v23, v23
	v_fmac_f32_e32 v10, v24, v24
	v_fmac_f32_e32 v10, v25, v25
	v_fmac_f32_e32 v10, v20, v20
	v_fmac_f32_e32 v10, v21, v21
	v_fmac_f32_e32 v10, v18, v18
	v_fmac_f32_e32 v10, v19, v19
	v_and_b32_e32 v12, 63, v0
	v_cmp_eq_u32_e64 s[8:9], 63, v12
	v_mov_b32_dpp v11, v10 quad_perm:[1,0,3,2] row_mask:0xf bank_mask:0xf
	v_add_f32_e32 v10, v10, v11
	s_nop 1
	v_mov_b32_dpp v11, v10 quad_perm:[2,3,0,1] row_mask:0xf bank_mask:0xf
	v_add_f32_e32 v10, v10, v11
	s_nop 1
	v_mov_b32_dpp v11, v10 row_half_mirror row_mask:0xf bank_mask:0xf
	v_add_f32_e32 v10, v10, v11
	s_nop 1
	v_mov_b32_dpp v11, v10 row_mirror row_mask:0xf bank_mask:0xf
	v_add_f32_e32 v10, v10, v11
	s_nop 1
	v_mov_b32_dpp v11, v10 row_bcast:15 row_mask:0xf bank_mask:0xf
	v_add_f32_e32 v10, v10, v11
	s_nop 1
	v_mov_b32_dpp v11, v10 row_bcast:31 row_mask:0xf bank_mask:0xf
	s_and_saveexec_b64 s[28:29], s[8:9]
	s_cbranch_execz .LBB675_13
; %bb.12:
	v_add_f32_e32 v10, v10, v11
	v_lshrrev_b32_e32 v11, 4, v0
	v_and_b32_e32 v11, 60, v11
	ds_write_b32 v11, v10 offset:8
.LBB675_13:
	s_or_b64 exec, exec, s[28:29]
	v_and_b32_e32 v10, 1, v0
	v_lshlrev_b32_e32 v34, 2, v10
	s_waitcnt lgkmcnt(0)
	s_barrier
	ds_read_b32 v10, v34 offset:8
	s_load_dwordx2 s[36:37], s[4:5], 0x18
	s_waitcnt lgkmcnt(0)
	v_mov_b32_dpp v11, v10 quad_perm:[1,0,3,2] row_mask:0xf bank_mask:0xf
	s_and_saveexec_b64 s[28:29], s[0:1]
	s_cbranch_execnz .LBB675_18
; %bb.14:
	s_or_b64 exec, exec, s[28:29]
	s_mov_b64 s[2:3], -1
	s_and_b64 vcc, exec, s[22:23]
	s_cbranch_vccnz .LBB675_19
.LBB675_15:
	s_andn2_b64 vcc, exec, s[2:3]
	s_cbranch_vccz .LBB675_22
.LBB675_16:
	s_cmp_lt_i32 s16, 1
	s_cbranch_scc0 .LBB675_29
.LBB675_17:
	s_endpgm
.LBB675_18:
	v_cvt_f32_u32_e32 v12, s7
	v_add_f32_e32 v10, v10, v11
	s_waitcnt vmcnt(2)
	v_mov_b32_e32 v14, s13
	v_mov_b32_e32 v15, s12
	v_div_scale_f32 v11, s[38:39], v12, v12, v10
	v_rcp_f32_e32 v13, v11
	v_cndmask_b32_e64 v14, v14, v15, s[2:3]
	s_mov_b32 s2, 0x800000
	v_fma_f32 v15, -v11, v13, 1.0
	v_fmac_f32_e32 v13, v15, v13
	v_div_scale_f32 v15, vcc, v10, v12, v10
	v_mul_f32_e32 v16, v15, v13
	v_fma_f32 v17, -v11, v16, v15
	v_fmac_f32_e32 v16, v17, v13
	v_fma_f32 v11, -v11, v16, v15
	v_div_fmas_f32 v11, v11, v13, v16
	v_div_fixup_f32 v10, v11, v12, v10
	v_add_f32_e32 v10, v14, v10
	v_mul_f32_e32 v11, 0x4b800000, v10
	v_cmp_gt_f32_e32 vcc, s2, v10
	v_cndmask_b32_e32 v10, v10, v11, vcc
	v_rsq_f32_e32 v10, v10
	v_mul_f32_e32 v11, 0x45800000, v10
	v_cndmask_b32_e32 v10, v10, v11, vcc
	v_mov_b32_e32 v11, v10
	;;#ASMSTART
	v_pk_mul_f32 v[12:13], v[28:29], v[10:11]
	;;#ASMEND
	;;#ASMSTART
	v_pk_mul_f32 v[14:15], v[32:33], v[10:11]
	;;#ASMEND
	;;#ASMSTART
	v_pk_mul_f32 v[16:17], v[26:27], v[10:11]
	;;#ASMEND
	s_waitcnt vmcnt(1)
	v_cvt_f32_f16_sdwa v27, v6 dst_sel:DWORD dst_unused:UNUSED_PAD src0_sel:WORD_1
	v_cvt_f32_f16_e32 v26, v6
	v_cvt_f32_f16_sdwa v33, v7 dst_sel:DWORD dst_unused:UNUSED_PAD src0_sel:WORD_1
	v_cvt_f32_f16_e32 v32, v7
	;;#ASMSTART
	v_pk_mul_f32 v[30:31], v[30:31], v[10:11]
	;;#ASMEND
	;;#ASMSTART
	v_pk_mul_f32 v[22:23], v[22:23], v[10:11]
	;;#ASMEND
	;; [unrolled: 3-line block ×5, first 2 shown]
	v_pk_add_f32 v[10:11], v[26:27], 1.0 op_sel_hi:[1,0]
	;;#ASMSTART
	v_pk_mul_f32 v[28:29], v[12:13], v[10:11]
	;;#ASMEND
	v_cvt_f32_f16_sdwa v13, v8 dst_sel:DWORD dst_unused:UNUSED_PAD src0_sel:WORD_1
	v_cvt_f32_f16_e32 v12, v8
	v_cvt_f32_f16_sdwa v19, v9 dst_sel:DWORD dst_unused:UNUSED_PAD src0_sel:WORD_1
	v_cvt_f32_f16_e32 v18, v9
	v_pk_add_f32 v[10:11], v[32:33], 1.0 op_sel_hi:[1,0]
	;;#ASMSTART
	v_pk_mul_f32 v[32:33], v[14:15], v[10:11]
	;;#ASMEND
	s_waitcnt vmcnt(0)
	v_cvt_f32_f16_sdwa v11, v2 dst_sel:DWORD dst_unused:UNUSED_PAD src0_sel:WORD_1
	v_cvt_f32_f16_e32 v10, v2
	v_pk_add_f32 v[8:9], v[12:13], 1.0 op_sel_hi:[1,0]
	;;#ASMSTART
	v_pk_mul_f32 v[26:27], v[16:17], v[8:9]
	;;#ASMEND
	v_pk_add_f32 v[8:9], v[18:19], 1.0 op_sel_hi:[1,0]
	v_cvt_f32_f16_sdwa v13, v3 dst_sel:DWORD dst_unused:UNUSED_PAD src0_sel:WORD_1
	v_cvt_f32_f16_e32 v12, v3
	;;#ASMSTART
	v_pk_mul_f32 v[30:31], v[30:31], v[8:9]
	;;#ASMEND
	v_cvt_f32_f16_sdwa v9, v4 dst_sel:DWORD dst_unused:UNUSED_PAD src0_sel:WORD_1
	v_cvt_f32_f16_e32 v8, v4
	v_pk_add_f32 v[2:3], v[10:11], 1.0 op_sel_hi:[1,0]
	v_cvt_f32_f16_sdwa v11, v5 dst_sel:DWORD dst_unused:UNUSED_PAD src0_sel:WORD_1
	v_cvt_f32_f16_e32 v10, v5
	;;#ASMSTART
	v_pk_mul_f32 v[22:23], v[22:23], v[2:3]
	;;#ASMEND
	v_pk_add_f32 v[2:3], v[12:13], 1.0 op_sel_hi:[1,0]
	;;#ASMSTART
	v_pk_mul_f32 v[24:25], v[24:25], v[2:3]
	;;#ASMEND
	v_pk_add_f32 v[2:3], v[8:9], 1.0 op_sel_hi:[1,0]
	;; [unrolled: 4-line block ×3, first 2 shown]
	;;#ASMSTART
	v_pk_mul_f32 v[18:19], v[6:7], v[2:3]
	;;#ASMEND
	s_or_b64 exec, exec, s[28:29]
	s_mov_b64 s[2:3], -1
	s_and_b64 vcc, exec, s[22:23]
	s_cbranch_vccz .LBB675_15
.LBB675_19:
	s_and_saveexec_b64 s[2:3], s[0:1]
	s_cbranch_execz .LBB675_21
; %bb.20:
	s_mul_hi_i32 s23, s10, s6
	s_mul_i32 s22, s10, s6
	s_waitcnt vmcnt(0)
	v_cvt_f16_f32_e32 v2, v28
	v_cvt_f16_f32_e32 v3, v32
	;; [unrolled: 1-line block ×8, first 2 shown]
	s_lshl_b64 s[22:23], s[22:23], 1
	s_add_u32 s28, s36, s22
	s_addc_u32 s7, s37, s23
	s_and_b32 s29, s7, 0xffff
	s_mov_b32 s31, 0x20000
	v_pack_b32_f16 v5, v5, v6
	v_pack_b32_f16 v4, v4, v7
	;; [unrolled: 1-line block ×4, first 2 shown]
	v_lshlrev_b32_e32 v6, 5, v0
	buffer_store_dwordx4 v[2:5], v6, s[28:31], 0 offen
	v_cvt_f16_f32_e32 v7, v19
	v_cvt_f16_f32_e32 v2, v22
	;; [unrolled: 1-line block ×8, first 2 shown]
	v_pack_b32_f16 v5, v5, v7
	v_pack_b32_f16 v4, v4, v8
	;; [unrolled: 1-line block ×4, first 2 shown]
	;;#ASMSTART
	s_nop 0
	;;#ASMEND
	buffer_store_dwordx4 v[2:5], v6, s[28:31], 16 offen
	;;#ASMSTART
	s_nop 0
	;;#ASMEND
.LBB675_21:
	s_or_b64 exec, exec, s[2:3]
	s_cbranch_execnz .LBB675_16
.LBB675_22:
	s_waitcnt vmcnt(0)
	v_mov_b32_e32 v2, 0
	s_and_saveexec_b64 s[2:3], s[0:1]
	s_cbranch_execz .LBB675_24
; %bb.23:
	v_and_b32_e32 v2, 0x7fffffff, v28
	v_and_b32_e32 v3, 0x7fffffff, v29
	v_mov_b32_e32 v4, 0x2edbe6ff
	;;#ASMSTART
	v_max3_f32 v2, v4, v2, v3

	;;#ASMEND
	v_and_b32_e32 v3, 0x7fffffff, v32
	v_and_b32_e32 v4, 0x7fffffff, v33
	;;#ASMSTART
	v_max3_f32 v2, v2, v3, v4

	;;#ASMEND
	v_and_b32_e32 v3, 0x7fffffff, v26
	v_and_b32_e32 v4, 0x7fffffff, v27
	;; [unrolled: 6-line block ×7, first 2 shown]
	;;#ASMSTART
	v_max3_f32 v2, v2, v3, v4

	;;#ASMEND
.LBB675_24:
	s_or_b64 exec, exec, s[2:3]
	;;#ASMSTART
	v_max_f32 v3, v2, v2 quad_perm:[1,0,3,2] row_mask:0xf bank_mask:0xf bound_ctrl:1
	;;#ASMEND
	;;#ASMSTART
	v_max_f32 v2, v3, v3 quad_perm:[2,3,0,1] row_mask:0xf bank_mask:0xf bound_ctrl:1
	;;#ASMEND
	v_and_b32_e32 v3, 3, v0
	v_cmp_eq_u32_e32 vcc, 0, v3
	v_cmp_gt_i32_e64 s[2:3], s15, v1
	s_and_b64 s[22:23], vcc, s[2:3]
	s_and_saveexec_b64 s[2:3], s[22:23]
	s_cbranch_execz .LBB675_26
; %bb.25:
	s_load_dwordx2 s[22:23], s[4:5], 0x8
	v_mul_f32_e32 v2, 0x3e2aaaab, v2
	v_lshrrev_b32_e32 v3, 23, v2
	v_and_b32_e32 v4, 0x7f800000, v2
	v_and_b32_e32 v2, 0x7fffff, v2
	v_cmp_ne_u32_e32 vcc, 0, v2
	s_mul_i32 s12, s25, s6
	s_mov_b32 s7, 0x7f800000
	v_addc_co_u32_e32 v2, vcc, 0, v3, vcc
	s_mul_hi_i32 s11, s25, s6
	s_waitcnt lgkmcnt(0)
	s_add_u32 s22, s22, s12
	v_cmp_ne_u32_e32 vcc, s7, v4
	s_addc_u32 s23, s23, s11
	v_lshrrev_b32_e32 v5, 2, v0
	v_cndmask_b32_e32 v4, -1, v2, vcc
	v_pk_mov_b32 v[2:3], s[22:23], s[22:23] op_sel:[0,1]
	v_mad_i64_i32 v[2:3], s[22:23], s26, v5, v[2:3]
	global_store_byte v[2:3], v4, off
.LBB675_26:
	s_or_b64 exec, exec, s[2:3]
	s_and_saveexec_b64 s[2:3], s[0:1]
	s_cbranch_execz .LBB675_28
; %bb.27:
	s_load_dwordx2 s[0:1], s[4:5], 0x0
	s_mul_i32 s11, s24, s6
	s_mul_hi_i32 s7, s24, s6
	v_mov_b32_e32 v2, 0
	v_lshlrev_b32_e32 v4, 3, v0
	s_waitcnt lgkmcnt(0)
	s_add_u32 s24, s0, s11
	s_addc_u32 s0, s1, s7
	s_lshr_b32 s1, s15, 31
	s_add_i32 s1, s15, s1
	s_ashr_i32 s1, s1, 1
	s_add_i32 s1, s1, 3
	s_ashr_i32 s7, s1, 31
	s_lshr_b32 s7, s7, 30
	s_add_i32 s1, s1, s7
	s_and_b32 s26, s1, -4
	s_and_b32 s25, s0, 0xffff
	s_mov_b32 s27, 0x20000
	v_mov_b32_e32 v3, v2
	buffer_store_dwordx2 v[2:3], v4, s[24:27], 0 offen
	;;#ASMSTART
	s_nop 0
	;;#ASMEND
.LBB675_28:
	s_or_b64 exec, exec, s[2:3]
	s_cmp_lt_i32 s16, 1
	s_cbranch_scc1 .LBB675_17
.LBB675_29:
	s_load_dword s0, s[4:5], 0x94
	s_waitcnt lgkmcnt(0)
	s_cmp_lg_u32 s0, 1
	s_cbranch_scc1 .LBB675_17
; %bb.30:
	s_lshl_b32 s0, s16, 1
	s_add_i32 s0, s0, 2
	v_cmp_gt_u32_e32 vcc, s16, v1
	s_and_b32 s22, s0, -4
	v_mov_b32_e32 v18, 0
	v_lshlrev_b32_e32 v1, 5, v0
	s_waitcnt vmcnt(2)
	v_mov_b32_e32 v14, 0
	v_mov_b32_e32 v15, 0
	;; [unrolled: 1-line block ×8, first 2 shown]
	s_waitcnt vmcnt(1)
	v_mov_b32_e32 v6, 0
	v_mov_b32_e32 v7, 0
	;; [unrolled: 1-line block ×4, first 2 shown]
	s_waitcnt vmcnt(0)
	v_mov_b32_e32 v2, 0
	v_mov_b32_e32 v3, 0
	v_mov_b32_e32 v4, 0
	v_mov_b32_e32 v5, 0
	s_barrier
	s_and_saveexec_b64 s[0:1], vcc
	s_cbranch_execz .LBB675_32
; %bb.31:
	s_mul_hi_i32 s3, s18, s6
	s_mul_i32 s2, s18, s6
	s_and_b32 s21, s21, 0xffff
	s_lshl_b64 s[2:3], s[2:3], 1
	s_add_u32 s24, s34, s2
	s_mov_b32 s23, 0x20000
	s_addc_u32 s2, s35, s3
	s_and_b32 s25, s2, 0xffff
	s_mov_b32 s26, s22
	s_mov_b32 s27, s23
	buffer_load_dwordx4 v[14:17], v1, s[24:27], 0 offen
	buffer_load_dwordx4 v[10:13], v1, s[24:27], 16 offen
	;; [unrolled: 1-line block ×4, first 2 shown]
.LBB675_32:
	s_or_b64 exec, exec, s[0:1]
	v_mov_b32_e32 v19, 0
	v_mov_b32_e32 v32, 0
	;; [unrolled: 1-line block ×15, first 2 shown]
	s_and_saveexec_b64 s[0:1], vcc
	s_cbranch_execz .LBB675_34
; %bb.33:
	s_waitcnt vmcnt(3)
	v_cvt_f32_f16_sdwa v19, v14 dst_sel:DWORD dst_unused:UNUSED_PAD src0_sel:WORD_1
	v_cvt_f32_f16_e32 v18, v14
	v_cvt_f32_f16_sdwa v33, v15 dst_sel:DWORD dst_unused:UNUSED_PAD src0_sel:WORD_1
	v_cvt_f32_f16_e32 v32, v15
	;; [unrolled: 2-line block ×4, first 2 shown]
	s_waitcnt vmcnt(2)
	v_cvt_f32_f16_sdwa v27, v10 dst_sel:DWORD dst_unused:UNUSED_PAD src0_sel:WORD_1
	v_cvt_f32_f16_e32 v26, v10
	v_cvt_f32_f16_sdwa v25, v11 dst_sel:DWORD dst_unused:UNUSED_PAD src0_sel:WORD_1
	v_cvt_f32_f16_e32 v24, v11
	;; [unrolled: 2-line block ×4, first 2 shown]
.LBB675_34:
	s_or_b64 exec, exec, s[0:1]
	s_waitcnt vmcnt(2)
	v_mul_f32_e32 v10, v19, v19
	v_fmac_f32_e32 v10, v18, v18
	v_fmac_f32_e32 v10, v32, v32
	;; [unrolled: 1-line block ×15, first 2 shown]
	s_nop 1
	v_mov_b32_dpp v11, v10 quad_perm:[1,0,3,2] row_mask:0xf bank_mask:0xf
	v_add_f32_e32 v10, v10, v11
	s_nop 1
	v_mov_b32_dpp v11, v10 quad_perm:[2,3,0,1] row_mask:0xf bank_mask:0xf
	v_add_f32_e32 v10, v10, v11
	s_nop 1
	v_mov_b32_dpp v11, v10 row_half_mirror row_mask:0xf bank_mask:0xf
	v_add_f32_e32 v10, v10, v11
	s_nop 1
	v_mov_b32_dpp v11, v10 row_mirror row_mask:0xf bank_mask:0xf
	v_add_f32_e32 v10, v10, v11
	s_nop 1
	v_mov_b32_dpp v11, v10 row_bcast:15 row_mask:0xf bank_mask:0xf
	v_add_f32_e32 v10, v10, v11
	s_nop 1
	v_mov_b32_dpp v11, v10 row_bcast:31 row_mask:0xf bank_mask:0xf
	s_and_saveexec_b64 s[0:1], s[8:9]
	s_cbranch_execz .LBB675_36
; %bb.35:
	v_lshrrev_b32_e32 v0, 4, v0
	v_add_f32_e32 v10, v10, v11
	v_and_b32_e32 v0, 60, v0
	ds_write_b32 v0, v10
.LBB675_36:
	s_or_b64 exec, exec, s[0:1]
	s_waitcnt lgkmcnt(0)
	s_barrier
	ds_read_b32 v0, v34
	s_waitcnt lgkmcnt(0)
	s_nop 0
	v_mov_b32_dpp v10, v0 quad_perm:[1,0,3,2] row_mask:0xf bank_mask:0xf
	s_and_saveexec_b64 s[0:1], vcc
	s_cbranch_execz .LBB675_17
; %bb.37:
	v_cvt_f32_u32_e32 v11, s16
	v_add_f32_e32 v0, v0, v10
	s_mov_b32 s23, 0x20000
	v_div_scale_f32 v10, s[0:1], v11, v11, v0
	v_rcp_f32_e32 v12, v10
	v_div_scale_f32 v13, vcc, v0, v11, v0
	s_mov_b32 s0, 0x800000
	v_fma_f32 v14, -v10, v12, 1.0
	v_fmac_f32_e32 v12, v14, v12
	v_mul_f32_e32 v14, v13, v12
	v_fma_f32 v15, -v10, v14, v13
	v_fmac_f32_e32 v14, v15, v12
	v_fma_f32 v10, -v10, v14, v13
	v_div_fmas_f32 v10, v10, v12, v14
	v_div_fixup_f32 v0, v10, v11, v0
	v_add_f32_e32 v0, s13, v0
	v_mul_f32_e32 v10, 0x4b800000, v0
	v_cmp_gt_f32_e32 vcc, s0, v0
	v_cndmask_b32_e32 v0, v0, v10, vcc
	v_rsq_f32_e32 v0, v0
	s_mul_hi_i32 s1, s10, s6
	s_mul_i32 s0, s10, s6
	s_lshl_b64 s[0:1], s[0:1], 1
	v_mul_f32_e32 v10, 0x45800000, v0
	v_cndmask_b32_e32 v10, v0, v10, vcc
	v_mov_b32_e32 v11, v10
	;;#ASMSTART
	v_pk_mul_f32 v[12:13], v[18:19], v[10:11]
	;;#ASMEND
	;;#ASMSTART
	v_pk_mul_f32 v[14:15], v[32:33], v[10:11]
	;;#ASMEND
	;; [unrolled: 3-line block ×4, first 2 shown]
	s_waitcnt vmcnt(1)
	v_cvt_f32_f16_sdwa v29, v6 dst_sel:DWORD dst_unused:UNUSED_PAD src0_sel:WORD_1
	v_cvt_f32_f16_e32 v28, v6
	v_cvt_f32_f16_sdwa v31, v7 dst_sel:DWORD dst_unused:UNUSED_PAD src0_sel:WORD_1
	v_cvt_f32_f16_e32 v30, v7
	;;#ASMSTART
	v_pk_mul_f32 v[26:27], v[26:27], v[10:11]
	;;#ASMEND
	;;#ASMSTART
	v_pk_mul_f32 v[24:25], v[24:25], v[10:11]
	;;#ASMEND
	;; [unrolled: 3-line block ×4, first 2 shown]
	v_cvt_f32_f16_sdwa v21, v8 dst_sel:DWORD dst_unused:UNUSED_PAD src0_sel:WORD_1
	v_cvt_f32_f16_e32 v20, v8
	v_pk_add_f32 v[10:11], v[28:29], 1.0 op_sel_hi:[1,0]
	;;#ASMSTART
	v_pk_mul_f32 v[10:11], v[12:13], v[10:11]
	;;#ASMEND
	v_pk_add_f32 v[12:13], v[30:31], 1.0 op_sel_hi:[1,0]
	v_cvt_f32_f16_sdwa v29, v9 dst_sel:DWORD dst_unused:UNUSED_PAD src0_sel:WORD_1
	v_cvt_f32_f16_e32 v28, v9
	;;#ASMSTART
	v_pk_mul_f32 v[8:9], v[14:15], v[12:13]
	;;#ASMEND
	v_pk_add_f32 v[12:13], v[20:21], 1.0 op_sel_hi:[1,0]
	;;#ASMSTART
	v_pk_mul_f32 v[12:13], v[16:17], v[12:13]
	;;#ASMEND
	s_waitcnt vmcnt(0)
	v_cvt_f32_f16_sdwa v17, v2 dst_sel:DWORD dst_unused:UNUSED_PAD src0_sel:WORD_1
	v_cvt_f32_f16_e32 v16, v2
	v_cvt_f32_f16_sdwa v21, v3 dst_sel:DWORD dst_unused:UNUSED_PAD src0_sel:WORD_1
	v_cvt_f32_f16_e32 v20, v3
	v_pk_add_f32 v[14:15], v[28:29], 1.0 op_sel_hi:[1,0]
	;;#ASMSTART
	v_pk_mul_f32 v[2:3], v[18:19], v[14:15]
	;;#ASMEND
	v_cvt_f32_f16_sdwa v19, v4 dst_sel:DWORD dst_unused:UNUSED_PAD src0_sel:WORD_1
	v_cvt_f32_f16_e32 v18, v4
	v_pk_add_f32 v[14:15], v[16:17], 1.0 op_sel_hi:[1,0]
	v_pk_add_f32 v[16:17], v[20:21], 1.0 op_sel_hi:[1,0]
	v_cvt_f32_f16_sdwa v21, v5 dst_sel:DWORD dst_unused:UNUSED_PAD src0_sel:WORD_1
	v_cvt_f32_f16_e32 v20, v5
	v_pk_add_f32 v[4:5], v[18:19], 1.0 op_sel_hi:[1,0]
	;;#ASMSTART
	v_pk_mul_f32 v[14:15], v[26:27], v[14:15]
	;;#ASMEND
	;;#ASMSTART
	v_pk_mul_f32 v[16:17], v[24:25], v[16:17]
	;;#ASMEND
	;; [unrolled: 3-line block ×3, first 2 shown]
	v_pk_add_f32 v[4:5], v[20:21], 1.0 op_sel_hi:[1,0]
	;;#ASMSTART
	v_pk_mul_f32 v[6:7], v[6:7], v[4:5]
	;;#ASMEND
	v_cvt_f16_f32_e32 v0, v10
	v_cvt_f16_f32_e32 v4, v11
	v_cvt_f16_f32_e32 v5, v8
	v_cvt_f16_f32_e32 v8, v9
	v_cvt_f16_f32_e32 v9, v12
	v_cvt_f16_f32_e32 v10, v13
	v_cvt_f16_f32_e32 v11, v2
	v_cvt_f16_f32_e32 v12, v3
	s_add_u32 s20, s36, s0
	s_addc_u32 s0, s37, s1
	s_and_b32 s21, s0, 0xffff
	v_pack_b32_f16 v2, v0, v4
	v_pack_b32_f16 v3, v5, v8
	;; [unrolled: 1-line block ×4, first 2 shown]
	buffer_store_dwordx4 v[2:5], v1, s[20:23], 0 offen
	v_cvt_f16_f32_e32 v0, v14
	v_cvt_f16_f32_e32 v2, v15
	;; [unrolled: 1-line block ×8, first 2 shown]
	v_pack_b32_f16 v2, v0, v2
	v_pack_b32_f16 v3, v3, v4
	;; [unrolled: 1-line block ×4, first 2 shown]
	;;#ASMSTART
	s_nop 0
	;;#ASMEND
	buffer_store_dwordx4 v[2:5], v1, s[20:23], 16 offen
	;;#ASMSTART
	s_nop 0
	;;#ASMEND
	s_endpgm
	.section	.rodata,"a",@progbits
	.p2align	6, 0x0
	.amdhsa_kernel _ZN5aiter35fused_qk_rmsnorm_group_quant_kernelIDF16_N4opus5fp4_tELi128ELi16ELi4ELb1ELb0ELb1ELb0ELb0ELb0EEEvPT0_PvPT_S7_S7_PKS6_S9_S9_S9_S9_ffiiiiiiiiiiiii
		.amdhsa_group_segment_fixed_size 16
		.amdhsa_private_segment_fixed_size 0
		.amdhsa_kernarg_size 400
		.amdhsa_user_sgpr_count 6
		.amdhsa_user_sgpr_private_segment_buffer 1
		.amdhsa_user_sgpr_dispatch_ptr 0
		.amdhsa_user_sgpr_queue_ptr 0
		.amdhsa_user_sgpr_kernarg_segment_ptr 1
		.amdhsa_user_sgpr_dispatch_id 0
		.amdhsa_user_sgpr_flat_scratch_init 0
		.amdhsa_user_sgpr_kernarg_preload_length 0
		.amdhsa_user_sgpr_kernarg_preload_offset 0
		.amdhsa_user_sgpr_private_segment_size 0
		.amdhsa_uses_dynamic_stack 0
		.amdhsa_system_sgpr_private_segment_wavefront_offset 0
		.amdhsa_system_sgpr_workgroup_id_x 1
		.amdhsa_system_sgpr_workgroup_id_y 1
		.amdhsa_system_sgpr_workgroup_id_z 0
		.amdhsa_system_sgpr_workgroup_info 0
		.amdhsa_system_vgpr_workitem_id 0
		.amdhsa_next_free_vgpr 49
		.amdhsa_next_free_sgpr 40
		.amdhsa_accum_offset 52
		.amdhsa_reserve_vcc 1
		.amdhsa_reserve_flat_scratch 0
		.amdhsa_float_round_mode_32 0
		.amdhsa_float_round_mode_16_64 0
		.amdhsa_float_denorm_mode_32 3
		.amdhsa_float_denorm_mode_16_64 3
		.amdhsa_dx10_clamp 1
		.amdhsa_ieee_mode 1
		.amdhsa_fp16_overflow 0
		.amdhsa_tg_split 0
		.amdhsa_exception_fp_ieee_invalid_op 0
		.amdhsa_exception_fp_denorm_src 0
		.amdhsa_exception_fp_ieee_div_zero 0
		.amdhsa_exception_fp_ieee_overflow 0
		.amdhsa_exception_fp_ieee_underflow 0
		.amdhsa_exception_fp_ieee_inexact 0
		.amdhsa_exception_int_div_zero 0
	.end_amdhsa_kernel
	.section	.text._ZN5aiter35fused_qk_rmsnorm_group_quant_kernelIDF16_N4opus5fp4_tELi128ELi16ELi4ELb1ELb0ELb1ELb0ELb0ELb0EEEvPT0_PvPT_S7_S7_PKS6_S9_S9_S9_S9_ffiiiiiiiiiiiii,"axG",@progbits,_ZN5aiter35fused_qk_rmsnorm_group_quant_kernelIDF16_N4opus5fp4_tELi128ELi16ELi4ELb1ELb0ELb1ELb0ELb0ELb0EEEvPT0_PvPT_S7_S7_PKS6_S9_S9_S9_S9_ffiiiiiiiiiiiii,comdat
.Lfunc_end675:
	.size	_ZN5aiter35fused_qk_rmsnorm_group_quant_kernelIDF16_N4opus5fp4_tELi128ELi16ELi4ELb1ELb0ELb1ELb0ELb0ELb0EEEvPT0_PvPT_S7_S7_PKS6_S9_S9_S9_S9_ffiiiiiiiiiiiii, .Lfunc_end675-_ZN5aiter35fused_qk_rmsnorm_group_quant_kernelIDF16_N4opus5fp4_tELi128ELi16ELi4ELb1ELb0ELb1ELb0ELb0ELb0EEEvPT0_PvPT_S7_S7_PKS6_S9_S9_S9_S9_ffiiiiiiiiiiiii
                                        ; -- End function
	.section	.AMDGPU.csdata,"",@progbits
; Kernel info:
; codeLenInByte = 3848
; NumSgprs: 44
; NumVgprs: 49
; NumAgprs: 0
; TotalNumVgprs: 49
; ScratchSize: 0
; MemoryBound: 0
; FloatMode: 240
; IeeeMode: 1
; LDSByteSize: 16 bytes/workgroup (compile time only)
; SGPRBlocks: 5
; VGPRBlocks: 6
; NumSGPRsForWavesPerEU: 44
; NumVGPRsForWavesPerEU: 49
; AccumOffset: 52
; Occupancy: 8
; WaveLimiterHint : 0
; COMPUTE_PGM_RSRC2:SCRATCH_EN: 0
; COMPUTE_PGM_RSRC2:USER_SGPR: 6
; COMPUTE_PGM_RSRC2:TRAP_HANDLER: 0
; COMPUTE_PGM_RSRC2:TGID_X_EN: 1
; COMPUTE_PGM_RSRC2:TGID_Y_EN: 1
; COMPUTE_PGM_RSRC2:TGID_Z_EN: 0
; COMPUTE_PGM_RSRC2:TIDIG_COMP_CNT: 0
; COMPUTE_PGM_RSRC3_GFX90A:ACCUM_OFFSET: 12
; COMPUTE_PGM_RSRC3_GFX90A:TG_SPLIT: 0
	.section	.text._ZN5aiter35fused_qk_rmsnorm_group_quant_kernelItN4opus5fp4_tELi128ELi16ELi4ELb1ELb0ELb1ELb0ELb0ELb0EEEvPT0_PvPT_S7_S7_PKS6_S9_S9_S9_S9_ffiiiiiiiiiiiii,"axG",@progbits,_ZN5aiter35fused_qk_rmsnorm_group_quant_kernelItN4opus5fp4_tELi128ELi16ELi4ELb1ELb0ELb1ELb0ELb0ELb0EEEvPT0_PvPT_S7_S7_PKS6_S9_S9_S9_S9_ffiiiiiiiiiiiii,comdat
	.protected	_ZN5aiter35fused_qk_rmsnorm_group_quant_kernelItN4opus5fp4_tELi128ELi16ELi4ELb1ELb0ELb1ELb0ELb0ELb0EEEvPT0_PvPT_S7_S7_PKS6_S9_S9_S9_S9_ffiiiiiiiiiiiii ; -- Begin function _ZN5aiter35fused_qk_rmsnorm_group_quant_kernelItN4opus5fp4_tELi128ELi16ELi4ELb1ELb0ELb1ELb0ELb0ELb0EEEvPT0_PvPT_S7_S7_PKS6_S9_S9_S9_S9_ffiiiiiiiiiiiii
	.globl	_ZN5aiter35fused_qk_rmsnorm_group_quant_kernelItN4opus5fp4_tELi128ELi16ELi4ELb1ELb0ELb1ELb0ELb0ELb0EEEvPT0_PvPT_S7_S7_PKS6_S9_S9_S9_S9_ffiiiiiiiiiiiii
	.p2align	8
	.type	_ZN5aiter35fused_qk_rmsnorm_group_quant_kernelItN4opus5fp4_tELi128ELi16ELi4ELb1ELb0ELb1ELb0ELb0ELb0EEEvPT0_PvPT_S7_S7_PKS6_S9_S9_S9_S9_ffiiiiiiiiiiiii,@function
_ZN5aiter35fused_qk_rmsnorm_group_quant_kernelItN4opus5fp4_tELi128ELi16ELi4ELb1ELb0ELb1ELb0ELb0ELb0EEEvPT0_PvPT_S7_S7_PKS6_S9_S9_S9_S9_ffiiiiiiiiiiiii: ; @_ZN5aiter35fused_qk_rmsnorm_group_quant_kernelItN4opus5fp4_tELi128ELi16ELi4ELb1ELb0ELb1ELb0ELb0ELb0EEEvPT0_PvPT_S7_S7_PKS6_S9_S9_S9_S9_ffiiiiiiiiiiiii
; %bb.0:
	s_load_dwordx8 s[12:19], s[4:5], 0x50
	s_waitcnt lgkmcnt(0)
	s_cmp_ge_i32 s6, s14
	s_cbranch_scc1 .LBB676_17
; %bb.1:
	s_cmp_lg_u32 s7, 0
	s_cselect_b64 s[22:23], -1, 0
	s_cmp_eq_u32 s7, 0
	s_cselect_b64 s[2:3], -1, 0
	s_and_b64 s[0:1], s[2:3], exec
	s_load_dwordx2 s[20:21], s[4:5], 0x48
	s_load_dwordx2 s[34:35], s[4:5], 0x30
	s_load_dwordx4 s[24:27], s[4:5], 0x70
	s_cselect_b32 s7, s15, s16
	s_add_i32 s0, s7, 1
	s_lshr_b32 s1, s0, 31
	s_add_i32 s0, s0, s1
	s_lshl_b32 s0, s0, 1
	v_lshlrev_b32_e32 v1, 4, v0
	s_and_b32 s30, s0, -4
	v_cmp_gt_i32_e64 s[0:1], s7, v1
	v_mov_b32_e32 v62, 0
	v_mov_b32_e32 v63, 0
	;; [unrolled: 1-line block ×16, first 2 shown]
	s_and_saveexec_b64 s[8:9], s[0:1]
	s_cbranch_execz .LBB676_3
; %bb.2:
	s_load_dwordx2 s[10:11], s[4:5], 0x28
	s_load_dwordx2 s[28:29], s[4:5], 0x40
	s_and_b64 s[36:37], s[2:3], exec
	s_cselect_b32 s14, s17, s18
	s_mov_b32 s31, 0x20000
	s_waitcnt lgkmcnt(0)
	s_cselect_b32 s17, s11, s35
	s_cselect_b32 s27, s10, s34
	s_mul_hi_i32 s11, s14, s6
	s_mul_i32 s10, s14, s6
	s_lshl_b64 s[10:11], s[10:11], 1
	s_add_u32 s36, s27, s10
	s_addc_u32 s14, s17, s11
	s_and_b64 s[10:11], s[2:3], exec
	s_cselect_b32 s28, s28, s20
	s_cselect_b32 s10, s29, s21
	s_and_b32 s37, s14, 0xffff
	s_mov_b32 s38, s30
	s_mov_b32 s39, s31
	v_lshlrev_b32_e32 v2, 5, v0
	s_and_b32 s29, s10, 0xffff
	buffer_load_dwordx4 v[66:69], v2, s[36:39], 0 offen
	buffer_load_dwordx4 v[70:73], v2, s[36:39], 16 offen
	;; [unrolled: 1-line block ×4, first 2 shown]
.LBB676_3:
	s_or_b64 exec, exec, s[8:9]
	s_load_dwordx2 s[10:11], s[4:5], 0x80
	s_and_b64 vcc, exec, s[22:23]
	s_cbranch_vccz .LBB676_7
; %bb.4:
	v_mov_b32_e32 v75, 0
	v_mov_b32_e32 v74, 0
	;; [unrolled: 1-line block ×16, first 2 shown]
	s_and_saveexec_b64 s[8:9], s[0:1]
	s_cbranch_execz .LBB676_6
; %bb.5:
	s_waitcnt vmcnt(3)
	v_cvt_f32_u32_sdwa v2, v66 dst_sel:DWORD dst_unused:UNUSED_PAD src0_sel:WORD_0
	v_cvt_f32_u32_sdwa v3, v66 dst_sel:DWORD dst_unused:UNUSED_PAD src0_sel:WORD_1
	v_cvt_f32_u32_sdwa v6, v67 dst_sel:DWORD dst_unused:UNUSED_PAD src0_sel:WORD_0
	v_cvt_f32_u32_sdwa v7, v67 dst_sel:DWORD dst_unused:UNUSED_PAD src0_sel:WORD_1
	;; [unrolled: 2-line block ×4, first 2 shown]
	s_waitcnt vmcnt(2)
	v_cvt_f32_u32_sdwa v50, v70 dst_sel:DWORD dst_unused:UNUSED_PAD src0_sel:WORD_0
	v_cvt_f32_u32_sdwa v51, v70 dst_sel:DWORD dst_unused:UNUSED_PAD src0_sel:WORD_1
	v_cvt_f32_u32_sdwa v24, v71 dst_sel:DWORD dst_unused:UNUSED_PAD src0_sel:WORD_0
	v_cvt_f32_u32_sdwa v25, v71 dst_sel:DWORD dst_unused:UNUSED_PAD src0_sel:WORD_1
	;; [unrolled: 2-line block ×4, first 2 shown]
.LBB676_6:
	s_or_b64 exec, exec, s[8:9]
	s_cbranch_execz .LBB676_8
	s_branch .LBB676_11
.LBB676_7:
                                        ; implicit-def: $vgpr2_vgpr3_vgpr4_vgpr5_vgpr6_vgpr7_vgpr8_vgpr9_vgpr10_vgpr11_vgpr12_vgpr13_vgpr14_vgpr15_vgpr16_vgpr17
                                        ; implicit-def: $vgpr36_vgpr37_vgpr38_vgpr39_vgpr40_vgpr41_vgpr42_vgpr43_vgpr44_vgpr45_vgpr46_vgpr47_vgpr48_vgpr49_vgpr50_vgpr51
                                        ; implicit-def: $vgpr4_vgpr5_vgpr6_vgpr7_vgpr8_vgpr9_vgpr10_vgpr11_vgpr12_vgpr13_vgpr14_vgpr15_vgpr16_vgpr17_vgpr18_vgpr19
                                        ; implicit-def: $vgpr24_vgpr25_vgpr26_vgpr27_vgpr28_vgpr29_vgpr30_vgpr31_vgpr32_vgpr33_vgpr34_vgpr35_vgpr36_vgpr37_vgpr38_vgpr39
                                        ; implicit-def: $vgpr75
                                        ; implicit-def: $vgpr42_vgpr43_vgpr44_vgpr45_vgpr46_vgpr47_vgpr48_vgpr49_vgpr50_vgpr51_vgpr52_vgpr53_vgpr54_vgpr55_vgpr56_vgpr57
                                        ; implicit-def: $vgpr14_vgpr15_vgpr16_vgpr17_vgpr18_vgpr19_vgpr20_vgpr21_vgpr22_vgpr23_vgpr24_vgpr25_vgpr26_vgpr27_vgpr28_vgpr29
                                        ; implicit-def: $vgpr8_vgpr9_vgpr10_vgpr11_vgpr12_vgpr13_vgpr14_vgpr15_vgpr16_vgpr17_vgpr18_vgpr19_vgpr20_vgpr21_vgpr22_vgpr23
.LBB676_8:
	v_mov_b32_e32 v75, 0
	v_mov_b32_e32 v74, 0
	;; [unrolled: 1-line block ×16, first 2 shown]
	s_and_saveexec_b64 s[8:9], s[0:1]
	s_cbranch_execz .LBB676_10
; %bb.9:
	s_load_dwordx2 s[28:29], s[4:5], 0x38
	s_mul_hi_i32 s37, s19, s6
	s_mul_i32 s36, s19, s6
	s_lshl_b64 s[36:37], s[36:37], 1
	s_mov_b32 s31, 0x20000
	s_waitcnt lgkmcnt(0)
	s_add_u32 s28, s28, s36
	s_addc_u32 s14, s29, s37
	s_and_b32 s29, s14, 0xffff
	v_lshlrev_b32_e32 v38, 5, v0
	buffer_load_dwordx4 v[6:9], v38, s[28:31], 16 offen
	buffer_load_dwordx4 v[10:13], v38, s[28:31], 0 offen
	s_load_dwordx2 s[28:29], s[4:5], 0x20
	s_waitcnt vmcnt(5)
	v_cvt_f32_u32_sdwa v3, v66 dst_sel:DWORD dst_unused:UNUSED_PAD src0_sel:WORD_1
	v_cvt_f32_u32_sdwa v2, v66 dst_sel:DWORD dst_unused:UNUSED_PAD src0_sel:WORD_0
	v_cvt_f32_u32_sdwa v21, v67 dst_sel:DWORD dst_unused:UNUSED_PAD src0_sel:WORD_1
	v_cvt_f32_u32_sdwa v20, v67 dst_sel:DWORD dst_unused:UNUSED_PAD src0_sel:WORD_0
	;; [unrolled: 2-line block ×4, first 2 shown]
	s_waitcnt vmcnt(4)
	v_cvt_f32_u32_sdwa v5, v70 dst_sel:DWORD dst_unused:UNUSED_PAD src0_sel:WORD_1
	v_cvt_f32_u32_sdwa v4, v70 dst_sel:DWORD dst_unused:UNUSED_PAD src0_sel:WORD_0
	v_cvt_f32_u32_sdwa v15, v71 dst_sel:DWORD dst_unused:UNUSED_PAD src0_sel:WORD_1
	v_cvt_f32_u32_sdwa v14, v71 dst_sel:DWORD dst_unused:UNUSED_PAD src0_sel:WORD_0
	;; [unrolled: 2-line block ×3, first 2 shown]
	v_cvt_f32_u32_sdwa v18, v73 dst_sel:DWORD dst_unused:UNUSED_PAD src0_sel:WORD_0
	v_cvt_f32_u32_sdwa v19, v73 dst_sel:DWORD dst_unused:UNUSED_PAD src0_sel:WORD_1
	s_mul_hi_i32 s37, s11, s6
	s_mul_i32 s36, s11, s6
	s_lshl_b64 s[36:37], s[36:37], 1
	s_waitcnt lgkmcnt(0)
	s_add_u32 s28, s28, s36
	s_mov_b32 s11, 0x7060302
	s_addc_u32 s14, s29, s37
	s_and_b32 s29, s14, 0xffff
	s_waitcnt vmcnt(1)
	v_cvt_f32_u32_sdwa v27, v6 dst_sel:DWORD dst_unused:UNUSED_PAD src0_sel:WORD_1
	v_cvt_f32_u32_sdwa v26, v6 dst_sel:DWORD dst_unused:UNUSED_PAD src0_sel:WORD_0
	v_cvt_f32_u32_sdwa v29, v7 dst_sel:DWORD dst_unused:UNUSED_PAD src0_sel:WORD_1
	v_cvt_f32_u32_sdwa v28, v7 dst_sel:DWORD dst_unused:UNUSED_PAD src0_sel:WORD_0
	;; [unrolled: 2-line block ×3, first 2 shown]
	v_cvt_f32_u32_sdwa v34, v9 dst_sel:DWORD dst_unused:UNUSED_PAD src0_sel:WORD_0
	v_cvt_f32_u32_sdwa v35, v9 dst_sel:DWORD dst_unused:UNUSED_PAD src0_sel:WORD_1
	s_waitcnt vmcnt(0)
	v_cvt_f32_u32_sdwa v37, v10 dst_sel:DWORD dst_unused:UNUSED_PAD src0_sel:WORD_1
	v_cvt_f32_u32_sdwa v36, v10 dst_sel:DWORD dst_unused:UNUSED_PAD src0_sel:WORD_0
	v_cvt_f32_u32_sdwa v7, v12 dst_sel:DWORD dst_unused:UNUSED_PAD src0_sel:WORD_1
	v_cvt_f32_u32_sdwa v6, v12 dst_sel:DWORD dst_unused:UNUSED_PAD src0_sel:WORD_0
	;; [unrolled: 2-line block ×4, first 2 shown]
	v_pk_add_f32 v[40:41], v[22:23], v[6:7]
	v_pk_add_f32 v[30:31], v[24:25], v[8:9]
	;; [unrolled: 1-line block ×4, first 2 shown]
	v_perm_b32 v11, v31, v30, s11
	v_perm_b32 v10, v41, v40, s11
	;; [unrolled: 1-line block ×4, first 2 shown]
	v_pk_add_f32 v[74:75], v[18:19], v[34:35]
	v_pk_add_f32 v[20:21], v[16:17], v[32:33]
	;; [unrolled: 1-line block ×4, first 2 shown]
	buffer_store_dwordx4 v[8:11], v38, s[28:31], 0 offen
	;;#ASMSTART
	s_nop 0
	;;#ASMEND
	s_nop 0
	v_perm_b32 v11, v75, v74, s11
	v_perm_b32 v10, v21, v20, s11
	;; [unrolled: 1-line block ×4, first 2 shown]
	buffer_store_dwordx4 v[8:11], v38, s[28:31], 16 offen
	;;#ASMSTART
	s_nop 0
	;;#ASMEND
.LBB676_10:
	s_or_b64 exec, exec, s[8:9]
.LBB676_11:
	v_mul_f32_e32 v4, v3, v3
	v_fmac_f32_e32 v4, v2, v2
	v_fmac_f32_e32 v4, v6, v6
	;; [unrolled: 1-line block ×15, first 2 shown]
	s_nop 1
	v_mov_b32_dpp v5, v4 quad_perm:[1,0,3,2] row_mask:0xf bank_mask:0xf
	v_add_f32_e32 v4, v4, v5
	s_nop 1
	v_mov_b32_dpp v5, v4 quad_perm:[2,3,0,1] row_mask:0xf bank_mask:0xf
	v_add_f32_e32 v4, v4, v5
	s_nop 1
	v_mov_b32_dpp v5, v4 row_half_mirror row_mask:0xf bank_mask:0xf
	v_add_f32_e32 v4, v4, v5
	s_nop 1
	v_mov_b32_dpp v5, v4 row_mirror row_mask:0xf bank_mask:0xf
	v_add_f32_e32 v4, v4, v5
	s_nop 1
	v_mov_b32_dpp v5, v4 row_bcast:15 row_mask:0xf bank_mask:0xf
	v_add_f32_e32 v4, v4, v5
	v_and_b32_e32 v5, 63, v0
	v_cmp_eq_u32_e64 s[8:9], 63, v5
	s_nop 0
	v_mov_b32_dpp v5, v4 row_bcast:31 row_mask:0xf bank_mask:0xf
	s_and_saveexec_b64 s[28:29], s[8:9]
	s_cbranch_execz .LBB676_13
; %bb.12:
	v_add_f32_e32 v4, v4, v5
	v_lshrrev_b32_e32 v5, 4, v0
	v_and_b32_e32 v5, 60, v5
	ds_write_b32 v5, v4 offset:8
.LBB676_13:
	s_or_b64 exec, exec, s[28:29]
	v_and_b32_e32 v4, 1, v0
	v_lshlrev_b32_e32 v34, 2, v4
	s_waitcnt lgkmcnt(0)
	s_barrier
	ds_read_b32 v4, v34 offset:8
	s_load_dwordx2 s[36:37], s[4:5], 0x18
	s_waitcnt lgkmcnt(0)
	v_mov_b32_dpp v5, v4 quad_perm:[1,0,3,2] row_mask:0xf bank_mask:0xf
	s_and_saveexec_b64 s[28:29], s[0:1]
	s_cbranch_execnz .LBB676_18
; %bb.14:
	s_or_b64 exec, exec, s[28:29]
	s_mov_b64 s[2:3], -1
	s_and_b64 vcc, exec, s[22:23]
	s_cbranch_vccnz .LBB676_19
.LBB676_15:
	s_andn2_b64 vcc, exec, s[2:3]
	s_cbranch_vccz .LBB676_22
.LBB676_16:
	s_cmp_lt_i32 s16, 1
	s_cbranch_scc0 .LBB676_29
.LBB676_17:
	s_endpgm
.LBB676_18:
	v_add_f32_e32 v4, v4, v5
	v_cvt_f32_u32_e32 v5, s7
	s_waitcnt vmcnt(1)
	v_cvt_f32_u32_sdwa v15, v62 dst_sel:DWORD dst_unused:UNUSED_PAD src0_sel:WORD_1
	v_cvt_f32_u32_sdwa v14, v62 dst_sel:DWORD dst_unused:UNUSED_PAD src0_sel:WORD_0
	v_cvt_f32_u32_sdwa v23, v65 dst_sel:DWORD dst_unused:UNUSED_PAD src0_sel:WORD_1
	v_div_scale_f32 v8, s[38:39], v5, v5, v4
	v_rcp_f32_e32 v9, v8
	v_pk_add_f32 v[14:15], v[14:15], 1.0 op_sel_hi:[1,0]
	v_cvt_f32_u32_sdwa v22, v65 dst_sel:DWORD dst_unused:UNUSED_PAD src0_sel:WORD_0
	s_waitcnt vmcnt(0)
	v_cvt_f32_u32_sdwa v27, v60 dst_sel:DWORD dst_unused:UNUSED_PAD src0_sel:WORD_1
	v_fma_f32 v10, -v8, v9, 1.0
	v_fmac_f32_e32 v9, v10, v9
	v_div_scale_f32 v10, vcc, v4, v5, v4
	v_mul_f32_e32 v11, v10, v9
	v_fma_f32 v12, -v8, v11, v10
	v_fmac_f32_e32 v11, v12, v9
	v_fma_f32 v8, -v8, v11, v10
	v_div_fmas_f32 v8, v8, v9, v11
	v_div_fixup_f32 v4, v8, v5, v4
	v_mov_b32_e32 v5, s13
	v_mov_b32_e32 v8, s12
	v_cndmask_b32_e64 v5, v5, v8, s[2:3]
	v_add_f32_e32 v4, v5, v4
	s_mov_b32 s2, 0x800000
	v_mul_f32_e32 v5, 0x4b800000, v4
	v_cmp_gt_f32_e32 vcc, s2, v4
	v_cndmask_b32_e32 v4, v4, v5, vcc
	v_rsq_f32_e32 v4, v4
	v_cvt_f32_u32_sdwa v26, v60 dst_sel:DWORD dst_unused:UNUSED_PAD src0_sel:WORD_0
	v_cvt_f32_u32_sdwa v29, v61 dst_sel:DWORD dst_unused:UNUSED_PAD src0_sel:WORD_1
	v_cvt_f32_u32_sdwa v28, v61 dst_sel:DWORD dst_unused:UNUSED_PAD src0_sel:WORD_0
	v_mul_f32_e32 v5, 0x45800000, v4
	v_cndmask_b32_e32 v4, v4, v5, vcc
	v_mov_b32_e32 v5, v4
	;;#ASMSTART
	v_pk_mul_f32 v[2:3], v[2:3], v[4:5]
	;;#ASMEND
	;;#ASMSTART
	v_pk_mul_f32 v[6:7], v[6:7], v[4:5]
	;;#ASMEND
	;; [unrolled: 3-line block ×9, first 2 shown]
	v_cvt_f32_u32_sdwa v15, v63 dst_sel:DWORD dst_unused:UNUSED_PAD src0_sel:WORD_1
	v_cvt_f32_u32_sdwa v14, v63 dst_sel:DWORD dst_unused:UNUSED_PAD src0_sel:WORD_0
	v_cvt_f32_u32_sdwa v21, v64 dst_sel:DWORD dst_unused:UNUSED_PAD src0_sel:WORD_1
	v_cvt_f32_u32_sdwa v20, v64 dst_sel:DWORD dst_unused:UNUSED_PAD src0_sel:WORD_0
	v_cvt_f32_u32_sdwa v25, v59 dst_sel:DWORD dst_unused:UNUSED_PAD src0_sel:WORD_1
	v_pk_add_f32 v[14:15], v[14:15], 1.0 op_sel_hi:[1,0]
	v_cvt_f32_u32_sdwa v24, v59 dst_sel:DWORD dst_unused:UNUSED_PAD src0_sel:WORD_0
	;;#ASMSTART
	v_pk_mul_f32 v[6:7], v[6:7], v[14:15]
	;;#ASMEND
	v_pk_add_f32 v[14:15], v[20:21], 1.0 op_sel_hi:[1,0]
	v_pk_add_f32 v[20:21], v[22:23], 1.0 op_sel_hi:[1,0]
	v_cvt_f32_u32_sdwa v23, v58 dst_sel:DWORD dst_unused:UNUSED_PAD src0_sel:WORD_1
	v_cvt_f32_u32_sdwa v22, v58 dst_sel:DWORD dst_unused:UNUSED_PAD src0_sel:WORD_0
	v_pk_add_f32 v[24:25], v[24:25], 1.0 op_sel_hi:[1,0]
	v_pk_add_f32 v[26:27], v[26:27], 1.0 op_sel_hi:[1,0]
	;; [unrolled: 1-line block ×4, first 2 shown]
	;;#ASMSTART
	v_pk_mul_f32 v[40:41], v[8:9], v[14:15]
	;;#ASMEND
	;;#ASMSTART
	v_pk_mul_f32 v[30:31], v[10:11], v[20:21]
	;;#ASMEND
	;; [unrolled: 3-line block ×6, first 2 shown]
	s_or_b64 exec, exec, s[28:29]
	s_mov_b64 s[2:3], -1
	s_and_b64 vcc, exec, s[22:23]
	s_cbranch_vccz .LBB676_15
.LBB676_19:
	s_and_saveexec_b64 s[2:3], s[0:1]
	s_cbranch_execz .LBB676_21
; %bb.20:
	s_mul_hi_i32 s23, s10, s6
	s_mul_i32 s22, s10, s6
	s_lshl_b64 s[22:23], s[22:23], 1
	s_add_u32 s28, s36, s22
	s_addc_u32 s7, s37, s23
	s_and_b32 s29, s7, 0xffff
	s_mov_b32 s7, 0x7060302
	s_mov_b32 s31, 0x20000
	v_perm_b32 v11, v31, v30, s7
	v_perm_b32 v10, v41, v40, s7
	;; [unrolled: 1-line block ×4, first 2 shown]
	v_lshlrev_b32_e32 v4, 5, v0
	buffer_store_dwordx4 v[8:11], v4, s[28:31], 0 offen
	;;#ASMSTART
	s_nop 0
	;;#ASMEND
	s_nop 0
	v_perm_b32 v11, v75, v74, s7
	v_perm_b32 v10, v21, v20, s7
	;; [unrolled: 1-line block ×4, first 2 shown]
	buffer_store_dwordx4 v[8:11], v4, s[28:31], 16 offen
	;;#ASMSTART
	s_nop 0
	;;#ASMEND
.LBB676_21:
	s_or_b64 exec, exec, s[2:3]
	s_cbranch_execnz .LBB676_16
.LBB676_22:
	v_mov_b32_e32 v4, 0
	s_and_saveexec_b64 s[2:3], s[0:1]
	s_cbranch_execz .LBB676_24
; %bb.23:
	v_and_b32_e32 v2, 0x7fffffff, v2
	v_and_b32_e32 v3, 0x7fffffff, v3
	v_mov_b32_e32 v10, 0x2edbe6ff
	;;#ASMSTART
	v_max3_f32 v2, v10, v2, v3

	;;#ASMEND
	v_and_b32_e32 v4, 0x7fffffff, v6
	v_and_b32_e32 v5, 0x7fffffff, v7
	;;#ASMSTART
	v_max3_f32 v2, v2, v4, v5

	;;#ASMEND
	v_and_b32_e32 v6, 0x7fffffff, v40
	v_and_b32_e32 v7, 0x7fffffff, v41
	;; [unrolled: 6-line block ×7, first 2 shown]
	;;#ASMSTART
	v_max3_f32 v4, v2, v3, v4

	;;#ASMEND
.LBB676_24:
	s_or_b64 exec, exec, s[2:3]
	;;#ASMSTART
	v_max_f32 v3, v4, v4 quad_perm:[1,0,3,2] row_mask:0xf bank_mask:0xf bound_ctrl:1
	;;#ASMEND
	;;#ASMSTART
	v_max_f32 v2, v3, v3 quad_perm:[2,3,0,1] row_mask:0xf bank_mask:0xf bound_ctrl:1
	;;#ASMEND
	v_and_b32_e32 v3, 3, v0
	v_cmp_eq_u32_e32 vcc, 0, v3
	v_cmp_gt_i32_e64 s[2:3], s15, v1
	s_and_b64 s[22:23], vcc, s[2:3]
	s_and_saveexec_b64 s[2:3], s[22:23]
	s_cbranch_execz .LBB676_26
; %bb.25:
	s_load_dwordx2 s[22:23], s[4:5], 0x8
	v_mul_f32_e32 v2, 0x3e2aaaab, v2
	v_lshrrev_b32_e32 v3, 23, v2
	v_and_b32_e32 v4, 0x7f800000, v2
	v_and_b32_e32 v2, 0x7fffff, v2
	v_cmp_ne_u32_e32 vcc, 0, v2
	s_mul_i32 s12, s25, s6
	s_mov_b32 s7, 0x7f800000
	v_addc_co_u32_e32 v2, vcc, 0, v3, vcc
	s_mul_hi_i32 s11, s25, s6
	s_waitcnt lgkmcnt(0)
	s_add_u32 s22, s22, s12
	v_cmp_ne_u32_e32 vcc, s7, v4
	s_addc_u32 s23, s23, s11
	v_lshrrev_b32_e32 v5, 2, v0
	v_cndmask_b32_e32 v4, -1, v2, vcc
	v_pk_mov_b32 v[2:3], s[22:23], s[22:23] op_sel:[0,1]
	v_mad_i64_i32 v[2:3], s[22:23], s26, v5, v[2:3]
	global_store_byte v[2:3], v4, off
.LBB676_26:
	s_or_b64 exec, exec, s[2:3]
	s_and_saveexec_b64 s[2:3], s[0:1]
	s_cbranch_execz .LBB676_28
; %bb.27:
	s_load_dwordx2 s[0:1], s[4:5], 0x0
	s_mul_i32 s11, s24, s6
	s_mul_hi_i32 s7, s24, s6
	v_mov_b32_e32 v2, 0
	v_lshlrev_b32_e32 v4, 3, v0
	s_waitcnt lgkmcnt(0)
	s_add_u32 s24, s0, s11
	s_addc_u32 s0, s1, s7
	s_lshr_b32 s1, s15, 31
	s_add_i32 s1, s15, s1
	s_ashr_i32 s1, s1, 1
	s_add_i32 s1, s1, 3
	s_ashr_i32 s7, s1, 31
	s_lshr_b32 s7, s7, 30
	s_add_i32 s1, s1, s7
	s_and_b32 s26, s1, -4
	s_and_b32 s25, s0, 0xffff
	s_mov_b32 s27, 0x20000
	v_mov_b32_e32 v3, v2
	buffer_store_dwordx2 v[2:3], v4, s[24:27], 0 offen
	;;#ASMSTART
	s_nop 0
	;;#ASMEND
.LBB676_28:
	s_or_b64 exec, exec, s[2:3]
	s_cmp_lt_i32 s16, 1
	s_cbranch_scc1 .LBB676_17
.LBB676_29:
	s_load_dword s0, s[4:5], 0x94
	s_waitcnt lgkmcnt(0)
	s_cmp_lg_u32 s0, 1
	s_cbranch_scc1 .LBB676_17
; %bb.30:
	s_lshl_b32 s0, s16, 1
	s_add_i32 s0, s0, 2
	v_cmp_gt_u32_e32 vcc, s16, v1
	s_and_b32 s22, s0, -4
	v_mov_b32_e32 v18, 0
	v_lshlrev_b32_e32 v1, 5, v0
	v_mov_b32_e32 v14, 0
	v_mov_b32_e32 v15, 0
	;; [unrolled: 1-line block ×16, first 2 shown]
	s_barrier
	s_and_saveexec_b64 s[0:1], vcc
	s_cbranch_execz .LBB676_32
; %bb.31:
	s_mul_hi_i32 s3, s18, s6
	s_mul_i32 s2, s18, s6
	s_and_b32 s21, s21, 0xffff
	s_lshl_b64 s[2:3], s[2:3], 1
	s_add_u32 s24, s34, s2
	s_mov_b32 s23, 0x20000
	s_addc_u32 s2, s35, s3
	s_and_b32 s25, s2, 0xffff
	s_mov_b32 s26, s22
	s_mov_b32 s27, s23
	buffer_load_dwordx4 v[14:17], v1, s[24:27], 0 offen
	buffer_load_dwordx4 v[10:13], v1, s[24:27], 16 offen
	;; [unrolled: 1-line block ×4, first 2 shown]
.LBB676_32:
	s_or_b64 exec, exec, s[0:1]
	v_mov_b32_e32 v19, 0
	v_mov_b32_e32 v32, 0
	;; [unrolled: 1-line block ×15, first 2 shown]
	s_and_saveexec_b64 s[0:1], vcc
	s_cbranch_execz .LBB676_34
; %bb.33:
	s_waitcnt vmcnt(3)
	v_cvt_f32_u32_sdwa v18, v14 dst_sel:DWORD dst_unused:UNUSED_PAD src0_sel:WORD_0
	v_cvt_f32_u32_sdwa v19, v14 dst_sel:DWORD dst_unused:UNUSED_PAD src0_sel:WORD_1
	v_cvt_f32_u32_sdwa v32, v15 dst_sel:DWORD dst_unused:UNUSED_PAD src0_sel:WORD_0
	v_cvt_f32_u32_sdwa v33, v15 dst_sel:DWORD dst_unused:UNUSED_PAD src0_sel:WORD_1
	;; [unrolled: 2-line block ×4, first 2 shown]
	s_waitcnt vmcnt(2)
	v_cvt_f32_u32_sdwa v26, v10 dst_sel:DWORD dst_unused:UNUSED_PAD src0_sel:WORD_0
	v_cvt_f32_u32_sdwa v27, v10 dst_sel:DWORD dst_unused:UNUSED_PAD src0_sel:WORD_1
	v_cvt_f32_u32_sdwa v24, v11 dst_sel:DWORD dst_unused:UNUSED_PAD src0_sel:WORD_0
	v_cvt_f32_u32_sdwa v25, v11 dst_sel:DWORD dst_unused:UNUSED_PAD src0_sel:WORD_1
	v_cvt_f32_u32_sdwa v22, v12 dst_sel:DWORD dst_unused:UNUSED_PAD src0_sel:WORD_0
	v_cvt_f32_u32_sdwa v23, v12 dst_sel:DWORD dst_unused:UNUSED_PAD src0_sel:WORD_1
	v_cvt_f32_u32_sdwa v20, v13 dst_sel:DWORD dst_unused:UNUSED_PAD src0_sel:WORD_0
	v_cvt_f32_u32_sdwa v21, v13 dst_sel:DWORD dst_unused:UNUSED_PAD src0_sel:WORD_1
.LBB676_34:
	s_or_b64 exec, exec, s[0:1]
	s_waitcnt vmcnt(2)
	v_mul_f32_e32 v10, v19, v19
	v_fmac_f32_e32 v10, v18, v18
	v_fmac_f32_e32 v10, v32, v32
	;; [unrolled: 1-line block ×15, first 2 shown]
	s_nop 1
	v_mov_b32_dpp v11, v10 quad_perm:[1,0,3,2] row_mask:0xf bank_mask:0xf
	v_add_f32_e32 v10, v10, v11
	s_nop 1
	v_mov_b32_dpp v11, v10 quad_perm:[2,3,0,1] row_mask:0xf bank_mask:0xf
	v_add_f32_e32 v10, v10, v11
	s_nop 1
	v_mov_b32_dpp v11, v10 row_half_mirror row_mask:0xf bank_mask:0xf
	v_add_f32_e32 v10, v10, v11
	s_nop 1
	v_mov_b32_dpp v11, v10 row_mirror row_mask:0xf bank_mask:0xf
	v_add_f32_e32 v10, v10, v11
	s_nop 1
	v_mov_b32_dpp v11, v10 row_bcast:15 row_mask:0xf bank_mask:0xf
	v_add_f32_e32 v10, v10, v11
	s_nop 1
	v_mov_b32_dpp v11, v10 row_bcast:31 row_mask:0xf bank_mask:0xf
	s_and_saveexec_b64 s[0:1], s[8:9]
	s_cbranch_execz .LBB676_36
; %bb.35:
	v_lshrrev_b32_e32 v0, 4, v0
	v_add_f32_e32 v10, v10, v11
	v_and_b32_e32 v0, 60, v0
	ds_write_b32 v0, v10
.LBB676_36:
	s_or_b64 exec, exec, s[0:1]
	s_waitcnt lgkmcnt(0)
	s_barrier
	ds_read_b32 v0, v34
	s_waitcnt lgkmcnt(0)
	s_nop 0
	v_mov_b32_dpp v10, v0 quad_perm:[1,0,3,2] row_mask:0xf bank_mask:0xf
	s_and_saveexec_b64 s[0:1], vcc
	s_cbranch_execz .LBB676_17
; %bb.37:
	v_cvt_f32_u32_e32 v11, s16
	v_add_f32_e32 v0, v0, v10
	s_mov_b32 s23, 0x20000
	v_div_scale_f32 v10, s[0:1], v11, v11, v0
	v_rcp_f32_e32 v12, v10
	v_div_scale_f32 v13, vcc, v0, v11, v0
	s_mov_b32 s0, 0x800000
	v_fma_f32 v14, -v10, v12, 1.0
	v_fmac_f32_e32 v12, v14, v12
	v_mul_f32_e32 v14, v13, v12
	v_fma_f32 v15, -v10, v14, v13
	v_fmac_f32_e32 v14, v15, v12
	v_fma_f32 v10, -v10, v14, v13
	v_div_fmas_f32 v10, v10, v12, v14
	v_div_fixup_f32 v0, v10, v11, v0
	v_add_f32_e32 v0, s13, v0
	v_mul_f32_e32 v10, 0x4b800000, v0
	v_cmp_gt_f32_e32 vcc, s0, v0
	v_cndmask_b32_e32 v0, v0, v10, vcc
	v_rsq_f32_e32 v0, v0
	s_mul_hi_i32 s1, s10, s6
	s_mul_i32 s0, s10, s6
	s_lshl_b64 s[0:1], s[0:1], 1
	v_mul_f32_e32 v10, 0x45800000, v0
	v_cndmask_b32_e32 v10, v0, v10, vcc
	v_mov_b32_e32 v11, v10
	;;#ASMSTART
	v_pk_mul_f32 v[12:13], v[18:19], v[10:11]
	;;#ASMEND
	;;#ASMSTART
	v_pk_mul_f32 v[14:15], v[32:33], v[10:11]
	;;#ASMEND
	;;#ASMSTART
	v_pk_mul_f32 v[16:17], v[30:31], v[10:11]
	;;#ASMEND
	;;#ASMSTART
	v_pk_mul_f32 v[18:19], v[28:29], v[10:11]
	;;#ASMEND
	s_waitcnt vmcnt(1)
	v_cvt_f32_u32_sdwa v29, v6 dst_sel:DWORD dst_unused:UNUSED_PAD src0_sel:WORD_1
	v_cvt_f32_u32_sdwa v28, v6 dst_sel:DWORD dst_unused:UNUSED_PAD src0_sel:WORD_0
	v_cvt_f32_u32_sdwa v31, v7 dst_sel:DWORD dst_unused:UNUSED_PAD src0_sel:WORD_1
	v_cvt_f32_u32_sdwa v30, v7 dst_sel:DWORD dst_unused:UNUSED_PAD src0_sel:WORD_0
	;;#ASMSTART
	v_pk_mul_f32 v[26:27], v[26:27], v[10:11]
	;;#ASMEND
	;;#ASMSTART
	v_pk_mul_f32 v[24:25], v[24:25], v[10:11]
	;;#ASMEND
	;; [unrolled: 3-line block ×4, first 2 shown]
	v_cvt_f32_u32_sdwa v21, v8 dst_sel:DWORD dst_unused:UNUSED_PAD src0_sel:WORD_1
	v_cvt_f32_u32_sdwa v20, v8 dst_sel:DWORD dst_unused:UNUSED_PAD src0_sel:WORD_0
	v_pk_add_f32 v[10:11], v[28:29], 1.0 op_sel_hi:[1,0]
	;;#ASMSTART
	v_pk_mul_f32 v[10:11], v[12:13], v[10:11]
	;;#ASMEND
	v_pk_add_f32 v[12:13], v[30:31], 1.0 op_sel_hi:[1,0]
	v_cvt_f32_u32_sdwa v29, v9 dst_sel:DWORD dst_unused:UNUSED_PAD src0_sel:WORD_1
	v_cvt_f32_u32_sdwa v28, v9 dst_sel:DWORD dst_unused:UNUSED_PAD src0_sel:WORD_0
	;;#ASMSTART
	v_pk_mul_f32 v[8:9], v[14:15], v[12:13]
	;;#ASMEND
	v_pk_add_f32 v[12:13], v[20:21], 1.0 op_sel_hi:[1,0]
	;;#ASMSTART
	v_pk_mul_f32 v[12:13], v[16:17], v[12:13]
	;;#ASMEND
	s_waitcnt vmcnt(0)
	v_cvt_f32_u32_sdwa v17, v2 dst_sel:DWORD dst_unused:UNUSED_PAD src0_sel:WORD_1
	v_cvt_f32_u32_sdwa v16, v2 dst_sel:DWORD dst_unused:UNUSED_PAD src0_sel:WORD_0
	v_cvt_f32_u32_sdwa v21, v3 dst_sel:DWORD dst_unused:UNUSED_PAD src0_sel:WORD_1
	v_cvt_f32_u32_sdwa v20, v3 dst_sel:DWORD dst_unused:UNUSED_PAD src0_sel:WORD_0
	v_pk_add_f32 v[14:15], v[28:29], 1.0 op_sel_hi:[1,0]
	;;#ASMSTART
	v_pk_mul_f32 v[14:15], v[18:19], v[14:15]
	;;#ASMEND
	v_pk_add_f32 v[2:3], v[16:17], 1.0 op_sel_hi:[1,0]
	v_cvt_f32_u32_sdwa v19, v4 dst_sel:DWORD dst_unused:UNUSED_PAD src0_sel:WORD_1
	v_cvt_f32_u32_sdwa v18, v4 dst_sel:DWORD dst_unused:UNUSED_PAD src0_sel:WORD_0
	;;#ASMSTART
	v_pk_mul_f32 v[16:17], v[26:27], v[2:3]
	;;#ASMEND
	v_pk_add_f32 v[2:3], v[20:21], 1.0 op_sel_hi:[1,0]
	v_cvt_f32_u32_sdwa v21, v5 dst_sel:DWORD dst_unused:UNUSED_PAD src0_sel:WORD_1
	v_cvt_f32_u32_sdwa v20, v5 dst_sel:DWORD dst_unused:UNUSED_PAD src0_sel:WORD_0
	s_add_u32 s20, s36, s0
	;;#ASMSTART
	v_pk_mul_f32 v[24:25], v[24:25], v[2:3]
	;;#ASMEND
	v_pk_add_f32 v[2:3], v[18:19], 1.0 op_sel_hi:[1,0]
	s_addc_u32 s0, s37, s1
	;;#ASMSTART
	v_pk_mul_f32 v[18:19], v[22:23], v[2:3]
	;;#ASMEND
	v_pk_add_f32 v[2:3], v[20:21], 1.0 op_sel_hi:[1,0]
	s_and_b32 s21, s0, 0xffff
	s_mov_b32 s0, 0x7060302
	;;#ASMSTART
	v_pk_mul_f32 v[6:7], v[6:7], v[2:3]
	;;#ASMEND
	v_perm_b32 v2, v11, v10, s0
	v_perm_b32 v3, v9, v8, s0
	;; [unrolled: 1-line block ×4, first 2 shown]
	buffer_store_dwordx4 v[2:5], v1, s[20:23], 0 offen
	;;#ASMSTART
	s_nop 0
	;;#ASMEND
	s_nop 0
	v_perm_b32 v2, v17, v16, s0
	v_perm_b32 v3, v25, v24, s0
	;; [unrolled: 1-line block ×4, first 2 shown]
	buffer_store_dwordx4 v[2:5], v1, s[20:23], 16 offen
	;;#ASMSTART
	s_nop 0
	;;#ASMEND
	s_endpgm
	.section	.rodata,"a",@progbits
	.p2align	6, 0x0
	.amdhsa_kernel _ZN5aiter35fused_qk_rmsnorm_group_quant_kernelItN4opus5fp4_tELi128ELi16ELi4ELb1ELb0ELb1ELb0ELb0ELb0EEEvPT0_PvPT_S7_S7_PKS6_S9_S9_S9_S9_ffiiiiiiiiiiiii
		.amdhsa_group_segment_fixed_size 16
		.amdhsa_private_segment_fixed_size 0
		.amdhsa_kernarg_size 400
		.amdhsa_user_sgpr_count 6
		.amdhsa_user_sgpr_private_segment_buffer 1
		.amdhsa_user_sgpr_dispatch_ptr 0
		.amdhsa_user_sgpr_queue_ptr 0
		.amdhsa_user_sgpr_kernarg_segment_ptr 1
		.amdhsa_user_sgpr_dispatch_id 0
		.amdhsa_user_sgpr_flat_scratch_init 0
		.amdhsa_user_sgpr_kernarg_preload_length 0
		.amdhsa_user_sgpr_kernarg_preload_offset 0
		.amdhsa_user_sgpr_private_segment_size 0
		.amdhsa_uses_dynamic_stack 0
		.amdhsa_system_sgpr_private_segment_wavefront_offset 0
		.amdhsa_system_sgpr_workgroup_id_x 1
		.amdhsa_system_sgpr_workgroup_id_y 1
		.amdhsa_system_sgpr_workgroup_id_z 0
		.amdhsa_system_sgpr_workgroup_info 0
		.amdhsa_system_vgpr_workitem_id 0
		.amdhsa_next_free_vgpr 76
		.amdhsa_next_free_sgpr 40
		.amdhsa_accum_offset 76
		.amdhsa_reserve_vcc 1
		.amdhsa_reserve_flat_scratch 0
		.amdhsa_float_round_mode_32 0
		.amdhsa_float_round_mode_16_64 0
		.amdhsa_float_denorm_mode_32 3
		.amdhsa_float_denorm_mode_16_64 3
		.amdhsa_dx10_clamp 1
		.amdhsa_ieee_mode 1
		.amdhsa_fp16_overflow 0
		.amdhsa_tg_split 0
		.amdhsa_exception_fp_ieee_invalid_op 0
		.amdhsa_exception_fp_denorm_src 0
		.amdhsa_exception_fp_ieee_div_zero 0
		.amdhsa_exception_fp_ieee_overflow 0
		.amdhsa_exception_fp_ieee_underflow 0
		.amdhsa_exception_fp_ieee_inexact 0
		.amdhsa_exception_int_div_zero 0
	.end_amdhsa_kernel
	.section	.text._ZN5aiter35fused_qk_rmsnorm_group_quant_kernelItN4opus5fp4_tELi128ELi16ELi4ELb1ELb0ELb1ELb0ELb0ELb0EEEvPT0_PvPT_S7_S7_PKS6_S9_S9_S9_S9_ffiiiiiiiiiiiii,"axG",@progbits,_ZN5aiter35fused_qk_rmsnorm_group_quant_kernelItN4opus5fp4_tELi128ELi16ELi4ELb1ELb0ELb1ELb0ELb0ELb0EEEvPT0_PvPT_S7_S7_PKS6_S9_S9_S9_S9_ffiiiiiiiiiiiii,comdat
.Lfunc_end676:
	.size	_ZN5aiter35fused_qk_rmsnorm_group_quant_kernelItN4opus5fp4_tELi128ELi16ELi4ELb1ELb0ELb1ELb0ELb0ELb0EEEvPT0_PvPT_S7_S7_PKS6_S9_S9_S9_S9_ffiiiiiiiiiiiii, .Lfunc_end676-_ZN5aiter35fused_qk_rmsnorm_group_quant_kernelItN4opus5fp4_tELi128ELi16ELi4ELb1ELb0ELb1ELb0ELb0ELb0EEEvPT0_PvPT_S7_S7_PKS6_S9_S9_S9_S9_ffiiiiiiiiiiiii
                                        ; -- End function
	.section	.AMDGPU.csdata,"",@progbits
; Kernel info:
; codeLenInByte = 3864
; NumSgprs: 44
; NumVgprs: 76
; NumAgprs: 0
; TotalNumVgprs: 76
; ScratchSize: 0
; MemoryBound: 0
; FloatMode: 240
; IeeeMode: 1
; LDSByteSize: 16 bytes/workgroup (compile time only)
; SGPRBlocks: 5
; VGPRBlocks: 9
; NumSGPRsForWavesPerEU: 44
; NumVGPRsForWavesPerEU: 76
; AccumOffset: 76
; Occupancy: 6
; WaveLimiterHint : 0
; COMPUTE_PGM_RSRC2:SCRATCH_EN: 0
; COMPUTE_PGM_RSRC2:USER_SGPR: 6
; COMPUTE_PGM_RSRC2:TRAP_HANDLER: 0
; COMPUTE_PGM_RSRC2:TGID_X_EN: 1
; COMPUTE_PGM_RSRC2:TGID_Y_EN: 1
; COMPUTE_PGM_RSRC2:TGID_Z_EN: 0
; COMPUTE_PGM_RSRC2:TIDIG_COMP_CNT: 0
; COMPUTE_PGM_RSRC3_GFX90A:ACCUM_OFFSET: 18
; COMPUTE_PGM_RSRC3_GFX90A:TG_SPLIT: 0
	.section	.text._ZN5aiter35fused_qk_rmsnorm_group_quant_kernelIDF16_DB8_Li128ELi16ELi4ELb1ELb0ELb0ELb0ELb0ELb0EEEvPT0_PvPT_S6_S6_PKS5_S8_S8_S8_S8_ffiiiiiiiiiiiii,"axG",@progbits,_ZN5aiter35fused_qk_rmsnorm_group_quant_kernelIDF16_DB8_Li128ELi16ELi4ELb1ELb0ELb0ELb0ELb0ELb0EEEvPT0_PvPT_S6_S6_PKS5_S8_S8_S8_S8_ffiiiiiiiiiiiii,comdat
	.protected	_ZN5aiter35fused_qk_rmsnorm_group_quant_kernelIDF16_DB8_Li128ELi16ELi4ELb1ELb0ELb0ELb0ELb0ELb0EEEvPT0_PvPT_S6_S6_PKS5_S8_S8_S8_S8_ffiiiiiiiiiiiii ; -- Begin function _ZN5aiter35fused_qk_rmsnorm_group_quant_kernelIDF16_DB8_Li128ELi16ELi4ELb1ELb0ELb0ELb0ELb0ELb0EEEvPT0_PvPT_S6_S6_PKS5_S8_S8_S8_S8_ffiiiiiiiiiiiii
	.globl	_ZN5aiter35fused_qk_rmsnorm_group_quant_kernelIDF16_DB8_Li128ELi16ELi4ELb1ELb0ELb0ELb0ELb0ELb0EEEvPT0_PvPT_S6_S6_PKS5_S8_S8_S8_S8_ffiiiiiiiiiiiii
	.p2align	8
	.type	_ZN5aiter35fused_qk_rmsnorm_group_quant_kernelIDF16_DB8_Li128ELi16ELi4ELb1ELb0ELb0ELb0ELb0ELb0EEEvPT0_PvPT_S6_S6_PKS5_S8_S8_S8_S8_ffiiiiiiiiiiiii,@function
_ZN5aiter35fused_qk_rmsnorm_group_quant_kernelIDF16_DB8_Li128ELi16ELi4ELb1ELb0ELb0ELb0ELb0ELb0EEEvPT0_PvPT_S6_S6_PKS5_S8_S8_S8_S8_ffiiiiiiiiiiiii: ; @_ZN5aiter35fused_qk_rmsnorm_group_quant_kernelIDF16_DB8_Li128ELi16ELi4ELb1ELb0ELb0ELb0ELb0ELb0EEEvPT0_PvPT_S6_S6_PKS5_S8_S8_S8_S8_ffiiiiiiiiiiiii
; %bb.0:
	s_load_dwordx8 s[12:19], s[4:5], 0x50
	s_waitcnt lgkmcnt(0)
	s_cmp_ge_i32 s6, s14
	s_cbranch_scc1 .LBB677_17
; %bb.1:
	s_cmp_lg_u32 s7, 0
	s_cselect_b64 s[10:11], -1, 0
	s_cmp_eq_u32 s7, 0
	s_cselect_b64 s[8:9], -1, 0
	s_and_b64 s[0:1], s[8:9], exec
	s_load_dwordx2 s[20:21], s[4:5], 0x48
	s_load_dwordx2 s[36:37], s[4:5], 0x30
	s_load_dwordx4 s[24:27], s[4:5], 0x70
	s_cselect_b32 s7, s15, s16
	s_add_i32 s0, s7, 1
	s_lshr_b32 s1, s0, 31
	s_add_i32 s0, s0, s1
	s_lshl_b32 s0, s0, 1
	v_lshlrev_b32_e32 v1, 4, v0
	s_and_b32 s30, s0, -4
	v_cmp_gt_i32_e64 s[0:1], s7, v1
	v_mov_b32_e32 v80, 0
	v_mov_b32_e32 v81, 0
	;; [unrolled: 1-line block ×16, first 2 shown]
	s_and_saveexec_b64 s[2:3], s[0:1]
	s_cbranch_execz .LBB677_3
; %bb.2:
	s_load_dwordx2 s[22:23], s[4:5], 0x28
	s_load_dwordx2 s[28:29], s[4:5], 0x40
	s_and_b64 s[34:35], s[8:9], exec
	s_cselect_b32 s14, s17, s18
	s_mov_b32 s31, 0x20000
	s_waitcnt lgkmcnt(0)
	s_cselect_b32 s17, s23, s37
	s_cselect_b32 s27, s22, s36
	s_mul_hi_i32 s23, s14, s6
	s_mul_i32 s22, s14, s6
	s_lshl_b64 s[22:23], s[22:23], 1
	s_add_u32 s40, s27, s22
	s_addc_u32 s14, s17, s23
	s_and_b64 s[22:23], s[8:9], exec
	s_cselect_b32 s28, s28, s20
	s_cselect_b32 s17, s29, s21
	s_and_b32 s41, s14, 0xffff
	s_mov_b32 s42, s30
	s_mov_b32 s43, s31
	v_lshlrev_b32_e32 v2, 5, v0
	s_and_b32 s29, s17, 0xffff
	buffer_load_dwordx4 v[84:87], v2, s[40:43], 0 offen
	buffer_load_dwordx4 v[88:91], v2, s[40:43], 16 offen
	;; [unrolled: 1-line block ×4, first 2 shown]
.LBB677_3:
	s_or_b64 exec, exec, s[2:3]
	s_load_dwordx2 s[34:35], s[4:5], 0x80
	s_and_b64 vcc, exec, s[10:11]
	s_cbranch_vccz .LBB677_7
; %bb.4:
	v_mov_b32_e32 v93, 0
	v_mov_b32_e32 v92, 0
	;; [unrolled: 1-line block ×16, first 2 shown]
	s_and_saveexec_b64 s[2:3], s[0:1]
	s_cbranch_execz .LBB677_6
; %bb.5:
	s_waitcnt vmcnt(3)
	v_cvt_f32_f16_sdwa v59, v84 dst_sel:DWORD dst_unused:UNUSED_PAD src0_sel:WORD_1
	v_cvt_f32_f16_e32 v58, v84
	v_cvt_f32_f16_sdwa v29, v85 dst_sel:DWORD dst_unused:UNUSED_PAD src0_sel:WORD_1
	v_cvt_f32_f16_e32 v28, v85
	;; [unrolled: 2-line block ×4, first 2 shown]
	s_waitcnt vmcnt(2)
	v_cvt_f32_f16_sdwa v69, v88 dst_sel:DWORD dst_unused:UNUSED_PAD src0_sel:WORD_1
	v_cvt_f32_f16_e32 v68, v88
	v_cvt_f32_f16_sdwa v41, v89 dst_sel:DWORD dst_unused:UNUSED_PAD src0_sel:WORD_1
	v_cvt_f32_f16_e32 v40, v89
	;; [unrolled: 2-line block ×4, first 2 shown]
.LBB677_6:
	s_or_b64 exec, exec, s[2:3]
	s_cbranch_execz .LBB677_8
	s_branch .LBB677_11
.LBB677_7:
                                        ; implicit-def: $vgpr26_vgpr27_vgpr28_vgpr29_vgpr30_vgpr31_vgpr32_vgpr33_vgpr34_vgpr35_vgpr36_vgpr37_vgpr38_vgpr39_vgpr40_vgpr41
                                        ; implicit-def: $vgpr58_vgpr59_vgpr60_vgpr61_vgpr62_vgpr63_vgpr64_vgpr65_vgpr66_vgpr67_vgpr68_vgpr69_vgpr70_vgpr71_vgpr72_vgpr73
                                        ; implicit-def: $vgpr42_vgpr43_vgpr44_vgpr45_vgpr46_vgpr47_vgpr48_vgpr49_vgpr50_vgpr51_vgpr52_vgpr53_vgpr54_vgpr55_vgpr56_vgpr57
                                        ; implicit-def: $vgpr12_vgpr13_vgpr14_vgpr15_vgpr16_vgpr17_vgpr18_vgpr19_vgpr20_vgpr21_vgpr22_vgpr23_vgpr24_vgpr25_vgpr26_vgpr27
                                        ; implicit-def: $vgpr93
                                        ; implicit-def: $vgpr60_vgpr61_vgpr62_vgpr63_vgpr64_vgpr65_vgpr66_vgpr67_vgpr68_vgpr69_vgpr70_vgpr71_vgpr72_vgpr73_vgpr74_vgpr75
                                        ; implicit-def: $vgpr30_vgpr31_vgpr32_vgpr33_vgpr34_vgpr35_vgpr36_vgpr37_vgpr38_vgpr39_vgpr40_vgpr41_vgpr42_vgpr43_vgpr44_vgpr45
                                        ; implicit-def: $vgpr2_vgpr3_vgpr4_vgpr5_vgpr6_vgpr7_vgpr8_vgpr9_vgpr10_vgpr11_vgpr12_vgpr13_vgpr14_vgpr15_vgpr16_vgpr17
.LBB677_8:
	v_mov_b32_e32 v93, 0
	v_mov_b32_e32 v92, 0
	;; [unrolled: 1-line block ×16, first 2 shown]
	s_and_saveexec_b64 s[2:3], s[0:1]
	s_cbranch_execz .LBB677_10
; %bb.9:
	s_load_dwordx2 s[22:23], s[4:5], 0x38
	s_mul_hi_i32 s29, s19, s6
	s_mul_i32 s28, s19, s6
	s_lshl_b64 s[28:29], s[28:29], 1
	s_mov_b32 s31, 0x20000
	s_waitcnt lgkmcnt(0)
	s_add_u32 s28, s22, s28
	s_addc_u32 s14, s23, s29
	s_and_b32 s29, s14, 0xffff
	v_lshlrev_b32_e32 v38, 5, v0
	buffer_load_dwordx4 v[6:9], v38, s[28:31], 16 offen
	buffer_load_dwordx4 v[10:13], v38, s[28:31], 0 offen
	s_waitcnt vmcnt(5)
	v_cvt_f32_f16_sdwa v19, v86 dst_sel:DWORD dst_unused:UNUSED_PAD src0_sel:WORD_1
	v_cvt_f32_f16_e32 v18, v86
	v_cvt_f32_f16_sdwa v25, v87 dst_sel:DWORD dst_unused:UNUSED_PAD src0_sel:WORD_1
	v_cvt_f32_f16_e32 v24, v87
	;; [unrolled: 2-line block ×4, first 2 shown]
	s_load_dwordx2 s[22:23], s[4:5], 0x20
	s_waitcnt vmcnt(4)
	v_cvt_f32_f16_sdwa v3, v88 dst_sel:DWORD dst_unused:UNUSED_PAD src0_sel:WORD_1
	v_cvt_f32_f16_e32 v2, v88
	v_cvt_f32_f16_sdwa v5, v89 dst_sel:DWORD dst_unused:UNUSED_PAD src0_sel:WORD_1
	v_cvt_f32_f16_e32 v4, v89
	;; [unrolled: 2-line block ×4, first 2 shown]
	s_mul_hi_i32 s29, s35, s6
	s_mul_i32 s28, s35, s6
	s_lshl_b64 s[28:29], s[28:29], 1
	s_waitcnt lgkmcnt(0)
	s_add_u32 s28, s22, s28
	s_addc_u32 s14, s23, s29
	s_and_b32 s29, s14, 0xffff
	s_waitcnt vmcnt(1)
	v_cvt_f32_f16_e32 v26, v6
	v_cvt_f32_f16_sdwa v27, v6 dst_sel:DWORD dst_unused:UNUSED_PAD src0_sel:WORD_1
	v_cvt_f32_f16_e32 v30, v7
	v_cvt_f32_f16_sdwa v31, v7 dst_sel:DWORD dst_unused:UNUSED_PAD src0_sel:WORD_1
	;; [unrolled: 2-line block ×4, first 2 shown]
	s_waitcnt vmcnt(0)
	v_cvt_f32_f16_e32 v6, v12
	v_cvt_f32_f16_sdwa v7, v12 dst_sel:DWORD dst_unused:UNUSED_PAD src0_sel:WORD_1
	v_cvt_f32_f16_e32 v8, v13
	v_cvt_f32_f16_sdwa v9, v13 dst_sel:DWORD dst_unused:UNUSED_PAD src0_sel:WORD_1
	;; [unrolled: 2-line block ×4, first 2 shown]
	v_pk_add_f32 v[46:47], v[18:19], v[6:7]
	v_pk_add_f32 v[18:19], v[24:25], v[8:9]
	v_cvt_f16_f32_e32 v6, v47
	v_cvt_f16_f32_e32 v7, v19
	;; [unrolled: 1-line block ×4, first 2 shown]
	v_pk_add_f32 v[28:29], v[22:23], v[10:11]
	v_pk_add_f32 v[58:59], v[20:21], v[36:37]
	v_pack_b32_f16 v9, v8, v7
	v_pack_b32_f16 v8, v12, v6
	v_cvt_f16_f32_e32 v6, v29
	v_cvt_f16_f32_e32 v7, v28
	;; [unrolled: 1-line block ×3, first 2 shown]
	v_pk_add_f32 v[92:93], v[16:17], v[34:35]
	v_pk_add_f32 v[14:15], v[14:15], v[32:33]
	v_pack_b32_f16 v7, v7, v6
	v_cvt_f16_f32_e32 v6, v59
	v_pk_add_f32 v[40:41], v[4:5], v[30:31]
	v_pk_add_f32 v[68:69], v[2:3], v[26:27]
	v_cvt_f16_f32_e32 v4, v40
	v_pack_b32_f16 v6, v10, v6
	buffer_store_dwordx4 v[6:9], v38, s[28:31], 0 offen
	v_cvt_f16_f32_e32 v5, v41
	v_cvt_f16_f32_e32 v6, v14
	;; [unrolled: 1-line block ×7, first 2 shown]
	v_pack_b32_f16 v7, v7, v8
	v_pack_b32_f16 v6, v6, v9
	;; [unrolled: 1-line block ×4, first 2 shown]
	;;#ASMSTART
	s_nop 0
	;;#ASMEND
	buffer_store_dwordx4 v[4:7], v38, s[28:31], 16 offen
	;;#ASMSTART
	s_nop 0
	;;#ASMEND
.LBB677_10:
	s_or_b64 exec, exec, s[2:3]
.LBB677_11:
	v_mul_f32_e32 v2, v59, v59
	v_fmac_f32_e32 v2, v58, v58
	v_fmac_f32_e32 v2, v28, v28
	;; [unrolled: 1-line block ×15, first 2 shown]
	s_nop 1
	v_mov_b32_dpp v3, v2 quad_perm:[1,0,3,2] row_mask:0xf bank_mask:0xf
	v_add_f32_e32 v2, v2, v3
	s_nop 1
	v_mov_b32_dpp v3, v2 quad_perm:[2,3,0,1] row_mask:0xf bank_mask:0xf
	v_add_f32_e32 v2, v2, v3
	s_nop 1
	v_mov_b32_dpp v3, v2 row_half_mirror row_mask:0xf bank_mask:0xf
	v_add_f32_e32 v2, v2, v3
	s_nop 1
	v_mov_b32_dpp v3, v2 row_mirror row_mask:0xf bank_mask:0xf
	v_add_f32_e32 v2, v2, v3
	s_nop 1
	v_mov_b32_dpp v3, v2 row_bcast:15 row_mask:0xf bank_mask:0xf
	v_add_f32_e32 v2, v2, v3
	v_and_b32_e32 v3, 63, v0
	v_cmp_eq_u32_e64 s[2:3], 63, v3
	s_nop 0
	v_mov_b32_dpp v3, v2 row_bcast:31 row_mask:0xf bank_mask:0xf
	s_and_saveexec_b64 s[22:23], s[2:3]
	s_cbranch_execz .LBB677_13
; %bb.12:
	v_add_f32_e32 v2, v2, v3
	v_lshrrev_b32_e32 v3, 4, v0
	v_and_b32_e32 v3, 60, v3
	ds_write_b32 v3, v2 offset:8
.LBB677_13:
	s_or_b64 exec, exec, s[22:23]
	v_and_b32_e32 v2, 1, v0
	v_lshlrev_b32_e32 v34, 2, v2
	s_waitcnt lgkmcnt(0)
	s_barrier
	ds_read_b32 v2, v34 offset:8
	s_load_dwordx2 s[38:39], s[4:5], 0x18
	s_waitcnt lgkmcnt(0)
	v_mov_b32_dpp v3, v2 quad_perm:[1,0,3,2] row_mask:0xf bank_mask:0xf
	s_and_saveexec_b64 s[22:23], s[0:1]
	s_cbranch_execnz .LBB677_18
; %bb.14:
	s_or_b64 exec, exec, s[22:23]
	s_mov_b64 s[8:9], -1
	s_and_b64 vcc, exec, s[10:11]
	s_cbranch_vccnz .LBB677_19
.LBB677_15:
	s_andn2_b64 vcc, exec, s[8:9]
	s_cbranch_vccz .LBB677_22
.LBB677_16:
	s_cmp_lt_i32 s16, 1
	s_cbranch_scc0 .LBB677_29
.LBB677_17:
	s_endpgm
.LBB677_18:
	v_add_f32_e32 v2, v2, v3
	v_cvt_f32_u32_e32 v3, s7
	s_mov_b32 s7, 0x800000
	s_waitcnt vmcnt(1)
	v_cvt_f32_f16_sdwa v21, v81 dst_sel:DWORD dst_unused:UNUSED_PAD src0_sel:WORD_1
	v_cvt_f32_f16_e32 v20, v81
	v_div_scale_f32 v4, s[28:29], v3, v3, v2
	v_rcp_f32_e32 v5, v4
	s_waitcnt vmcnt(0)
	v_cvt_f32_f16_sdwa v23, v77 dst_sel:DWORD dst_unused:UNUSED_PAD src0_sel:WORD_1
	v_cvt_f32_f16_e32 v22, v77
	v_cvt_f32_f16_sdwa v25, v78 dst_sel:DWORD dst_unused:UNUSED_PAD src0_sel:WORD_1
	v_fma_f32 v6, -v4, v5, 1.0
	v_fmac_f32_e32 v5, v6, v5
	v_div_scale_f32 v6, vcc, v2, v3, v2
	v_mul_f32_e32 v7, v6, v5
	v_fma_f32 v8, -v4, v7, v6
	v_fmac_f32_e32 v7, v8, v5
	v_fma_f32 v4, -v4, v7, v6
	v_div_fmas_f32 v4, v4, v5, v7
	v_div_fixup_f32 v2, v4, v3, v2
	v_mov_b32_e32 v3, s13
	v_mov_b32_e32 v4, s12
	v_cndmask_b32_e64 v3, v3, v4, s[8:9]
	v_add_f32_e32 v2, v3, v2
	v_mul_f32_e32 v3, 0x4b800000, v2
	v_cmp_gt_f32_e32 vcc, s7, v2
	v_cndmask_b32_e32 v2, v2, v3, vcc
	v_rsq_f32_e32 v2, v2
	v_cvt_f32_f16_e32 v24, v78
	v_cvt_f32_f16_sdwa v27, v79 dst_sel:DWORD dst_unused:UNUSED_PAD src0_sel:WORD_1
	v_cvt_f32_f16_e32 v26, v79
	v_mul_f32_e32 v3, 0x45800000, v2
	v_cndmask_b32_e32 v2, v2, v3, vcc
	v_mov_b32_e32 v3, v2
	;;#ASMSTART
	v_pk_mul_f32 v[4:5], v[58:59], v[2:3]
	;;#ASMEND
	;;#ASMSTART
	v_pk_mul_f32 v[6:7], v[28:29], v[2:3]
	;;#ASMEND
	;; [unrolled: 3-line block ×6, first 2 shown]
	v_cvt_f32_f16_sdwa v19, v80 dst_sel:DWORD dst_unused:UNUSED_PAD src0_sel:WORD_1
	v_cvt_f32_f16_e32 v18, v80
	;;#ASMSTART
	v_pk_mul_f32 v[14:15], v[14:15], v[2:3]
	;;#ASMEND
	;;#ASMSTART
	v_pk_mul_f32 v[2:3], v[92:93], v[2:3]
	;;#ASMEND
	;; [unrolled: 3-line block ×4, first 2 shown]
	v_cvt_f32_f16_sdwa v5, v82 dst_sel:DWORD dst_unused:UNUSED_PAD src0_sel:WORD_1
	v_cvt_f32_f16_e32 v4, v82
	v_cvt_f32_f16_sdwa v7, v83 dst_sel:DWORD dst_unused:UNUSED_PAD src0_sel:WORD_1
	v_cvt_f32_f16_e32 v6, v83
	;; [unrolled: 2-line block ×3, first 2 shown]
	;;#ASMSTART
	v_pk_mul_f32 v[46:47], v[8:9], v[4:5]
	;;#ASMEND
	;;#ASMSTART
	v_pk_mul_f32 v[18:19], v[10:11], v[6:7]
	;;#ASMEND
	;; [unrolled: 3-line block ×6, first 2 shown]
	s_or_b64 exec, exec, s[22:23]
	s_mov_b64 s[8:9], -1
	s_and_b64 vcc, exec, s[10:11]
	s_cbranch_vccz .LBB677_15
.LBB677_19:
	s_and_saveexec_b64 s[8:9], s[0:1]
	s_cbranch_execz .LBB677_21
; %bb.20:
	v_cvt_f16_f32_e32 v2, v46
	v_cvt_f16_f32_e32 v3, v18
	;; [unrolled: 1-line block ×4, first 2 shown]
	s_mul_hi_i32 s11, s34, s6
	s_mul_i32 s10, s34, s6
	v_pack_b32_f16 v5, v3, v4
	v_pack_b32_f16 v4, v2, v6
	v_cvt_f16_f32_e32 v2, v28
	v_cvt_f16_f32_e32 v3, v29
	;; [unrolled: 1-line block ×3, first 2 shown]
	s_lshl_b64 s[10:11], s[10:11], 1
	s_add_u32 s28, s38, s10
	v_pack_b32_f16 v3, v2, v3
	v_cvt_f16_f32_e32 v2, v58
	s_addc_u32 s7, s39, s11
	s_and_b32 s29, s7, 0xffff
	s_mov_b32 s31, 0x20000
	v_pack_b32_f16 v2, v2, v6
	v_lshlrev_b32_e32 v6, 5, v0
	buffer_store_dwordx4 v[2:5], v6, s[28:31], 0 offen
	v_cvt_f16_f32_e32 v7, v15
	v_cvt_f16_f32_e32 v2, v14
	;; [unrolled: 1-line block ×4, first 2 shown]
	;;#ASMSTART
	s_nop 0
	;;#ASMEND
	v_pack_b32_f16 v5, v3, v4
	v_pack_b32_f16 v4, v2, v7
	v_cvt_f16_f32_e32 v2, v40
	v_cvt_f16_f32_e32 v3, v41
	;; [unrolled: 1-line block ×3, first 2 shown]
	v_pack_b32_f16 v3, v2, v3
	v_cvt_f16_f32_e32 v2, v68
	v_pack_b32_f16 v2, v2, v7
	buffer_store_dwordx4 v[2:5], v6, s[28:31], 16 offen
	;;#ASMSTART
	s_nop 0
	;;#ASMEND
.LBB677_21:
	s_or_b64 exec, exec, s[8:9]
	s_cbranch_execnz .LBB677_16
.LBB677_22:
	v_mov_b32_e32 v2, 0
	s_and_saveexec_b64 s[8:9], s[0:1]
	s_cbranch_execz .LBB677_24
; %bb.23:
	v_and_b32_e32 v2, 0x7fffffff, v58
	v_and_b32_e32 v3, 0x7fffffff, v59
	v_mov_b32_e32 v4, 0x2edbe6ff
	;;#ASMSTART
	v_max3_f32 v2, v4, v2, v3

	;;#ASMEND
	v_and_b32_e32 v3, 0x7fffffff, v28
	v_and_b32_e32 v4, 0x7fffffff, v29
	;;#ASMSTART
	v_max3_f32 v2, v2, v3, v4

	;;#ASMEND
	v_and_b32_e32 v3, 0x7fffffff, v46
	v_and_b32_e32 v4, 0x7fffffff, v47
	;; [unrolled: 6-line block ×7, first 2 shown]
	;;#ASMSTART
	v_max3_f32 v2, v2, v3, v4

	;;#ASMEND
.LBB677_24:
	s_or_b64 exec, exec, s[8:9]
	;;#ASMSTART
	v_max_f32 v3, v2, v2 quad_perm:[1,0,3,2] row_mask:0xf bank_mask:0xf bound_ctrl:1
	;;#ASMEND
	;;#ASMSTART
	v_max_f32 v2, v3, v3 quad_perm:[2,3,0,1] row_mask:0xf bank_mask:0xf bound_ctrl:1
	;;#ASMEND
	v_and_b32_e32 v3, 3, v0
	v_cmp_eq_u32_e32 vcc, 0, v3
	v_cmp_gt_i32_e64 s[8:9], s15, v1
	v_mul_f32_e32 v2, 0x3b124925, v2
	s_and_b64 s[10:11], vcc, s[8:9]
	s_and_saveexec_b64 s[8:9], s[10:11]
	s_cbranch_execz .LBB677_26
; %bb.25:
	s_load_dwordx2 s[10:11], s[4:5], 0x8
	s_mul_hi_i32 s23, s25, s6
	s_mul_i32 s22, s25, s6
	v_lshrrev_b32_e32 v3, 2, v0
	s_lshl_b64 s[22:23], s[22:23], 2
	v_mad_i64_i32 v[4:5], s[26:27], s26, v3, 0
	s_waitcnt lgkmcnt(0)
	s_add_u32 s7, s10, s22
	s_addc_u32 s10, s11, s23
	v_lshlrev_b64 v[4:5], 2, v[4:5]
	v_mov_b32_e32 v3, s10
	v_add_co_u32_e32 v4, vcc, s7, v4
	v_addc_co_u32_e32 v5, vcc, v3, v5, vcc
	global_store_dword v[4:5], v2, off
.LBB677_26:
	s_or_b64 exec, exec, s[8:9]
	;;#ASMSTART
	v_rcp_f32 v2, v2
	;;#ASMEND
	s_and_saveexec_b64 s[22:23], s[0:1]
	s_cbranch_execz .LBB677_28
; %bb.27:
	v_mov_b32_e32 v3, v2
	;;#ASMSTART
	v_pk_mul_f32 v[4:5], v[58:59], v[2:3]
	;;#ASMEND
	v_mov_b32_e32 v10, 0xc3e00000
	v_mov_b32_e32 v11, 0x43e00000
	;;#ASMSTART
	v_med3_f32 v4, v4, v10, v11
v_med3_f32 v5, v5, v10, v11
v_cvt_pk_fp8_f32 v6, v4, v5
	;;#ASMEND
	;;#ASMSTART
	v_pk_mul_f32 v[4:5], v[28:29], v[2:3]
	;;#ASMEND
	;;#ASMSTART
	v_med3_f32 v4, v4, v10, v11
v_med3_f32 v5, v5, v10, v11
v_cvt_pk_fp8_f32 v7, v4, v5
	;;#ASMEND
	;;#ASMSTART
	v_pk_mul_f32 v[4:5], v[46:47], v[2:3]
	;;#ASMEND
	;;#ASMSTART
	v_med3_f32 v4, v4, v10, v11
v_med3_f32 v5, v5, v10, v11
v_cvt_pk_fp8_f32 v8, v4, v5
	;;#ASMEND
	;;#ASMSTART
	v_pk_mul_f32 v[4:5], v[18:19], v[2:3]
	;;#ASMEND
	;;#ASMSTART
	v_med3_f32 v4, v4, v10, v11
v_med3_f32 v5, v5, v10, v11
v_cvt_pk_fp8_f32 v9, v4, v5
	;;#ASMEND
	s_mov_b32 s0, 0x5040100
	v_perm_b32 v4, v7, v6, s0
	s_mov_b32 s0, 0x1060504
	v_perm_b32 v4, v4, v7, s0
	s_load_dwordx2 s[0:1], s[4:5], 0x0
	s_mov_b32 s7, 0x1000504
	;;#ASMSTART
	v_pk_mul_f32 v[6:7], v[68:69], v[2:3]
	;;#ASMEND
	v_perm_b32 v5, v8, v9, s7
	s_mul_i32 s8, s24, s6
	;;#ASMSTART
	v_med3_f32 v6, v6, v10, v11
v_med3_f32 v7, v7, v10, v11
v_cvt_pk_fp8_f32 v8, v6, v7
	;;#ASMEND
	s_mul_hi_i32 s9, s24, s6
	s_waitcnt lgkmcnt(0)
	s_add_u32 s8, s0, s8
	;;#ASMSTART
	v_pk_mul_f32 v[6:7], v[40:41], v[2:3]
	;;#ASMEND
	s_addc_u32 s0, s1, s9
	s_add_i32 s1, s15, 3
	;;#ASMSTART
	v_med3_f32 v6, v6, v10, v11
v_med3_f32 v7, v7, v10, v11
v_cvt_pk_fp8_f32 v9, v6, v7
	;;#ASMEND
	s_ashr_i32 s9, s1, 31
	v_perm_b32 v6, v8, v9, s7
	;;#ASMSTART
	v_pk_mul_f32 v[8:9], v[14:15], v[2:3]
	;;#ASMEND
	v_mov_b32_e32 v7, v9
	s_lshr_b32 s9, s9, 30
	;;#ASMSTART
	v_med3_f32 v8, v8, v10, v11
v_med3_f32 v7, v7, v10, v11
v_cvt_pk_fp8_f32 v9, v8, v7
	;;#ASMEND
	;;#ASMSTART
	v_pk_mul_f32 v[2:3], v[92:93], v[2:3]
	;;#ASMEND
	s_add_i32 s1, s1, s9
	;;#ASMSTART
	v_med3_f32 v2, v2, v10, v11
v_med3_f32 v3, v3, v10, v11
v_cvt_pk_fp8_f32 v7, v2, v3
	;;#ASMEND
	s_and_b32 s10, s1, -4
	s_and_b32 s9, s0, 0xffff
	s_mov_b32 s11, 0x20000
	v_perm_b32 v7, v9, v7, s7
	buffer_store_dwordx4 v[4:7], v1, s[8:11], 0 offen
	;;#ASMSTART
	s_nop 0
	;;#ASMEND
.LBB677_28:
	s_or_b64 exec, exec, s[22:23]
	s_cmp_lt_i32 s16, 1
	s_cbranch_scc1 .LBB677_17
.LBB677_29:
	s_load_dword s0, s[4:5], 0x94
	s_waitcnt lgkmcnt(0)
	s_cmp_lg_u32 s0, 1
	s_cbranch_scc1 .LBB677_17
; %bb.30:
	s_lshl_b32 s0, s16, 1
	s_add_i32 s0, s0, 2
	v_cmp_gt_u32_e32 vcc, s16, v1
	s_and_b32 s22, s0, -4
	v_mov_b32_e32 v18, 0
	v_lshlrev_b32_e32 v1, 5, v0
	v_mov_b32_e32 v14, 0
	v_mov_b32_e32 v15, 0
	;; [unrolled: 1-line block ×16, first 2 shown]
	s_barrier
	s_and_saveexec_b64 s[0:1], vcc
	s_cbranch_execz .LBB677_32
; %bb.31:
	s_mul_hi_i32 s5, s18, s6
	s_mul_i32 s4, s18, s6
	s_and_b32 s21, s21, 0xffff
	s_lshl_b64 s[4:5], s[4:5], 1
	s_add_u32 s8, s36, s4
	s_mov_b32 s23, 0x20000
	s_addc_u32 s4, s37, s5
	s_and_b32 s9, s4, 0xffff
	s_mov_b32 s10, s22
	s_mov_b32 s11, s23
	buffer_load_dwordx4 v[14:17], v1, s[8:11], 0 offen
	buffer_load_dwordx4 v[10:13], v1, s[8:11], 16 offen
	;; [unrolled: 1-line block ×4, first 2 shown]
.LBB677_32:
	s_or_b64 exec, exec, s[0:1]
	v_mov_b32_e32 v19, 0
	v_mov_b32_e32 v32, 0
	;; [unrolled: 1-line block ×15, first 2 shown]
	s_and_saveexec_b64 s[0:1], vcc
	s_cbranch_execz .LBB677_34
; %bb.33:
	s_waitcnt vmcnt(3)
	v_cvt_f32_f16_sdwa v19, v14 dst_sel:DWORD dst_unused:UNUSED_PAD src0_sel:WORD_1
	v_cvt_f32_f16_e32 v18, v14
	v_cvt_f32_f16_sdwa v33, v15 dst_sel:DWORD dst_unused:UNUSED_PAD src0_sel:WORD_1
	v_cvt_f32_f16_e32 v32, v15
	;; [unrolled: 2-line block ×4, first 2 shown]
	s_waitcnt vmcnt(2)
	v_cvt_f32_f16_sdwa v27, v10 dst_sel:DWORD dst_unused:UNUSED_PAD src0_sel:WORD_1
	v_cvt_f32_f16_e32 v26, v10
	v_cvt_f32_f16_sdwa v25, v11 dst_sel:DWORD dst_unused:UNUSED_PAD src0_sel:WORD_1
	v_cvt_f32_f16_e32 v24, v11
	;; [unrolled: 2-line block ×4, first 2 shown]
.LBB677_34:
	s_or_b64 exec, exec, s[0:1]
	s_waitcnt vmcnt(2)
	v_mul_f32_e32 v10, v19, v19
	v_fmac_f32_e32 v10, v18, v18
	v_fmac_f32_e32 v10, v32, v32
	;; [unrolled: 1-line block ×15, first 2 shown]
	s_nop 1
	v_mov_b32_dpp v11, v10 quad_perm:[1,0,3,2] row_mask:0xf bank_mask:0xf
	v_add_f32_e32 v10, v10, v11
	s_nop 1
	v_mov_b32_dpp v11, v10 quad_perm:[2,3,0,1] row_mask:0xf bank_mask:0xf
	v_add_f32_e32 v10, v10, v11
	s_nop 1
	v_mov_b32_dpp v11, v10 row_half_mirror row_mask:0xf bank_mask:0xf
	v_add_f32_e32 v10, v10, v11
	s_nop 1
	v_mov_b32_dpp v11, v10 row_mirror row_mask:0xf bank_mask:0xf
	v_add_f32_e32 v10, v10, v11
	s_nop 1
	v_mov_b32_dpp v11, v10 row_bcast:15 row_mask:0xf bank_mask:0xf
	v_add_f32_e32 v10, v10, v11
	s_nop 1
	v_mov_b32_dpp v11, v10 row_bcast:31 row_mask:0xf bank_mask:0xf
	s_and_saveexec_b64 s[0:1], s[2:3]
	s_cbranch_execz .LBB677_36
; %bb.35:
	v_lshrrev_b32_e32 v0, 4, v0
	v_add_f32_e32 v10, v10, v11
	v_and_b32_e32 v0, 60, v0
	ds_write_b32 v0, v10
.LBB677_36:
	s_or_b64 exec, exec, s[0:1]
	s_waitcnt lgkmcnt(0)
	s_barrier
	ds_read_b32 v0, v34
	s_waitcnt lgkmcnt(0)
	s_nop 0
	v_mov_b32_dpp v10, v0 quad_perm:[1,0,3,2] row_mask:0xf bank_mask:0xf
	s_and_saveexec_b64 s[0:1], vcc
	s_cbranch_execz .LBB677_17
; %bb.37:
	v_cvt_f32_u32_e32 v11, s16
	v_add_f32_e32 v0, v0, v10
	s_mov_b32 s23, 0x20000
	v_div_scale_f32 v10, s[0:1], v11, v11, v0
	v_rcp_f32_e32 v12, v10
	v_div_scale_f32 v13, vcc, v0, v11, v0
	s_mov_b32 s0, 0x800000
	v_fma_f32 v14, -v10, v12, 1.0
	v_fmac_f32_e32 v12, v14, v12
	v_mul_f32_e32 v14, v13, v12
	v_fma_f32 v15, -v10, v14, v13
	v_fmac_f32_e32 v14, v15, v12
	v_fma_f32 v10, -v10, v14, v13
	v_div_fmas_f32 v10, v10, v12, v14
	v_div_fixup_f32 v0, v10, v11, v0
	v_add_f32_e32 v0, s13, v0
	v_mul_f32_e32 v10, 0x4b800000, v0
	v_cmp_gt_f32_e32 vcc, s0, v0
	v_cndmask_b32_e32 v0, v0, v10, vcc
	v_rsq_f32_e32 v0, v0
	s_mul_hi_i32 s1, s34, s6
	s_mul_i32 s0, s34, s6
	s_lshl_b64 s[0:1], s[0:1], 1
	v_mul_f32_e32 v10, 0x45800000, v0
	v_cndmask_b32_e32 v10, v0, v10, vcc
	v_mov_b32_e32 v11, v10
	;;#ASMSTART
	v_pk_mul_f32 v[12:13], v[18:19], v[10:11]
	;;#ASMEND
	;;#ASMSTART
	v_pk_mul_f32 v[14:15], v[32:33], v[10:11]
	;;#ASMEND
	;; [unrolled: 3-line block ×8, first 2 shown]
	s_waitcnt vmcnt(1)
	v_cvt_f32_f16_sdwa v21, v6 dst_sel:DWORD dst_unused:UNUSED_PAD src0_sel:WORD_1
	v_cvt_f32_f16_e32 v20, v6
	v_cvt_f32_f16_sdwa v29, v7 dst_sel:DWORD dst_unused:UNUSED_PAD src0_sel:WORD_1
	v_cvt_f32_f16_e32 v28, v7
	;; [unrolled: 2-line block ×4, first 2 shown]
	;;#ASMSTART
	v_pk_mul_f32 v[8:9], v[12:13], v[20:21]
	;;#ASMEND
	;;#ASMSTART
	v_pk_mul_f32 v[12:13], v[14:15], v[28:29]
	;;#ASMEND
	;; [unrolled: 3-line block ×4, first 2 shown]
	s_waitcnt vmcnt(0)
	v_cvt_f32_f16_sdwa v17, v2 dst_sel:DWORD dst_unused:UNUSED_PAD src0_sel:WORD_1
	v_cvt_f32_f16_e32 v16, v2
	v_cvt_f32_f16_sdwa v19, v3 dst_sel:DWORD dst_unused:UNUSED_PAD src0_sel:WORD_1
	v_cvt_f32_f16_e32 v18, v3
	v_cvt_f32_f16_sdwa v3, v4 dst_sel:DWORD dst_unused:UNUSED_PAD src0_sel:WORD_1
	v_cvt_f32_f16_e32 v2, v4
	v_cvt_f32_f16_sdwa v21, v5 dst_sel:DWORD dst_unused:UNUSED_PAD src0_sel:WORD_1
	v_cvt_f32_f16_e32 v20, v5
	;;#ASMSTART
	v_pk_mul_f32 v[16:17], v[26:27], v[16:17]
	;;#ASMEND
	;;#ASMSTART
	v_pk_mul_f32 v[18:19], v[24:25], v[18:19]
	;;#ASMEND
	;; [unrolled: 3-line block ×3, first 2 shown]
	v_cvt_f16_f32_e32 v0, v8
	v_cvt_f16_f32_e32 v2, v9
	;; [unrolled: 1-line block ×8, first 2 shown]
	s_add_u32 s20, s38, s0
	s_addc_u32 s0, s39, s1
	s_and_b32 s21, s0, 0xffff
	v_pack_b32_f16 v2, v0, v2
	v_pack_b32_f16 v3, v3, v4
	v_pack_b32_f16 v4, v5, v6
	v_pack_b32_f16 v5, v7, v8
	;;#ASMSTART
	v_pk_mul_f32 v[10:11], v[10:11], v[20:21]
	;;#ASMEND
	buffer_store_dwordx4 v[2:5], v1, s[20:23], 0 offen
	v_cvt_f16_f32_e32 v0, v16
	v_cvt_f16_f32_e32 v2, v17
	;; [unrolled: 1-line block ×8, first 2 shown]
	v_pack_b32_f16 v2, v0, v2
	v_pack_b32_f16 v3, v3, v4
	;; [unrolled: 1-line block ×4, first 2 shown]
	;;#ASMSTART
	s_nop 0
	;;#ASMEND
	buffer_store_dwordx4 v[2:5], v1, s[20:23], 16 offen
	;;#ASMSTART
	s_nop 0
	;;#ASMEND
	s_endpgm
	.section	.rodata,"a",@progbits
	.p2align	6, 0x0
	.amdhsa_kernel _ZN5aiter35fused_qk_rmsnorm_group_quant_kernelIDF16_DB8_Li128ELi16ELi4ELb1ELb0ELb0ELb0ELb0ELb0EEEvPT0_PvPT_S6_S6_PKS5_S8_S8_S8_S8_ffiiiiiiiiiiiii
		.amdhsa_group_segment_fixed_size 16
		.amdhsa_private_segment_fixed_size 0
		.amdhsa_kernarg_size 400
		.amdhsa_user_sgpr_count 6
		.amdhsa_user_sgpr_private_segment_buffer 1
		.amdhsa_user_sgpr_dispatch_ptr 0
		.amdhsa_user_sgpr_queue_ptr 0
		.amdhsa_user_sgpr_kernarg_segment_ptr 1
		.amdhsa_user_sgpr_dispatch_id 0
		.amdhsa_user_sgpr_flat_scratch_init 0
		.amdhsa_user_sgpr_kernarg_preload_length 0
		.amdhsa_user_sgpr_kernarg_preload_offset 0
		.amdhsa_user_sgpr_private_segment_size 0
		.amdhsa_uses_dynamic_stack 0
		.amdhsa_system_sgpr_private_segment_wavefront_offset 0
		.amdhsa_system_sgpr_workgroup_id_x 1
		.amdhsa_system_sgpr_workgroup_id_y 1
		.amdhsa_system_sgpr_workgroup_id_z 0
		.amdhsa_system_sgpr_workgroup_info 0
		.amdhsa_system_vgpr_workitem_id 0
		.amdhsa_next_free_vgpr 94
		.amdhsa_next_free_sgpr 44
		.amdhsa_accum_offset 96
		.amdhsa_reserve_vcc 1
		.amdhsa_reserve_flat_scratch 0
		.amdhsa_float_round_mode_32 0
		.amdhsa_float_round_mode_16_64 0
		.amdhsa_float_denorm_mode_32 3
		.amdhsa_float_denorm_mode_16_64 3
		.amdhsa_dx10_clamp 1
		.amdhsa_ieee_mode 1
		.amdhsa_fp16_overflow 0
		.amdhsa_tg_split 0
		.amdhsa_exception_fp_ieee_invalid_op 0
		.amdhsa_exception_fp_denorm_src 0
		.amdhsa_exception_fp_ieee_div_zero 0
		.amdhsa_exception_fp_ieee_overflow 0
		.amdhsa_exception_fp_ieee_underflow 0
		.amdhsa_exception_fp_ieee_inexact 0
		.amdhsa_exception_int_div_zero 0
	.end_amdhsa_kernel
	.section	.text._ZN5aiter35fused_qk_rmsnorm_group_quant_kernelIDF16_DB8_Li128ELi16ELi4ELb1ELb0ELb0ELb0ELb0ELb0EEEvPT0_PvPT_S6_S6_PKS5_S8_S8_S8_S8_ffiiiiiiiiiiiii,"axG",@progbits,_ZN5aiter35fused_qk_rmsnorm_group_quant_kernelIDF16_DB8_Li128ELi16ELi4ELb1ELb0ELb0ELb0ELb0ELb0EEEvPT0_PvPT_S6_S6_PKS5_S8_S8_S8_S8_ffiiiiiiiiiiiii,comdat
.Lfunc_end677:
	.size	_ZN5aiter35fused_qk_rmsnorm_group_quant_kernelIDF16_DB8_Li128ELi16ELi4ELb1ELb0ELb0ELb0ELb0ELb0EEEvPT0_PvPT_S6_S6_PKS5_S8_S8_S8_S8_ffiiiiiiiiiiiii, .Lfunc_end677-_ZN5aiter35fused_qk_rmsnorm_group_quant_kernelIDF16_DB8_Li128ELi16ELi4ELb1ELb0ELb0ELb0ELb0ELb0EEEvPT0_PvPT_S6_S6_PKS5_S8_S8_S8_S8_ffiiiiiiiiiiiii
                                        ; -- End function
	.section	.AMDGPU.csdata,"",@progbits
; Kernel info:
; codeLenInByte = 4000
; NumSgprs: 48
; NumVgprs: 94
; NumAgprs: 0
; TotalNumVgprs: 94
; ScratchSize: 0
; MemoryBound: 0
; FloatMode: 240
; IeeeMode: 1
; LDSByteSize: 16 bytes/workgroup (compile time only)
; SGPRBlocks: 5
; VGPRBlocks: 11
; NumSGPRsForWavesPerEU: 48
; NumVGPRsForWavesPerEU: 94
; AccumOffset: 96
; Occupancy: 5
; WaveLimiterHint : 0
; COMPUTE_PGM_RSRC2:SCRATCH_EN: 0
; COMPUTE_PGM_RSRC2:USER_SGPR: 6
; COMPUTE_PGM_RSRC2:TRAP_HANDLER: 0
; COMPUTE_PGM_RSRC2:TGID_X_EN: 1
; COMPUTE_PGM_RSRC2:TGID_Y_EN: 1
; COMPUTE_PGM_RSRC2:TGID_Z_EN: 0
; COMPUTE_PGM_RSRC2:TIDIG_COMP_CNT: 0
; COMPUTE_PGM_RSRC3_GFX90A:ACCUM_OFFSET: 23
; COMPUTE_PGM_RSRC3_GFX90A:TG_SPLIT: 0
	.section	.text._ZN5aiter35fused_qk_rmsnorm_group_quant_kernelItDB8_Li128ELi16ELi4ELb1ELb0ELb0ELb0ELb0ELb0EEEvPT0_PvPT_S6_S6_PKS5_S8_S8_S8_S8_ffiiiiiiiiiiiii,"axG",@progbits,_ZN5aiter35fused_qk_rmsnorm_group_quant_kernelItDB8_Li128ELi16ELi4ELb1ELb0ELb0ELb0ELb0ELb0EEEvPT0_PvPT_S6_S6_PKS5_S8_S8_S8_S8_ffiiiiiiiiiiiii,comdat
	.protected	_ZN5aiter35fused_qk_rmsnorm_group_quant_kernelItDB8_Li128ELi16ELi4ELb1ELb0ELb0ELb0ELb0ELb0EEEvPT0_PvPT_S6_S6_PKS5_S8_S8_S8_S8_ffiiiiiiiiiiiii ; -- Begin function _ZN5aiter35fused_qk_rmsnorm_group_quant_kernelItDB8_Li128ELi16ELi4ELb1ELb0ELb0ELb0ELb0ELb0EEEvPT0_PvPT_S6_S6_PKS5_S8_S8_S8_S8_ffiiiiiiiiiiiii
	.globl	_ZN5aiter35fused_qk_rmsnorm_group_quant_kernelItDB8_Li128ELi16ELi4ELb1ELb0ELb0ELb0ELb0ELb0EEEvPT0_PvPT_S6_S6_PKS5_S8_S8_S8_S8_ffiiiiiiiiiiiii
	.p2align	8
	.type	_ZN5aiter35fused_qk_rmsnorm_group_quant_kernelItDB8_Li128ELi16ELi4ELb1ELb0ELb0ELb0ELb0ELb0EEEvPT0_PvPT_S6_S6_PKS5_S8_S8_S8_S8_ffiiiiiiiiiiiii,@function
_ZN5aiter35fused_qk_rmsnorm_group_quant_kernelItDB8_Li128ELi16ELi4ELb1ELb0ELb0ELb0ELb0ELb0EEEvPT0_PvPT_S6_S6_PKS5_S8_S8_S8_S8_ffiiiiiiiiiiiii: ; @_ZN5aiter35fused_qk_rmsnorm_group_quant_kernelItDB8_Li128ELi16ELi4ELb1ELb0ELb0ELb0ELb0ELb0EEEvPT0_PvPT_S6_S6_PKS5_S8_S8_S8_S8_ffiiiiiiiiiiiii
; %bb.0:
	s_load_dwordx8 s[12:19], s[4:5], 0x50
	s_waitcnt lgkmcnt(0)
	s_cmp_ge_i32 s6, s14
	s_cbranch_scc1 .LBB678_17
; %bb.1:
	s_cmp_lg_u32 s7, 0
	s_cselect_b64 s[10:11], -1, 0
	s_cmp_eq_u32 s7, 0
	s_cselect_b64 s[8:9], -1, 0
	s_and_b64 s[0:1], s[8:9], exec
	s_load_dwordx2 s[20:21], s[4:5], 0x48
	s_load_dwordx2 s[36:37], s[4:5], 0x30
	s_load_dwordx4 s[24:27], s[4:5], 0x70
	s_cselect_b32 s7, s15, s16
	s_add_i32 s0, s7, 1
	s_lshr_b32 s1, s0, 31
	s_add_i32 s0, s0, s1
	s_lshl_b32 s0, s0, 1
	v_lshlrev_b32_e32 v1, 4, v0
	s_and_b32 s30, s0, -4
	v_cmp_gt_i32_e64 s[0:1], s7, v1
	v_mov_b32_e32 v82, 0
	v_mov_b32_e32 v83, 0
	;; [unrolled: 1-line block ×16, first 2 shown]
	s_and_saveexec_b64 s[2:3], s[0:1]
	s_cbranch_execz .LBB678_3
; %bb.2:
	s_load_dwordx2 s[22:23], s[4:5], 0x28
	s_load_dwordx2 s[28:29], s[4:5], 0x40
	s_and_b64 s[34:35], s[8:9], exec
	s_cselect_b32 s14, s17, s18
	s_mov_b32 s31, 0x20000
	s_waitcnt lgkmcnt(0)
	s_cselect_b32 s17, s23, s37
	s_cselect_b32 s27, s22, s36
	s_mul_hi_i32 s23, s14, s6
	s_mul_i32 s22, s14, s6
	s_lshl_b64 s[22:23], s[22:23], 1
	s_add_u32 s40, s27, s22
	s_addc_u32 s14, s17, s23
	s_and_b64 s[22:23], s[8:9], exec
	s_cselect_b32 s28, s28, s20
	s_cselect_b32 s17, s29, s21
	s_and_b32 s41, s14, 0xffff
	s_mov_b32 s42, s30
	s_mov_b32 s43, s31
	v_lshlrev_b32_e32 v2, 5, v0
	s_and_b32 s29, s17, 0xffff
	buffer_load_dwordx4 v[86:89], v2, s[40:43], 0 offen
	buffer_load_dwordx4 v[90:93], v2, s[40:43], 16 offen
	;; [unrolled: 1-line block ×4, first 2 shown]
.LBB678_3:
	s_or_b64 exec, exec, s[2:3]
	s_load_dwordx2 s[34:35], s[4:5], 0x80
	s_and_b64 vcc, exec, s[10:11]
	s_cbranch_vccz .LBB678_7
; %bb.4:
	v_mov_b32_e32 v95, 0
	v_mov_b32_e32 v94, 0
	;; [unrolled: 1-line block ×16, first 2 shown]
	s_and_saveexec_b64 s[2:3], s[0:1]
	s_cbranch_execz .LBB678_6
; %bb.5:
	s_waitcnt vmcnt(3)
	v_cvt_f32_u32_sdwa v62, v86 dst_sel:DWORD dst_unused:UNUSED_PAD src0_sel:WORD_0
	v_cvt_f32_u32_sdwa v63, v86 dst_sel:DWORD dst_unused:UNUSED_PAD src0_sel:WORD_1
	v_cvt_f32_u32_sdwa v24, v87 dst_sel:DWORD dst_unused:UNUSED_PAD src0_sel:WORD_0
	v_cvt_f32_u32_sdwa v25, v87 dst_sel:DWORD dst_unused:UNUSED_PAD src0_sel:WORD_1
	;; [unrolled: 2-line block ×4, first 2 shown]
	s_waitcnt vmcnt(2)
	v_cvt_f32_u32_sdwa v42, v90 dst_sel:DWORD dst_unused:UNUSED_PAD src0_sel:WORD_0
	v_cvt_f32_u32_sdwa v43, v90 dst_sel:DWORD dst_unused:UNUSED_PAD src0_sel:WORD_1
	v_cvt_f32_u32_sdwa v18, v91 dst_sel:DWORD dst_unused:UNUSED_PAD src0_sel:WORD_0
	v_cvt_f32_u32_sdwa v19, v91 dst_sel:DWORD dst_unused:UNUSED_PAD src0_sel:WORD_1
	;; [unrolled: 2-line block ×4, first 2 shown]
.LBB678_6:
	s_or_b64 exec, exec, s[2:3]
	s_cbranch_execz .LBB678_8
	s_branch .LBB678_11
.LBB678_7:
                                        ; implicit-def: $vgpr22_vgpr23_vgpr24_vgpr25_vgpr26_vgpr27_vgpr28_vgpr29_vgpr30_vgpr31_vgpr32_vgpr33_vgpr34_vgpr35_vgpr36_vgpr37
                                        ; implicit-def: $vgpr46_vgpr47_vgpr48_vgpr49_vgpr50_vgpr51_vgpr52_vgpr53_vgpr54_vgpr55_vgpr56_vgpr57_vgpr58_vgpr59_vgpr60_vgpr61
                                        ; implicit-def: $vgpr26_vgpr27_vgpr28_vgpr29_vgpr30_vgpr31_vgpr32_vgpr33_vgpr34_vgpr35_vgpr36_vgpr37_vgpr38_vgpr39_vgpr40_vgpr41
                                        ; implicit-def: $vgpr8_vgpr9_vgpr10_vgpr11_vgpr12_vgpr13_vgpr14_vgpr15_vgpr16_vgpr17_vgpr18_vgpr19_vgpr20_vgpr21_vgpr22_vgpr23
                                        ; implicit-def: $vgpr95
                                        ; implicit-def: $vgpr62_vgpr63_vgpr64_vgpr65_vgpr66_vgpr67_vgpr68_vgpr69_vgpr70_vgpr71_vgpr72_vgpr73_vgpr74_vgpr75_vgpr76_vgpr77
                                        ; implicit-def: $vgpr34_vgpr35_vgpr36_vgpr37_vgpr38_vgpr39_vgpr40_vgpr41_vgpr42_vgpr43_vgpr44_vgpr45_vgpr46_vgpr47_vgpr48_vgpr49
                                        ; implicit-def: $vgpr2_vgpr3_vgpr4_vgpr5_vgpr6_vgpr7_vgpr8_vgpr9_vgpr10_vgpr11_vgpr12_vgpr13_vgpr14_vgpr15_vgpr16_vgpr17
.LBB678_8:
	v_mov_b32_e32 v95, 0
	v_mov_b32_e32 v94, 0
	;; [unrolled: 1-line block ×16, first 2 shown]
	s_and_saveexec_b64 s[2:3], s[0:1]
	s_cbranch_execz .LBB678_10
; %bb.9:
	s_load_dwordx2 s[22:23], s[4:5], 0x38
	s_mul_hi_i32 s29, s19, s6
	s_mul_i32 s28, s19, s6
	s_lshl_b64 s[28:29], s[28:29], 1
	s_mov_b32 s31, 0x20000
	s_waitcnt lgkmcnt(0)
	s_add_u32 s28, s22, s28
	s_addc_u32 s14, s23, s29
	s_and_b32 s29, s14, 0xffff
	v_lshlrev_b32_e32 v38, 5, v0
	buffer_load_dwordx4 v[4:7], v38, s[28:31], 16 offen
	buffer_load_dwordx4 v[8:11], v38, s[28:31], 0 offen
	s_load_dwordx2 s[22:23], s[4:5], 0x20
	s_waitcnt vmcnt(5)
	v_cvt_f32_u32_sdwa v19, v86 dst_sel:DWORD dst_unused:UNUSED_PAD src0_sel:WORD_1
	v_cvt_f32_u32_sdwa v18, v86 dst_sel:DWORD dst_unused:UNUSED_PAD src0_sel:WORD_0
	v_cvt_f32_u32_sdwa v21, v87 dst_sel:DWORD dst_unused:UNUSED_PAD src0_sel:WORD_1
	v_cvt_f32_u32_sdwa v20, v87 dst_sel:DWORD dst_unused:UNUSED_PAD src0_sel:WORD_0
	v_cvt_f32_u32_sdwa v23, v88 dst_sel:DWORD dst_unused:UNUSED_PAD src0_sel:WORD_1
	v_cvt_f32_u32_sdwa v22, v88 dst_sel:DWORD dst_unused:UNUSED_PAD src0_sel:WORD_0
	v_cvt_f32_u32_sdwa v25, v89 dst_sel:DWORD dst_unused:UNUSED_PAD src0_sel:WORD_1
	v_cvt_f32_u32_sdwa v24, v89 dst_sel:DWORD dst_unused:UNUSED_PAD src0_sel:WORD_0
	s_waitcnt vmcnt(4)
	v_cvt_f32_u32_sdwa v3, v90 dst_sel:DWORD dst_unused:UNUSED_PAD src0_sel:WORD_1
	v_cvt_f32_u32_sdwa v2, v90 dst_sel:DWORD dst_unused:UNUSED_PAD src0_sel:WORD_0
	v_cvt_f32_u32_sdwa v13, v91 dst_sel:DWORD dst_unused:UNUSED_PAD src0_sel:WORD_1
	v_cvt_f32_u32_sdwa v12, v91 dst_sel:DWORD dst_unused:UNUSED_PAD src0_sel:WORD_0
	;; [unrolled: 2-line block ×3, first 2 shown]
	v_cvt_f32_u32_sdwa v16, v93 dst_sel:DWORD dst_unused:UNUSED_PAD src0_sel:WORD_0
	v_cvt_f32_u32_sdwa v17, v93 dst_sel:DWORD dst_unused:UNUSED_PAD src0_sel:WORD_1
	s_mul_hi_i32 s29, s35, s6
	s_mul_i32 s28, s35, s6
	s_lshl_b64 s[28:29], s[28:29], 1
	s_waitcnt lgkmcnt(0)
	s_add_u32 s28, s22, s28
	s_mov_b32 s14, 0x7060302
	s_addc_u32 s17, s23, s29
	s_and_b32 s29, s17, 0xffff
	s_waitcnt vmcnt(1)
	v_cvt_f32_u32_sdwa v27, v4 dst_sel:DWORD dst_unused:UNUSED_PAD src0_sel:WORD_1
	v_cvt_f32_u32_sdwa v26, v4 dst_sel:DWORD dst_unused:UNUSED_PAD src0_sel:WORD_0
	v_cvt_f32_u32_sdwa v29, v5 dst_sel:DWORD dst_unused:UNUSED_PAD src0_sel:WORD_1
	v_cvt_f32_u32_sdwa v28, v5 dst_sel:DWORD dst_unused:UNUSED_PAD src0_sel:WORD_0
	;; [unrolled: 2-line block ×3, first 2 shown]
	v_cvt_f32_u32_sdwa v34, v7 dst_sel:DWORD dst_unused:UNUSED_PAD src0_sel:WORD_0
	v_cvt_f32_u32_sdwa v35, v7 dst_sel:DWORD dst_unused:UNUSED_PAD src0_sel:WORD_1
	s_waitcnt vmcnt(0)
	v_cvt_f32_u32_sdwa v37, v8 dst_sel:DWORD dst_unused:UNUSED_PAD src0_sel:WORD_1
	v_cvt_f32_u32_sdwa v36, v8 dst_sel:DWORD dst_unused:UNUSED_PAD src0_sel:WORD_0
	v_cvt_f32_u32_sdwa v5, v10 dst_sel:DWORD dst_unused:UNUSED_PAD src0_sel:WORD_1
	v_cvt_f32_u32_sdwa v4, v10 dst_sel:DWORD dst_unused:UNUSED_PAD src0_sel:WORD_0
	;; [unrolled: 2-line block ×4, first 2 shown]
	v_pk_add_f32 v[50:51], v[22:23], v[4:5]
	v_pk_add_f32 v[32:33], v[24:25], v[6:7]
	;; [unrolled: 1-line block ×4, first 2 shown]
	v_perm_b32 v7, v33, v32, s14
	v_perm_b32 v6, v51, v50, s14
	;; [unrolled: 1-line block ×4, first 2 shown]
	v_pk_add_f32 v[94:95], v[16:17], v[34:35]
	v_pk_add_f32 v[14:15], v[14:15], v[30:31]
	;; [unrolled: 1-line block ×4, first 2 shown]
	buffer_store_dwordx4 v[4:7], v38, s[28:31], 0 offen
	;;#ASMSTART
	s_nop 0
	;;#ASMEND
	s_nop 0
	v_perm_b32 v7, v95, v94, s14
	v_perm_b32 v6, v15, v14, s14
	v_perm_b32 v5, v19, v18, s14
	v_perm_b32 v4, v43, v42, s14
	buffer_store_dwordx4 v[4:7], v38, s[28:31], 16 offen
	;;#ASMSTART
	s_nop 0
	;;#ASMEND
.LBB678_10:
	s_or_b64 exec, exec, s[2:3]
.LBB678_11:
	v_mul_f32_e32 v2, v63, v63
	v_fmac_f32_e32 v2, v62, v62
	v_fmac_f32_e32 v2, v24, v24
	;; [unrolled: 1-line block ×15, first 2 shown]
	s_nop 1
	v_mov_b32_dpp v3, v2 quad_perm:[1,0,3,2] row_mask:0xf bank_mask:0xf
	v_add_f32_e32 v2, v2, v3
	s_nop 1
	v_mov_b32_dpp v3, v2 quad_perm:[2,3,0,1] row_mask:0xf bank_mask:0xf
	v_add_f32_e32 v2, v2, v3
	s_nop 1
	v_mov_b32_dpp v3, v2 row_half_mirror row_mask:0xf bank_mask:0xf
	v_add_f32_e32 v2, v2, v3
	s_nop 1
	v_mov_b32_dpp v3, v2 row_mirror row_mask:0xf bank_mask:0xf
	v_add_f32_e32 v2, v2, v3
	s_nop 1
	v_mov_b32_dpp v3, v2 row_bcast:15 row_mask:0xf bank_mask:0xf
	v_add_f32_e32 v2, v2, v3
	v_and_b32_e32 v3, 63, v0
	v_cmp_eq_u32_e64 s[2:3], 63, v3
	s_nop 0
	v_mov_b32_dpp v3, v2 row_bcast:31 row_mask:0xf bank_mask:0xf
	s_and_saveexec_b64 s[22:23], s[2:3]
	s_cbranch_execz .LBB678_13
; %bb.12:
	v_add_f32_e32 v2, v2, v3
	v_lshrrev_b32_e32 v3, 4, v0
	v_and_b32_e32 v3, 60, v3
	ds_write_b32 v3, v2 offset:8
.LBB678_13:
	s_or_b64 exec, exec, s[22:23]
	v_and_b32_e32 v2, 1, v0
	v_lshlrev_b32_e32 v34, 2, v2
	s_waitcnt lgkmcnt(0)
	s_barrier
	ds_read_b32 v2, v34 offset:8
	s_load_dwordx2 s[38:39], s[4:5], 0x18
	s_waitcnt lgkmcnt(0)
	v_mov_b32_dpp v3, v2 quad_perm:[1,0,3,2] row_mask:0xf bank_mask:0xf
	s_and_saveexec_b64 s[22:23], s[0:1]
	s_cbranch_execnz .LBB678_18
; %bb.14:
	s_or_b64 exec, exec, s[22:23]
	s_mov_b64 s[8:9], -1
	s_and_b64 vcc, exec, s[10:11]
	s_cbranch_vccnz .LBB678_19
.LBB678_15:
	s_andn2_b64 vcc, exec, s[8:9]
	s_cbranch_vccz .LBB678_22
.LBB678_16:
	s_cmp_lt_i32 s16, 1
	s_cbranch_scc0 .LBB678_29
.LBB678_17:
	s_endpgm
.LBB678_18:
	v_add_f32_e32 v2, v2, v3
	v_cvt_f32_u32_e32 v3, s7
	s_mov_b32 s7, 0x800000
	s_waitcnt vmcnt(1)
	v_cvt_f32_u32_sdwa v21, v83 dst_sel:DWORD dst_unused:UNUSED_PAD src0_sel:WORD_1
	v_cvt_f32_u32_sdwa v20, v83 dst_sel:DWORD dst_unused:UNUSED_PAD src0_sel:WORD_0
	v_div_scale_f32 v4, s[28:29], v3, v3, v2
	v_rcp_f32_e32 v5, v4
	s_waitcnt vmcnt(0)
	v_cvt_f32_u32_sdwa v23, v80 dst_sel:DWORD dst_unused:UNUSED_PAD src0_sel:WORD_1
	v_cvt_f32_u32_sdwa v22, v80 dst_sel:DWORD dst_unused:UNUSED_PAD src0_sel:WORD_0
	v_cvt_f32_u32_sdwa v27, v81 dst_sel:DWORD dst_unused:UNUSED_PAD src0_sel:WORD_1
	v_fma_f32 v6, -v4, v5, 1.0
	v_fmac_f32_e32 v5, v6, v5
	v_div_scale_f32 v6, vcc, v2, v3, v2
	v_mul_f32_e32 v7, v6, v5
	v_fma_f32 v8, -v4, v7, v6
	v_fmac_f32_e32 v7, v8, v5
	v_fma_f32 v4, -v4, v7, v6
	v_div_fmas_f32 v4, v4, v5, v7
	v_div_fixup_f32 v2, v4, v3, v2
	v_mov_b32_e32 v3, s13
	v_mov_b32_e32 v4, s12
	v_cndmask_b32_e64 v3, v3, v4, s[8:9]
	v_add_f32_e32 v2, v3, v2
	v_mul_f32_e32 v3, 0x4b800000, v2
	v_cmp_gt_f32_e32 vcc, s7, v2
	v_cndmask_b32_e32 v2, v2, v3, vcc
	v_rsq_f32_e32 v2, v2
	v_cvt_f32_u32_sdwa v26, v81 dst_sel:DWORD dst_unused:UNUSED_PAD src0_sel:WORD_0
	v_mul_f32_e32 v3, 0x45800000, v2
	v_cndmask_b32_e32 v2, v2, v3, vcc
	v_mov_b32_e32 v3, v2
	;;#ASMSTART
	v_pk_mul_f32 v[4:5], v[62:63], v[2:3]
	;;#ASMEND
	;;#ASMSTART
	v_pk_mul_f32 v[6:7], v[24:25], v[2:3]
	;;#ASMEND
	;; [unrolled: 3-line block ×6, first 2 shown]
	v_cvt_f32_u32_sdwa v19, v82 dst_sel:DWORD dst_unused:UNUSED_PAD src0_sel:WORD_1
	v_cvt_f32_u32_sdwa v18, v82 dst_sel:DWORD dst_unused:UNUSED_PAD src0_sel:WORD_0
	;;#ASMSTART
	v_pk_mul_f32 v[14:15], v[14:15], v[2:3]
	;;#ASMEND
	;;#ASMSTART
	v_pk_mul_f32 v[2:3], v[94:95], v[2:3]
	;;#ASMEND
	;; [unrolled: 3-line block ×3, first 2 shown]
	v_cvt_f32_u32_sdwa v19, v78 dst_sel:DWORD dst_unused:UNUSED_PAD src0_sel:WORD_1
	v_cvt_f32_u32_sdwa v18, v78 dst_sel:DWORD dst_unused:UNUSED_PAD src0_sel:WORD_0
	;;#ASMSTART
	v_pk_mul_f32 v[24:25], v[6:7], v[20:21]
	;;#ASMEND
	v_cvt_f32_u32_sdwa v5, v84 dst_sel:DWORD dst_unused:UNUSED_PAD src0_sel:WORD_1
	v_cvt_f32_u32_sdwa v4, v84 dst_sel:DWORD dst_unused:UNUSED_PAD src0_sel:WORD_0
	v_cvt_f32_u32_sdwa v7, v85 dst_sel:DWORD dst_unused:UNUSED_PAD src0_sel:WORD_1
	v_cvt_f32_u32_sdwa v6, v85 dst_sel:DWORD dst_unused:UNUSED_PAD src0_sel:WORD_0
	;; [unrolled: 2-line block ×3, first 2 shown]
	;;#ASMSTART
	v_pk_mul_f32 v[50:51], v[8:9], v[4:5]
	;;#ASMEND
	;;#ASMSTART
	v_pk_mul_f32 v[32:33], v[10:11], v[6:7]
	;;#ASMEND
	;; [unrolled: 3-line block ×6, first 2 shown]
	s_or_b64 exec, exec, s[22:23]
	s_mov_b64 s[8:9], -1
	s_and_b64 vcc, exec, s[10:11]
	s_cbranch_vccz .LBB678_15
.LBB678_19:
	s_and_saveexec_b64 s[8:9], s[0:1]
	s_cbranch_execz .LBB678_21
; %bb.20:
	s_mul_hi_i32 s11, s34, s6
	s_mul_i32 s10, s34, s6
	s_lshl_b64 s[10:11], s[10:11], 1
	s_add_u32 s28, s38, s10
	s_addc_u32 s7, s39, s11
	s_and_b32 s29, s7, 0xffff
	s_mov_b32 s7, 0x7060302
	s_mov_b32 s31, 0x20000
	v_perm_b32 v5, v33, v32, s7
	v_perm_b32 v4, v51, v50, s7
	v_perm_b32 v3, v25, v24, s7
	v_perm_b32 v2, v63, v62, s7
	v_lshlrev_b32_e32 v6, 5, v0
	buffer_store_dwordx4 v[2:5], v6, s[28:31], 0 offen
	;;#ASMSTART
	s_nop 0
	;;#ASMEND
	s_nop 0
	v_perm_b32 v5, v95, v94, s7
	v_perm_b32 v4, v15, v14, s7
	;; [unrolled: 1-line block ×4, first 2 shown]
	buffer_store_dwordx4 v[2:5], v6, s[28:31], 16 offen
	;;#ASMSTART
	s_nop 0
	;;#ASMEND
.LBB678_21:
	s_or_b64 exec, exec, s[8:9]
	s_cbranch_execnz .LBB678_16
.LBB678_22:
	v_mov_b32_e32 v2, 0
	s_and_saveexec_b64 s[8:9], s[0:1]
	s_cbranch_execz .LBB678_24
; %bb.23:
	v_and_b32_e32 v2, 0x7fffffff, v62
	v_and_b32_e32 v3, 0x7fffffff, v63
	v_mov_b32_e32 v4, 0x2edbe6ff
	;;#ASMSTART
	v_max3_f32 v2, v4, v2, v3

	;;#ASMEND
	v_and_b32_e32 v3, 0x7fffffff, v24
	v_and_b32_e32 v4, 0x7fffffff, v25
	;;#ASMSTART
	v_max3_f32 v2, v2, v3, v4

	;;#ASMEND
	v_and_b32_e32 v3, 0x7fffffff, v50
	v_and_b32_e32 v4, 0x7fffffff, v51
	;; [unrolled: 6-line block ×7, first 2 shown]
	;;#ASMSTART
	v_max3_f32 v2, v2, v3, v4

	;;#ASMEND
.LBB678_24:
	s_or_b64 exec, exec, s[8:9]
	;;#ASMSTART
	v_max_f32 v3, v2, v2 quad_perm:[1,0,3,2] row_mask:0xf bank_mask:0xf bound_ctrl:1
	;;#ASMEND
	;;#ASMSTART
	v_max_f32 v2, v3, v3 quad_perm:[2,3,0,1] row_mask:0xf bank_mask:0xf bound_ctrl:1
	;;#ASMEND
	v_and_b32_e32 v3, 3, v0
	v_cmp_eq_u32_e32 vcc, 0, v3
	v_cmp_gt_i32_e64 s[8:9], s15, v1
	v_mul_f32_e32 v2, 0x3b124925, v2
	s_and_b64 s[10:11], vcc, s[8:9]
	s_and_saveexec_b64 s[8:9], s[10:11]
	s_cbranch_execz .LBB678_26
; %bb.25:
	s_load_dwordx2 s[10:11], s[4:5], 0x8
	s_mul_hi_i32 s23, s25, s6
	s_mul_i32 s22, s25, s6
	v_lshrrev_b32_e32 v3, 2, v0
	s_lshl_b64 s[22:23], s[22:23], 2
	v_mad_i64_i32 v[4:5], s[26:27], s26, v3, 0
	s_waitcnt lgkmcnt(0)
	s_add_u32 s7, s10, s22
	s_addc_u32 s10, s11, s23
	v_lshlrev_b64 v[4:5], 2, v[4:5]
	v_mov_b32_e32 v3, s10
	v_add_co_u32_e32 v4, vcc, s7, v4
	v_addc_co_u32_e32 v5, vcc, v3, v5, vcc
	global_store_dword v[4:5], v2, off
.LBB678_26:
	s_or_b64 exec, exec, s[8:9]
	;;#ASMSTART
	v_rcp_f32 v2, v2
	;;#ASMEND
	s_and_saveexec_b64 s[22:23], s[0:1]
	s_cbranch_execz .LBB678_28
; %bb.27:
	v_mov_b32_e32 v3, v2
	;;#ASMSTART
	v_pk_mul_f32 v[4:5], v[62:63], v[2:3]
	;;#ASMEND
	v_mov_b32_e32 v10, 0xc3e00000
	v_mov_b32_e32 v11, 0x43e00000
	;;#ASMSTART
	v_med3_f32 v4, v4, v10, v11
v_med3_f32 v5, v5, v10, v11
v_cvt_pk_fp8_f32 v6, v4, v5
	;;#ASMEND
	;;#ASMSTART
	v_pk_mul_f32 v[4:5], v[24:25], v[2:3]
	;;#ASMEND
	;;#ASMSTART
	v_med3_f32 v4, v4, v10, v11
v_med3_f32 v5, v5, v10, v11
v_cvt_pk_fp8_f32 v7, v4, v5
	;;#ASMEND
	;;#ASMSTART
	v_pk_mul_f32 v[4:5], v[50:51], v[2:3]
	;;#ASMEND
	;; [unrolled: 8-line block ×3, first 2 shown]
	;;#ASMSTART
	v_med3_f32 v4, v4, v10, v11
v_med3_f32 v5, v5, v10, v11
v_cvt_pk_fp8_f32 v9, v4, v5
	;;#ASMEND
	s_mov_b32 s0, 0x5040100
	v_perm_b32 v4, v7, v6, s0
	s_mov_b32 s0, 0x1060504
	v_perm_b32 v4, v4, v7, s0
	s_load_dwordx2 s[0:1], s[4:5], 0x0
	s_mov_b32 s7, 0x1000504
	;;#ASMSTART
	v_pk_mul_f32 v[6:7], v[42:43], v[2:3]
	;;#ASMEND
	v_perm_b32 v5, v8, v9, s7
	s_mul_i32 s8, s24, s6
	;;#ASMSTART
	v_med3_f32 v6, v6, v10, v11
v_med3_f32 v7, v7, v10, v11
v_cvt_pk_fp8_f32 v8, v6, v7
	;;#ASMEND
	s_mul_hi_i32 s9, s24, s6
	s_waitcnt lgkmcnt(0)
	s_add_u32 s8, s0, s8
	;;#ASMSTART
	v_pk_mul_f32 v[6:7], v[18:19], v[2:3]
	;;#ASMEND
	s_addc_u32 s0, s1, s9
	s_add_i32 s1, s15, 3
	;;#ASMSTART
	v_med3_f32 v6, v6, v10, v11
v_med3_f32 v7, v7, v10, v11
v_cvt_pk_fp8_f32 v9, v6, v7
	;;#ASMEND
	s_ashr_i32 s9, s1, 31
	v_perm_b32 v6, v8, v9, s7
	;;#ASMSTART
	v_pk_mul_f32 v[8:9], v[14:15], v[2:3]
	;;#ASMEND
	v_mov_b32_e32 v7, v9
	s_lshr_b32 s9, s9, 30
	;;#ASMSTART
	v_med3_f32 v8, v8, v10, v11
v_med3_f32 v7, v7, v10, v11
v_cvt_pk_fp8_f32 v9, v8, v7
	;;#ASMEND
	;;#ASMSTART
	v_pk_mul_f32 v[2:3], v[94:95], v[2:3]
	;;#ASMEND
	s_add_i32 s1, s1, s9
	;;#ASMSTART
	v_med3_f32 v2, v2, v10, v11
v_med3_f32 v3, v3, v10, v11
v_cvt_pk_fp8_f32 v7, v2, v3
	;;#ASMEND
	s_and_b32 s10, s1, -4
	s_and_b32 s9, s0, 0xffff
	s_mov_b32 s11, 0x20000
	v_perm_b32 v7, v9, v7, s7
	buffer_store_dwordx4 v[4:7], v1, s[8:11], 0 offen
	;;#ASMSTART
	s_nop 0
	;;#ASMEND
.LBB678_28:
	s_or_b64 exec, exec, s[22:23]
	s_cmp_lt_i32 s16, 1
	s_cbranch_scc1 .LBB678_17
.LBB678_29:
	s_load_dword s0, s[4:5], 0x94
	s_waitcnt lgkmcnt(0)
	s_cmp_lg_u32 s0, 1
	s_cbranch_scc1 .LBB678_17
; %bb.30:
	s_lshl_b32 s0, s16, 1
	s_add_i32 s0, s0, 2
	v_cmp_gt_u32_e32 vcc, s16, v1
	s_and_b32 s22, s0, -4
	v_mov_b32_e32 v18, 0
	v_lshlrev_b32_e32 v1, 5, v0
	v_mov_b32_e32 v14, 0
	v_mov_b32_e32 v15, 0
	;; [unrolled: 1-line block ×16, first 2 shown]
	s_barrier
	s_and_saveexec_b64 s[0:1], vcc
	s_cbranch_execz .LBB678_32
; %bb.31:
	s_mul_hi_i32 s5, s18, s6
	s_mul_i32 s4, s18, s6
	s_and_b32 s21, s21, 0xffff
	s_lshl_b64 s[4:5], s[4:5], 1
	s_add_u32 s8, s36, s4
	s_mov_b32 s23, 0x20000
	s_addc_u32 s4, s37, s5
	s_and_b32 s9, s4, 0xffff
	s_mov_b32 s10, s22
	s_mov_b32 s11, s23
	buffer_load_dwordx4 v[14:17], v1, s[8:11], 0 offen
	buffer_load_dwordx4 v[10:13], v1, s[8:11], 16 offen
	;; [unrolled: 1-line block ×4, first 2 shown]
.LBB678_32:
	s_or_b64 exec, exec, s[0:1]
	v_mov_b32_e32 v19, 0
	v_mov_b32_e32 v32, 0
	;; [unrolled: 1-line block ×15, first 2 shown]
	s_and_saveexec_b64 s[0:1], vcc
	s_cbranch_execz .LBB678_34
; %bb.33:
	s_waitcnt vmcnt(3)
	v_cvt_f32_u32_sdwa v18, v14 dst_sel:DWORD dst_unused:UNUSED_PAD src0_sel:WORD_0
	v_cvt_f32_u32_sdwa v19, v14 dst_sel:DWORD dst_unused:UNUSED_PAD src0_sel:WORD_1
	v_cvt_f32_u32_sdwa v32, v15 dst_sel:DWORD dst_unused:UNUSED_PAD src0_sel:WORD_0
	v_cvt_f32_u32_sdwa v33, v15 dst_sel:DWORD dst_unused:UNUSED_PAD src0_sel:WORD_1
	;; [unrolled: 2-line block ×4, first 2 shown]
	s_waitcnt vmcnt(2)
	v_cvt_f32_u32_sdwa v26, v10 dst_sel:DWORD dst_unused:UNUSED_PAD src0_sel:WORD_0
	v_cvt_f32_u32_sdwa v27, v10 dst_sel:DWORD dst_unused:UNUSED_PAD src0_sel:WORD_1
	v_cvt_f32_u32_sdwa v24, v11 dst_sel:DWORD dst_unused:UNUSED_PAD src0_sel:WORD_0
	v_cvt_f32_u32_sdwa v25, v11 dst_sel:DWORD dst_unused:UNUSED_PAD src0_sel:WORD_1
	;; [unrolled: 2-line block ×4, first 2 shown]
.LBB678_34:
	s_or_b64 exec, exec, s[0:1]
	s_waitcnt vmcnt(2)
	v_mul_f32_e32 v10, v19, v19
	v_fmac_f32_e32 v10, v18, v18
	v_fmac_f32_e32 v10, v32, v32
	;; [unrolled: 1-line block ×15, first 2 shown]
	s_nop 1
	v_mov_b32_dpp v11, v10 quad_perm:[1,0,3,2] row_mask:0xf bank_mask:0xf
	v_add_f32_e32 v10, v10, v11
	s_nop 1
	v_mov_b32_dpp v11, v10 quad_perm:[2,3,0,1] row_mask:0xf bank_mask:0xf
	v_add_f32_e32 v10, v10, v11
	s_nop 1
	v_mov_b32_dpp v11, v10 row_half_mirror row_mask:0xf bank_mask:0xf
	v_add_f32_e32 v10, v10, v11
	s_nop 1
	v_mov_b32_dpp v11, v10 row_mirror row_mask:0xf bank_mask:0xf
	v_add_f32_e32 v10, v10, v11
	s_nop 1
	v_mov_b32_dpp v11, v10 row_bcast:15 row_mask:0xf bank_mask:0xf
	v_add_f32_e32 v10, v10, v11
	s_nop 1
	v_mov_b32_dpp v11, v10 row_bcast:31 row_mask:0xf bank_mask:0xf
	s_and_saveexec_b64 s[0:1], s[2:3]
	s_cbranch_execz .LBB678_36
; %bb.35:
	v_lshrrev_b32_e32 v0, 4, v0
	v_add_f32_e32 v10, v10, v11
	v_and_b32_e32 v0, 60, v0
	ds_write_b32 v0, v10
.LBB678_36:
	s_or_b64 exec, exec, s[0:1]
	s_waitcnt lgkmcnt(0)
	s_barrier
	ds_read_b32 v0, v34
	s_waitcnt lgkmcnt(0)
	s_nop 0
	v_mov_b32_dpp v10, v0 quad_perm:[1,0,3,2] row_mask:0xf bank_mask:0xf
	s_and_saveexec_b64 s[0:1], vcc
	s_cbranch_execz .LBB678_17
; %bb.37:
	v_cvt_f32_u32_e32 v11, s16
	v_add_f32_e32 v0, v0, v10
	s_mov_b32 s23, 0x20000
	v_div_scale_f32 v10, s[0:1], v11, v11, v0
	v_rcp_f32_e32 v12, v10
	v_div_scale_f32 v13, vcc, v0, v11, v0
	s_mov_b32 s0, 0x800000
	v_fma_f32 v14, -v10, v12, 1.0
	v_fmac_f32_e32 v12, v14, v12
	v_mul_f32_e32 v14, v13, v12
	v_fma_f32 v15, -v10, v14, v13
	v_fmac_f32_e32 v14, v15, v12
	v_fma_f32 v10, -v10, v14, v13
	v_div_fmas_f32 v10, v10, v12, v14
	v_div_fixup_f32 v0, v10, v11, v0
	v_add_f32_e32 v0, s13, v0
	v_mul_f32_e32 v10, 0x4b800000, v0
	v_cmp_gt_f32_e32 vcc, s0, v0
	v_cndmask_b32_e32 v0, v0, v10, vcc
	v_rsq_f32_e32 v0, v0
	s_mul_hi_i32 s1, s34, s6
	s_mul_i32 s0, s34, s6
	s_lshl_b64 s[0:1], s[0:1], 1
	v_mul_f32_e32 v10, 0x45800000, v0
	v_cndmask_b32_e32 v10, v0, v10, vcc
	v_mov_b32_e32 v11, v10
	s_add_u32 s20, s38, s0
	;;#ASMSTART
	v_pk_mul_f32 v[12:13], v[18:19], v[10:11]
	;;#ASMEND
	;;#ASMSTART
	v_pk_mul_f32 v[14:15], v[32:33], v[10:11]
	;;#ASMEND
	;; [unrolled: 3-line block ×8, first 2 shown]
	s_waitcnt vmcnt(1)
	v_cvt_f32_u32_sdwa v21, v6 dst_sel:DWORD dst_unused:UNUSED_PAD src0_sel:WORD_1
	v_cvt_f32_u32_sdwa v20, v6 dst_sel:DWORD dst_unused:UNUSED_PAD src0_sel:WORD_0
	v_cvt_f32_u32_sdwa v29, v7 dst_sel:DWORD dst_unused:UNUSED_PAD src0_sel:WORD_1
	v_cvt_f32_u32_sdwa v28, v7 dst_sel:DWORD dst_unused:UNUSED_PAD src0_sel:WORD_0
	;; [unrolled: 2-line block ×3, first 2 shown]
	s_addc_u32 s0, s39, s1
	v_cvt_f32_u32_sdwa v31, v9 dst_sel:DWORD dst_unused:UNUSED_PAD src0_sel:WORD_1
	v_cvt_f32_u32_sdwa v30, v9 dst_sel:DWORD dst_unused:UNUSED_PAD src0_sel:WORD_0
	;;#ASMSTART
	v_pk_mul_f32 v[8:9], v[12:13], v[20:21]
	;;#ASMEND
	;;#ASMSTART
	v_pk_mul_f32 v[12:13], v[14:15], v[28:29]
	;;#ASMEND
	;; [unrolled: 3-line block ×4, first 2 shown]
	s_waitcnt vmcnt(0)
	v_cvt_f32_u32_sdwa v17, v2 dst_sel:DWORD dst_unused:UNUSED_PAD src0_sel:WORD_1
	v_cvt_f32_u32_sdwa v16, v2 dst_sel:DWORD dst_unused:UNUSED_PAD src0_sel:WORD_0
	v_cvt_f32_u32_sdwa v19, v3 dst_sel:DWORD dst_unused:UNUSED_PAD src0_sel:WORD_1
	v_cvt_f32_u32_sdwa v18, v3 dst_sel:DWORD dst_unused:UNUSED_PAD src0_sel:WORD_0
	;; [unrolled: 2-line block ×3, first 2 shown]
	s_and_b32 s21, s0, 0xffff
	s_mov_b32 s0, 0x7060302
	v_cvt_f32_u32_sdwa v21, v5 dst_sel:DWORD dst_unused:UNUSED_PAD src0_sel:WORD_1
	v_cvt_f32_u32_sdwa v20, v5 dst_sel:DWORD dst_unused:UNUSED_PAD src0_sel:WORD_0
	;;#ASMSTART
	v_pk_mul_f32 v[16:17], v[26:27], v[16:17]
	;;#ASMEND
	;;#ASMSTART
	v_pk_mul_f32 v[18:19], v[24:25], v[18:19]
	;;#ASMEND
	;; [unrolled: 3-line block ×3, first 2 shown]
	v_perm_b32 v2, v9, v8, s0
	v_perm_b32 v3, v13, v12, s0
	;; [unrolled: 1-line block ×4, first 2 shown]
	;;#ASMSTART
	v_pk_mul_f32 v[10:11], v[10:11], v[20:21]
	;;#ASMEND
	buffer_store_dwordx4 v[2:5], v1, s[20:23], 0 offen
	;;#ASMSTART
	s_nop 0
	;;#ASMEND
	s_nop 0
	v_perm_b32 v2, v17, v16, s0
	v_perm_b32 v3, v19, v18, s0
	;; [unrolled: 1-line block ×4, first 2 shown]
	buffer_store_dwordx4 v[2:5], v1, s[20:23], 16 offen
	;;#ASMSTART
	s_nop 0
	;;#ASMEND
	s_endpgm
	.section	.rodata,"a",@progbits
	.p2align	6, 0x0
	.amdhsa_kernel _ZN5aiter35fused_qk_rmsnorm_group_quant_kernelItDB8_Li128ELi16ELi4ELb1ELb0ELb0ELb0ELb0ELb0EEEvPT0_PvPT_S6_S6_PKS5_S8_S8_S8_S8_ffiiiiiiiiiiiii
		.amdhsa_group_segment_fixed_size 16
		.amdhsa_private_segment_fixed_size 0
		.amdhsa_kernarg_size 400
		.amdhsa_user_sgpr_count 6
		.amdhsa_user_sgpr_private_segment_buffer 1
		.amdhsa_user_sgpr_dispatch_ptr 0
		.amdhsa_user_sgpr_queue_ptr 0
		.amdhsa_user_sgpr_kernarg_segment_ptr 1
		.amdhsa_user_sgpr_dispatch_id 0
		.amdhsa_user_sgpr_flat_scratch_init 0
		.amdhsa_user_sgpr_kernarg_preload_length 0
		.amdhsa_user_sgpr_kernarg_preload_offset 0
		.amdhsa_user_sgpr_private_segment_size 0
		.amdhsa_uses_dynamic_stack 0
		.amdhsa_system_sgpr_private_segment_wavefront_offset 0
		.amdhsa_system_sgpr_workgroup_id_x 1
		.amdhsa_system_sgpr_workgroup_id_y 1
		.amdhsa_system_sgpr_workgroup_id_z 0
		.amdhsa_system_sgpr_workgroup_info 0
		.amdhsa_system_vgpr_workitem_id 0
		.amdhsa_next_free_vgpr 96
		.amdhsa_next_free_sgpr 44
		.amdhsa_accum_offset 96
		.amdhsa_reserve_vcc 1
		.amdhsa_reserve_flat_scratch 0
		.amdhsa_float_round_mode_32 0
		.amdhsa_float_round_mode_16_64 0
		.amdhsa_float_denorm_mode_32 3
		.amdhsa_float_denorm_mode_16_64 3
		.amdhsa_dx10_clamp 1
		.amdhsa_ieee_mode 1
		.amdhsa_fp16_overflow 0
		.amdhsa_tg_split 0
		.amdhsa_exception_fp_ieee_invalid_op 0
		.amdhsa_exception_fp_denorm_src 0
		.amdhsa_exception_fp_ieee_div_zero 0
		.amdhsa_exception_fp_ieee_overflow 0
		.amdhsa_exception_fp_ieee_underflow 0
		.amdhsa_exception_fp_ieee_inexact 0
		.amdhsa_exception_int_div_zero 0
	.end_amdhsa_kernel
	.section	.text._ZN5aiter35fused_qk_rmsnorm_group_quant_kernelItDB8_Li128ELi16ELi4ELb1ELb0ELb0ELb0ELb0ELb0EEEvPT0_PvPT_S6_S6_PKS5_S8_S8_S8_S8_ffiiiiiiiiiiiii,"axG",@progbits,_ZN5aiter35fused_qk_rmsnorm_group_quant_kernelItDB8_Li128ELi16ELi4ELb1ELb0ELb0ELb0ELb0ELb0EEEvPT0_PvPT_S6_S6_PKS5_S8_S8_S8_S8_ffiiiiiiiiiiiii,comdat
.Lfunc_end678:
	.size	_ZN5aiter35fused_qk_rmsnorm_group_quant_kernelItDB8_Li128ELi16ELi4ELb1ELb0ELb0ELb0ELb0ELb0EEEvPT0_PvPT_S6_S6_PKS5_S8_S8_S8_S8_ffiiiiiiiiiiiii, .Lfunc_end678-_ZN5aiter35fused_qk_rmsnorm_group_quant_kernelItDB8_Li128ELi16ELi4ELb1ELb0ELb0ELb0ELb0ELb0EEEvPT0_PvPT_S6_S6_PKS5_S8_S8_S8_S8_ffiiiiiiiiiiiii
                                        ; -- End function
	.section	.AMDGPU.csdata,"",@progbits
; Kernel info:
; codeLenInByte = 4036
; NumSgprs: 48
; NumVgprs: 96
; NumAgprs: 0
; TotalNumVgprs: 96
; ScratchSize: 0
; MemoryBound: 0
; FloatMode: 240
; IeeeMode: 1
; LDSByteSize: 16 bytes/workgroup (compile time only)
; SGPRBlocks: 5
; VGPRBlocks: 11
; NumSGPRsForWavesPerEU: 48
; NumVGPRsForWavesPerEU: 96
; AccumOffset: 96
; Occupancy: 5
; WaveLimiterHint : 0
; COMPUTE_PGM_RSRC2:SCRATCH_EN: 0
; COMPUTE_PGM_RSRC2:USER_SGPR: 6
; COMPUTE_PGM_RSRC2:TRAP_HANDLER: 0
; COMPUTE_PGM_RSRC2:TGID_X_EN: 1
; COMPUTE_PGM_RSRC2:TGID_Y_EN: 1
; COMPUTE_PGM_RSRC2:TGID_Z_EN: 0
; COMPUTE_PGM_RSRC2:TIDIG_COMP_CNT: 0
; COMPUTE_PGM_RSRC3_GFX90A:ACCUM_OFFSET: 23
; COMPUTE_PGM_RSRC3_GFX90A:TG_SPLIT: 0
	.section	.text._ZN5aiter35fused_qk_rmsnorm_group_quant_kernelIDF16_N4opus5fp4_tELi128ELi16ELi4ELb1ELb0ELb0ELb0ELb0ELb0EEEvPT0_PvPT_S7_S7_PKS6_S9_S9_S9_S9_ffiiiiiiiiiiiii,"axG",@progbits,_ZN5aiter35fused_qk_rmsnorm_group_quant_kernelIDF16_N4opus5fp4_tELi128ELi16ELi4ELb1ELb0ELb0ELb0ELb0ELb0EEEvPT0_PvPT_S7_S7_PKS6_S9_S9_S9_S9_ffiiiiiiiiiiiii,comdat
	.protected	_ZN5aiter35fused_qk_rmsnorm_group_quant_kernelIDF16_N4opus5fp4_tELi128ELi16ELi4ELb1ELb0ELb0ELb0ELb0ELb0EEEvPT0_PvPT_S7_S7_PKS6_S9_S9_S9_S9_ffiiiiiiiiiiiii ; -- Begin function _ZN5aiter35fused_qk_rmsnorm_group_quant_kernelIDF16_N4opus5fp4_tELi128ELi16ELi4ELb1ELb0ELb0ELb0ELb0ELb0EEEvPT0_PvPT_S7_S7_PKS6_S9_S9_S9_S9_ffiiiiiiiiiiiii
	.globl	_ZN5aiter35fused_qk_rmsnorm_group_quant_kernelIDF16_N4opus5fp4_tELi128ELi16ELi4ELb1ELb0ELb0ELb0ELb0ELb0EEEvPT0_PvPT_S7_S7_PKS6_S9_S9_S9_S9_ffiiiiiiiiiiiii
	.p2align	8
	.type	_ZN5aiter35fused_qk_rmsnorm_group_quant_kernelIDF16_N4opus5fp4_tELi128ELi16ELi4ELb1ELb0ELb0ELb0ELb0ELb0EEEvPT0_PvPT_S7_S7_PKS6_S9_S9_S9_S9_ffiiiiiiiiiiiii,@function
_ZN5aiter35fused_qk_rmsnorm_group_quant_kernelIDF16_N4opus5fp4_tELi128ELi16ELi4ELb1ELb0ELb0ELb0ELb0ELb0EEEvPT0_PvPT_S7_S7_PKS6_S9_S9_S9_S9_ffiiiiiiiiiiiii: ; @_ZN5aiter35fused_qk_rmsnorm_group_quant_kernelIDF16_N4opus5fp4_tELi128ELi16ELi4ELb1ELb0ELb0ELb0ELb0ELb0EEEvPT0_PvPT_S7_S7_PKS6_S9_S9_S9_S9_ffiiiiiiiiiiiii
; %bb.0:
	s_load_dwordx8 s[12:19], s[4:5], 0x50
	s_waitcnt lgkmcnt(0)
	s_cmp_ge_i32 s6, s14
	s_cbranch_scc1 .LBB679_17
; %bb.1:
	s_cmp_lg_u32 s7, 0
	s_cselect_b64 s[22:23], -1, 0
	s_cmp_eq_u32 s7, 0
	s_cselect_b64 s[2:3], -1, 0
	s_and_b64 s[0:1], s[2:3], exec
	s_load_dwordx2 s[20:21], s[4:5], 0x48
	s_load_dwordx2 s[34:35], s[4:5], 0x30
	s_load_dwordx4 s[24:27], s[4:5], 0x70
	s_cselect_b32 s7, s15, s16
	s_add_i32 s0, s7, 1
	s_lshr_b32 s1, s0, 31
	s_add_i32 s0, s0, s1
	s_lshl_b32 s0, s0, 1
	v_lshlrev_b32_e32 v1, 4, v0
	s_and_b32 s30, s0, -4
	v_cmp_gt_i32_e64 s[0:1], s7, v1
	v_mov_b32_e32 v6, 0
	v_mov_b32_e32 v7, 0
	;; [unrolled: 1-line block ×16, first 2 shown]
	s_and_saveexec_b64 s[8:9], s[0:1]
	s_cbranch_execz .LBB679_3
; %bb.2:
	s_load_dwordx2 s[10:11], s[4:5], 0x28
	s_load_dwordx2 s[28:29], s[4:5], 0x40
	s_and_b64 s[36:37], s[2:3], exec
	s_cselect_b32 s14, s17, s18
	s_mov_b32 s31, 0x20000
	s_waitcnt lgkmcnt(0)
	s_cselect_b32 s17, s11, s35
	s_cselect_b32 s27, s10, s34
	s_mul_hi_i32 s11, s14, s6
	s_mul_i32 s10, s14, s6
	s_lshl_b64 s[10:11], s[10:11], 1
	s_add_u32 s36, s27, s10
	s_addc_u32 s14, s17, s11
	s_and_b64 s[10:11], s[2:3], exec
	s_cselect_b32 s28, s28, s20
	s_cselect_b32 s10, s29, s21
	s_and_b32 s37, s14, 0xffff
	s_mov_b32 s38, s30
	s_mov_b32 s39, s31
	v_lshlrev_b32_e32 v18, 5, v0
	s_and_b32 s29, s10, 0xffff
	buffer_load_dwordx4 v[10:13], v18, s[36:39], 0 offen
	buffer_load_dwordx4 v[14:17], v18, s[36:39], 16 offen
	;; [unrolled: 1-line block ×4, first 2 shown]
.LBB679_3:
	s_or_b64 exec, exec, s[8:9]
	s_load_dwordx2 s[10:11], s[4:5], 0x80
	s_and_b64 vcc, exec, s[22:23]
	s_cbranch_vccz .LBB679_7
; %bb.4:
	v_mov_b32_e32 v19, 0
	v_mov_b32_e32 v18, 0
	;; [unrolled: 1-line block ×16, first 2 shown]
	s_and_saveexec_b64 s[8:9], s[0:1]
	s_cbranch_execz .LBB679_6
; %bb.5:
	s_waitcnt vmcnt(3)
	v_cvt_f32_f16_sdwa v33, v10 dst_sel:DWORD dst_unused:UNUSED_PAD src0_sel:WORD_1
	v_cvt_f32_f16_e32 v32, v10
	v_cvt_f32_f16_sdwa v31, v11 dst_sel:DWORD dst_unused:UNUSED_PAD src0_sel:WORD_1
	v_cvt_f32_f16_e32 v30, v11
	;; [unrolled: 2-line block ×4, first 2 shown]
	s_waitcnt vmcnt(2)
	v_cvt_f32_f16_sdwa v27, v14 dst_sel:DWORD dst_unused:UNUSED_PAD src0_sel:WORD_1
	v_cvt_f32_f16_e32 v26, v14
	v_cvt_f32_f16_sdwa v23, v15 dst_sel:DWORD dst_unused:UNUSED_PAD src0_sel:WORD_1
	v_cvt_f32_f16_e32 v22, v15
	;; [unrolled: 2-line block ×4, first 2 shown]
.LBB679_6:
	s_or_b64 exec, exec, s[8:9]
	s_cbranch_execz .LBB679_8
	s_branch .LBB679_11
.LBB679_7:
                                        ; implicit-def: $vgpr19
                                        ; implicit-def: $vgpr21
                                        ; implicit-def: $vgpr23
                                        ; implicit-def: $vgpr27
                                        ; implicit-def: $vgpr25
                                        ; implicit-def: $vgpr29
                                        ; implicit-def: $vgpr31
                                        ; implicit-def: $vgpr33
.LBB679_8:
	v_mov_b32_e32 v19, 0
	v_mov_b32_e32 v18, 0
	;; [unrolled: 1-line block ×16, first 2 shown]
	s_and_saveexec_b64 s[8:9], s[0:1]
	s_cbranch_execz .LBB679_10
; %bb.9:
	s_load_dwordx2 s[28:29], s[4:5], 0x38
	s_mul_hi_i32 s37, s19, s6
	s_mul_i32 s36, s19, s6
	s_lshl_b64 s[36:37], s[36:37], 1
	s_mov_b32 s31, 0x20000
	s_waitcnt lgkmcnt(0)
	s_add_u32 s28, s28, s36
	s_addc_u32 s14, s29, s37
	s_and_b32 s29, s14, 0xffff
	v_lshlrev_b32_e32 v46, 5, v0
	buffer_load_dwordx4 v[18:21], v46, s[28:31], 16 offen
	buffer_load_dwordx4 v[22:25], v46, s[28:31], 0 offen
	s_waitcnt vmcnt(4)
	v_cvt_f32_f16_sdwa v27, v14 dst_sel:DWORD dst_unused:UNUSED_PAD src0_sel:WORD_1
	v_cvt_f32_f16_e32 v26, v14
	v_cvt_f32_f16_sdwa v29, v15 dst_sel:DWORD dst_unused:UNUSED_PAD src0_sel:WORD_1
	v_cvt_f32_f16_e32 v28, v15
	;; [unrolled: 2-line block ×8, first 2 shown]
	s_load_dwordx2 s[28:29], s[4:5], 0x20
	s_mul_hi_i32 s37, s11, s6
	s_mul_i32 s36, s11, s6
	s_lshl_b64 s[36:37], s[36:37], 1
	s_waitcnt lgkmcnt(0)
	s_add_u32 s28, s28, s36
	s_addc_u32 s11, s29, s37
	s_and_b32 s29, s11, 0xffff
	s_waitcnt vmcnt(1)
	v_cvt_f32_f16_e32 v12, v18
	v_cvt_f32_f16_sdwa v13, v18 dst_sel:DWORD dst_unused:UNUSED_PAD src0_sel:WORD_1
	v_cvt_f32_f16_e32 v18, v19
	v_cvt_f32_f16_sdwa v19, v19 dst_sel:DWORD dst_unused:UNUSED_PAD src0_sel:WORD_1
	;; [unrolled: 2-line block ×4, first 2 shown]
	s_waitcnt vmcnt(0)
	v_cvt_f32_f16_e32 v40, v22
	v_cvt_f32_f16_sdwa v41, v22 dst_sel:DWORD dst_unused:UNUSED_PAD src0_sel:WORD_1
	v_cvt_f32_f16_e32 v42, v23
	v_cvt_f32_f16_sdwa v43, v23 dst_sel:DWORD dst_unused:UNUSED_PAD src0_sel:WORD_1
	;; [unrolled: 2-line block ×4, first 2 shown]
	v_pk_add_f32 v[26:27], v[26:27], v[12:13]
	v_pk_add_f32 v[22:23], v[28:29], v[18:19]
	;; [unrolled: 1-line block ×8, first 2 shown]
	v_cvt_f16_f32_e32 v10, v33
	v_cvt_f16_f32_e32 v14, v32
	;; [unrolled: 1-line block ×16, first 2 shown]
	v_pack_b32_f16 v13, v17, v13
	v_pack_b32_f16 v12, v16, v12
	v_pack_b32_f16 v11, v15, v11
	v_pack_b32_f16 v10, v14, v10
	v_pack_b32_f16 v17, v40, v41
	v_pack_b32_f16 v16, v38, v39
	v_pack_b32_f16 v15, v36, v37
	v_pack_b32_f16 v14, v34, v35
	buffer_store_dwordx4 v[10:13], v46, s[28:31], 0 offen
	;;#ASMSTART
	s_nop 0
	;;#ASMEND
	buffer_store_dwordx4 v[14:17], v46, s[28:31], 16 offen
	;;#ASMSTART
	s_nop 0
	;;#ASMEND
.LBB679_10:
	s_or_b64 exec, exec, s[8:9]
.LBB679_11:
	s_waitcnt vmcnt(3)
	v_mul_f32_e32 v10, v33, v33
	v_fmac_f32_e32 v10, v32, v32
	v_fmac_f32_e32 v10, v30, v30
	;; [unrolled: 1-line block ×15, first 2 shown]
	v_and_b32_e32 v12, 63, v0
	v_cmp_eq_u32_e64 s[8:9], 63, v12
	v_mov_b32_dpp v11, v10 quad_perm:[1,0,3,2] row_mask:0xf bank_mask:0xf
	v_add_f32_e32 v10, v10, v11
	s_nop 1
	v_mov_b32_dpp v11, v10 quad_perm:[2,3,0,1] row_mask:0xf bank_mask:0xf
	v_add_f32_e32 v10, v10, v11
	s_nop 1
	v_mov_b32_dpp v11, v10 row_half_mirror row_mask:0xf bank_mask:0xf
	v_add_f32_e32 v10, v10, v11
	s_nop 1
	v_mov_b32_dpp v11, v10 row_mirror row_mask:0xf bank_mask:0xf
	v_add_f32_e32 v10, v10, v11
	s_nop 1
	v_mov_b32_dpp v11, v10 row_bcast:15 row_mask:0xf bank_mask:0xf
	v_add_f32_e32 v10, v10, v11
	s_nop 1
	v_mov_b32_dpp v11, v10 row_bcast:31 row_mask:0xf bank_mask:0xf
	s_and_saveexec_b64 s[28:29], s[8:9]
	s_cbranch_execz .LBB679_13
; %bb.12:
	v_add_f32_e32 v10, v10, v11
	v_lshrrev_b32_e32 v11, 4, v0
	v_and_b32_e32 v11, 60, v11
	ds_write_b32 v11, v10 offset:8
.LBB679_13:
	s_or_b64 exec, exec, s[28:29]
	v_and_b32_e32 v10, 1, v0
	v_lshlrev_b32_e32 v34, 2, v10
	s_waitcnt lgkmcnt(0)
	s_barrier
	ds_read_b32 v10, v34 offset:8
	s_load_dwordx2 s[36:37], s[4:5], 0x18
	s_waitcnt lgkmcnt(0)
	v_mov_b32_dpp v11, v10 quad_perm:[1,0,3,2] row_mask:0xf bank_mask:0xf
	s_and_saveexec_b64 s[28:29], s[0:1]
	s_cbranch_execnz .LBB679_18
; %bb.14:
	s_or_b64 exec, exec, s[28:29]
	s_mov_b64 s[2:3], -1
	s_and_b64 vcc, exec, s[22:23]
	s_cbranch_vccnz .LBB679_19
.LBB679_15:
	s_andn2_b64 vcc, exec, s[2:3]
	s_cbranch_vccz .LBB679_22
.LBB679_16:
	s_cmp_lt_i32 s16, 1
	s_cbranch_scc0 .LBB679_29
.LBB679_17:
	s_endpgm
.LBB679_18:
	v_cvt_f32_u32_e32 v12, s7
	v_add_f32_e32 v10, v10, v11
	s_waitcnt vmcnt(2)
	v_mov_b32_e32 v14, s13
	v_mov_b32_e32 v15, s12
	v_div_scale_f32 v11, s[38:39], v12, v12, v10
	v_rcp_f32_e32 v13, v11
	v_cndmask_b32_e64 v14, v14, v15, s[2:3]
	s_mov_b32 s2, 0x800000
	s_waitcnt vmcnt(1)
	v_cvt_f32_f16_sdwa v37, v9 dst_sel:DWORD dst_unused:UNUSED_PAD src0_sel:WORD_1
	v_fma_f32 v15, -v11, v13, 1.0
	v_fmac_f32_e32 v13, v15, v13
	v_div_scale_f32 v15, vcc, v10, v12, v10
	v_mul_f32_e32 v16, v15, v13
	v_fma_f32 v17, -v11, v16, v15
	v_fmac_f32_e32 v16, v17, v13
	v_fma_f32 v11, -v11, v16, v15
	v_div_fmas_f32 v11, v11, v13, v16
	v_div_fixup_f32 v10, v11, v12, v10
	v_add_f32_e32 v10, v14, v10
	v_mul_f32_e32 v11, 0x4b800000, v10
	v_cmp_gt_f32_e32 vcc, s2, v10
	v_cndmask_b32_e32 v10, v10, v11, vcc
	v_rsq_f32_e32 v10, v10
	v_cvt_f32_f16_e32 v36, v9
	s_waitcnt vmcnt(0)
	v_cvt_f32_f16_sdwa v9, v3 dst_sel:DWORD dst_unused:UNUSED_PAD src0_sel:WORD_1
	v_mul_f32_e32 v11, 0x45800000, v10
	v_cndmask_b32_e32 v10, v10, v11, vcc
	v_mov_b32_e32 v11, v10
	;;#ASMSTART
	v_pk_mul_f32 v[12:13], v[32:33], v[10:11]
	;;#ASMEND
	;;#ASMSTART
	v_pk_mul_f32 v[14:15], v[30:31], v[10:11]
	;;#ASMEND
	;; [unrolled: 3-line block ×8, first 2 shown]
	v_cvt_f32_f16_sdwa v19, v6 dst_sel:DWORD dst_unused:UNUSED_PAD src0_sel:WORD_1
	v_cvt_f32_f16_e32 v18, v6
	v_cvt_f32_f16_sdwa v29, v7 dst_sel:DWORD dst_unused:UNUSED_PAD src0_sel:WORD_1
	v_cvt_f32_f16_e32 v28, v7
	v_cvt_f32_f16_sdwa v7, v8 dst_sel:DWORD dst_unused:UNUSED_PAD src0_sel:WORD_1
	v_cvt_f32_f16_e32 v6, v8
	;;#ASMSTART
	v_pk_mul_f32 v[32:33], v[12:13], v[18:19]
	;;#ASMEND
	;;#ASMSTART
	v_pk_mul_f32 v[30:31], v[14:15], v[28:29]
	;;#ASMEND
	;; [unrolled: 3-line block ×4, first 2 shown]
	v_cvt_f32_f16_sdwa v7, v2 dst_sel:DWORD dst_unused:UNUSED_PAD src0_sel:WORD_1
	v_cvt_f32_f16_e32 v6, v2
	v_cvt_f32_f16_e32 v8, v3
	v_cvt_f32_f16_sdwa v3, v4 dst_sel:DWORD dst_unused:UNUSED_PAD src0_sel:WORD_1
	v_cvt_f32_f16_e32 v2, v4
	v_cvt_f32_f16_sdwa v13, v5 dst_sel:DWORD dst_unused:UNUSED_PAD src0_sel:WORD_1
	v_cvt_f32_f16_e32 v12, v5
	;;#ASMSTART
	v_pk_mul_f32 v[26:27], v[26:27], v[6:7]
	;;#ASMEND
	;;#ASMSTART
	v_pk_mul_f32 v[22:23], v[22:23], v[8:9]
	;;#ASMEND
	;; [unrolled: 3-line block ×4, first 2 shown]
	s_or_b64 exec, exec, s[28:29]
	s_mov_b64 s[2:3], -1
	s_and_b64 vcc, exec, s[22:23]
	s_cbranch_vccz .LBB679_15
.LBB679_19:
	s_and_saveexec_b64 s[2:3], s[0:1]
	s_cbranch_execz .LBB679_21
; %bb.20:
	s_mul_hi_i32 s23, s10, s6
	s_mul_i32 s22, s10, s6
	s_waitcnt vmcnt(0)
	v_cvt_f16_f32_e32 v2, v32
	v_cvt_f16_f32_e32 v3, v30
	;; [unrolled: 1-line block ×8, first 2 shown]
	s_lshl_b64 s[22:23], s[22:23], 1
	s_add_u32 s28, s36, s22
	s_addc_u32 s7, s37, s23
	s_and_b32 s29, s7, 0xffff
	s_mov_b32 s31, 0x20000
	v_pack_b32_f16 v5, v5, v6
	v_pack_b32_f16 v4, v4, v7
	;; [unrolled: 1-line block ×4, first 2 shown]
	v_lshlrev_b32_e32 v6, 5, v0
	buffer_store_dwordx4 v[2:5], v6, s[28:31], 0 offen
	v_cvt_f16_f32_e32 v7, v19
	v_cvt_f16_f32_e32 v2, v26
	;; [unrolled: 1-line block ×8, first 2 shown]
	v_pack_b32_f16 v5, v5, v7
	v_pack_b32_f16 v4, v4, v8
	;; [unrolled: 1-line block ×4, first 2 shown]
	;;#ASMSTART
	s_nop 0
	;;#ASMEND
	buffer_store_dwordx4 v[2:5], v6, s[28:31], 16 offen
	;;#ASMSTART
	s_nop 0
	;;#ASMEND
.LBB679_21:
	s_or_b64 exec, exec, s[2:3]
	s_cbranch_execnz .LBB679_16
.LBB679_22:
	s_waitcnt vmcnt(0)
	v_mov_b32_e32 v2, 0
	s_and_saveexec_b64 s[2:3], s[0:1]
	s_cbranch_execz .LBB679_24
; %bb.23:
	v_and_b32_e32 v2, 0x7fffffff, v32
	v_and_b32_e32 v3, 0x7fffffff, v33
	v_mov_b32_e32 v4, 0x2edbe6ff
	;;#ASMSTART
	v_max3_f32 v2, v4, v2, v3

	;;#ASMEND
	v_and_b32_e32 v3, 0x7fffffff, v30
	v_and_b32_e32 v4, 0x7fffffff, v31
	;;#ASMSTART
	v_max3_f32 v2, v2, v3, v4

	;;#ASMEND
	v_and_b32_e32 v3, 0x7fffffff, v28
	v_and_b32_e32 v4, 0x7fffffff, v29
	;; [unrolled: 6-line block ×7, first 2 shown]
	;;#ASMSTART
	v_max3_f32 v2, v2, v3, v4

	;;#ASMEND
.LBB679_24:
	s_or_b64 exec, exec, s[2:3]
	;;#ASMSTART
	v_max_f32 v3, v2, v2 quad_perm:[1,0,3,2] row_mask:0xf bank_mask:0xf bound_ctrl:1
	;;#ASMEND
	;;#ASMSTART
	v_max_f32 v2, v3, v3 quad_perm:[2,3,0,1] row_mask:0xf bank_mask:0xf bound_ctrl:1
	;;#ASMEND
	v_and_b32_e32 v3, 3, v0
	v_cmp_eq_u32_e32 vcc, 0, v3
	v_cmp_gt_i32_e64 s[2:3], s15, v1
	s_and_b64 s[22:23], vcc, s[2:3]
	s_and_saveexec_b64 s[2:3], s[22:23]
	s_cbranch_execz .LBB679_26
; %bb.25:
	s_load_dwordx2 s[22:23], s[4:5], 0x8
	v_mul_f32_e32 v2, 0x3e2aaaab, v2
	v_lshrrev_b32_e32 v3, 23, v2
	v_and_b32_e32 v4, 0x7f800000, v2
	v_and_b32_e32 v2, 0x7fffff, v2
	v_cmp_ne_u32_e32 vcc, 0, v2
	s_mul_i32 s12, s25, s6
	s_mov_b32 s7, 0x7f800000
	v_addc_co_u32_e32 v2, vcc, 0, v3, vcc
	s_mul_hi_i32 s11, s25, s6
	s_waitcnt lgkmcnt(0)
	s_add_u32 s22, s22, s12
	v_cmp_ne_u32_e32 vcc, s7, v4
	s_addc_u32 s23, s23, s11
	v_lshrrev_b32_e32 v5, 2, v0
	v_cndmask_b32_e32 v4, -1, v2, vcc
	v_pk_mov_b32 v[2:3], s[22:23], s[22:23] op_sel:[0,1]
	v_mad_i64_i32 v[2:3], s[22:23], s26, v5, v[2:3]
	global_store_byte v[2:3], v4, off
.LBB679_26:
	s_or_b64 exec, exec, s[2:3]
	s_and_saveexec_b64 s[2:3], s[0:1]
	s_cbranch_execz .LBB679_28
; %bb.27:
	s_load_dwordx2 s[0:1], s[4:5], 0x0
	s_mul_i32 s11, s24, s6
	s_mul_hi_i32 s7, s24, s6
	v_mov_b32_e32 v2, 0
	v_lshlrev_b32_e32 v4, 3, v0
	s_waitcnt lgkmcnt(0)
	s_add_u32 s24, s0, s11
	s_addc_u32 s0, s1, s7
	s_lshr_b32 s1, s15, 31
	s_add_i32 s1, s15, s1
	s_ashr_i32 s1, s1, 1
	s_add_i32 s1, s1, 3
	s_ashr_i32 s7, s1, 31
	s_lshr_b32 s7, s7, 30
	s_add_i32 s1, s1, s7
	s_and_b32 s26, s1, -4
	s_and_b32 s25, s0, 0xffff
	s_mov_b32 s27, 0x20000
	v_mov_b32_e32 v3, v2
	buffer_store_dwordx2 v[2:3], v4, s[24:27], 0 offen
	;;#ASMSTART
	s_nop 0
	;;#ASMEND
.LBB679_28:
	s_or_b64 exec, exec, s[2:3]
	s_cmp_lt_i32 s16, 1
	s_cbranch_scc1 .LBB679_17
.LBB679_29:
	s_load_dword s0, s[4:5], 0x94
	s_waitcnt lgkmcnt(0)
	s_cmp_lg_u32 s0, 1
	s_cbranch_scc1 .LBB679_17
; %bb.30:
	s_lshl_b32 s0, s16, 1
	s_add_i32 s0, s0, 2
	v_cmp_gt_u32_e32 vcc, s16, v1
	s_and_b32 s22, s0, -4
	v_mov_b32_e32 v18, 0
	v_lshlrev_b32_e32 v1, 5, v0
	s_waitcnt vmcnt(2)
	v_mov_b32_e32 v14, 0
	v_mov_b32_e32 v15, 0
	;; [unrolled: 1-line block ×8, first 2 shown]
	s_waitcnt vmcnt(1)
	v_mov_b32_e32 v6, 0
	v_mov_b32_e32 v7, 0
	;; [unrolled: 1-line block ×4, first 2 shown]
	s_waitcnt vmcnt(0)
	v_mov_b32_e32 v2, 0
	v_mov_b32_e32 v3, 0
	;; [unrolled: 1-line block ×4, first 2 shown]
	s_barrier
	s_and_saveexec_b64 s[0:1], vcc
	s_cbranch_execz .LBB679_32
; %bb.31:
	s_mul_hi_i32 s3, s18, s6
	s_mul_i32 s2, s18, s6
	s_and_b32 s21, s21, 0xffff
	s_lshl_b64 s[2:3], s[2:3], 1
	s_add_u32 s24, s34, s2
	s_mov_b32 s23, 0x20000
	s_addc_u32 s2, s35, s3
	s_and_b32 s25, s2, 0xffff
	s_mov_b32 s26, s22
	s_mov_b32 s27, s23
	buffer_load_dwordx4 v[14:17], v1, s[24:27], 0 offen
	buffer_load_dwordx4 v[10:13], v1, s[24:27], 16 offen
	;; [unrolled: 1-line block ×4, first 2 shown]
.LBB679_32:
	s_or_b64 exec, exec, s[0:1]
	v_mov_b32_e32 v19, 0
	v_mov_b32_e32 v32, 0
	;; [unrolled: 1-line block ×15, first 2 shown]
	s_and_saveexec_b64 s[0:1], vcc
	s_cbranch_execz .LBB679_34
; %bb.33:
	s_waitcnt vmcnt(3)
	v_cvt_f32_f16_sdwa v19, v14 dst_sel:DWORD dst_unused:UNUSED_PAD src0_sel:WORD_1
	v_cvt_f32_f16_e32 v18, v14
	v_cvt_f32_f16_sdwa v33, v15 dst_sel:DWORD dst_unused:UNUSED_PAD src0_sel:WORD_1
	v_cvt_f32_f16_e32 v32, v15
	;; [unrolled: 2-line block ×4, first 2 shown]
	s_waitcnt vmcnt(2)
	v_cvt_f32_f16_sdwa v27, v10 dst_sel:DWORD dst_unused:UNUSED_PAD src0_sel:WORD_1
	v_cvt_f32_f16_e32 v26, v10
	v_cvt_f32_f16_sdwa v25, v11 dst_sel:DWORD dst_unused:UNUSED_PAD src0_sel:WORD_1
	v_cvt_f32_f16_e32 v24, v11
	;; [unrolled: 2-line block ×4, first 2 shown]
.LBB679_34:
	s_or_b64 exec, exec, s[0:1]
	s_waitcnt vmcnt(2)
	v_mul_f32_e32 v10, v19, v19
	v_fmac_f32_e32 v10, v18, v18
	v_fmac_f32_e32 v10, v32, v32
	;; [unrolled: 1-line block ×15, first 2 shown]
	s_nop 1
	v_mov_b32_dpp v11, v10 quad_perm:[1,0,3,2] row_mask:0xf bank_mask:0xf
	v_add_f32_e32 v10, v10, v11
	s_nop 1
	v_mov_b32_dpp v11, v10 quad_perm:[2,3,0,1] row_mask:0xf bank_mask:0xf
	v_add_f32_e32 v10, v10, v11
	s_nop 1
	v_mov_b32_dpp v11, v10 row_half_mirror row_mask:0xf bank_mask:0xf
	v_add_f32_e32 v10, v10, v11
	s_nop 1
	v_mov_b32_dpp v11, v10 row_mirror row_mask:0xf bank_mask:0xf
	v_add_f32_e32 v10, v10, v11
	s_nop 1
	v_mov_b32_dpp v11, v10 row_bcast:15 row_mask:0xf bank_mask:0xf
	v_add_f32_e32 v10, v10, v11
	s_nop 1
	v_mov_b32_dpp v11, v10 row_bcast:31 row_mask:0xf bank_mask:0xf
	s_and_saveexec_b64 s[0:1], s[8:9]
	s_cbranch_execz .LBB679_36
; %bb.35:
	v_lshrrev_b32_e32 v0, 4, v0
	v_add_f32_e32 v10, v10, v11
	v_and_b32_e32 v0, 60, v0
	ds_write_b32 v0, v10
.LBB679_36:
	s_or_b64 exec, exec, s[0:1]
	s_waitcnt lgkmcnt(0)
	s_barrier
	ds_read_b32 v0, v34
	s_waitcnt lgkmcnt(0)
	s_nop 0
	v_mov_b32_dpp v10, v0 quad_perm:[1,0,3,2] row_mask:0xf bank_mask:0xf
	s_and_saveexec_b64 s[0:1], vcc
	s_cbranch_execz .LBB679_17
; %bb.37:
	v_cvt_f32_u32_e32 v11, s16
	v_add_f32_e32 v0, v0, v10
	s_mov_b32 s23, 0x20000
	v_div_scale_f32 v10, s[0:1], v11, v11, v0
	v_rcp_f32_e32 v12, v10
	v_div_scale_f32 v13, vcc, v0, v11, v0
	s_mov_b32 s0, 0x800000
	v_fma_f32 v14, -v10, v12, 1.0
	v_fmac_f32_e32 v12, v14, v12
	v_mul_f32_e32 v14, v13, v12
	v_fma_f32 v15, -v10, v14, v13
	v_fmac_f32_e32 v14, v15, v12
	v_fma_f32 v10, -v10, v14, v13
	v_div_fmas_f32 v10, v10, v12, v14
	v_div_fixup_f32 v0, v10, v11, v0
	v_add_f32_e32 v0, s13, v0
	v_mul_f32_e32 v10, 0x4b800000, v0
	v_cmp_gt_f32_e32 vcc, s0, v0
	v_cndmask_b32_e32 v0, v0, v10, vcc
	v_rsq_f32_e32 v0, v0
	s_mul_hi_i32 s1, s10, s6
	s_mul_i32 s0, s10, s6
	s_lshl_b64 s[0:1], s[0:1], 1
	v_mul_f32_e32 v10, 0x45800000, v0
	v_cndmask_b32_e32 v10, v0, v10, vcc
	v_mov_b32_e32 v11, v10
	;;#ASMSTART
	v_pk_mul_f32 v[12:13], v[18:19], v[10:11]
	;;#ASMEND
	;;#ASMSTART
	v_pk_mul_f32 v[14:15], v[32:33], v[10:11]
	;;#ASMEND
	;; [unrolled: 3-line block ×8, first 2 shown]
	s_waitcnt vmcnt(1)
	v_cvt_f32_f16_sdwa v21, v6 dst_sel:DWORD dst_unused:UNUSED_PAD src0_sel:WORD_1
	v_cvt_f32_f16_e32 v20, v6
	v_cvt_f32_f16_sdwa v29, v7 dst_sel:DWORD dst_unused:UNUSED_PAD src0_sel:WORD_1
	v_cvt_f32_f16_e32 v28, v7
	;; [unrolled: 2-line block ×4, first 2 shown]
	;;#ASMSTART
	v_pk_mul_f32 v[8:9], v[12:13], v[20:21]
	;;#ASMEND
	;;#ASMSTART
	v_pk_mul_f32 v[12:13], v[14:15], v[28:29]
	;;#ASMEND
	;; [unrolled: 3-line block ×4, first 2 shown]
	s_waitcnt vmcnt(0)
	v_cvt_f32_f16_sdwa v17, v2 dst_sel:DWORD dst_unused:UNUSED_PAD src0_sel:WORD_1
	v_cvt_f32_f16_e32 v16, v2
	v_cvt_f32_f16_sdwa v19, v3 dst_sel:DWORD dst_unused:UNUSED_PAD src0_sel:WORD_1
	v_cvt_f32_f16_e32 v18, v3
	;; [unrolled: 2-line block ×4, first 2 shown]
	;;#ASMSTART
	v_pk_mul_f32 v[16:17], v[26:27], v[16:17]
	;;#ASMEND
	;;#ASMSTART
	v_pk_mul_f32 v[18:19], v[24:25], v[18:19]
	;;#ASMEND
	;; [unrolled: 3-line block ×3, first 2 shown]
	v_cvt_f16_f32_e32 v0, v8
	v_cvt_f16_f32_e32 v2, v9
	;; [unrolled: 1-line block ×8, first 2 shown]
	s_add_u32 s20, s36, s0
	s_addc_u32 s0, s37, s1
	s_and_b32 s21, s0, 0xffff
	v_pack_b32_f16 v2, v0, v2
	v_pack_b32_f16 v3, v3, v4
	;; [unrolled: 1-line block ×4, first 2 shown]
	;;#ASMSTART
	v_pk_mul_f32 v[10:11], v[10:11], v[20:21]
	;;#ASMEND
	buffer_store_dwordx4 v[2:5], v1, s[20:23], 0 offen
	v_cvt_f16_f32_e32 v0, v16
	v_cvt_f16_f32_e32 v2, v17
	;; [unrolled: 1-line block ×8, first 2 shown]
	v_pack_b32_f16 v2, v0, v2
	v_pack_b32_f16 v3, v3, v4
	;; [unrolled: 1-line block ×4, first 2 shown]
	;;#ASMSTART
	s_nop 0
	;;#ASMEND
	buffer_store_dwordx4 v[2:5], v1, s[20:23], 16 offen
	;;#ASMSTART
	s_nop 0
	;;#ASMEND
	s_endpgm
	.section	.rodata,"a",@progbits
	.p2align	6, 0x0
	.amdhsa_kernel _ZN5aiter35fused_qk_rmsnorm_group_quant_kernelIDF16_N4opus5fp4_tELi128ELi16ELi4ELb1ELb0ELb0ELb0ELb0ELb0EEEvPT0_PvPT_S7_S7_PKS6_S9_S9_S9_S9_ffiiiiiiiiiiiii
		.amdhsa_group_segment_fixed_size 16
		.amdhsa_private_segment_fixed_size 0
		.amdhsa_kernarg_size 400
		.amdhsa_user_sgpr_count 6
		.amdhsa_user_sgpr_private_segment_buffer 1
		.amdhsa_user_sgpr_dispatch_ptr 0
		.amdhsa_user_sgpr_queue_ptr 0
		.amdhsa_user_sgpr_kernarg_segment_ptr 1
		.amdhsa_user_sgpr_dispatch_id 0
		.amdhsa_user_sgpr_flat_scratch_init 0
		.amdhsa_user_sgpr_kernarg_preload_length 0
		.amdhsa_user_sgpr_kernarg_preload_offset 0
		.amdhsa_user_sgpr_private_segment_size 0
		.amdhsa_uses_dynamic_stack 0
		.amdhsa_system_sgpr_private_segment_wavefront_offset 0
		.amdhsa_system_sgpr_workgroup_id_x 1
		.amdhsa_system_sgpr_workgroup_id_y 1
		.amdhsa_system_sgpr_workgroup_id_z 0
		.amdhsa_system_sgpr_workgroup_info 0
		.amdhsa_system_vgpr_workitem_id 0
		.amdhsa_next_free_vgpr 47
		.amdhsa_next_free_sgpr 40
		.amdhsa_accum_offset 48
		.amdhsa_reserve_vcc 1
		.amdhsa_reserve_flat_scratch 0
		.amdhsa_float_round_mode_32 0
		.amdhsa_float_round_mode_16_64 0
		.amdhsa_float_denorm_mode_32 3
		.amdhsa_float_denorm_mode_16_64 3
		.amdhsa_dx10_clamp 1
		.amdhsa_ieee_mode 1
		.amdhsa_fp16_overflow 0
		.amdhsa_tg_split 0
		.amdhsa_exception_fp_ieee_invalid_op 0
		.amdhsa_exception_fp_denorm_src 0
		.amdhsa_exception_fp_ieee_div_zero 0
		.amdhsa_exception_fp_ieee_overflow 0
		.amdhsa_exception_fp_ieee_underflow 0
		.amdhsa_exception_fp_ieee_inexact 0
		.amdhsa_exception_int_div_zero 0
	.end_amdhsa_kernel
	.section	.text._ZN5aiter35fused_qk_rmsnorm_group_quant_kernelIDF16_N4opus5fp4_tELi128ELi16ELi4ELb1ELb0ELb0ELb0ELb0ELb0EEEvPT0_PvPT_S7_S7_PKS6_S9_S9_S9_S9_ffiiiiiiiiiiiii,"axG",@progbits,_ZN5aiter35fused_qk_rmsnorm_group_quant_kernelIDF16_N4opus5fp4_tELi128ELi16ELi4ELb1ELb0ELb0ELb0ELb0ELb0EEEvPT0_PvPT_S7_S7_PKS6_S9_S9_S9_S9_ffiiiiiiiiiiiii,comdat
.Lfunc_end679:
	.size	_ZN5aiter35fused_qk_rmsnorm_group_quant_kernelIDF16_N4opus5fp4_tELi128ELi16ELi4ELb1ELb0ELb0ELb0ELb0ELb0EEEvPT0_PvPT_S7_S7_PKS6_S9_S9_S9_S9_ffiiiiiiiiiiiii, .Lfunc_end679-_ZN5aiter35fused_qk_rmsnorm_group_quant_kernelIDF16_N4opus5fp4_tELi128ELi16ELi4ELb1ELb0ELb0ELb0ELb0ELb0EEEvPT0_PvPT_S7_S7_PKS6_S9_S9_S9_S9_ffiiiiiiiiiiiii
                                        ; -- End function
	.section	.AMDGPU.csdata,"",@progbits
; Kernel info:
; codeLenInByte = 3720
; NumSgprs: 44
; NumVgprs: 47
; NumAgprs: 0
; TotalNumVgprs: 47
; ScratchSize: 0
; MemoryBound: 0
; FloatMode: 240
; IeeeMode: 1
; LDSByteSize: 16 bytes/workgroup (compile time only)
; SGPRBlocks: 5
; VGPRBlocks: 5
; NumSGPRsForWavesPerEU: 44
; NumVGPRsForWavesPerEU: 47
; AccumOffset: 48
; Occupancy: 8
; WaveLimiterHint : 0
; COMPUTE_PGM_RSRC2:SCRATCH_EN: 0
; COMPUTE_PGM_RSRC2:USER_SGPR: 6
; COMPUTE_PGM_RSRC2:TRAP_HANDLER: 0
; COMPUTE_PGM_RSRC2:TGID_X_EN: 1
; COMPUTE_PGM_RSRC2:TGID_Y_EN: 1
; COMPUTE_PGM_RSRC2:TGID_Z_EN: 0
; COMPUTE_PGM_RSRC2:TIDIG_COMP_CNT: 0
; COMPUTE_PGM_RSRC3_GFX90A:ACCUM_OFFSET: 11
; COMPUTE_PGM_RSRC3_GFX90A:TG_SPLIT: 0
	.section	.text._ZN5aiter35fused_qk_rmsnorm_group_quant_kernelItN4opus5fp4_tELi128ELi16ELi4ELb1ELb0ELb0ELb0ELb0ELb0EEEvPT0_PvPT_S7_S7_PKS6_S9_S9_S9_S9_ffiiiiiiiiiiiii,"axG",@progbits,_ZN5aiter35fused_qk_rmsnorm_group_quant_kernelItN4opus5fp4_tELi128ELi16ELi4ELb1ELb0ELb0ELb0ELb0ELb0EEEvPT0_PvPT_S7_S7_PKS6_S9_S9_S9_S9_ffiiiiiiiiiiiii,comdat
	.protected	_ZN5aiter35fused_qk_rmsnorm_group_quant_kernelItN4opus5fp4_tELi128ELi16ELi4ELb1ELb0ELb0ELb0ELb0ELb0EEEvPT0_PvPT_S7_S7_PKS6_S9_S9_S9_S9_ffiiiiiiiiiiiii ; -- Begin function _ZN5aiter35fused_qk_rmsnorm_group_quant_kernelItN4opus5fp4_tELi128ELi16ELi4ELb1ELb0ELb0ELb0ELb0ELb0EEEvPT0_PvPT_S7_S7_PKS6_S9_S9_S9_S9_ffiiiiiiiiiiiii
	.globl	_ZN5aiter35fused_qk_rmsnorm_group_quant_kernelItN4opus5fp4_tELi128ELi16ELi4ELb1ELb0ELb0ELb0ELb0ELb0EEEvPT0_PvPT_S7_S7_PKS6_S9_S9_S9_S9_ffiiiiiiiiiiiii
	.p2align	8
	.type	_ZN5aiter35fused_qk_rmsnorm_group_quant_kernelItN4opus5fp4_tELi128ELi16ELi4ELb1ELb0ELb0ELb0ELb0ELb0EEEvPT0_PvPT_S7_S7_PKS6_S9_S9_S9_S9_ffiiiiiiiiiiiii,@function
_ZN5aiter35fused_qk_rmsnorm_group_quant_kernelItN4opus5fp4_tELi128ELi16ELi4ELb1ELb0ELb0ELb0ELb0ELb0EEEvPT0_PvPT_S7_S7_PKS6_S9_S9_S9_S9_ffiiiiiiiiiiiii: ; @_ZN5aiter35fused_qk_rmsnorm_group_quant_kernelItN4opus5fp4_tELi128ELi16ELi4ELb1ELb0ELb0ELb0ELb0ELb0EEEvPT0_PvPT_S7_S7_PKS6_S9_S9_S9_S9_ffiiiiiiiiiiiii
; %bb.0:
	s_load_dwordx8 s[12:19], s[4:5], 0x50
	s_waitcnt lgkmcnt(0)
	s_cmp_ge_i32 s6, s14
	s_cbranch_scc1 .LBB680_17
; %bb.1:
	s_cmp_lg_u32 s7, 0
	s_cselect_b64 s[22:23], -1, 0
	s_cmp_eq_u32 s7, 0
	s_cselect_b64 s[2:3], -1, 0
	s_and_b64 s[0:1], s[2:3], exec
	s_load_dwordx2 s[20:21], s[4:5], 0x48
	s_load_dwordx2 s[34:35], s[4:5], 0x30
	s_load_dwordx4 s[24:27], s[4:5], 0x70
	s_cselect_b32 s7, s15, s16
	s_add_i32 s0, s7, 1
	s_lshr_b32 s1, s0, 31
	s_add_i32 s0, s0, s1
	s_lshl_b32 s0, s0, 1
	v_lshlrev_b32_e32 v1, 4, v0
	s_and_b32 s30, s0, -4
	v_cmp_gt_i32_e64 s[0:1], s7, v1
	v_mov_b32_e32 v80, 0
	v_mov_b32_e32 v81, 0
	;; [unrolled: 1-line block ×16, first 2 shown]
	s_and_saveexec_b64 s[8:9], s[0:1]
	s_cbranch_execz .LBB680_3
; %bb.2:
	s_load_dwordx2 s[10:11], s[4:5], 0x28
	s_load_dwordx2 s[28:29], s[4:5], 0x40
	s_and_b64 s[36:37], s[2:3], exec
	s_cselect_b32 s14, s17, s18
	s_mov_b32 s31, 0x20000
	s_waitcnt lgkmcnt(0)
	s_cselect_b32 s17, s11, s35
	s_cselect_b32 s27, s10, s34
	s_mul_hi_i32 s11, s14, s6
	s_mul_i32 s10, s14, s6
	s_lshl_b64 s[10:11], s[10:11], 1
	s_add_u32 s36, s27, s10
	s_addc_u32 s14, s17, s11
	s_and_b64 s[10:11], s[2:3], exec
	s_cselect_b32 s28, s28, s20
	s_cselect_b32 s10, s29, s21
	s_and_b32 s37, s14, 0xffff
	s_mov_b32 s38, s30
	s_mov_b32 s39, s31
	v_lshlrev_b32_e32 v2, 5, v0
	s_and_b32 s29, s10, 0xffff
	buffer_load_dwordx4 v[84:87], v2, s[36:39], 0 offen
	buffer_load_dwordx4 v[88:91], v2, s[36:39], 16 offen
	;; [unrolled: 1-line block ×4, first 2 shown]
.LBB680_3:
	s_or_b64 exec, exec, s[8:9]
	s_load_dwordx2 s[10:11], s[4:5], 0x80
	s_and_b64 vcc, exec, s[22:23]
	s_cbranch_vccz .LBB680_7
; %bb.4:
	v_mov_b32_e32 v93, 0
	v_mov_b32_e32 v92, 0
	;; [unrolled: 1-line block ×16, first 2 shown]
	s_and_saveexec_b64 s[8:9], s[0:1]
	s_cbranch_execz .LBB680_6
; %bb.5:
	s_waitcnt vmcnt(3)
	v_cvt_f32_u32_sdwa v32, v84 dst_sel:DWORD dst_unused:UNUSED_PAD src0_sel:WORD_0
	v_cvt_f32_u32_sdwa v33, v84 dst_sel:DWORD dst_unused:UNUSED_PAD src0_sel:WORD_1
	v_cvt_f32_u32_sdwa v18, v85 dst_sel:DWORD dst_unused:UNUSED_PAD src0_sel:WORD_0
	v_cvt_f32_u32_sdwa v19, v85 dst_sel:DWORD dst_unused:UNUSED_PAD src0_sel:WORD_1
	;; [unrolled: 2-line block ×4, first 2 shown]
	s_waitcnt vmcnt(2)
	v_cvt_f32_u32_sdwa v68, v88 dst_sel:DWORD dst_unused:UNUSED_PAD src0_sel:WORD_0
	v_cvt_f32_u32_sdwa v69, v88 dst_sel:DWORD dst_unused:UNUSED_PAD src0_sel:WORD_1
	v_cvt_f32_u32_sdwa v62, v89 dst_sel:DWORD dst_unused:UNUSED_PAD src0_sel:WORD_0
	v_cvt_f32_u32_sdwa v63, v89 dst_sel:DWORD dst_unused:UNUSED_PAD src0_sel:WORD_1
	;; [unrolled: 2-line block ×4, first 2 shown]
.LBB680_6:
	s_or_b64 exec, exec, s[8:9]
	s_cbranch_execz .LBB680_8
	s_branch .LBB680_11
.LBB680_7:
                                        ; implicit-def: $vgpr32_vgpr33_vgpr34_vgpr35_vgpr36_vgpr37_vgpr38_vgpr39_vgpr40_vgpr41_vgpr42_vgpr43_vgpr44_vgpr45_vgpr46_vgpr47
                                        ; implicit-def: $vgpr46_vgpr47_vgpr48_vgpr49_vgpr50_vgpr51_vgpr52_vgpr53_vgpr54_vgpr55_vgpr56_vgpr57_vgpr58_vgpr59_vgpr60_vgpr61
                                        ; implicit-def: $vgpr16_vgpr17_vgpr18_vgpr19_vgpr20_vgpr21_vgpr22_vgpr23_vgpr24_vgpr25_vgpr26_vgpr27_vgpr28_vgpr29_vgpr30_vgpr31
                                        ; implicit-def: $vgpr93
                                        ; implicit-def: $vgpr2_vgpr3_vgpr4_vgpr5_vgpr6_vgpr7_vgpr8_vgpr9_vgpr10_vgpr11_vgpr12_vgpr13_vgpr14_vgpr15_vgpr16_vgpr17
                                        ; implicit-def: $vgpr60_vgpr61_vgpr62_vgpr63_vgpr64_vgpr65_vgpr66_vgpr67_vgpr68_vgpr69_vgpr70_vgpr71_vgpr72_vgpr73_vgpr74_vgpr75
                                        ; implicit-def: $vgpr34_vgpr35_vgpr36_vgpr37_vgpr38_vgpr39_vgpr40_vgpr41_vgpr42_vgpr43_vgpr44_vgpr45_vgpr46_vgpr47_vgpr48_vgpr49
                                        ; implicit-def: $vgpr52_vgpr53_vgpr54_vgpr55_vgpr56_vgpr57_vgpr58_vgpr59_vgpr60_vgpr61_vgpr62_vgpr63_vgpr64_vgpr65_vgpr66_vgpr67
.LBB680_8:
	v_mov_b32_e32 v93, 0
	v_mov_b32_e32 v92, 0
	;; [unrolled: 1-line block ×16, first 2 shown]
	s_and_saveexec_b64 s[8:9], s[0:1]
	s_cbranch_execz .LBB680_10
; %bb.9:
	s_load_dwordx2 s[28:29], s[4:5], 0x38
	s_mul_hi_i32 s37, s19, s6
	s_mul_i32 s36, s19, s6
	s_lshl_b64 s[36:37], s[36:37], 1
	s_mov_b32 s31, 0x20000
	s_waitcnt lgkmcnt(0)
	s_add_u32 s28, s28, s36
	s_addc_u32 s14, s29, s37
	s_and_b32 s29, s14, 0xffff
	v_lshlrev_b32_e32 v36, 5, v0
	buffer_load_dwordx4 v[4:7], v36, s[28:31], 16 offen
	buffer_load_dwordx4 v[8:11], v36, s[28:31], 0 offen
	s_load_dwordx2 s[28:29], s[4:5], 0x20
	s_waitcnt vmcnt(5)
	v_cvt_f32_u32_sdwa v21, v84 dst_sel:DWORD dst_unused:UNUSED_PAD src0_sel:WORD_1
	v_cvt_f32_u32_sdwa v20, v84 dst_sel:DWORD dst_unused:UNUSED_PAD src0_sel:WORD_0
	v_cvt_f32_u32_sdwa v19, v85 dst_sel:DWORD dst_unused:UNUSED_PAD src0_sel:WORD_1
	v_cvt_f32_u32_sdwa v18, v85 dst_sel:DWORD dst_unused:UNUSED_PAD src0_sel:WORD_0
	;; [unrolled: 2-line block ×4, first 2 shown]
	s_waitcnt vmcnt(4)
	v_cvt_f32_u32_sdwa v3, v88 dst_sel:DWORD dst_unused:UNUSED_PAD src0_sel:WORD_1
	v_cvt_f32_u32_sdwa v2, v88 dst_sel:DWORD dst_unused:UNUSED_PAD src0_sel:WORD_0
	v_cvt_f32_u32_sdwa v13, v89 dst_sel:DWORD dst_unused:UNUSED_PAD src0_sel:WORD_1
	v_cvt_f32_u32_sdwa v12, v89 dst_sel:DWORD dst_unused:UNUSED_PAD src0_sel:WORD_0
	;; [unrolled: 2-line block ×3, first 2 shown]
	v_cvt_f32_u32_sdwa v16, v91 dst_sel:DWORD dst_unused:UNUSED_PAD src0_sel:WORD_0
	v_cvt_f32_u32_sdwa v17, v91 dst_sel:DWORD dst_unused:UNUSED_PAD src0_sel:WORD_1
	s_mul_hi_i32 s37, s11, s6
	s_mul_i32 s36, s11, s6
	s_lshl_b64 s[36:37], s[36:37], 1
	s_waitcnt lgkmcnt(0)
	s_add_u32 s28, s28, s36
	s_mov_b32 s11, 0x7060302
	s_addc_u32 s14, s29, s37
	s_and_b32 s29, s14, 0xffff
	s_waitcnt vmcnt(1)
	v_cvt_f32_u32_sdwa v27, v4 dst_sel:DWORD dst_unused:UNUSED_PAD src0_sel:WORD_1
	v_cvt_f32_u32_sdwa v26, v4 dst_sel:DWORD dst_unused:UNUSED_PAD src0_sel:WORD_0
	v_cvt_f32_u32_sdwa v29, v5 dst_sel:DWORD dst_unused:UNUSED_PAD src0_sel:WORD_1
	v_cvt_f32_u32_sdwa v28, v5 dst_sel:DWORD dst_unused:UNUSED_PAD src0_sel:WORD_0
	;; [unrolled: 2-line block ×3, first 2 shown]
	v_cvt_f32_u32_sdwa v34, v7 dst_sel:DWORD dst_unused:UNUSED_PAD src0_sel:WORD_0
	v_cvt_f32_u32_sdwa v35, v7 dst_sel:DWORD dst_unused:UNUSED_PAD src0_sel:WORD_1
	s_waitcnt vmcnt(0)
	v_cvt_f32_u32_sdwa v33, v8 dst_sel:DWORD dst_unused:UNUSED_PAD src0_sel:WORD_1
	v_cvt_f32_u32_sdwa v32, v8 dst_sel:DWORD dst_unused:UNUSED_PAD src0_sel:WORD_0
	v_cvt_f32_u32_sdwa v5, v10 dst_sel:DWORD dst_unused:UNUSED_PAD src0_sel:WORD_1
	v_cvt_f32_u32_sdwa v4, v10 dst_sel:DWORD dst_unused:UNUSED_PAD src0_sel:WORD_0
	;; [unrolled: 2-line block ×4, first 2 shown]
	v_pk_add_f32 v[50:51], v[22:23], v[4:5]
	v_pk_add_f32 v[40:41], v[24:25], v[6:7]
	;; [unrolled: 1-line block ×4, first 2 shown]
	v_perm_b32 v7, v41, v40, s11
	v_perm_b32 v6, v51, v50, s11
	;; [unrolled: 1-line block ×4, first 2 shown]
	v_pk_add_f32 v[92:93], v[16:17], v[34:35]
	v_pk_add_f32 v[14:15], v[14:15], v[30:31]
	;; [unrolled: 1-line block ×4, first 2 shown]
	buffer_store_dwordx4 v[4:7], v36, s[28:31], 0 offen
	;;#ASMSTART
	s_nop 0
	;;#ASMEND
	s_nop 0
	v_perm_b32 v7, v93, v92, s11
	v_perm_b32 v6, v15, v14, s11
	;; [unrolled: 1-line block ×4, first 2 shown]
	buffer_store_dwordx4 v[4:7], v36, s[28:31], 16 offen
	;;#ASMSTART
	s_nop 0
	;;#ASMEND
.LBB680_10:
	s_or_b64 exec, exec, s[8:9]
.LBB680_11:
	v_mul_f32_e32 v2, v33, v33
	v_fmac_f32_e32 v2, v32, v32
	v_fmac_f32_e32 v2, v18, v18
	;; [unrolled: 1-line block ×15, first 2 shown]
	s_nop 1
	v_mov_b32_dpp v3, v2 quad_perm:[1,0,3,2] row_mask:0xf bank_mask:0xf
	v_add_f32_e32 v2, v2, v3
	s_nop 1
	v_mov_b32_dpp v3, v2 quad_perm:[2,3,0,1] row_mask:0xf bank_mask:0xf
	v_add_f32_e32 v2, v2, v3
	s_nop 1
	v_mov_b32_dpp v3, v2 row_half_mirror row_mask:0xf bank_mask:0xf
	v_add_f32_e32 v2, v2, v3
	s_nop 1
	v_mov_b32_dpp v3, v2 row_mirror row_mask:0xf bank_mask:0xf
	v_add_f32_e32 v2, v2, v3
	s_nop 1
	v_mov_b32_dpp v3, v2 row_bcast:15 row_mask:0xf bank_mask:0xf
	v_add_f32_e32 v2, v2, v3
	v_and_b32_e32 v3, 63, v0
	v_cmp_eq_u32_e64 s[8:9], 63, v3
	s_nop 0
	v_mov_b32_dpp v3, v2 row_bcast:31 row_mask:0xf bank_mask:0xf
	s_and_saveexec_b64 s[28:29], s[8:9]
	s_cbranch_execz .LBB680_13
; %bb.12:
	v_add_f32_e32 v2, v2, v3
	v_lshrrev_b32_e32 v3, 4, v0
	v_and_b32_e32 v3, 60, v3
	ds_write_b32 v3, v2 offset:8
.LBB680_13:
	s_or_b64 exec, exec, s[28:29]
	v_and_b32_e32 v2, 1, v0
	v_lshlrev_b32_e32 v34, 2, v2
	s_waitcnt lgkmcnt(0)
	s_barrier
	ds_read_b32 v2, v34 offset:8
	s_load_dwordx2 s[36:37], s[4:5], 0x18
	s_waitcnt lgkmcnt(0)
	v_mov_b32_dpp v3, v2 quad_perm:[1,0,3,2] row_mask:0xf bank_mask:0xf
	s_and_saveexec_b64 s[28:29], s[0:1]
	s_cbranch_execnz .LBB680_18
; %bb.14:
	s_or_b64 exec, exec, s[28:29]
	s_mov_b64 s[2:3], -1
	s_and_b64 vcc, exec, s[22:23]
	s_cbranch_vccnz .LBB680_19
.LBB680_15:
	s_andn2_b64 vcc, exec, s[2:3]
	s_cbranch_vccz .LBB680_22
.LBB680_16:
	s_cmp_lt_i32 s16, 1
	s_cbranch_scc0 .LBB680_29
.LBB680_17:
	s_endpgm
.LBB680_18:
	v_add_f32_e32 v2, v2, v3
	v_cvt_f32_u32_e32 v3, s7
	s_waitcnt vmcnt(1)
	v_cvt_f32_u32_sdwa v21, v81 dst_sel:DWORD dst_unused:UNUSED_PAD src0_sel:WORD_1
	v_cvt_f32_u32_sdwa v20, v81 dst_sel:DWORD dst_unused:UNUSED_PAD src0_sel:WORD_0
	s_waitcnt vmcnt(0)
	v_cvt_f32_u32_sdwa v23, v77 dst_sel:DWORD dst_unused:UNUSED_PAD src0_sel:WORD_1
	v_div_scale_f32 v4, s[38:39], v3, v3, v2
	v_rcp_f32_e32 v5, v4
	v_cvt_f32_u32_sdwa v22, v77 dst_sel:DWORD dst_unused:UNUSED_PAD src0_sel:WORD_0
	v_cvt_f32_u32_sdwa v25, v78 dst_sel:DWORD dst_unused:UNUSED_PAD src0_sel:WORD_1
	v_cvt_f32_u32_sdwa v24, v78 dst_sel:DWORD dst_unused:UNUSED_PAD src0_sel:WORD_0
	v_fma_f32 v6, -v4, v5, 1.0
	v_fmac_f32_e32 v5, v6, v5
	v_div_scale_f32 v6, vcc, v2, v3, v2
	v_mul_f32_e32 v7, v6, v5
	v_fma_f32 v8, -v4, v7, v6
	v_fmac_f32_e32 v7, v8, v5
	v_fma_f32 v4, -v4, v7, v6
	v_div_fmas_f32 v4, v4, v5, v7
	v_div_fixup_f32 v2, v4, v3, v2
	v_mov_b32_e32 v3, s13
	v_mov_b32_e32 v4, s12
	v_cndmask_b32_e64 v3, v3, v4, s[2:3]
	v_add_f32_e32 v2, v3, v2
	s_mov_b32 s2, 0x800000
	v_mul_f32_e32 v3, 0x4b800000, v2
	v_cmp_gt_f32_e32 vcc, s2, v2
	v_cndmask_b32_e32 v2, v2, v3, vcc
	v_rsq_f32_e32 v2, v2
	v_cvt_f32_u32_sdwa v27, v79 dst_sel:DWORD dst_unused:UNUSED_PAD src0_sel:WORD_1
	v_cvt_f32_u32_sdwa v26, v79 dst_sel:DWORD dst_unused:UNUSED_PAD src0_sel:WORD_0
	v_mul_f32_e32 v3, 0x45800000, v2
	v_cndmask_b32_e32 v2, v2, v3, vcc
	v_mov_b32_e32 v3, v2
	;;#ASMSTART
	v_pk_mul_f32 v[4:5], v[32:33], v[2:3]
	;;#ASMEND
	;;#ASMSTART
	v_pk_mul_f32 v[6:7], v[18:19], v[2:3]
	;;#ASMEND
	;; [unrolled: 3-line block ×6, first 2 shown]
	v_cvt_f32_u32_sdwa v19, v80 dst_sel:DWORD dst_unused:UNUSED_PAD src0_sel:WORD_1
	v_cvt_f32_u32_sdwa v18, v80 dst_sel:DWORD dst_unused:UNUSED_PAD src0_sel:WORD_0
	;;#ASMSTART
	v_pk_mul_f32 v[14:15], v[14:15], v[2:3]
	;;#ASMEND
	;;#ASMSTART
	v_pk_mul_f32 v[2:3], v[92:93], v[2:3]
	;;#ASMEND
	;; [unrolled: 3-line block ×4, first 2 shown]
	v_cvt_f32_u32_sdwa v5, v82 dst_sel:DWORD dst_unused:UNUSED_PAD src0_sel:WORD_1
	v_cvt_f32_u32_sdwa v4, v82 dst_sel:DWORD dst_unused:UNUSED_PAD src0_sel:WORD_0
	v_cvt_f32_u32_sdwa v7, v83 dst_sel:DWORD dst_unused:UNUSED_PAD src0_sel:WORD_1
	v_cvt_f32_u32_sdwa v6, v83 dst_sel:DWORD dst_unused:UNUSED_PAD src0_sel:WORD_0
	;; [unrolled: 2-line block ×3, first 2 shown]
	;;#ASMSTART
	v_pk_mul_f32 v[50:51], v[8:9], v[4:5]
	;;#ASMEND
	;;#ASMSTART
	v_pk_mul_f32 v[40:41], v[10:11], v[6:7]
	;;#ASMEND
	;; [unrolled: 3-line block ×6, first 2 shown]
	s_or_b64 exec, exec, s[28:29]
	s_mov_b64 s[2:3], -1
	s_and_b64 vcc, exec, s[22:23]
	s_cbranch_vccz .LBB680_15
.LBB680_19:
	s_and_saveexec_b64 s[2:3], s[0:1]
	s_cbranch_execz .LBB680_21
; %bb.20:
	s_mul_hi_i32 s23, s10, s6
	s_mul_i32 s22, s10, s6
	s_lshl_b64 s[22:23], s[22:23], 1
	s_add_u32 s28, s36, s22
	s_addc_u32 s7, s37, s23
	s_and_b32 s29, s7, 0xffff
	s_mov_b32 s7, 0x7060302
	s_mov_b32 s31, 0x20000
	v_perm_b32 v5, v41, v40, s7
	v_perm_b32 v4, v51, v50, s7
	;; [unrolled: 1-line block ×4, first 2 shown]
	v_lshlrev_b32_e32 v6, 5, v0
	buffer_store_dwordx4 v[2:5], v6, s[28:31], 0 offen
	;;#ASMSTART
	s_nop 0
	;;#ASMEND
	s_nop 0
	v_perm_b32 v5, v93, v92, s7
	v_perm_b32 v4, v15, v14, s7
	;; [unrolled: 1-line block ×4, first 2 shown]
	buffer_store_dwordx4 v[2:5], v6, s[28:31], 16 offen
	;;#ASMSTART
	s_nop 0
	;;#ASMEND
.LBB680_21:
	s_or_b64 exec, exec, s[2:3]
	s_cbranch_execnz .LBB680_16
.LBB680_22:
	v_mov_b32_e32 v2, 0
	s_and_saveexec_b64 s[2:3], s[0:1]
	s_cbranch_execz .LBB680_24
; %bb.23:
	v_and_b32_e32 v2, 0x7fffffff, v32
	v_and_b32_e32 v3, 0x7fffffff, v33
	v_mov_b32_e32 v10, 0x2edbe6ff
	;;#ASMSTART
	v_max3_f32 v2, v10, v2, v3

	;;#ASMEND
	v_and_b32_e32 v4, 0x7fffffff, v18
	v_and_b32_e32 v5, 0x7fffffff, v19
	;;#ASMSTART
	v_max3_f32 v2, v2, v4, v5

	;;#ASMEND
	v_and_b32_e32 v6, 0x7fffffff, v50
	v_and_b32_e32 v7, 0x7fffffff, v51
	;; [unrolled: 6-line block ×7, first 2 shown]
	;;#ASMSTART
	v_max3_f32 v2, v2, v3, v4

	;;#ASMEND
.LBB680_24:
	s_or_b64 exec, exec, s[2:3]
	;;#ASMSTART
	v_max_f32 v3, v2, v2 quad_perm:[1,0,3,2] row_mask:0xf bank_mask:0xf bound_ctrl:1
	;;#ASMEND
	;;#ASMSTART
	v_max_f32 v2, v3, v3 quad_perm:[2,3,0,1] row_mask:0xf bank_mask:0xf bound_ctrl:1
	;;#ASMEND
	v_and_b32_e32 v3, 3, v0
	v_cmp_eq_u32_e32 vcc, 0, v3
	v_cmp_gt_i32_e64 s[2:3], s15, v1
	s_and_b64 s[22:23], vcc, s[2:3]
	s_and_saveexec_b64 s[2:3], s[22:23]
	s_cbranch_execz .LBB680_26
; %bb.25:
	s_load_dwordx2 s[22:23], s[4:5], 0x8
	v_mul_f32_e32 v2, 0x3e2aaaab, v2
	v_lshrrev_b32_e32 v3, 23, v2
	v_and_b32_e32 v4, 0x7f800000, v2
	v_and_b32_e32 v2, 0x7fffff, v2
	v_cmp_ne_u32_e32 vcc, 0, v2
	s_mul_i32 s12, s25, s6
	s_mov_b32 s7, 0x7f800000
	v_addc_co_u32_e32 v2, vcc, 0, v3, vcc
	s_mul_hi_i32 s11, s25, s6
	s_waitcnt lgkmcnt(0)
	s_add_u32 s22, s22, s12
	v_cmp_ne_u32_e32 vcc, s7, v4
	s_addc_u32 s23, s23, s11
	v_lshrrev_b32_e32 v5, 2, v0
	v_cndmask_b32_e32 v4, -1, v2, vcc
	v_pk_mov_b32 v[2:3], s[22:23], s[22:23] op_sel:[0,1]
	v_mad_i64_i32 v[2:3], s[22:23], s26, v5, v[2:3]
	global_store_byte v[2:3], v4, off
.LBB680_26:
	s_or_b64 exec, exec, s[2:3]
	s_and_saveexec_b64 s[2:3], s[0:1]
	s_cbranch_execz .LBB680_28
; %bb.27:
	s_load_dwordx2 s[0:1], s[4:5], 0x0
	s_mul_i32 s11, s24, s6
	s_mul_hi_i32 s7, s24, s6
	v_mov_b32_e32 v2, 0
	v_lshlrev_b32_e32 v4, 3, v0
	s_waitcnt lgkmcnt(0)
	s_add_u32 s24, s0, s11
	s_addc_u32 s0, s1, s7
	s_lshr_b32 s1, s15, 31
	s_add_i32 s1, s15, s1
	s_ashr_i32 s1, s1, 1
	s_add_i32 s1, s1, 3
	s_ashr_i32 s7, s1, 31
	s_lshr_b32 s7, s7, 30
	s_add_i32 s1, s1, s7
	s_and_b32 s26, s1, -4
	s_and_b32 s25, s0, 0xffff
	s_mov_b32 s27, 0x20000
	v_mov_b32_e32 v3, v2
	buffer_store_dwordx2 v[2:3], v4, s[24:27], 0 offen
	;;#ASMSTART
	s_nop 0
	;;#ASMEND
.LBB680_28:
	s_or_b64 exec, exec, s[2:3]
	s_cmp_lt_i32 s16, 1
	s_cbranch_scc1 .LBB680_17
.LBB680_29:
	s_load_dword s0, s[4:5], 0x94
	s_waitcnt lgkmcnt(0)
	s_cmp_lg_u32 s0, 1
	s_cbranch_scc1 .LBB680_17
; %bb.30:
	s_lshl_b32 s0, s16, 1
	s_add_i32 s0, s0, 2
	v_cmp_gt_u32_e32 vcc, s16, v1
	s_and_b32 s22, s0, -4
	v_mov_b32_e32 v18, 0
	v_lshlrev_b32_e32 v1, 5, v0
	v_mov_b32_e32 v14, 0
	v_mov_b32_e32 v15, 0
	;; [unrolled: 1-line block ×16, first 2 shown]
	s_barrier
	s_and_saveexec_b64 s[0:1], vcc
	s_cbranch_execz .LBB680_32
; %bb.31:
	s_mul_hi_i32 s3, s18, s6
	s_mul_i32 s2, s18, s6
	s_and_b32 s21, s21, 0xffff
	s_lshl_b64 s[2:3], s[2:3], 1
	s_add_u32 s24, s34, s2
	s_mov_b32 s23, 0x20000
	s_addc_u32 s2, s35, s3
	s_and_b32 s25, s2, 0xffff
	s_mov_b32 s26, s22
	s_mov_b32 s27, s23
	buffer_load_dwordx4 v[14:17], v1, s[24:27], 0 offen
	buffer_load_dwordx4 v[10:13], v1, s[24:27], 16 offen
	;; [unrolled: 1-line block ×4, first 2 shown]
.LBB680_32:
	s_or_b64 exec, exec, s[0:1]
	v_mov_b32_e32 v19, 0
	v_mov_b32_e32 v32, 0
	;; [unrolled: 1-line block ×15, first 2 shown]
	s_and_saveexec_b64 s[0:1], vcc
	s_cbranch_execz .LBB680_34
; %bb.33:
	s_waitcnt vmcnt(3)
	v_cvt_f32_u32_sdwa v18, v14 dst_sel:DWORD dst_unused:UNUSED_PAD src0_sel:WORD_0
	v_cvt_f32_u32_sdwa v19, v14 dst_sel:DWORD dst_unused:UNUSED_PAD src0_sel:WORD_1
	v_cvt_f32_u32_sdwa v32, v15 dst_sel:DWORD dst_unused:UNUSED_PAD src0_sel:WORD_0
	v_cvt_f32_u32_sdwa v33, v15 dst_sel:DWORD dst_unused:UNUSED_PAD src0_sel:WORD_1
	;; [unrolled: 2-line block ×4, first 2 shown]
	s_waitcnt vmcnt(2)
	v_cvt_f32_u32_sdwa v26, v10 dst_sel:DWORD dst_unused:UNUSED_PAD src0_sel:WORD_0
	v_cvt_f32_u32_sdwa v27, v10 dst_sel:DWORD dst_unused:UNUSED_PAD src0_sel:WORD_1
	v_cvt_f32_u32_sdwa v24, v11 dst_sel:DWORD dst_unused:UNUSED_PAD src0_sel:WORD_0
	v_cvt_f32_u32_sdwa v25, v11 dst_sel:DWORD dst_unused:UNUSED_PAD src0_sel:WORD_1
	v_cvt_f32_u32_sdwa v22, v12 dst_sel:DWORD dst_unused:UNUSED_PAD src0_sel:WORD_0
	v_cvt_f32_u32_sdwa v23, v12 dst_sel:DWORD dst_unused:UNUSED_PAD src0_sel:WORD_1
	v_cvt_f32_u32_sdwa v20, v13 dst_sel:DWORD dst_unused:UNUSED_PAD src0_sel:WORD_0
	v_cvt_f32_u32_sdwa v21, v13 dst_sel:DWORD dst_unused:UNUSED_PAD src0_sel:WORD_1
.LBB680_34:
	s_or_b64 exec, exec, s[0:1]
	s_waitcnt vmcnt(2)
	v_mul_f32_e32 v10, v19, v19
	v_fmac_f32_e32 v10, v18, v18
	v_fmac_f32_e32 v10, v32, v32
	;; [unrolled: 1-line block ×15, first 2 shown]
	s_nop 1
	v_mov_b32_dpp v11, v10 quad_perm:[1,0,3,2] row_mask:0xf bank_mask:0xf
	v_add_f32_e32 v10, v10, v11
	s_nop 1
	v_mov_b32_dpp v11, v10 quad_perm:[2,3,0,1] row_mask:0xf bank_mask:0xf
	v_add_f32_e32 v10, v10, v11
	s_nop 1
	v_mov_b32_dpp v11, v10 row_half_mirror row_mask:0xf bank_mask:0xf
	v_add_f32_e32 v10, v10, v11
	s_nop 1
	v_mov_b32_dpp v11, v10 row_mirror row_mask:0xf bank_mask:0xf
	v_add_f32_e32 v10, v10, v11
	s_nop 1
	v_mov_b32_dpp v11, v10 row_bcast:15 row_mask:0xf bank_mask:0xf
	v_add_f32_e32 v10, v10, v11
	s_nop 1
	v_mov_b32_dpp v11, v10 row_bcast:31 row_mask:0xf bank_mask:0xf
	s_and_saveexec_b64 s[0:1], s[8:9]
	s_cbranch_execz .LBB680_36
; %bb.35:
	v_lshrrev_b32_e32 v0, 4, v0
	v_add_f32_e32 v10, v10, v11
	v_and_b32_e32 v0, 60, v0
	ds_write_b32 v0, v10
.LBB680_36:
	s_or_b64 exec, exec, s[0:1]
	s_waitcnt lgkmcnt(0)
	s_barrier
	ds_read_b32 v0, v34
	s_waitcnt lgkmcnt(0)
	s_nop 0
	v_mov_b32_dpp v10, v0 quad_perm:[1,0,3,2] row_mask:0xf bank_mask:0xf
	s_and_saveexec_b64 s[0:1], vcc
	s_cbranch_execz .LBB680_17
; %bb.37:
	v_cvt_f32_u32_e32 v11, s16
	v_add_f32_e32 v0, v0, v10
	s_mov_b32 s23, 0x20000
	v_div_scale_f32 v10, s[0:1], v11, v11, v0
	v_rcp_f32_e32 v12, v10
	v_div_scale_f32 v13, vcc, v0, v11, v0
	s_mov_b32 s0, 0x800000
	v_fma_f32 v14, -v10, v12, 1.0
	v_fmac_f32_e32 v12, v14, v12
	v_mul_f32_e32 v14, v13, v12
	v_fma_f32 v15, -v10, v14, v13
	v_fmac_f32_e32 v14, v15, v12
	v_fma_f32 v10, -v10, v14, v13
	v_div_fmas_f32 v10, v10, v12, v14
	v_div_fixup_f32 v0, v10, v11, v0
	v_add_f32_e32 v0, s13, v0
	v_mul_f32_e32 v10, 0x4b800000, v0
	v_cmp_gt_f32_e32 vcc, s0, v0
	v_cndmask_b32_e32 v0, v0, v10, vcc
	v_rsq_f32_e32 v0, v0
	s_mul_hi_i32 s1, s10, s6
	s_mul_i32 s0, s10, s6
	s_lshl_b64 s[0:1], s[0:1], 1
	v_mul_f32_e32 v10, 0x45800000, v0
	v_cndmask_b32_e32 v10, v0, v10, vcc
	v_mov_b32_e32 v11, v10
	s_add_u32 s20, s36, s0
	;;#ASMSTART
	v_pk_mul_f32 v[12:13], v[18:19], v[10:11]
	;;#ASMEND
	;;#ASMSTART
	v_pk_mul_f32 v[14:15], v[32:33], v[10:11]
	;;#ASMEND
	;;#ASMSTART
	v_pk_mul_f32 v[16:17], v[30:31], v[10:11]
	;;#ASMEND
	;;#ASMSTART
	v_pk_mul_f32 v[18:19], v[28:29], v[10:11]
	;;#ASMEND
	;;#ASMSTART
	v_pk_mul_f32 v[26:27], v[26:27], v[10:11]
	;;#ASMEND
	;;#ASMSTART
	v_pk_mul_f32 v[24:25], v[24:25], v[10:11]
	;;#ASMEND
	;;#ASMSTART
	v_pk_mul_f32 v[22:23], v[22:23], v[10:11]
	;;#ASMEND
	;;#ASMSTART
	v_pk_mul_f32 v[10:11], v[20:21], v[10:11]
	;;#ASMEND
	s_waitcnt vmcnt(1)
	v_cvt_f32_u32_sdwa v21, v6 dst_sel:DWORD dst_unused:UNUSED_PAD src0_sel:WORD_1
	v_cvt_f32_u32_sdwa v20, v6 dst_sel:DWORD dst_unused:UNUSED_PAD src0_sel:WORD_0
	v_cvt_f32_u32_sdwa v29, v7 dst_sel:DWORD dst_unused:UNUSED_PAD src0_sel:WORD_1
	v_cvt_f32_u32_sdwa v28, v7 dst_sel:DWORD dst_unused:UNUSED_PAD src0_sel:WORD_0
	;; [unrolled: 2-line block ×3, first 2 shown]
	s_addc_u32 s0, s37, s1
	v_cvt_f32_u32_sdwa v31, v9 dst_sel:DWORD dst_unused:UNUSED_PAD src0_sel:WORD_1
	v_cvt_f32_u32_sdwa v30, v9 dst_sel:DWORD dst_unused:UNUSED_PAD src0_sel:WORD_0
	;;#ASMSTART
	v_pk_mul_f32 v[8:9], v[12:13], v[20:21]
	;;#ASMEND
	;;#ASMSTART
	v_pk_mul_f32 v[12:13], v[14:15], v[28:29]
	;;#ASMEND
	;; [unrolled: 3-line block ×4, first 2 shown]
	s_waitcnt vmcnt(0)
	v_cvt_f32_u32_sdwa v17, v2 dst_sel:DWORD dst_unused:UNUSED_PAD src0_sel:WORD_1
	v_cvt_f32_u32_sdwa v16, v2 dst_sel:DWORD dst_unused:UNUSED_PAD src0_sel:WORD_0
	v_cvt_f32_u32_sdwa v19, v3 dst_sel:DWORD dst_unused:UNUSED_PAD src0_sel:WORD_1
	v_cvt_f32_u32_sdwa v18, v3 dst_sel:DWORD dst_unused:UNUSED_PAD src0_sel:WORD_0
	;; [unrolled: 2-line block ×3, first 2 shown]
	s_and_b32 s21, s0, 0xffff
	s_mov_b32 s0, 0x7060302
	v_cvt_f32_u32_sdwa v21, v5 dst_sel:DWORD dst_unused:UNUSED_PAD src0_sel:WORD_1
	v_cvt_f32_u32_sdwa v20, v5 dst_sel:DWORD dst_unused:UNUSED_PAD src0_sel:WORD_0
	;;#ASMSTART
	v_pk_mul_f32 v[16:17], v[26:27], v[16:17]
	;;#ASMEND
	;;#ASMSTART
	v_pk_mul_f32 v[18:19], v[24:25], v[18:19]
	;;#ASMEND
	;; [unrolled: 3-line block ×3, first 2 shown]
	v_perm_b32 v2, v9, v8, s0
	v_perm_b32 v3, v13, v12, s0
	;; [unrolled: 1-line block ×4, first 2 shown]
	;;#ASMSTART
	v_pk_mul_f32 v[10:11], v[10:11], v[20:21]
	;;#ASMEND
	buffer_store_dwordx4 v[2:5], v1, s[20:23], 0 offen
	;;#ASMSTART
	s_nop 0
	;;#ASMEND
	s_nop 0
	v_perm_b32 v2, v17, v16, s0
	v_perm_b32 v3, v19, v18, s0
	;; [unrolled: 1-line block ×4, first 2 shown]
	buffer_store_dwordx4 v[2:5], v1, s[20:23], 16 offen
	;;#ASMSTART
	s_nop 0
	;;#ASMEND
	s_endpgm
	.section	.rodata,"a",@progbits
	.p2align	6, 0x0
	.amdhsa_kernel _ZN5aiter35fused_qk_rmsnorm_group_quant_kernelItN4opus5fp4_tELi128ELi16ELi4ELb1ELb0ELb0ELb0ELb0ELb0EEEvPT0_PvPT_S7_S7_PKS6_S9_S9_S9_S9_ffiiiiiiiiiiiii
		.amdhsa_group_segment_fixed_size 16
		.amdhsa_private_segment_fixed_size 0
		.amdhsa_kernarg_size 400
		.amdhsa_user_sgpr_count 6
		.amdhsa_user_sgpr_private_segment_buffer 1
		.amdhsa_user_sgpr_dispatch_ptr 0
		.amdhsa_user_sgpr_queue_ptr 0
		.amdhsa_user_sgpr_kernarg_segment_ptr 1
		.amdhsa_user_sgpr_dispatch_id 0
		.amdhsa_user_sgpr_flat_scratch_init 0
		.amdhsa_user_sgpr_kernarg_preload_length 0
		.amdhsa_user_sgpr_kernarg_preload_offset 0
		.amdhsa_user_sgpr_private_segment_size 0
		.amdhsa_uses_dynamic_stack 0
		.amdhsa_system_sgpr_private_segment_wavefront_offset 0
		.amdhsa_system_sgpr_workgroup_id_x 1
		.amdhsa_system_sgpr_workgroup_id_y 1
		.amdhsa_system_sgpr_workgroup_id_z 0
		.amdhsa_system_sgpr_workgroup_info 0
		.amdhsa_system_vgpr_workitem_id 0
		.amdhsa_next_free_vgpr 94
		.amdhsa_next_free_sgpr 40
		.amdhsa_accum_offset 96
		.amdhsa_reserve_vcc 1
		.amdhsa_reserve_flat_scratch 0
		.amdhsa_float_round_mode_32 0
		.amdhsa_float_round_mode_16_64 0
		.amdhsa_float_denorm_mode_32 3
		.amdhsa_float_denorm_mode_16_64 3
		.amdhsa_dx10_clamp 1
		.amdhsa_ieee_mode 1
		.amdhsa_fp16_overflow 0
		.amdhsa_tg_split 0
		.amdhsa_exception_fp_ieee_invalid_op 0
		.amdhsa_exception_fp_denorm_src 0
		.amdhsa_exception_fp_ieee_div_zero 0
		.amdhsa_exception_fp_ieee_overflow 0
		.amdhsa_exception_fp_ieee_underflow 0
		.amdhsa_exception_fp_ieee_inexact 0
		.amdhsa_exception_int_div_zero 0
	.end_amdhsa_kernel
	.section	.text._ZN5aiter35fused_qk_rmsnorm_group_quant_kernelItN4opus5fp4_tELi128ELi16ELi4ELb1ELb0ELb0ELb0ELb0ELb0EEEvPT0_PvPT_S7_S7_PKS6_S9_S9_S9_S9_ffiiiiiiiiiiiii,"axG",@progbits,_ZN5aiter35fused_qk_rmsnorm_group_quant_kernelItN4opus5fp4_tELi128ELi16ELi4ELb1ELb0ELb0ELb0ELb0ELb0EEEvPT0_PvPT_S7_S7_PKS6_S9_S9_S9_S9_ffiiiiiiiiiiiii,comdat
.Lfunc_end680:
	.size	_ZN5aiter35fused_qk_rmsnorm_group_quant_kernelItN4opus5fp4_tELi128ELi16ELi4ELb1ELb0ELb0ELb0ELb0ELb0EEEvPT0_PvPT_S7_S7_PKS6_S9_S9_S9_S9_ffiiiiiiiiiiiii, .Lfunc_end680-_ZN5aiter35fused_qk_rmsnorm_group_quant_kernelItN4opus5fp4_tELi128ELi16ELi4ELb1ELb0ELb0ELb0ELb0ELb0EEEvPT0_PvPT_S7_S7_PKS6_S9_S9_S9_S9_ffiiiiiiiiiiiii
                                        ; -- End function
	.section	.AMDGPU.csdata,"",@progbits
; Kernel info:
; codeLenInByte = 3736
; NumSgprs: 44
; NumVgprs: 94
; NumAgprs: 0
; TotalNumVgprs: 94
; ScratchSize: 0
; MemoryBound: 0
; FloatMode: 240
; IeeeMode: 1
; LDSByteSize: 16 bytes/workgroup (compile time only)
; SGPRBlocks: 5
; VGPRBlocks: 11
; NumSGPRsForWavesPerEU: 44
; NumVGPRsForWavesPerEU: 94
; AccumOffset: 96
; Occupancy: 5
; WaveLimiterHint : 0
; COMPUTE_PGM_RSRC2:SCRATCH_EN: 0
; COMPUTE_PGM_RSRC2:USER_SGPR: 6
; COMPUTE_PGM_RSRC2:TRAP_HANDLER: 0
; COMPUTE_PGM_RSRC2:TGID_X_EN: 1
; COMPUTE_PGM_RSRC2:TGID_Y_EN: 1
; COMPUTE_PGM_RSRC2:TGID_Z_EN: 0
; COMPUTE_PGM_RSRC2:TIDIG_COMP_CNT: 0
; COMPUTE_PGM_RSRC3_GFX90A:ACCUM_OFFSET: 23
; COMPUTE_PGM_RSRC3_GFX90A:TG_SPLIT: 0
	.section	.text._ZN5aiter35fused_qk_rmsnorm_group_quant_kernelIDF16_DB8_Li128ELi16ELi4ELb0ELb1ELb1ELb0ELb0ELb0EEEvPT0_PvPT_S6_S6_PKS5_S8_S8_S8_S8_ffiiiiiiiiiiiii,"axG",@progbits,_ZN5aiter35fused_qk_rmsnorm_group_quant_kernelIDF16_DB8_Li128ELi16ELi4ELb0ELb1ELb1ELb0ELb0ELb0EEEvPT0_PvPT_S6_S6_PKS5_S8_S8_S8_S8_ffiiiiiiiiiiiii,comdat
	.protected	_ZN5aiter35fused_qk_rmsnorm_group_quant_kernelIDF16_DB8_Li128ELi16ELi4ELb0ELb1ELb1ELb0ELb0ELb0EEEvPT0_PvPT_S6_S6_PKS5_S8_S8_S8_S8_ffiiiiiiiiiiiii ; -- Begin function _ZN5aiter35fused_qk_rmsnorm_group_quant_kernelIDF16_DB8_Li128ELi16ELi4ELb0ELb1ELb1ELb0ELb0ELb0EEEvPT0_PvPT_S6_S6_PKS5_S8_S8_S8_S8_ffiiiiiiiiiiiii
	.globl	_ZN5aiter35fused_qk_rmsnorm_group_quant_kernelIDF16_DB8_Li128ELi16ELi4ELb0ELb1ELb1ELb0ELb0ELb0EEEvPT0_PvPT_S6_S6_PKS5_S8_S8_S8_S8_ffiiiiiiiiiiiii
	.p2align	8
	.type	_ZN5aiter35fused_qk_rmsnorm_group_quant_kernelIDF16_DB8_Li128ELi16ELi4ELb0ELb1ELb1ELb0ELb0ELb0EEEvPT0_PvPT_S6_S6_PKS5_S8_S8_S8_S8_ffiiiiiiiiiiiii,@function
_ZN5aiter35fused_qk_rmsnorm_group_quant_kernelIDF16_DB8_Li128ELi16ELi4ELb0ELb1ELb1ELb0ELb0ELb0EEEvPT0_PvPT_S6_S6_PKS5_S8_S8_S8_S8_ffiiiiiiiiiiiii: ; @_ZN5aiter35fused_qk_rmsnorm_group_quant_kernelIDF16_DB8_Li128ELi16ELi4ELb0ELb1ELb1ELb0ELb0ELb0EEEvPT0_PvPT_S6_S6_PKS5_S8_S8_S8_S8_ffiiiiiiiiiiiii
; %bb.0:
	s_load_dwordx4 s[16:19], s[4:5], 0x50
	s_waitcnt lgkmcnt(0)
	s_cmp_ge_i32 s6, s18
	s_cbranch_scc1 .LBB681_12
; %bb.1:
	s_load_dwordx2 s[12:13], s[4:5], 0x48
	s_load_dwordx2 s[30:31], s[4:5], 0x30
	s_load_dwordx4 s[20:23], s[4:5], 0x60
	s_cmp_lg_u32 s7, 0
	s_cselect_b64 s[14:15], -1, 0
	s_cmp_eq_u32 s7, 0
	s_cselect_b64 vcc, -1, 0
	s_and_b64 s[0:1], vcc, exec
	s_waitcnt lgkmcnt(0)
	s_cselect_b32 s7, s19, s20
	s_add_i32 s0, s7, 1
	s_lshr_b32 s1, s0, 31
	s_add_i32 s0, s0, s1
	s_lshl_b32 s0, s0, 1
	v_lshlrev_b32_e32 v1, 4, v0
	s_and_b32 s10, s0, -4
	v_cmp_gt_i32_e64 s[2:3], s7, v1
	v_mov_b32_e32 v18, 0
	v_mov_b32_e32 v6, 0
	;; [unrolled: 1-line block ×17, first 2 shown]
	s_and_saveexec_b64 s[0:1], s[2:3]
	s_cbranch_execz .LBB681_3
; %bb.2:
	s_load_dwordx2 s[8:9], s[4:5], 0x28
	s_load_dwordx2 s[26:27], s[4:5], 0x40
	s_and_b64 s[24:25], vcc, exec
	s_cselect_b32 s11, s21, s22
	v_lshlrev_b32_e32 v19, 5, v0
	s_waitcnt lgkmcnt(0)
	s_cselect_b32 s18, s9, s31
	s_cselect_b32 s21, s8, s30
	s_mul_hi_i32 s9, s11, s6
	s_mul_i32 s8, s11, s6
	s_lshl_b64 s[8:9], s[8:9], 1
	s_add_u32 s24, s21, s8
	s_addc_u32 s18, s18, s9
	s_and_b64 s[8:9], vcc, exec
	s_mov_b32 s11, 0x20000
	s_cselect_b32 s8, s26, s12
	s_cselect_b32 s9, s27, s13
	s_and_b32 s25, s18, 0xffff
	s_mov_b32 s26, s10
	s_mov_b32 s27, s11
	s_and_b32 s9, s9, 0xffff
	buffer_load_dwordx4 v[14:17], v19, s[24:27], 0 offen
	buffer_load_dwordx4 v[10:13], v19, s[24:27], 16 offen
	;; [unrolled: 1-line block ×4, first 2 shown]
.LBB681_3:
	s_or_b64 exec, exec, s[0:1]
	v_mov_b32_e32 v19, 0
	v_mov_b32_e32 v32, 0
	;; [unrolled: 1-line block ×15, first 2 shown]
	s_and_saveexec_b64 s[0:1], s[2:3]
	s_cbranch_execz .LBB681_5
; %bb.4:
	s_waitcnt vmcnt(3)
	v_cvt_f32_f16_sdwa v19, v14 dst_sel:DWORD dst_unused:UNUSED_PAD src0_sel:WORD_1
	v_cvt_f32_f16_e32 v18, v14
	v_cvt_f32_f16_sdwa v33, v15 dst_sel:DWORD dst_unused:UNUSED_PAD src0_sel:WORD_1
	v_cvt_f32_f16_e32 v32, v15
	;; [unrolled: 2-line block ×4, first 2 shown]
	s_waitcnt vmcnt(2)
	v_cvt_f32_f16_sdwa v25, v10 dst_sel:DWORD dst_unused:UNUSED_PAD src0_sel:WORD_1
	v_cvt_f32_f16_e32 v24, v10
	v_cvt_f32_f16_sdwa v29, v11 dst_sel:DWORD dst_unused:UNUSED_PAD src0_sel:WORD_1
	v_cvt_f32_f16_e32 v28, v11
	;; [unrolled: 2-line block ×4, first 2 shown]
.LBB681_5:
	s_or_b64 exec, exec, s[0:1]
	s_waitcnt vmcnt(2)
	v_mul_f32_e32 v10, v19, v19
	v_fmac_f32_e32 v10, v18, v18
	v_fmac_f32_e32 v10, v32, v32
	;; [unrolled: 1-line block ×15, first 2 shown]
	v_and_b32_e32 v12, 63, v0
	v_cmp_eq_u32_e64 s[0:1], 63, v12
	v_mov_b32_dpp v11, v10 quad_perm:[1,0,3,2] row_mask:0xf bank_mask:0xf
	v_add_f32_e32 v10, v10, v11
	s_nop 1
	v_mov_b32_dpp v11, v10 quad_perm:[2,3,0,1] row_mask:0xf bank_mask:0xf
	v_add_f32_e32 v10, v10, v11
	s_nop 1
	v_mov_b32_dpp v11, v10 row_half_mirror row_mask:0xf bank_mask:0xf
	v_add_f32_e32 v10, v10, v11
	s_nop 1
	v_mov_b32_dpp v11, v10 row_mirror row_mask:0xf bank_mask:0xf
	v_add_f32_e32 v10, v10, v11
	s_nop 1
	v_mov_b32_dpp v11, v10 row_bcast:15 row_mask:0xf bank_mask:0xf
	v_add_f32_e32 v10, v10, v11
	s_nop 1
	v_mov_b32_dpp v11, v10 row_bcast:31 row_mask:0xf bank_mask:0xf
	s_and_saveexec_b64 s[8:9], s[0:1]
	s_cbranch_execz .LBB681_7
; %bb.6:
	v_add_f32_e32 v10, v10, v11
	v_lshrrev_b32_e32 v11, 4, v0
	v_and_b32_e32 v11, 60, v11
	ds_write_b32 v11, v10 offset:8
.LBB681_7:
	s_or_b64 exec, exec, s[8:9]
	v_and_b32_e32 v10, 1, v0
	v_lshlrev_b32_e32 v34, 2, v10
	s_waitcnt lgkmcnt(0)
	s_barrier
	ds_read_b32 v10, v34 offset:8
	s_load_dwordx2 s[28:29], s[4:5], 0x18
	s_waitcnt lgkmcnt(0)
	v_mov_b32_dpp v11, v10 quad_perm:[1,0,3,2] row_mask:0xf bank_mask:0xf
	s_and_saveexec_b64 s[8:9], s[2:3]
	s_cbranch_execz .LBB681_9
; %bb.8:
	v_cvt_f32_u32_e32 v12, s7
	v_add_f32_e32 v10, v10, v11
	v_mov_b32_e32 v14, s17
	v_mov_b32_e32 v15, s16
	v_div_scale_f32 v11, s[24:25], v12, v12, v10
	v_rcp_f32_e32 v13, v11
	v_cndmask_b32_e32 v14, v14, v15, vcc
	s_mov_b32 s7, 0x800000
	v_fma_f32 v15, -v11, v13, 1.0
	v_fmac_f32_e32 v13, v15, v13
	v_div_scale_f32 v15, vcc, v10, v12, v10
	v_mul_f32_e32 v16, v15, v13
	v_fma_f32 v17, -v11, v16, v15
	v_fmac_f32_e32 v16, v17, v13
	v_fma_f32 v11, -v11, v16, v15
	v_div_fmas_f32 v11, v11, v13, v16
	v_div_fixup_f32 v10, v11, v12, v10
	v_add_f32_e32 v10, v14, v10
	v_mul_f32_e32 v11, 0x4b800000, v10
	v_cmp_gt_f32_e32 vcc, s7, v10
	v_cndmask_b32_e32 v10, v10, v11, vcc
	v_rsq_f32_e32 v10, v10
	v_mul_f32_e32 v11, 0x45800000, v10
	v_cndmask_b32_e32 v10, v10, v11, vcc
	v_mov_b32_e32 v11, v10
	;;#ASMSTART
	v_pk_mul_f32 v[12:13], v[18:19], v[10:11]
	;;#ASMEND
	s_waitcnt vmcnt(1)
	v_cvt_f32_f16_sdwa v19, v6 dst_sel:DWORD dst_unused:UNUSED_PAD src0_sel:WORD_1
	v_cvt_f32_f16_e32 v18, v6
	;;#ASMSTART
	v_pk_mul_f32 v[14:15], v[32:33], v[10:11]
	;;#ASMEND
	;;#ASMSTART
	v_pk_mul_f32 v[16:17], v[26:27], v[10:11]
	;;#ASMEND
	v_cvt_f32_f16_sdwa v27, v7 dst_sel:DWORD dst_unused:UNUSED_PAD src0_sel:WORD_1
	v_cvt_f32_f16_e32 v26, v7
	;;#ASMSTART
	v_pk_mul_f32 v[30:31], v[30:31], v[10:11]
	;;#ASMEND
	;;#ASMSTART
	v_pk_mul_f32 v[24:25], v[24:25], v[10:11]
	;;#ASMEND
	;; [unrolled: 3-line block ×5, first 2 shown]
	v_pk_add_f32 v[10:11], v[18:19], 1.0 op_sel_hi:[1,0]
	;;#ASMSTART
	v_pk_mul_f32 v[18:19], v[12:13], v[10:11]
	;;#ASMEND
	v_cvt_f32_f16_sdwa v13, v8 dst_sel:DWORD dst_unused:UNUSED_PAD src0_sel:WORD_1
	v_cvt_f32_f16_e32 v12, v8
	v_cvt_f32_f16_sdwa v21, v9 dst_sel:DWORD dst_unused:UNUSED_PAD src0_sel:WORD_1
	v_cvt_f32_f16_e32 v20, v9
	v_pk_add_f32 v[10:11], v[26:27], 1.0 op_sel_hi:[1,0]
	;;#ASMSTART
	v_pk_mul_f32 v[32:33], v[14:15], v[10:11]
	;;#ASMEND
	s_waitcnt vmcnt(0)
	v_cvt_f32_f16_sdwa v11, v2 dst_sel:DWORD dst_unused:UNUSED_PAD src0_sel:WORD_1
	v_cvt_f32_f16_e32 v10, v2
	v_pk_add_f32 v[8:9], v[12:13], 1.0 op_sel_hi:[1,0]
	;;#ASMSTART
	v_pk_mul_f32 v[26:27], v[16:17], v[8:9]
	;;#ASMEND
	v_pk_add_f32 v[8:9], v[20:21], 1.0 op_sel_hi:[1,0]
	v_cvt_f32_f16_sdwa v13, v3 dst_sel:DWORD dst_unused:UNUSED_PAD src0_sel:WORD_1
	v_cvt_f32_f16_e32 v12, v3
	;;#ASMSTART
	v_pk_mul_f32 v[30:31], v[30:31], v[8:9]
	;;#ASMEND
	v_cvt_f32_f16_sdwa v9, v4 dst_sel:DWORD dst_unused:UNUSED_PAD src0_sel:WORD_1
	v_cvt_f32_f16_e32 v8, v4
	v_pk_add_f32 v[2:3], v[10:11], 1.0 op_sel_hi:[1,0]
	v_cvt_f32_f16_sdwa v11, v5 dst_sel:DWORD dst_unused:UNUSED_PAD src0_sel:WORD_1
	v_cvt_f32_f16_e32 v10, v5
	;;#ASMSTART
	v_pk_mul_f32 v[24:25], v[24:25], v[2:3]
	;;#ASMEND
	v_pk_add_f32 v[2:3], v[12:13], 1.0 op_sel_hi:[1,0]
	;;#ASMSTART
	v_pk_mul_f32 v[28:29], v[28:29], v[2:3]
	;;#ASMEND
	v_pk_add_f32 v[2:3], v[8:9], 1.0 op_sel_hi:[1,0]
	;; [unrolled: 4-line block ×3, first 2 shown]
	;;#ASMSTART
	v_pk_mul_f32 v[20:21], v[6:7], v[2:3]
	;;#ASMEND
.LBB681_9:
	s_or_b64 exec, exec, s[8:9]
	s_load_dword s7, s[4:5], 0x80
	s_mov_b64 s[8:9], -1
	s_and_b64 vcc, exec, s[14:15]
	s_cbranch_vccnz .LBB681_13
; %bb.10:
	s_andn2_b64 vcc, exec, s[8:9]
	s_cbranch_vccz .LBB681_16
.LBB681_11:
	s_cmp_lt_i32 s20, 1
	s_cbranch_scc0 .LBB681_25
.LBB681_12:
	s_endpgm
.LBB681_13:
	s_and_saveexec_b64 s[14:15], s[2:3]
	s_cbranch_execz .LBB681_15
; %bb.14:
	s_waitcnt lgkmcnt(0)
	s_mul_hi_i32 s9, s7, s6
	s_mul_i32 s8, s7, s6
	s_waitcnt vmcnt(0)
	v_cvt_f16_f32_e32 v2, v18
	v_cvt_f16_f32_e32 v3, v32
	;; [unrolled: 1-line block ×8, first 2 shown]
	s_lshl_b64 s[8:9], s[8:9], 1
	s_add_u32 s8, s28, s8
	s_addc_u32 s9, s29, s9
	s_and_b32 s9, s9, 0xffff
	s_mov_b32 s11, 0x20000
	v_pack_b32_f16 v5, v5, v6
	v_pack_b32_f16 v4, v4, v7
	;; [unrolled: 1-line block ×4, first 2 shown]
	v_lshlrev_b32_e32 v6, 5, v0
	buffer_store_dwordx4 v[2:5], v6, s[8:11], 0 offen
	v_cvt_f16_f32_e32 v7, v21
	v_cvt_f16_f32_e32 v2, v24
	;; [unrolled: 1-line block ×8, first 2 shown]
	v_pack_b32_f16 v5, v5, v7
	v_pack_b32_f16 v4, v4, v8
	;; [unrolled: 1-line block ×4, first 2 shown]
	;;#ASMSTART
	s_nop 0
	;;#ASMEND
	buffer_store_dwordx4 v[2:5], v6, s[8:11], 16 offen
	;;#ASMSTART
	s_nop 0
	;;#ASMEND
.LBB681_15:
	s_or_b64 exec, exec, s[14:15]
	s_cbranch_execnz .LBB681_11
.LBB681_16:
	s_load_dwordx4 s[24:27], s[4:5], 0x70
	s_waitcnt vmcnt(0)
	v_mov_b32_e32 v2, 0
	s_and_saveexec_b64 s[14:15], s[2:3]
	s_cbranch_execz .LBB681_18
; %bb.17:
	s_load_dwordx2 s[8:9], s[4:5], 0x10
	s_waitcnt lgkmcnt(0)
	s_mul_hi_i32 s35, s27, s6
	s_mul_i32 s34, s27, s6
	v_cvt_f16_f32_e32 v2, v18
	v_cvt_f16_f32_e32 v3, v32
	;; [unrolled: 1-line block ×8, first 2 shown]
	s_lshl_b64 s[34:35], s[34:35], 1
	s_add_u32 s8, s8, s34
	s_addc_u32 s9, s9, s35
	s_mov_b32 s11, 0x20000
	s_and_b32 s9, s9, 0xffff
	v_pack_b32_f16 v5, v5, v6
	v_pack_b32_f16 v4, v4, v7
	v_pack_b32_f16 v3, v3, v8
	v_pack_b32_f16 v2, v2, v9
	v_lshlrev_b32_e32 v6, 5, v0
	buffer_store_dwordx4 v[2:5], v6, s[8:11], 0 offen
	v_cvt_f16_f32_e32 v7, v21
	v_cvt_f16_f32_e32 v2, v24
	;; [unrolled: 1-line block ×8, first 2 shown]
	v_pack_b32_f16 v5, v5, v7
	v_pack_b32_f16 v4, v4, v8
	;; [unrolled: 1-line block ×4, first 2 shown]
	;;#ASMSTART
	s_nop 0
	;;#ASMEND
	buffer_store_dwordx4 v[2:5], v6, s[8:11], 16 offen
	;;#ASMSTART
	s_nop 0
	;;#ASMEND
	s_nop 0
	v_mov_b32_e32 v2, 0x2edbe6ff
.LBB681_18:
	s_or_b64 exec, exec, s[14:15]
	s_and_saveexec_b64 s[8:9], s[2:3]
	s_cbranch_execz .LBB681_20
; %bb.19:
	v_and_b32_e32 v3, 0x7fffffff, v18
	v_and_b32_e32 v4, 0x7fffffff, v19
	;;#ASMSTART
	v_max3_f32 v2, v2, v3, v4

	;;#ASMEND
	v_and_b32_e32 v3, 0x7fffffff, v32
	v_and_b32_e32 v4, 0x7fffffff, v33
	;;#ASMSTART
	v_max3_f32 v2, v2, v3, v4

	;;#ASMEND
	;; [unrolled: 6-line block ×8, first 2 shown]
.LBB681_20:
	s_or_b64 exec, exec, s[8:9]
	;;#ASMSTART
	v_max_f32 v3, v2, v2 quad_perm:[1,0,3,2] row_mask:0xf bank_mask:0xf bound_ctrl:1
	;;#ASMEND
	;;#ASMSTART
	v_max_f32 v2, v3, v3 quad_perm:[2,3,0,1] row_mask:0xf bank_mask:0xf bound_ctrl:1
	;;#ASMEND
	v_and_b32_e32 v3, 3, v0
	v_cmp_eq_u32_e32 vcc, 0, v3
	v_cmp_gt_i32_e64 s[8:9], s19, v1
	v_mul_f32_e32 v2, 0x3b124925, v2
	s_and_b64 s[10:11], vcc, s[8:9]
	s_and_saveexec_b64 s[8:9], s[10:11]
	s_cbranch_execz .LBB681_22
; %bb.21:
	s_load_dwordx2 s[10:11], s[4:5], 0x8
	s_waitcnt lgkmcnt(0)
	s_mul_hi_i32 s15, s25, s6
	s_mul_i32 s14, s25, s6
	v_lshrrev_b32_e32 v3, 2, v0
	s_lshl_b64 s[14:15], s[14:15], 2
	v_mad_i64_i32 v[4:5], s[26:27], s26, v3, 0
	s_add_u32 s10, s10, s14
	s_addc_u32 s11, s11, s15
	v_lshlrev_b64 v[4:5], 2, v[4:5]
	v_mov_b32_e32 v3, s11
	v_add_co_u32_e32 v4, vcc, s10, v4
	v_addc_co_u32_e32 v5, vcc, v3, v5, vcc
	global_store_dword v[4:5], v2, off
.LBB681_22:
	s_or_b64 exec, exec, s[8:9]
	;;#ASMSTART
	v_rcp_f32 v2, v2
	;;#ASMEND
	s_and_saveexec_b64 s[14:15], s[2:3]
	s_cbranch_execz .LBB681_24
; %bb.23:
	s_load_dwordx2 s[2:3], s[4:5], 0x0
	s_waitcnt lgkmcnt(0)
	s_mul_i32 s8, s24, s6
	s_mul_hi_i32 s9, s24, s6
	v_mov_b32_e32 v3, v2
	;;#ASMSTART
	v_pk_mul_f32 v[4:5], v[18:19], v[2:3]
	;;#ASMEND
	s_add_u32 s8, s2, s8
	s_addc_u32 s2, s3, s9
	s_add_i32 s3, s19, 3
	s_ashr_i32 s10, s3, 31
	v_mov_b32_e32 v10, 0xc3e00000
	v_mov_b32_e32 v11, 0x43e00000
	;;#ASMSTART
	v_med3_f32 v4, v4, v10, v11
v_med3_f32 v5, v5, v10, v11
v_cvt_pk_fp8_f32 v6, v4, v5
	;;#ASMEND
	s_and_b32 s9, s2, 0xffff
	s_lshr_b32 s2, s10, 30
	;;#ASMSTART
	v_pk_mul_f32 v[4:5], v[32:33], v[2:3]
	;;#ASMEND
	s_add_i32 s3, s3, s2
	;;#ASMSTART
	v_med3_f32 v4, v4, v10, v11
v_med3_f32 v5, v5, v10, v11
v_cvt_pk_fp8_f32 v7, v4, v5
	;;#ASMEND
	s_mov_b32 s2, 0x5040100
	v_perm_b32 v4, v7, v6, s2
	s_mov_b32 s2, 0x1060504
	v_perm_b32 v4, v4, v7, s2
	;;#ASMSTART
	v_pk_mul_f32 v[6:7], v[26:27], v[2:3]
	;;#ASMEND
	v_mov_b32_e32 v5, v7
	;;#ASMSTART
	v_med3_f32 v6, v6, v10, v11
v_med3_f32 v5, v5, v10, v11
v_cvt_pk_fp8_f32 v8, v6, v5
	;;#ASMEND
	;;#ASMSTART
	v_pk_mul_f32 v[6:7], v[30:31], v[2:3]
	;;#ASMEND
	v_mov_b32_e32 v5, v7
	;;#ASMSTART
	v_med3_f32 v6, v6, v10, v11
v_med3_f32 v5, v5, v10, v11
v_cvt_pk_fp8_f32 v7, v6, v5
	;;#ASMEND
	s_mov_b32 s2, 0x1000504
	v_perm_b32 v5, v8, v7, s2
	;;#ASMSTART
	v_pk_mul_f32 v[6:7], v[24:25], v[2:3]
	;;#ASMEND
	;;#ASMSTART
	v_med3_f32 v6, v6, v10, v11
v_med3_f32 v7, v7, v10, v11
v_cvt_pk_fp8_f32 v8, v6, v7
	;;#ASMEND
	;;#ASMSTART
	v_pk_mul_f32 v[6:7], v[28:29], v[2:3]
	;;#ASMEND
	;;#ASMSTART
	v_med3_f32 v6, v6, v10, v11
v_med3_f32 v7, v7, v10, v11
v_cvt_pk_fp8_f32 v9, v6, v7
	;;#ASMEND
	v_perm_b32 v6, v8, v9, s2
	;;#ASMSTART
	v_pk_mul_f32 v[8:9], v[22:23], v[2:3]
	;;#ASMEND
	v_mov_b32_e32 v7, v9
	;;#ASMSTART
	v_med3_f32 v8, v8, v10, v11
v_med3_f32 v7, v7, v10, v11
v_cvt_pk_fp8_f32 v9, v8, v7
	;;#ASMEND
	;;#ASMSTART
	v_pk_mul_f32 v[2:3], v[20:21], v[2:3]
	;;#ASMEND
	;;#ASMSTART
	v_med3_f32 v2, v2, v10, v11
v_med3_f32 v3, v3, v10, v11
v_cvt_pk_fp8_f32 v7, v2, v3
	;;#ASMEND
	s_and_b32 s10, s3, -4
	s_mov_b32 s11, 0x20000
	v_perm_b32 v7, v9, v7, s2
	buffer_store_dwordx4 v[4:7], v1, s[8:11], 0 offen
	;;#ASMSTART
	s_nop 0
	;;#ASMEND
.LBB681_24:
	s_or_b64 exec, exec, s[14:15]
	s_cmp_lt_i32 s20, 1
	s_cbranch_scc1 .LBB681_12
.LBB681_25:
	s_load_dword s2, s[4:5], 0x94
	s_waitcnt lgkmcnt(0)
	s_cmp_lg_u32 s2, 1
	s_cbranch_scc1 .LBB681_12
; %bb.26:
	s_lshl_b32 s2, s20, 1
	s_add_i32 s2, s2, 2
	v_cmp_gt_u32_e32 vcc, s20, v1
	s_and_b32 s14, s2, -4
	v_mov_b32_e32 v18, 0
	v_lshlrev_b32_e32 v1, 5, v0
	v_mov_b32_e32 v14, 0
	v_mov_b32_e32 v15, 0
	;; [unrolled: 1-line block ×8, first 2 shown]
	s_waitcnt vmcnt(1)
	v_mov_b32_e32 v6, 0
	v_mov_b32_e32 v7, 0
	;; [unrolled: 1-line block ×4, first 2 shown]
	s_waitcnt vmcnt(0)
	v_mov_b32_e32 v2, 0
	v_mov_b32_e32 v3, 0
	;; [unrolled: 1-line block ×4, first 2 shown]
	s_barrier
	s_and_saveexec_b64 s[2:3], vcc
	s_cbranch_execz .LBB681_28
; %bb.27:
	s_mul_hi_i32 s5, s22, s6
	s_mul_i32 s4, s22, s6
	s_and_b32 s13, s13, 0xffff
	s_lshl_b64 s[4:5], s[4:5], 1
	s_add_u32 s8, s30, s4
	s_mov_b32 s15, 0x20000
	s_addc_u32 s4, s31, s5
	s_and_b32 s9, s4, 0xffff
	s_mov_b32 s10, s14
	s_mov_b32 s11, s15
	buffer_load_dwordx4 v[14:17], v1, s[8:11], 0 offen
	buffer_load_dwordx4 v[10:13], v1, s[8:11], 16 offen
	;; [unrolled: 1-line block ×4, first 2 shown]
.LBB681_28:
	s_or_b64 exec, exec, s[2:3]
	v_mov_b32_e32 v19, 0
	v_mov_b32_e32 v32, 0
	;; [unrolled: 1-line block ×15, first 2 shown]
	s_and_saveexec_b64 s[2:3], vcc
	s_cbranch_execz .LBB681_30
; %bb.29:
	s_waitcnt vmcnt(3)
	v_cvt_f32_f16_sdwa v19, v14 dst_sel:DWORD dst_unused:UNUSED_PAD src0_sel:WORD_1
	v_cvt_f32_f16_e32 v18, v14
	v_cvt_f32_f16_sdwa v33, v15 dst_sel:DWORD dst_unused:UNUSED_PAD src0_sel:WORD_1
	v_cvt_f32_f16_e32 v32, v15
	v_cvt_f32_f16_sdwa v31, v16 dst_sel:DWORD dst_unused:UNUSED_PAD src0_sel:WORD_1
	v_cvt_f32_f16_e32 v30, v16
	v_cvt_f32_f16_sdwa v29, v17 dst_sel:DWORD dst_unused:UNUSED_PAD src0_sel:WORD_1
	v_cvt_f32_f16_e32 v28, v17
	s_waitcnt vmcnt(2)
	v_cvt_f32_f16_sdwa v27, v10 dst_sel:DWORD dst_unused:UNUSED_PAD src0_sel:WORD_1
	v_cvt_f32_f16_e32 v26, v10
	v_cvt_f32_f16_sdwa v25, v11 dst_sel:DWORD dst_unused:UNUSED_PAD src0_sel:WORD_1
	v_cvt_f32_f16_e32 v24, v11
	;; [unrolled: 2-line block ×4, first 2 shown]
.LBB681_30:
	s_or_b64 exec, exec, s[2:3]
	s_waitcnt vmcnt(2)
	v_mul_f32_e32 v10, v19, v19
	v_fmac_f32_e32 v10, v18, v18
	v_fmac_f32_e32 v10, v32, v32
	;; [unrolled: 1-line block ×15, first 2 shown]
	s_nop 1
	v_mov_b32_dpp v11, v10 quad_perm:[1,0,3,2] row_mask:0xf bank_mask:0xf
	v_add_f32_e32 v10, v10, v11
	s_nop 1
	v_mov_b32_dpp v11, v10 quad_perm:[2,3,0,1] row_mask:0xf bank_mask:0xf
	v_add_f32_e32 v10, v10, v11
	s_nop 1
	v_mov_b32_dpp v11, v10 row_half_mirror row_mask:0xf bank_mask:0xf
	v_add_f32_e32 v10, v10, v11
	s_nop 1
	v_mov_b32_dpp v11, v10 row_mirror row_mask:0xf bank_mask:0xf
	v_add_f32_e32 v10, v10, v11
	s_nop 1
	v_mov_b32_dpp v11, v10 row_bcast:15 row_mask:0xf bank_mask:0xf
	v_add_f32_e32 v10, v10, v11
	s_nop 1
	v_mov_b32_dpp v11, v10 row_bcast:31 row_mask:0xf bank_mask:0xf
	s_and_saveexec_b64 s[2:3], s[0:1]
	s_cbranch_execz .LBB681_32
; %bb.31:
	v_lshrrev_b32_e32 v0, 4, v0
	v_add_f32_e32 v10, v10, v11
	v_and_b32_e32 v0, 60, v0
	ds_write_b32 v0, v10
.LBB681_32:
	s_or_b64 exec, exec, s[2:3]
	s_waitcnt lgkmcnt(0)
	s_barrier
	ds_read_b32 v0, v34
	s_waitcnt lgkmcnt(0)
	s_nop 0
	v_mov_b32_dpp v10, v0 quad_perm:[1,0,3,2] row_mask:0xf bank_mask:0xf
	s_and_saveexec_b64 s[0:1], vcc
	s_cbranch_execz .LBB681_12
; %bb.33:
	v_cvt_f32_u32_e32 v11, s20
	v_add_f32_e32 v0, v0, v10
	s_mov_b32 s15, 0x20000
	v_div_scale_f32 v10, s[0:1], v11, v11, v0
	v_rcp_f32_e32 v12, v10
	v_div_scale_f32 v13, vcc, v0, v11, v0
	s_mov_b32 s0, 0x800000
	v_fma_f32 v14, -v10, v12, 1.0
	v_fmac_f32_e32 v12, v14, v12
	v_mul_f32_e32 v14, v13, v12
	v_fma_f32 v15, -v10, v14, v13
	v_fmac_f32_e32 v14, v15, v12
	v_fma_f32 v10, -v10, v14, v13
	v_div_fmas_f32 v10, v10, v12, v14
	v_div_fixup_f32 v0, v10, v11, v0
	v_add_f32_e32 v0, s17, v0
	v_mul_f32_e32 v10, 0x4b800000, v0
	v_cmp_gt_f32_e32 vcc, s0, v0
	v_cndmask_b32_e32 v0, v0, v10, vcc
	v_rsq_f32_e32 v0, v0
	s_mul_hi_i32 s1, s7, s6
	s_mul_i32 s0, s7, s6
	s_lshl_b64 s[0:1], s[0:1], 1
	v_mul_f32_e32 v10, 0x45800000, v0
	v_cndmask_b32_e32 v10, v0, v10, vcc
	v_mov_b32_e32 v11, v10
	;;#ASMSTART
	v_pk_mul_f32 v[12:13], v[18:19], v[10:11]
	;;#ASMEND
	;;#ASMSTART
	v_pk_mul_f32 v[14:15], v[32:33], v[10:11]
	;;#ASMEND
	;; [unrolled: 3-line block ×4, first 2 shown]
	s_waitcnt vmcnt(1)
	v_cvt_f32_f16_sdwa v29, v6 dst_sel:DWORD dst_unused:UNUSED_PAD src0_sel:WORD_1
	v_cvt_f32_f16_e32 v28, v6
	v_cvt_f32_f16_sdwa v31, v7 dst_sel:DWORD dst_unused:UNUSED_PAD src0_sel:WORD_1
	v_cvt_f32_f16_e32 v30, v7
	;;#ASMSTART
	v_pk_mul_f32 v[26:27], v[26:27], v[10:11]
	;;#ASMEND
	;;#ASMSTART
	v_pk_mul_f32 v[24:25], v[24:25], v[10:11]
	;;#ASMEND
	;; [unrolled: 3-line block ×4, first 2 shown]
	v_cvt_f32_f16_sdwa v21, v8 dst_sel:DWORD dst_unused:UNUSED_PAD src0_sel:WORD_1
	v_cvt_f32_f16_e32 v20, v8
	v_pk_add_f32 v[10:11], v[28:29], 1.0 op_sel_hi:[1,0]
	;;#ASMSTART
	v_pk_mul_f32 v[10:11], v[12:13], v[10:11]
	;;#ASMEND
	v_pk_add_f32 v[12:13], v[30:31], 1.0 op_sel_hi:[1,0]
	v_cvt_f32_f16_sdwa v29, v9 dst_sel:DWORD dst_unused:UNUSED_PAD src0_sel:WORD_1
	v_cvt_f32_f16_e32 v28, v9
	;;#ASMSTART
	v_pk_mul_f32 v[8:9], v[14:15], v[12:13]
	;;#ASMEND
	v_pk_add_f32 v[12:13], v[20:21], 1.0 op_sel_hi:[1,0]
	;;#ASMSTART
	v_pk_mul_f32 v[12:13], v[16:17], v[12:13]
	;;#ASMEND
	s_waitcnt vmcnt(0)
	v_cvt_f32_f16_sdwa v17, v2 dst_sel:DWORD dst_unused:UNUSED_PAD src0_sel:WORD_1
	v_cvt_f32_f16_e32 v16, v2
	v_cvt_f32_f16_sdwa v21, v3 dst_sel:DWORD dst_unused:UNUSED_PAD src0_sel:WORD_1
	v_cvt_f32_f16_e32 v20, v3
	v_pk_add_f32 v[14:15], v[28:29], 1.0 op_sel_hi:[1,0]
	;;#ASMSTART
	v_pk_mul_f32 v[2:3], v[18:19], v[14:15]
	;;#ASMEND
	v_cvt_f32_f16_sdwa v19, v4 dst_sel:DWORD dst_unused:UNUSED_PAD src0_sel:WORD_1
	v_cvt_f32_f16_e32 v18, v4
	v_pk_add_f32 v[14:15], v[16:17], 1.0 op_sel_hi:[1,0]
	v_pk_add_f32 v[16:17], v[20:21], 1.0 op_sel_hi:[1,0]
	v_cvt_f32_f16_sdwa v21, v5 dst_sel:DWORD dst_unused:UNUSED_PAD src0_sel:WORD_1
	v_cvt_f32_f16_e32 v20, v5
	v_pk_add_f32 v[4:5], v[18:19], 1.0 op_sel_hi:[1,0]
	;;#ASMSTART
	v_pk_mul_f32 v[14:15], v[26:27], v[14:15]
	;;#ASMEND
	;;#ASMSTART
	v_pk_mul_f32 v[16:17], v[24:25], v[16:17]
	;;#ASMEND
	;;#ASMSTART
	v_pk_mul_f32 v[18:19], v[22:23], v[4:5]
	;;#ASMEND
	v_pk_add_f32 v[4:5], v[20:21], 1.0 op_sel_hi:[1,0]
	;;#ASMSTART
	v_pk_mul_f32 v[6:7], v[6:7], v[4:5]
	;;#ASMEND
	v_cvt_f16_f32_e32 v0, v10
	v_cvt_f16_f32_e32 v4, v11
	;; [unrolled: 1-line block ×8, first 2 shown]
	s_add_u32 s12, s28, s0
	s_addc_u32 s0, s29, s1
	s_and_b32 s13, s0, 0xffff
	v_pack_b32_f16 v2, v0, v4
	v_pack_b32_f16 v3, v5, v8
	;; [unrolled: 1-line block ×4, first 2 shown]
	buffer_store_dwordx4 v[2:5], v1, s[12:15], 0 offen
	v_cvt_f16_f32_e32 v0, v14
	v_cvt_f16_f32_e32 v2, v15
	;; [unrolled: 1-line block ×8, first 2 shown]
	v_pack_b32_f16 v2, v0, v2
	v_pack_b32_f16 v3, v3, v4
	;; [unrolled: 1-line block ×4, first 2 shown]
	;;#ASMSTART
	s_nop 0
	;;#ASMEND
	buffer_store_dwordx4 v[2:5], v1, s[12:15], 16 offen
	;;#ASMSTART
	s_nop 0
	;;#ASMEND
	s_endpgm
	.section	.rodata,"a",@progbits
	.p2align	6, 0x0
	.amdhsa_kernel _ZN5aiter35fused_qk_rmsnorm_group_quant_kernelIDF16_DB8_Li128ELi16ELi4ELb0ELb1ELb1ELb0ELb0ELb0EEEvPT0_PvPT_S6_S6_PKS5_S8_S8_S8_S8_ffiiiiiiiiiiiii
		.amdhsa_group_segment_fixed_size 16
		.amdhsa_private_segment_fixed_size 0
		.amdhsa_kernarg_size 400
		.amdhsa_user_sgpr_count 6
		.amdhsa_user_sgpr_private_segment_buffer 1
		.amdhsa_user_sgpr_dispatch_ptr 0
		.amdhsa_user_sgpr_queue_ptr 0
		.amdhsa_user_sgpr_kernarg_segment_ptr 1
		.amdhsa_user_sgpr_dispatch_id 0
		.amdhsa_user_sgpr_flat_scratch_init 0
		.amdhsa_user_sgpr_kernarg_preload_length 0
		.amdhsa_user_sgpr_kernarg_preload_offset 0
		.amdhsa_user_sgpr_private_segment_size 0
		.amdhsa_uses_dynamic_stack 0
		.amdhsa_system_sgpr_private_segment_wavefront_offset 0
		.amdhsa_system_sgpr_workgroup_id_x 1
		.amdhsa_system_sgpr_workgroup_id_y 1
		.amdhsa_system_sgpr_workgroup_id_z 0
		.amdhsa_system_sgpr_workgroup_info 0
		.amdhsa_system_vgpr_workitem_id 0
		.amdhsa_next_free_vgpr 35
		.amdhsa_next_free_sgpr 36
		.amdhsa_accum_offset 36
		.amdhsa_reserve_vcc 1
		.amdhsa_reserve_flat_scratch 0
		.amdhsa_float_round_mode_32 0
		.amdhsa_float_round_mode_16_64 0
		.amdhsa_float_denorm_mode_32 3
		.amdhsa_float_denorm_mode_16_64 3
		.amdhsa_dx10_clamp 1
		.amdhsa_ieee_mode 1
		.amdhsa_fp16_overflow 0
		.amdhsa_tg_split 0
		.amdhsa_exception_fp_ieee_invalid_op 0
		.amdhsa_exception_fp_denorm_src 0
		.amdhsa_exception_fp_ieee_div_zero 0
		.amdhsa_exception_fp_ieee_overflow 0
		.amdhsa_exception_fp_ieee_underflow 0
		.amdhsa_exception_fp_ieee_inexact 0
		.amdhsa_exception_int_div_zero 0
	.end_amdhsa_kernel
	.section	.text._ZN5aiter35fused_qk_rmsnorm_group_quant_kernelIDF16_DB8_Li128ELi16ELi4ELb0ELb1ELb1ELb0ELb0ELb0EEEvPT0_PvPT_S6_S6_PKS5_S8_S8_S8_S8_ffiiiiiiiiiiiii,"axG",@progbits,_ZN5aiter35fused_qk_rmsnorm_group_quant_kernelIDF16_DB8_Li128ELi16ELi4ELb0ELb1ELb1ELb0ELb0ELb0EEEvPT0_PvPT_S6_S6_PKS5_S8_S8_S8_S8_ffiiiiiiiiiiiii,comdat
.Lfunc_end681:
	.size	_ZN5aiter35fused_qk_rmsnorm_group_quant_kernelIDF16_DB8_Li128ELi16ELi4ELb0ELb1ELb1ELb0ELb0ELb0EEEvPT0_PvPT_S6_S6_PKS5_S8_S8_S8_S8_ffiiiiiiiiiiiii, .Lfunc_end681-_ZN5aiter35fused_qk_rmsnorm_group_quant_kernelIDF16_DB8_Li128ELi16ELi4ELb0ELb1ELb1ELb0ELb0ELb0EEEvPT0_PvPT_S6_S6_PKS5_S8_S8_S8_S8_ffiiiiiiiiiiiii
                                        ; -- End function
	.section	.AMDGPU.csdata,"",@progbits
; Kernel info:
; codeLenInByte = 3744
; NumSgprs: 40
; NumVgprs: 35
; NumAgprs: 0
; TotalNumVgprs: 35
; ScratchSize: 0
; MemoryBound: 0
; FloatMode: 240
; IeeeMode: 1
; LDSByteSize: 16 bytes/workgroup (compile time only)
; SGPRBlocks: 4
; VGPRBlocks: 4
; NumSGPRsForWavesPerEU: 40
; NumVGPRsForWavesPerEU: 35
; AccumOffset: 36
; Occupancy: 8
; WaveLimiterHint : 0
; COMPUTE_PGM_RSRC2:SCRATCH_EN: 0
; COMPUTE_PGM_RSRC2:USER_SGPR: 6
; COMPUTE_PGM_RSRC2:TRAP_HANDLER: 0
; COMPUTE_PGM_RSRC2:TGID_X_EN: 1
; COMPUTE_PGM_RSRC2:TGID_Y_EN: 1
; COMPUTE_PGM_RSRC2:TGID_Z_EN: 0
; COMPUTE_PGM_RSRC2:TIDIG_COMP_CNT: 0
; COMPUTE_PGM_RSRC3_GFX90A:ACCUM_OFFSET: 8
; COMPUTE_PGM_RSRC3_GFX90A:TG_SPLIT: 0
	.section	.text._ZN5aiter35fused_qk_rmsnorm_group_quant_kernelItDB8_Li128ELi16ELi4ELb0ELb1ELb1ELb0ELb0ELb0EEEvPT0_PvPT_S6_S6_PKS5_S8_S8_S8_S8_ffiiiiiiiiiiiii,"axG",@progbits,_ZN5aiter35fused_qk_rmsnorm_group_quant_kernelItDB8_Li128ELi16ELi4ELb0ELb1ELb1ELb0ELb0ELb0EEEvPT0_PvPT_S6_S6_PKS5_S8_S8_S8_S8_ffiiiiiiiiiiiii,comdat
	.protected	_ZN5aiter35fused_qk_rmsnorm_group_quant_kernelItDB8_Li128ELi16ELi4ELb0ELb1ELb1ELb0ELb0ELb0EEEvPT0_PvPT_S6_S6_PKS5_S8_S8_S8_S8_ffiiiiiiiiiiiii ; -- Begin function _ZN5aiter35fused_qk_rmsnorm_group_quant_kernelItDB8_Li128ELi16ELi4ELb0ELb1ELb1ELb0ELb0ELb0EEEvPT0_PvPT_S6_S6_PKS5_S8_S8_S8_S8_ffiiiiiiiiiiiii
	.globl	_ZN5aiter35fused_qk_rmsnorm_group_quant_kernelItDB8_Li128ELi16ELi4ELb0ELb1ELb1ELb0ELb0ELb0EEEvPT0_PvPT_S6_S6_PKS5_S8_S8_S8_S8_ffiiiiiiiiiiiii
	.p2align	8
	.type	_ZN5aiter35fused_qk_rmsnorm_group_quant_kernelItDB8_Li128ELi16ELi4ELb0ELb1ELb1ELb0ELb0ELb0EEEvPT0_PvPT_S6_S6_PKS5_S8_S8_S8_S8_ffiiiiiiiiiiiii,@function
_ZN5aiter35fused_qk_rmsnorm_group_quant_kernelItDB8_Li128ELi16ELi4ELb0ELb1ELb1ELb0ELb0ELb0EEEvPT0_PvPT_S6_S6_PKS5_S8_S8_S8_S8_ffiiiiiiiiiiiii: ; @_ZN5aiter35fused_qk_rmsnorm_group_quant_kernelItDB8_Li128ELi16ELi4ELb0ELb1ELb1ELb0ELb0ELb0EEEvPT0_PvPT_S6_S6_PKS5_S8_S8_S8_S8_ffiiiiiiiiiiiii
; %bb.0:
	s_load_dwordx4 s[16:19], s[4:5], 0x50
	s_waitcnt lgkmcnt(0)
	s_cmp_ge_i32 s6, s18
	s_cbranch_scc1 .LBB682_12
; %bb.1:
	s_load_dwordx2 s[12:13], s[4:5], 0x48
	s_load_dwordx2 s[30:31], s[4:5], 0x30
	s_load_dwordx4 s[20:23], s[4:5], 0x60
	s_cmp_lg_u32 s7, 0
	s_cselect_b64 s[14:15], -1, 0
	s_cmp_eq_u32 s7, 0
	s_cselect_b64 vcc, -1, 0
	s_and_b64 s[0:1], vcc, exec
	s_waitcnt lgkmcnt(0)
	s_cselect_b32 s7, s19, s20
	s_add_i32 s0, s7, 1
	s_lshr_b32 s1, s0, 31
	s_add_i32 s0, s0, s1
	s_lshl_b32 s0, s0, 1
	v_lshlrev_b32_e32 v1, 4, v0
	s_and_b32 s10, s0, -4
	v_cmp_gt_i32_e64 s[2:3], s7, v1
	v_mov_b32_e32 v18, 0
	v_mov_b32_e32 v6, 0
	;; [unrolled: 1-line block ×17, first 2 shown]
	s_and_saveexec_b64 s[0:1], s[2:3]
	s_cbranch_execz .LBB682_3
; %bb.2:
	s_load_dwordx2 s[8:9], s[4:5], 0x28
	s_load_dwordx2 s[26:27], s[4:5], 0x40
	s_and_b64 s[24:25], vcc, exec
	s_cselect_b32 s11, s21, s22
	v_lshlrev_b32_e32 v19, 5, v0
	s_waitcnt lgkmcnt(0)
	s_cselect_b32 s18, s9, s31
	s_cselect_b32 s21, s8, s30
	s_mul_hi_i32 s9, s11, s6
	s_mul_i32 s8, s11, s6
	s_lshl_b64 s[8:9], s[8:9], 1
	s_add_u32 s24, s21, s8
	s_addc_u32 s18, s18, s9
	s_and_b64 s[8:9], vcc, exec
	s_mov_b32 s11, 0x20000
	s_cselect_b32 s8, s26, s12
	s_cselect_b32 s9, s27, s13
	s_and_b32 s25, s18, 0xffff
	s_mov_b32 s26, s10
	s_mov_b32 s27, s11
	s_and_b32 s9, s9, 0xffff
	buffer_load_dwordx4 v[14:17], v19, s[24:27], 0 offen
	buffer_load_dwordx4 v[10:13], v19, s[24:27], 16 offen
	;; [unrolled: 1-line block ×4, first 2 shown]
.LBB682_3:
	s_or_b64 exec, exec, s[0:1]
	v_mov_b32_e32 v19, 0
	v_mov_b32_e32 v32, 0
	;; [unrolled: 1-line block ×15, first 2 shown]
	s_and_saveexec_b64 s[0:1], s[2:3]
	s_cbranch_execz .LBB682_5
; %bb.4:
	s_waitcnt vmcnt(3)
	v_cvt_f32_u32_sdwa v18, v14 dst_sel:DWORD dst_unused:UNUSED_PAD src0_sel:WORD_0
	v_cvt_f32_u32_sdwa v19, v14 dst_sel:DWORD dst_unused:UNUSED_PAD src0_sel:WORD_1
	v_cvt_f32_u32_sdwa v32, v15 dst_sel:DWORD dst_unused:UNUSED_PAD src0_sel:WORD_0
	v_cvt_f32_u32_sdwa v33, v15 dst_sel:DWORD dst_unused:UNUSED_PAD src0_sel:WORD_1
	;; [unrolled: 2-line block ×4, first 2 shown]
	s_waitcnt vmcnt(2)
	v_cvt_f32_u32_sdwa v24, v10 dst_sel:DWORD dst_unused:UNUSED_PAD src0_sel:WORD_0
	v_cvt_f32_u32_sdwa v25, v10 dst_sel:DWORD dst_unused:UNUSED_PAD src0_sel:WORD_1
	v_cvt_f32_u32_sdwa v28, v11 dst_sel:DWORD dst_unused:UNUSED_PAD src0_sel:WORD_0
	v_cvt_f32_u32_sdwa v29, v11 dst_sel:DWORD dst_unused:UNUSED_PAD src0_sel:WORD_1
	;; [unrolled: 2-line block ×4, first 2 shown]
.LBB682_5:
	s_or_b64 exec, exec, s[0:1]
	s_waitcnt vmcnt(2)
	v_mul_f32_e32 v10, v19, v19
	v_fmac_f32_e32 v10, v18, v18
	v_fmac_f32_e32 v10, v32, v32
	v_fmac_f32_e32 v10, v33, v33
	v_fmac_f32_e32 v10, v26, v26
	v_fmac_f32_e32 v10, v27, v27
	v_fmac_f32_e32 v10, v30, v30
	v_fmac_f32_e32 v10, v31, v31
	v_fmac_f32_e32 v10, v24, v24
	v_fmac_f32_e32 v10, v25, v25
	v_fmac_f32_e32 v10, v28, v28
	v_fmac_f32_e32 v10, v29, v29
	v_fmac_f32_e32 v10, v22, v22
	v_fmac_f32_e32 v10, v23, v23
	v_fmac_f32_e32 v10, v20, v20
	v_fmac_f32_e32 v10, v21, v21
	v_and_b32_e32 v12, 63, v0
	v_cmp_eq_u32_e64 s[0:1], 63, v12
	v_mov_b32_dpp v11, v10 quad_perm:[1,0,3,2] row_mask:0xf bank_mask:0xf
	v_add_f32_e32 v10, v10, v11
	s_nop 1
	v_mov_b32_dpp v11, v10 quad_perm:[2,3,0,1] row_mask:0xf bank_mask:0xf
	v_add_f32_e32 v10, v10, v11
	s_nop 1
	v_mov_b32_dpp v11, v10 row_half_mirror row_mask:0xf bank_mask:0xf
	v_add_f32_e32 v10, v10, v11
	s_nop 1
	v_mov_b32_dpp v11, v10 row_mirror row_mask:0xf bank_mask:0xf
	v_add_f32_e32 v10, v10, v11
	s_nop 1
	v_mov_b32_dpp v11, v10 row_bcast:15 row_mask:0xf bank_mask:0xf
	v_add_f32_e32 v10, v10, v11
	s_nop 1
	v_mov_b32_dpp v11, v10 row_bcast:31 row_mask:0xf bank_mask:0xf
	s_and_saveexec_b64 s[8:9], s[0:1]
	s_cbranch_execz .LBB682_7
; %bb.6:
	v_add_f32_e32 v10, v10, v11
	v_lshrrev_b32_e32 v11, 4, v0
	v_and_b32_e32 v11, 60, v11
	ds_write_b32 v11, v10 offset:8
.LBB682_7:
	s_or_b64 exec, exec, s[8:9]
	v_and_b32_e32 v10, 1, v0
	v_lshlrev_b32_e32 v34, 2, v10
	s_waitcnt lgkmcnt(0)
	s_barrier
	ds_read_b32 v10, v34 offset:8
	s_load_dwordx2 s[28:29], s[4:5], 0x18
	s_waitcnt lgkmcnt(0)
	v_mov_b32_dpp v11, v10 quad_perm:[1,0,3,2] row_mask:0xf bank_mask:0xf
	s_and_saveexec_b64 s[8:9], s[2:3]
	s_cbranch_execz .LBB682_9
; %bb.8:
	v_cvt_f32_u32_e32 v12, s7
	v_add_f32_e32 v10, v10, v11
	v_mov_b32_e32 v14, s17
	v_mov_b32_e32 v15, s16
	v_div_scale_f32 v11, s[24:25], v12, v12, v10
	v_rcp_f32_e32 v13, v11
	v_cndmask_b32_e32 v14, v14, v15, vcc
	s_mov_b32 s7, 0x800000
	v_fma_f32 v15, -v11, v13, 1.0
	v_fmac_f32_e32 v13, v15, v13
	v_div_scale_f32 v15, vcc, v10, v12, v10
	v_mul_f32_e32 v16, v15, v13
	v_fma_f32 v17, -v11, v16, v15
	v_fmac_f32_e32 v16, v17, v13
	v_fma_f32 v11, -v11, v16, v15
	v_div_fmas_f32 v11, v11, v13, v16
	v_div_fixup_f32 v10, v11, v12, v10
	v_add_f32_e32 v10, v14, v10
	v_mul_f32_e32 v11, 0x4b800000, v10
	v_cmp_gt_f32_e32 vcc, s7, v10
	v_cndmask_b32_e32 v10, v10, v11, vcc
	v_rsq_f32_e32 v10, v10
	v_mul_f32_e32 v11, 0x45800000, v10
	v_cndmask_b32_e32 v10, v10, v11, vcc
	v_mov_b32_e32 v11, v10
	;;#ASMSTART
	v_pk_mul_f32 v[12:13], v[18:19], v[10:11]
	;;#ASMEND
	s_waitcnt vmcnt(1)
	v_cvt_f32_u32_sdwa v19, v6 dst_sel:DWORD dst_unused:UNUSED_PAD src0_sel:WORD_1
	v_cvt_f32_u32_sdwa v18, v6 dst_sel:DWORD dst_unused:UNUSED_PAD src0_sel:WORD_0
	;;#ASMSTART
	v_pk_mul_f32 v[14:15], v[32:33], v[10:11]
	;;#ASMEND
	;;#ASMSTART
	v_pk_mul_f32 v[16:17], v[26:27], v[10:11]
	;;#ASMEND
	v_cvt_f32_u32_sdwa v27, v7 dst_sel:DWORD dst_unused:UNUSED_PAD src0_sel:WORD_1
	v_cvt_f32_u32_sdwa v26, v7 dst_sel:DWORD dst_unused:UNUSED_PAD src0_sel:WORD_0
	;;#ASMSTART
	v_pk_mul_f32 v[30:31], v[30:31], v[10:11]
	;;#ASMEND
	;;#ASMSTART
	v_pk_mul_f32 v[24:25], v[24:25], v[10:11]
	;;#ASMEND
	;; [unrolled: 3-line block ×5, first 2 shown]
	v_pk_add_f32 v[10:11], v[18:19], 1.0 op_sel_hi:[1,0]
	;;#ASMSTART
	v_pk_mul_f32 v[18:19], v[12:13], v[10:11]
	;;#ASMEND
	v_cvt_f32_u32_sdwa v13, v8 dst_sel:DWORD dst_unused:UNUSED_PAD src0_sel:WORD_1
	v_cvt_f32_u32_sdwa v12, v8 dst_sel:DWORD dst_unused:UNUSED_PAD src0_sel:WORD_0
	v_cvt_f32_u32_sdwa v21, v9 dst_sel:DWORD dst_unused:UNUSED_PAD src0_sel:WORD_1
	v_cvt_f32_u32_sdwa v20, v9 dst_sel:DWORD dst_unused:UNUSED_PAD src0_sel:WORD_0
	v_pk_add_f32 v[10:11], v[26:27], 1.0 op_sel_hi:[1,0]
	;;#ASMSTART
	v_pk_mul_f32 v[32:33], v[14:15], v[10:11]
	;;#ASMEND
	s_waitcnt vmcnt(0)
	v_cvt_f32_u32_sdwa v11, v2 dst_sel:DWORD dst_unused:UNUSED_PAD src0_sel:WORD_1
	v_cvt_f32_u32_sdwa v10, v2 dst_sel:DWORD dst_unused:UNUSED_PAD src0_sel:WORD_0
	v_pk_add_f32 v[8:9], v[12:13], 1.0 op_sel_hi:[1,0]
	;;#ASMSTART
	v_pk_mul_f32 v[26:27], v[16:17], v[8:9]
	;;#ASMEND
	v_pk_add_f32 v[8:9], v[20:21], 1.0 op_sel_hi:[1,0]
	v_cvt_f32_u32_sdwa v13, v3 dst_sel:DWORD dst_unused:UNUSED_PAD src0_sel:WORD_1
	v_cvt_f32_u32_sdwa v12, v3 dst_sel:DWORD dst_unused:UNUSED_PAD src0_sel:WORD_0
	;;#ASMSTART
	v_pk_mul_f32 v[30:31], v[30:31], v[8:9]
	;;#ASMEND
	v_cvt_f32_u32_sdwa v9, v4 dst_sel:DWORD dst_unused:UNUSED_PAD src0_sel:WORD_1
	v_cvt_f32_u32_sdwa v8, v4 dst_sel:DWORD dst_unused:UNUSED_PAD src0_sel:WORD_0
	v_pk_add_f32 v[2:3], v[10:11], 1.0 op_sel_hi:[1,0]
	v_cvt_f32_u32_sdwa v11, v5 dst_sel:DWORD dst_unused:UNUSED_PAD src0_sel:WORD_1
	v_cvt_f32_u32_sdwa v10, v5 dst_sel:DWORD dst_unused:UNUSED_PAD src0_sel:WORD_0
	;;#ASMSTART
	v_pk_mul_f32 v[24:25], v[24:25], v[2:3]
	;;#ASMEND
	v_pk_add_f32 v[2:3], v[12:13], 1.0 op_sel_hi:[1,0]
	;;#ASMSTART
	v_pk_mul_f32 v[28:29], v[28:29], v[2:3]
	;;#ASMEND
	v_pk_add_f32 v[2:3], v[8:9], 1.0 op_sel_hi:[1,0]
	;; [unrolled: 4-line block ×3, first 2 shown]
	;;#ASMSTART
	v_pk_mul_f32 v[20:21], v[6:7], v[2:3]
	;;#ASMEND
.LBB682_9:
	s_or_b64 exec, exec, s[8:9]
	s_load_dword s7, s[4:5], 0x80
	s_mov_b64 s[8:9], -1
	s_and_b64 vcc, exec, s[14:15]
	s_cbranch_vccnz .LBB682_13
; %bb.10:
	s_andn2_b64 vcc, exec, s[8:9]
	s_cbranch_vccz .LBB682_16
.LBB682_11:
	s_cmp_lt_i32 s20, 1
	s_cbranch_scc0 .LBB682_25
.LBB682_12:
	s_endpgm
.LBB682_13:
	s_and_saveexec_b64 s[14:15], s[2:3]
	s_cbranch_execz .LBB682_15
; %bb.14:
	s_waitcnt lgkmcnt(0)
	s_mul_hi_i32 s9, s7, s6
	s_mul_i32 s8, s7, s6
	s_lshl_b64 s[8:9], s[8:9], 1
	s_add_u32 s8, s28, s8
	s_addc_u32 s9, s29, s9
	s_mov_b32 s16, 0x7060302
	s_and_b32 s9, s9, 0xffff
	s_mov_b32 s11, 0x20000
	s_waitcnt vmcnt(0)
	v_perm_b32 v5, v31, v30, s16
	v_perm_b32 v4, v27, v26, s16
	;; [unrolled: 1-line block ×4, first 2 shown]
	v_lshlrev_b32_e32 v6, 5, v0
	buffer_store_dwordx4 v[2:5], v6, s[8:11], 0 offen
	;;#ASMSTART
	s_nop 0
	;;#ASMEND
	s_nop 0
	v_perm_b32 v5, v21, v20, s16
	v_perm_b32 v4, v23, v22, s16
	;; [unrolled: 1-line block ×4, first 2 shown]
	buffer_store_dwordx4 v[2:5], v6, s[8:11], 16 offen
	;;#ASMSTART
	s_nop 0
	;;#ASMEND
.LBB682_15:
	s_or_b64 exec, exec, s[14:15]
	s_cbranch_execnz .LBB682_11
.LBB682_16:
	s_load_dwordx4 s[24:27], s[4:5], 0x70
	s_waitcnt vmcnt(0)
	v_mov_b32_e32 v2, 0
	s_and_saveexec_b64 s[14:15], s[2:3]
	s_cbranch_execz .LBB682_18
; %bb.17:
	s_load_dwordx2 s[8:9], s[4:5], 0x10
	s_waitcnt lgkmcnt(0)
	s_mul_hi_i32 s35, s27, s6
	s_mul_i32 s34, s27, s6
	s_lshl_b64 s[34:35], s[34:35], 1
	s_mov_b32 s16, 0x7060302
	s_add_u32 s8, s8, s34
	s_addc_u32 s9, s9, s35
	s_mov_b32 s11, 0x20000
	s_and_b32 s9, s9, 0xffff
	v_perm_b32 v5, v31, v30, s16
	v_perm_b32 v4, v27, v26, s16
	;; [unrolled: 1-line block ×4, first 2 shown]
	v_lshlrev_b32_e32 v6, 5, v0
	buffer_store_dwordx4 v[2:5], v6, s[8:11], 0 offen
	;;#ASMSTART
	s_nop 0
	;;#ASMEND
	s_nop 0
	v_perm_b32 v5, v21, v20, s16
	v_perm_b32 v4, v23, v22, s16
	;; [unrolled: 1-line block ×4, first 2 shown]
	buffer_store_dwordx4 v[2:5], v6, s[8:11], 16 offen
	;;#ASMSTART
	s_nop 0
	;;#ASMEND
	s_nop 0
	v_mov_b32_e32 v2, 0x2edbe6ff
.LBB682_18:
	s_or_b64 exec, exec, s[14:15]
	s_and_saveexec_b64 s[8:9], s[2:3]
	s_cbranch_execz .LBB682_20
; %bb.19:
	v_and_b32_e32 v3, 0x7fffffff, v18
	v_and_b32_e32 v4, 0x7fffffff, v19
	;;#ASMSTART
	v_max3_f32 v2, v2, v3, v4

	;;#ASMEND
	v_and_b32_e32 v3, 0x7fffffff, v32
	v_and_b32_e32 v4, 0x7fffffff, v33
	;;#ASMSTART
	v_max3_f32 v2, v2, v3, v4

	;;#ASMEND
	;; [unrolled: 6-line block ×8, first 2 shown]
.LBB682_20:
	s_or_b64 exec, exec, s[8:9]
	;;#ASMSTART
	v_max_f32 v3, v2, v2 quad_perm:[1,0,3,2] row_mask:0xf bank_mask:0xf bound_ctrl:1
	;;#ASMEND
	;;#ASMSTART
	v_max_f32 v2, v3, v3 quad_perm:[2,3,0,1] row_mask:0xf bank_mask:0xf bound_ctrl:1
	;;#ASMEND
	v_and_b32_e32 v3, 3, v0
	v_cmp_eq_u32_e32 vcc, 0, v3
	v_cmp_gt_i32_e64 s[8:9], s19, v1
	v_mul_f32_e32 v2, 0x3b124925, v2
	s_and_b64 s[10:11], vcc, s[8:9]
	s_and_saveexec_b64 s[8:9], s[10:11]
	s_cbranch_execz .LBB682_22
; %bb.21:
	s_load_dwordx2 s[10:11], s[4:5], 0x8
	s_waitcnt lgkmcnt(0)
	s_mul_hi_i32 s15, s25, s6
	s_mul_i32 s14, s25, s6
	v_lshrrev_b32_e32 v3, 2, v0
	s_lshl_b64 s[14:15], s[14:15], 2
	v_mad_i64_i32 v[4:5], s[26:27], s26, v3, 0
	s_add_u32 s10, s10, s14
	s_addc_u32 s11, s11, s15
	v_lshlrev_b64 v[4:5], 2, v[4:5]
	v_mov_b32_e32 v3, s11
	v_add_co_u32_e32 v4, vcc, s10, v4
	v_addc_co_u32_e32 v5, vcc, v3, v5, vcc
	global_store_dword v[4:5], v2, off
.LBB682_22:
	s_or_b64 exec, exec, s[8:9]
	;;#ASMSTART
	v_rcp_f32 v2, v2
	;;#ASMEND
	s_and_saveexec_b64 s[14:15], s[2:3]
	s_cbranch_execz .LBB682_24
; %bb.23:
	s_load_dwordx2 s[2:3], s[4:5], 0x0
	s_waitcnt lgkmcnt(0)
	s_mul_i32 s8, s24, s6
	s_mul_hi_i32 s9, s24, s6
	v_mov_b32_e32 v3, v2
	;;#ASMSTART
	v_pk_mul_f32 v[4:5], v[18:19], v[2:3]
	;;#ASMEND
	s_add_u32 s8, s2, s8
	s_addc_u32 s2, s3, s9
	s_add_i32 s3, s19, 3
	s_ashr_i32 s10, s3, 31
	v_mov_b32_e32 v10, 0xc3e00000
	v_mov_b32_e32 v11, 0x43e00000
	;;#ASMSTART
	v_med3_f32 v4, v4, v10, v11
v_med3_f32 v5, v5, v10, v11
v_cvt_pk_fp8_f32 v6, v4, v5
	;;#ASMEND
	s_and_b32 s9, s2, 0xffff
	s_lshr_b32 s2, s10, 30
	;;#ASMSTART
	v_pk_mul_f32 v[4:5], v[32:33], v[2:3]
	;;#ASMEND
	s_add_i32 s3, s3, s2
	;;#ASMSTART
	v_med3_f32 v4, v4, v10, v11
v_med3_f32 v5, v5, v10, v11
v_cvt_pk_fp8_f32 v7, v4, v5
	;;#ASMEND
	s_mov_b32 s2, 0x5040100
	v_perm_b32 v4, v7, v6, s2
	s_mov_b32 s2, 0x1060504
	v_perm_b32 v4, v4, v7, s2
	;;#ASMSTART
	v_pk_mul_f32 v[6:7], v[26:27], v[2:3]
	;;#ASMEND
	v_mov_b32_e32 v5, v7
	;;#ASMSTART
	v_med3_f32 v6, v6, v10, v11
v_med3_f32 v5, v5, v10, v11
v_cvt_pk_fp8_f32 v8, v6, v5
	;;#ASMEND
	;;#ASMSTART
	v_pk_mul_f32 v[6:7], v[30:31], v[2:3]
	;;#ASMEND
	v_mov_b32_e32 v5, v7
	;;#ASMSTART
	v_med3_f32 v6, v6, v10, v11
v_med3_f32 v5, v5, v10, v11
v_cvt_pk_fp8_f32 v7, v6, v5
	;;#ASMEND
	s_mov_b32 s2, 0x1000504
	v_perm_b32 v5, v8, v7, s2
	;;#ASMSTART
	v_pk_mul_f32 v[6:7], v[24:25], v[2:3]
	;;#ASMEND
	;;#ASMSTART
	v_med3_f32 v6, v6, v10, v11
v_med3_f32 v7, v7, v10, v11
v_cvt_pk_fp8_f32 v8, v6, v7
	;;#ASMEND
	;;#ASMSTART
	v_pk_mul_f32 v[6:7], v[28:29], v[2:3]
	;;#ASMEND
	;;#ASMSTART
	v_med3_f32 v6, v6, v10, v11
v_med3_f32 v7, v7, v10, v11
v_cvt_pk_fp8_f32 v9, v6, v7
	;;#ASMEND
	v_perm_b32 v6, v8, v9, s2
	;;#ASMSTART
	v_pk_mul_f32 v[8:9], v[22:23], v[2:3]
	;;#ASMEND
	v_mov_b32_e32 v7, v9
	;;#ASMSTART
	v_med3_f32 v8, v8, v10, v11
v_med3_f32 v7, v7, v10, v11
v_cvt_pk_fp8_f32 v9, v8, v7
	;;#ASMEND
	;;#ASMSTART
	v_pk_mul_f32 v[2:3], v[20:21], v[2:3]
	;;#ASMEND
	;;#ASMSTART
	v_med3_f32 v2, v2, v10, v11
v_med3_f32 v3, v3, v10, v11
v_cvt_pk_fp8_f32 v7, v2, v3
	;;#ASMEND
	s_and_b32 s10, s3, -4
	s_mov_b32 s11, 0x20000
	v_perm_b32 v7, v9, v7, s2
	buffer_store_dwordx4 v[4:7], v1, s[8:11], 0 offen
	;;#ASMSTART
	s_nop 0
	;;#ASMEND
.LBB682_24:
	s_or_b64 exec, exec, s[14:15]
	s_cmp_lt_i32 s20, 1
	s_cbranch_scc1 .LBB682_12
.LBB682_25:
	s_load_dword s2, s[4:5], 0x94
	s_waitcnt lgkmcnt(0)
	s_cmp_lg_u32 s2, 1
	s_cbranch_scc1 .LBB682_12
; %bb.26:
	s_lshl_b32 s2, s20, 1
	s_add_i32 s2, s2, 2
	v_cmp_gt_u32_e32 vcc, s20, v1
	s_and_b32 s14, s2, -4
	v_mov_b32_e32 v18, 0
	v_lshlrev_b32_e32 v1, 5, v0
	v_mov_b32_e32 v14, 0
	v_mov_b32_e32 v15, 0
	;; [unrolled: 1-line block ×8, first 2 shown]
	s_waitcnt vmcnt(1)
	v_mov_b32_e32 v6, 0
	v_mov_b32_e32 v7, 0
	;; [unrolled: 1-line block ×4, first 2 shown]
	s_waitcnt vmcnt(0)
	v_mov_b32_e32 v2, 0
	v_mov_b32_e32 v3, 0
	;; [unrolled: 1-line block ×4, first 2 shown]
	s_barrier
	s_and_saveexec_b64 s[2:3], vcc
	s_cbranch_execz .LBB682_28
; %bb.27:
	s_mul_hi_i32 s5, s22, s6
	s_mul_i32 s4, s22, s6
	s_and_b32 s13, s13, 0xffff
	s_lshl_b64 s[4:5], s[4:5], 1
	s_add_u32 s8, s30, s4
	s_mov_b32 s15, 0x20000
	s_addc_u32 s4, s31, s5
	s_and_b32 s9, s4, 0xffff
	s_mov_b32 s10, s14
	s_mov_b32 s11, s15
	buffer_load_dwordx4 v[14:17], v1, s[8:11], 0 offen
	buffer_load_dwordx4 v[10:13], v1, s[8:11], 16 offen
	buffer_load_dwordx4 v[6:9], v1, s[12:15], 0 offen
	buffer_load_dwordx4 v[2:5], v1, s[12:15], 16 offen
.LBB682_28:
	s_or_b64 exec, exec, s[2:3]
	v_mov_b32_e32 v19, 0
	v_mov_b32_e32 v32, 0
	;; [unrolled: 1-line block ×15, first 2 shown]
	s_and_saveexec_b64 s[2:3], vcc
	s_cbranch_execz .LBB682_30
; %bb.29:
	s_waitcnt vmcnt(3)
	v_cvt_f32_u32_sdwa v18, v14 dst_sel:DWORD dst_unused:UNUSED_PAD src0_sel:WORD_0
	v_cvt_f32_u32_sdwa v19, v14 dst_sel:DWORD dst_unused:UNUSED_PAD src0_sel:WORD_1
	v_cvt_f32_u32_sdwa v32, v15 dst_sel:DWORD dst_unused:UNUSED_PAD src0_sel:WORD_0
	v_cvt_f32_u32_sdwa v33, v15 dst_sel:DWORD dst_unused:UNUSED_PAD src0_sel:WORD_1
	;; [unrolled: 2-line block ×4, first 2 shown]
	s_waitcnt vmcnt(2)
	v_cvt_f32_u32_sdwa v26, v10 dst_sel:DWORD dst_unused:UNUSED_PAD src0_sel:WORD_0
	v_cvt_f32_u32_sdwa v27, v10 dst_sel:DWORD dst_unused:UNUSED_PAD src0_sel:WORD_1
	v_cvt_f32_u32_sdwa v24, v11 dst_sel:DWORD dst_unused:UNUSED_PAD src0_sel:WORD_0
	v_cvt_f32_u32_sdwa v25, v11 dst_sel:DWORD dst_unused:UNUSED_PAD src0_sel:WORD_1
	;; [unrolled: 2-line block ×4, first 2 shown]
.LBB682_30:
	s_or_b64 exec, exec, s[2:3]
	s_waitcnt vmcnt(2)
	v_mul_f32_e32 v10, v19, v19
	v_fmac_f32_e32 v10, v18, v18
	v_fmac_f32_e32 v10, v32, v32
	v_fmac_f32_e32 v10, v33, v33
	v_fmac_f32_e32 v10, v30, v30
	v_fmac_f32_e32 v10, v31, v31
	v_fmac_f32_e32 v10, v28, v28
	v_fmac_f32_e32 v10, v29, v29
	v_fmac_f32_e32 v10, v26, v26
	v_fmac_f32_e32 v10, v27, v27
	v_fmac_f32_e32 v10, v24, v24
	v_fmac_f32_e32 v10, v25, v25
	v_fmac_f32_e32 v10, v22, v22
	v_fmac_f32_e32 v10, v23, v23
	v_fmac_f32_e32 v10, v20, v20
	v_fmac_f32_e32 v10, v21, v21
	s_nop 1
	v_mov_b32_dpp v11, v10 quad_perm:[1,0,3,2] row_mask:0xf bank_mask:0xf
	v_add_f32_e32 v10, v10, v11
	s_nop 1
	v_mov_b32_dpp v11, v10 quad_perm:[2,3,0,1] row_mask:0xf bank_mask:0xf
	v_add_f32_e32 v10, v10, v11
	s_nop 1
	v_mov_b32_dpp v11, v10 row_half_mirror row_mask:0xf bank_mask:0xf
	v_add_f32_e32 v10, v10, v11
	s_nop 1
	v_mov_b32_dpp v11, v10 row_mirror row_mask:0xf bank_mask:0xf
	v_add_f32_e32 v10, v10, v11
	s_nop 1
	v_mov_b32_dpp v11, v10 row_bcast:15 row_mask:0xf bank_mask:0xf
	v_add_f32_e32 v10, v10, v11
	s_nop 1
	v_mov_b32_dpp v11, v10 row_bcast:31 row_mask:0xf bank_mask:0xf
	s_and_saveexec_b64 s[2:3], s[0:1]
	s_cbranch_execz .LBB682_32
; %bb.31:
	v_lshrrev_b32_e32 v0, 4, v0
	v_add_f32_e32 v10, v10, v11
	v_and_b32_e32 v0, 60, v0
	ds_write_b32 v0, v10
.LBB682_32:
	s_or_b64 exec, exec, s[2:3]
	s_waitcnt lgkmcnt(0)
	s_barrier
	ds_read_b32 v0, v34
	s_waitcnt lgkmcnt(0)
	s_nop 0
	v_mov_b32_dpp v10, v0 quad_perm:[1,0,3,2] row_mask:0xf bank_mask:0xf
	s_and_saveexec_b64 s[0:1], vcc
	s_cbranch_execz .LBB682_12
; %bb.33:
	v_cvt_f32_u32_e32 v11, s20
	v_add_f32_e32 v0, v0, v10
	s_mov_b32 s15, 0x20000
	v_div_scale_f32 v10, s[0:1], v11, v11, v0
	v_rcp_f32_e32 v12, v10
	v_div_scale_f32 v13, vcc, v0, v11, v0
	s_mov_b32 s0, 0x800000
	v_fma_f32 v14, -v10, v12, 1.0
	v_fmac_f32_e32 v12, v14, v12
	v_mul_f32_e32 v14, v13, v12
	v_fma_f32 v15, -v10, v14, v13
	v_fmac_f32_e32 v14, v15, v12
	v_fma_f32 v10, -v10, v14, v13
	v_div_fmas_f32 v10, v10, v12, v14
	v_div_fixup_f32 v0, v10, v11, v0
	v_add_f32_e32 v0, s17, v0
	v_mul_f32_e32 v10, 0x4b800000, v0
	v_cmp_gt_f32_e32 vcc, s0, v0
	v_cndmask_b32_e32 v0, v0, v10, vcc
	v_rsq_f32_e32 v0, v0
	s_mul_hi_i32 s1, s7, s6
	s_mul_i32 s0, s7, s6
	s_lshl_b64 s[0:1], s[0:1], 1
	v_mul_f32_e32 v10, 0x45800000, v0
	v_cndmask_b32_e32 v10, v0, v10, vcc
	v_mov_b32_e32 v11, v10
	;;#ASMSTART
	v_pk_mul_f32 v[12:13], v[18:19], v[10:11]
	;;#ASMEND
	;;#ASMSTART
	v_pk_mul_f32 v[14:15], v[32:33], v[10:11]
	;;#ASMEND
	;; [unrolled: 3-line block ×4, first 2 shown]
	s_waitcnt vmcnt(1)
	v_cvt_f32_u32_sdwa v29, v6 dst_sel:DWORD dst_unused:UNUSED_PAD src0_sel:WORD_1
	v_cvt_f32_u32_sdwa v28, v6 dst_sel:DWORD dst_unused:UNUSED_PAD src0_sel:WORD_0
	v_cvt_f32_u32_sdwa v31, v7 dst_sel:DWORD dst_unused:UNUSED_PAD src0_sel:WORD_1
	v_cvt_f32_u32_sdwa v30, v7 dst_sel:DWORD dst_unused:UNUSED_PAD src0_sel:WORD_0
	;;#ASMSTART
	v_pk_mul_f32 v[26:27], v[26:27], v[10:11]
	;;#ASMEND
	;;#ASMSTART
	v_pk_mul_f32 v[24:25], v[24:25], v[10:11]
	;;#ASMEND
	;; [unrolled: 3-line block ×4, first 2 shown]
	v_cvt_f32_u32_sdwa v21, v8 dst_sel:DWORD dst_unused:UNUSED_PAD src0_sel:WORD_1
	v_cvt_f32_u32_sdwa v20, v8 dst_sel:DWORD dst_unused:UNUSED_PAD src0_sel:WORD_0
	v_pk_add_f32 v[10:11], v[28:29], 1.0 op_sel_hi:[1,0]
	;;#ASMSTART
	v_pk_mul_f32 v[10:11], v[12:13], v[10:11]
	;;#ASMEND
	v_pk_add_f32 v[12:13], v[30:31], 1.0 op_sel_hi:[1,0]
	v_cvt_f32_u32_sdwa v29, v9 dst_sel:DWORD dst_unused:UNUSED_PAD src0_sel:WORD_1
	v_cvt_f32_u32_sdwa v28, v9 dst_sel:DWORD dst_unused:UNUSED_PAD src0_sel:WORD_0
	;;#ASMSTART
	v_pk_mul_f32 v[8:9], v[14:15], v[12:13]
	;;#ASMEND
	v_pk_add_f32 v[12:13], v[20:21], 1.0 op_sel_hi:[1,0]
	;;#ASMSTART
	v_pk_mul_f32 v[12:13], v[16:17], v[12:13]
	;;#ASMEND
	s_waitcnt vmcnt(0)
	v_cvt_f32_u32_sdwa v17, v2 dst_sel:DWORD dst_unused:UNUSED_PAD src0_sel:WORD_1
	v_cvt_f32_u32_sdwa v16, v2 dst_sel:DWORD dst_unused:UNUSED_PAD src0_sel:WORD_0
	v_cvt_f32_u32_sdwa v21, v3 dst_sel:DWORD dst_unused:UNUSED_PAD src0_sel:WORD_1
	v_cvt_f32_u32_sdwa v20, v3 dst_sel:DWORD dst_unused:UNUSED_PAD src0_sel:WORD_0
	v_pk_add_f32 v[14:15], v[28:29], 1.0 op_sel_hi:[1,0]
	;;#ASMSTART
	v_pk_mul_f32 v[14:15], v[18:19], v[14:15]
	;;#ASMEND
	v_pk_add_f32 v[2:3], v[16:17], 1.0 op_sel_hi:[1,0]
	v_cvt_f32_u32_sdwa v19, v4 dst_sel:DWORD dst_unused:UNUSED_PAD src0_sel:WORD_1
	v_cvt_f32_u32_sdwa v18, v4 dst_sel:DWORD dst_unused:UNUSED_PAD src0_sel:WORD_0
	;;#ASMSTART
	v_pk_mul_f32 v[16:17], v[26:27], v[2:3]
	;;#ASMEND
	v_pk_add_f32 v[2:3], v[20:21], 1.0 op_sel_hi:[1,0]
	v_cvt_f32_u32_sdwa v21, v5 dst_sel:DWORD dst_unused:UNUSED_PAD src0_sel:WORD_1
	v_cvt_f32_u32_sdwa v20, v5 dst_sel:DWORD dst_unused:UNUSED_PAD src0_sel:WORD_0
	s_add_u32 s12, s28, s0
	;;#ASMSTART
	v_pk_mul_f32 v[24:25], v[24:25], v[2:3]
	;;#ASMEND
	v_pk_add_f32 v[2:3], v[18:19], 1.0 op_sel_hi:[1,0]
	s_addc_u32 s0, s29, s1
	;;#ASMSTART
	v_pk_mul_f32 v[18:19], v[22:23], v[2:3]
	;;#ASMEND
	v_pk_add_f32 v[2:3], v[20:21], 1.0 op_sel_hi:[1,0]
	s_and_b32 s13, s0, 0xffff
	s_mov_b32 s0, 0x7060302
	;;#ASMSTART
	v_pk_mul_f32 v[6:7], v[6:7], v[2:3]
	;;#ASMEND
	v_perm_b32 v2, v11, v10, s0
	v_perm_b32 v3, v9, v8, s0
	;; [unrolled: 1-line block ×4, first 2 shown]
	buffer_store_dwordx4 v[2:5], v1, s[12:15], 0 offen
	;;#ASMSTART
	s_nop 0
	;;#ASMEND
	s_nop 0
	v_perm_b32 v2, v17, v16, s0
	v_perm_b32 v3, v25, v24, s0
	;; [unrolled: 1-line block ×4, first 2 shown]
	buffer_store_dwordx4 v[2:5], v1, s[12:15], 16 offen
	;;#ASMSTART
	s_nop 0
	;;#ASMEND
	s_endpgm
	.section	.rodata,"a",@progbits
	.p2align	6, 0x0
	.amdhsa_kernel _ZN5aiter35fused_qk_rmsnorm_group_quant_kernelItDB8_Li128ELi16ELi4ELb0ELb1ELb1ELb0ELb0ELb0EEEvPT0_PvPT_S6_S6_PKS5_S8_S8_S8_S8_ffiiiiiiiiiiiii
		.amdhsa_group_segment_fixed_size 16
		.amdhsa_private_segment_fixed_size 0
		.amdhsa_kernarg_size 400
		.amdhsa_user_sgpr_count 6
		.amdhsa_user_sgpr_private_segment_buffer 1
		.amdhsa_user_sgpr_dispatch_ptr 0
		.amdhsa_user_sgpr_queue_ptr 0
		.amdhsa_user_sgpr_kernarg_segment_ptr 1
		.amdhsa_user_sgpr_dispatch_id 0
		.amdhsa_user_sgpr_flat_scratch_init 0
		.amdhsa_user_sgpr_kernarg_preload_length 0
		.amdhsa_user_sgpr_kernarg_preload_offset 0
		.amdhsa_user_sgpr_private_segment_size 0
		.amdhsa_uses_dynamic_stack 0
		.amdhsa_system_sgpr_private_segment_wavefront_offset 0
		.amdhsa_system_sgpr_workgroup_id_x 1
		.amdhsa_system_sgpr_workgroup_id_y 1
		.amdhsa_system_sgpr_workgroup_id_z 0
		.amdhsa_system_sgpr_workgroup_info 0
		.amdhsa_system_vgpr_workitem_id 0
		.amdhsa_next_free_vgpr 35
		.amdhsa_next_free_sgpr 36
		.amdhsa_accum_offset 36
		.amdhsa_reserve_vcc 1
		.amdhsa_reserve_flat_scratch 0
		.amdhsa_float_round_mode_32 0
		.amdhsa_float_round_mode_16_64 0
		.amdhsa_float_denorm_mode_32 3
		.amdhsa_float_denorm_mode_16_64 3
		.amdhsa_dx10_clamp 1
		.amdhsa_ieee_mode 1
		.amdhsa_fp16_overflow 0
		.amdhsa_tg_split 0
		.amdhsa_exception_fp_ieee_invalid_op 0
		.amdhsa_exception_fp_denorm_src 0
		.amdhsa_exception_fp_ieee_div_zero 0
		.amdhsa_exception_fp_ieee_overflow 0
		.amdhsa_exception_fp_ieee_underflow 0
		.amdhsa_exception_fp_ieee_inexact 0
		.amdhsa_exception_int_div_zero 0
	.end_amdhsa_kernel
	.section	.text._ZN5aiter35fused_qk_rmsnorm_group_quant_kernelItDB8_Li128ELi16ELi4ELb0ELb1ELb1ELb0ELb0ELb0EEEvPT0_PvPT_S6_S6_PKS5_S8_S8_S8_S8_ffiiiiiiiiiiiii,"axG",@progbits,_ZN5aiter35fused_qk_rmsnorm_group_quant_kernelItDB8_Li128ELi16ELi4ELb0ELb1ELb1ELb0ELb0ELb0EEEvPT0_PvPT_S6_S6_PKS5_S8_S8_S8_S8_ffiiiiiiiiiiiii,comdat
.Lfunc_end682:
	.size	_ZN5aiter35fused_qk_rmsnorm_group_quant_kernelItDB8_Li128ELi16ELi4ELb0ELb1ELb1ELb0ELb0ELb0EEEvPT0_PvPT_S6_S6_PKS5_S8_S8_S8_S8_ffiiiiiiiiiiiii, .Lfunc_end682-_ZN5aiter35fused_qk_rmsnorm_group_quant_kernelItDB8_Li128ELi16ELi4ELb0ELb1ELb1ELb0ELb0ELb0EEEvPT0_PvPT_S6_S6_PKS5_S8_S8_S8_S8_ffiiiiiiiiiiiii
                                        ; -- End function
	.section	.AMDGPU.csdata,"",@progbits
; Kernel info:
; codeLenInByte = 3716
; NumSgprs: 40
; NumVgprs: 35
; NumAgprs: 0
; TotalNumVgprs: 35
; ScratchSize: 0
; MemoryBound: 0
; FloatMode: 240
; IeeeMode: 1
; LDSByteSize: 16 bytes/workgroup (compile time only)
; SGPRBlocks: 4
; VGPRBlocks: 4
; NumSGPRsForWavesPerEU: 40
; NumVGPRsForWavesPerEU: 35
; AccumOffset: 36
; Occupancy: 8
; WaveLimiterHint : 0
; COMPUTE_PGM_RSRC2:SCRATCH_EN: 0
; COMPUTE_PGM_RSRC2:USER_SGPR: 6
; COMPUTE_PGM_RSRC2:TRAP_HANDLER: 0
; COMPUTE_PGM_RSRC2:TGID_X_EN: 1
; COMPUTE_PGM_RSRC2:TGID_Y_EN: 1
; COMPUTE_PGM_RSRC2:TGID_Z_EN: 0
; COMPUTE_PGM_RSRC2:TIDIG_COMP_CNT: 0
; COMPUTE_PGM_RSRC3_GFX90A:ACCUM_OFFSET: 8
; COMPUTE_PGM_RSRC3_GFX90A:TG_SPLIT: 0
	.section	.text._ZN5aiter35fused_qk_rmsnorm_group_quant_kernelIDF16_N4opus5fp4_tELi128ELi16ELi4ELb0ELb1ELb1ELb0ELb0ELb0EEEvPT0_PvPT_S7_S7_PKS6_S9_S9_S9_S9_ffiiiiiiiiiiiii,"axG",@progbits,_ZN5aiter35fused_qk_rmsnorm_group_quant_kernelIDF16_N4opus5fp4_tELi128ELi16ELi4ELb0ELb1ELb1ELb0ELb0ELb0EEEvPT0_PvPT_S7_S7_PKS6_S9_S9_S9_S9_ffiiiiiiiiiiiii,comdat
	.protected	_ZN5aiter35fused_qk_rmsnorm_group_quant_kernelIDF16_N4opus5fp4_tELi128ELi16ELi4ELb0ELb1ELb1ELb0ELb0ELb0EEEvPT0_PvPT_S7_S7_PKS6_S9_S9_S9_S9_ffiiiiiiiiiiiii ; -- Begin function _ZN5aiter35fused_qk_rmsnorm_group_quant_kernelIDF16_N4opus5fp4_tELi128ELi16ELi4ELb0ELb1ELb1ELb0ELb0ELb0EEEvPT0_PvPT_S7_S7_PKS6_S9_S9_S9_S9_ffiiiiiiiiiiiii
	.globl	_ZN5aiter35fused_qk_rmsnorm_group_quant_kernelIDF16_N4opus5fp4_tELi128ELi16ELi4ELb0ELb1ELb1ELb0ELb0ELb0EEEvPT0_PvPT_S7_S7_PKS6_S9_S9_S9_S9_ffiiiiiiiiiiiii
	.p2align	8
	.type	_ZN5aiter35fused_qk_rmsnorm_group_quant_kernelIDF16_N4opus5fp4_tELi128ELi16ELi4ELb0ELb1ELb1ELb0ELb0ELb0EEEvPT0_PvPT_S7_S7_PKS6_S9_S9_S9_S9_ffiiiiiiiiiiiii,@function
_ZN5aiter35fused_qk_rmsnorm_group_quant_kernelIDF16_N4opus5fp4_tELi128ELi16ELi4ELb0ELb1ELb1ELb0ELb0ELb0EEEvPT0_PvPT_S7_S7_PKS6_S9_S9_S9_S9_ffiiiiiiiiiiiii: ; @_ZN5aiter35fused_qk_rmsnorm_group_quant_kernelIDF16_N4opus5fp4_tELi128ELi16ELi4ELb0ELb1ELb1ELb0ELb0ELb0EEEvPT0_PvPT_S7_S7_PKS6_S9_S9_S9_S9_ffiiiiiiiiiiiii
; %bb.0:
	s_load_dwordx4 s[16:19], s[4:5], 0x50
	s_waitcnt lgkmcnt(0)
	s_cmp_ge_i32 s6, s18
	s_cbranch_scc1 .LBB683_12
; %bb.1:
	s_load_dwordx2 s[12:13], s[4:5], 0x48
	s_load_dwordx2 s[30:31], s[4:5], 0x30
	s_load_dwordx4 s[20:23], s[4:5], 0x60
	s_cmp_lg_u32 s7, 0
	s_cselect_b64 s[14:15], -1, 0
	s_cmp_eq_u32 s7, 0
	s_cselect_b64 vcc, -1, 0
	s_and_b64 s[0:1], vcc, exec
	s_waitcnt lgkmcnt(0)
	s_cselect_b32 s7, s19, s20
	s_add_i32 s0, s7, 1
	s_lshr_b32 s1, s0, 31
	s_add_i32 s0, s0, s1
	s_lshl_b32 s0, s0, 1
	v_lshlrev_b32_e32 v1, 4, v0
	s_and_b32 s10, s0, -4
	v_cmp_gt_i32_e64 s[2:3], s7, v1
	v_mov_b32_e32 v18, 0
	v_mov_b32_e32 v6, 0
	;; [unrolled: 1-line block ×17, first 2 shown]
	s_and_saveexec_b64 s[0:1], s[2:3]
	s_cbranch_execz .LBB683_3
; %bb.2:
	s_load_dwordx2 s[8:9], s[4:5], 0x28
	s_load_dwordx2 s[26:27], s[4:5], 0x40
	s_and_b64 s[24:25], vcc, exec
	s_cselect_b32 s11, s21, s22
	v_lshlrev_b32_e32 v19, 5, v0
	s_waitcnt lgkmcnt(0)
	s_cselect_b32 s18, s9, s31
	s_cselect_b32 s21, s8, s30
	s_mul_hi_i32 s9, s11, s6
	s_mul_i32 s8, s11, s6
	s_lshl_b64 s[8:9], s[8:9], 1
	s_add_u32 s24, s21, s8
	s_addc_u32 s18, s18, s9
	s_and_b64 s[8:9], vcc, exec
	s_mov_b32 s11, 0x20000
	s_cselect_b32 s8, s26, s12
	s_cselect_b32 s9, s27, s13
	s_and_b32 s25, s18, 0xffff
	s_mov_b32 s26, s10
	s_mov_b32 s27, s11
	s_and_b32 s9, s9, 0xffff
	buffer_load_dwordx4 v[14:17], v19, s[24:27], 0 offen
	buffer_load_dwordx4 v[10:13], v19, s[24:27], 16 offen
	buffer_load_dwordx4 v[6:9], v19, s[8:11], 0 offen
	buffer_load_dwordx4 v[2:5], v19, s[8:11], 16 offen
.LBB683_3:
	s_or_b64 exec, exec, s[0:1]
	v_mov_b32_e32 v19, 0
	v_mov_b32_e32 v22, 0
	;; [unrolled: 1-line block ×15, first 2 shown]
	s_and_saveexec_b64 s[0:1], s[2:3]
	s_cbranch_execz .LBB683_5
; %bb.4:
	s_waitcnt vmcnt(3)
	v_cvt_f32_f16_sdwa v19, v14 dst_sel:DWORD dst_unused:UNUSED_PAD src0_sel:WORD_1
	v_cvt_f32_f16_e32 v18, v14
	v_cvt_f32_f16_sdwa v23, v15 dst_sel:DWORD dst_unused:UNUSED_PAD src0_sel:WORD_1
	v_cvt_f32_f16_e32 v22, v15
	;; [unrolled: 2-line block ×4, first 2 shown]
	s_waitcnt vmcnt(2)
	v_cvt_f32_f16_sdwa v27, v10 dst_sel:DWORD dst_unused:UNUSED_PAD src0_sel:WORD_1
	v_cvt_f32_f16_e32 v26, v10
	v_cvt_f32_f16_sdwa v33, v11 dst_sel:DWORD dst_unused:UNUSED_PAD src0_sel:WORD_1
	v_cvt_f32_f16_e32 v32, v11
	v_cvt_f32_f16_sdwa v31, v12 dst_sel:DWORD dst_unused:UNUSED_PAD src0_sel:WORD_1
	v_cvt_f32_f16_e32 v30, v12
	v_cvt_f32_f16_sdwa v25, v13 dst_sel:DWORD dst_unused:UNUSED_PAD src0_sel:WORD_1
	v_cvt_f32_f16_e32 v24, v13
.LBB683_5:
	s_or_b64 exec, exec, s[0:1]
	s_waitcnt vmcnt(2)
	v_mul_f32_e32 v10, v19, v19
	v_fmac_f32_e32 v10, v18, v18
	v_fmac_f32_e32 v10, v22, v22
	;; [unrolled: 1-line block ×15, first 2 shown]
	v_and_b32_e32 v12, 63, v0
	v_cmp_eq_u32_e64 s[0:1], 63, v12
	v_mov_b32_dpp v11, v10 quad_perm:[1,0,3,2] row_mask:0xf bank_mask:0xf
	v_add_f32_e32 v10, v10, v11
	s_nop 1
	v_mov_b32_dpp v11, v10 quad_perm:[2,3,0,1] row_mask:0xf bank_mask:0xf
	v_add_f32_e32 v10, v10, v11
	s_nop 1
	v_mov_b32_dpp v11, v10 row_half_mirror row_mask:0xf bank_mask:0xf
	v_add_f32_e32 v10, v10, v11
	s_nop 1
	v_mov_b32_dpp v11, v10 row_mirror row_mask:0xf bank_mask:0xf
	v_add_f32_e32 v10, v10, v11
	s_nop 1
	v_mov_b32_dpp v11, v10 row_bcast:15 row_mask:0xf bank_mask:0xf
	v_add_f32_e32 v10, v10, v11
	s_nop 1
	v_mov_b32_dpp v11, v10 row_bcast:31 row_mask:0xf bank_mask:0xf
	s_and_saveexec_b64 s[8:9], s[0:1]
	s_cbranch_execz .LBB683_7
; %bb.6:
	v_add_f32_e32 v10, v10, v11
	v_lshrrev_b32_e32 v11, 4, v0
	v_and_b32_e32 v11, 60, v11
	ds_write_b32 v11, v10 offset:8
.LBB683_7:
	s_or_b64 exec, exec, s[8:9]
	v_and_b32_e32 v10, 1, v0
	v_lshlrev_b32_e32 v34, 2, v10
	s_waitcnt lgkmcnt(0)
	s_barrier
	ds_read_b32 v10, v34 offset:8
	s_load_dwordx2 s[28:29], s[4:5], 0x18
	s_waitcnt lgkmcnt(0)
	v_mov_b32_dpp v11, v10 quad_perm:[1,0,3,2] row_mask:0xf bank_mask:0xf
	s_and_saveexec_b64 s[8:9], s[2:3]
	s_cbranch_execz .LBB683_9
; %bb.8:
	v_cvt_f32_u32_e32 v12, s7
	v_add_f32_e32 v10, v10, v11
	v_mov_b32_e32 v14, s17
	v_mov_b32_e32 v15, s16
	v_div_scale_f32 v11, s[24:25], v12, v12, v10
	v_rcp_f32_e32 v13, v11
	v_cndmask_b32_e32 v14, v14, v15, vcc
	s_mov_b32 s7, 0x800000
	v_fma_f32 v15, -v11, v13, 1.0
	v_fmac_f32_e32 v13, v15, v13
	v_div_scale_f32 v15, vcc, v10, v12, v10
	v_mul_f32_e32 v16, v15, v13
	v_fma_f32 v17, -v11, v16, v15
	v_fmac_f32_e32 v16, v17, v13
	v_fma_f32 v11, -v11, v16, v15
	v_div_fmas_f32 v11, v11, v13, v16
	v_div_fixup_f32 v10, v11, v12, v10
	v_add_f32_e32 v10, v14, v10
	v_mul_f32_e32 v11, 0x4b800000, v10
	v_cmp_gt_f32_e32 vcc, s7, v10
	v_cndmask_b32_e32 v10, v10, v11, vcc
	v_rsq_f32_e32 v10, v10
	v_mul_f32_e32 v11, 0x45800000, v10
	v_cndmask_b32_e32 v10, v10, v11, vcc
	v_mov_b32_e32 v11, v10
	;;#ASMSTART
	v_pk_mul_f32 v[12:13], v[18:19], v[10:11]
	;;#ASMEND
	s_waitcnt vmcnt(1)
	v_cvt_f32_f16_sdwa v19, v6 dst_sel:DWORD dst_unused:UNUSED_PAD src0_sel:WORD_1
	v_cvt_f32_f16_e32 v18, v6
	;;#ASMSTART
	v_pk_mul_f32 v[14:15], v[22:23], v[10:11]
	;;#ASMEND
	;;#ASMSTART
	v_pk_mul_f32 v[16:17], v[20:21], v[10:11]
	;;#ASMEND
	v_cvt_f32_f16_sdwa v21, v7 dst_sel:DWORD dst_unused:UNUSED_PAD src0_sel:WORD_1
	v_cvt_f32_f16_e32 v20, v7
	;;#ASMSTART
	v_pk_mul_f32 v[28:29], v[28:29], v[10:11]
	;;#ASMEND
	;;#ASMSTART
	v_pk_mul_f32 v[26:27], v[26:27], v[10:11]
	;;#ASMEND
	;; [unrolled: 3-line block ×5, first 2 shown]
	v_pk_add_f32 v[10:11], v[18:19], 1.0 op_sel_hi:[1,0]
	;;#ASMSTART
	v_pk_mul_f32 v[18:19], v[12:13], v[10:11]
	;;#ASMEND
	v_cvt_f32_f16_sdwa v13, v8 dst_sel:DWORD dst_unused:UNUSED_PAD src0_sel:WORD_1
	v_cvt_f32_f16_e32 v12, v8
	v_cvt_f32_f16_sdwa v25, v9 dst_sel:DWORD dst_unused:UNUSED_PAD src0_sel:WORD_1
	v_cvt_f32_f16_e32 v24, v9
	v_pk_add_f32 v[10:11], v[20:21], 1.0 op_sel_hi:[1,0]
	;;#ASMSTART
	v_pk_mul_f32 v[22:23], v[14:15], v[10:11]
	;;#ASMEND
	s_waitcnt vmcnt(0)
	v_cvt_f32_f16_sdwa v11, v2 dst_sel:DWORD dst_unused:UNUSED_PAD src0_sel:WORD_1
	v_cvt_f32_f16_e32 v10, v2
	v_pk_add_f32 v[8:9], v[12:13], 1.0 op_sel_hi:[1,0]
	;;#ASMSTART
	v_pk_mul_f32 v[20:21], v[16:17], v[8:9]
	;;#ASMEND
	v_pk_add_f32 v[8:9], v[24:25], 1.0 op_sel_hi:[1,0]
	v_cvt_f32_f16_sdwa v13, v3 dst_sel:DWORD dst_unused:UNUSED_PAD src0_sel:WORD_1
	v_cvt_f32_f16_e32 v12, v3
	;;#ASMSTART
	v_pk_mul_f32 v[28:29], v[28:29], v[8:9]
	;;#ASMEND
	v_cvt_f32_f16_sdwa v9, v4 dst_sel:DWORD dst_unused:UNUSED_PAD src0_sel:WORD_1
	v_cvt_f32_f16_e32 v8, v4
	v_pk_add_f32 v[2:3], v[10:11], 1.0 op_sel_hi:[1,0]
	v_cvt_f32_f16_sdwa v11, v5 dst_sel:DWORD dst_unused:UNUSED_PAD src0_sel:WORD_1
	v_cvt_f32_f16_e32 v10, v5
	;;#ASMSTART
	v_pk_mul_f32 v[26:27], v[26:27], v[2:3]
	;;#ASMEND
	v_pk_add_f32 v[2:3], v[12:13], 1.0 op_sel_hi:[1,0]
	;;#ASMSTART
	v_pk_mul_f32 v[32:33], v[32:33], v[2:3]
	;;#ASMEND
	v_pk_add_f32 v[2:3], v[8:9], 1.0 op_sel_hi:[1,0]
	;; [unrolled: 4-line block ×3, first 2 shown]
	;;#ASMSTART
	v_pk_mul_f32 v[24:25], v[6:7], v[2:3]
	;;#ASMEND
.LBB683_9:
	s_or_b64 exec, exec, s[8:9]
	s_load_dword s7, s[4:5], 0x80
	s_mov_b64 s[8:9], -1
	s_and_b64 vcc, exec, s[14:15]
	s_cbranch_vccnz .LBB683_13
; %bb.10:
	s_andn2_b64 vcc, exec, s[8:9]
	s_cbranch_vccz .LBB683_16
.LBB683_11:
	s_cmp_lt_i32 s20, 1
	s_cbranch_scc0 .LBB683_25
.LBB683_12:
	s_endpgm
.LBB683_13:
	s_and_saveexec_b64 s[14:15], s[2:3]
	s_cbranch_execz .LBB683_15
; %bb.14:
	s_waitcnt lgkmcnt(0)
	s_mul_hi_i32 s9, s7, s6
	s_mul_i32 s8, s7, s6
	s_waitcnt vmcnt(0)
	v_cvt_f16_f32_e32 v2, v18
	v_cvt_f16_f32_e32 v3, v22
	;; [unrolled: 1-line block ×8, first 2 shown]
	s_lshl_b64 s[8:9], s[8:9], 1
	s_add_u32 s8, s28, s8
	s_addc_u32 s9, s29, s9
	s_and_b32 s9, s9, 0xffff
	s_mov_b32 s11, 0x20000
	v_pack_b32_f16 v5, v5, v6
	v_pack_b32_f16 v4, v4, v7
	;; [unrolled: 1-line block ×4, first 2 shown]
	v_lshlrev_b32_e32 v6, 5, v0
	buffer_store_dwordx4 v[2:5], v6, s[8:11], 0 offen
	v_cvt_f16_f32_e32 v7, v25
	v_cvt_f16_f32_e32 v2, v26
	;; [unrolled: 1-line block ×8, first 2 shown]
	v_pack_b32_f16 v5, v5, v7
	v_pack_b32_f16 v4, v4, v8
	;; [unrolled: 1-line block ×4, first 2 shown]
	;;#ASMSTART
	s_nop 0
	;;#ASMEND
	buffer_store_dwordx4 v[2:5], v6, s[8:11], 16 offen
	;;#ASMSTART
	s_nop 0
	;;#ASMEND
.LBB683_15:
	s_or_b64 exec, exec, s[14:15]
	s_cbranch_execnz .LBB683_11
.LBB683_16:
	s_load_dwordx4 s[24:27], s[4:5], 0x70
	s_waitcnt vmcnt(0)
	v_mov_b32_e32 v2, 0
	s_and_saveexec_b64 s[14:15], s[2:3]
	s_cbranch_execz .LBB683_18
; %bb.17:
	s_load_dwordx2 s[8:9], s[4:5], 0x10
	s_waitcnt lgkmcnt(0)
	s_mul_hi_i32 s35, s27, s6
	s_mul_i32 s34, s27, s6
	v_cvt_f16_f32_e32 v2, v18
	v_cvt_f16_f32_e32 v3, v22
	;; [unrolled: 1-line block ×8, first 2 shown]
	s_lshl_b64 s[34:35], s[34:35], 1
	s_add_u32 s8, s8, s34
	s_addc_u32 s9, s9, s35
	s_mov_b32 s11, 0x20000
	s_and_b32 s9, s9, 0xffff
	v_pack_b32_f16 v5, v5, v6
	v_pack_b32_f16 v4, v4, v7
	;; [unrolled: 1-line block ×4, first 2 shown]
	v_lshlrev_b32_e32 v6, 5, v0
	buffer_store_dwordx4 v[2:5], v6, s[8:11], 0 offen
	v_cvt_f16_f32_e32 v7, v25
	v_cvt_f16_f32_e32 v2, v26
	;; [unrolled: 1-line block ×8, first 2 shown]
	v_pack_b32_f16 v5, v5, v7
	v_pack_b32_f16 v4, v4, v8
	;; [unrolled: 1-line block ×4, first 2 shown]
	;;#ASMSTART
	s_nop 0
	;;#ASMEND
	buffer_store_dwordx4 v[2:5], v6, s[8:11], 16 offen
	;;#ASMSTART
	s_nop 0
	;;#ASMEND
	s_nop 0
	v_mov_b32_e32 v2, 0x2edbe6ff
.LBB683_18:
	s_or_b64 exec, exec, s[14:15]
	s_and_saveexec_b64 s[8:9], s[2:3]
	s_cbranch_execz .LBB683_20
; %bb.19:
	v_and_b32_e32 v3, 0x7fffffff, v18
	v_and_b32_e32 v4, 0x7fffffff, v19
	;;#ASMSTART
	v_max3_f32 v2, v2, v3, v4

	;;#ASMEND
	v_and_b32_e32 v3, 0x7fffffff, v22
	v_and_b32_e32 v4, 0x7fffffff, v23
	;;#ASMSTART
	v_max3_f32 v2, v2, v3, v4

	;;#ASMEND
	;; [unrolled: 6-line block ×8, first 2 shown]
.LBB683_20:
	s_or_b64 exec, exec, s[8:9]
	;;#ASMSTART
	v_max_f32 v3, v2, v2 quad_perm:[1,0,3,2] row_mask:0xf bank_mask:0xf bound_ctrl:1
	;;#ASMEND
	;;#ASMSTART
	v_max_f32 v2, v3, v3 quad_perm:[2,3,0,1] row_mask:0xf bank_mask:0xf bound_ctrl:1
	;;#ASMEND
	v_and_b32_e32 v3, 3, v0
	v_cmp_eq_u32_e32 vcc, 0, v3
	v_cmp_gt_i32_e64 s[8:9], s19, v1
	s_and_b64 s[10:11], vcc, s[8:9]
	s_and_saveexec_b64 s[8:9], s[10:11]
	s_cbranch_execz .LBB683_22
; %bb.21:
	s_load_dwordx2 s[10:11], s[4:5], 0x8
	v_mul_f32_e32 v2, 0x3e2aaaab, v2
	v_lshrrev_b32_e32 v3, 23, v2
	v_and_b32_e32 v4, 0x7f800000, v2
	v_and_b32_e32 v2, 0x7fffff, v2
	v_cmp_ne_u32_e32 vcc, 0, v2
	s_waitcnt lgkmcnt(0)
	s_mul_i32 s16, s25, s6
	s_mov_b32 s14, 0x7f800000
	v_addc_co_u32_e32 v2, vcc, 0, v3, vcc
	s_mul_hi_i32 s15, s25, s6
	s_add_u32 s10, s10, s16
	v_cmp_ne_u32_e32 vcc, s14, v4
	s_addc_u32 s11, s11, s15
	v_lshrrev_b32_e32 v5, 2, v0
	v_cndmask_b32_e32 v4, -1, v2, vcc
	v_pk_mov_b32 v[2:3], s[10:11], s[10:11] op_sel:[0,1]
	v_mad_i64_i32 v[2:3], s[10:11], s26, v5, v[2:3]
	global_store_byte v[2:3], v4, off
.LBB683_22:
	s_or_b64 exec, exec, s[8:9]
	s_and_saveexec_b64 s[8:9], s[2:3]
	s_cbranch_execz .LBB683_24
; %bb.23:
	s_load_dwordx2 s[2:3], s[4:5], 0x0
	s_waitcnt lgkmcnt(0)
	s_mul_i32 s11, s24, s6
	s_mul_hi_i32 s10, s24, s6
	v_mov_b32_e32 v2, 0
	v_lshlrev_b32_e32 v4, 3, v0
	s_add_u32 s24, s2, s11
	s_addc_u32 s2, s3, s10
	s_lshr_b32 s3, s19, 31
	s_add_i32 s3, s19, s3
	s_ashr_i32 s3, s3, 1
	s_add_i32 s3, s3, 3
	s_ashr_i32 s10, s3, 31
	s_lshr_b32 s10, s10, 30
	s_add_i32 s3, s3, s10
	s_and_b32 s26, s3, -4
	s_and_b32 s25, s2, 0xffff
	s_mov_b32 s27, 0x20000
	v_mov_b32_e32 v3, v2
	buffer_store_dwordx2 v[2:3], v4, s[24:27], 0 offen
	;;#ASMSTART
	s_nop 0
	;;#ASMEND
.LBB683_24:
	s_or_b64 exec, exec, s[8:9]
	s_cmp_lt_i32 s20, 1
	s_cbranch_scc1 .LBB683_12
.LBB683_25:
	s_load_dword s2, s[4:5], 0x94
	s_waitcnt lgkmcnt(0)
	s_cmp_lg_u32 s2, 1
	s_cbranch_scc1 .LBB683_12
; %bb.26:
	s_lshl_b32 s2, s20, 1
	s_add_i32 s2, s2, 2
	v_cmp_gt_u32_e32 vcc, s20, v1
	s_and_b32 s14, s2, -4
	v_mov_b32_e32 v18, 0
	v_lshlrev_b32_e32 v1, 5, v0
	v_mov_b32_e32 v14, 0
	v_mov_b32_e32 v15, 0
	v_mov_b32_e32 v16, 0
	v_mov_b32_e32 v17, 0
	v_mov_b32_e32 v10, 0
	v_mov_b32_e32 v11, 0
	v_mov_b32_e32 v12, 0
	v_mov_b32_e32 v13, 0
	s_waitcnt vmcnt(1)
	v_mov_b32_e32 v6, 0
	v_mov_b32_e32 v7, 0
	;; [unrolled: 1-line block ×4, first 2 shown]
	s_waitcnt vmcnt(0)
	v_mov_b32_e32 v2, 0
	v_mov_b32_e32 v3, 0
	;; [unrolled: 1-line block ×4, first 2 shown]
	s_barrier
	s_and_saveexec_b64 s[2:3], vcc
	s_cbranch_execz .LBB683_28
; %bb.27:
	s_mul_hi_i32 s5, s22, s6
	s_mul_i32 s4, s22, s6
	s_and_b32 s13, s13, 0xffff
	s_lshl_b64 s[4:5], s[4:5], 1
	s_add_u32 s8, s30, s4
	s_mov_b32 s15, 0x20000
	s_addc_u32 s4, s31, s5
	s_and_b32 s9, s4, 0xffff
	s_mov_b32 s10, s14
	s_mov_b32 s11, s15
	buffer_load_dwordx4 v[14:17], v1, s[8:11], 0 offen
	buffer_load_dwordx4 v[10:13], v1, s[8:11], 16 offen
	;; [unrolled: 1-line block ×4, first 2 shown]
.LBB683_28:
	s_or_b64 exec, exec, s[2:3]
	v_mov_b32_e32 v19, 0
	v_mov_b32_e32 v32, 0
	;; [unrolled: 1-line block ×15, first 2 shown]
	s_and_saveexec_b64 s[2:3], vcc
	s_cbranch_execz .LBB683_30
; %bb.29:
	s_waitcnt vmcnt(3)
	v_cvt_f32_f16_sdwa v19, v14 dst_sel:DWORD dst_unused:UNUSED_PAD src0_sel:WORD_1
	v_cvt_f32_f16_e32 v18, v14
	v_cvt_f32_f16_sdwa v33, v15 dst_sel:DWORD dst_unused:UNUSED_PAD src0_sel:WORD_1
	v_cvt_f32_f16_e32 v32, v15
	;; [unrolled: 2-line block ×4, first 2 shown]
	s_waitcnt vmcnt(2)
	v_cvt_f32_f16_sdwa v27, v10 dst_sel:DWORD dst_unused:UNUSED_PAD src0_sel:WORD_1
	v_cvt_f32_f16_e32 v26, v10
	v_cvt_f32_f16_sdwa v25, v11 dst_sel:DWORD dst_unused:UNUSED_PAD src0_sel:WORD_1
	v_cvt_f32_f16_e32 v24, v11
	;; [unrolled: 2-line block ×4, first 2 shown]
.LBB683_30:
	s_or_b64 exec, exec, s[2:3]
	s_waitcnt vmcnt(2)
	v_mul_f32_e32 v10, v19, v19
	v_fmac_f32_e32 v10, v18, v18
	v_fmac_f32_e32 v10, v32, v32
	;; [unrolled: 1-line block ×15, first 2 shown]
	s_nop 1
	v_mov_b32_dpp v11, v10 quad_perm:[1,0,3,2] row_mask:0xf bank_mask:0xf
	v_add_f32_e32 v10, v10, v11
	s_nop 1
	v_mov_b32_dpp v11, v10 quad_perm:[2,3,0,1] row_mask:0xf bank_mask:0xf
	v_add_f32_e32 v10, v10, v11
	s_nop 1
	v_mov_b32_dpp v11, v10 row_half_mirror row_mask:0xf bank_mask:0xf
	v_add_f32_e32 v10, v10, v11
	s_nop 1
	v_mov_b32_dpp v11, v10 row_mirror row_mask:0xf bank_mask:0xf
	v_add_f32_e32 v10, v10, v11
	s_nop 1
	v_mov_b32_dpp v11, v10 row_bcast:15 row_mask:0xf bank_mask:0xf
	v_add_f32_e32 v10, v10, v11
	s_nop 1
	v_mov_b32_dpp v11, v10 row_bcast:31 row_mask:0xf bank_mask:0xf
	s_and_saveexec_b64 s[2:3], s[0:1]
	s_cbranch_execz .LBB683_32
; %bb.31:
	v_lshrrev_b32_e32 v0, 4, v0
	v_add_f32_e32 v10, v10, v11
	v_and_b32_e32 v0, 60, v0
	ds_write_b32 v0, v10
.LBB683_32:
	s_or_b64 exec, exec, s[2:3]
	s_waitcnt lgkmcnt(0)
	s_barrier
	ds_read_b32 v0, v34
	s_waitcnt lgkmcnt(0)
	s_nop 0
	v_mov_b32_dpp v10, v0 quad_perm:[1,0,3,2] row_mask:0xf bank_mask:0xf
	s_and_saveexec_b64 s[0:1], vcc
	s_cbranch_execz .LBB683_12
; %bb.33:
	v_cvt_f32_u32_e32 v11, s20
	v_add_f32_e32 v0, v0, v10
	s_mov_b32 s15, 0x20000
	v_div_scale_f32 v10, s[0:1], v11, v11, v0
	v_rcp_f32_e32 v12, v10
	v_div_scale_f32 v13, vcc, v0, v11, v0
	s_mov_b32 s0, 0x800000
	v_fma_f32 v14, -v10, v12, 1.0
	v_fmac_f32_e32 v12, v14, v12
	v_mul_f32_e32 v14, v13, v12
	v_fma_f32 v15, -v10, v14, v13
	v_fmac_f32_e32 v14, v15, v12
	v_fma_f32 v10, -v10, v14, v13
	v_div_fmas_f32 v10, v10, v12, v14
	v_div_fixup_f32 v0, v10, v11, v0
	v_add_f32_e32 v0, s17, v0
	v_mul_f32_e32 v10, 0x4b800000, v0
	v_cmp_gt_f32_e32 vcc, s0, v0
	v_cndmask_b32_e32 v0, v0, v10, vcc
	v_rsq_f32_e32 v0, v0
	s_mul_hi_i32 s1, s7, s6
	s_mul_i32 s0, s7, s6
	s_lshl_b64 s[0:1], s[0:1], 1
	v_mul_f32_e32 v10, 0x45800000, v0
	v_cndmask_b32_e32 v10, v0, v10, vcc
	v_mov_b32_e32 v11, v10
	;;#ASMSTART
	v_pk_mul_f32 v[12:13], v[18:19], v[10:11]
	;;#ASMEND
	;;#ASMSTART
	v_pk_mul_f32 v[14:15], v[32:33], v[10:11]
	;;#ASMEND
	;; [unrolled: 3-line block ×4, first 2 shown]
	s_waitcnt vmcnt(1)
	v_cvt_f32_f16_sdwa v29, v6 dst_sel:DWORD dst_unused:UNUSED_PAD src0_sel:WORD_1
	v_cvt_f32_f16_e32 v28, v6
	v_cvt_f32_f16_sdwa v31, v7 dst_sel:DWORD dst_unused:UNUSED_PAD src0_sel:WORD_1
	v_cvt_f32_f16_e32 v30, v7
	;;#ASMSTART
	v_pk_mul_f32 v[26:27], v[26:27], v[10:11]
	;;#ASMEND
	;;#ASMSTART
	v_pk_mul_f32 v[24:25], v[24:25], v[10:11]
	;;#ASMEND
	;; [unrolled: 3-line block ×4, first 2 shown]
	v_cvt_f32_f16_sdwa v21, v8 dst_sel:DWORD dst_unused:UNUSED_PAD src0_sel:WORD_1
	v_cvt_f32_f16_e32 v20, v8
	v_pk_add_f32 v[10:11], v[28:29], 1.0 op_sel_hi:[1,0]
	;;#ASMSTART
	v_pk_mul_f32 v[10:11], v[12:13], v[10:11]
	;;#ASMEND
	v_pk_add_f32 v[12:13], v[30:31], 1.0 op_sel_hi:[1,0]
	v_cvt_f32_f16_sdwa v29, v9 dst_sel:DWORD dst_unused:UNUSED_PAD src0_sel:WORD_1
	v_cvt_f32_f16_e32 v28, v9
	;;#ASMSTART
	v_pk_mul_f32 v[8:9], v[14:15], v[12:13]
	;;#ASMEND
	v_pk_add_f32 v[12:13], v[20:21], 1.0 op_sel_hi:[1,0]
	;;#ASMSTART
	v_pk_mul_f32 v[12:13], v[16:17], v[12:13]
	;;#ASMEND
	s_waitcnt vmcnt(0)
	v_cvt_f32_f16_sdwa v17, v2 dst_sel:DWORD dst_unused:UNUSED_PAD src0_sel:WORD_1
	v_cvt_f32_f16_e32 v16, v2
	v_cvt_f32_f16_sdwa v21, v3 dst_sel:DWORD dst_unused:UNUSED_PAD src0_sel:WORD_1
	v_cvt_f32_f16_e32 v20, v3
	v_pk_add_f32 v[14:15], v[28:29], 1.0 op_sel_hi:[1,0]
	;;#ASMSTART
	v_pk_mul_f32 v[2:3], v[18:19], v[14:15]
	;;#ASMEND
	v_cvt_f32_f16_sdwa v19, v4 dst_sel:DWORD dst_unused:UNUSED_PAD src0_sel:WORD_1
	v_cvt_f32_f16_e32 v18, v4
	v_pk_add_f32 v[14:15], v[16:17], 1.0 op_sel_hi:[1,0]
	v_pk_add_f32 v[16:17], v[20:21], 1.0 op_sel_hi:[1,0]
	v_cvt_f32_f16_sdwa v21, v5 dst_sel:DWORD dst_unused:UNUSED_PAD src0_sel:WORD_1
	v_cvt_f32_f16_e32 v20, v5
	v_pk_add_f32 v[4:5], v[18:19], 1.0 op_sel_hi:[1,0]
	;;#ASMSTART
	v_pk_mul_f32 v[14:15], v[26:27], v[14:15]
	;;#ASMEND
	;;#ASMSTART
	v_pk_mul_f32 v[16:17], v[24:25], v[16:17]
	;;#ASMEND
	;; [unrolled: 3-line block ×3, first 2 shown]
	v_pk_add_f32 v[4:5], v[20:21], 1.0 op_sel_hi:[1,0]
	;;#ASMSTART
	v_pk_mul_f32 v[6:7], v[6:7], v[4:5]
	;;#ASMEND
	v_cvt_f16_f32_e32 v0, v10
	v_cvt_f16_f32_e32 v4, v11
	;; [unrolled: 1-line block ×8, first 2 shown]
	s_add_u32 s12, s28, s0
	s_addc_u32 s0, s29, s1
	s_and_b32 s13, s0, 0xffff
	v_pack_b32_f16 v2, v0, v4
	v_pack_b32_f16 v3, v5, v8
	;; [unrolled: 1-line block ×4, first 2 shown]
	buffer_store_dwordx4 v[2:5], v1, s[12:15], 0 offen
	v_cvt_f16_f32_e32 v0, v14
	v_cvt_f16_f32_e32 v2, v15
	;; [unrolled: 1-line block ×8, first 2 shown]
	v_pack_b32_f16 v2, v0, v2
	v_pack_b32_f16 v3, v3, v4
	;; [unrolled: 1-line block ×4, first 2 shown]
	;;#ASMSTART
	s_nop 0
	;;#ASMEND
	buffer_store_dwordx4 v[2:5], v1, s[12:15], 16 offen
	;;#ASMSTART
	s_nop 0
	;;#ASMEND
	s_endpgm
	.section	.rodata,"a",@progbits
	.p2align	6, 0x0
	.amdhsa_kernel _ZN5aiter35fused_qk_rmsnorm_group_quant_kernelIDF16_N4opus5fp4_tELi128ELi16ELi4ELb0ELb1ELb1ELb0ELb0ELb0EEEvPT0_PvPT_S7_S7_PKS6_S9_S9_S9_S9_ffiiiiiiiiiiiii
		.amdhsa_group_segment_fixed_size 16
		.amdhsa_private_segment_fixed_size 0
		.amdhsa_kernarg_size 400
		.amdhsa_user_sgpr_count 6
		.amdhsa_user_sgpr_private_segment_buffer 1
		.amdhsa_user_sgpr_dispatch_ptr 0
		.amdhsa_user_sgpr_queue_ptr 0
		.amdhsa_user_sgpr_kernarg_segment_ptr 1
		.amdhsa_user_sgpr_dispatch_id 0
		.amdhsa_user_sgpr_flat_scratch_init 0
		.amdhsa_user_sgpr_kernarg_preload_length 0
		.amdhsa_user_sgpr_kernarg_preload_offset 0
		.amdhsa_user_sgpr_private_segment_size 0
		.amdhsa_uses_dynamic_stack 0
		.amdhsa_system_sgpr_private_segment_wavefront_offset 0
		.amdhsa_system_sgpr_workgroup_id_x 1
		.amdhsa_system_sgpr_workgroup_id_y 1
		.amdhsa_system_sgpr_workgroup_id_z 0
		.amdhsa_system_sgpr_workgroup_info 0
		.amdhsa_system_vgpr_workitem_id 0
		.amdhsa_next_free_vgpr 35
		.amdhsa_next_free_sgpr 36
		.amdhsa_accum_offset 36
		.amdhsa_reserve_vcc 1
		.amdhsa_reserve_flat_scratch 0
		.amdhsa_float_round_mode_32 0
		.amdhsa_float_round_mode_16_64 0
		.amdhsa_float_denorm_mode_32 3
		.amdhsa_float_denorm_mode_16_64 3
		.amdhsa_dx10_clamp 1
		.amdhsa_ieee_mode 1
		.amdhsa_fp16_overflow 0
		.amdhsa_tg_split 0
		.amdhsa_exception_fp_ieee_invalid_op 0
		.amdhsa_exception_fp_denorm_src 0
		.amdhsa_exception_fp_ieee_div_zero 0
		.amdhsa_exception_fp_ieee_overflow 0
		.amdhsa_exception_fp_ieee_underflow 0
		.amdhsa_exception_fp_ieee_inexact 0
		.amdhsa_exception_int_div_zero 0
	.end_amdhsa_kernel
	.section	.text._ZN5aiter35fused_qk_rmsnorm_group_quant_kernelIDF16_N4opus5fp4_tELi128ELi16ELi4ELb0ELb1ELb1ELb0ELb0ELb0EEEvPT0_PvPT_S7_S7_PKS6_S9_S9_S9_S9_ffiiiiiiiiiiiii,"axG",@progbits,_ZN5aiter35fused_qk_rmsnorm_group_quant_kernelIDF16_N4opus5fp4_tELi128ELi16ELi4ELb0ELb1ELb1ELb0ELb0ELb0EEEvPT0_PvPT_S7_S7_PKS6_S9_S9_S9_S9_ffiiiiiiiiiiiii,comdat
.Lfunc_end683:
	.size	_ZN5aiter35fused_qk_rmsnorm_group_quant_kernelIDF16_N4opus5fp4_tELi128ELi16ELi4ELb0ELb1ELb1ELb0ELb0ELb0EEEvPT0_PvPT_S7_S7_PKS6_S9_S9_S9_S9_ffiiiiiiiiiiiii, .Lfunc_end683-_ZN5aiter35fused_qk_rmsnorm_group_quant_kernelIDF16_N4opus5fp4_tELi128ELi16ELi4ELb0ELb1ELb1ELb0ELb0ELb0EEEvPT0_PvPT_S7_S7_PKS6_S9_S9_S9_S9_ffiiiiiiiiiiiii
                                        ; -- End function
	.section	.AMDGPU.csdata,"",@progbits
; Kernel info:
; codeLenInByte = 3436
; NumSgprs: 40
; NumVgprs: 35
; NumAgprs: 0
; TotalNumVgprs: 35
; ScratchSize: 0
; MemoryBound: 0
; FloatMode: 240
; IeeeMode: 1
; LDSByteSize: 16 bytes/workgroup (compile time only)
; SGPRBlocks: 4
; VGPRBlocks: 4
; NumSGPRsForWavesPerEU: 40
; NumVGPRsForWavesPerEU: 35
; AccumOffset: 36
; Occupancy: 8
; WaveLimiterHint : 0
; COMPUTE_PGM_RSRC2:SCRATCH_EN: 0
; COMPUTE_PGM_RSRC2:USER_SGPR: 6
; COMPUTE_PGM_RSRC2:TRAP_HANDLER: 0
; COMPUTE_PGM_RSRC2:TGID_X_EN: 1
; COMPUTE_PGM_RSRC2:TGID_Y_EN: 1
; COMPUTE_PGM_RSRC2:TGID_Z_EN: 0
; COMPUTE_PGM_RSRC2:TIDIG_COMP_CNT: 0
; COMPUTE_PGM_RSRC3_GFX90A:ACCUM_OFFSET: 8
; COMPUTE_PGM_RSRC3_GFX90A:TG_SPLIT: 0
	.section	.text._ZN5aiter35fused_qk_rmsnorm_group_quant_kernelItN4opus5fp4_tELi128ELi16ELi4ELb0ELb1ELb1ELb0ELb0ELb0EEEvPT0_PvPT_S7_S7_PKS6_S9_S9_S9_S9_ffiiiiiiiiiiiii,"axG",@progbits,_ZN5aiter35fused_qk_rmsnorm_group_quant_kernelItN4opus5fp4_tELi128ELi16ELi4ELb0ELb1ELb1ELb0ELb0ELb0EEEvPT0_PvPT_S7_S7_PKS6_S9_S9_S9_S9_ffiiiiiiiiiiiii,comdat
	.protected	_ZN5aiter35fused_qk_rmsnorm_group_quant_kernelItN4opus5fp4_tELi128ELi16ELi4ELb0ELb1ELb1ELb0ELb0ELb0EEEvPT0_PvPT_S7_S7_PKS6_S9_S9_S9_S9_ffiiiiiiiiiiiii ; -- Begin function _ZN5aiter35fused_qk_rmsnorm_group_quant_kernelItN4opus5fp4_tELi128ELi16ELi4ELb0ELb1ELb1ELb0ELb0ELb0EEEvPT0_PvPT_S7_S7_PKS6_S9_S9_S9_S9_ffiiiiiiiiiiiii
	.globl	_ZN5aiter35fused_qk_rmsnorm_group_quant_kernelItN4opus5fp4_tELi128ELi16ELi4ELb0ELb1ELb1ELb0ELb0ELb0EEEvPT0_PvPT_S7_S7_PKS6_S9_S9_S9_S9_ffiiiiiiiiiiiii
	.p2align	8
	.type	_ZN5aiter35fused_qk_rmsnorm_group_quant_kernelItN4opus5fp4_tELi128ELi16ELi4ELb0ELb1ELb1ELb0ELb0ELb0EEEvPT0_PvPT_S7_S7_PKS6_S9_S9_S9_S9_ffiiiiiiiiiiiii,@function
_ZN5aiter35fused_qk_rmsnorm_group_quant_kernelItN4opus5fp4_tELi128ELi16ELi4ELb0ELb1ELb1ELb0ELb0ELb0EEEvPT0_PvPT_S7_S7_PKS6_S9_S9_S9_S9_ffiiiiiiiiiiiii: ; @_ZN5aiter35fused_qk_rmsnorm_group_quant_kernelItN4opus5fp4_tELi128ELi16ELi4ELb0ELb1ELb1ELb0ELb0ELb0EEEvPT0_PvPT_S7_S7_PKS6_S9_S9_S9_S9_ffiiiiiiiiiiiii
; %bb.0:
	s_load_dwordx4 s[16:19], s[4:5], 0x50
	s_waitcnt lgkmcnt(0)
	s_cmp_ge_i32 s6, s18
	s_cbranch_scc1 .LBB684_12
; %bb.1:
	s_load_dwordx2 s[12:13], s[4:5], 0x48
	s_load_dwordx2 s[30:31], s[4:5], 0x30
	s_load_dwordx4 s[20:23], s[4:5], 0x60
	s_cmp_lg_u32 s7, 0
	s_cselect_b64 s[14:15], -1, 0
	s_cmp_eq_u32 s7, 0
	s_cselect_b64 vcc, -1, 0
	s_and_b64 s[0:1], vcc, exec
	s_waitcnt lgkmcnt(0)
	s_cselect_b32 s7, s19, s20
	s_add_i32 s0, s7, 1
	s_lshr_b32 s1, s0, 31
	s_add_i32 s0, s0, s1
	s_lshl_b32 s0, s0, 1
	v_lshlrev_b32_e32 v1, 4, v0
	s_and_b32 s10, s0, -4
	v_cmp_gt_i32_e64 s[2:3], s7, v1
	v_mov_b32_e32 v18, 0
	v_mov_b32_e32 v6, 0
	;; [unrolled: 1-line block ×17, first 2 shown]
	s_and_saveexec_b64 s[0:1], s[2:3]
	s_cbranch_execz .LBB684_3
; %bb.2:
	s_load_dwordx2 s[8:9], s[4:5], 0x28
	s_load_dwordx2 s[26:27], s[4:5], 0x40
	s_and_b64 s[24:25], vcc, exec
	s_cselect_b32 s11, s21, s22
	v_lshlrev_b32_e32 v19, 5, v0
	s_waitcnt lgkmcnt(0)
	s_cselect_b32 s18, s9, s31
	s_cselect_b32 s21, s8, s30
	s_mul_hi_i32 s9, s11, s6
	s_mul_i32 s8, s11, s6
	s_lshl_b64 s[8:9], s[8:9], 1
	s_add_u32 s24, s21, s8
	s_addc_u32 s18, s18, s9
	s_and_b64 s[8:9], vcc, exec
	s_mov_b32 s11, 0x20000
	s_cselect_b32 s8, s26, s12
	s_cselect_b32 s9, s27, s13
	s_and_b32 s25, s18, 0xffff
	s_mov_b32 s26, s10
	s_mov_b32 s27, s11
	s_and_b32 s9, s9, 0xffff
	buffer_load_dwordx4 v[14:17], v19, s[24:27], 0 offen
	buffer_load_dwordx4 v[10:13], v19, s[24:27], 16 offen
	;; [unrolled: 1-line block ×4, first 2 shown]
.LBB684_3:
	s_or_b64 exec, exec, s[0:1]
	v_mov_b32_e32 v19, 0
	v_mov_b32_e32 v22, 0
	;; [unrolled: 1-line block ×15, first 2 shown]
	s_and_saveexec_b64 s[0:1], s[2:3]
	s_cbranch_execz .LBB684_5
; %bb.4:
	s_waitcnt vmcnt(3)
	v_cvt_f32_u32_sdwa v18, v14 dst_sel:DWORD dst_unused:UNUSED_PAD src0_sel:WORD_0
	v_cvt_f32_u32_sdwa v19, v14 dst_sel:DWORD dst_unused:UNUSED_PAD src0_sel:WORD_1
	v_cvt_f32_u32_sdwa v22, v15 dst_sel:DWORD dst_unused:UNUSED_PAD src0_sel:WORD_0
	v_cvt_f32_u32_sdwa v23, v15 dst_sel:DWORD dst_unused:UNUSED_PAD src0_sel:WORD_1
	;; [unrolled: 2-line block ×4, first 2 shown]
	s_waitcnt vmcnt(2)
	v_cvt_f32_u32_sdwa v24, v10 dst_sel:DWORD dst_unused:UNUSED_PAD src0_sel:WORD_0
	v_cvt_f32_u32_sdwa v25, v10 dst_sel:DWORD dst_unused:UNUSED_PAD src0_sel:WORD_1
	v_cvt_f32_u32_sdwa v32, v11 dst_sel:DWORD dst_unused:UNUSED_PAD src0_sel:WORD_0
	v_cvt_f32_u32_sdwa v33, v11 dst_sel:DWORD dst_unused:UNUSED_PAD src0_sel:WORD_1
	;; [unrolled: 2-line block ×4, first 2 shown]
.LBB684_5:
	s_or_b64 exec, exec, s[0:1]
	s_waitcnt vmcnt(2)
	v_mul_f32_e32 v10, v19, v19
	v_fmac_f32_e32 v10, v18, v18
	v_fmac_f32_e32 v10, v22, v22
	;; [unrolled: 1-line block ×15, first 2 shown]
	v_and_b32_e32 v12, 63, v0
	v_cmp_eq_u32_e64 s[0:1], 63, v12
	v_mov_b32_dpp v11, v10 quad_perm:[1,0,3,2] row_mask:0xf bank_mask:0xf
	v_add_f32_e32 v10, v10, v11
	s_nop 1
	v_mov_b32_dpp v11, v10 quad_perm:[2,3,0,1] row_mask:0xf bank_mask:0xf
	v_add_f32_e32 v10, v10, v11
	s_nop 1
	v_mov_b32_dpp v11, v10 row_half_mirror row_mask:0xf bank_mask:0xf
	v_add_f32_e32 v10, v10, v11
	s_nop 1
	v_mov_b32_dpp v11, v10 row_mirror row_mask:0xf bank_mask:0xf
	v_add_f32_e32 v10, v10, v11
	s_nop 1
	v_mov_b32_dpp v11, v10 row_bcast:15 row_mask:0xf bank_mask:0xf
	v_add_f32_e32 v10, v10, v11
	s_nop 1
	v_mov_b32_dpp v11, v10 row_bcast:31 row_mask:0xf bank_mask:0xf
	s_and_saveexec_b64 s[8:9], s[0:1]
	s_cbranch_execz .LBB684_7
; %bb.6:
	v_add_f32_e32 v10, v10, v11
	v_lshrrev_b32_e32 v11, 4, v0
	v_and_b32_e32 v11, 60, v11
	ds_write_b32 v11, v10 offset:8
.LBB684_7:
	s_or_b64 exec, exec, s[8:9]
	v_and_b32_e32 v10, 1, v0
	v_lshlrev_b32_e32 v34, 2, v10
	s_waitcnt lgkmcnt(0)
	s_barrier
	ds_read_b32 v10, v34 offset:8
	s_load_dwordx2 s[28:29], s[4:5], 0x18
	s_waitcnt lgkmcnt(0)
	v_mov_b32_dpp v11, v10 quad_perm:[1,0,3,2] row_mask:0xf bank_mask:0xf
	s_and_saveexec_b64 s[8:9], s[2:3]
	s_cbranch_execz .LBB684_9
; %bb.8:
	v_cvt_f32_u32_e32 v12, s7
	v_add_f32_e32 v10, v10, v11
	v_mov_b32_e32 v14, s17
	v_mov_b32_e32 v15, s16
	v_div_scale_f32 v11, s[24:25], v12, v12, v10
	v_rcp_f32_e32 v13, v11
	v_cndmask_b32_e32 v14, v14, v15, vcc
	s_mov_b32 s7, 0x800000
	v_fma_f32 v15, -v11, v13, 1.0
	v_fmac_f32_e32 v13, v15, v13
	v_div_scale_f32 v15, vcc, v10, v12, v10
	v_mul_f32_e32 v16, v15, v13
	v_fma_f32 v17, -v11, v16, v15
	v_fmac_f32_e32 v16, v17, v13
	v_fma_f32 v11, -v11, v16, v15
	v_div_fmas_f32 v11, v11, v13, v16
	v_div_fixup_f32 v10, v11, v12, v10
	v_add_f32_e32 v10, v14, v10
	v_mul_f32_e32 v11, 0x4b800000, v10
	v_cmp_gt_f32_e32 vcc, s7, v10
	v_cndmask_b32_e32 v10, v10, v11, vcc
	v_rsq_f32_e32 v10, v10
	v_mul_f32_e32 v11, 0x45800000, v10
	v_cndmask_b32_e32 v10, v10, v11, vcc
	v_mov_b32_e32 v11, v10
	;;#ASMSTART
	v_pk_mul_f32 v[12:13], v[18:19], v[10:11]
	;;#ASMEND
	s_waitcnt vmcnt(1)
	v_cvt_f32_u32_sdwa v19, v6 dst_sel:DWORD dst_unused:UNUSED_PAD src0_sel:WORD_1
	v_cvt_f32_u32_sdwa v18, v6 dst_sel:DWORD dst_unused:UNUSED_PAD src0_sel:WORD_0
	;;#ASMSTART
	v_pk_mul_f32 v[14:15], v[22:23], v[10:11]
	;;#ASMEND
	;;#ASMSTART
	v_pk_mul_f32 v[16:17], v[20:21], v[10:11]
	;;#ASMEND
	v_cvt_f32_u32_sdwa v21, v7 dst_sel:DWORD dst_unused:UNUSED_PAD src0_sel:WORD_1
	v_cvt_f32_u32_sdwa v20, v7 dst_sel:DWORD dst_unused:UNUSED_PAD src0_sel:WORD_0
	;;#ASMSTART
	v_pk_mul_f32 v[28:29], v[28:29], v[10:11]
	;;#ASMEND
	;;#ASMSTART
	v_pk_mul_f32 v[24:25], v[24:25], v[10:11]
	;;#ASMEND
	;; [unrolled: 3-line block ×5, first 2 shown]
	v_pk_add_f32 v[10:11], v[18:19], 1.0 op_sel_hi:[1,0]
	;;#ASMSTART
	v_pk_mul_f32 v[18:19], v[12:13], v[10:11]
	;;#ASMEND
	v_cvt_f32_u32_sdwa v13, v8 dst_sel:DWORD dst_unused:UNUSED_PAD src0_sel:WORD_1
	v_cvt_f32_u32_sdwa v12, v8 dst_sel:DWORD dst_unused:UNUSED_PAD src0_sel:WORD_0
	v_cvt_f32_u32_sdwa v27, v9 dst_sel:DWORD dst_unused:UNUSED_PAD src0_sel:WORD_1
	v_cvt_f32_u32_sdwa v26, v9 dst_sel:DWORD dst_unused:UNUSED_PAD src0_sel:WORD_0
	v_pk_add_f32 v[10:11], v[20:21], 1.0 op_sel_hi:[1,0]
	;;#ASMSTART
	v_pk_mul_f32 v[22:23], v[14:15], v[10:11]
	;;#ASMEND
	s_waitcnt vmcnt(0)
	v_cvt_f32_u32_sdwa v11, v2 dst_sel:DWORD dst_unused:UNUSED_PAD src0_sel:WORD_1
	v_cvt_f32_u32_sdwa v10, v2 dst_sel:DWORD dst_unused:UNUSED_PAD src0_sel:WORD_0
	v_pk_add_f32 v[8:9], v[12:13], 1.0 op_sel_hi:[1,0]
	;;#ASMSTART
	v_pk_mul_f32 v[20:21], v[16:17], v[8:9]
	;;#ASMEND
	v_pk_add_f32 v[8:9], v[26:27], 1.0 op_sel_hi:[1,0]
	v_cvt_f32_u32_sdwa v13, v3 dst_sel:DWORD dst_unused:UNUSED_PAD src0_sel:WORD_1
	v_cvt_f32_u32_sdwa v12, v3 dst_sel:DWORD dst_unused:UNUSED_PAD src0_sel:WORD_0
	;;#ASMSTART
	v_pk_mul_f32 v[28:29], v[28:29], v[8:9]
	;;#ASMEND
	v_cvt_f32_u32_sdwa v9, v4 dst_sel:DWORD dst_unused:UNUSED_PAD src0_sel:WORD_1
	v_cvt_f32_u32_sdwa v8, v4 dst_sel:DWORD dst_unused:UNUSED_PAD src0_sel:WORD_0
	v_pk_add_f32 v[2:3], v[10:11], 1.0 op_sel_hi:[1,0]
	v_cvt_f32_u32_sdwa v11, v5 dst_sel:DWORD dst_unused:UNUSED_PAD src0_sel:WORD_1
	v_cvt_f32_u32_sdwa v10, v5 dst_sel:DWORD dst_unused:UNUSED_PAD src0_sel:WORD_0
	;;#ASMSTART
	v_pk_mul_f32 v[24:25], v[24:25], v[2:3]
	;;#ASMEND
	v_pk_add_f32 v[2:3], v[12:13], 1.0 op_sel_hi:[1,0]
	;;#ASMSTART
	v_pk_mul_f32 v[32:33], v[32:33], v[2:3]
	;;#ASMEND
	v_pk_add_f32 v[2:3], v[8:9], 1.0 op_sel_hi:[1,0]
	;; [unrolled: 4-line block ×3, first 2 shown]
	;;#ASMSTART
	v_pk_mul_f32 v[26:27], v[6:7], v[2:3]
	;;#ASMEND
.LBB684_9:
	s_or_b64 exec, exec, s[8:9]
	s_load_dword s7, s[4:5], 0x80
	s_mov_b64 s[8:9], -1
	s_and_b64 vcc, exec, s[14:15]
	s_cbranch_vccnz .LBB684_13
; %bb.10:
	s_andn2_b64 vcc, exec, s[8:9]
	s_cbranch_vccz .LBB684_16
.LBB684_11:
	s_cmp_lt_i32 s20, 1
	s_cbranch_scc0 .LBB684_25
.LBB684_12:
	s_endpgm
.LBB684_13:
	s_and_saveexec_b64 s[14:15], s[2:3]
	s_cbranch_execz .LBB684_15
; %bb.14:
	s_waitcnt lgkmcnt(0)
	s_mul_hi_i32 s9, s7, s6
	s_mul_i32 s8, s7, s6
	s_lshl_b64 s[8:9], s[8:9], 1
	s_add_u32 s8, s28, s8
	s_addc_u32 s9, s29, s9
	s_mov_b32 s16, 0x7060302
	s_and_b32 s9, s9, 0xffff
	s_mov_b32 s11, 0x20000
	s_waitcnt vmcnt(0)
	v_perm_b32 v5, v29, v28, s16
	v_perm_b32 v4, v21, v20, s16
	;; [unrolled: 1-line block ×4, first 2 shown]
	v_lshlrev_b32_e32 v6, 5, v0
	buffer_store_dwordx4 v[2:5], v6, s[8:11], 0 offen
	;;#ASMSTART
	s_nop 0
	;;#ASMEND
	s_nop 0
	v_perm_b32 v5, v27, v26, s16
	v_perm_b32 v4, v31, v30, s16
	;; [unrolled: 1-line block ×4, first 2 shown]
	buffer_store_dwordx4 v[2:5], v6, s[8:11], 16 offen
	;;#ASMSTART
	s_nop 0
	;;#ASMEND
.LBB684_15:
	s_or_b64 exec, exec, s[14:15]
	s_cbranch_execnz .LBB684_11
.LBB684_16:
	s_load_dwordx4 s[24:27], s[4:5], 0x70
	s_waitcnt vmcnt(0)
	v_mov_b32_e32 v2, 0
	s_and_saveexec_b64 s[14:15], s[2:3]
	s_cbranch_execz .LBB684_18
; %bb.17:
	s_load_dwordx2 s[8:9], s[4:5], 0x10
	s_waitcnt lgkmcnt(0)
	s_mul_hi_i32 s35, s27, s6
	s_mul_i32 s34, s27, s6
	s_lshl_b64 s[34:35], s[34:35], 1
	s_mov_b32 s16, 0x7060302
	s_add_u32 s8, s8, s34
	s_addc_u32 s9, s9, s35
	s_mov_b32 s11, 0x20000
	s_and_b32 s9, s9, 0xffff
	v_perm_b32 v5, v29, v28, s16
	v_perm_b32 v4, v21, v20, s16
	;; [unrolled: 1-line block ×4, first 2 shown]
	v_lshlrev_b32_e32 v6, 5, v0
	buffer_store_dwordx4 v[2:5], v6, s[8:11], 0 offen
	;;#ASMSTART
	s_nop 0
	;;#ASMEND
	s_nop 0
	v_perm_b32 v5, v27, v26, s16
	v_perm_b32 v4, v31, v30, s16
	v_perm_b32 v3, v33, v32, s16
	v_perm_b32 v2, v25, v24, s16
	buffer_store_dwordx4 v[2:5], v6, s[8:11], 16 offen
	;;#ASMSTART
	s_nop 0
	;;#ASMEND
	s_nop 0
	v_mov_b32_e32 v2, 0x2edbe6ff
.LBB684_18:
	s_or_b64 exec, exec, s[14:15]
	s_and_saveexec_b64 s[8:9], s[2:3]
	s_cbranch_execz .LBB684_20
; %bb.19:
	v_and_b32_e32 v3, 0x7fffffff, v18
	v_and_b32_e32 v4, 0x7fffffff, v19
	;;#ASMSTART
	v_max3_f32 v2, v2, v3, v4

	;;#ASMEND
	v_and_b32_e32 v3, 0x7fffffff, v22
	v_and_b32_e32 v4, 0x7fffffff, v23
	;;#ASMSTART
	v_max3_f32 v2, v2, v3, v4

	;;#ASMEND
	v_and_b32_e32 v3, 0x7fffffff, v20
	v_and_b32_e32 v4, 0x7fffffff, v21
	;;#ASMSTART
	v_max3_f32 v2, v2, v3, v4

	;;#ASMEND
	v_and_b32_e32 v3, 0x7fffffff, v28
	v_and_b32_e32 v4, 0x7fffffff, v29
	;;#ASMSTART
	v_max3_f32 v2, v2, v3, v4

	;;#ASMEND
	v_and_b32_e32 v3, 0x7fffffff, v24
	v_and_b32_e32 v4, 0x7fffffff, v25
	;;#ASMSTART
	v_max3_f32 v2, v2, v3, v4

	;;#ASMEND
	v_and_b32_e32 v3, 0x7fffffff, v32
	v_and_b32_e32 v4, 0x7fffffff, v33
	;;#ASMSTART
	v_max3_f32 v2, v2, v3, v4

	;;#ASMEND
	v_and_b32_e32 v3, 0x7fffffff, v30
	v_and_b32_e32 v4, 0x7fffffff, v31
	;;#ASMSTART
	v_max3_f32 v2, v2, v3, v4

	;;#ASMEND
	v_and_b32_e32 v3, 0x7fffffff, v26
	v_and_b32_e32 v4, 0x7fffffff, v27
	;;#ASMSTART
	v_max3_f32 v2, v2, v3, v4

	;;#ASMEND
.LBB684_20:
	s_or_b64 exec, exec, s[8:9]
	;;#ASMSTART
	v_max_f32 v3, v2, v2 quad_perm:[1,0,3,2] row_mask:0xf bank_mask:0xf bound_ctrl:1
	;;#ASMEND
	;;#ASMSTART
	v_max_f32 v2, v3, v3 quad_perm:[2,3,0,1] row_mask:0xf bank_mask:0xf bound_ctrl:1
	;;#ASMEND
	v_and_b32_e32 v3, 3, v0
	v_cmp_eq_u32_e32 vcc, 0, v3
	v_cmp_gt_i32_e64 s[8:9], s19, v1
	s_and_b64 s[10:11], vcc, s[8:9]
	s_and_saveexec_b64 s[8:9], s[10:11]
	s_cbranch_execz .LBB684_22
; %bb.21:
	s_load_dwordx2 s[10:11], s[4:5], 0x8
	v_mul_f32_e32 v2, 0x3e2aaaab, v2
	v_lshrrev_b32_e32 v3, 23, v2
	v_and_b32_e32 v4, 0x7f800000, v2
	v_and_b32_e32 v2, 0x7fffff, v2
	v_cmp_ne_u32_e32 vcc, 0, v2
	s_waitcnt lgkmcnt(0)
	s_mul_i32 s16, s25, s6
	s_mov_b32 s14, 0x7f800000
	v_addc_co_u32_e32 v2, vcc, 0, v3, vcc
	s_mul_hi_i32 s15, s25, s6
	s_add_u32 s10, s10, s16
	v_cmp_ne_u32_e32 vcc, s14, v4
	s_addc_u32 s11, s11, s15
	v_lshrrev_b32_e32 v5, 2, v0
	v_cndmask_b32_e32 v4, -1, v2, vcc
	v_pk_mov_b32 v[2:3], s[10:11], s[10:11] op_sel:[0,1]
	v_mad_i64_i32 v[2:3], s[10:11], s26, v5, v[2:3]
	global_store_byte v[2:3], v4, off
.LBB684_22:
	s_or_b64 exec, exec, s[8:9]
	s_and_saveexec_b64 s[8:9], s[2:3]
	s_cbranch_execz .LBB684_24
; %bb.23:
	s_load_dwordx2 s[2:3], s[4:5], 0x0
	s_waitcnt lgkmcnt(0)
	s_mul_i32 s11, s24, s6
	s_mul_hi_i32 s10, s24, s6
	v_mov_b32_e32 v2, 0
	v_lshlrev_b32_e32 v4, 3, v0
	s_add_u32 s24, s2, s11
	s_addc_u32 s2, s3, s10
	s_lshr_b32 s3, s19, 31
	s_add_i32 s3, s19, s3
	s_ashr_i32 s3, s3, 1
	s_add_i32 s3, s3, 3
	s_ashr_i32 s10, s3, 31
	s_lshr_b32 s10, s10, 30
	s_add_i32 s3, s3, s10
	s_and_b32 s26, s3, -4
	s_and_b32 s25, s2, 0xffff
	s_mov_b32 s27, 0x20000
	v_mov_b32_e32 v3, v2
	buffer_store_dwordx2 v[2:3], v4, s[24:27], 0 offen
	;;#ASMSTART
	s_nop 0
	;;#ASMEND
.LBB684_24:
	s_or_b64 exec, exec, s[8:9]
	s_cmp_lt_i32 s20, 1
	s_cbranch_scc1 .LBB684_12
.LBB684_25:
	s_load_dword s2, s[4:5], 0x94
	s_waitcnt lgkmcnt(0)
	s_cmp_lg_u32 s2, 1
	s_cbranch_scc1 .LBB684_12
; %bb.26:
	s_lshl_b32 s2, s20, 1
	s_add_i32 s2, s2, 2
	v_cmp_gt_u32_e32 vcc, s20, v1
	s_and_b32 s14, s2, -4
	v_mov_b32_e32 v18, 0
	v_lshlrev_b32_e32 v1, 5, v0
	v_mov_b32_e32 v14, 0
	v_mov_b32_e32 v15, 0
	;; [unrolled: 1-line block ×8, first 2 shown]
	s_waitcnt vmcnt(1)
	v_mov_b32_e32 v6, 0
	v_mov_b32_e32 v7, 0
	;; [unrolled: 1-line block ×4, first 2 shown]
	s_waitcnt vmcnt(0)
	v_mov_b32_e32 v2, 0
	v_mov_b32_e32 v3, 0
	;; [unrolled: 1-line block ×4, first 2 shown]
	s_barrier
	s_and_saveexec_b64 s[2:3], vcc
	s_cbranch_execz .LBB684_28
; %bb.27:
	s_mul_hi_i32 s5, s22, s6
	s_mul_i32 s4, s22, s6
	s_and_b32 s13, s13, 0xffff
	s_lshl_b64 s[4:5], s[4:5], 1
	s_add_u32 s8, s30, s4
	s_mov_b32 s15, 0x20000
	s_addc_u32 s4, s31, s5
	s_and_b32 s9, s4, 0xffff
	s_mov_b32 s10, s14
	s_mov_b32 s11, s15
	buffer_load_dwordx4 v[14:17], v1, s[8:11], 0 offen
	buffer_load_dwordx4 v[10:13], v1, s[8:11], 16 offen
	;; [unrolled: 1-line block ×4, first 2 shown]
.LBB684_28:
	s_or_b64 exec, exec, s[2:3]
	v_mov_b32_e32 v19, 0
	v_mov_b32_e32 v32, 0
	;; [unrolled: 1-line block ×15, first 2 shown]
	s_and_saveexec_b64 s[2:3], vcc
	s_cbranch_execz .LBB684_30
; %bb.29:
	s_waitcnt vmcnt(3)
	v_cvt_f32_u32_sdwa v18, v14 dst_sel:DWORD dst_unused:UNUSED_PAD src0_sel:WORD_0
	v_cvt_f32_u32_sdwa v19, v14 dst_sel:DWORD dst_unused:UNUSED_PAD src0_sel:WORD_1
	v_cvt_f32_u32_sdwa v32, v15 dst_sel:DWORD dst_unused:UNUSED_PAD src0_sel:WORD_0
	v_cvt_f32_u32_sdwa v33, v15 dst_sel:DWORD dst_unused:UNUSED_PAD src0_sel:WORD_1
	;; [unrolled: 2-line block ×4, first 2 shown]
	s_waitcnt vmcnt(2)
	v_cvt_f32_u32_sdwa v26, v10 dst_sel:DWORD dst_unused:UNUSED_PAD src0_sel:WORD_0
	v_cvt_f32_u32_sdwa v27, v10 dst_sel:DWORD dst_unused:UNUSED_PAD src0_sel:WORD_1
	v_cvt_f32_u32_sdwa v24, v11 dst_sel:DWORD dst_unused:UNUSED_PAD src0_sel:WORD_0
	v_cvt_f32_u32_sdwa v25, v11 dst_sel:DWORD dst_unused:UNUSED_PAD src0_sel:WORD_1
	;; [unrolled: 2-line block ×4, first 2 shown]
.LBB684_30:
	s_or_b64 exec, exec, s[2:3]
	s_waitcnt vmcnt(2)
	v_mul_f32_e32 v10, v19, v19
	v_fmac_f32_e32 v10, v18, v18
	v_fmac_f32_e32 v10, v32, v32
	;; [unrolled: 1-line block ×15, first 2 shown]
	s_nop 1
	v_mov_b32_dpp v11, v10 quad_perm:[1,0,3,2] row_mask:0xf bank_mask:0xf
	v_add_f32_e32 v10, v10, v11
	s_nop 1
	v_mov_b32_dpp v11, v10 quad_perm:[2,3,0,1] row_mask:0xf bank_mask:0xf
	v_add_f32_e32 v10, v10, v11
	s_nop 1
	v_mov_b32_dpp v11, v10 row_half_mirror row_mask:0xf bank_mask:0xf
	v_add_f32_e32 v10, v10, v11
	s_nop 1
	v_mov_b32_dpp v11, v10 row_mirror row_mask:0xf bank_mask:0xf
	v_add_f32_e32 v10, v10, v11
	s_nop 1
	v_mov_b32_dpp v11, v10 row_bcast:15 row_mask:0xf bank_mask:0xf
	v_add_f32_e32 v10, v10, v11
	s_nop 1
	v_mov_b32_dpp v11, v10 row_bcast:31 row_mask:0xf bank_mask:0xf
	s_and_saveexec_b64 s[2:3], s[0:1]
	s_cbranch_execz .LBB684_32
; %bb.31:
	v_lshrrev_b32_e32 v0, 4, v0
	v_add_f32_e32 v10, v10, v11
	v_and_b32_e32 v0, 60, v0
	ds_write_b32 v0, v10
.LBB684_32:
	s_or_b64 exec, exec, s[2:3]
	s_waitcnt lgkmcnt(0)
	s_barrier
	ds_read_b32 v0, v34
	s_waitcnt lgkmcnt(0)
	s_nop 0
	v_mov_b32_dpp v10, v0 quad_perm:[1,0,3,2] row_mask:0xf bank_mask:0xf
	s_and_saveexec_b64 s[0:1], vcc
	s_cbranch_execz .LBB684_12
; %bb.33:
	v_cvt_f32_u32_e32 v11, s20
	v_add_f32_e32 v0, v0, v10
	s_mov_b32 s15, 0x20000
	v_div_scale_f32 v10, s[0:1], v11, v11, v0
	v_rcp_f32_e32 v12, v10
	v_div_scale_f32 v13, vcc, v0, v11, v0
	s_mov_b32 s0, 0x800000
	v_fma_f32 v14, -v10, v12, 1.0
	v_fmac_f32_e32 v12, v14, v12
	v_mul_f32_e32 v14, v13, v12
	v_fma_f32 v15, -v10, v14, v13
	v_fmac_f32_e32 v14, v15, v12
	v_fma_f32 v10, -v10, v14, v13
	v_div_fmas_f32 v10, v10, v12, v14
	v_div_fixup_f32 v0, v10, v11, v0
	v_add_f32_e32 v0, s17, v0
	v_mul_f32_e32 v10, 0x4b800000, v0
	v_cmp_gt_f32_e32 vcc, s0, v0
	v_cndmask_b32_e32 v0, v0, v10, vcc
	v_rsq_f32_e32 v0, v0
	s_mul_hi_i32 s1, s7, s6
	s_mul_i32 s0, s7, s6
	s_lshl_b64 s[0:1], s[0:1], 1
	v_mul_f32_e32 v10, 0x45800000, v0
	v_cndmask_b32_e32 v10, v0, v10, vcc
	v_mov_b32_e32 v11, v10
	;;#ASMSTART
	v_pk_mul_f32 v[12:13], v[18:19], v[10:11]
	;;#ASMEND
	;;#ASMSTART
	v_pk_mul_f32 v[14:15], v[32:33], v[10:11]
	;;#ASMEND
	;; [unrolled: 3-line block ×4, first 2 shown]
	s_waitcnt vmcnt(1)
	v_cvt_f32_u32_sdwa v29, v6 dst_sel:DWORD dst_unused:UNUSED_PAD src0_sel:WORD_1
	v_cvt_f32_u32_sdwa v28, v6 dst_sel:DWORD dst_unused:UNUSED_PAD src0_sel:WORD_0
	v_cvt_f32_u32_sdwa v31, v7 dst_sel:DWORD dst_unused:UNUSED_PAD src0_sel:WORD_1
	v_cvt_f32_u32_sdwa v30, v7 dst_sel:DWORD dst_unused:UNUSED_PAD src0_sel:WORD_0
	;;#ASMSTART
	v_pk_mul_f32 v[26:27], v[26:27], v[10:11]
	;;#ASMEND
	;;#ASMSTART
	v_pk_mul_f32 v[24:25], v[24:25], v[10:11]
	;;#ASMEND
	;; [unrolled: 3-line block ×4, first 2 shown]
	v_cvt_f32_u32_sdwa v21, v8 dst_sel:DWORD dst_unused:UNUSED_PAD src0_sel:WORD_1
	v_cvt_f32_u32_sdwa v20, v8 dst_sel:DWORD dst_unused:UNUSED_PAD src0_sel:WORD_0
	v_pk_add_f32 v[10:11], v[28:29], 1.0 op_sel_hi:[1,0]
	;;#ASMSTART
	v_pk_mul_f32 v[10:11], v[12:13], v[10:11]
	;;#ASMEND
	v_pk_add_f32 v[12:13], v[30:31], 1.0 op_sel_hi:[1,0]
	v_cvt_f32_u32_sdwa v29, v9 dst_sel:DWORD dst_unused:UNUSED_PAD src0_sel:WORD_1
	v_cvt_f32_u32_sdwa v28, v9 dst_sel:DWORD dst_unused:UNUSED_PAD src0_sel:WORD_0
	;;#ASMSTART
	v_pk_mul_f32 v[8:9], v[14:15], v[12:13]
	;;#ASMEND
	v_pk_add_f32 v[12:13], v[20:21], 1.0 op_sel_hi:[1,0]
	;;#ASMSTART
	v_pk_mul_f32 v[12:13], v[16:17], v[12:13]
	;;#ASMEND
	s_waitcnt vmcnt(0)
	v_cvt_f32_u32_sdwa v17, v2 dst_sel:DWORD dst_unused:UNUSED_PAD src0_sel:WORD_1
	v_cvt_f32_u32_sdwa v16, v2 dst_sel:DWORD dst_unused:UNUSED_PAD src0_sel:WORD_0
	v_cvt_f32_u32_sdwa v21, v3 dst_sel:DWORD dst_unused:UNUSED_PAD src0_sel:WORD_1
	v_cvt_f32_u32_sdwa v20, v3 dst_sel:DWORD dst_unused:UNUSED_PAD src0_sel:WORD_0
	v_pk_add_f32 v[14:15], v[28:29], 1.0 op_sel_hi:[1,0]
	;;#ASMSTART
	v_pk_mul_f32 v[14:15], v[18:19], v[14:15]
	;;#ASMEND
	v_pk_add_f32 v[2:3], v[16:17], 1.0 op_sel_hi:[1,0]
	v_cvt_f32_u32_sdwa v19, v4 dst_sel:DWORD dst_unused:UNUSED_PAD src0_sel:WORD_1
	v_cvt_f32_u32_sdwa v18, v4 dst_sel:DWORD dst_unused:UNUSED_PAD src0_sel:WORD_0
	;;#ASMSTART
	v_pk_mul_f32 v[16:17], v[26:27], v[2:3]
	;;#ASMEND
	v_pk_add_f32 v[2:3], v[20:21], 1.0 op_sel_hi:[1,0]
	v_cvt_f32_u32_sdwa v21, v5 dst_sel:DWORD dst_unused:UNUSED_PAD src0_sel:WORD_1
	v_cvt_f32_u32_sdwa v20, v5 dst_sel:DWORD dst_unused:UNUSED_PAD src0_sel:WORD_0
	s_add_u32 s12, s28, s0
	;;#ASMSTART
	v_pk_mul_f32 v[24:25], v[24:25], v[2:3]
	;;#ASMEND
	v_pk_add_f32 v[2:3], v[18:19], 1.0 op_sel_hi:[1,0]
	s_addc_u32 s0, s29, s1
	;;#ASMSTART
	v_pk_mul_f32 v[18:19], v[22:23], v[2:3]
	;;#ASMEND
	v_pk_add_f32 v[2:3], v[20:21], 1.0 op_sel_hi:[1,0]
	s_and_b32 s13, s0, 0xffff
	s_mov_b32 s0, 0x7060302
	;;#ASMSTART
	v_pk_mul_f32 v[6:7], v[6:7], v[2:3]
	;;#ASMEND
	v_perm_b32 v2, v11, v10, s0
	v_perm_b32 v3, v9, v8, s0
	v_perm_b32 v4, v13, v12, s0
	v_perm_b32 v5, v15, v14, s0
	buffer_store_dwordx4 v[2:5], v1, s[12:15], 0 offen
	;;#ASMSTART
	s_nop 0
	;;#ASMEND
	s_nop 0
	v_perm_b32 v2, v17, v16, s0
	v_perm_b32 v3, v25, v24, s0
	;; [unrolled: 1-line block ×4, first 2 shown]
	buffer_store_dwordx4 v[2:5], v1, s[12:15], 16 offen
	;;#ASMSTART
	s_nop 0
	;;#ASMEND
	s_endpgm
	.section	.rodata,"a",@progbits
	.p2align	6, 0x0
	.amdhsa_kernel _ZN5aiter35fused_qk_rmsnorm_group_quant_kernelItN4opus5fp4_tELi128ELi16ELi4ELb0ELb1ELb1ELb0ELb0ELb0EEEvPT0_PvPT_S7_S7_PKS6_S9_S9_S9_S9_ffiiiiiiiiiiiii
		.amdhsa_group_segment_fixed_size 16
		.amdhsa_private_segment_fixed_size 0
		.amdhsa_kernarg_size 400
		.amdhsa_user_sgpr_count 6
		.amdhsa_user_sgpr_private_segment_buffer 1
		.amdhsa_user_sgpr_dispatch_ptr 0
		.amdhsa_user_sgpr_queue_ptr 0
		.amdhsa_user_sgpr_kernarg_segment_ptr 1
		.amdhsa_user_sgpr_dispatch_id 0
		.amdhsa_user_sgpr_flat_scratch_init 0
		.amdhsa_user_sgpr_kernarg_preload_length 0
		.amdhsa_user_sgpr_kernarg_preload_offset 0
		.amdhsa_user_sgpr_private_segment_size 0
		.amdhsa_uses_dynamic_stack 0
		.amdhsa_system_sgpr_private_segment_wavefront_offset 0
		.amdhsa_system_sgpr_workgroup_id_x 1
		.amdhsa_system_sgpr_workgroup_id_y 1
		.amdhsa_system_sgpr_workgroup_id_z 0
		.amdhsa_system_sgpr_workgroup_info 0
		.amdhsa_system_vgpr_workitem_id 0
		.amdhsa_next_free_vgpr 35
		.amdhsa_next_free_sgpr 36
		.amdhsa_accum_offset 36
		.amdhsa_reserve_vcc 1
		.amdhsa_reserve_flat_scratch 0
		.amdhsa_float_round_mode_32 0
		.amdhsa_float_round_mode_16_64 0
		.amdhsa_float_denorm_mode_32 3
		.amdhsa_float_denorm_mode_16_64 3
		.amdhsa_dx10_clamp 1
		.amdhsa_ieee_mode 1
		.amdhsa_fp16_overflow 0
		.amdhsa_tg_split 0
		.amdhsa_exception_fp_ieee_invalid_op 0
		.amdhsa_exception_fp_denorm_src 0
		.amdhsa_exception_fp_ieee_div_zero 0
		.amdhsa_exception_fp_ieee_overflow 0
		.amdhsa_exception_fp_ieee_underflow 0
		.amdhsa_exception_fp_ieee_inexact 0
		.amdhsa_exception_int_div_zero 0
	.end_amdhsa_kernel
	.section	.text._ZN5aiter35fused_qk_rmsnorm_group_quant_kernelItN4opus5fp4_tELi128ELi16ELi4ELb0ELb1ELb1ELb0ELb0ELb0EEEvPT0_PvPT_S7_S7_PKS6_S9_S9_S9_S9_ffiiiiiiiiiiiii,"axG",@progbits,_ZN5aiter35fused_qk_rmsnorm_group_quant_kernelItN4opus5fp4_tELi128ELi16ELi4ELb0ELb1ELb1ELb0ELb0ELb0EEEvPT0_PvPT_S7_S7_PKS6_S9_S9_S9_S9_ffiiiiiiiiiiiii,comdat
.Lfunc_end684:
	.size	_ZN5aiter35fused_qk_rmsnorm_group_quant_kernelItN4opus5fp4_tELi128ELi16ELi4ELb0ELb1ELb1ELb0ELb0ELb0EEEvPT0_PvPT_S7_S7_PKS6_S9_S9_S9_S9_ffiiiiiiiiiiiii, .Lfunc_end684-_ZN5aiter35fused_qk_rmsnorm_group_quant_kernelItN4opus5fp4_tELi128ELi16ELi4ELb0ELb1ELb1ELb0ELb0ELb0EEEvPT0_PvPT_S7_S7_PKS6_S9_S9_S9_S9_ffiiiiiiiiiiiii
                                        ; -- End function
	.section	.AMDGPU.csdata,"",@progbits
; Kernel info:
; codeLenInByte = 3408
; NumSgprs: 40
; NumVgprs: 35
; NumAgprs: 0
; TotalNumVgprs: 35
; ScratchSize: 0
; MemoryBound: 0
; FloatMode: 240
; IeeeMode: 1
; LDSByteSize: 16 bytes/workgroup (compile time only)
; SGPRBlocks: 4
; VGPRBlocks: 4
; NumSGPRsForWavesPerEU: 40
; NumVGPRsForWavesPerEU: 35
; AccumOffset: 36
; Occupancy: 8
; WaveLimiterHint : 0
; COMPUTE_PGM_RSRC2:SCRATCH_EN: 0
; COMPUTE_PGM_RSRC2:USER_SGPR: 6
; COMPUTE_PGM_RSRC2:TRAP_HANDLER: 0
; COMPUTE_PGM_RSRC2:TGID_X_EN: 1
; COMPUTE_PGM_RSRC2:TGID_Y_EN: 1
; COMPUTE_PGM_RSRC2:TGID_Z_EN: 0
; COMPUTE_PGM_RSRC2:TIDIG_COMP_CNT: 0
; COMPUTE_PGM_RSRC3_GFX90A:ACCUM_OFFSET: 8
; COMPUTE_PGM_RSRC3_GFX90A:TG_SPLIT: 0
	.section	.text._ZN5aiter35fused_qk_rmsnorm_group_quant_kernelIDF16_DB8_Li128ELi16ELi4ELb0ELb1ELb0ELb0ELb0ELb0EEEvPT0_PvPT_S6_S6_PKS5_S8_S8_S8_S8_ffiiiiiiiiiiiii,"axG",@progbits,_ZN5aiter35fused_qk_rmsnorm_group_quant_kernelIDF16_DB8_Li128ELi16ELi4ELb0ELb1ELb0ELb0ELb0ELb0EEEvPT0_PvPT_S6_S6_PKS5_S8_S8_S8_S8_ffiiiiiiiiiiiii,comdat
	.protected	_ZN5aiter35fused_qk_rmsnorm_group_quant_kernelIDF16_DB8_Li128ELi16ELi4ELb0ELb1ELb0ELb0ELb0ELb0EEEvPT0_PvPT_S6_S6_PKS5_S8_S8_S8_S8_ffiiiiiiiiiiiii ; -- Begin function _ZN5aiter35fused_qk_rmsnorm_group_quant_kernelIDF16_DB8_Li128ELi16ELi4ELb0ELb1ELb0ELb0ELb0ELb0EEEvPT0_PvPT_S6_S6_PKS5_S8_S8_S8_S8_ffiiiiiiiiiiiii
	.globl	_ZN5aiter35fused_qk_rmsnorm_group_quant_kernelIDF16_DB8_Li128ELi16ELi4ELb0ELb1ELb0ELb0ELb0ELb0EEEvPT0_PvPT_S6_S6_PKS5_S8_S8_S8_S8_ffiiiiiiiiiiiii
	.p2align	8
	.type	_ZN5aiter35fused_qk_rmsnorm_group_quant_kernelIDF16_DB8_Li128ELi16ELi4ELb0ELb1ELb0ELb0ELb0ELb0EEEvPT0_PvPT_S6_S6_PKS5_S8_S8_S8_S8_ffiiiiiiiiiiiii,@function
_ZN5aiter35fused_qk_rmsnorm_group_quant_kernelIDF16_DB8_Li128ELi16ELi4ELb0ELb1ELb0ELb0ELb0ELb0EEEvPT0_PvPT_S6_S6_PKS5_S8_S8_S8_S8_ffiiiiiiiiiiiii: ; @_ZN5aiter35fused_qk_rmsnorm_group_quant_kernelIDF16_DB8_Li128ELi16ELi4ELb0ELb1ELb0ELb0ELb0ELb0EEEvPT0_PvPT_S6_S6_PKS5_S8_S8_S8_S8_ffiiiiiiiiiiiii
; %bb.0:
	s_load_dwordx4 s[16:19], s[4:5], 0x50
	s_waitcnt lgkmcnt(0)
	s_cmp_ge_i32 s6, s18
	s_cbranch_scc1 .LBB685_12
; %bb.1:
	s_load_dwordx2 s[12:13], s[4:5], 0x48
	s_load_dwordx2 s[30:31], s[4:5], 0x30
	s_load_dwordx4 s[20:23], s[4:5], 0x60
	s_cmp_lg_u32 s7, 0
	s_cselect_b64 s[14:15], -1, 0
	s_cmp_eq_u32 s7, 0
	s_cselect_b64 vcc, -1, 0
	s_and_b64 s[0:1], vcc, exec
	s_waitcnt lgkmcnt(0)
	s_cselect_b32 s7, s19, s20
	s_add_i32 s0, s7, 1
	s_lshr_b32 s1, s0, 31
	s_add_i32 s0, s0, s1
	s_lshl_b32 s0, s0, 1
	v_lshlrev_b32_e32 v1, 4, v0
	s_and_b32 s10, s0, -4
	v_cmp_gt_i32_e64 s[2:3], s7, v1
	v_mov_b32_e32 v18, 0
	v_mov_b32_e32 v6, 0
	;; [unrolled: 1-line block ×17, first 2 shown]
	s_and_saveexec_b64 s[0:1], s[2:3]
	s_cbranch_execz .LBB685_3
; %bb.2:
	s_load_dwordx2 s[8:9], s[4:5], 0x28
	s_load_dwordx2 s[26:27], s[4:5], 0x40
	s_and_b64 s[24:25], vcc, exec
	s_cselect_b32 s11, s21, s22
	v_lshlrev_b32_e32 v19, 5, v0
	s_waitcnt lgkmcnt(0)
	s_cselect_b32 s18, s9, s31
	s_cselect_b32 s21, s8, s30
	s_mul_hi_i32 s9, s11, s6
	s_mul_i32 s8, s11, s6
	s_lshl_b64 s[8:9], s[8:9], 1
	s_add_u32 s24, s21, s8
	s_addc_u32 s18, s18, s9
	s_and_b64 s[8:9], vcc, exec
	s_mov_b32 s11, 0x20000
	s_cselect_b32 s8, s26, s12
	s_cselect_b32 s9, s27, s13
	s_and_b32 s25, s18, 0xffff
	s_mov_b32 s26, s10
	s_mov_b32 s27, s11
	s_and_b32 s9, s9, 0xffff
	buffer_load_dwordx4 v[14:17], v19, s[24:27], 0 offen
	buffer_load_dwordx4 v[10:13], v19, s[24:27], 16 offen
	buffer_load_dwordx4 v[6:9], v19, s[8:11], 0 offen
	buffer_load_dwordx4 v[2:5], v19, s[8:11], 16 offen
.LBB685_3:
	s_or_b64 exec, exec, s[0:1]
	v_mov_b32_e32 v19, 0
	v_mov_b32_e32 v32, 0
	;; [unrolled: 1-line block ×15, first 2 shown]
	s_and_saveexec_b64 s[0:1], s[2:3]
	s_cbranch_execz .LBB685_5
; %bb.4:
	s_waitcnt vmcnt(3)
	v_cvt_f32_f16_sdwa v19, v14 dst_sel:DWORD dst_unused:UNUSED_PAD src0_sel:WORD_1
	v_cvt_f32_f16_e32 v18, v14
	v_cvt_f32_f16_sdwa v33, v15 dst_sel:DWORD dst_unused:UNUSED_PAD src0_sel:WORD_1
	v_cvt_f32_f16_e32 v32, v15
	;; [unrolled: 2-line block ×4, first 2 shown]
	s_waitcnt vmcnt(2)
	v_cvt_f32_f16_sdwa v31, v10 dst_sel:DWORD dst_unused:UNUSED_PAD src0_sel:WORD_1
	v_cvt_f32_f16_e32 v30, v10
	v_cvt_f32_f16_sdwa v29, v11 dst_sel:DWORD dst_unused:UNUSED_PAD src0_sel:WORD_1
	v_cvt_f32_f16_e32 v28, v11
	;; [unrolled: 2-line block ×4, first 2 shown]
.LBB685_5:
	s_or_b64 exec, exec, s[0:1]
	s_waitcnt vmcnt(2)
	v_mul_f32_e32 v10, v19, v19
	v_fmac_f32_e32 v10, v18, v18
	v_fmac_f32_e32 v10, v32, v32
	;; [unrolled: 1-line block ×15, first 2 shown]
	v_and_b32_e32 v12, 63, v0
	v_cmp_eq_u32_e64 s[0:1], 63, v12
	v_mov_b32_dpp v11, v10 quad_perm:[1,0,3,2] row_mask:0xf bank_mask:0xf
	v_add_f32_e32 v10, v10, v11
	s_nop 1
	v_mov_b32_dpp v11, v10 quad_perm:[2,3,0,1] row_mask:0xf bank_mask:0xf
	v_add_f32_e32 v10, v10, v11
	s_nop 1
	v_mov_b32_dpp v11, v10 row_half_mirror row_mask:0xf bank_mask:0xf
	v_add_f32_e32 v10, v10, v11
	s_nop 1
	v_mov_b32_dpp v11, v10 row_mirror row_mask:0xf bank_mask:0xf
	v_add_f32_e32 v10, v10, v11
	s_nop 1
	v_mov_b32_dpp v11, v10 row_bcast:15 row_mask:0xf bank_mask:0xf
	v_add_f32_e32 v10, v10, v11
	s_nop 1
	v_mov_b32_dpp v11, v10 row_bcast:31 row_mask:0xf bank_mask:0xf
	s_and_saveexec_b64 s[8:9], s[0:1]
	s_cbranch_execz .LBB685_7
; %bb.6:
	v_add_f32_e32 v10, v10, v11
	v_lshrrev_b32_e32 v11, 4, v0
	v_and_b32_e32 v11, 60, v11
	ds_write_b32 v11, v10 offset:8
.LBB685_7:
	s_or_b64 exec, exec, s[8:9]
	v_and_b32_e32 v10, 1, v0
	v_lshlrev_b32_e32 v34, 2, v10
	s_waitcnt lgkmcnt(0)
	s_barrier
	ds_read_b32 v10, v34 offset:8
	s_load_dwordx2 s[28:29], s[4:5], 0x18
	s_waitcnt lgkmcnt(0)
	v_mov_b32_dpp v11, v10 quad_perm:[1,0,3,2] row_mask:0xf bank_mask:0xf
	s_and_saveexec_b64 s[8:9], s[2:3]
	s_cbranch_execz .LBB685_9
; %bb.8:
	v_cvt_f32_u32_e32 v12, s7
	v_add_f32_e32 v10, v10, v11
	v_mov_b32_e32 v14, s17
	v_mov_b32_e32 v15, s16
	v_div_scale_f32 v11, s[24:25], v12, v12, v10
	v_rcp_f32_e32 v13, v11
	v_cndmask_b32_e32 v14, v14, v15, vcc
	s_mov_b32 s7, 0x800000
	s_waitcnt vmcnt(1)
	v_cvt_f32_f16_sdwa v37, v9 dst_sel:DWORD dst_unused:UNUSED_PAD src0_sel:WORD_1
	v_fma_f32 v15, -v11, v13, 1.0
	v_fmac_f32_e32 v13, v15, v13
	v_div_scale_f32 v15, vcc, v10, v12, v10
	v_mul_f32_e32 v16, v15, v13
	v_fma_f32 v17, -v11, v16, v15
	v_fmac_f32_e32 v16, v17, v13
	v_fma_f32 v11, -v11, v16, v15
	v_div_fmas_f32 v11, v11, v13, v16
	v_div_fixup_f32 v10, v11, v12, v10
	v_add_f32_e32 v10, v14, v10
	v_mul_f32_e32 v11, 0x4b800000, v10
	v_cmp_gt_f32_e32 vcc, s7, v10
	v_cndmask_b32_e32 v10, v10, v11, vcc
	v_rsq_f32_e32 v10, v10
	v_cvt_f32_f16_e32 v36, v9
	s_waitcnt vmcnt(0)
	v_cvt_f32_f16_sdwa v9, v3 dst_sel:DWORD dst_unused:UNUSED_PAD src0_sel:WORD_1
	v_mul_f32_e32 v11, 0x45800000, v10
	v_cndmask_b32_e32 v10, v10, v11, vcc
	v_mov_b32_e32 v11, v10
	;;#ASMSTART
	v_pk_mul_f32 v[12:13], v[18:19], v[10:11]
	;;#ASMEND
	;;#ASMSTART
	v_pk_mul_f32 v[14:15], v[32:33], v[10:11]
	;;#ASMEND
	;;#ASMSTART
	v_pk_mul_f32 v[16:17], v[26:27], v[10:11]
	;;#ASMEND
	;;#ASMSTART
	v_pk_mul_f32 v[24:25], v[24:25], v[10:11]
	;;#ASMEND
	;;#ASMSTART
	v_pk_mul_f32 v[30:31], v[30:31], v[10:11]
	;;#ASMEND
	;;#ASMSTART
	v_pk_mul_f32 v[28:29], v[28:29], v[10:11]
	;;#ASMEND
	;;#ASMSTART
	v_pk_mul_f32 v[22:23], v[22:23], v[10:11]
	;;#ASMEND
	;;#ASMSTART
	v_pk_mul_f32 v[10:11], v[20:21], v[10:11]
	;;#ASMEND
	v_cvt_f32_f16_sdwa v19, v6 dst_sel:DWORD dst_unused:UNUSED_PAD src0_sel:WORD_1
	v_cvt_f32_f16_e32 v18, v6
	v_cvt_f32_f16_sdwa v21, v7 dst_sel:DWORD dst_unused:UNUSED_PAD src0_sel:WORD_1
	v_cvt_f32_f16_e32 v20, v7
	;; [unrolled: 2-line block ×3, first 2 shown]
	;;#ASMSTART
	v_pk_mul_f32 v[18:19], v[12:13], v[18:19]
	;;#ASMEND
	;;#ASMSTART
	v_pk_mul_f32 v[32:33], v[14:15], v[20:21]
	;;#ASMEND
	;; [unrolled: 3-line block ×4, first 2 shown]
	v_cvt_f32_f16_sdwa v7, v2 dst_sel:DWORD dst_unused:UNUSED_PAD src0_sel:WORD_1
	v_cvt_f32_f16_e32 v6, v2
	v_cvt_f32_f16_e32 v8, v3
	v_cvt_f32_f16_sdwa v3, v4 dst_sel:DWORD dst_unused:UNUSED_PAD src0_sel:WORD_1
	v_cvt_f32_f16_e32 v2, v4
	v_cvt_f32_f16_sdwa v13, v5 dst_sel:DWORD dst_unused:UNUSED_PAD src0_sel:WORD_1
	v_cvt_f32_f16_e32 v12, v5
	;;#ASMSTART
	v_pk_mul_f32 v[30:31], v[30:31], v[6:7]
	;;#ASMEND
	;;#ASMSTART
	v_pk_mul_f32 v[28:29], v[28:29], v[8:9]
	;;#ASMEND
	;; [unrolled: 3-line block ×4, first 2 shown]
.LBB685_9:
	s_or_b64 exec, exec, s[8:9]
	s_load_dword s7, s[4:5], 0x80
	s_mov_b64 s[8:9], -1
	s_and_b64 vcc, exec, s[14:15]
	s_cbranch_vccnz .LBB685_13
; %bb.10:
	s_andn2_b64 vcc, exec, s[8:9]
	s_cbranch_vccz .LBB685_16
.LBB685_11:
	s_cmp_lt_i32 s20, 1
	s_cbranch_scc0 .LBB685_25
.LBB685_12:
	s_endpgm
.LBB685_13:
	s_and_saveexec_b64 s[14:15], s[2:3]
	s_cbranch_execz .LBB685_15
; %bb.14:
	s_waitcnt lgkmcnt(0)
	s_mul_hi_i32 s9, s7, s6
	s_mul_i32 s8, s7, s6
	s_waitcnt vmcnt(0)
	v_cvt_f16_f32_e32 v2, v18
	v_cvt_f16_f32_e32 v3, v32
	;; [unrolled: 1-line block ×8, first 2 shown]
	s_lshl_b64 s[8:9], s[8:9], 1
	s_add_u32 s8, s28, s8
	s_addc_u32 s9, s29, s9
	s_and_b32 s9, s9, 0xffff
	s_mov_b32 s11, 0x20000
	v_pack_b32_f16 v5, v5, v6
	v_pack_b32_f16 v4, v4, v7
	;; [unrolled: 1-line block ×4, first 2 shown]
	v_lshlrev_b32_e32 v6, 5, v0
	buffer_store_dwordx4 v[2:5], v6, s[8:11], 0 offen
	v_cvt_f16_f32_e32 v7, v21
	v_cvt_f16_f32_e32 v2, v30
	;; [unrolled: 1-line block ×8, first 2 shown]
	v_pack_b32_f16 v5, v5, v7
	v_pack_b32_f16 v4, v4, v8
	;; [unrolled: 1-line block ×4, first 2 shown]
	;;#ASMSTART
	s_nop 0
	;;#ASMEND
	buffer_store_dwordx4 v[2:5], v6, s[8:11], 16 offen
	;;#ASMSTART
	s_nop 0
	;;#ASMEND
.LBB685_15:
	s_or_b64 exec, exec, s[14:15]
	s_cbranch_execnz .LBB685_11
.LBB685_16:
	s_load_dwordx4 s[24:27], s[4:5], 0x70
	s_waitcnt vmcnt(0)
	v_mov_b32_e32 v2, 0
	s_and_saveexec_b64 s[14:15], s[2:3]
	s_cbranch_execz .LBB685_18
; %bb.17:
	s_load_dwordx2 s[8:9], s[4:5], 0x10
	s_waitcnt lgkmcnt(0)
	s_mul_hi_i32 s35, s27, s6
	s_mul_i32 s34, s27, s6
	v_cvt_f16_f32_e32 v2, v18
	v_cvt_f16_f32_e32 v3, v32
	;; [unrolled: 1-line block ×8, first 2 shown]
	s_lshl_b64 s[34:35], s[34:35], 1
	s_add_u32 s8, s8, s34
	s_addc_u32 s9, s9, s35
	s_mov_b32 s11, 0x20000
	s_and_b32 s9, s9, 0xffff
	v_pack_b32_f16 v5, v5, v6
	v_pack_b32_f16 v4, v4, v7
	v_pack_b32_f16 v3, v3, v8
	v_pack_b32_f16 v2, v2, v9
	v_lshlrev_b32_e32 v6, 5, v0
	buffer_store_dwordx4 v[2:5], v6, s[8:11], 0 offen
	v_cvt_f16_f32_e32 v7, v21
	v_cvt_f16_f32_e32 v2, v30
	;; [unrolled: 1-line block ×8, first 2 shown]
	v_pack_b32_f16 v5, v5, v7
	v_pack_b32_f16 v4, v4, v8
	;; [unrolled: 1-line block ×4, first 2 shown]
	;;#ASMSTART
	s_nop 0
	;;#ASMEND
	buffer_store_dwordx4 v[2:5], v6, s[8:11], 16 offen
	;;#ASMSTART
	s_nop 0
	;;#ASMEND
	s_nop 0
	v_mov_b32_e32 v2, 0x2edbe6ff
.LBB685_18:
	s_or_b64 exec, exec, s[14:15]
	s_and_saveexec_b64 s[8:9], s[2:3]
	s_cbranch_execz .LBB685_20
; %bb.19:
	v_and_b32_e32 v3, 0x7fffffff, v18
	v_and_b32_e32 v4, 0x7fffffff, v19
	;;#ASMSTART
	v_max3_f32 v2, v2, v3, v4

	;;#ASMEND
	v_and_b32_e32 v3, 0x7fffffff, v32
	v_and_b32_e32 v4, 0x7fffffff, v33
	;;#ASMSTART
	v_max3_f32 v2, v2, v3, v4

	;;#ASMEND
	;; [unrolled: 6-line block ×8, first 2 shown]
.LBB685_20:
	s_or_b64 exec, exec, s[8:9]
	;;#ASMSTART
	v_max_f32 v3, v2, v2 quad_perm:[1,0,3,2] row_mask:0xf bank_mask:0xf bound_ctrl:1
	;;#ASMEND
	;;#ASMSTART
	v_max_f32 v2, v3, v3 quad_perm:[2,3,0,1] row_mask:0xf bank_mask:0xf bound_ctrl:1
	;;#ASMEND
	v_and_b32_e32 v3, 3, v0
	v_cmp_eq_u32_e32 vcc, 0, v3
	v_cmp_gt_i32_e64 s[8:9], s19, v1
	v_mul_f32_e32 v2, 0x3b124925, v2
	s_and_b64 s[10:11], vcc, s[8:9]
	s_and_saveexec_b64 s[8:9], s[10:11]
	s_cbranch_execz .LBB685_22
; %bb.21:
	s_load_dwordx2 s[10:11], s[4:5], 0x8
	s_waitcnt lgkmcnt(0)
	s_mul_hi_i32 s15, s25, s6
	s_mul_i32 s14, s25, s6
	v_lshrrev_b32_e32 v3, 2, v0
	s_lshl_b64 s[14:15], s[14:15], 2
	v_mad_i64_i32 v[4:5], s[26:27], s26, v3, 0
	s_add_u32 s10, s10, s14
	s_addc_u32 s11, s11, s15
	v_lshlrev_b64 v[4:5], 2, v[4:5]
	v_mov_b32_e32 v3, s11
	v_add_co_u32_e32 v4, vcc, s10, v4
	v_addc_co_u32_e32 v5, vcc, v3, v5, vcc
	global_store_dword v[4:5], v2, off
.LBB685_22:
	s_or_b64 exec, exec, s[8:9]
	;;#ASMSTART
	v_rcp_f32 v2, v2
	;;#ASMEND
	s_and_saveexec_b64 s[14:15], s[2:3]
	s_cbranch_execz .LBB685_24
; %bb.23:
	s_load_dwordx2 s[2:3], s[4:5], 0x0
	s_waitcnt lgkmcnt(0)
	s_mul_i32 s8, s24, s6
	s_mul_hi_i32 s9, s24, s6
	v_mov_b32_e32 v3, v2
	;;#ASMSTART
	v_pk_mul_f32 v[4:5], v[18:19], v[2:3]
	;;#ASMEND
	s_add_u32 s8, s2, s8
	s_addc_u32 s2, s3, s9
	s_add_i32 s3, s19, 3
	s_ashr_i32 s10, s3, 31
	v_mov_b32_e32 v10, 0xc3e00000
	v_mov_b32_e32 v11, 0x43e00000
	;;#ASMSTART
	v_med3_f32 v4, v4, v10, v11
v_med3_f32 v5, v5, v10, v11
v_cvt_pk_fp8_f32 v6, v4, v5
	;;#ASMEND
	s_and_b32 s9, s2, 0xffff
	s_lshr_b32 s2, s10, 30
	;;#ASMSTART
	v_pk_mul_f32 v[4:5], v[32:33], v[2:3]
	;;#ASMEND
	s_add_i32 s3, s3, s2
	;;#ASMSTART
	v_med3_f32 v4, v4, v10, v11
v_med3_f32 v5, v5, v10, v11
v_cvt_pk_fp8_f32 v7, v4, v5
	;;#ASMEND
	s_mov_b32 s2, 0x5040100
	v_perm_b32 v4, v7, v6, s2
	s_mov_b32 s2, 0x1060504
	v_perm_b32 v4, v4, v7, s2
	;;#ASMSTART
	v_pk_mul_f32 v[6:7], v[26:27], v[2:3]
	;;#ASMEND
	v_mov_b32_e32 v5, v7
	;;#ASMSTART
	v_med3_f32 v6, v6, v10, v11
v_med3_f32 v5, v5, v10, v11
v_cvt_pk_fp8_f32 v8, v6, v5
	;;#ASMEND
	;;#ASMSTART
	v_pk_mul_f32 v[6:7], v[24:25], v[2:3]
	;;#ASMEND
	v_mov_b32_e32 v5, v7
	;;#ASMSTART
	v_med3_f32 v6, v6, v10, v11
v_med3_f32 v5, v5, v10, v11
v_cvt_pk_fp8_f32 v7, v6, v5
	;;#ASMEND
	s_mov_b32 s2, 0x1000504
	v_perm_b32 v5, v8, v7, s2
	;;#ASMSTART
	v_pk_mul_f32 v[6:7], v[30:31], v[2:3]
	;;#ASMEND
	;;#ASMSTART
	v_med3_f32 v6, v6, v10, v11
v_med3_f32 v7, v7, v10, v11
v_cvt_pk_fp8_f32 v8, v6, v7
	;;#ASMEND
	;;#ASMSTART
	v_pk_mul_f32 v[6:7], v[28:29], v[2:3]
	;;#ASMEND
	;;#ASMSTART
	v_med3_f32 v6, v6, v10, v11
v_med3_f32 v7, v7, v10, v11
v_cvt_pk_fp8_f32 v9, v6, v7
	;;#ASMEND
	v_perm_b32 v6, v8, v9, s2
	;;#ASMSTART
	v_pk_mul_f32 v[8:9], v[22:23], v[2:3]
	;;#ASMEND
	v_mov_b32_e32 v7, v9
	;;#ASMSTART
	v_med3_f32 v8, v8, v10, v11
v_med3_f32 v7, v7, v10, v11
v_cvt_pk_fp8_f32 v9, v8, v7
	;;#ASMEND
	;;#ASMSTART
	v_pk_mul_f32 v[2:3], v[20:21], v[2:3]
	;;#ASMEND
	;;#ASMSTART
	v_med3_f32 v2, v2, v10, v11
v_med3_f32 v3, v3, v10, v11
v_cvt_pk_fp8_f32 v7, v2, v3
	;;#ASMEND
	s_and_b32 s10, s3, -4
	s_mov_b32 s11, 0x20000
	v_perm_b32 v7, v9, v7, s2
	buffer_store_dwordx4 v[4:7], v1, s[8:11], 0 offen
	;;#ASMSTART
	s_nop 0
	;;#ASMEND
.LBB685_24:
	s_or_b64 exec, exec, s[14:15]
	s_cmp_lt_i32 s20, 1
	s_cbranch_scc1 .LBB685_12
.LBB685_25:
	s_load_dword s2, s[4:5], 0x94
	s_waitcnt lgkmcnt(0)
	s_cmp_lg_u32 s2, 1
	s_cbranch_scc1 .LBB685_12
; %bb.26:
	s_lshl_b32 s2, s20, 1
	s_add_i32 s2, s2, 2
	v_cmp_gt_u32_e32 vcc, s20, v1
	s_and_b32 s14, s2, -4
	v_mov_b32_e32 v18, 0
	v_lshlrev_b32_e32 v1, 5, v0
	v_mov_b32_e32 v14, 0
	v_mov_b32_e32 v15, 0
	v_mov_b32_e32 v16, 0
	v_mov_b32_e32 v17, 0
	v_mov_b32_e32 v10, 0
	v_mov_b32_e32 v11, 0
	v_mov_b32_e32 v12, 0
	v_mov_b32_e32 v13, 0
	s_waitcnt vmcnt(1)
	v_mov_b32_e32 v6, 0
	v_mov_b32_e32 v7, 0
	;; [unrolled: 1-line block ×4, first 2 shown]
	s_waitcnt vmcnt(0)
	v_mov_b32_e32 v2, 0
	v_mov_b32_e32 v3, 0
	;; [unrolled: 1-line block ×4, first 2 shown]
	s_barrier
	s_and_saveexec_b64 s[2:3], vcc
	s_cbranch_execz .LBB685_28
; %bb.27:
	s_mul_hi_i32 s5, s22, s6
	s_mul_i32 s4, s22, s6
	s_and_b32 s13, s13, 0xffff
	s_lshl_b64 s[4:5], s[4:5], 1
	s_add_u32 s8, s30, s4
	s_mov_b32 s15, 0x20000
	s_addc_u32 s4, s31, s5
	s_and_b32 s9, s4, 0xffff
	s_mov_b32 s10, s14
	s_mov_b32 s11, s15
	buffer_load_dwordx4 v[14:17], v1, s[8:11], 0 offen
	buffer_load_dwordx4 v[10:13], v1, s[8:11], 16 offen
	;; [unrolled: 1-line block ×4, first 2 shown]
.LBB685_28:
	s_or_b64 exec, exec, s[2:3]
	v_mov_b32_e32 v19, 0
	v_mov_b32_e32 v32, 0
	;; [unrolled: 1-line block ×15, first 2 shown]
	s_and_saveexec_b64 s[2:3], vcc
	s_cbranch_execz .LBB685_30
; %bb.29:
	s_waitcnt vmcnt(3)
	v_cvt_f32_f16_sdwa v19, v14 dst_sel:DWORD dst_unused:UNUSED_PAD src0_sel:WORD_1
	v_cvt_f32_f16_e32 v18, v14
	v_cvt_f32_f16_sdwa v33, v15 dst_sel:DWORD dst_unused:UNUSED_PAD src0_sel:WORD_1
	v_cvt_f32_f16_e32 v32, v15
	;; [unrolled: 2-line block ×4, first 2 shown]
	s_waitcnt vmcnt(2)
	v_cvt_f32_f16_sdwa v27, v10 dst_sel:DWORD dst_unused:UNUSED_PAD src0_sel:WORD_1
	v_cvt_f32_f16_e32 v26, v10
	v_cvt_f32_f16_sdwa v25, v11 dst_sel:DWORD dst_unused:UNUSED_PAD src0_sel:WORD_1
	v_cvt_f32_f16_e32 v24, v11
	;; [unrolled: 2-line block ×4, first 2 shown]
.LBB685_30:
	s_or_b64 exec, exec, s[2:3]
	s_waitcnt vmcnt(2)
	v_mul_f32_e32 v10, v19, v19
	v_fmac_f32_e32 v10, v18, v18
	v_fmac_f32_e32 v10, v32, v32
	;; [unrolled: 1-line block ×15, first 2 shown]
	s_nop 1
	v_mov_b32_dpp v11, v10 quad_perm:[1,0,3,2] row_mask:0xf bank_mask:0xf
	v_add_f32_e32 v10, v10, v11
	s_nop 1
	v_mov_b32_dpp v11, v10 quad_perm:[2,3,0,1] row_mask:0xf bank_mask:0xf
	v_add_f32_e32 v10, v10, v11
	s_nop 1
	v_mov_b32_dpp v11, v10 row_half_mirror row_mask:0xf bank_mask:0xf
	v_add_f32_e32 v10, v10, v11
	s_nop 1
	v_mov_b32_dpp v11, v10 row_mirror row_mask:0xf bank_mask:0xf
	v_add_f32_e32 v10, v10, v11
	s_nop 1
	v_mov_b32_dpp v11, v10 row_bcast:15 row_mask:0xf bank_mask:0xf
	v_add_f32_e32 v10, v10, v11
	s_nop 1
	v_mov_b32_dpp v11, v10 row_bcast:31 row_mask:0xf bank_mask:0xf
	s_and_saveexec_b64 s[2:3], s[0:1]
	s_cbranch_execz .LBB685_32
; %bb.31:
	v_lshrrev_b32_e32 v0, 4, v0
	v_add_f32_e32 v10, v10, v11
	v_and_b32_e32 v0, 60, v0
	ds_write_b32 v0, v10
.LBB685_32:
	s_or_b64 exec, exec, s[2:3]
	s_waitcnt lgkmcnt(0)
	s_barrier
	ds_read_b32 v0, v34
	s_waitcnt lgkmcnt(0)
	s_nop 0
	v_mov_b32_dpp v10, v0 quad_perm:[1,0,3,2] row_mask:0xf bank_mask:0xf
	s_and_saveexec_b64 s[0:1], vcc
	s_cbranch_execz .LBB685_12
; %bb.33:
	v_cvt_f32_u32_e32 v11, s20
	v_add_f32_e32 v0, v0, v10
	s_mov_b32 s15, 0x20000
	v_div_scale_f32 v10, s[0:1], v11, v11, v0
	v_rcp_f32_e32 v12, v10
	v_div_scale_f32 v13, vcc, v0, v11, v0
	s_mov_b32 s0, 0x800000
	v_fma_f32 v14, -v10, v12, 1.0
	v_fmac_f32_e32 v12, v14, v12
	v_mul_f32_e32 v14, v13, v12
	v_fma_f32 v15, -v10, v14, v13
	v_fmac_f32_e32 v14, v15, v12
	v_fma_f32 v10, -v10, v14, v13
	v_div_fmas_f32 v10, v10, v12, v14
	v_div_fixup_f32 v0, v10, v11, v0
	v_add_f32_e32 v0, s17, v0
	v_mul_f32_e32 v10, 0x4b800000, v0
	v_cmp_gt_f32_e32 vcc, s0, v0
	v_cndmask_b32_e32 v0, v0, v10, vcc
	v_rsq_f32_e32 v0, v0
	s_mul_hi_i32 s1, s7, s6
	s_mul_i32 s0, s7, s6
	s_lshl_b64 s[0:1], s[0:1], 1
	v_mul_f32_e32 v10, 0x45800000, v0
	v_cndmask_b32_e32 v10, v0, v10, vcc
	v_mov_b32_e32 v11, v10
	;;#ASMSTART
	v_pk_mul_f32 v[12:13], v[18:19], v[10:11]
	;;#ASMEND
	;;#ASMSTART
	v_pk_mul_f32 v[14:15], v[32:33], v[10:11]
	;;#ASMEND
	;; [unrolled: 3-line block ×8, first 2 shown]
	s_waitcnt vmcnt(1)
	v_cvt_f32_f16_sdwa v21, v6 dst_sel:DWORD dst_unused:UNUSED_PAD src0_sel:WORD_1
	v_cvt_f32_f16_e32 v20, v6
	v_cvt_f32_f16_sdwa v29, v7 dst_sel:DWORD dst_unused:UNUSED_PAD src0_sel:WORD_1
	v_cvt_f32_f16_e32 v28, v7
	;; [unrolled: 2-line block ×4, first 2 shown]
	;;#ASMSTART
	v_pk_mul_f32 v[8:9], v[12:13], v[20:21]
	;;#ASMEND
	;;#ASMSTART
	v_pk_mul_f32 v[12:13], v[14:15], v[28:29]
	;;#ASMEND
	;; [unrolled: 3-line block ×4, first 2 shown]
	s_waitcnt vmcnt(0)
	v_cvt_f32_f16_sdwa v17, v2 dst_sel:DWORD dst_unused:UNUSED_PAD src0_sel:WORD_1
	v_cvt_f32_f16_e32 v16, v2
	v_cvt_f32_f16_sdwa v19, v3 dst_sel:DWORD dst_unused:UNUSED_PAD src0_sel:WORD_1
	v_cvt_f32_f16_e32 v18, v3
	;; [unrolled: 2-line block ×4, first 2 shown]
	;;#ASMSTART
	v_pk_mul_f32 v[16:17], v[26:27], v[16:17]
	;;#ASMEND
	;;#ASMSTART
	v_pk_mul_f32 v[18:19], v[24:25], v[18:19]
	;;#ASMEND
	;; [unrolled: 3-line block ×3, first 2 shown]
	v_cvt_f16_f32_e32 v0, v8
	v_cvt_f16_f32_e32 v2, v9
	;; [unrolled: 1-line block ×8, first 2 shown]
	s_add_u32 s12, s28, s0
	s_addc_u32 s0, s29, s1
	s_and_b32 s13, s0, 0xffff
	v_pack_b32_f16 v2, v0, v2
	v_pack_b32_f16 v3, v3, v4
	;; [unrolled: 1-line block ×4, first 2 shown]
	;;#ASMSTART
	v_pk_mul_f32 v[10:11], v[10:11], v[20:21]
	;;#ASMEND
	buffer_store_dwordx4 v[2:5], v1, s[12:15], 0 offen
	v_cvt_f16_f32_e32 v0, v16
	v_cvt_f16_f32_e32 v2, v17
	;; [unrolled: 1-line block ×8, first 2 shown]
	v_pack_b32_f16 v2, v0, v2
	v_pack_b32_f16 v3, v3, v4
	;; [unrolled: 1-line block ×4, first 2 shown]
	;;#ASMSTART
	s_nop 0
	;;#ASMEND
	buffer_store_dwordx4 v[2:5], v1, s[12:15], 16 offen
	;;#ASMSTART
	s_nop 0
	;;#ASMEND
	s_endpgm
	.section	.rodata,"a",@progbits
	.p2align	6, 0x0
	.amdhsa_kernel _ZN5aiter35fused_qk_rmsnorm_group_quant_kernelIDF16_DB8_Li128ELi16ELi4ELb0ELb1ELb0ELb0ELb0ELb0EEEvPT0_PvPT_S6_S6_PKS5_S8_S8_S8_S8_ffiiiiiiiiiiiii
		.amdhsa_group_segment_fixed_size 16
		.amdhsa_private_segment_fixed_size 0
		.amdhsa_kernarg_size 400
		.amdhsa_user_sgpr_count 6
		.amdhsa_user_sgpr_private_segment_buffer 1
		.amdhsa_user_sgpr_dispatch_ptr 0
		.amdhsa_user_sgpr_queue_ptr 0
		.amdhsa_user_sgpr_kernarg_segment_ptr 1
		.amdhsa_user_sgpr_dispatch_id 0
		.amdhsa_user_sgpr_flat_scratch_init 0
		.amdhsa_user_sgpr_kernarg_preload_length 0
		.amdhsa_user_sgpr_kernarg_preload_offset 0
		.amdhsa_user_sgpr_private_segment_size 0
		.amdhsa_uses_dynamic_stack 0
		.amdhsa_system_sgpr_private_segment_wavefront_offset 0
		.amdhsa_system_sgpr_workgroup_id_x 1
		.amdhsa_system_sgpr_workgroup_id_y 1
		.amdhsa_system_sgpr_workgroup_id_z 0
		.amdhsa_system_sgpr_workgroup_info 0
		.amdhsa_system_vgpr_workitem_id 0
		.amdhsa_next_free_vgpr 38
		.amdhsa_next_free_sgpr 36
		.amdhsa_accum_offset 40
		.amdhsa_reserve_vcc 1
		.amdhsa_reserve_flat_scratch 0
		.amdhsa_float_round_mode_32 0
		.amdhsa_float_round_mode_16_64 0
		.amdhsa_float_denorm_mode_32 3
		.amdhsa_float_denorm_mode_16_64 3
		.amdhsa_dx10_clamp 1
		.amdhsa_ieee_mode 1
		.amdhsa_fp16_overflow 0
		.amdhsa_tg_split 0
		.amdhsa_exception_fp_ieee_invalid_op 0
		.amdhsa_exception_fp_denorm_src 0
		.amdhsa_exception_fp_ieee_div_zero 0
		.amdhsa_exception_fp_ieee_overflow 0
		.amdhsa_exception_fp_ieee_underflow 0
		.amdhsa_exception_fp_ieee_inexact 0
		.amdhsa_exception_int_div_zero 0
	.end_amdhsa_kernel
	.section	.text._ZN5aiter35fused_qk_rmsnorm_group_quant_kernelIDF16_DB8_Li128ELi16ELi4ELb0ELb1ELb0ELb0ELb0ELb0EEEvPT0_PvPT_S6_S6_PKS5_S8_S8_S8_S8_ffiiiiiiiiiiiii,"axG",@progbits,_ZN5aiter35fused_qk_rmsnorm_group_quant_kernelIDF16_DB8_Li128ELi16ELi4ELb0ELb1ELb0ELb0ELb0ELb0EEEvPT0_PvPT_S6_S6_PKS5_S8_S8_S8_S8_ffiiiiiiiiiiiii,comdat
.Lfunc_end685:
	.size	_ZN5aiter35fused_qk_rmsnorm_group_quant_kernelIDF16_DB8_Li128ELi16ELi4ELb0ELb1ELb0ELb0ELb0ELb0EEEvPT0_PvPT_S6_S6_PKS5_S8_S8_S8_S8_ffiiiiiiiiiiiii, .Lfunc_end685-_ZN5aiter35fused_qk_rmsnorm_group_quant_kernelIDF16_DB8_Li128ELi16ELi4ELb0ELb1ELb0ELb0ELb0ELb0EEEvPT0_PvPT_S6_S6_PKS5_S8_S8_S8_S8_ffiiiiiiiiiiiii
                                        ; -- End function
	.section	.AMDGPU.csdata,"",@progbits
; Kernel info:
; codeLenInByte = 3616
; NumSgprs: 40
; NumVgprs: 38
; NumAgprs: 0
; TotalNumVgprs: 38
; ScratchSize: 0
; MemoryBound: 0
; FloatMode: 240
; IeeeMode: 1
; LDSByteSize: 16 bytes/workgroup (compile time only)
; SGPRBlocks: 4
; VGPRBlocks: 4
; NumSGPRsForWavesPerEU: 40
; NumVGPRsForWavesPerEU: 38
; AccumOffset: 40
; Occupancy: 8
; WaveLimiterHint : 0
; COMPUTE_PGM_RSRC2:SCRATCH_EN: 0
; COMPUTE_PGM_RSRC2:USER_SGPR: 6
; COMPUTE_PGM_RSRC2:TRAP_HANDLER: 0
; COMPUTE_PGM_RSRC2:TGID_X_EN: 1
; COMPUTE_PGM_RSRC2:TGID_Y_EN: 1
; COMPUTE_PGM_RSRC2:TGID_Z_EN: 0
; COMPUTE_PGM_RSRC2:TIDIG_COMP_CNT: 0
; COMPUTE_PGM_RSRC3_GFX90A:ACCUM_OFFSET: 9
; COMPUTE_PGM_RSRC3_GFX90A:TG_SPLIT: 0
	.section	.text._ZN5aiter35fused_qk_rmsnorm_group_quant_kernelItDB8_Li128ELi16ELi4ELb0ELb1ELb0ELb0ELb0ELb0EEEvPT0_PvPT_S6_S6_PKS5_S8_S8_S8_S8_ffiiiiiiiiiiiii,"axG",@progbits,_ZN5aiter35fused_qk_rmsnorm_group_quant_kernelItDB8_Li128ELi16ELi4ELb0ELb1ELb0ELb0ELb0ELb0EEEvPT0_PvPT_S6_S6_PKS5_S8_S8_S8_S8_ffiiiiiiiiiiiii,comdat
	.protected	_ZN5aiter35fused_qk_rmsnorm_group_quant_kernelItDB8_Li128ELi16ELi4ELb0ELb1ELb0ELb0ELb0ELb0EEEvPT0_PvPT_S6_S6_PKS5_S8_S8_S8_S8_ffiiiiiiiiiiiii ; -- Begin function _ZN5aiter35fused_qk_rmsnorm_group_quant_kernelItDB8_Li128ELi16ELi4ELb0ELb1ELb0ELb0ELb0ELb0EEEvPT0_PvPT_S6_S6_PKS5_S8_S8_S8_S8_ffiiiiiiiiiiiii
	.globl	_ZN5aiter35fused_qk_rmsnorm_group_quant_kernelItDB8_Li128ELi16ELi4ELb0ELb1ELb0ELb0ELb0ELb0EEEvPT0_PvPT_S6_S6_PKS5_S8_S8_S8_S8_ffiiiiiiiiiiiii
	.p2align	8
	.type	_ZN5aiter35fused_qk_rmsnorm_group_quant_kernelItDB8_Li128ELi16ELi4ELb0ELb1ELb0ELb0ELb0ELb0EEEvPT0_PvPT_S6_S6_PKS5_S8_S8_S8_S8_ffiiiiiiiiiiiii,@function
_ZN5aiter35fused_qk_rmsnorm_group_quant_kernelItDB8_Li128ELi16ELi4ELb0ELb1ELb0ELb0ELb0ELb0EEEvPT0_PvPT_S6_S6_PKS5_S8_S8_S8_S8_ffiiiiiiiiiiiii: ; @_ZN5aiter35fused_qk_rmsnorm_group_quant_kernelItDB8_Li128ELi16ELi4ELb0ELb1ELb0ELb0ELb0ELb0EEEvPT0_PvPT_S6_S6_PKS5_S8_S8_S8_S8_ffiiiiiiiiiiiii
; %bb.0:
	s_load_dwordx4 s[16:19], s[4:5], 0x50
	s_waitcnt lgkmcnt(0)
	s_cmp_ge_i32 s6, s18
	s_cbranch_scc1 .LBB686_12
; %bb.1:
	s_load_dwordx2 s[12:13], s[4:5], 0x48
	s_load_dwordx2 s[30:31], s[4:5], 0x30
	s_load_dwordx4 s[20:23], s[4:5], 0x60
	s_cmp_lg_u32 s7, 0
	s_cselect_b64 s[14:15], -1, 0
	s_cmp_eq_u32 s7, 0
	s_cselect_b64 vcc, -1, 0
	s_and_b64 s[0:1], vcc, exec
	s_waitcnt lgkmcnt(0)
	s_cselect_b32 s7, s19, s20
	s_add_i32 s0, s7, 1
	s_lshr_b32 s1, s0, 31
	s_add_i32 s0, s0, s1
	s_lshl_b32 s0, s0, 1
	v_lshlrev_b32_e32 v1, 4, v0
	s_and_b32 s10, s0, -4
	v_cmp_gt_i32_e64 s[2:3], s7, v1
	v_mov_b32_e32 v18, 0
	v_mov_b32_e32 v6, 0
	;; [unrolled: 1-line block ×17, first 2 shown]
	s_and_saveexec_b64 s[0:1], s[2:3]
	s_cbranch_execz .LBB686_3
; %bb.2:
	s_load_dwordx2 s[8:9], s[4:5], 0x28
	s_load_dwordx2 s[26:27], s[4:5], 0x40
	s_and_b64 s[24:25], vcc, exec
	s_cselect_b32 s11, s21, s22
	v_lshlrev_b32_e32 v19, 5, v0
	s_waitcnt lgkmcnt(0)
	s_cselect_b32 s18, s9, s31
	s_cselect_b32 s21, s8, s30
	s_mul_hi_i32 s9, s11, s6
	s_mul_i32 s8, s11, s6
	s_lshl_b64 s[8:9], s[8:9], 1
	s_add_u32 s24, s21, s8
	s_addc_u32 s18, s18, s9
	s_and_b64 s[8:9], vcc, exec
	s_mov_b32 s11, 0x20000
	s_cselect_b32 s8, s26, s12
	s_cselect_b32 s9, s27, s13
	s_and_b32 s25, s18, 0xffff
	s_mov_b32 s26, s10
	s_mov_b32 s27, s11
	s_and_b32 s9, s9, 0xffff
	buffer_load_dwordx4 v[14:17], v19, s[24:27], 0 offen
	buffer_load_dwordx4 v[10:13], v19, s[24:27], 16 offen
	;; [unrolled: 1-line block ×4, first 2 shown]
.LBB686_3:
	s_or_b64 exec, exec, s[0:1]
	v_mov_b32_e32 v19, 0
	v_mov_b32_e32 v32, 0
	;; [unrolled: 1-line block ×15, first 2 shown]
	s_and_saveexec_b64 s[0:1], s[2:3]
	s_cbranch_execz .LBB686_5
; %bb.4:
	s_waitcnt vmcnt(3)
	v_cvt_f32_u32_sdwa v18, v14 dst_sel:DWORD dst_unused:UNUSED_PAD src0_sel:WORD_0
	v_cvt_f32_u32_sdwa v19, v14 dst_sel:DWORD dst_unused:UNUSED_PAD src0_sel:WORD_1
	v_cvt_f32_u32_sdwa v32, v15 dst_sel:DWORD dst_unused:UNUSED_PAD src0_sel:WORD_0
	v_cvt_f32_u32_sdwa v33, v15 dst_sel:DWORD dst_unused:UNUSED_PAD src0_sel:WORD_1
	;; [unrolled: 2-line block ×4, first 2 shown]
	s_waitcnt vmcnt(2)
	v_cvt_f32_u32_sdwa v30, v10 dst_sel:DWORD dst_unused:UNUSED_PAD src0_sel:WORD_0
	v_cvt_f32_u32_sdwa v31, v10 dst_sel:DWORD dst_unused:UNUSED_PAD src0_sel:WORD_1
	v_cvt_f32_u32_sdwa v28, v11 dst_sel:DWORD dst_unused:UNUSED_PAD src0_sel:WORD_0
	v_cvt_f32_u32_sdwa v29, v11 dst_sel:DWORD dst_unused:UNUSED_PAD src0_sel:WORD_1
	;; [unrolled: 2-line block ×4, first 2 shown]
.LBB686_5:
	s_or_b64 exec, exec, s[0:1]
	s_waitcnt vmcnt(2)
	v_mul_f32_e32 v10, v19, v19
	v_fmac_f32_e32 v10, v18, v18
	v_fmac_f32_e32 v10, v32, v32
	v_fmac_f32_e32 v10, v33, v33
	v_fmac_f32_e32 v10, v26, v26
	v_fmac_f32_e32 v10, v27, v27
	v_fmac_f32_e32 v10, v24, v24
	v_fmac_f32_e32 v10, v25, v25
	v_fmac_f32_e32 v10, v30, v30
	v_fmac_f32_e32 v10, v31, v31
	v_fmac_f32_e32 v10, v28, v28
	v_fmac_f32_e32 v10, v29, v29
	v_fmac_f32_e32 v10, v22, v22
	v_fmac_f32_e32 v10, v23, v23
	v_fmac_f32_e32 v10, v20, v20
	v_fmac_f32_e32 v10, v21, v21
	v_and_b32_e32 v12, 63, v0
	v_cmp_eq_u32_e64 s[0:1], 63, v12
	v_mov_b32_dpp v11, v10 quad_perm:[1,0,3,2] row_mask:0xf bank_mask:0xf
	v_add_f32_e32 v10, v10, v11
	s_nop 1
	v_mov_b32_dpp v11, v10 quad_perm:[2,3,0,1] row_mask:0xf bank_mask:0xf
	v_add_f32_e32 v10, v10, v11
	s_nop 1
	v_mov_b32_dpp v11, v10 row_half_mirror row_mask:0xf bank_mask:0xf
	v_add_f32_e32 v10, v10, v11
	s_nop 1
	v_mov_b32_dpp v11, v10 row_mirror row_mask:0xf bank_mask:0xf
	v_add_f32_e32 v10, v10, v11
	s_nop 1
	v_mov_b32_dpp v11, v10 row_bcast:15 row_mask:0xf bank_mask:0xf
	v_add_f32_e32 v10, v10, v11
	s_nop 1
	v_mov_b32_dpp v11, v10 row_bcast:31 row_mask:0xf bank_mask:0xf
	s_and_saveexec_b64 s[8:9], s[0:1]
	s_cbranch_execz .LBB686_7
; %bb.6:
	v_add_f32_e32 v10, v10, v11
	v_lshrrev_b32_e32 v11, 4, v0
	v_and_b32_e32 v11, 60, v11
	ds_write_b32 v11, v10 offset:8
.LBB686_7:
	s_or_b64 exec, exec, s[8:9]
	v_and_b32_e32 v10, 1, v0
	v_lshlrev_b32_e32 v34, 2, v10
	s_waitcnt lgkmcnt(0)
	s_barrier
	ds_read_b32 v10, v34 offset:8
	s_load_dwordx2 s[28:29], s[4:5], 0x18
	s_waitcnt lgkmcnt(0)
	v_mov_b32_dpp v11, v10 quad_perm:[1,0,3,2] row_mask:0xf bank_mask:0xf
	s_and_saveexec_b64 s[8:9], s[2:3]
	s_cbranch_execz .LBB686_9
; %bb.8:
	v_cvt_f32_u32_e32 v12, s7
	v_add_f32_e32 v10, v10, v11
	v_mov_b32_e32 v14, s17
	v_mov_b32_e32 v15, s16
	v_div_scale_f32 v11, s[24:25], v12, v12, v10
	v_rcp_f32_e32 v13, v11
	v_cndmask_b32_e32 v14, v14, v15, vcc
	s_mov_b32 s7, 0x800000
	s_waitcnt vmcnt(1)
	v_cvt_f32_u32_sdwa v37, v9 dst_sel:DWORD dst_unused:UNUSED_PAD src0_sel:WORD_1
	v_fma_f32 v15, -v11, v13, 1.0
	v_fmac_f32_e32 v13, v15, v13
	v_div_scale_f32 v15, vcc, v10, v12, v10
	v_mul_f32_e32 v16, v15, v13
	v_fma_f32 v17, -v11, v16, v15
	v_fmac_f32_e32 v16, v17, v13
	v_fma_f32 v11, -v11, v16, v15
	v_div_fmas_f32 v11, v11, v13, v16
	v_div_fixup_f32 v10, v11, v12, v10
	v_add_f32_e32 v10, v14, v10
	v_mul_f32_e32 v11, 0x4b800000, v10
	v_cmp_gt_f32_e32 vcc, s7, v10
	v_cndmask_b32_e32 v10, v10, v11, vcc
	v_rsq_f32_e32 v10, v10
	v_cvt_f32_u32_sdwa v36, v9 dst_sel:DWORD dst_unused:UNUSED_PAD src0_sel:WORD_0
	s_waitcnt vmcnt(0)
	v_cvt_f32_u32_sdwa v9, v3 dst_sel:DWORD dst_unused:UNUSED_PAD src0_sel:WORD_1
	v_mul_f32_e32 v11, 0x45800000, v10
	v_cndmask_b32_e32 v10, v10, v11, vcc
	v_mov_b32_e32 v11, v10
	;;#ASMSTART
	v_pk_mul_f32 v[12:13], v[18:19], v[10:11]
	;;#ASMEND
	;;#ASMSTART
	v_pk_mul_f32 v[14:15], v[32:33], v[10:11]
	;;#ASMEND
	;; [unrolled: 3-line block ×8, first 2 shown]
	v_cvt_f32_u32_sdwa v19, v6 dst_sel:DWORD dst_unused:UNUSED_PAD src0_sel:WORD_1
	v_cvt_f32_u32_sdwa v18, v6 dst_sel:DWORD dst_unused:UNUSED_PAD src0_sel:WORD_0
	v_cvt_f32_u32_sdwa v21, v7 dst_sel:DWORD dst_unused:UNUSED_PAD src0_sel:WORD_1
	v_cvt_f32_u32_sdwa v20, v7 dst_sel:DWORD dst_unused:UNUSED_PAD src0_sel:WORD_0
	;; [unrolled: 2-line block ×3, first 2 shown]
	;;#ASMSTART
	v_pk_mul_f32 v[18:19], v[12:13], v[18:19]
	;;#ASMEND
	;;#ASMSTART
	v_pk_mul_f32 v[32:33], v[14:15], v[20:21]
	;;#ASMEND
	;; [unrolled: 3-line block ×4, first 2 shown]
	v_cvt_f32_u32_sdwa v7, v2 dst_sel:DWORD dst_unused:UNUSED_PAD src0_sel:WORD_1
	v_cvt_f32_u32_sdwa v6, v2 dst_sel:DWORD dst_unused:UNUSED_PAD src0_sel:WORD_0
	v_cvt_f32_u32_sdwa v8, v3 dst_sel:DWORD dst_unused:UNUSED_PAD src0_sel:WORD_0
	v_cvt_f32_u32_sdwa v3, v4 dst_sel:DWORD dst_unused:UNUSED_PAD src0_sel:WORD_1
	v_cvt_f32_u32_sdwa v2, v4 dst_sel:DWORD dst_unused:UNUSED_PAD src0_sel:WORD_0
	v_cvt_f32_u32_sdwa v13, v5 dst_sel:DWORD dst_unused:UNUSED_PAD src0_sel:WORD_1
	v_cvt_f32_u32_sdwa v12, v5 dst_sel:DWORD dst_unused:UNUSED_PAD src0_sel:WORD_0
	;;#ASMSTART
	v_pk_mul_f32 v[30:31], v[30:31], v[6:7]
	;;#ASMEND
	;;#ASMSTART
	v_pk_mul_f32 v[28:29], v[28:29], v[8:9]
	;;#ASMEND
	;; [unrolled: 3-line block ×4, first 2 shown]
.LBB686_9:
	s_or_b64 exec, exec, s[8:9]
	s_load_dword s7, s[4:5], 0x80
	s_mov_b64 s[8:9], -1
	s_and_b64 vcc, exec, s[14:15]
	s_cbranch_vccnz .LBB686_13
; %bb.10:
	s_andn2_b64 vcc, exec, s[8:9]
	s_cbranch_vccz .LBB686_16
.LBB686_11:
	s_cmp_lt_i32 s20, 1
	s_cbranch_scc0 .LBB686_25
.LBB686_12:
	s_endpgm
.LBB686_13:
	s_and_saveexec_b64 s[14:15], s[2:3]
	s_cbranch_execz .LBB686_15
; %bb.14:
	s_waitcnt lgkmcnt(0)
	s_mul_hi_i32 s9, s7, s6
	s_mul_i32 s8, s7, s6
	s_lshl_b64 s[8:9], s[8:9], 1
	s_add_u32 s8, s28, s8
	s_addc_u32 s9, s29, s9
	s_mov_b32 s16, 0x7060302
	s_and_b32 s9, s9, 0xffff
	s_mov_b32 s11, 0x20000
	s_waitcnt vmcnt(0)
	v_perm_b32 v5, v25, v24, s16
	v_perm_b32 v4, v27, v26, s16
	;; [unrolled: 1-line block ×4, first 2 shown]
	v_lshlrev_b32_e32 v6, 5, v0
	buffer_store_dwordx4 v[2:5], v6, s[8:11], 0 offen
	;;#ASMSTART
	s_nop 0
	;;#ASMEND
	s_nop 0
	v_perm_b32 v5, v21, v20, s16
	v_perm_b32 v4, v23, v22, s16
	;; [unrolled: 1-line block ×4, first 2 shown]
	buffer_store_dwordx4 v[2:5], v6, s[8:11], 16 offen
	;;#ASMSTART
	s_nop 0
	;;#ASMEND
.LBB686_15:
	s_or_b64 exec, exec, s[14:15]
	s_cbranch_execnz .LBB686_11
.LBB686_16:
	s_load_dwordx4 s[24:27], s[4:5], 0x70
	s_waitcnt vmcnt(0)
	v_mov_b32_e32 v2, 0
	s_and_saveexec_b64 s[14:15], s[2:3]
	s_cbranch_execz .LBB686_18
; %bb.17:
	s_load_dwordx2 s[8:9], s[4:5], 0x10
	s_waitcnt lgkmcnt(0)
	s_mul_hi_i32 s35, s27, s6
	s_mul_i32 s34, s27, s6
	s_lshl_b64 s[34:35], s[34:35], 1
	s_mov_b32 s16, 0x7060302
	s_add_u32 s8, s8, s34
	s_addc_u32 s9, s9, s35
	s_mov_b32 s11, 0x20000
	s_and_b32 s9, s9, 0xffff
	v_perm_b32 v5, v25, v24, s16
	v_perm_b32 v4, v27, v26, s16
	;; [unrolled: 1-line block ×4, first 2 shown]
	v_lshlrev_b32_e32 v6, 5, v0
	buffer_store_dwordx4 v[2:5], v6, s[8:11], 0 offen
	;;#ASMSTART
	s_nop 0
	;;#ASMEND
	s_nop 0
	v_perm_b32 v5, v21, v20, s16
	v_perm_b32 v4, v23, v22, s16
	;; [unrolled: 1-line block ×4, first 2 shown]
	buffer_store_dwordx4 v[2:5], v6, s[8:11], 16 offen
	;;#ASMSTART
	s_nop 0
	;;#ASMEND
	s_nop 0
	v_mov_b32_e32 v2, 0x2edbe6ff
.LBB686_18:
	s_or_b64 exec, exec, s[14:15]
	s_and_saveexec_b64 s[8:9], s[2:3]
	s_cbranch_execz .LBB686_20
; %bb.19:
	v_and_b32_e32 v3, 0x7fffffff, v18
	v_and_b32_e32 v4, 0x7fffffff, v19
	;;#ASMSTART
	v_max3_f32 v2, v2, v3, v4

	;;#ASMEND
	v_and_b32_e32 v3, 0x7fffffff, v32
	v_and_b32_e32 v4, 0x7fffffff, v33
	;;#ASMSTART
	v_max3_f32 v2, v2, v3, v4

	;;#ASMEND
	;; [unrolled: 6-line block ×8, first 2 shown]
.LBB686_20:
	s_or_b64 exec, exec, s[8:9]
	;;#ASMSTART
	v_max_f32 v3, v2, v2 quad_perm:[1,0,3,2] row_mask:0xf bank_mask:0xf bound_ctrl:1
	;;#ASMEND
	;;#ASMSTART
	v_max_f32 v2, v3, v3 quad_perm:[2,3,0,1] row_mask:0xf bank_mask:0xf bound_ctrl:1
	;;#ASMEND
	v_and_b32_e32 v3, 3, v0
	v_cmp_eq_u32_e32 vcc, 0, v3
	v_cmp_gt_i32_e64 s[8:9], s19, v1
	v_mul_f32_e32 v2, 0x3b124925, v2
	s_and_b64 s[10:11], vcc, s[8:9]
	s_and_saveexec_b64 s[8:9], s[10:11]
	s_cbranch_execz .LBB686_22
; %bb.21:
	s_load_dwordx2 s[10:11], s[4:5], 0x8
	s_waitcnt lgkmcnt(0)
	s_mul_hi_i32 s15, s25, s6
	s_mul_i32 s14, s25, s6
	v_lshrrev_b32_e32 v3, 2, v0
	s_lshl_b64 s[14:15], s[14:15], 2
	v_mad_i64_i32 v[4:5], s[26:27], s26, v3, 0
	s_add_u32 s10, s10, s14
	s_addc_u32 s11, s11, s15
	v_lshlrev_b64 v[4:5], 2, v[4:5]
	v_mov_b32_e32 v3, s11
	v_add_co_u32_e32 v4, vcc, s10, v4
	v_addc_co_u32_e32 v5, vcc, v3, v5, vcc
	global_store_dword v[4:5], v2, off
.LBB686_22:
	s_or_b64 exec, exec, s[8:9]
	;;#ASMSTART
	v_rcp_f32 v2, v2
	;;#ASMEND
	s_and_saveexec_b64 s[14:15], s[2:3]
	s_cbranch_execz .LBB686_24
; %bb.23:
	s_load_dwordx2 s[2:3], s[4:5], 0x0
	s_waitcnt lgkmcnt(0)
	s_mul_i32 s8, s24, s6
	s_mul_hi_i32 s9, s24, s6
	v_mov_b32_e32 v3, v2
	;;#ASMSTART
	v_pk_mul_f32 v[4:5], v[18:19], v[2:3]
	;;#ASMEND
	s_add_u32 s8, s2, s8
	s_addc_u32 s2, s3, s9
	s_add_i32 s3, s19, 3
	s_ashr_i32 s10, s3, 31
	v_mov_b32_e32 v10, 0xc3e00000
	v_mov_b32_e32 v11, 0x43e00000
	;;#ASMSTART
	v_med3_f32 v4, v4, v10, v11
v_med3_f32 v5, v5, v10, v11
v_cvt_pk_fp8_f32 v6, v4, v5
	;;#ASMEND
	s_and_b32 s9, s2, 0xffff
	s_lshr_b32 s2, s10, 30
	;;#ASMSTART
	v_pk_mul_f32 v[4:5], v[32:33], v[2:3]
	;;#ASMEND
	s_add_i32 s3, s3, s2
	;;#ASMSTART
	v_med3_f32 v4, v4, v10, v11
v_med3_f32 v5, v5, v10, v11
v_cvt_pk_fp8_f32 v7, v4, v5
	;;#ASMEND
	s_mov_b32 s2, 0x5040100
	v_perm_b32 v4, v7, v6, s2
	s_mov_b32 s2, 0x1060504
	v_perm_b32 v4, v4, v7, s2
	;;#ASMSTART
	v_pk_mul_f32 v[6:7], v[26:27], v[2:3]
	;;#ASMEND
	v_mov_b32_e32 v5, v7
	;;#ASMSTART
	v_med3_f32 v6, v6, v10, v11
v_med3_f32 v5, v5, v10, v11
v_cvt_pk_fp8_f32 v8, v6, v5
	;;#ASMEND
	;;#ASMSTART
	v_pk_mul_f32 v[6:7], v[24:25], v[2:3]
	;;#ASMEND
	v_mov_b32_e32 v5, v7
	;;#ASMSTART
	v_med3_f32 v6, v6, v10, v11
v_med3_f32 v5, v5, v10, v11
v_cvt_pk_fp8_f32 v7, v6, v5
	;;#ASMEND
	s_mov_b32 s2, 0x1000504
	v_perm_b32 v5, v8, v7, s2
	;;#ASMSTART
	v_pk_mul_f32 v[6:7], v[30:31], v[2:3]
	;;#ASMEND
	;;#ASMSTART
	v_med3_f32 v6, v6, v10, v11
v_med3_f32 v7, v7, v10, v11
v_cvt_pk_fp8_f32 v8, v6, v7
	;;#ASMEND
	;;#ASMSTART
	v_pk_mul_f32 v[6:7], v[28:29], v[2:3]
	;;#ASMEND
	;;#ASMSTART
	v_med3_f32 v6, v6, v10, v11
v_med3_f32 v7, v7, v10, v11
v_cvt_pk_fp8_f32 v9, v6, v7
	;;#ASMEND
	v_perm_b32 v6, v8, v9, s2
	;;#ASMSTART
	v_pk_mul_f32 v[8:9], v[22:23], v[2:3]
	;;#ASMEND
	v_mov_b32_e32 v7, v9
	;;#ASMSTART
	v_med3_f32 v8, v8, v10, v11
v_med3_f32 v7, v7, v10, v11
v_cvt_pk_fp8_f32 v9, v8, v7
	;;#ASMEND
	;;#ASMSTART
	v_pk_mul_f32 v[2:3], v[20:21], v[2:3]
	;;#ASMEND
	;;#ASMSTART
	v_med3_f32 v2, v2, v10, v11
v_med3_f32 v3, v3, v10, v11
v_cvt_pk_fp8_f32 v7, v2, v3
	;;#ASMEND
	s_and_b32 s10, s3, -4
	s_mov_b32 s11, 0x20000
	v_perm_b32 v7, v9, v7, s2
	buffer_store_dwordx4 v[4:7], v1, s[8:11], 0 offen
	;;#ASMSTART
	s_nop 0
	;;#ASMEND
.LBB686_24:
	s_or_b64 exec, exec, s[14:15]
	s_cmp_lt_i32 s20, 1
	s_cbranch_scc1 .LBB686_12
.LBB686_25:
	s_load_dword s2, s[4:5], 0x94
	s_waitcnt lgkmcnt(0)
	s_cmp_lg_u32 s2, 1
	s_cbranch_scc1 .LBB686_12
; %bb.26:
	s_lshl_b32 s2, s20, 1
	s_add_i32 s2, s2, 2
	v_cmp_gt_u32_e32 vcc, s20, v1
	s_and_b32 s14, s2, -4
	v_mov_b32_e32 v18, 0
	v_lshlrev_b32_e32 v1, 5, v0
	v_mov_b32_e32 v14, 0
	v_mov_b32_e32 v15, 0
	v_mov_b32_e32 v16, 0
	v_mov_b32_e32 v17, 0
	v_mov_b32_e32 v10, 0
	v_mov_b32_e32 v11, 0
	v_mov_b32_e32 v12, 0
	v_mov_b32_e32 v13, 0
	s_waitcnt vmcnt(1)
	v_mov_b32_e32 v6, 0
	v_mov_b32_e32 v7, 0
	;; [unrolled: 1-line block ×4, first 2 shown]
	s_waitcnt vmcnt(0)
	v_mov_b32_e32 v2, 0
	v_mov_b32_e32 v3, 0
	;; [unrolled: 1-line block ×4, first 2 shown]
	s_barrier
	s_and_saveexec_b64 s[2:3], vcc
	s_cbranch_execz .LBB686_28
; %bb.27:
	s_mul_hi_i32 s5, s22, s6
	s_mul_i32 s4, s22, s6
	s_and_b32 s13, s13, 0xffff
	s_lshl_b64 s[4:5], s[4:5], 1
	s_add_u32 s8, s30, s4
	s_mov_b32 s15, 0x20000
	s_addc_u32 s4, s31, s5
	s_and_b32 s9, s4, 0xffff
	s_mov_b32 s10, s14
	s_mov_b32 s11, s15
	buffer_load_dwordx4 v[14:17], v1, s[8:11], 0 offen
	buffer_load_dwordx4 v[10:13], v1, s[8:11], 16 offen
	;; [unrolled: 1-line block ×4, first 2 shown]
.LBB686_28:
	s_or_b64 exec, exec, s[2:3]
	v_mov_b32_e32 v19, 0
	v_mov_b32_e32 v32, 0
	;; [unrolled: 1-line block ×15, first 2 shown]
	s_and_saveexec_b64 s[2:3], vcc
	s_cbranch_execz .LBB686_30
; %bb.29:
	s_waitcnt vmcnt(3)
	v_cvt_f32_u32_sdwa v18, v14 dst_sel:DWORD dst_unused:UNUSED_PAD src0_sel:WORD_0
	v_cvt_f32_u32_sdwa v19, v14 dst_sel:DWORD dst_unused:UNUSED_PAD src0_sel:WORD_1
	v_cvt_f32_u32_sdwa v32, v15 dst_sel:DWORD dst_unused:UNUSED_PAD src0_sel:WORD_0
	v_cvt_f32_u32_sdwa v33, v15 dst_sel:DWORD dst_unused:UNUSED_PAD src0_sel:WORD_1
	;; [unrolled: 2-line block ×4, first 2 shown]
	s_waitcnt vmcnt(2)
	v_cvt_f32_u32_sdwa v26, v10 dst_sel:DWORD dst_unused:UNUSED_PAD src0_sel:WORD_0
	v_cvt_f32_u32_sdwa v27, v10 dst_sel:DWORD dst_unused:UNUSED_PAD src0_sel:WORD_1
	v_cvt_f32_u32_sdwa v24, v11 dst_sel:DWORD dst_unused:UNUSED_PAD src0_sel:WORD_0
	v_cvt_f32_u32_sdwa v25, v11 dst_sel:DWORD dst_unused:UNUSED_PAD src0_sel:WORD_1
	;; [unrolled: 2-line block ×4, first 2 shown]
.LBB686_30:
	s_or_b64 exec, exec, s[2:3]
	s_waitcnt vmcnt(2)
	v_mul_f32_e32 v10, v19, v19
	v_fmac_f32_e32 v10, v18, v18
	v_fmac_f32_e32 v10, v32, v32
	;; [unrolled: 1-line block ×15, first 2 shown]
	s_nop 1
	v_mov_b32_dpp v11, v10 quad_perm:[1,0,3,2] row_mask:0xf bank_mask:0xf
	v_add_f32_e32 v10, v10, v11
	s_nop 1
	v_mov_b32_dpp v11, v10 quad_perm:[2,3,0,1] row_mask:0xf bank_mask:0xf
	v_add_f32_e32 v10, v10, v11
	s_nop 1
	v_mov_b32_dpp v11, v10 row_half_mirror row_mask:0xf bank_mask:0xf
	v_add_f32_e32 v10, v10, v11
	s_nop 1
	v_mov_b32_dpp v11, v10 row_mirror row_mask:0xf bank_mask:0xf
	v_add_f32_e32 v10, v10, v11
	s_nop 1
	v_mov_b32_dpp v11, v10 row_bcast:15 row_mask:0xf bank_mask:0xf
	v_add_f32_e32 v10, v10, v11
	s_nop 1
	v_mov_b32_dpp v11, v10 row_bcast:31 row_mask:0xf bank_mask:0xf
	s_and_saveexec_b64 s[2:3], s[0:1]
	s_cbranch_execz .LBB686_32
; %bb.31:
	v_lshrrev_b32_e32 v0, 4, v0
	v_add_f32_e32 v10, v10, v11
	v_and_b32_e32 v0, 60, v0
	ds_write_b32 v0, v10
.LBB686_32:
	s_or_b64 exec, exec, s[2:3]
	s_waitcnt lgkmcnt(0)
	s_barrier
	ds_read_b32 v0, v34
	s_waitcnt lgkmcnt(0)
	s_nop 0
	v_mov_b32_dpp v10, v0 quad_perm:[1,0,3,2] row_mask:0xf bank_mask:0xf
	s_and_saveexec_b64 s[0:1], vcc
	s_cbranch_execz .LBB686_12
; %bb.33:
	v_cvt_f32_u32_e32 v11, s20
	v_add_f32_e32 v0, v0, v10
	s_mov_b32 s15, 0x20000
	v_div_scale_f32 v10, s[0:1], v11, v11, v0
	v_rcp_f32_e32 v12, v10
	v_div_scale_f32 v13, vcc, v0, v11, v0
	s_mov_b32 s0, 0x800000
	v_fma_f32 v14, -v10, v12, 1.0
	v_fmac_f32_e32 v12, v14, v12
	v_mul_f32_e32 v14, v13, v12
	v_fma_f32 v15, -v10, v14, v13
	v_fmac_f32_e32 v14, v15, v12
	v_fma_f32 v10, -v10, v14, v13
	v_div_fmas_f32 v10, v10, v12, v14
	v_div_fixup_f32 v0, v10, v11, v0
	v_add_f32_e32 v0, s17, v0
	v_mul_f32_e32 v10, 0x4b800000, v0
	v_cmp_gt_f32_e32 vcc, s0, v0
	v_cndmask_b32_e32 v0, v0, v10, vcc
	v_rsq_f32_e32 v0, v0
	s_mul_hi_i32 s1, s7, s6
	s_mul_i32 s0, s7, s6
	s_lshl_b64 s[0:1], s[0:1], 1
	v_mul_f32_e32 v10, 0x45800000, v0
	v_cndmask_b32_e32 v10, v0, v10, vcc
	v_mov_b32_e32 v11, v10
	s_add_u32 s12, s28, s0
	;;#ASMSTART
	v_pk_mul_f32 v[12:13], v[18:19], v[10:11]
	;;#ASMEND
	;;#ASMSTART
	v_pk_mul_f32 v[14:15], v[32:33], v[10:11]
	;;#ASMEND
	;; [unrolled: 3-line block ×8, first 2 shown]
	s_waitcnt vmcnt(1)
	v_cvt_f32_u32_sdwa v21, v6 dst_sel:DWORD dst_unused:UNUSED_PAD src0_sel:WORD_1
	v_cvt_f32_u32_sdwa v20, v6 dst_sel:DWORD dst_unused:UNUSED_PAD src0_sel:WORD_0
	v_cvt_f32_u32_sdwa v29, v7 dst_sel:DWORD dst_unused:UNUSED_PAD src0_sel:WORD_1
	v_cvt_f32_u32_sdwa v28, v7 dst_sel:DWORD dst_unused:UNUSED_PAD src0_sel:WORD_0
	;; [unrolled: 2-line block ×3, first 2 shown]
	s_addc_u32 s0, s29, s1
	v_cvt_f32_u32_sdwa v31, v9 dst_sel:DWORD dst_unused:UNUSED_PAD src0_sel:WORD_1
	v_cvt_f32_u32_sdwa v30, v9 dst_sel:DWORD dst_unused:UNUSED_PAD src0_sel:WORD_0
	;;#ASMSTART
	v_pk_mul_f32 v[8:9], v[12:13], v[20:21]
	;;#ASMEND
	;;#ASMSTART
	v_pk_mul_f32 v[12:13], v[14:15], v[28:29]
	;;#ASMEND
	;; [unrolled: 3-line block ×4, first 2 shown]
	s_waitcnt vmcnt(0)
	v_cvt_f32_u32_sdwa v17, v2 dst_sel:DWORD dst_unused:UNUSED_PAD src0_sel:WORD_1
	v_cvt_f32_u32_sdwa v16, v2 dst_sel:DWORD dst_unused:UNUSED_PAD src0_sel:WORD_0
	v_cvt_f32_u32_sdwa v19, v3 dst_sel:DWORD dst_unused:UNUSED_PAD src0_sel:WORD_1
	v_cvt_f32_u32_sdwa v18, v3 dst_sel:DWORD dst_unused:UNUSED_PAD src0_sel:WORD_0
	;; [unrolled: 2-line block ×3, first 2 shown]
	s_and_b32 s13, s0, 0xffff
	s_mov_b32 s0, 0x7060302
	v_cvt_f32_u32_sdwa v21, v5 dst_sel:DWORD dst_unused:UNUSED_PAD src0_sel:WORD_1
	v_cvt_f32_u32_sdwa v20, v5 dst_sel:DWORD dst_unused:UNUSED_PAD src0_sel:WORD_0
	;;#ASMSTART
	v_pk_mul_f32 v[16:17], v[26:27], v[16:17]
	;;#ASMEND
	;;#ASMSTART
	v_pk_mul_f32 v[18:19], v[24:25], v[18:19]
	;;#ASMEND
	;; [unrolled: 3-line block ×3, first 2 shown]
	v_perm_b32 v2, v9, v8, s0
	v_perm_b32 v3, v13, v12, s0
	;; [unrolled: 1-line block ×4, first 2 shown]
	;;#ASMSTART
	v_pk_mul_f32 v[10:11], v[10:11], v[20:21]
	;;#ASMEND
	buffer_store_dwordx4 v[2:5], v1, s[12:15], 0 offen
	;;#ASMSTART
	s_nop 0
	;;#ASMEND
	s_nop 0
	v_perm_b32 v2, v17, v16, s0
	v_perm_b32 v3, v19, v18, s0
	;; [unrolled: 1-line block ×4, first 2 shown]
	buffer_store_dwordx4 v[2:5], v1, s[12:15], 16 offen
	;;#ASMSTART
	s_nop 0
	;;#ASMEND
	s_endpgm
	.section	.rodata,"a",@progbits
	.p2align	6, 0x0
	.amdhsa_kernel _ZN5aiter35fused_qk_rmsnorm_group_quant_kernelItDB8_Li128ELi16ELi4ELb0ELb1ELb0ELb0ELb0ELb0EEEvPT0_PvPT_S6_S6_PKS5_S8_S8_S8_S8_ffiiiiiiiiiiiii
		.amdhsa_group_segment_fixed_size 16
		.amdhsa_private_segment_fixed_size 0
		.amdhsa_kernarg_size 400
		.amdhsa_user_sgpr_count 6
		.amdhsa_user_sgpr_private_segment_buffer 1
		.amdhsa_user_sgpr_dispatch_ptr 0
		.amdhsa_user_sgpr_queue_ptr 0
		.amdhsa_user_sgpr_kernarg_segment_ptr 1
		.amdhsa_user_sgpr_dispatch_id 0
		.amdhsa_user_sgpr_flat_scratch_init 0
		.amdhsa_user_sgpr_kernarg_preload_length 0
		.amdhsa_user_sgpr_kernarg_preload_offset 0
		.amdhsa_user_sgpr_private_segment_size 0
		.amdhsa_uses_dynamic_stack 0
		.amdhsa_system_sgpr_private_segment_wavefront_offset 0
		.amdhsa_system_sgpr_workgroup_id_x 1
		.amdhsa_system_sgpr_workgroup_id_y 1
		.amdhsa_system_sgpr_workgroup_id_z 0
		.amdhsa_system_sgpr_workgroup_info 0
		.amdhsa_system_vgpr_workitem_id 0
		.amdhsa_next_free_vgpr 38
		.amdhsa_next_free_sgpr 36
		.amdhsa_accum_offset 40
		.amdhsa_reserve_vcc 1
		.amdhsa_reserve_flat_scratch 0
		.amdhsa_float_round_mode_32 0
		.amdhsa_float_round_mode_16_64 0
		.amdhsa_float_denorm_mode_32 3
		.amdhsa_float_denorm_mode_16_64 3
		.amdhsa_dx10_clamp 1
		.amdhsa_ieee_mode 1
		.amdhsa_fp16_overflow 0
		.amdhsa_tg_split 0
		.amdhsa_exception_fp_ieee_invalid_op 0
		.amdhsa_exception_fp_denorm_src 0
		.amdhsa_exception_fp_ieee_div_zero 0
		.amdhsa_exception_fp_ieee_overflow 0
		.amdhsa_exception_fp_ieee_underflow 0
		.amdhsa_exception_fp_ieee_inexact 0
		.amdhsa_exception_int_div_zero 0
	.end_amdhsa_kernel
	.section	.text._ZN5aiter35fused_qk_rmsnorm_group_quant_kernelItDB8_Li128ELi16ELi4ELb0ELb1ELb0ELb0ELb0ELb0EEEvPT0_PvPT_S6_S6_PKS5_S8_S8_S8_S8_ffiiiiiiiiiiiii,"axG",@progbits,_ZN5aiter35fused_qk_rmsnorm_group_quant_kernelItDB8_Li128ELi16ELi4ELb0ELb1ELb0ELb0ELb0ELb0EEEvPT0_PvPT_S6_S6_PKS5_S8_S8_S8_S8_ffiiiiiiiiiiiii,comdat
.Lfunc_end686:
	.size	_ZN5aiter35fused_qk_rmsnorm_group_quant_kernelItDB8_Li128ELi16ELi4ELb0ELb1ELb0ELb0ELb0ELb0EEEvPT0_PvPT_S6_S6_PKS5_S8_S8_S8_S8_ffiiiiiiiiiiiii, .Lfunc_end686-_ZN5aiter35fused_qk_rmsnorm_group_quant_kernelItDB8_Li128ELi16ELi4ELb0ELb1ELb0ELb0ELb0ELb0EEEvPT0_PvPT_S6_S6_PKS5_S8_S8_S8_S8_ffiiiiiiiiiiiii
                                        ; -- End function
	.section	.AMDGPU.csdata,"",@progbits
; Kernel info:
; codeLenInByte = 3588
; NumSgprs: 40
; NumVgprs: 38
; NumAgprs: 0
; TotalNumVgprs: 38
; ScratchSize: 0
; MemoryBound: 0
; FloatMode: 240
; IeeeMode: 1
; LDSByteSize: 16 bytes/workgroup (compile time only)
; SGPRBlocks: 4
; VGPRBlocks: 4
; NumSGPRsForWavesPerEU: 40
; NumVGPRsForWavesPerEU: 38
; AccumOffset: 40
; Occupancy: 8
; WaveLimiterHint : 0
; COMPUTE_PGM_RSRC2:SCRATCH_EN: 0
; COMPUTE_PGM_RSRC2:USER_SGPR: 6
; COMPUTE_PGM_RSRC2:TRAP_HANDLER: 0
; COMPUTE_PGM_RSRC2:TGID_X_EN: 1
; COMPUTE_PGM_RSRC2:TGID_Y_EN: 1
; COMPUTE_PGM_RSRC2:TGID_Z_EN: 0
; COMPUTE_PGM_RSRC2:TIDIG_COMP_CNT: 0
; COMPUTE_PGM_RSRC3_GFX90A:ACCUM_OFFSET: 9
; COMPUTE_PGM_RSRC3_GFX90A:TG_SPLIT: 0
	.section	.text._ZN5aiter35fused_qk_rmsnorm_group_quant_kernelIDF16_N4opus5fp4_tELi128ELi16ELi4ELb0ELb1ELb0ELb0ELb0ELb0EEEvPT0_PvPT_S7_S7_PKS6_S9_S9_S9_S9_ffiiiiiiiiiiiii,"axG",@progbits,_ZN5aiter35fused_qk_rmsnorm_group_quant_kernelIDF16_N4opus5fp4_tELi128ELi16ELi4ELb0ELb1ELb0ELb0ELb0ELb0EEEvPT0_PvPT_S7_S7_PKS6_S9_S9_S9_S9_ffiiiiiiiiiiiii,comdat
	.protected	_ZN5aiter35fused_qk_rmsnorm_group_quant_kernelIDF16_N4opus5fp4_tELi128ELi16ELi4ELb0ELb1ELb0ELb0ELb0ELb0EEEvPT0_PvPT_S7_S7_PKS6_S9_S9_S9_S9_ffiiiiiiiiiiiii ; -- Begin function _ZN5aiter35fused_qk_rmsnorm_group_quant_kernelIDF16_N4opus5fp4_tELi128ELi16ELi4ELb0ELb1ELb0ELb0ELb0ELb0EEEvPT0_PvPT_S7_S7_PKS6_S9_S9_S9_S9_ffiiiiiiiiiiiii
	.globl	_ZN5aiter35fused_qk_rmsnorm_group_quant_kernelIDF16_N4opus5fp4_tELi128ELi16ELi4ELb0ELb1ELb0ELb0ELb0ELb0EEEvPT0_PvPT_S7_S7_PKS6_S9_S9_S9_S9_ffiiiiiiiiiiiii
	.p2align	8
	.type	_ZN5aiter35fused_qk_rmsnorm_group_quant_kernelIDF16_N4opus5fp4_tELi128ELi16ELi4ELb0ELb1ELb0ELb0ELb0ELb0EEEvPT0_PvPT_S7_S7_PKS6_S9_S9_S9_S9_ffiiiiiiiiiiiii,@function
_ZN5aiter35fused_qk_rmsnorm_group_quant_kernelIDF16_N4opus5fp4_tELi128ELi16ELi4ELb0ELb1ELb0ELb0ELb0ELb0EEEvPT0_PvPT_S7_S7_PKS6_S9_S9_S9_S9_ffiiiiiiiiiiiii: ; @_ZN5aiter35fused_qk_rmsnorm_group_quant_kernelIDF16_N4opus5fp4_tELi128ELi16ELi4ELb0ELb1ELb0ELb0ELb0ELb0EEEvPT0_PvPT_S7_S7_PKS6_S9_S9_S9_S9_ffiiiiiiiiiiiii
; %bb.0:
	s_load_dwordx4 s[16:19], s[4:5], 0x50
	s_waitcnt lgkmcnt(0)
	s_cmp_ge_i32 s6, s18
	s_cbranch_scc1 .LBB687_12
; %bb.1:
	s_load_dwordx2 s[12:13], s[4:5], 0x48
	s_load_dwordx2 s[30:31], s[4:5], 0x30
	s_load_dwordx4 s[20:23], s[4:5], 0x60
	s_cmp_lg_u32 s7, 0
	s_cselect_b64 s[14:15], -1, 0
	s_cmp_eq_u32 s7, 0
	s_cselect_b64 vcc, -1, 0
	s_and_b64 s[0:1], vcc, exec
	s_waitcnt lgkmcnt(0)
	s_cselect_b32 s7, s19, s20
	s_add_i32 s0, s7, 1
	s_lshr_b32 s1, s0, 31
	s_add_i32 s0, s0, s1
	s_lshl_b32 s0, s0, 1
	v_lshlrev_b32_e32 v1, 4, v0
	s_and_b32 s10, s0, -4
	v_cmp_gt_i32_e64 s[2:3], s7, v1
	v_mov_b32_e32 v18, 0
	v_mov_b32_e32 v6, 0
	;; [unrolled: 1-line block ×17, first 2 shown]
	s_and_saveexec_b64 s[0:1], s[2:3]
	s_cbranch_execz .LBB687_3
; %bb.2:
	s_load_dwordx2 s[8:9], s[4:5], 0x28
	s_load_dwordx2 s[26:27], s[4:5], 0x40
	s_and_b64 s[24:25], vcc, exec
	s_cselect_b32 s11, s21, s22
	v_lshlrev_b32_e32 v19, 5, v0
	s_waitcnt lgkmcnt(0)
	s_cselect_b32 s18, s9, s31
	s_cselect_b32 s21, s8, s30
	s_mul_hi_i32 s9, s11, s6
	s_mul_i32 s8, s11, s6
	s_lshl_b64 s[8:9], s[8:9], 1
	s_add_u32 s24, s21, s8
	s_addc_u32 s18, s18, s9
	s_and_b64 s[8:9], vcc, exec
	s_mov_b32 s11, 0x20000
	s_cselect_b32 s8, s26, s12
	s_cselect_b32 s9, s27, s13
	s_and_b32 s25, s18, 0xffff
	s_mov_b32 s26, s10
	s_mov_b32 s27, s11
	s_and_b32 s9, s9, 0xffff
	buffer_load_dwordx4 v[14:17], v19, s[24:27], 0 offen
	buffer_load_dwordx4 v[10:13], v19, s[24:27], 16 offen
	;; [unrolled: 1-line block ×4, first 2 shown]
.LBB687_3:
	s_or_b64 exec, exec, s[0:1]
	v_mov_b32_e32 v19, 0
	v_mov_b32_e32 v24, 0
	;; [unrolled: 1-line block ×15, first 2 shown]
	s_and_saveexec_b64 s[0:1], s[2:3]
	s_cbranch_execz .LBB687_5
; %bb.4:
	s_waitcnt vmcnt(3)
	v_cvt_f32_f16_sdwa v19, v14 dst_sel:DWORD dst_unused:UNUSED_PAD src0_sel:WORD_1
	v_cvt_f32_f16_e32 v18, v14
	v_cvt_f32_f16_sdwa v25, v15 dst_sel:DWORD dst_unused:UNUSED_PAD src0_sel:WORD_1
	v_cvt_f32_f16_e32 v24, v15
	;; [unrolled: 2-line block ×4, first 2 shown]
	s_waitcnt vmcnt(2)
	v_cvt_f32_f16_sdwa v33, v10 dst_sel:DWORD dst_unused:UNUSED_PAD src0_sel:WORD_1
	v_cvt_f32_f16_e32 v32, v10
	v_cvt_f32_f16_sdwa v31, v11 dst_sel:DWORD dst_unused:UNUSED_PAD src0_sel:WORD_1
	v_cvt_f32_f16_e32 v30, v11
	;; [unrolled: 2-line block ×4, first 2 shown]
.LBB687_5:
	s_or_b64 exec, exec, s[0:1]
	s_waitcnt vmcnt(2)
	v_mul_f32_e32 v10, v19, v19
	v_fmac_f32_e32 v10, v18, v18
	v_fmac_f32_e32 v10, v24, v24
	;; [unrolled: 1-line block ×15, first 2 shown]
	v_and_b32_e32 v12, 63, v0
	v_cmp_eq_u32_e64 s[0:1], 63, v12
	v_mov_b32_dpp v11, v10 quad_perm:[1,0,3,2] row_mask:0xf bank_mask:0xf
	v_add_f32_e32 v10, v10, v11
	s_nop 1
	v_mov_b32_dpp v11, v10 quad_perm:[2,3,0,1] row_mask:0xf bank_mask:0xf
	v_add_f32_e32 v10, v10, v11
	s_nop 1
	v_mov_b32_dpp v11, v10 row_half_mirror row_mask:0xf bank_mask:0xf
	v_add_f32_e32 v10, v10, v11
	s_nop 1
	v_mov_b32_dpp v11, v10 row_mirror row_mask:0xf bank_mask:0xf
	v_add_f32_e32 v10, v10, v11
	s_nop 1
	v_mov_b32_dpp v11, v10 row_bcast:15 row_mask:0xf bank_mask:0xf
	v_add_f32_e32 v10, v10, v11
	s_nop 1
	v_mov_b32_dpp v11, v10 row_bcast:31 row_mask:0xf bank_mask:0xf
	s_and_saveexec_b64 s[8:9], s[0:1]
	s_cbranch_execz .LBB687_7
; %bb.6:
	v_add_f32_e32 v10, v10, v11
	v_lshrrev_b32_e32 v11, 4, v0
	v_and_b32_e32 v11, 60, v11
	ds_write_b32 v11, v10 offset:8
.LBB687_7:
	s_or_b64 exec, exec, s[8:9]
	v_and_b32_e32 v10, 1, v0
	v_lshlrev_b32_e32 v34, 2, v10
	s_waitcnt lgkmcnt(0)
	s_barrier
	ds_read_b32 v10, v34 offset:8
	s_load_dwordx2 s[28:29], s[4:5], 0x18
	s_waitcnt lgkmcnt(0)
	v_mov_b32_dpp v11, v10 quad_perm:[1,0,3,2] row_mask:0xf bank_mask:0xf
	s_and_saveexec_b64 s[8:9], s[2:3]
	s_cbranch_execz .LBB687_9
; %bb.8:
	v_cvt_f32_u32_e32 v12, s7
	v_add_f32_e32 v10, v10, v11
	v_mov_b32_e32 v14, s17
	v_mov_b32_e32 v15, s16
	v_div_scale_f32 v11, s[24:25], v12, v12, v10
	v_rcp_f32_e32 v13, v11
	v_cndmask_b32_e32 v14, v14, v15, vcc
	s_mov_b32 s7, 0x800000
	v_fma_f32 v15, -v11, v13, 1.0
	v_fmac_f32_e32 v13, v15, v13
	v_div_scale_f32 v15, vcc, v10, v12, v10
	v_mul_f32_e32 v16, v15, v13
	v_fma_f32 v17, -v11, v16, v15
	v_fmac_f32_e32 v16, v17, v13
	v_fma_f32 v11, -v11, v16, v15
	v_div_fmas_f32 v11, v11, v13, v16
	v_div_fixup_f32 v10, v11, v12, v10
	v_add_f32_e32 v10, v14, v10
	v_mul_f32_e32 v11, 0x4b800000, v10
	v_cmp_gt_f32_e32 vcc, s7, v10
	v_cndmask_b32_e32 v10, v10, v11, vcc
	v_rsq_f32_e32 v10, v10
	v_mul_f32_e32 v11, 0x45800000, v10
	v_cndmask_b32_e32 v10, v10, v11, vcc
	v_mov_b32_e32 v11, v10
	;;#ASMSTART
	v_pk_mul_f32 v[12:13], v[18:19], v[10:11]
	;;#ASMEND
	;;#ASMSTART
	v_pk_mul_f32 v[14:15], v[24:25], v[10:11]
	;;#ASMEND
	;; [unrolled: 3-line block ×8, first 2 shown]
	s_waitcnt vmcnt(1)
	v_cvt_f32_f16_sdwa v19, v6 dst_sel:DWORD dst_unused:UNUSED_PAD src0_sel:WORD_1
	v_cvt_f32_f16_e32 v18, v6
	v_cvt_f32_f16_sdwa v21, v7 dst_sel:DWORD dst_unused:UNUSED_PAD src0_sel:WORD_1
	v_cvt_f32_f16_e32 v20, v7
	;; [unrolled: 2-line block ×4, first 2 shown]
	;;#ASMSTART
	v_pk_mul_f32 v[18:19], v[12:13], v[18:19]
	;;#ASMEND
	;;#ASMSTART
	v_pk_mul_f32 v[24:25], v[14:15], v[20:21]
	;;#ASMEND
	;; [unrolled: 3-line block ×4, first 2 shown]
	s_waitcnt vmcnt(0)
	v_cvt_f32_f16_sdwa v7, v2 dst_sel:DWORD dst_unused:UNUSED_PAD src0_sel:WORD_1
	v_cvt_f32_f16_e32 v6, v2
	v_cvt_f32_f16_sdwa v9, v3 dst_sel:DWORD dst_unused:UNUSED_PAD src0_sel:WORD_1
	v_cvt_f32_f16_e32 v8, v3
	v_cvt_f32_f16_sdwa v3, v4 dst_sel:DWORD dst_unused:UNUSED_PAD src0_sel:WORD_1
	v_cvt_f32_f16_e32 v2, v4
	v_cvt_f32_f16_sdwa v13, v5 dst_sel:DWORD dst_unused:UNUSED_PAD src0_sel:WORD_1
	v_cvt_f32_f16_e32 v12, v5
	;;#ASMSTART
	v_pk_mul_f32 v[32:33], v[32:33], v[6:7]
	;;#ASMEND
	;;#ASMSTART
	v_pk_mul_f32 v[30:31], v[30:31], v[8:9]
	;;#ASMEND
	;; [unrolled: 3-line block ×4, first 2 shown]
.LBB687_9:
	s_or_b64 exec, exec, s[8:9]
	s_load_dword s7, s[4:5], 0x80
	s_mov_b64 s[8:9], -1
	s_and_b64 vcc, exec, s[14:15]
	s_cbranch_vccnz .LBB687_13
; %bb.10:
	s_andn2_b64 vcc, exec, s[8:9]
	s_cbranch_vccz .LBB687_16
.LBB687_11:
	s_cmp_lt_i32 s20, 1
	s_cbranch_scc0 .LBB687_25
.LBB687_12:
	s_endpgm
.LBB687_13:
	s_and_saveexec_b64 s[14:15], s[2:3]
	s_cbranch_execz .LBB687_15
; %bb.14:
	s_waitcnt lgkmcnt(0)
	s_mul_hi_i32 s9, s7, s6
	s_mul_i32 s8, s7, s6
	s_waitcnt vmcnt(0)
	v_cvt_f16_f32_e32 v2, v18
	v_cvt_f16_f32_e32 v3, v24
	;; [unrolled: 1-line block ×8, first 2 shown]
	s_lshl_b64 s[8:9], s[8:9], 1
	s_add_u32 s8, s28, s8
	s_addc_u32 s9, s29, s9
	s_and_b32 s9, s9, 0xffff
	s_mov_b32 s11, 0x20000
	v_pack_b32_f16 v5, v5, v6
	v_pack_b32_f16 v4, v4, v7
	;; [unrolled: 1-line block ×4, first 2 shown]
	v_lshlrev_b32_e32 v6, 5, v0
	buffer_store_dwordx4 v[2:5], v6, s[8:11], 0 offen
	v_cvt_f16_f32_e32 v7, v29
	v_cvt_f16_f32_e32 v2, v32
	v_cvt_f16_f32_e32 v3, v30
	v_cvt_f16_f32_e32 v4, v26
	v_cvt_f16_f32_e32 v5, v28
	v_cvt_f16_f32_e32 v8, v27
	v_cvt_f16_f32_e32 v9, v31
	v_cvt_f16_f32_e32 v10, v33
	v_pack_b32_f16 v5, v5, v7
	v_pack_b32_f16 v4, v4, v8
	;; [unrolled: 1-line block ×4, first 2 shown]
	;;#ASMSTART
	s_nop 0
	;;#ASMEND
	buffer_store_dwordx4 v[2:5], v6, s[8:11], 16 offen
	;;#ASMSTART
	s_nop 0
	;;#ASMEND
.LBB687_15:
	s_or_b64 exec, exec, s[14:15]
	s_cbranch_execnz .LBB687_11
.LBB687_16:
	s_load_dwordx4 s[24:27], s[4:5], 0x70
	s_waitcnt vmcnt(0)
	v_mov_b32_e32 v2, 0
	s_and_saveexec_b64 s[14:15], s[2:3]
	s_cbranch_execz .LBB687_18
; %bb.17:
	s_load_dwordx2 s[8:9], s[4:5], 0x10
	s_waitcnt lgkmcnt(0)
	s_mul_hi_i32 s35, s27, s6
	s_mul_i32 s34, s27, s6
	v_cvt_f16_f32_e32 v2, v18
	v_cvt_f16_f32_e32 v3, v24
	;; [unrolled: 1-line block ×8, first 2 shown]
	s_lshl_b64 s[34:35], s[34:35], 1
	s_add_u32 s8, s8, s34
	s_addc_u32 s9, s9, s35
	s_mov_b32 s11, 0x20000
	s_and_b32 s9, s9, 0xffff
	v_pack_b32_f16 v5, v5, v6
	v_pack_b32_f16 v4, v4, v7
	;; [unrolled: 1-line block ×4, first 2 shown]
	v_lshlrev_b32_e32 v6, 5, v0
	buffer_store_dwordx4 v[2:5], v6, s[8:11], 0 offen
	v_cvt_f16_f32_e32 v7, v29
	v_cvt_f16_f32_e32 v2, v32
	;; [unrolled: 1-line block ×8, first 2 shown]
	v_pack_b32_f16 v5, v5, v7
	v_pack_b32_f16 v4, v4, v8
	;; [unrolled: 1-line block ×4, first 2 shown]
	;;#ASMSTART
	s_nop 0
	;;#ASMEND
	buffer_store_dwordx4 v[2:5], v6, s[8:11], 16 offen
	;;#ASMSTART
	s_nop 0
	;;#ASMEND
	s_nop 0
	v_mov_b32_e32 v2, 0x2edbe6ff
.LBB687_18:
	s_or_b64 exec, exec, s[14:15]
	s_and_saveexec_b64 s[8:9], s[2:3]
	s_cbranch_execz .LBB687_20
; %bb.19:
	v_and_b32_e32 v3, 0x7fffffff, v18
	v_and_b32_e32 v4, 0x7fffffff, v19
	;;#ASMSTART
	v_max3_f32 v2, v2, v3, v4

	;;#ASMEND
	v_and_b32_e32 v3, 0x7fffffff, v24
	v_and_b32_e32 v4, 0x7fffffff, v25
	;;#ASMSTART
	v_max3_f32 v2, v2, v3, v4

	;;#ASMEND
	;; [unrolled: 6-line block ×8, first 2 shown]
.LBB687_20:
	s_or_b64 exec, exec, s[8:9]
	;;#ASMSTART
	v_max_f32 v3, v2, v2 quad_perm:[1,0,3,2] row_mask:0xf bank_mask:0xf bound_ctrl:1
	;;#ASMEND
	;;#ASMSTART
	v_max_f32 v2, v3, v3 quad_perm:[2,3,0,1] row_mask:0xf bank_mask:0xf bound_ctrl:1
	;;#ASMEND
	v_and_b32_e32 v3, 3, v0
	v_cmp_eq_u32_e32 vcc, 0, v3
	v_cmp_gt_i32_e64 s[8:9], s19, v1
	s_and_b64 s[10:11], vcc, s[8:9]
	s_and_saveexec_b64 s[8:9], s[10:11]
	s_cbranch_execz .LBB687_22
; %bb.21:
	s_load_dwordx2 s[10:11], s[4:5], 0x8
	v_mul_f32_e32 v2, 0x3e2aaaab, v2
	v_lshrrev_b32_e32 v3, 23, v2
	v_and_b32_e32 v4, 0x7f800000, v2
	v_and_b32_e32 v2, 0x7fffff, v2
	v_cmp_ne_u32_e32 vcc, 0, v2
	s_waitcnt lgkmcnt(0)
	s_mul_i32 s16, s25, s6
	s_mov_b32 s14, 0x7f800000
	v_addc_co_u32_e32 v2, vcc, 0, v3, vcc
	s_mul_hi_i32 s15, s25, s6
	s_add_u32 s10, s10, s16
	v_cmp_ne_u32_e32 vcc, s14, v4
	s_addc_u32 s11, s11, s15
	v_lshrrev_b32_e32 v5, 2, v0
	v_cndmask_b32_e32 v4, -1, v2, vcc
	v_pk_mov_b32 v[2:3], s[10:11], s[10:11] op_sel:[0,1]
	v_mad_i64_i32 v[2:3], s[10:11], s26, v5, v[2:3]
	global_store_byte v[2:3], v4, off
.LBB687_22:
	s_or_b64 exec, exec, s[8:9]
	s_and_saveexec_b64 s[8:9], s[2:3]
	s_cbranch_execz .LBB687_24
; %bb.23:
	s_load_dwordx2 s[2:3], s[4:5], 0x0
	s_waitcnt lgkmcnt(0)
	s_mul_i32 s11, s24, s6
	s_mul_hi_i32 s10, s24, s6
	v_mov_b32_e32 v2, 0
	v_lshlrev_b32_e32 v4, 3, v0
	s_add_u32 s24, s2, s11
	s_addc_u32 s2, s3, s10
	s_lshr_b32 s3, s19, 31
	s_add_i32 s3, s19, s3
	s_ashr_i32 s3, s3, 1
	s_add_i32 s3, s3, 3
	s_ashr_i32 s10, s3, 31
	s_lshr_b32 s10, s10, 30
	s_add_i32 s3, s3, s10
	s_and_b32 s26, s3, -4
	s_and_b32 s25, s2, 0xffff
	s_mov_b32 s27, 0x20000
	v_mov_b32_e32 v3, v2
	buffer_store_dwordx2 v[2:3], v4, s[24:27], 0 offen
	;;#ASMSTART
	s_nop 0
	;;#ASMEND
.LBB687_24:
	s_or_b64 exec, exec, s[8:9]
	s_cmp_lt_i32 s20, 1
	s_cbranch_scc1 .LBB687_12
.LBB687_25:
	s_load_dword s2, s[4:5], 0x94
	s_waitcnt lgkmcnt(0)
	s_cmp_lg_u32 s2, 1
	s_cbranch_scc1 .LBB687_12
; %bb.26:
	s_lshl_b32 s2, s20, 1
	s_add_i32 s2, s2, 2
	v_cmp_gt_u32_e32 vcc, s20, v1
	s_and_b32 s14, s2, -4
	v_mov_b32_e32 v18, 0
	v_lshlrev_b32_e32 v1, 5, v0
	v_mov_b32_e32 v14, 0
	v_mov_b32_e32 v15, 0
	;; [unrolled: 1-line block ×8, first 2 shown]
	s_waitcnt vmcnt(1)
	v_mov_b32_e32 v6, 0
	v_mov_b32_e32 v7, 0
	;; [unrolled: 1-line block ×4, first 2 shown]
	s_waitcnt vmcnt(0)
	v_mov_b32_e32 v2, 0
	v_mov_b32_e32 v3, 0
	;; [unrolled: 1-line block ×4, first 2 shown]
	s_barrier
	s_and_saveexec_b64 s[2:3], vcc
	s_cbranch_execz .LBB687_28
; %bb.27:
	s_mul_hi_i32 s5, s22, s6
	s_mul_i32 s4, s22, s6
	s_and_b32 s13, s13, 0xffff
	s_lshl_b64 s[4:5], s[4:5], 1
	s_add_u32 s8, s30, s4
	s_mov_b32 s15, 0x20000
	s_addc_u32 s4, s31, s5
	s_and_b32 s9, s4, 0xffff
	s_mov_b32 s10, s14
	s_mov_b32 s11, s15
	buffer_load_dwordx4 v[14:17], v1, s[8:11], 0 offen
	buffer_load_dwordx4 v[10:13], v1, s[8:11], 16 offen
	;; [unrolled: 1-line block ×4, first 2 shown]
.LBB687_28:
	s_or_b64 exec, exec, s[2:3]
	v_mov_b32_e32 v19, 0
	v_mov_b32_e32 v32, 0
	;; [unrolled: 1-line block ×15, first 2 shown]
	s_and_saveexec_b64 s[2:3], vcc
	s_cbranch_execz .LBB687_30
; %bb.29:
	s_waitcnt vmcnt(3)
	v_cvt_f32_f16_sdwa v19, v14 dst_sel:DWORD dst_unused:UNUSED_PAD src0_sel:WORD_1
	v_cvt_f32_f16_e32 v18, v14
	v_cvt_f32_f16_sdwa v33, v15 dst_sel:DWORD dst_unused:UNUSED_PAD src0_sel:WORD_1
	v_cvt_f32_f16_e32 v32, v15
	v_cvt_f32_f16_sdwa v31, v16 dst_sel:DWORD dst_unused:UNUSED_PAD src0_sel:WORD_1
	v_cvt_f32_f16_e32 v30, v16
	v_cvt_f32_f16_sdwa v29, v17 dst_sel:DWORD dst_unused:UNUSED_PAD src0_sel:WORD_1
	v_cvt_f32_f16_e32 v28, v17
	s_waitcnt vmcnt(2)
	v_cvt_f32_f16_sdwa v27, v10 dst_sel:DWORD dst_unused:UNUSED_PAD src0_sel:WORD_1
	v_cvt_f32_f16_e32 v26, v10
	v_cvt_f32_f16_sdwa v25, v11 dst_sel:DWORD dst_unused:UNUSED_PAD src0_sel:WORD_1
	v_cvt_f32_f16_e32 v24, v11
	;; [unrolled: 2-line block ×4, first 2 shown]
.LBB687_30:
	s_or_b64 exec, exec, s[2:3]
	s_waitcnt vmcnt(2)
	v_mul_f32_e32 v10, v19, v19
	v_fmac_f32_e32 v10, v18, v18
	v_fmac_f32_e32 v10, v32, v32
	;; [unrolled: 1-line block ×15, first 2 shown]
	s_nop 1
	v_mov_b32_dpp v11, v10 quad_perm:[1,0,3,2] row_mask:0xf bank_mask:0xf
	v_add_f32_e32 v10, v10, v11
	s_nop 1
	v_mov_b32_dpp v11, v10 quad_perm:[2,3,0,1] row_mask:0xf bank_mask:0xf
	v_add_f32_e32 v10, v10, v11
	s_nop 1
	v_mov_b32_dpp v11, v10 row_half_mirror row_mask:0xf bank_mask:0xf
	v_add_f32_e32 v10, v10, v11
	s_nop 1
	v_mov_b32_dpp v11, v10 row_mirror row_mask:0xf bank_mask:0xf
	v_add_f32_e32 v10, v10, v11
	s_nop 1
	v_mov_b32_dpp v11, v10 row_bcast:15 row_mask:0xf bank_mask:0xf
	v_add_f32_e32 v10, v10, v11
	s_nop 1
	v_mov_b32_dpp v11, v10 row_bcast:31 row_mask:0xf bank_mask:0xf
	s_and_saveexec_b64 s[2:3], s[0:1]
	s_cbranch_execz .LBB687_32
; %bb.31:
	v_lshrrev_b32_e32 v0, 4, v0
	v_add_f32_e32 v10, v10, v11
	v_and_b32_e32 v0, 60, v0
	ds_write_b32 v0, v10
.LBB687_32:
	s_or_b64 exec, exec, s[2:3]
	s_waitcnt lgkmcnt(0)
	s_barrier
	ds_read_b32 v0, v34
	s_waitcnt lgkmcnt(0)
	s_nop 0
	v_mov_b32_dpp v10, v0 quad_perm:[1,0,3,2] row_mask:0xf bank_mask:0xf
	s_and_saveexec_b64 s[0:1], vcc
	s_cbranch_execz .LBB687_12
; %bb.33:
	v_cvt_f32_u32_e32 v11, s20
	v_add_f32_e32 v0, v0, v10
	s_mov_b32 s15, 0x20000
	v_div_scale_f32 v10, s[0:1], v11, v11, v0
	v_rcp_f32_e32 v12, v10
	v_div_scale_f32 v13, vcc, v0, v11, v0
	s_mov_b32 s0, 0x800000
	v_fma_f32 v14, -v10, v12, 1.0
	v_fmac_f32_e32 v12, v14, v12
	v_mul_f32_e32 v14, v13, v12
	v_fma_f32 v15, -v10, v14, v13
	v_fmac_f32_e32 v14, v15, v12
	v_fma_f32 v10, -v10, v14, v13
	v_div_fmas_f32 v10, v10, v12, v14
	v_div_fixup_f32 v0, v10, v11, v0
	v_add_f32_e32 v0, s17, v0
	v_mul_f32_e32 v10, 0x4b800000, v0
	v_cmp_gt_f32_e32 vcc, s0, v0
	v_cndmask_b32_e32 v0, v0, v10, vcc
	v_rsq_f32_e32 v0, v0
	s_mul_hi_i32 s1, s7, s6
	s_mul_i32 s0, s7, s6
	s_lshl_b64 s[0:1], s[0:1], 1
	v_mul_f32_e32 v10, 0x45800000, v0
	v_cndmask_b32_e32 v10, v0, v10, vcc
	v_mov_b32_e32 v11, v10
	;;#ASMSTART
	v_pk_mul_f32 v[12:13], v[18:19], v[10:11]
	;;#ASMEND
	;;#ASMSTART
	v_pk_mul_f32 v[14:15], v[32:33], v[10:11]
	;;#ASMEND
	;;#ASMSTART
	v_pk_mul_f32 v[16:17], v[30:31], v[10:11]
	;;#ASMEND
	;;#ASMSTART
	v_pk_mul_f32 v[18:19], v[28:29], v[10:11]
	;;#ASMEND
	;;#ASMSTART
	v_pk_mul_f32 v[26:27], v[26:27], v[10:11]
	;;#ASMEND
	;;#ASMSTART
	v_pk_mul_f32 v[24:25], v[24:25], v[10:11]
	;;#ASMEND
	;;#ASMSTART
	v_pk_mul_f32 v[22:23], v[22:23], v[10:11]
	;;#ASMEND
	;;#ASMSTART
	v_pk_mul_f32 v[10:11], v[20:21], v[10:11]
	;;#ASMEND
	s_waitcnt vmcnt(1)
	v_cvt_f32_f16_sdwa v21, v6 dst_sel:DWORD dst_unused:UNUSED_PAD src0_sel:WORD_1
	v_cvt_f32_f16_e32 v20, v6
	v_cvt_f32_f16_sdwa v29, v7 dst_sel:DWORD dst_unused:UNUSED_PAD src0_sel:WORD_1
	v_cvt_f32_f16_e32 v28, v7
	v_cvt_f32_f16_sdwa v7, v8 dst_sel:DWORD dst_unused:UNUSED_PAD src0_sel:WORD_1
	v_cvt_f32_f16_e32 v6, v8
	v_cvt_f32_f16_sdwa v31, v9 dst_sel:DWORD dst_unused:UNUSED_PAD src0_sel:WORD_1
	v_cvt_f32_f16_e32 v30, v9
	;;#ASMSTART
	v_pk_mul_f32 v[8:9], v[12:13], v[20:21]
	;;#ASMEND
	;;#ASMSTART
	v_pk_mul_f32 v[12:13], v[14:15], v[28:29]
	;;#ASMEND
	;; [unrolled: 3-line block ×4, first 2 shown]
	s_waitcnt vmcnt(0)
	v_cvt_f32_f16_sdwa v17, v2 dst_sel:DWORD dst_unused:UNUSED_PAD src0_sel:WORD_1
	v_cvt_f32_f16_e32 v16, v2
	v_cvt_f32_f16_sdwa v19, v3 dst_sel:DWORD dst_unused:UNUSED_PAD src0_sel:WORD_1
	v_cvt_f32_f16_e32 v18, v3
	;; [unrolled: 2-line block ×4, first 2 shown]
	;;#ASMSTART
	v_pk_mul_f32 v[16:17], v[26:27], v[16:17]
	;;#ASMEND
	;;#ASMSTART
	v_pk_mul_f32 v[18:19], v[24:25], v[18:19]
	;;#ASMEND
	;; [unrolled: 3-line block ×3, first 2 shown]
	v_cvt_f16_f32_e32 v0, v8
	v_cvt_f16_f32_e32 v2, v9
	;; [unrolled: 1-line block ×8, first 2 shown]
	s_add_u32 s12, s28, s0
	s_addc_u32 s0, s29, s1
	s_and_b32 s13, s0, 0xffff
	v_pack_b32_f16 v2, v0, v2
	v_pack_b32_f16 v3, v3, v4
	;; [unrolled: 1-line block ×4, first 2 shown]
	;;#ASMSTART
	v_pk_mul_f32 v[10:11], v[10:11], v[20:21]
	;;#ASMEND
	buffer_store_dwordx4 v[2:5], v1, s[12:15], 0 offen
	v_cvt_f16_f32_e32 v0, v16
	v_cvt_f16_f32_e32 v2, v17
	;; [unrolled: 1-line block ×8, first 2 shown]
	v_pack_b32_f16 v2, v0, v2
	v_pack_b32_f16 v3, v3, v4
	;; [unrolled: 1-line block ×4, first 2 shown]
	;;#ASMSTART
	s_nop 0
	;;#ASMEND
	buffer_store_dwordx4 v[2:5], v1, s[12:15], 16 offen
	;;#ASMSTART
	s_nop 0
	;;#ASMEND
	s_endpgm
	.section	.rodata,"a",@progbits
	.p2align	6, 0x0
	.amdhsa_kernel _ZN5aiter35fused_qk_rmsnorm_group_quant_kernelIDF16_N4opus5fp4_tELi128ELi16ELi4ELb0ELb1ELb0ELb0ELb0ELb0EEEvPT0_PvPT_S7_S7_PKS6_S9_S9_S9_S9_ffiiiiiiiiiiiii
		.amdhsa_group_segment_fixed_size 16
		.amdhsa_private_segment_fixed_size 0
		.amdhsa_kernarg_size 400
		.amdhsa_user_sgpr_count 6
		.amdhsa_user_sgpr_private_segment_buffer 1
		.amdhsa_user_sgpr_dispatch_ptr 0
		.amdhsa_user_sgpr_queue_ptr 0
		.amdhsa_user_sgpr_kernarg_segment_ptr 1
		.amdhsa_user_sgpr_dispatch_id 0
		.amdhsa_user_sgpr_flat_scratch_init 0
		.amdhsa_user_sgpr_kernarg_preload_length 0
		.amdhsa_user_sgpr_kernarg_preload_offset 0
		.amdhsa_user_sgpr_private_segment_size 0
		.amdhsa_uses_dynamic_stack 0
		.amdhsa_system_sgpr_private_segment_wavefront_offset 0
		.amdhsa_system_sgpr_workgroup_id_x 1
		.amdhsa_system_sgpr_workgroup_id_y 1
		.amdhsa_system_sgpr_workgroup_id_z 0
		.amdhsa_system_sgpr_workgroup_info 0
		.amdhsa_system_vgpr_workitem_id 0
		.amdhsa_next_free_vgpr 35
		.amdhsa_next_free_sgpr 36
		.amdhsa_accum_offset 36
		.amdhsa_reserve_vcc 1
		.amdhsa_reserve_flat_scratch 0
		.amdhsa_float_round_mode_32 0
		.amdhsa_float_round_mode_16_64 0
		.amdhsa_float_denorm_mode_32 3
		.amdhsa_float_denorm_mode_16_64 3
		.amdhsa_dx10_clamp 1
		.amdhsa_ieee_mode 1
		.amdhsa_fp16_overflow 0
		.amdhsa_tg_split 0
		.amdhsa_exception_fp_ieee_invalid_op 0
		.amdhsa_exception_fp_denorm_src 0
		.amdhsa_exception_fp_ieee_div_zero 0
		.amdhsa_exception_fp_ieee_overflow 0
		.amdhsa_exception_fp_ieee_underflow 0
		.amdhsa_exception_fp_ieee_inexact 0
		.amdhsa_exception_int_div_zero 0
	.end_amdhsa_kernel
	.section	.text._ZN5aiter35fused_qk_rmsnorm_group_quant_kernelIDF16_N4opus5fp4_tELi128ELi16ELi4ELb0ELb1ELb0ELb0ELb0ELb0EEEvPT0_PvPT_S7_S7_PKS6_S9_S9_S9_S9_ffiiiiiiiiiiiii,"axG",@progbits,_ZN5aiter35fused_qk_rmsnorm_group_quant_kernelIDF16_N4opus5fp4_tELi128ELi16ELi4ELb0ELb1ELb0ELb0ELb0ELb0EEEvPT0_PvPT_S7_S7_PKS6_S9_S9_S9_S9_ffiiiiiiiiiiiii,comdat
.Lfunc_end687:
	.size	_ZN5aiter35fused_qk_rmsnorm_group_quant_kernelIDF16_N4opus5fp4_tELi128ELi16ELi4ELb0ELb1ELb0ELb0ELb0ELb0EEEvPT0_PvPT_S7_S7_PKS6_S9_S9_S9_S9_ffiiiiiiiiiiiii, .Lfunc_end687-_ZN5aiter35fused_qk_rmsnorm_group_quant_kernelIDF16_N4opus5fp4_tELi128ELi16ELi4ELb0ELb1ELb0ELb0ELb0ELb0EEEvPT0_PvPT_S7_S7_PKS6_S9_S9_S9_S9_ffiiiiiiiiiiiii
                                        ; -- End function
	.section	.AMDGPU.csdata,"",@progbits
; Kernel info:
; codeLenInByte = 3308
; NumSgprs: 40
; NumVgprs: 35
; NumAgprs: 0
; TotalNumVgprs: 35
; ScratchSize: 0
; MemoryBound: 0
; FloatMode: 240
; IeeeMode: 1
; LDSByteSize: 16 bytes/workgroup (compile time only)
; SGPRBlocks: 4
; VGPRBlocks: 4
; NumSGPRsForWavesPerEU: 40
; NumVGPRsForWavesPerEU: 35
; AccumOffset: 36
; Occupancy: 8
; WaveLimiterHint : 0
; COMPUTE_PGM_RSRC2:SCRATCH_EN: 0
; COMPUTE_PGM_RSRC2:USER_SGPR: 6
; COMPUTE_PGM_RSRC2:TRAP_HANDLER: 0
; COMPUTE_PGM_RSRC2:TGID_X_EN: 1
; COMPUTE_PGM_RSRC2:TGID_Y_EN: 1
; COMPUTE_PGM_RSRC2:TGID_Z_EN: 0
; COMPUTE_PGM_RSRC2:TIDIG_COMP_CNT: 0
; COMPUTE_PGM_RSRC3_GFX90A:ACCUM_OFFSET: 8
; COMPUTE_PGM_RSRC3_GFX90A:TG_SPLIT: 0
	.section	.text._ZN5aiter35fused_qk_rmsnorm_group_quant_kernelItN4opus5fp4_tELi128ELi16ELi4ELb0ELb1ELb0ELb0ELb0ELb0EEEvPT0_PvPT_S7_S7_PKS6_S9_S9_S9_S9_ffiiiiiiiiiiiii,"axG",@progbits,_ZN5aiter35fused_qk_rmsnorm_group_quant_kernelItN4opus5fp4_tELi128ELi16ELi4ELb0ELb1ELb0ELb0ELb0ELb0EEEvPT0_PvPT_S7_S7_PKS6_S9_S9_S9_S9_ffiiiiiiiiiiiii,comdat
	.protected	_ZN5aiter35fused_qk_rmsnorm_group_quant_kernelItN4opus5fp4_tELi128ELi16ELi4ELb0ELb1ELb0ELb0ELb0ELb0EEEvPT0_PvPT_S7_S7_PKS6_S9_S9_S9_S9_ffiiiiiiiiiiiii ; -- Begin function _ZN5aiter35fused_qk_rmsnorm_group_quant_kernelItN4opus5fp4_tELi128ELi16ELi4ELb0ELb1ELb0ELb0ELb0ELb0EEEvPT0_PvPT_S7_S7_PKS6_S9_S9_S9_S9_ffiiiiiiiiiiiii
	.globl	_ZN5aiter35fused_qk_rmsnorm_group_quant_kernelItN4opus5fp4_tELi128ELi16ELi4ELb0ELb1ELb0ELb0ELb0ELb0EEEvPT0_PvPT_S7_S7_PKS6_S9_S9_S9_S9_ffiiiiiiiiiiiii
	.p2align	8
	.type	_ZN5aiter35fused_qk_rmsnorm_group_quant_kernelItN4opus5fp4_tELi128ELi16ELi4ELb0ELb1ELb0ELb0ELb0ELb0EEEvPT0_PvPT_S7_S7_PKS6_S9_S9_S9_S9_ffiiiiiiiiiiiii,@function
_ZN5aiter35fused_qk_rmsnorm_group_quant_kernelItN4opus5fp4_tELi128ELi16ELi4ELb0ELb1ELb0ELb0ELb0ELb0EEEvPT0_PvPT_S7_S7_PKS6_S9_S9_S9_S9_ffiiiiiiiiiiiii: ; @_ZN5aiter35fused_qk_rmsnorm_group_quant_kernelItN4opus5fp4_tELi128ELi16ELi4ELb0ELb1ELb0ELb0ELb0ELb0EEEvPT0_PvPT_S7_S7_PKS6_S9_S9_S9_S9_ffiiiiiiiiiiiii
; %bb.0:
	s_load_dwordx4 s[16:19], s[4:5], 0x50
	s_waitcnt lgkmcnt(0)
	s_cmp_ge_i32 s6, s18
	s_cbranch_scc1 .LBB688_12
; %bb.1:
	s_load_dwordx2 s[12:13], s[4:5], 0x48
	s_load_dwordx2 s[30:31], s[4:5], 0x30
	s_load_dwordx4 s[20:23], s[4:5], 0x60
	s_cmp_lg_u32 s7, 0
	s_cselect_b64 s[14:15], -1, 0
	s_cmp_eq_u32 s7, 0
	s_cselect_b64 vcc, -1, 0
	s_and_b64 s[0:1], vcc, exec
	s_waitcnt lgkmcnt(0)
	s_cselect_b32 s7, s19, s20
	s_add_i32 s0, s7, 1
	s_lshr_b32 s1, s0, 31
	s_add_i32 s0, s0, s1
	s_lshl_b32 s0, s0, 1
	v_lshlrev_b32_e32 v1, 4, v0
	s_and_b32 s10, s0, -4
	v_cmp_gt_i32_e64 s[2:3], s7, v1
	v_mov_b32_e32 v18, 0
	v_mov_b32_e32 v6, 0
	;; [unrolled: 1-line block ×17, first 2 shown]
	s_and_saveexec_b64 s[0:1], s[2:3]
	s_cbranch_execz .LBB688_3
; %bb.2:
	s_load_dwordx2 s[8:9], s[4:5], 0x28
	s_load_dwordx2 s[26:27], s[4:5], 0x40
	s_and_b64 s[24:25], vcc, exec
	s_cselect_b32 s11, s21, s22
	v_lshlrev_b32_e32 v19, 5, v0
	s_waitcnt lgkmcnt(0)
	s_cselect_b32 s18, s9, s31
	s_cselect_b32 s21, s8, s30
	s_mul_hi_i32 s9, s11, s6
	s_mul_i32 s8, s11, s6
	s_lshl_b64 s[8:9], s[8:9], 1
	s_add_u32 s24, s21, s8
	s_addc_u32 s18, s18, s9
	s_and_b64 s[8:9], vcc, exec
	s_mov_b32 s11, 0x20000
	s_cselect_b32 s8, s26, s12
	s_cselect_b32 s9, s27, s13
	s_and_b32 s25, s18, 0xffff
	s_mov_b32 s26, s10
	s_mov_b32 s27, s11
	s_and_b32 s9, s9, 0xffff
	buffer_load_dwordx4 v[14:17], v19, s[24:27], 0 offen
	buffer_load_dwordx4 v[10:13], v19, s[24:27], 16 offen
	;; [unrolled: 1-line block ×4, first 2 shown]
.LBB688_3:
	s_or_b64 exec, exec, s[0:1]
	v_mov_b32_e32 v19, 0
	v_mov_b32_e32 v24, 0
	;; [unrolled: 1-line block ×15, first 2 shown]
	s_and_saveexec_b64 s[0:1], s[2:3]
	s_cbranch_execz .LBB688_5
; %bb.4:
	s_waitcnt vmcnt(3)
	v_cvt_f32_u32_sdwa v18, v14 dst_sel:DWORD dst_unused:UNUSED_PAD src0_sel:WORD_0
	v_cvt_f32_u32_sdwa v19, v14 dst_sel:DWORD dst_unused:UNUSED_PAD src0_sel:WORD_1
	v_cvt_f32_u32_sdwa v24, v15 dst_sel:DWORD dst_unused:UNUSED_PAD src0_sel:WORD_0
	v_cvt_f32_u32_sdwa v25, v15 dst_sel:DWORD dst_unused:UNUSED_PAD src0_sel:WORD_1
	;; [unrolled: 2-line block ×4, first 2 shown]
	s_waitcnt vmcnt(2)
	v_cvt_f32_u32_sdwa v32, v10 dst_sel:DWORD dst_unused:UNUSED_PAD src0_sel:WORD_0
	v_cvt_f32_u32_sdwa v33, v10 dst_sel:DWORD dst_unused:UNUSED_PAD src0_sel:WORD_1
	v_cvt_f32_u32_sdwa v30, v11 dst_sel:DWORD dst_unused:UNUSED_PAD src0_sel:WORD_0
	v_cvt_f32_u32_sdwa v31, v11 dst_sel:DWORD dst_unused:UNUSED_PAD src0_sel:WORD_1
	;; [unrolled: 2-line block ×4, first 2 shown]
.LBB688_5:
	s_or_b64 exec, exec, s[0:1]
	s_waitcnt vmcnt(2)
	v_mul_f32_e32 v10, v19, v19
	v_fmac_f32_e32 v10, v18, v18
	v_fmac_f32_e32 v10, v24, v24
	;; [unrolled: 1-line block ×15, first 2 shown]
	v_and_b32_e32 v12, 63, v0
	v_cmp_eq_u32_e64 s[0:1], 63, v12
	v_mov_b32_dpp v11, v10 quad_perm:[1,0,3,2] row_mask:0xf bank_mask:0xf
	v_add_f32_e32 v10, v10, v11
	s_nop 1
	v_mov_b32_dpp v11, v10 quad_perm:[2,3,0,1] row_mask:0xf bank_mask:0xf
	v_add_f32_e32 v10, v10, v11
	s_nop 1
	v_mov_b32_dpp v11, v10 row_half_mirror row_mask:0xf bank_mask:0xf
	v_add_f32_e32 v10, v10, v11
	s_nop 1
	v_mov_b32_dpp v11, v10 row_mirror row_mask:0xf bank_mask:0xf
	v_add_f32_e32 v10, v10, v11
	s_nop 1
	v_mov_b32_dpp v11, v10 row_bcast:15 row_mask:0xf bank_mask:0xf
	v_add_f32_e32 v10, v10, v11
	s_nop 1
	v_mov_b32_dpp v11, v10 row_bcast:31 row_mask:0xf bank_mask:0xf
	s_and_saveexec_b64 s[8:9], s[0:1]
	s_cbranch_execz .LBB688_7
; %bb.6:
	v_add_f32_e32 v10, v10, v11
	v_lshrrev_b32_e32 v11, 4, v0
	v_and_b32_e32 v11, 60, v11
	ds_write_b32 v11, v10 offset:8
.LBB688_7:
	s_or_b64 exec, exec, s[8:9]
	v_and_b32_e32 v10, 1, v0
	v_lshlrev_b32_e32 v34, 2, v10
	s_waitcnt lgkmcnt(0)
	s_barrier
	ds_read_b32 v10, v34 offset:8
	s_load_dwordx2 s[28:29], s[4:5], 0x18
	s_waitcnt lgkmcnt(0)
	v_mov_b32_dpp v11, v10 quad_perm:[1,0,3,2] row_mask:0xf bank_mask:0xf
	s_and_saveexec_b64 s[8:9], s[2:3]
	s_cbranch_execz .LBB688_9
; %bb.8:
	v_cvt_f32_u32_e32 v12, s7
	v_add_f32_e32 v10, v10, v11
	v_mov_b32_e32 v14, s17
	v_mov_b32_e32 v15, s16
	v_div_scale_f32 v11, s[24:25], v12, v12, v10
	v_rcp_f32_e32 v13, v11
	v_cndmask_b32_e32 v14, v14, v15, vcc
	s_mov_b32 s7, 0x800000
	v_fma_f32 v15, -v11, v13, 1.0
	v_fmac_f32_e32 v13, v15, v13
	v_div_scale_f32 v15, vcc, v10, v12, v10
	v_mul_f32_e32 v16, v15, v13
	v_fma_f32 v17, -v11, v16, v15
	v_fmac_f32_e32 v16, v17, v13
	v_fma_f32 v11, -v11, v16, v15
	v_div_fmas_f32 v11, v11, v13, v16
	v_div_fixup_f32 v10, v11, v12, v10
	v_add_f32_e32 v10, v14, v10
	v_mul_f32_e32 v11, 0x4b800000, v10
	v_cmp_gt_f32_e32 vcc, s7, v10
	v_cndmask_b32_e32 v10, v10, v11, vcc
	v_rsq_f32_e32 v10, v10
	v_mul_f32_e32 v11, 0x45800000, v10
	v_cndmask_b32_e32 v10, v10, v11, vcc
	v_mov_b32_e32 v11, v10
	;;#ASMSTART
	v_pk_mul_f32 v[12:13], v[18:19], v[10:11]
	;;#ASMEND
	;;#ASMSTART
	v_pk_mul_f32 v[14:15], v[24:25], v[10:11]
	;;#ASMEND
	;; [unrolled: 3-line block ×8, first 2 shown]
	s_waitcnt vmcnt(1)
	v_cvt_f32_u32_sdwa v19, v6 dst_sel:DWORD dst_unused:UNUSED_PAD src0_sel:WORD_1
	v_cvt_f32_u32_sdwa v18, v6 dst_sel:DWORD dst_unused:UNUSED_PAD src0_sel:WORD_0
	v_cvt_f32_u32_sdwa v21, v7 dst_sel:DWORD dst_unused:UNUSED_PAD src0_sel:WORD_1
	v_cvt_f32_u32_sdwa v20, v7 dst_sel:DWORD dst_unused:UNUSED_PAD src0_sel:WORD_0
	;; [unrolled: 2-line block ×4, first 2 shown]
	;;#ASMSTART
	v_pk_mul_f32 v[18:19], v[12:13], v[18:19]
	;;#ASMEND
	;;#ASMSTART
	v_pk_mul_f32 v[24:25], v[14:15], v[20:21]
	;;#ASMEND
	;; [unrolled: 3-line block ×4, first 2 shown]
	s_waitcnt vmcnt(0)
	v_cvt_f32_u32_sdwa v7, v2 dst_sel:DWORD dst_unused:UNUSED_PAD src0_sel:WORD_1
	v_cvt_f32_u32_sdwa v6, v2 dst_sel:DWORD dst_unused:UNUSED_PAD src0_sel:WORD_0
	v_cvt_f32_u32_sdwa v9, v3 dst_sel:DWORD dst_unused:UNUSED_PAD src0_sel:WORD_1
	v_cvt_f32_u32_sdwa v8, v3 dst_sel:DWORD dst_unused:UNUSED_PAD src0_sel:WORD_0
	;; [unrolled: 2-line block ×4, first 2 shown]
	;;#ASMSTART
	v_pk_mul_f32 v[32:33], v[32:33], v[6:7]
	;;#ASMEND
	;;#ASMSTART
	v_pk_mul_f32 v[30:31], v[30:31], v[8:9]
	;;#ASMEND
	;;#ASMSTART
	v_pk_mul_f32 v[26:27], v[26:27], v[2:3]
	;;#ASMEND
	;;#ASMSTART
	v_pk_mul_f32 v[28:29], v[10:11], v[12:13]
	;;#ASMEND
.LBB688_9:
	s_or_b64 exec, exec, s[8:9]
	s_load_dword s7, s[4:5], 0x80
	s_mov_b64 s[8:9], -1
	s_and_b64 vcc, exec, s[14:15]
	s_cbranch_vccnz .LBB688_13
; %bb.10:
	s_andn2_b64 vcc, exec, s[8:9]
	s_cbranch_vccz .LBB688_16
.LBB688_11:
	s_cmp_lt_i32 s20, 1
	s_cbranch_scc0 .LBB688_25
.LBB688_12:
	s_endpgm
.LBB688_13:
	s_and_saveexec_b64 s[14:15], s[2:3]
	s_cbranch_execz .LBB688_15
; %bb.14:
	s_waitcnt lgkmcnt(0)
	s_mul_hi_i32 s9, s7, s6
	s_mul_i32 s8, s7, s6
	s_lshl_b64 s[8:9], s[8:9], 1
	s_add_u32 s8, s28, s8
	s_addc_u32 s9, s29, s9
	s_mov_b32 s16, 0x7060302
	s_and_b32 s9, s9, 0xffff
	s_mov_b32 s11, 0x20000
	s_waitcnt vmcnt(0)
	v_perm_b32 v5, v23, v22, s16
	v_perm_b32 v4, v21, v20, s16
	;; [unrolled: 1-line block ×4, first 2 shown]
	v_lshlrev_b32_e32 v6, 5, v0
	buffer_store_dwordx4 v[2:5], v6, s[8:11], 0 offen
	;;#ASMSTART
	s_nop 0
	;;#ASMEND
	s_nop 0
	v_perm_b32 v5, v29, v28, s16
	v_perm_b32 v4, v27, v26, s16
	;; [unrolled: 1-line block ×4, first 2 shown]
	buffer_store_dwordx4 v[2:5], v6, s[8:11], 16 offen
	;;#ASMSTART
	s_nop 0
	;;#ASMEND
.LBB688_15:
	s_or_b64 exec, exec, s[14:15]
	s_cbranch_execnz .LBB688_11
.LBB688_16:
	s_load_dwordx4 s[24:27], s[4:5], 0x70
	s_waitcnt vmcnt(0)
	v_mov_b32_e32 v2, 0
	s_and_saveexec_b64 s[14:15], s[2:3]
	s_cbranch_execz .LBB688_18
; %bb.17:
	s_load_dwordx2 s[8:9], s[4:5], 0x10
	s_waitcnt lgkmcnt(0)
	s_mul_hi_i32 s35, s27, s6
	s_mul_i32 s34, s27, s6
	s_lshl_b64 s[34:35], s[34:35], 1
	s_mov_b32 s16, 0x7060302
	s_add_u32 s8, s8, s34
	s_addc_u32 s9, s9, s35
	s_mov_b32 s11, 0x20000
	s_and_b32 s9, s9, 0xffff
	v_perm_b32 v5, v23, v22, s16
	v_perm_b32 v4, v21, v20, s16
	;; [unrolled: 1-line block ×4, first 2 shown]
	v_lshlrev_b32_e32 v6, 5, v0
	buffer_store_dwordx4 v[2:5], v6, s[8:11], 0 offen
	;;#ASMSTART
	s_nop 0
	;;#ASMEND
	s_nop 0
	v_perm_b32 v5, v29, v28, s16
	v_perm_b32 v4, v27, v26, s16
	;; [unrolled: 1-line block ×4, first 2 shown]
	buffer_store_dwordx4 v[2:5], v6, s[8:11], 16 offen
	;;#ASMSTART
	s_nop 0
	;;#ASMEND
	s_nop 0
	v_mov_b32_e32 v2, 0x2edbe6ff
.LBB688_18:
	s_or_b64 exec, exec, s[14:15]
	s_and_saveexec_b64 s[8:9], s[2:3]
	s_cbranch_execz .LBB688_20
; %bb.19:
	v_and_b32_e32 v3, 0x7fffffff, v18
	v_and_b32_e32 v4, 0x7fffffff, v19
	;;#ASMSTART
	v_max3_f32 v2, v2, v3, v4

	;;#ASMEND
	v_and_b32_e32 v3, 0x7fffffff, v24
	v_and_b32_e32 v4, 0x7fffffff, v25
	;;#ASMSTART
	v_max3_f32 v2, v2, v3, v4

	;;#ASMEND
	;; [unrolled: 6-line block ×8, first 2 shown]
.LBB688_20:
	s_or_b64 exec, exec, s[8:9]
	;;#ASMSTART
	v_max_f32 v3, v2, v2 quad_perm:[1,0,3,2] row_mask:0xf bank_mask:0xf bound_ctrl:1
	;;#ASMEND
	;;#ASMSTART
	v_max_f32 v2, v3, v3 quad_perm:[2,3,0,1] row_mask:0xf bank_mask:0xf bound_ctrl:1
	;;#ASMEND
	v_and_b32_e32 v3, 3, v0
	v_cmp_eq_u32_e32 vcc, 0, v3
	v_cmp_gt_i32_e64 s[8:9], s19, v1
	s_and_b64 s[10:11], vcc, s[8:9]
	s_and_saveexec_b64 s[8:9], s[10:11]
	s_cbranch_execz .LBB688_22
; %bb.21:
	s_load_dwordx2 s[10:11], s[4:5], 0x8
	v_mul_f32_e32 v2, 0x3e2aaaab, v2
	v_lshrrev_b32_e32 v3, 23, v2
	v_and_b32_e32 v4, 0x7f800000, v2
	v_and_b32_e32 v2, 0x7fffff, v2
	v_cmp_ne_u32_e32 vcc, 0, v2
	s_waitcnt lgkmcnt(0)
	s_mul_i32 s16, s25, s6
	s_mov_b32 s14, 0x7f800000
	v_addc_co_u32_e32 v2, vcc, 0, v3, vcc
	s_mul_hi_i32 s15, s25, s6
	s_add_u32 s10, s10, s16
	v_cmp_ne_u32_e32 vcc, s14, v4
	s_addc_u32 s11, s11, s15
	v_lshrrev_b32_e32 v5, 2, v0
	v_cndmask_b32_e32 v4, -1, v2, vcc
	v_pk_mov_b32 v[2:3], s[10:11], s[10:11] op_sel:[0,1]
	v_mad_i64_i32 v[2:3], s[10:11], s26, v5, v[2:3]
	global_store_byte v[2:3], v4, off
.LBB688_22:
	s_or_b64 exec, exec, s[8:9]
	s_and_saveexec_b64 s[8:9], s[2:3]
	s_cbranch_execz .LBB688_24
; %bb.23:
	s_load_dwordx2 s[2:3], s[4:5], 0x0
	s_waitcnt lgkmcnt(0)
	s_mul_i32 s11, s24, s6
	s_mul_hi_i32 s10, s24, s6
	v_mov_b32_e32 v2, 0
	v_lshlrev_b32_e32 v4, 3, v0
	s_add_u32 s24, s2, s11
	s_addc_u32 s2, s3, s10
	s_lshr_b32 s3, s19, 31
	s_add_i32 s3, s19, s3
	s_ashr_i32 s3, s3, 1
	s_add_i32 s3, s3, 3
	s_ashr_i32 s10, s3, 31
	s_lshr_b32 s10, s10, 30
	s_add_i32 s3, s3, s10
	s_and_b32 s26, s3, -4
	s_and_b32 s25, s2, 0xffff
	s_mov_b32 s27, 0x20000
	v_mov_b32_e32 v3, v2
	buffer_store_dwordx2 v[2:3], v4, s[24:27], 0 offen
	;;#ASMSTART
	s_nop 0
	;;#ASMEND
.LBB688_24:
	s_or_b64 exec, exec, s[8:9]
	s_cmp_lt_i32 s20, 1
	s_cbranch_scc1 .LBB688_12
.LBB688_25:
	s_load_dword s2, s[4:5], 0x94
	s_waitcnt lgkmcnt(0)
	s_cmp_lg_u32 s2, 1
	s_cbranch_scc1 .LBB688_12
; %bb.26:
	s_lshl_b32 s2, s20, 1
	s_add_i32 s2, s2, 2
	v_cmp_gt_u32_e32 vcc, s20, v1
	s_and_b32 s14, s2, -4
	v_mov_b32_e32 v18, 0
	v_lshlrev_b32_e32 v1, 5, v0
	v_mov_b32_e32 v14, 0
	v_mov_b32_e32 v15, 0
	;; [unrolled: 1-line block ×8, first 2 shown]
	s_waitcnt vmcnt(1)
	v_mov_b32_e32 v6, 0
	v_mov_b32_e32 v7, 0
	;; [unrolled: 1-line block ×4, first 2 shown]
	s_waitcnt vmcnt(0)
	v_mov_b32_e32 v2, 0
	v_mov_b32_e32 v3, 0
	;; [unrolled: 1-line block ×4, first 2 shown]
	s_barrier
	s_and_saveexec_b64 s[2:3], vcc
	s_cbranch_execz .LBB688_28
; %bb.27:
	s_mul_hi_i32 s5, s22, s6
	s_mul_i32 s4, s22, s6
	s_and_b32 s13, s13, 0xffff
	s_lshl_b64 s[4:5], s[4:5], 1
	s_add_u32 s8, s30, s4
	s_mov_b32 s15, 0x20000
	s_addc_u32 s4, s31, s5
	s_and_b32 s9, s4, 0xffff
	s_mov_b32 s10, s14
	s_mov_b32 s11, s15
	buffer_load_dwordx4 v[14:17], v1, s[8:11], 0 offen
	buffer_load_dwordx4 v[10:13], v1, s[8:11], 16 offen
	;; [unrolled: 1-line block ×4, first 2 shown]
.LBB688_28:
	s_or_b64 exec, exec, s[2:3]
	v_mov_b32_e32 v19, 0
	v_mov_b32_e32 v32, 0
	;; [unrolled: 1-line block ×15, first 2 shown]
	s_and_saveexec_b64 s[2:3], vcc
	s_cbranch_execz .LBB688_30
; %bb.29:
	s_waitcnt vmcnt(3)
	v_cvt_f32_u32_sdwa v18, v14 dst_sel:DWORD dst_unused:UNUSED_PAD src0_sel:WORD_0
	v_cvt_f32_u32_sdwa v19, v14 dst_sel:DWORD dst_unused:UNUSED_PAD src0_sel:WORD_1
	v_cvt_f32_u32_sdwa v32, v15 dst_sel:DWORD dst_unused:UNUSED_PAD src0_sel:WORD_0
	v_cvt_f32_u32_sdwa v33, v15 dst_sel:DWORD dst_unused:UNUSED_PAD src0_sel:WORD_1
	;; [unrolled: 2-line block ×4, first 2 shown]
	s_waitcnt vmcnt(2)
	v_cvt_f32_u32_sdwa v26, v10 dst_sel:DWORD dst_unused:UNUSED_PAD src0_sel:WORD_0
	v_cvt_f32_u32_sdwa v27, v10 dst_sel:DWORD dst_unused:UNUSED_PAD src0_sel:WORD_1
	v_cvt_f32_u32_sdwa v24, v11 dst_sel:DWORD dst_unused:UNUSED_PAD src0_sel:WORD_0
	v_cvt_f32_u32_sdwa v25, v11 dst_sel:DWORD dst_unused:UNUSED_PAD src0_sel:WORD_1
	;; [unrolled: 2-line block ×4, first 2 shown]
.LBB688_30:
	s_or_b64 exec, exec, s[2:3]
	s_waitcnt vmcnt(2)
	v_mul_f32_e32 v10, v19, v19
	v_fmac_f32_e32 v10, v18, v18
	v_fmac_f32_e32 v10, v32, v32
	;; [unrolled: 1-line block ×15, first 2 shown]
	s_nop 1
	v_mov_b32_dpp v11, v10 quad_perm:[1,0,3,2] row_mask:0xf bank_mask:0xf
	v_add_f32_e32 v10, v10, v11
	s_nop 1
	v_mov_b32_dpp v11, v10 quad_perm:[2,3,0,1] row_mask:0xf bank_mask:0xf
	v_add_f32_e32 v10, v10, v11
	s_nop 1
	v_mov_b32_dpp v11, v10 row_half_mirror row_mask:0xf bank_mask:0xf
	v_add_f32_e32 v10, v10, v11
	s_nop 1
	v_mov_b32_dpp v11, v10 row_mirror row_mask:0xf bank_mask:0xf
	v_add_f32_e32 v10, v10, v11
	s_nop 1
	v_mov_b32_dpp v11, v10 row_bcast:15 row_mask:0xf bank_mask:0xf
	v_add_f32_e32 v10, v10, v11
	s_nop 1
	v_mov_b32_dpp v11, v10 row_bcast:31 row_mask:0xf bank_mask:0xf
	s_and_saveexec_b64 s[2:3], s[0:1]
	s_cbranch_execz .LBB688_32
; %bb.31:
	v_lshrrev_b32_e32 v0, 4, v0
	v_add_f32_e32 v10, v10, v11
	v_and_b32_e32 v0, 60, v0
	ds_write_b32 v0, v10
.LBB688_32:
	s_or_b64 exec, exec, s[2:3]
	s_waitcnt lgkmcnt(0)
	s_barrier
	ds_read_b32 v0, v34
	s_waitcnt lgkmcnt(0)
	s_nop 0
	v_mov_b32_dpp v10, v0 quad_perm:[1,0,3,2] row_mask:0xf bank_mask:0xf
	s_and_saveexec_b64 s[0:1], vcc
	s_cbranch_execz .LBB688_12
; %bb.33:
	v_cvt_f32_u32_e32 v11, s20
	v_add_f32_e32 v0, v0, v10
	s_mov_b32 s15, 0x20000
	v_div_scale_f32 v10, s[0:1], v11, v11, v0
	v_rcp_f32_e32 v12, v10
	v_div_scale_f32 v13, vcc, v0, v11, v0
	s_mov_b32 s0, 0x800000
	v_fma_f32 v14, -v10, v12, 1.0
	v_fmac_f32_e32 v12, v14, v12
	v_mul_f32_e32 v14, v13, v12
	v_fma_f32 v15, -v10, v14, v13
	v_fmac_f32_e32 v14, v15, v12
	v_fma_f32 v10, -v10, v14, v13
	v_div_fmas_f32 v10, v10, v12, v14
	v_div_fixup_f32 v0, v10, v11, v0
	v_add_f32_e32 v0, s17, v0
	v_mul_f32_e32 v10, 0x4b800000, v0
	v_cmp_gt_f32_e32 vcc, s0, v0
	v_cndmask_b32_e32 v0, v0, v10, vcc
	v_rsq_f32_e32 v0, v0
	s_mul_hi_i32 s1, s7, s6
	s_mul_i32 s0, s7, s6
	s_lshl_b64 s[0:1], s[0:1], 1
	v_mul_f32_e32 v10, 0x45800000, v0
	v_cndmask_b32_e32 v10, v0, v10, vcc
	v_mov_b32_e32 v11, v10
	s_add_u32 s12, s28, s0
	;;#ASMSTART
	v_pk_mul_f32 v[12:13], v[18:19], v[10:11]
	;;#ASMEND
	;;#ASMSTART
	v_pk_mul_f32 v[14:15], v[32:33], v[10:11]
	;;#ASMEND
	;; [unrolled: 3-line block ×8, first 2 shown]
	s_waitcnt vmcnt(1)
	v_cvt_f32_u32_sdwa v21, v6 dst_sel:DWORD dst_unused:UNUSED_PAD src0_sel:WORD_1
	v_cvt_f32_u32_sdwa v20, v6 dst_sel:DWORD dst_unused:UNUSED_PAD src0_sel:WORD_0
	v_cvt_f32_u32_sdwa v29, v7 dst_sel:DWORD dst_unused:UNUSED_PAD src0_sel:WORD_1
	v_cvt_f32_u32_sdwa v28, v7 dst_sel:DWORD dst_unused:UNUSED_PAD src0_sel:WORD_0
	;; [unrolled: 2-line block ×3, first 2 shown]
	s_addc_u32 s0, s29, s1
	v_cvt_f32_u32_sdwa v31, v9 dst_sel:DWORD dst_unused:UNUSED_PAD src0_sel:WORD_1
	v_cvt_f32_u32_sdwa v30, v9 dst_sel:DWORD dst_unused:UNUSED_PAD src0_sel:WORD_0
	;;#ASMSTART
	v_pk_mul_f32 v[8:9], v[12:13], v[20:21]
	;;#ASMEND
	;;#ASMSTART
	v_pk_mul_f32 v[12:13], v[14:15], v[28:29]
	;;#ASMEND
	;;#ASMSTART
	v_pk_mul_f32 v[6:7], v[16:17], v[6:7]
	;;#ASMEND
	;;#ASMSTART
	v_pk_mul_f32 v[14:15], v[18:19], v[30:31]
	;;#ASMEND
	s_waitcnt vmcnt(0)
	v_cvt_f32_u32_sdwa v17, v2 dst_sel:DWORD dst_unused:UNUSED_PAD src0_sel:WORD_1
	v_cvt_f32_u32_sdwa v16, v2 dst_sel:DWORD dst_unused:UNUSED_PAD src0_sel:WORD_0
	v_cvt_f32_u32_sdwa v19, v3 dst_sel:DWORD dst_unused:UNUSED_PAD src0_sel:WORD_1
	v_cvt_f32_u32_sdwa v18, v3 dst_sel:DWORD dst_unused:UNUSED_PAD src0_sel:WORD_0
	;; [unrolled: 2-line block ×3, first 2 shown]
	s_and_b32 s13, s0, 0xffff
	s_mov_b32 s0, 0x7060302
	v_cvt_f32_u32_sdwa v21, v5 dst_sel:DWORD dst_unused:UNUSED_PAD src0_sel:WORD_1
	v_cvt_f32_u32_sdwa v20, v5 dst_sel:DWORD dst_unused:UNUSED_PAD src0_sel:WORD_0
	;;#ASMSTART
	v_pk_mul_f32 v[16:17], v[26:27], v[16:17]
	;;#ASMEND
	;;#ASMSTART
	v_pk_mul_f32 v[18:19], v[24:25], v[18:19]
	;;#ASMEND
	;; [unrolled: 3-line block ×3, first 2 shown]
	v_perm_b32 v2, v9, v8, s0
	v_perm_b32 v3, v13, v12, s0
	;; [unrolled: 1-line block ×4, first 2 shown]
	;;#ASMSTART
	v_pk_mul_f32 v[10:11], v[10:11], v[20:21]
	;;#ASMEND
	buffer_store_dwordx4 v[2:5], v1, s[12:15], 0 offen
	;;#ASMSTART
	s_nop 0
	;;#ASMEND
	s_nop 0
	v_perm_b32 v2, v17, v16, s0
	v_perm_b32 v3, v19, v18, s0
	;; [unrolled: 1-line block ×4, first 2 shown]
	buffer_store_dwordx4 v[2:5], v1, s[12:15], 16 offen
	;;#ASMSTART
	s_nop 0
	;;#ASMEND
	s_endpgm
	.section	.rodata,"a",@progbits
	.p2align	6, 0x0
	.amdhsa_kernel _ZN5aiter35fused_qk_rmsnorm_group_quant_kernelItN4opus5fp4_tELi128ELi16ELi4ELb0ELb1ELb0ELb0ELb0ELb0EEEvPT0_PvPT_S7_S7_PKS6_S9_S9_S9_S9_ffiiiiiiiiiiiii
		.amdhsa_group_segment_fixed_size 16
		.amdhsa_private_segment_fixed_size 0
		.amdhsa_kernarg_size 400
		.amdhsa_user_sgpr_count 6
		.amdhsa_user_sgpr_private_segment_buffer 1
		.amdhsa_user_sgpr_dispatch_ptr 0
		.amdhsa_user_sgpr_queue_ptr 0
		.amdhsa_user_sgpr_kernarg_segment_ptr 1
		.amdhsa_user_sgpr_dispatch_id 0
		.amdhsa_user_sgpr_flat_scratch_init 0
		.amdhsa_user_sgpr_kernarg_preload_length 0
		.amdhsa_user_sgpr_kernarg_preload_offset 0
		.amdhsa_user_sgpr_private_segment_size 0
		.amdhsa_uses_dynamic_stack 0
		.amdhsa_system_sgpr_private_segment_wavefront_offset 0
		.amdhsa_system_sgpr_workgroup_id_x 1
		.amdhsa_system_sgpr_workgroup_id_y 1
		.amdhsa_system_sgpr_workgroup_id_z 0
		.amdhsa_system_sgpr_workgroup_info 0
		.amdhsa_system_vgpr_workitem_id 0
		.amdhsa_next_free_vgpr 35
		.amdhsa_next_free_sgpr 36
		.amdhsa_accum_offset 36
		.amdhsa_reserve_vcc 1
		.amdhsa_reserve_flat_scratch 0
		.amdhsa_float_round_mode_32 0
		.amdhsa_float_round_mode_16_64 0
		.amdhsa_float_denorm_mode_32 3
		.amdhsa_float_denorm_mode_16_64 3
		.amdhsa_dx10_clamp 1
		.amdhsa_ieee_mode 1
		.amdhsa_fp16_overflow 0
		.amdhsa_tg_split 0
		.amdhsa_exception_fp_ieee_invalid_op 0
		.amdhsa_exception_fp_denorm_src 0
		.amdhsa_exception_fp_ieee_div_zero 0
		.amdhsa_exception_fp_ieee_overflow 0
		.amdhsa_exception_fp_ieee_underflow 0
		.amdhsa_exception_fp_ieee_inexact 0
		.amdhsa_exception_int_div_zero 0
	.end_amdhsa_kernel
	.section	.text._ZN5aiter35fused_qk_rmsnorm_group_quant_kernelItN4opus5fp4_tELi128ELi16ELi4ELb0ELb1ELb0ELb0ELb0ELb0EEEvPT0_PvPT_S7_S7_PKS6_S9_S9_S9_S9_ffiiiiiiiiiiiii,"axG",@progbits,_ZN5aiter35fused_qk_rmsnorm_group_quant_kernelItN4opus5fp4_tELi128ELi16ELi4ELb0ELb1ELb0ELb0ELb0ELb0EEEvPT0_PvPT_S7_S7_PKS6_S9_S9_S9_S9_ffiiiiiiiiiiiii,comdat
.Lfunc_end688:
	.size	_ZN5aiter35fused_qk_rmsnorm_group_quant_kernelItN4opus5fp4_tELi128ELi16ELi4ELb0ELb1ELb0ELb0ELb0ELb0EEEvPT0_PvPT_S7_S7_PKS6_S9_S9_S9_S9_ffiiiiiiiiiiiii, .Lfunc_end688-_ZN5aiter35fused_qk_rmsnorm_group_quant_kernelItN4opus5fp4_tELi128ELi16ELi4ELb0ELb1ELb0ELb0ELb0ELb0EEEvPT0_PvPT_S7_S7_PKS6_S9_S9_S9_S9_ffiiiiiiiiiiiii
                                        ; -- End function
	.section	.AMDGPU.csdata,"",@progbits
; Kernel info:
; codeLenInByte = 3280
; NumSgprs: 40
; NumVgprs: 35
; NumAgprs: 0
; TotalNumVgprs: 35
; ScratchSize: 0
; MemoryBound: 0
; FloatMode: 240
; IeeeMode: 1
; LDSByteSize: 16 bytes/workgroup (compile time only)
; SGPRBlocks: 4
; VGPRBlocks: 4
; NumSGPRsForWavesPerEU: 40
; NumVGPRsForWavesPerEU: 35
; AccumOffset: 36
; Occupancy: 8
; WaveLimiterHint : 0
; COMPUTE_PGM_RSRC2:SCRATCH_EN: 0
; COMPUTE_PGM_RSRC2:USER_SGPR: 6
; COMPUTE_PGM_RSRC2:TRAP_HANDLER: 0
; COMPUTE_PGM_RSRC2:TGID_X_EN: 1
; COMPUTE_PGM_RSRC2:TGID_Y_EN: 1
; COMPUTE_PGM_RSRC2:TGID_Z_EN: 0
; COMPUTE_PGM_RSRC2:TIDIG_COMP_CNT: 0
; COMPUTE_PGM_RSRC3_GFX90A:ACCUM_OFFSET: 8
; COMPUTE_PGM_RSRC3_GFX90A:TG_SPLIT: 0
	.section	.text._ZN5aiter35fused_qk_rmsnorm_group_quant_kernelIDF16_DB8_Li128ELi16ELi4ELb0ELb0ELb1ELb0ELb0ELb0EEEvPT0_PvPT_S6_S6_PKS5_S8_S8_S8_S8_ffiiiiiiiiiiiii,"axG",@progbits,_ZN5aiter35fused_qk_rmsnorm_group_quant_kernelIDF16_DB8_Li128ELi16ELi4ELb0ELb0ELb1ELb0ELb0ELb0EEEvPT0_PvPT_S6_S6_PKS5_S8_S8_S8_S8_ffiiiiiiiiiiiii,comdat
	.protected	_ZN5aiter35fused_qk_rmsnorm_group_quant_kernelIDF16_DB8_Li128ELi16ELi4ELb0ELb0ELb1ELb0ELb0ELb0EEEvPT0_PvPT_S6_S6_PKS5_S8_S8_S8_S8_ffiiiiiiiiiiiii ; -- Begin function _ZN5aiter35fused_qk_rmsnorm_group_quant_kernelIDF16_DB8_Li128ELi16ELi4ELb0ELb0ELb1ELb0ELb0ELb0EEEvPT0_PvPT_S6_S6_PKS5_S8_S8_S8_S8_ffiiiiiiiiiiiii
	.globl	_ZN5aiter35fused_qk_rmsnorm_group_quant_kernelIDF16_DB8_Li128ELi16ELi4ELb0ELb0ELb1ELb0ELb0ELb0EEEvPT0_PvPT_S6_S6_PKS5_S8_S8_S8_S8_ffiiiiiiiiiiiii
	.p2align	8
	.type	_ZN5aiter35fused_qk_rmsnorm_group_quant_kernelIDF16_DB8_Li128ELi16ELi4ELb0ELb0ELb1ELb0ELb0ELb0EEEvPT0_PvPT_S6_S6_PKS5_S8_S8_S8_S8_ffiiiiiiiiiiiii,@function
_ZN5aiter35fused_qk_rmsnorm_group_quant_kernelIDF16_DB8_Li128ELi16ELi4ELb0ELb0ELb1ELb0ELb0ELb0EEEvPT0_PvPT_S6_S6_PKS5_S8_S8_S8_S8_ffiiiiiiiiiiiii: ; @_ZN5aiter35fused_qk_rmsnorm_group_quant_kernelIDF16_DB8_Li128ELi16ELi4ELb0ELb0ELb1ELb0ELb0ELb0EEEvPT0_PvPT_S6_S6_PKS5_S8_S8_S8_S8_ffiiiiiiiiiiiii
; %bb.0:
	s_load_dwordx4 s[16:19], s[4:5], 0x50
	s_waitcnt lgkmcnt(0)
	s_cmp_ge_i32 s6, s18
	s_cbranch_scc1 .LBB689_12
; %bb.1:
	s_load_dwordx2 s[12:13], s[4:5], 0x48
	s_load_dwordx2 s[30:31], s[4:5], 0x30
	s_load_dwordx4 s[20:23], s[4:5], 0x60
	s_cmp_lg_u32 s7, 0
	s_cselect_b64 s[14:15], -1, 0
	s_cmp_eq_u32 s7, 0
	s_cselect_b64 vcc, -1, 0
	s_and_b64 s[0:1], vcc, exec
	s_waitcnt lgkmcnt(0)
	s_cselect_b32 s7, s19, s20
	s_add_i32 s0, s7, 1
	s_lshr_b32 s1, s0, 31
	s_add_i32 s0, s0, s1
	s_lshl_b32 s0, s0, 1
	v_lshlrev_b32_e32 v1, 4, v0
	s_and_b32 s10, s0, -4
	v_cmp_gt_i32_e64 s[2:3], s7, v1
	v_mov_b32_e32 v18, 0
	v_mov_b32_e32 v6, 0
	;; [unrolled: 1-line block ×17, first 2 shown]
	s_and_saveexec_b64 s[0:1], s[2:3]
	s_cbranch_execz .LBB689_3
; %bb.2:
	s_load_dwordx2 s[8:9], s[4:5], 0x28
	s_load_dwordx2 s[26:27], s[4:5], 0x40
	s_and_b64 s[24:25], vcc, exec
	s_cselect_b32 s11, s21, s22
	v_lshlrev_b32_e32 v19, 5, v0
	s_waitcnt lgkmcnt(0)
	s_cselect_b32 s18, s9, s31
	s_cselect_b32 s21, s8, s30
	s_mul_hi_i32 s9, s11, s6
	s_mul_i32 s8, s11, s6
	s_lshl_b64 s[8:9], s[8:9], 1
	s_add_u32 s24, s21, s8
	s_addc_u32 s18, s18, s9
	s_and_b64 s[8:9], vcc, exec
	s_mov_b32 s11, 0x20000
	s_cselect_b32 s8, s26, s12
	s_cselect_b32 s9, s27, s13
	s_and_b32 s25, s18, 0xffff
	s_mov_b32 s26, s10
	s_mov_b32 s27, s11
	s_and_b32 s9, s9, 0xffff
	buffer_load_dwordx4 v[14:17], v19, s[24:27], 0 offen
	buffer_load_dwordx4 v[10:13], v19, s[24:27], 16 offen
	;; [unrolled: 1-line block ×4, first 2 shown]
.LBB689_3:
	s_or_b64 exec, exec, s[0:1]
	v_mov_b32_e32 v19, 0
	v_mov_b32_e32 v32, 0
	;; [unrolled: 1-line block ×15, first 2 shown]
	s_and_saveexec_b64 s[0:1], s[2:3]
	s_cbranch_execz .LBB689_5
; %bb.4:
	s_waitcnt vmcnt(3)
	v_cvt_f32_f16_sdwa v19, v14 dst_sel:DWORD dst_unused:UNUSED_PAD src0_sel:WORD_1
	v_cvt_f32_f16_e32 v18, v14
	v_cvt_f32_f16_sdwa v33, v15 dst_sel:DWORD dst_unused:UNUSED_PAD src0_sel:WORD_1
	v_cvt_f32_f16_e32 v32, v15
	;; [unrolled: 2-line block ×4, first 2 shown]
	s_waitcnt vmcnt(2)
	v_cvt_f32_f16_sdwa v25, v10 dst_sel:DWORD dst_unused:UNUSED_PAD src0_sel:WORD_1
	v_cvt_f32_f16_e32 v24, v10
	v_cvt_f32_f16_sdwa v29, v11 dst_sel:DWORD dst_unused:UNUSED_PAD src0_sel:WORD_1
	v_cvt_f32_f16_e32 v28, v11
	;; [unrolled: 2-line block ×4, first 2 shown]
.LBB689_5:
	s_or_b64 exec, exec, s[0:1]
	s_waitcnt vmcnt(2)
	v_mul_f32_e32 v10, v19, v19
	v_fmac_f32_e32 v10, v18, v18
	v_fmac_f32_e32 v10, v32, v32
	;; [unrolled: 1-line block ×15, first 2 shown]
	v_and_b32_e32 v12, 63, v0
	v_cmp_eq_u32_e64 s[0:1], 63, v12
	v_mov_b32_dpp v11, v10 quad_perm:[1,0,3,2] row_mask:0xf bank_mask:0xf
	v_add_f32_e32 v10, v10, v11
	s_nop 1
	v_mov_b32_dpp v11, v10 quad_perm:[2,3,0,1] row_mask:0xf bank_mask:0xf
	v_add_f32_e32 v10, v10, v11
	s_nop 1
	v_mov_b32_dpp v11, v10 row_half_mirror row_mask:0xf bank_mask:0xf
	v_add_f32_e32 v10, v10, v11
	s_nop 1
	v_mov_b32_dpp v11, v10 row_mirror row_mask:0xf bank_mask:0xf
	v_add_f32_e32 v10, v10, v11
	s_nop 1
	v_mov_b32_dpp v11, v10 row_bcast:15 row_mask:0xf bank_mask:0xf
	v_add_f32_e32 v10, v10, v11
	s_nop 1
	v_mov_b32_dpp v11, v10 row_bcast:31 row_mask:0xf bank_mask:0xf
	s_and_saveexec_b64 s[8:9], s[0:1]
	s_cbranch_execz .LBB689_7
; %bb.6:
	v_add_f32_e32 v10, v10, v11
	v_lshrrev_b32_e32 v11, 4, v0
	v_and_b32_e32 v11, 60, v11
	ds_write_b32 v11, v10 offset:8
.LBB689_7:
	s_or_b64 exec, exec, s[8:9]
	v_and_b32_e32 v10, 1, v0
	v_lshlrev_b32_e32 v34, 2, v10
	s_waitcnt lgkmcnt(0)
	s_barrier
	ds_read_b32 v10, v34 offset:8
	s_load_dwordx2 s[28:29], s[4:5], 0x18
	s_waitcnt lgkmcnt(0)
	v_mov_b32_dpp v11, v10 quad_perm:[1,0,3,2] row_mask:0xf bank_mask:0xf
	s_and_saveexec_b64 s[8:9], s[2:3]
	s_cbranch_execz .LBB689_9
; %bb.8:
	v_cvt_f32_u32_e32 v12, s7
	v_add_f32_e32 v10, v10, v11
	v_mov_b32_e32 v14, s17
	v_mov_b32_e32 v15, s16
	v_div_scale_f32 v11, s[24:25], v12, v12, v10
	v_rcp_f32_e32 v13, v11
	v_cndmask_b32_e32 v14, v14, v15, vcc
	s_mov_b32 s7, 0x800000
	v_fma_f32 v15, -v11, v13, 1.0
	v_fmac_f32_e32 v13, v15, v13
	v_div_scale_f32 v15, vcc, v10, v12, v10
	v_mul_f32_e32 v16, v15, v13
	v_fma_f32 v17, -v11, v16, v15
	v_fmac_f32_e32 v16, v17, v13
	v_fma_f32 v11, -v11, v16, v15
	v_div_fmas_f32 v11, v11, v13, v16
	v_div_fixup_f32 v10, v11, v12, v10
	v_add_f32_e32 v10, v14, v10
	v_mul_f32_e32 v11, 0x4b800000, v10
	v_cmp_gt_f32_e32 vcc, s7, v10
	v_cndmask_b32_e32 v10, v10, v11, vcc
	v_rsq_f32_e32 v10, v10
	v_mul_f32_e32 v11, 0x45800000, v10
	v_cndmask_b32_e32 v10, v10, v11, vcc
	v_mov_b32_e32 v11, v10
	;;#ASMSTART
	v_pk_mul_f32 v[12:13], v[18:19], v[10:11]
	;;#ASMEND
	s_waitcnt vmcnt(1)
	v_cvt_f32_f16_sdwa v19, v6 dst_sel:DWORD dst_unused:UNUSED_PAD src0_sel:WORD_1
	v_cvt_f32_f16_e32 v18, v6
	;;#ASMSTART
	v_pk_mul_f32 v[14:15], v[32:33], v[10:11]
	;;#ASMEND
	;;#ASMSTART
	v_pk_mul_f32 v[16:17], v[26:27], v[10:11]
	;;#ASMEND
	v_cvt_f32_f16_sdwa v27, v7 dst_sel:DWORD dst_unused:UNUSED_PAD src0_sel:WORD_1
	v_cvt_f32_f16_e32 v26, v7
	;;#ASMSTART
	v_pk_mul_f32 v[30:31], v[30:31], v[10:11]
	;;#ASMEND
	;;#ASMSTART
	v_pk_mul_f32 v[24:25], v[24:25], v[10:11]
	;;#ASMEND
	;; [unrolled: 3-line block ×5, first 2 shown]
	v_pk_add_f32 v[10:11], v[18:19], 1.0 op_sel_hi:[1,0]
	;;#ASMSTART
	v_pk_mul_f32 v[18:19], v[12:13], v[10:11]
	;;#ASMEND
	v_cvt_f32_f16_sdwa v13, v8 dst_sel:DWORD dst_unused:UNUSED_PAD src0_sel:WORD_1
	v_cvt_f32_f16_e32 v12, v8
	v_cvt_f32_f16_sdwa v21, v9 dst_sel:DWORD dst_unused:UNUSED_PAD src0_sel:WORD_1
	v_cvt_f32_f16_e32 v20, v9
	v_pk_add_f32 v[10:11], v[26:27], 1.0 op_sel_hi:[1,0]
	;;#ASMSTART
	v_pk_mul_f32 v[32:33], v[14:15], v[10:11]
	;;#ASMEND
	s_waitcnt vmcnt(0)
	v_cvt_f32_f16_sdwa v11, v2 dst_sel:DWORD dst_unused:UNUSED_PAD src0_sel:WORD_1
	v_cvt_f32_f16_e32 v10, v2
	v_pk_add_f32 v[8:9], v[12:13], 1.0 op_sel_hi:[1,0]
	;;#ASMSTART
	v_pk_mul_f32 v[26:27], v[16:17], v[8:9]
	;;#ASMEND
	v_pk_add_f32 v[8:9], v[20:21], 1.0 op_sel_hi:[1,0]
	v_cvt_f32_f16_sdwa v13, v3 dst_sel:DWORD dst_unused:UNUSED_PAD src0_sel:WORD_1
	v_cvt_f32_f16_e32 v12, v3
	;;#ASMSTART
	v_pk_mul_f32 v[30:31], v[30:31], v[8:9]
	;;#ASMEND
	v_cvt_f32_f16_sdwa v9, v4 dst_sel:DWORD dst_unused:UNUSED_PAD src0_sel:WORD_1
	v_cvt_f32_f16_e32 v8, v4
	v_pk_add_f32 v[2:3], v[10:11], 1.0 op_sel_hi:[1,0]
	v_cvt_f32_f16_sdwa v11, v5 dst_sel:DWORD dst_unused:UNUSED_PAD src0_sel:WORD_1
	v_cvt_f32_f16_e32 v10, v5
	;;#ASMSTART
	v_pk_mul_f32 v[24:25], v[24:25], v[2:3]
	;;#ASMEND
	v_pk_add_f32 v[2:3], v[12:13], 1.0 op_sel_hi:[1,0]
	;;#ASMSTART
	v_pk_mul_f32 v[28:29], v[28:29], v[2:3]
	;;#ASMEND
	v_pk_add_f32 v[2:3], v[8:9], 1.0 op_sel_hi:[1,0]
	;; [unrolled: 4-line block ×3, first 2 shown]
	;;#ASMSTART
	v_pk_mul_f32 v[20:21], v[6:7], v[2:3]
	;;#ASMEND
.LBB689_9:
	s_or_b64 exec, exec, s[8:9]
	s_load_dword s7, s[4:5], 0x80
	s_mov_b64 s[8:9], -1
	s_and_b64 vcc, exec, s[14:15]
	s_cbranch_vccnz .LBB689_13
; %bb.10:
	s_andn2_b64 vcc, exec, s[8:9]
	s_cbranch_vccz .LBB689_16
.LBB689_11:
	s_cmp_lt_i32 s20, 1
	s_cbranch_scc0 .LBB689_23
.LBB689_12:
	s_endpgm
.LBB689_13:
	s_and_saveexec_b64 s[14:15], s[2:3]
	s_cbranch_execz .LBB689_15
; %bb.14:
	s_waitcnt lgkmcnt(0)
	s_mul_hi_i32 s9, s7, s6
	s_mul_i32 s8, s7, s6
	s_waitcnt vmcnt(0)
	v_cvt_f16_f32_e32 v2, v18
	v_cvt_f16_f32_e32 v3, v32
	;; [unrolled: 1-line block ×8, first 2 shown]
	s_lshl_b64 s[8:9], s[8:9], 1
	s_add_u32 s8, s28, s8
	s_addc_u32 s9, s29, s9
	s_and_b32 s9, s9, 0xffff
	s_mov_b32 s11, 0x20000
	v_pack_b32_f16 v5, v5, v6
	v_pack_b32_f16 v4, v4, v7
	v_pack_b32_f16 v3, v3, v8
	v_pack_b32_f16 v2, v2, v9
	v_lshlrev_b32_e32 v6, 5, v0
	buffer_store_dwordx4 v[2:5], v6, s[8:11], 0 offen
	v_cvt_f16_f32_e32 v7, v21
	v_cvt_f16_f32_e32 v2, v24
	;; [unrolled: 1-line block ×8, first 2 shown]
	v_pack_b32_f16 v5, v5, v7
	v_pack_b32_f16 v4, v4, v8
	;; [unrolled: 1-line block ×4, first 2 shown]
	;;#ASMSTART
	s_nop 0
	;;#ASMEND
	buffer_store_dwordx4 v[2:5], v6, s[8:11], 16 offen
	;;#ASMSTART
	s_nop 0
	;;#ASMEND
.LBB689_15:
	s_or_b64 exec, exec, s[14:15]
	s_cbranch_execnz .LBB689_11
.LBB689_16:
	s_waitcnt vmcnt(0)
	v_mov_b32_e32 v2, 0
	s_and_saveexec_b64 s[8:9], s[2:3]
	s_cbranch_execz .LBB689_18
; %bb.17:
	v_and_b32_e32 v2, 0x7fffffff, v18
	v_and_b32_e32 v3, 0x7fffffff, v19
	v_mov_b32_e32 v4, 0x2edbe6ff
	;;#ASMSTART
	v_max3_f32 v2, v4, v2, v3

	;;#ASMEND
	v_and_b32_e32 v3, 0x7fffffff, v32
	v_and_b32_e32 v4, 0x7fffffff, v33
	;;#ASMSTART
	v_max3_f32 v2, v2, v3, v4

	;;#ASMEND
	v_and_b32_e32 v3, 0x7fffffff, v26
	v_and_b32_e32 v4, 0x7fffffff, v27
	;; [unrolled: 6-line block ×7, first 2 shown]
	;;#ASMSTART
	v_max3_f32 v2, v2, v3, v4

	;;#ASMEND
.LBB689_18:
	s_or_b64 exec, exec, s[8:9]
	s_load_dwordx4 s[24:27], s[4:5], 0x70
	;;#ASMSTART
	v_max_f32 v3, v2, v2 quad_perm:[1,0,3,2] row_mask:0xf bank_mask:0xf bound_ctrl:1
	;;#ASMEND
	;;#ASMSTART
	v_max_f32 v2, v3, v3 quad_perm:[2,3,0,1] row_mask:0xf bank_mask:0xf bound_ctrl:1
	;;#ASMEND
	v_and_b32_e32 v3, 3, v0
	v_cmp_eq_u32_e32 vcc, 0, v3
	v_cmp_gt_i32_e64 s[8:9], s19, v1
	v_mul_f32_e32 v2, 0x3b124925, v2
	s_and_b64 s[10:11], vcc, s[8:9]
	s_and_saveexec_b64 s[8:9], s[10:11]
	s_cbranch_execz .LBB689_20
; %bb.19:
	s_load_dwordx2 s[10:11], s[4:5], 0x8
	s_waitcnt lgkmcnt(0)
	s_mul_hi_i32 s15, s25, s6
	s_mul_i32 s14, s25, s6
	v_lshrrev_b32_e32 v3, 2, v0
	s_lshl_b64 s[14:15], s[14:15], 2
	v_mad_i64_i32 v[4:5], s[26:27], s26, v3, 0
	s_add_u32 s10, s10, s14
	s_addc_u32 s11, s11, s15
	v_lshlrev_b64 v[4:5], 2, v[4:5]
	v_mov_b32_e32 v3, s11
	v_add_co_u32_e32 v4, vcc, s10, v4
	v_addc_co_u32_e32 v5, vcc, v3, v5, vcc
	global_store_dword v[4:5], v2, off
.LBB689_20:
	s_or_b64 exec, exec, s[8:9]
	;;#ASMSTART
	v_rcp_f32 v2, v2
	;;#ASMEND
	s_and_saveexec_b64 s[14:15], s[2:3]
	s_cbranch_execz .LBB689_22
; %bb.21:
	s_load_dwordx2 s[2:3], s[4:5], 0x0
	s_waitcnt lgkmcnt(0)
	s_mul_i32 s8, s24, s6
	s_mul_hi_i32 s9, s24, s6
	v_mov_b32_e32 v3, v2
	;;#ASMSTART
	v_pk_mul_f32 v[4:5], v[18:19], v[2:3]
	;;#ASMEND
	s_add_u32 s8, s2, s8
	s_addc_u32 s2, s3, s9
	s_add_i32 s3, s19, 3
	s_ashr_i32 s10, s3, 31
	v_mov_b32_e32 v10, 0xc3e00000
	v_mov_b32_e32 v11, 0x43e00000
	;;#ASMSTART
	v_med3_f32 v4, v4, v10, v11
v_med3_f32 v5, v5, v10, v11
v_cvt_pk_fp8_f32 v6, v4, v5
	;;#ASMEND
	s_and_b32 s9, s2, 0xffff
	s_lshr_b32 s2, s10, 30
	;;#ASMSTART
	v_pk_mul_f32 v[4:5], v[32:33], v[2:3]
	;;#ASMEND
	s_add_i32 s3, s3, s2
	;;#ASMSTART
	v_med3_f32 v4, v4, v10, v11
v_med3_f32 v5, v5, v10, v11
v_cvt_pk_fp8_f32 v7, v4, v5
	;;#ASMEND
	s_mov_b32 s2, 0x5040100
	v_perm_b32 v4, v7, v6, s2
	s_mov_b32 s2, 0x1060504
	v_perm_b32 v4, v4, v7, s2
	;;#ASMSTART
	v_pk_mul_f32 v[6:7], v[26:27], v[2:3]
	;;#ASMEND
	v_mov_b32_e32 v5, v7
	;;#ASMSTART
	v_med3_f32 v6, v6, v10, v11
v_med3_f32 v5, v5, v10, v11
v_cvt_pk_fp8_f32 v8, v6, v5
	;;#ASMEND
	;;#ASMSTART
	v_pk_mul_f32 v[6:7], v[30:31], v[2:3]
	;;#ASMEND
	v_mov_b32_e32 v5, v7
	;;#ASMSTART
	v_med3_f32 v6, v6, v10, v11
v_med3_f32 v5, v5, v10, v11
v_cvt_pk_fp8_f32 v7, v6, v5
	;;#ASMEND
	s_mov_b32 s2, 0x1000504
	v_perm_b32 v5, v8, v7, s2
	;;#ASMSTART
	v_pk_mul_f32 v[6:7], v[24:25], v[2:3]
	;;#ASMEND
	;;#ASMSTART
	v_med3_f32 v6, v6, v10, v11
v_med3_f32 v7, v7, v10, v11
v_cvt_pk_fp8_f32 v8, v6, v7
	;;#ASMEND
	;;#ASMSTART
	v_pk_mul_f32 v[6:7], v[28:29], v[2:3]
	;;#ASMEND
	;;#ASMSTART
	v_med3_f32 v6, v6, v10, v11
v_med3_f32 v7, v7, v10, v11
v_cvt_pk_fp8_f32 v9, v6, v7
	;;#ASMEND
	v_perm_b32 v6, v8, v9, s2
	;;#ASMSTART
	v_pk_mul_f32 v[8:9], v[22:23], v[2:3]
	;;#ASMEND
	v_mov_b32_e32 v7, v9
	;;#ASMSTART
	v_med3_f32 v8, v8, v10, v11
v_med3_f32 v7, v7, v10, v11
v_cvt_pk_fp8_f32 v9, v8, v7
	;;#ASMEND
	;;#ASMSTART
	v_pk_mul_f32 v[2:3], v[20:21], v[2:3]
	;;#ASMEND
	;;#ASMSTART
	v_med3_f32 v2, v2, v10, v11
v_med3_f32 v3, v3, v10, v11
v_cvt_pk_fp8_f32 v7, v2, v3
	;;#ASMEND
	s_and_b32 s10, s3, -4
	s_mov_b32 s11, 0x20000
	v_perm_b32 v7, v9, v7, s2
	buffer_store_dwordx4 v[4:7], v1, s[8:11], 0 offen
	;;#ASMSTART
	s_nop 0
	;;#ASMEND
.LBB689_22:
	s_or_b64 exec, exec, s[14:15]
	s_cmp_lt_i32 s20, 1
	s_cbranch_scc1 .LBB689_12
.LBB689_23:
	s_load_dword s2, s[4:5], 0x94
	s_waitcnt lgkmcnt(0)
	s_cmp_lg_u32 s2, 1
	s_cbranch_scc1 .LBB689_12
; %bb.24:
	s_lshl_b32 s2, s20, 1
	s_add_i32 s2, s2, 2
	v_cmp_gt_u32_e32 vcc, s20, v1
	s_and_b32 s14, s2, -4
	v_mov_b32_e32 v18, 0
	v_lshlrev_b32_e32 v1, 5, v0
	v_mov_b32_e32 v14, 0
	v_mov_b32_e32 v15, 0
	;; [unrolled: 1-line block ×8, first 2 shown]
	s_waitcnt vmcnt(1)
	v_mov_b32_e32 v6, 0
	v_mov_b32_e32 v7, 0
	;; [unrolled: 1-line block ×4, first 2 shown]
	s_waitcnt vmcnt(0)
	v_mov_b32_e32 v2, 0
	v_mov_b32_e32 v3, 0
	;; [unrolled: 1-line block ×4, first 2 shown]
	s_barrier
	s_and_saveexec_b64 s[2:3], vcc
	s_cbranch_execz .LBB689_26
; %bb.25:
	s_mul_hi_i32 s5, s22, s6
	s_mul_i32 s4, s22, s6
	s_and_b32 s13, s13, 0xffff
	s_lshl_b64 s[4:5], s[4:5], 1
	s_add_u32 s8, s30, s4
	s_mov_b32 s15, 0x20000
	s_addc_u32 s4, s31, s5
	s_and_b32 s9, s4, 0xffff
	s_mov_b32 s10, s14
	s_mov_b32 s11, s15
	buffer_load_dwordx4 v[14:17], v1, s[8:11], 0 offen
	buffer_load_dwordx4 v[10:13], v1, s[8:11], 16 offen
	;; [unrolled: 1-line block ×4, first 2 shown]
.LBB689_26:
	s_or_b64 exec, exec, s[2:3]
	v_mov_b32_e32 v19, 0
	v_mov_b32_e32 v32, 0
	;; [unrolled: 1-line block ×15, first 2 shown]
	s_and_saveexec_b64 s[2:3], vcc
	s_cbranch_execz .LBB689_28
; %bb.27:
	s_waitcnt vmcnt(3)
	v_cvt_f32_f16_sdwa v19, v14 dst_sel:DWORD dst_unused:UNUSED_PAD src0_sel:WORD_1
	v_cvt_f32_f16_e32 v18, v14
	v_cvt_f32_f16_sdwa v33, v15 dst_sel:DWORD dst_unused:UNUSED_PAD src0_sel:WORD_1
	v_cvt_f32_f16_e32 v32, v15
	;; [unrolled: 2-line block ×4, first 2 shown]
	s_waitcnt vmcnt(2)
	v_cvt_f32_f16_sdwa v27, v10 dst_sel:DWORD dst_unused:UNUSED_PAD src0_sel:WORD_1
	v_cvt_f32_f16_e32 v26, v10
	v_cvt_f32_f16_sdwa v25, v11 dst_sel:DWORD dst_unused:UNUSED_PAD src0_sel:WORD_1
	v_cvt_f32_f16_e32 v24, v11
	;; [unrolled: 2-line block ×4, first 2 shown]
.LBB689_28:
	s_or_b64 exec, exec, s[2:3]
	s_waitcnt vmcnt(2)
	v_mul_f32_e32 v10, v19, v19
	v_fmac_f32_e32 v10, v18, v18
	v_fmac_f32_e32 v10, v32, v32
	;; [unrolled: 1-line block ×15, first 2 shown]
	s_nop 1
	v_mov_b32_dpp v11, v10 quad_perm:[1,0,3,2] row_mask:0xf bank_mask:0xf
	v_add_f32_e32 v10, v10, v11
	s_nop 1
	v_mov_b32_dpp v11, v10 quad_perm:[2,3,0,1] row_mask:0xf bank_mask:0xf
	v_add_f32_e32 v10, v10, v11
	s_nop 1
	v_mov_b32_dpp v11, v10 row_half_mirror row_mask:0xf bank_mask:0xf
	v_add_f32_e32 v10, v10, v11
	s_nop 1
	v_mov_b32_dpp v11, v10 row_mirror row_mask:0xf bank_mask:0xf
	v_add_f32_e32 v10, v10, v11
	s_nop 1
	v_mov_b32_dpp v11, v10 row_bcast:15 row_mask:0xf bank_mask:0xf
	v_add_f32_e32 v10, v10, v11
	s_nop 1
	v_mov_b32_dpp v11, v10 row_bcast:31 row_mask:0xf bank_mask:0xf
	s_and_saveexec_b64 s[2:3], s[0:1]
	s_cbranch_execz .LBB689_30
; %bb.29:
	v_lshrrev_b32_e32 v0, 4, v0
	v_add_f32_e32 v10, v10, v11
	v_and_b32_e32 v0, 60, v0
	ds_write_b32 v0, v10
.LBB689_30:
	s_or_b64 exec, exec, s[2:3]
	s_waitcnt lgkmcnt(0)
	s_barrier
	ds_read_b32 v0, v34
	s_waitcnt lgkmcnt(0)
	s_nop 0
	v_mov_b32_dpp v10, v0 quad_perm:[1,0,3,2] row_mask:0xf bank_mask:0xf
	s_and_saveexec_b64 s[0:1], vcc
	s_cbranch_execz .LBB689_12
; %bb.31:
	v_cvt_f32_u32_e32 v11, s20
	v_add_f32_e32 v0, v0, v10
	s_mov_b32 s15, 0x20000
	v_div_scale_f32 v10, s[0:1], v11, v11, v0
	v_rcp_f32_e32 v12, v10
	v_div_scale_f32 v13, vcc, v0, v11, v0
	s_mov_b32 s0, 0x800000
	v_fma_f32 v14, -v10, v12, 1.0
	v_fmac_f32_e32 v12, v14, v12
	v_mul_f32_e32 v14, v13, v12
	v_fma_f32 v15, -v10, v14, v13
	v_fmac_f32_e32 v14, v15, v12
	v_fma_f32 v10, -v10, v14, v13
	v_div_fmas_f32 v10, v10, v12, v14
	v_div_fixup_f32 v0, v10, v11, v0
	v_add_f32_e32 v0, s17, v0
	v_mul_f32_e32 v10, 0x4b800000, v0
	v_cmp_gt_f32_e32 vcc, s0, v0
	v_cndmask_b32_e32 v0, v0, v10, vcc
	v_rsq_f32_e32 v0, v0
	s_mul_hi_i32 s1, s7, s6
	s_mul_i32 s0, s7, s6
	s_lshl_b64 s[0:1], s[0:1], 1
	v_mul_f32_e32 v10, 0x45800000, v0
	v_cndmask_b32_e32 v10, v0, v10, vcc
	v_mov_b32_e32 v11, v10
	;;#ASMSTART
	v_pk_mul_f32 v[12:13], v[18:19], v[10:11]
	;;#ASMEND
	;;#ASMSTART
	v_pk_mul_f32 v[14:15], v[32:33], v[10:11]
	;;#ASMEND
	;; [unrolled: 3-line block ×4, first 2 shown]
	s_waitcnt vmcnt(1)
	v_cvt_f32_f16_sdwa v29, v6 dst_sel:DWORD dst_unused:UNUSED_PAD src0_sel:WORD_1
	v_cvt_f32_f16_e32 v28, v6
	v_cvt_f32_f16_sdwa v31, v7 dst_sel:DWORD dst_unused:UNUSED_PAD src0_sel:WORD_1
	v_cvt_f32_f16_e32 v30, v7
	;;#ASMSTART
	v_pk_mul_f32 v[26:27], v[26:27], v[10:11]
	;;#ASMEND
	;;#ASMSTART
	v_pk_mul_f32 v[24:25], v[24:25], v[10:11]
	;;#ASMEND
	;; [unrolled: 3-line block ×4, first 2 shown]
	v_cvt_f32_f16_sdwa v21, v8 dst_sel:DWORD dst_unused:UNUSED_PAD src0_sel:WORD_1
	v_cvt_f32_f16_e32 v20, v8
	v_pk_add_f32 v[10:11], v[28:29], 1.0 op_sel_hi:[1,0]
	;;#ASMSTART
	v_pk_mul_f32 v[10:11], v[12:13], v[10:11]
	;;#ASMEND
	v_pk_add_f32 v[12:13], v[30:31], 1.0 op_sel_hi:[1,0]
	v_cvt_f32_f16_sdwa v29, v9 dst_sel:DWORD dst_unused:UNUSED_PAD src0_sel:WORD_1
	v_cvt_f32_f16_e32 v28, v9
	;;#ASMSTART
	v_pk_mul_f32 v[8:9], v[14:15], v[12:13]
	;;#ASMEND
	v_pk_add_f32 v[12:13], v[20:21], 1.0 op_sel_hi:[1,0]
	;;#ASMSTART
	v_pk_mul_f32 v[12:13], v[16:17], v[12:13]
	;;#ASMEND
	s_waitcnt vmcnt(0)
	v_cvt_f32_f16_sdwa v17, v2 dst_sel:DWORD dst_unused:UNUSED_PAD src0_sel:WORD_1
	v_cvt_f32_f16_e32 v16, v2
	v_cvt_f32_f16_sdwa v21, v3 dst_sel:DWORD dst_unused:UNUSED_PAD src0_sel:WORD_1
	v_cvt_f32_f16_e32 v20, v3
	v_pk_add_f32 v[14:15], v[28:29], 1.0 op_sel_hi:[1,0]
	;;#ASMSTART
	v_pk_mul_f32 v[2:3], v[18:19], v[14:15]
	;;#ASMEND
	v_cvt_f32_f16_sdwa v19, v4 dst_sel:DWORD dst_unused:UNUSED_PAD src0_sel:WORD_1
	v_cvt_f32_f16_e32 v18, v4
	v_pk_add_f32 v[14:15], v[16:17], 1.0 op_sel_hi:[1,0]
	v_pk_add_f32 v[16:17], v[20:21], 1.0 op_sel_hi:[1,0]
	v_cvt_f32_f16_sdwa v21, v5 dst_sel:DWORD dst_unused:UNUSED_PAD src0_sel:WORD_1
	v_cvt_f32_f16_e32 v20, v5
	v_pk_add_f32 v[4:5], v[18:19], 1.0 op_sel_hi:[1,0]
	;;#ASMSTART
	v_pk_mul_f32 v[14:15], v[26:27], v[14:15]
	;;#ASMEND
	;;#ASMSTART
	v_pk_mul_f32 v[16:17], v[24:25], v[16:17]
	;;#ASMEND
	;;#ASMSTART
	v_pk_mul_f32 v[18:19], v[22:23], v[4:5]
	;;#ASMEND
	v_pk_add_f32 v[4:5], v[20:21], 1.0 op_sel_hi:[1,0]
	;;#ASMSTART
	v_pk_mul_f32 v[6:7], v[6:7], v[4:5]
	;;#ASMEND
	v_cvt_f16_f32_e32 v0, v10
	v_cvt_f16_f32_e32 v4, v11
	;; [unrolled: 1-line block ×8, first 2 shown]
	s_add_u32 s12, s28, s0
	s_addc_u32 s0, s29, s1
	s_and_b32 s13, s0, 0xffff
	v_pack_b32_f16 v2, v0, v4
	v_pack_b32_f16 v3, v5, v8
	;; [unrolled: 1-line block ×4, first 2 shown]
	buffer_store_dwordx4 v[2:5], v1, s[12:15], 0 offen
	v_cvt_f16_f32_e32 v0, v14
	v_cvt_f16_f32_e32 v2, v15
	;; [unrolled: 1-line block ×8, first 2 shown]
	v_pack_b32_f16 v2, v0, v2
	v_pack_b32_f16 v3, v3, v4
	v_pack_b32_f16 v4, v5, v8
	v_pack_b32_f16 v5, v6, v7
	;;#ASMSTART
	s_nop 0
	;;#ASMEND
	buffer_store_dwordx4 v[2:5], v1, s[12:15], 16 offen
	;;#ASMSTART
	s_nop 0
	;;#ASMEND
	s_endpgm
	.section	.rodata,"a",@progbits
	.p2align	6, 0x0
	.amdhsa_kernel _ZN5aiter35fused_qk_rmsnorm_group_quant_kernelIDF16_DB8_Li128ELi16ELi4ELb0ELb0ELb1ELb0ELb0ELb0EEEvPT0_PvPT_S6_S6_PKS5_S8_S8_S8_S8_ffiiiiiiiiiiiii
		.amdhsa_group_segment_fixed_size 16
		.amdhsa_private_segment_fixed_size 0
		.amdhsa_kernarg_size 400
		.amdhsa_user_sgpr_count 6
		.amdhsa_user_sgpr_private_segment_buffer 1
		.amdhsa_user_sgpr_dispatch_ptr 0
		.amdhsa_user_sgpr_queue_ptr 0
		.amdhsa_user_sgpr_kernarg_segment_ptr 1
		.amdhsa_user_sgpr_dispatch_id 0
		.amdhsa_user_sgpr_flat_scratch_init 0
		.amdhsa_user_sgpr_kernarg_preload_length 0
		.amdhsa_user_sgpr_kernarg_preload_offset 0
		.amdhsa_user_sgpr_private_segment_size 0
		.amdhsa_uses_dynamic_stack 0
		.amdhsa_system_sgpr_private_segment_wavefront_offset 0
		.amdhsa_system_sgpr_workgroup_id_x 1
		.amdhsa_system_sgpr_workgroup_id_y 1
		.amdhsa_system_sgpr_workgroup_id_z 0
		.amdhsa_system_sgpr_workgroup_info 0
		.amdhsa_system_vgpr_workitem_id 0
		.amdhsa_next_free_vgpr 35
		.amdhsa_next_free_sgpr 32
		.amdhsa_accum_offset 36
		.amdhsa_reserve_vcc 1
		.amdhsa_reserve_flat_scratch 0
		.amdhsa_float_round_mode_32 0
		.amdhsa_float_round_mode_16_64 0
		.amdhsa_float_denorm_mode_32 3
		.amdhsa_float_denorm_mode_16_64 3
		.amdhsa_dx10_clamp 1
		.amdhsa_ieee_mode 1
		.amdhsa_fp16_overflow 0
		.amdhsa_tg_split 0
		.amdhsa_exception_fp_ieee_invalid_op 0
		.amdhsa_exception_fp_denorm_src 0
		.amdhsa_exception_fp_ieee_div_zero 0
		.amdhsa_exception_fp_ieee_overflow 0
		.amdhsa_exception_fp_ieee_underflow 0
		.amdhsa_exception_fp_ieee_inexact 0
		.amdhsa_exception_int_div_zero 0
	.end_amdhsa_kernel
	.section	.text._ZN5aiter35fused_qk_rmsnorm_group_quant_kernelIDF16_DB8_Li128ELi16ELi4ELb0ELb0ELb1ELb0ELb0ELb0EEEvPT0_PvPT_S6_S6_PKS5_S8_S8_S8_S8_ffiiiiiiiiiiiii,"axG",@progbits,_ZN5aiter35fused_qk_rmsnorm_group_quant_kernelIDF16_DB8_Li128ELi16ELi4ELb0ELb0ELb1ELb0ELb0ELb0EEEvPT0_PvPT_S6_S6_PKS5_S8_S8_S8_S8_ffiiiiiiiiiiiii,comdat
.Lfunc_end689:
	.size	_ZN5aiter35fused_qk_rmsnorm_group_quant_kernelIDF16_DB8_Li128ELi16ELi4ELb0ELb0ELb1ELb0ELb0ELb0EEEvPT0_PvPT_S6_S6_PKS5_S8_S8_S8_S8_ffiiiiiiiiiiiii, .Lfunc_end689-_ZN5aiter35fused_qk_rmsnorm_group_quant_kernelIDF16_DB8_Li128ELi16ELi4ELb0ELb0ELb1ELb0ELb0ELb0EEEvPT0_PvPT_S6_S6_PKS5_S8_S8_S8_S8_ffiiiiiiiiiiiii
                                        ; -- End function
	.section	.AMDGPU.csdata,"",@progbits
; Kernel info:
; codeLenInByte = 3516
; NumSgprs: 36
; NumVgprs: 35
; NumAgprs: 0
; TotalNumVgprs: 35
; ScratchSize: 0
; MemoryBound: 0
; FloatMode: 240
; IeeeMode: 1
; LDSByteSize: 16 bytes/workgroup (compile time only)
; SGPRBlocks: 4
; VGPRBlocks: 4
; NumSGPRsForWavesPerEU: 36
; NumVGPRsForWavesPerEU: 35
; AccumOffset: 36
; Occupancy: 8
; WaveLimiterHint : 0
; COMPUTE_PGM_RSRC2:SCRATCH_EN: 0
; COMPUTE_PGM_RSRC2:USER_SGPR: 6
; COMPUTE_PGM_RSRC2:TRAP_HANDLER: 0
; COMPUTE_PGM_RSRC2:TGID_X_EN: 1
; COMPUTE_PGM_RSRC2:TGID_Y_EN: 1
; COMPUTE_PGM_RSRC2:TGID_Z_EN: 0
; COMPUTE_PGM_RSRC2:TIDIG_COMP_CNT: 0
; COMPUTE_PGM_RSRC3_GFX90A:ACCUM_OFFSET: 8
; COMPUTE_PGM_RSRC3_GFX90A:TG_SPLIT: 0
	.section	.text._ZN5aiter35fused_qk_rmsnorm_group_quant_kernelItDB8_Li128ELi16ELi4ELb0ELb0ELb1ELb0ELb0ELb0EEEvPT0_PvPT_S6_S6_PKS5_S8_S8_S8_S8_ffiiiiiiiiiiiii,"axG",@progbits,_ZN5aiter35fused_qk_rmsnorm_group_quant_kernelItDB8_Li128ELi16ELi4ELb0ELb0ELb1ELb0ELb0ELb0EEEvPT0_PvPT_S6_S6_PKS5_S8_S8_S8_S8_ffiiiiiiiiiiiii,comdat
	.protected	_ZN5aiter35fused_qk_rmsnorm_group_quant_kernelItDB8_Li128ELi16ELi4ELb0ELb0ELb1ELb0ELb0ELb0EEEvPT0_PvPT_S6_S6_PKS5_S8_S8_S8_S8_ffiiiiiiiiiiiii ; -- Begin function _ZN5aiter35fused_qk_rmsnorm_group_quant_kernelItDB8_Li128ELi16ELi4ELb0ELb0ELb1ELb0ELb0ELb0EEEvPT0_PvPT_S6_S6_PKS5_S8_S8_S8_S8_ffiiiiiiiiiiiii
	.globl	_ZN5aiter35fused_qk_rmsnorm_group_quant_kernelItDB8_Li128ELi16ELi4ELb0ELb0ELb1ELb0ELb0ELb0EEEvPT0_PvPT_S6_S6_PKS5_S8_S8_S8_S8_ffiiiiiiiiiiiii
	.p2align	8
	.type	_ZN5aiter35fused_qk_rmsnorm_group_quant_kernelItDB8_Li128ELi16ELi4ELb0ELb0ELb1ELb0ELb0ELb0EEEvPT0_PvPT_S6_S6_PKS5_S8_S8_S8_S8_ffiiiiiiiiiiiii,@function
_ZN5aiter35fused_qk_rmsnorm_group_quant_kernelItDB8_Li128ELi16ELi4ELb0ELb0ELb1ELb0ELb0ELb0EEEvPT0_PvPT_S6_S6_PKS5_S8_S8_S8_S8_ffiiiiiiiiiiiii: ; @_ZN5aiter35fused_qk_rmsnorm_group_quant_kernelItDB8_Li128ELi16ELi4ELb0ELb0ELb1ELb0ELb0ELb0EEEvPT0_PvPT_S6_S6_PKS5_S8_S8_S8_S8_ffiiiiiiiiiiiii
; %bb.0:
	s_load_dwordx4 s[16:19], s[4:5], 0x50
	s_waitcnt lgkmcnt(0)
	s_cmp_ge_i32 s6, s18
	s_cbranch_scc1 .LBB690_12
; %bb.1:
	s_load_dwordx2 s[12:13], s[4:5], 0x48
	s_load_dwordx2 s[30:31], s[4:5], 0x30
	s_load_dwordx4 s[20:23], s[4:5], 0x60
	s_cmp_lg_u32 s7, 0
	s_cselect_b64 s[14:15], -1, 0
	s_cmp_eq_u32 s7, 0
	s_cselect_b64 vcc, -1, 0
	s_and_b64 s[0:1], vcc, exec
	s_waitcnt lgkmcnt(0)
	s_cselect_b32 s7, s19, s20
	s_add_i32 s0, s7, 1
	s_lshr_b32 s1, s0, 31
	s_add_i32 s0, s0, s1
	s_lshl_b32 s0, s0, 1
	v_lshlrev_b32_e32 v1, 4, v0
	s_and_b32 s10, s0, -4
	v_cmp_gt_i32_e64 s[2:3], s7, v1
	v_mov_b32_e32 v18, 0
	v_mov_b32_e32 v6, 0
	;; [unrolled: 1-line block ×17, first 2 shown]
	s_and_saveexec_b64 s[0:1], s[2:3]
	s_cbranch_execz .LBB690_3
; %bb.2:
	s_load_dwordx2 s[8:9], s[4:5], 0x28
	s_load_dwordx2 s[26:27], s[4:5], 0x40
	s_and_b64 s[24:25], vcc, exec
	s_cselect_b32 s11, s21, s22
	v_lshlrev_b32_e32 v19, 5, v0
	s_waitcnt lgkmcnt(0)
	s_cselect_b32 s18, s9, s31
	s_cselect_b32 s21, s8, s30
	s_mul_hi_i32 s9, s11, s6
	s_mul_i32 s8, s11, s6
	s_lshl_b64 s[8:9], s[8:9], 1
	s_add_u32 s24, s21, s8
	s_addc_u32 s18, s18, s9
	s_and_b64 s[8:9], vcc, exec
	s_mov_b32 s11, 0x20000
	s_cselect_b32 s8, s26, s12
	s_cselect_b32 s9, s27, s13
	s_and_b32 s25, s18, 0xffff
	s_mov_b32 s26, s10
	s_mov_b32 s27, s11
	s_and_b32 s9, s9, 0xffff
	buffer_load_dwordx4 v[14:17], v19, s[24:27], 0 offen
	buffer_load_dwordx4 v[10:13], v19, s[24:27], 16 offen
	buffer_load_dwordx4 v[6:9], v19, s[8:11], 0 offen
	buffer_load_dwordx4 v[2:5], v19, s[8:11], 16 offen
.LBB690_3:
	s_or_b64 exec, exec, s[0:1]
	v_mov_b32_e32 v19, 0
	v_mov_b32_e32 v32, 0
	;; [unrolled: 1-line block ×15, first 2 shown]
	s_and_saveexec_b64 s[0:1], s[2:3]
	s_cbranch_execz .LBB690_5
; %bb.4:
	s_waitcnt vmcnt(3)
	v_cvt_f32_u32_sdwa v18, v14 dst_sel:DWORD dst_unused:UNUSED_PAD src0_sel:WORD_0
	v_cvt_f32_u32_sdwa v19, v14 dst_sel:DWORD dst_unused:UNUSED_PAD src0_sel:WORD_1
	v_cvt_f32_u32_sdwa v32, v15 dst_sel:DWORD dst_unused:UNUSED_PAD src0_sel:WORD_0
	v_cvt_f32_u32_sdwa v33, v15 dst_sel:DWORD dst_unused:UNUSED_PAD src0_sel:WORD_1
	;; [unrolled: 2-line block ×4, first 2 shown]
	s_waitcnt vmcnt(2)
	v_cvt_f32_u32_sdwa v24, v10 dst_sel:DWORD dst_unused:UNUSED_PAD src0_sel:WORD_0
	v_cvt_f32_u32_sdwa v25, v10 dst_sel:DWORD dst_unused:UNUSED_PAD src0_sel:WORD_1
	v_cvt_f32_u32_sdwa v28, v11 dst_sel:DWORD dst_unused:UNUSED_PAD src0_sel:WORD_0
	v_cvt_f32_u32_sdwa v29, v11 dst_sel:DWORD dst_unused:UNUSED_PAD src0_sel:WORD_1
	;; [unrolled: 2-line block ×4, first 2 shown]
.LBB690_5:
	s_or_b64 exec, exec, s[0:1]
	s_waitcnt vmcnt(2)
	v_mul_f32_e32 v10, v19, v19
	v_fmac_f32_e32 v10, v18, v18
	v_fmac_f32_e32 v10, v32, v32
	;; [unrolled: 1-line block ×15, first 2 shown]
	v_and_b32_e32 v12, 63, v0
	v_cmp_eq_u32_e64 s[0:1], 63, v12
	v_mov_b32_dpp v11, v10 quad_perm:[1,0,3,2] row_mask:0xf bank_mask:0xf
	v_add_f32_e32 v10, v10, v11
	s_nop 1
	v_mov_b32_dpp v11, v10 quad_perm:[2,3,0,1] row_mask:0xf bank_mask:0xf
	v_add_f32_e32 v10, v10, v11
	s_nop 1
	v_mov_b32_dpp v11, v10 row_half_mirror row_mask:0xf bank_mask:0xf
	v_add_f32_e32 v10, v10, v11
	s_nop 1
	v_mov_b32_dpp v11, v10 row_mirror row_mask:0xf bank_mask:0xf
	v_add_f32_e32 v10, v10, v11
	s_nop 1
	v_mov_b32_dpp v11, v10 row_bcast:15 row_mask:0xf bank_mask:0xf
	v_add_f32_e32 v10, v10, v11
	s_nop 1
	v_mov_b32_dpp v11, v10 row_bcast:31 row_mask:0xf bank_mask:0xf
	s_and_saveexec_b64 s[8:9], s[0:1]
	s_cbranch_execz .LBB690_7
; %bb.6:
	v_add_f32_e32 v10, v10, v11
	v_lshrrev_b32_e32 v11, 4, v0
	v_and_b32_e32 v11, 60, v11
	ds_write_b32 v11, v10 offset:8
.LBB690_7:
	s_or_b64 exec, exec, s[8:9]
	v_and_b32_e32 v10, 1, v0
	v_lshlrev_b32_e32 v34, 2, v10
	s_waitcnt lgkmcnt(0)
	s_barrier
	ds_read_b32 v10, v34 offset:8
	s_load_dwordx2 s[28:29], s[4:5], 0x18
	s_waitcnt lgkmcnt(0)
	v_mov_b32_dpp v11, v10 quad_perm:[1,0,3,2] row_mask:0xf bank_mask:0xf
	s_and_saveexec_b64 s[8:9], s[2:3]
	s_cbranch_execz .LBB690_9
; %bb.8:
	v_cvt_f32_u32_e32 v12, s7
	v_add_f32_e32 v10, v10, v11
	v_mov_b32_e32 v14, s17
	v_mov_b32_e32 v15, s16
	v_div_scale_f32 v11, s[24:25], v12, v12, v10
	v_rcp_f32_e32 v13, v11
	v_cndmask_b32_e32 v14, v14, v15, vcc
	s_mov_b32 s7, 0x800000
	v_fma_f32 v15, -v11, v13, 1.0
	v_fmac_f32_e32 v13, v15, v13
	v_div_scale_f32 v15, vcc, v10, v12, v10
	v_mul_f32_e32 v16, v15, v13
	v_fma_f32 v17, -v11, v16, v15
	v_fmac_f32_e32 v16, v17, v13
	v_fma_f32 v11, -v11, v16, v15
	v_div_fmas_f32 v11, v11, v13, v16
	v_div_fixup_f32 v10, v11, v12, v10
	v_add_f32_e32 v10, v14, v10
	v_mul_f32_e32 v11, 0x4b800000, v10
	v_cmp_gt_f32_e32 vcc, s7, v10
	v_cndmask_b32_e32 v10, v10, v11, vcc
	v_rsq_f32_e32 v10, v10
	v_mul_f32_e32 v11, 0x45800000, v10
	v_cndmask_b32_e32 v10, v10, v11, vcc
	v_mov_b32_e32 v11, v10
	;;#ASMSTART
	v_pk_mul_f32 v[12:13], v[18:19], v[10:11]
	;;#ASMEND
	s_waitcnt vmcnt(1)
	v_cvt_f32_u32_sdwa v19, v6 dst_sel:DWORD dst_unused:UNUSED_PAD src0_sel:WORD_1
	v_cvt_f32_u32_sdwa v18, v6 dst_sel:DWORD dst_unused:UNUSED_PAD src0_sel:WORD_0
	;;#ASMSTART
	v_pk_mul_f32 v[14:15], v[32:33], v[10:11]
	;;#ASMEND
	;;#ASMSTART
	v_pk_mul_f32 v[16:17], v[26:27], v[10:11]
	;;#ASMEND
	v_cvt_f32_u32_sdwa v27, v7 dst_sel:DWORD dst_unused:UNUSED_PAD src0_sel:WORD_1
	v_cvt_f32_u32_sdwa v26, v7 dst_sel:DWORD dst_unused:UNUSED_PAD src0_sel:WORD_0
	;;#ASMSTART
	v_pk_mul_f32 v[30:31], v[30:31], v[10:11]
	;;#ASMEND
	;;#ASMSTART
	v_pk_mul_f32 v[24:25], v[24:25], v[10:11]
	;;#ASMEND
	;; [unrolled: 3-line block ×5, first 2 shown]
	v_pk_add_f32 v[10:11], v[18:19], 1.0 op_sel_hi:[1,0]
	;;#ASMSTART
	v_pk_mul_f32 v[18:19], v[12:13], v[10:11]
	;;#ASMEND
	v_cvt_f32_u32_sdwa v13, v8 dst_sel:DWORD dst_unused:UNUSED_PAD src0_sel:WORD_1
	v_cvt_f32_u32_sdwa v12, v8 dst_sel:DWORD dst_unused:UNUSED_PAD src0_sel:WORD_0
	v_cvt_f32_u32_sdwa v21, v9 dst_sel:DWORD dst_unused:UNUSED_PAD src0_sel:WORD_1
	v_cvt_f32_u32_sdwa v20, v9 dst_sel:DWORD dst_unused:UNUSED_PAD src0_sel:WORD_0
	v_pk_add_f32 v[10:11], v[26:27], 1.0 op_sel_hi:[1,0]
	;;#ASMSTART
	v_pk_mul_f32 v[32:33], v[14:15], v[10:11]
	;;#ASMEND
	s_waitcnt vmcnt(0)
	v_cvt_f32_u32_sdwa v11, v2 dst_sel:DWORD dst_unused:UNUSED_PAD src0_sel:WORD_1
	v_cvt_f32_u32_sdwa v10, v2 dst_sel:DWORD dst_unused:UNUSED_PAD src0_sel:WORD_0
	v_pk_add_f32 v[8:9], v[12:13], 1.0 op_sel_hi:[1,0]
	;;#ASMSTART
	v_pk_mul_f32 v[26:27], v[16:17], v[8:9]
	;;#ASMEND
	v_pk_add_f32 v[8:9], v[20:21], 1.0 op_sel_hi:[1,0]
	v_cvt_f32_u32_sdwa v13, v3 dst_sel:DWORD dst_unused:UNUSED_PAD src0_sel:WORD_1
	v_cvt_f32_u32_sdwa v12, v3 dst_sel:DWORD dst_unused:UNUSED_PAD src0_sel:WORD_0
	;;#ASMSTART
	v_pk_mul_f32 v[30:31], v[30:31], v[8:9]
	;;#ASMEND
	v_cvt_f32_u32_sdwa v9, v4 dst_sel:DWORD dst_unused:UNUSED_PAD src0_sel:WORD_1
	v_cvt_f32_u32_sdwa v8, v4 dst_sel:DWORD dst_unused:UNUSED_PAD src0_sel:WORD_0
	v_pk_add_f32 v[2:3], v[10:11], 1.0 op_sel_hi:[1,0]
	v_cvt_f32_u32_sdwa v11, v5 dst_sel:DWORD dst_unused:UNUSED_PAD src0_sel:WORD_1
	v_cvt_f32_u32_sdwa v10, v5 dst_sel:DWORD dst_unused:UNUSED_PAD src0_sel:WORD_0
	;;#ASMSTART
	v_pk_mul_f32 v[24:25], v[24:25], v[2:3]
	;;#ASMEND
	v_pk_add_f32 v[2:3], v[12:13], 1.0 op_sel_hi:[1,0]
	;;#ASMSTART
	v_pk_mul_f32 v[28:29], v[28:29], v[2:3]
	;;#ASMEND
	v_pk_add_f32 v[2:3], v[8:9], 1.0 op_sel_hi:[1,0]
	;; [unrolled: 4-line block ×3, first 2 shown]
	;;#ASMSTART
	v_pk_mul_f32 v[20:21], v[6:7], v[2:3]
	;;#ASMEND
.LBB690_9:
	s_or_b64 exec, exec, s[8:9]
	s_load_dword s7, s[4:5], 0x80
	s_mov_b64 s[8:9], -1
	s_and_b64 vcc, exec, s[14:15]
	s_cbranch_vccnz .LBB690_13
; %bb.10:
	s_andn2_b64 vcc, exec, s[8:9]
	s_cbranch_vccz .LBB690_16
.LBB690_11:
	s_cmp_lt_i32 s20, 1
	s_cbranch_scc0 .LBB690_23
.LBB690_12:
	s_endpgm
.LBB690_13:
	s_and_saveexec_b64 s[14:15], s[2:3]
	s_cbranch_execz .LBB690_15
; %bb.14:
	s_waitcnt lgkmcnt(0)
	s_mul_hi_i32 s9, s7, s6
	s_mul_i32 s8, s7, s6
	s_lshl_b64 s[8:9], s[8:9], 1
	s_add_u32 s8, s28, s8
	s_addc_u32 s9, s29, s9
	s_mov_b32 s16, 0x7060302
	s_and_b32 s9, s9, 0xffff
	s_mov_b32 s11, 0x20000
	s_waitcnt vmcnt(0)
	v_perm_b32 v5, v31, v30, s16
	v_perm_b32 v4, v27, v26, s16
	;; [unrolled: 1-line block ×4, first 2 shown]
	v_lshlrev_b32_e32 v6, 5, v0
	buffer_store_dwordx4 v[2:5], v6, s[8:11], 0 offen
	;;#ASMSTART
	s_nop 0
	;;#ASMEND
	s_nop 0
	v_perm_b32 v5, v21, v20, s16
	v_perm_b32 v4, v23, v22, s16
	v_perm_b32 v3, v29, v28, s16
	v_perm_b32 v2, v25, v24, s16
	buffer_store_dwordx4 v[2:5], v6, s[8:11], 16 offen
	;;#ASMSTART
	s_nop 0
	;;#ASMEND
.LBB690_15:
	s_or_b64 exec, exec, s[14:15]
	s_cbranch_execnz .LBB690_11
.LBB690_16:
	s_waitcnt vmcnt(0)
	v_mov_b32_e32 v2, 0
	s_and_saveexec_b64 s[8:9], s[2:3]
	s_cbranch_execz .LBB690_18
; %bb.17:
	v_and_b32_e32 v2, 0x7fffffff, v18
	v_and_b32_e32 v3, 0x7fffffff, v19
	v_mov_b32_e32 v4, 0x2edbe6ff
	;;#ASMSTART
	v_max3_f32 v2, v4, v2, v3

	;;#ASMEND
	v_and_b32_e32 v3, 0x7fffffff, v32
	v_and_b32_e32 v4, 0x7fffffff, v33
	;;#ASMSTART
	v_max3_f32 v2, v2, v3, v4

	;;#ASMEND
	v_and_b32_e32 v3, 0x7fffffff, v26
	v_and_b32_e32 v4, 0x7fffffff, v27
	;; [unrolled: 6-line block ×7, first 2 shown]
	;;#ASMSTART
	v_max3_f32 v2, v2, v3, v4

	;;#ASMEND
.LBB690_18:
	s_or_b64 exec, exec, s[8:9]
	s_load_dwordx4 s[24:27], s[4:5], 0x70
	;;#ASMSTART
	v_max_f32 v3, v2, v2 quad_perm:[1,0,3,2] row_mask:0xf bank_mask:0xf bound_ctrl:1
	;;#ASMEND
	;;#ASMSTART
	v_max_f32 v2, v3, v3 quad_perm:[2,3,0,1] row_mask:0xf bank_mask:0xf bound_ctrl:1
	;;#ASMEND
	v_and_b32_e32 v3, 3, v0
	v_cmp_eq_u32_e32 vcc, 0, v3
	v_cmp_gt_i32_e64 s[8:9], s19, v1
	v_mul_f32_e32 v2, 0x3b124925, v2
	s_and_b64 s[10:11], vcc, s[8:9]
	s_and_saveexec_b64 s[8:9], s[10:11]
	s_cbranch_execz .LBB690_20
; %bb.19:
	s_load_dwordx2 s[10:11], s[4:5], 0x8
	s_waitcnt lgkmcnt(0)
	s_mul_hi_i32 s15, s25, s6
	s_mul_i32 s14, s25, s6
	v_lshrrev_b32_e32 v3, 2, v0
	s_lshl_b64 s[14:15], s[14:15], 2
	v_mad_i64_i32 v[4:5], s[26:27], s26, v3, 0
	s_add_u32 s10, s10, s14
	s_addc_u32 s11, s11, s15
	v_lshlrev_b64 v[4:5], 2, v[4:5]
	v_mov_b32_e32 v3, s11
	v_add_co_u32_e32 v4, vcc, s10, v4
	v_addc_co_u32_e32 v5, vcc, v3, v5, vcc
	global_store_dword v[4:5], v2, off
.LBB690_20:
	s_or_b64 exec, exec, s[8:9]
	;;#ASMSTART
	v_rcp_f32 v2, v2
	;;#ASMEND
	s_and_saveexec_b64 s[14:15], s[2:3]
	s_cbranch_execz .LBB690_22
; %bb.21:
	s_load_dwordx2 s[2:3], s[4:5], 0x0
	s_waitcnt lgkmcnt(0)
	s_mul_i32 s8, s24, s6
	s_mul_hi_i32 s9, s24, s6
	v_mov_b32_e32 v3, v2
	;;#ASMSTART
	v_pk_mul_f32 v[4:5], v[18:19], v[2:3]
	;;#ASMEND
	s_add_u32 s8, s2, s8
	s_addc_u32 s2, s3, s9
	s_add_i32 s3, s19, 3
	s_ashr_i32 s10, s3, 31
	v_mov_b32_e32 v10, 0xc3e00000
	v_mov_b32_e32 v11, 0x43e00000
	;;#ASMSTART
	v_med3_f32 v4, v4, v10, v11
v_med3_f32 v5, v5, v10, v11
v_cvt_pk_fp8_f32 v6, v4, v5
	;;#ASMEND
	s_and_b32 s9, s2, 0xffff
	s_lshr_b32 s2, s10, 30
	;;#ASMSTART
	v_pk_mul_f32 v[4:5], v[32:33], v[2:3]
	;;#ASMEND
	s_add_i32 s3, s3, s2
	;;#ASMSTART
	v_med3_f32 v4, v4, v10, v11
v_med3_f32 v5, v5, v10, v11
v_cvt_pk_fp8_f32 v7, v4, v5
	;;#ASMEND
	s_mov_b32 s2, 0x5040100
	v_perm_b32 v4, v7, v6, s2
	s_mov_b32 s2, 0x1060504
	v_perm_b32 v4, v4, v7, s2
	;;#ASMSTART
	v_pk_mul_f32 v[6:7], v[26:27], v[2:3]
	;;#ASMEND
	v_mov_b32_e32 v5, v6
	;;#ASMSTART
	v_med3_f32 v5, v5, v10, v11
v_med3_f32 v7, v7, v10, v11
v_cvt_pk_fp8_f32 v8, v5, v7
	;;#ASMEND
	;;#ASMSTART
	v_pk_mul_f32 v[6:7], v[30:31], v[2:3]
	;;#ASMEND
	v_mov_b32_e32 v5, v7
	;;#ASMSTART
	v_med3_f32 v6, v6, v10, v11
v_med3_f32 v5, v5, v10, v11
v_cvt_pk_fp8_f32 v7, v6, v5
	;;#ASMEND
	s_mov_b32 s2, 0x1000504
	v_perm_b32 v5, v8, v7, s2
	;;#ASMSTART
	v_pk_mul_f32 v[6:7], v[24:25], v[2:3]
	;;#ASMEND
	;;#ASMSTART
	v_med3_f32 v6, v6, v10, v11
v_med3_f32 v7, v7, v10, v11
v_cvt_pk_fp8_f32 v8, v6, v7
	;;#ASMEND
	;;#ASMSTART
	v_pk_mul_f32 v[6:7], v[28:29], v[2:3]
	;;#ASMEND
	;;#ASMSTART
	v_med3_f32 v6, v6, v10, v11
v_med3_f32 v7, v7, v10, v11
v_cvt_pk_fp8_f32 v9, v6, v7
	;;#ASMEND
	v_perm_b32 v6, v8, v9, s2
	;;#ASMSTART
	v_pk_mul_f32 v[8:9], v[22:23], v[2:3]
	;;#ASMEND
	v_mov_b32_e32 v7, v8
	;;#ASMSTART
	v_med3_f32 v7, v7, v10, v11
v_med3_f32 v9, v9, v10, v11
v_cvt_pk_fp8_f32 v8, v7, v9
	;;#ASMEND
	;;#ASMSTART
	v_pk_mul_f32 v[2:3], v[20:21], v[2:3]
	;;#ASMEND
	;;#ASMSTART
	v_med3_f32 v2, v2, v10, v11
v_med3_f32 v3, v3, v10, v11
v_cvt_pk_fp8_f32 v7, v2, v3
	;;#ASMEND
	s_and_b32 s10, s3, -4
	s_mov_b32 s11, 0x20000
	v_perm_b32 v7, v8, v7, s2
	buffer_store_dwordx4 v[4:7], v1, s[8:11], 0 offen
	;;#ASMSTART
	s_nop 0
	;;#ASMEND
.LBB690_22:
	s_or_b64 exec, exec, s[14:15]
	s_cmp_lt_i32 s20, 1
	s_cbranch_scc1 .LBB690_12
.LBB690_23:
	s_load_dword s2, s[4:5], 0x94
	s_waitcnt lgkmcnt(0)
	s_cmp_lg_u32 s2, 1
	s_cbranch_scc1 .LBB690_12
; %bb.24:
	s_lshl_b32 s2, s20, 1
	s_add_i32 s2, s2, 2
	v_cmp_gt_u32_e32 vcc, s20, v1
	s_and_b32 s14, s2, -4
	v_mov_b32_e32 v18, 0
	v_lshlrev_b32_e32 v1, 5, v0
	v_mov_b32_e32 v14, 0
	v_mov_b32_e32 v15, 0
	;; [unrolled: 1-line block ×8, first 2 shown]
	s_waitcnt vmcnt(1)
	v_mov_b32_e32 v6, 0
	v_mov_b32_e32 v7, 0
	;; [unrolled: 1-line block ×4, first 2 shown]
	s_waitcnt vmcnt(0)
	v_mov_b32_e32 v2, 0
	v_mov_b32_e32 v3, 0
	;; [unrolled: 1-line block ×4, first 2 shown]
	s_barrier
	s_and_saveexec_b64 s[2:3], vcc
	s_cbranch_execz .LBB690_26
; %bb.25:
	s_mul_hi_i32 s5, s22, s6
	s_mul_i32 s4, s22, s6
	s_and_b32 s13, s13, 0xffff
	s_lshl_b64 s[4:5], s[4:5], 1
	s_add_u32 s8, s30, s4
	s_mov_b32 s15, 0x20000
	s_addc_u32 s4, s31, s5
	s_and_b32 s9, s4, 0xffff
	s_mov_b32 s10, s14
	s_mov_b32 s11, s15
	buffer_load_dwordx4 v[14:17], v1, s[8:11], 0 offen
	buffer_load_dwordx4 v[10:13], v1, s[8:11], 16 offen
	;; [unrolled: 1-line block ×4, first 2 shown]
.LBB690_26:
	s_or_b64 exec, exec, s[2:3]
	v_mov_b32_e32 v19, 0
	v_mov_b32_e32 v32, 0
	;; [unrolled: 1-line block ×15, first 2 shown]
	s_and_saveexec_b64 s[2:3], vcc
	s_cbranch_execz .LBB690_28
; %bb.27:
	s_waitcnt vmcnt(3)
	v_cvt_f32_u32_sdwa v18, v14 dst_sel:DWORD dst_unused:UNUSED_PAD src0_sel:WORD_0
	v_cvt_f32_u32_sdwa v19, v14 dst_sel:DWORD dst_unused:UNUSED_PAD src0_sel:WORD_1
	v_cvt_f32_u32_sdwa v32, v15 dst_sel:DWORD dst_unused:UNUSED_PAD src0_sel:WORD_0
	v_cvt_f32_u32_sdwa v33, v15 dst_sel:DWORD dst_unused:UNUSED_PAD src0_sel:WORD_1
	;; [unrolled: 2-line block ×4, first 2 shown]
	s_waitcnt vmcnt(2)
	v_cvt_f32_u32_sdwa v26, v10 dst_sel:DWORD dst_unused:UNUSED_PAD src0_sel:WORD_0
	v_cvt_f32_u32_sdwa v27, v10 dst_sel:DWORD dst_unused:UNUSED_PAD src0_sel:WORD_1
	v_cvt_f32_u32_sdwa v24, v11 dst_sel:DWORD dst_unused:UNUSED_PAD src0_sel:WORD_0
	v_cvt_f32_u32_sdwa v25, v11 dst_sel:DWORD dst_unused:UNUSED_PAD src0_sel:WORD_1
	;; [unrolled: 2-line block ×4, first 2 shown]
.LBB690_28:
	s_or_b64 exec, exec, s[2:3]
	s_waitcnt vmcnt(2)
	v_mul_f32_e32 v10, v19, v19
	v_fmac_f32_e32 v10, v18, v18
	v_fmac_f32_e32 v10, v32, v32
	;; [unrolled: 1-line block ×15, first 2 shown]
	s_nop 1
	v_mov_b32_dpp v11, v10 quad_perm:[1,0,3,2] row_mask:0xf bank_mask:0xf
	v_add_f32_e32 v10, v10, v11
	s_nop 1
	v_mov_b32_dpp v11, v10 quad_perm:[2,3,0,1] row_mask:0xf bank_mask:0xf
	v_add_f32_e32 v10, v10, v11
	s_nop 1
	v_mov_b32_dpp v11, v10 row_half_mirror row_mask:0xf bank_mask:0xf
	v_add_f32_e32 v10, v10, v11
	s_nop 1
	v_mov_b32_dpp v11, v10 row_mirror row_mask:0xf bank_mask:0xf
	v_add_f32_e32 v10, v10, v11
	s_nop 1
	v_mov_b32_dpp v11, v10 row_bcast:15 row_mask:0xf bank_mask:0xf
	v_add_f32_e32 v10, v10, v11
	s_nop 1
	v_mov_b32_dpp v11, v10 row_bcast:31 row_mask:0xf bank_mask:0xf
	s_and_saveexec_b64 s[2:3], s[0:1]
	s_cbranch_execz .LBB690_30
; %bb.29:
	v_lshrrev_b32_e32 v0, 4, v0
	v_add_f32_e32 v10, v10, v11
	v_and_b32_e32 v0, 60, v0
	ds_write_b32 v0, v10
.LBB690_30:
	s_or_b64 exec, exec, s[2:3]
	s_waitcnt lgkmcnt(0)
	s_barrier
	ds_read_b32 v0, v34
	s_waitcnt lgkmcnt(0)
	s_nop 0
	v_mov_b32_dpp v10, v0 quad_perm:[1,0,3,2] row_mask:0xf bank_mask:0xf
	s_and_saveexec_b64 s[0:1], vcc
	s_cbranch_execz .LBB690_12
; %bb.31:
	v_cvt_f32_u32_e32 v11, s20
	v_add_f32_e32 v0, v0, v10
	s_mov_b32 s15, 0x20000
	v_div_scale_f32 v10, s[0:1], v11, v11, v0
	v_rcp_f32_e32 v12, v10
	v_div_scale_f32 v13, vcc, v0, v11, v0
	s_mov_b32 s0, 0x800000
	v_fma_f32 v14, -v10, v12, 1.0
	v_fmac_f32_e32 v12, v14, v12
	v_mul_f32_e32 v14, v13, v12
	v_fma_f32 v15, -v10, v14, v13
	v_fmac_f32_e32 v14, v15, v12
	v_fma_f32 v10, -v10, v14, v13
	v_div_fmas_f32 v10, v10, v12, v14
	v_div_fixup_f32 v0, v10, v11, v0
	v_add_f32_e32 v0, s17, v0
	v_mul_f32_e32 v10, 0x4b800000, v0
	v_cmp_gt_f32_e32 vcc, s0, v0
	v_cndmask_b32_e32 v0, v0, v10, vcc
	v_rsq_f32_e32 v0, v0
	s_mul_hi_i32 s1, s7, s6
	s_mul_i32 s0, s7, s6
	s_lshl_b64 s[0:1], s[0:1], 1
	v_mul_f32_e32 v10, 0x45800000, v0
	v_cndmask_b32_e32 v10, v0, v10, vcc
	v_mov_b32_e32 v11, v10
	;;#ASMSTART
	v_pk_mul_f32 v[12:13], v[18:19], v[10:11]
	;;#ASMEND
	;;#ASMSTART
	v_pk_mul_f32 v[14:15], v[32:33], v[10:11]
	;;#ASMEND
	;; [unrolled: 3-line block ×4, first 2 shown]
	s_waitcnt vmcnt(1)
	v_cvt_f32_u32_sdwa v29, v6 dst_sel:DWORD dst_unused:UNUSED_PAD src0_sel:WORD_1
	v_cvt_f32_u32_sdwa v28, v6 dst_sel:DWORD dst_unused:UNUSED_PAD src0_sel:WORD_0
	v_cvt_f32_u32_sdwa v31, v7 dst_sel:DWORD dst_unused:UNUSED_PAD src0_sel:WORD_1
	v_cvt_f32_u32_sdwa v30, v7 dst_sel:DWORD dst_unused:UNUSED_PAD src0_sel:WORD_0
	;;#ASMSTART
	v_pk_mul_f32 v[26:27], v[26:27], v[10:11]
	;;#ASMEND
	;;#ASMSTART
	v_pk_mul_f32 v[24:25], v[24:25], v[10:11]
	;;#ASMEND
	;; [unrolled: 3-line block ×4, first 2 shown]
	v_cvt_f32_u32_sdwa v21, v8 dst_sel:DWORD dst_unused:UNUSED_PAD src0_sel:WORD_1
	v_cvt_f32_u32_sdwa v20, v8 dst_sel:DWORD dst_unused:UNUSED_PAD src0_sel:WORD_0
	v_pk_add_f32 v[10:11], v[28:29], 1.0 op_sel_hi:[1,0]
	;;#ASMSTART
	v_pk_mul_f32 v[10:11], v[12:13], v[10:11]
	;;#ASMEND
	v_pk_add_f32 v[12:13], v[30:31], 1.0 op_sel_hi:[1,0]
	v_cvt_f32_u32_sdwa v29, v9 dst_sel:DWORD dst_unused:UNUSED_PAD src0_sel:WORD_1
	v_cvt_f32_u32_sdwa v28, v9 dst_sel:DWORD dst_unused:UNUSED_PAD src0_sel:WORD_0
	;;#ASMSTART
	v_pk_mul_f32 v[8:9], v[14:15], v[12:13]
	;;#ASMEND
	v_pk_add_f32 v[12:13], v[20:21], 1.0 op_sel_hi:[1,0]
	;;#ASMSTART
	v_pk_mul_f32 v[12:13], v[16:17], v[12:13]
	;;#ASMEND
	s_waitcnt vmcnt(0)
	v_cvt_f32_u32_sdwa v17, v2 dst_sel:DWORD dst_unused:UNUSED_PAD src0_sel:WORD_1
	v_cvt_f32_u32_sdwa v16, v2 dst_sel:DWORD dst_unused:UNUSED_PAD src0_sel:WORD_0
	v_cvt_f32_u32_sdwa v21, v3 dst_sel:DWORD dst_unused:UNUSED_PAD src0_sel:WORD_1
	v_cvt_f32_u32_sdwa v20, v3 dst_sel:DWORD dst_unused:UNUSED_PAD src0_sel:WORD_0
	v_pk_add_f32 v[14:15], v[28:29], 1.0 op_sel_hi:[1,0]
	;;#ASMSTART
	v_pk_mul_f32 v[14:15], v[18:19], v[14:15]
	;;#ASMEND
	v_pk_add_f32 v[2:3], v[16:17], 1.0 op_sel_hi:[1,0]
	v_cvt_f32_u32_sdwa v19, v4 dst_sel:DWORD dst_unused:UNUSED_PAD src0_sel:WORD_1
	v_cvt_f32_u32_sdwa v18, v4 dst_sel:DWORD dst_unused:UNUSED_PAD src0_sel:WORD_0
	;;#ASMSTART
	v_pk_mul_f32 v[16:17], v[26:27], v[2:3]
	;;#ASMEND
	v_pk_add_f32 v[2:3], v[20:21], 1.0 op_sel_hi:[1,0]
	v_cvt_f32_u32_sdwa v21, v5 dst_sel:DWORD dst_unused:UNUSED_PAD src0_sel:WORD_1
	v_cvt_f32_u32_sdwa v20, v5 dst_sel:DWORD dst_unused:UNUSED_PAD src0_sel:WORD_0
	s_add_u32 s12, s28, s0
	;;#ASMSTART
	v_pk_mul_f32 v[24:25], v[24:25], v[2:3]
	;;#ASMEND
	v_pk_add_f32 v[2:3], v[18:19], 1.0 op_sel_hi:[1,0]
	s_addc_u32 s0, s29, s1
	;;#ASMSTART
	v_pk_mul_f32 v[18:19], v[22:23], v[2:3]
	;;#ASMEND
	v_pk_add_f32 v[2:3], v[20:21], 1.0 op_sel_hi:[1,0]
	s_and_b32 s13, s0, 0xffff
	s_mov_b32 s0, 0x7060302
	;;#ASMSTART
	v_pk_mul_f32 v[6:7], v[6:7], v[2:3]
	;;#ASMEND
	v_perm_b32 v2, v11, v10, s0
	v_perm_b32 v3, v9, v8, s0
	;; [unrolled: 1-line block ×4, first 2 shown]
	buffer_store_dwordx4 v[2:5], v1, s[12:15], 0 offen
	;;#ASMSTART
	s_nop 0
	;;#ASMEND
	s_nop 0
	v_perm_b32 v2, v17, v16, s0
	v_perm_b32 v3, v25, v24, s0
	;; [unrolled: 1-line block ×4, first 2 shown]
	buffer_store_dwordx4 v[2:5], v1, s[12:15], 16 offen
	;;#ASMSTART
	s_nop 0
	;;#ASMEND
	s_endpgm
	.section	.rodata,"a",@progbits
	.p2align	6, 0x0
	.amdhsa_kernel _ZN5aiter35fused_qk_rmsnorm_group_quant_kernelItDB8_Li128ELi16ELi4ELb0ELb0ELb1ELb0ELb0ELb0EEEvPT0_PvPT_S6_S6_PKS5_S8_S8_S8_S8_ffiiiiiiiiiiiii
		.amdhsa_group_segment_fixed_size 16
		.amdhsa_private_segment_fixed_size 0
		.amdhsa_kernarg_size 400
		.amdhsa_user_sgpr_count 6
		.amdhsa_user_sgpr_private_segment_buffer 1
		.amdhsa_user_sgpr_dispatch_ptr 0
		.amdhsa_user_sgpr_queue_ptr 0
		.amdhsa_user_sgpr_kernarg_segment_ptr 1
		.amdhsa_user_sgpr_dispatch_id 0
		.amdhsa_user_sgpr_flat_scratch_init 0
		.amdhsa_user_sgpr_kernarg_preload_length 0
		.amdhsa_user_sgpr_kernarg_preload_offset 0
		.amdhsa_user_sgpr_private_segment_size 0
		.amdhsa_uses_dynamic_stack 0
		.amdhsa_system_sgpr_private_segment_wavefront_offset 0
		.amdhsa_system_sgpr_workgroup_id_x 1
		.amdhsa_system_sgpr_workgroup_id_y 1
		.amdhsa_system_sgpr_workgroup_id_z 0
		.amdhsa_system_sgpr_workgroup_info 0
		.amdhsa_system_vgpr_workitem_id 0
		.amdhsa_next_free_vgpr 35
		.amdhsa_next_free_sgpr 32
		.amdhsa_accum_offset 36
		.amdhsa_reserve_vcc 1
		.amdhsa_reserve_flat_scratch 0
		.amdhsa_float_round_mode_32 0
		.amdhsa_float_round_mode_16_64 0
		.amdhsa_float_denorm_mode_32 3
		.amdhsa_float_denorm_mode_16_64 3
		.amdhsa_dx10_clamp 1
		.amdhsa_ieee_mode 1
		.amdhsa_fp16_overflow 0
		.amdhsa_tg_split 0
		.amdhsa_exception_fp_ieee_invalid_op 0
		.amdhsa_exception_fp_denorm_src 0
		.amdhsa_exception_fp_ieee_div_zero 0
		.amdhsa_exception_fp_ieee_overflow 0
		.amdhsa_exception_fp_ieee_underflow 0
		.amdhsa_exception_fp_ieee_inexact 0
		.amdhsa_exception_int_div_zero 0
	.end_amdhsa_kernel
	.section	.text._ZN5aiter35fused_qk_rmsnorm_group_quant_kernelItDB8_Li128ELi16ELi4ELb0ELb0ELb1ELb0ELb0ELb0EEEvPT0_PvPT_S6_S6_PKS5_S8_S8_S8_S8_ffiiiiiiiiiiiii,"axG",@progbits,_ZN5aiter35fused_qk_rmsnorm_group_quant_kernelItDB8_Li128ELi16ELi4ELb0ELb0ELb1ELb0ELb0ELb0EEEvPT0_PvPT_S6_S6_PKS5_S8_S8_S8_S8_ffiiiiiiiiiiiii,comdat
.Lfunc_end690:
	.size	_ZN5aiter35fused_qk_rmsnorm_group_quant_kernelItDB8_Li128ELi16ELi4ELb0ELb0ELb1ELb0ELb0ELb0EEEvPT0_PvPT_S6_S6_PKS5_S8_S8_S8_S8_ffiiiiiiiiiiiii, .Lfunc_end690-_ZN5aiter35fused_qk_rmsnorm_group_quant_kernelItDB8_Li128ELi16ELi4ELb0ELb0ELb1ELb0ELb0ELb0EEEvPT0_PvPT_S6_S6_PKS5_S8_S8_S8_S8_ffiiiiiiiiiiiii
                                        ; -- End function
	.section	.AMDGPU.csdata,"",@progbits
; Kernel info:
; codeLenInByte = 3540
; NumSgprs: 36
; NumVgprs: 35
; NumAgprs: 0
; TotalNumVgprs: 35
; ScratchSize: 0
; MemoryBound: 0
; FloatMode: 240
; IeeeMode: 1
; LDSByteSize: 16 bytes/workgroup (compile time only)
; SGPRBlocks: 4
; VGPRBlocks: 4
; NumSGPRsForWavesPerEU: 36
; NumVGPRsForWavesPerEU: 35
; AccumOffset: 36
; Occupancy: 8
; WaveLimiterHint : 0
; COMPUTE_PGM_RSRC2:SCRATCH_EN: 0
; COMPUTE_PGM_RSRC2:USER_SGPR: 6
; COMPUTE_PGM_RSRC2:TRAP_HANDLER: 0
; COMPUTE_PGM_RSRC2:TGID_X_EN: 1
; COMPUTE_PGM_RSRC2:TGID_Y_EN: 1
; COMPUTE_PGM_RSRC2:TGID_Z_EN: 0
; COMPUTE_PGM_RSRC2:TIDIG_COMP_CNT: 0
; COMPUTE_PGM_RSRC3_GFX90A:ACCUM_OFFSET: 8
; COMPUTE_PGM_RSRC3_GFX90A:TG_SPLIT: 0
	.section	.text._ZN5aiter35fused_qk_rmsnorm_group_quant_kernelIDF16_N4opus5fp4_tELi128ELi16ELi4ELb0ELb0ELb1ELb0ELb0ELb0EEEvPT0_PvPT_S7_S7_PKS6_S9_S9_S9_S9_ffiiiiiiiiiiiii,"axG",@progbits,_ZN5aiter35fused_qk_rmsnorm_group_quant_kernelIDF16_N4opus5fp4_tELi128ELi16ELi4ELb0ELb0ELb1ELb0ELb0ELb0EEEvPT0_PvPT_S7_S7_PKS6_S9_S9_S9_S9_ffiiiiiiiiiiiii,comdat
	.protected	_ZN5aiter35fused_qk_rmsnorm_group_quant_kernelIDF16_N4opus5fp4_tELi128ELi16ELi4ELb0ELb0ELb1ELb0ELb0ELb0EEEvPT0_PvPT_S7_S7_PKS6_S9_S9_S9_S9_ffiiiiiiiiiiiii ; -- Begin function _ZN5aiter35fused_qk_rmsnorm_group_quant_kernelIDF16_N4opus5fp4_tELi128ELi16ELi4ELb0ELb0ELb1ELb0ELb0ELb0EEEvPT0_PvPT_S7_S7_PKS6_S9_S9_S9_S9_ffiiiiiiiiiiiii
	.globl	_ZN5aiter35fused_qk_rmsnorm_group_quant_kernelIDF16_N4opus5fp4_tELi128ELi16ELi4ELb0ELb0ELb1ELb0ELb0ELb0EEEvPT0_PvPT_S7_S7_PKS6_S9_S9_S9_S9_ffiiiiiiiiiiiii
	.p2align	8
	.type	_ZN5aiter35fused_qk_rmsnorm_group_quant_kernelIDF16_N4opus5fp4_tELi128ELi16ELi4ELb0ELb0ELb1ELb0ELb0ELb0EEEvPT0_PvPT_S7_S7_PKS6_S9_S9_S9_S9_ffiiiiiiiiiiiii,@function
_ZN5aiter35fused_qk_rmsnorm_group_quant_kernelIDF16_N4opus5fp4_tELi128ELi16ELi4ELb0ELb0ELb1ELb0ELb0ELb0EEEvPT0_PvPT_S7_S7_PKS6_S9_S9_S9_S9_ffiiiiiiiiiiiii: ; @_ZN5aiter35fused_qk_rmsnorm_group_quant_kernelIDF16_N4opus5fp4_tELi128ELi16ELi4ELb0ELb0ELb1ELb0ELb0ELb0EEEvPT0_PvPT_S7_S7_PKS6_S9_S9_S9_S9_ffiiiiiiiiiiiii
; %bb.0:
	s_load_dwordx4 s[16:19], s[4:5], 0x50
	s_waitcnt lgkmcnt(0)
	s_cmp_ge_i32 s6, s18
	s_cbranch_scc1 .LBB691_12
; %bb.1:
	s_load_dwordx2 s[12:13], s[4:5], 0x48
	s_load_dwordx2 s[30:31], s[4:5], 0x30
	s_load_dwordx4 s[20:23], s[4:5], 0x60
	s_cmp_lg_u32 s7, 0
	s_cselect_b64 s[14:15], -1, 0
	s_cmp_eq_u32 s7, 0
	s_cselect_b64 vcc, -1, 0
	s_and_b64 s[0:1], vcc, exec
	s_waitcnt lgkmcnt(0)
	s_cselect_b32 s7, s19, s20
	s_add_i32 s0, s7, 1
	s_lshr_b32 s1, s0, 31
	s_add_i32 s0, s0, s1
	s_lshl_b32 s0, s0, 1
	v_lshlrev_b32_e32 v1, 4, v0
	s_and_b32 s10, s0, -4
	v_cmp_gt_i32_e64 s[2:3], s7, v1
	v_mov_b32_e32 v18, 0
	v_mov_b32_e32 v6, 0
	;; [unrolled: 1-line block ×17, first 2 shown]
	s_and_saveexec_b64 s[0:1], s[2:3]
	s_cbranch_execz .LBB691_3
; %bb.2:
	s_load_dwordx2 s[8:9], s[4:5], 0x28
	s_load_dwordx2 s[26:27], s[4:5], 0x40
	s_and_b64 s[24:25], vcc, exec
	s_cselect_b32 s11, s21, s22
	v_lshlrev_b32_e32 v19, 5, v0
	s_waitcnt lgkmcnt(0)
	s_cselect_b32 s18, s9, s31
	s_cselect_b32 s21, s8, s30
	s_mul_hi_i32 s9, s11, s6
	s_mul_i32 s8, s11, s6
	s_lshl_b64 s[8:9], s[8:9], 1
	s_add_u32 s24, s21, s8
	s_addc_u32 s18, s18, s9
	s_and_b64 s[8:9], vcc, exec
	s_mov_b32 s11, 0x20000
	s_cselect_b32 s8, s26, s12
	s_cselect_b32 s9, s27, s13
	s_and_b32 s25, s18, 0xffff
	s_mov_b32 s26, s10
	s_mov_b32 s27, s11
	s_and_b32 s9, s9, 0xffff
	buffer_load_dwordx4 v[14:17], v19, s[24:27], 0 offen
	buffer_load_dwordx4 v[10:13], v19, s[24:27], 16 offen
	;; [unrolled: 1-line block ×4, first 2 shown]
.LBB691_3:
	s_or_b64 exec, exec, s[0:1]
	v_mov_b32_e32 v19, 0
	v_mov_b32_e32 v22, 0
	;; [unrolled: 1-line block ×15, first 2 shown]
	s_and_saveexec_b64 s[0:1], s[2:3]
	s_cbranch_execz .LBB691_5
; %bb.4:
	s_waitcnt vmcnt(3)
	v_cvt_f32_f16_sdwa v19, v14 dst_sel:DWORD dst_unused:UNUSED_PAD src0_sel:WORD_1
	v_cvt_f32_f16_e32 v18, v14
	v_cvt_f32_f16_sdwa v23, v15 dst_sel:DWORD dst_unused:UNUSED_PAD src0_sel:WORD_1
	v_cvt_f32_f16_e32 v22, v15
	;; [unrolled: 2-line block ×4, first 2 shown]
	s_waitcnt vmcnt(2)
	v_cvt_f32_f16_sdwa v27, v10 dst_sel:DWORD dst_unused:UNUSED_PAD src0_sel:WORD_1
	v_cvt_f32_f16_e32 v26, v10
	v_cvt_f32_f16_sdwa v33, v11 dst_sel:DWORD dst_unused:UNUSED_PAD src0_sel:WORD_1
	v_cvt_f32_f16_e32 v32, v11
	;; [unrolled: 2-line block ×4, first 2 shown]
.LBB691_5:
	s_or_b64 exec, exec, s[0:1]
	s_waitcnt vmcnt(2)
	v_mul_f32_e32 v10, v19, v19
	v_fmac_f32_e32 v10, v18, v18
	v_fmac_f32_e32 v10, v22, v22
	;; [unrolled: 1-line block ×15, first 2 shown]
	v_and_b32_e32 v12, 63, v0
	v_cmp_eq_u32_e64 s[0:1], 63, v12
	v_mov_b32_dpp v11, v10 quad_perm:[1,0,3,2] row_mask:0xf bank_mask:0xf
	v_add_f32_e32 v10, v10, v11
	s_nop 1
	v_mov_b32_dpp v11, v10 quad_perm:[2,3,0,1] row_mask:0xf bank_mask:0xf
	v_add_f32_e32 v10, v10, v11
	s_nop 1
	v_mov_b32_dpp v11, v10 row_half_mirror row_mask:0xf bank_mask:0xf
	v_add_f32_e32 v10, v10, v11
	s_nop 1
	v_mov_b32_dpp v11, v10 row_mirror row_mask:0xf bank_mask:0xf
	v_add_f32_e32 v10, v10, v11
	s_nop 1
	v_mov_b32_dpp v11, v10 row_bcast:15 row_mask:0xf bank_mask:0xf
	v_add_f32_e32 v10, v10, v11
	s_nop 1
	v_mov_b32_dpp v11, v10 row_bcast:31 row_mask:0xf bank_mask:0xf
	s_and_saveexec_b64 s[8:9], s[0:1]
	s_cbranch_execz .LBB691_7
; %bb.6:
	v_add_f32_e32 v10, v10, v11
	v_lshrrev_b32_e32 v11, 4, v0
	v_and_b32_e32 v11, 60, v11
	ds_write_b32 v11, v10 offset:8
.LBB691_7:
	s_or_b64 exec, exec, s[8:9]
	v_and_b32_e32 v10, 1, v0
	v_lshlrev_b32_e32 v34, 2, v10
	s_waitcnt lgkmcnt(0)
	s_barrier
	ds_read_b32 v10, v34 offset:8
	s_load_dwordx2 s[28:29], s[4:5], 0x18
	s_waitcnt lgkmcnt(0)
	v_mov_b32_dpp v11, v10 quad_perm:[1,0,3,2] row_mask:0xf bank_mask:0xf
	s_and_saveexec_b64 s[8:9], s[2:3]
	s_cbranch_execz .LBB691_9
; %bb.8:
	v_cvt_f32_u32_e32 v12, s7
	v_add_f32_e32 v10, v10, v11
	v_mov_b32_e32 v14, s17
	v_mov_b32_e32 v15, s16
	v_div_scale_f32 v11, s[24:25], v12, v12, v10
	v_rcp_f32_e32 v13, v11
	v_cndmask_b32_e32 v14, v14, v15, vcc
	s_mov_b32 s7, 0x800000
	v_fma_f32 v15, -v11, v13, 1.0
	v_fmac_f32_e32 v13, v15, v13
	v_div_scale_f32 v15, vcc, v10, v12, v10
	v_mul_f32_e32 v16, v15, v13
	v_fma_f32 v17, -v11, v16, v15
	v_fmac_f32_e32 v16, v17, v13
	v_fma_f32 v11, -v11, v16, v15
	v_div_fmas_f32 v11, v11, v13, v16
	v_div_fixup_f32 v10, v11, v12, v10
	v_add_f32_e32 v10, v14, v10
	v_mul_f32_e32 v11, 0x4b800000, v10
	v_cmp_gt_f32_e32 vcc, s7, v10
	v_cndmask_b32_e32 v10, v10, v11, vcc
	v_rsq_f32_e32 v10, v10
	v_mul_f32_e32 v11, 0x45800000, v10
	v_cndmask_b32_e32 v10, v10, v11, vcc
	v_mov_b32_e32 v11, v10
	;;#ASMSTART
	v_pk_mul_f32 v[12:13], v[18:19], v[10:11]
	;;#ASMEND
	s_waitcnt vmcnt(1)
	v_cvt_f32_f16_sdwa v19, v6 dst_sel:DWORD dst_unused:UNUSED_PAD src0_sel:WORD_1
	v_cvt_f32_f16_e32 v18, v6
	;;#ASMSTART
	v_pk_mul_f32 v[14:15], v[22:23], v[10:11]
	;;#ASMEND
	;;#ASMSTART
	v_pk_mul_f32 v[16:17], v[20:21], v[10:11]
	;;#ASMEND
	v_cvt_f32_f16_sdwa v21, v7 dst_sel:DWORD dst_unused:UNUSED_PAD src0_sel:WORD_1
	v_cvt_f32_f16_e32 v20, v7
	;;#ASMSTART
	v_pk_mul_f32 v[28:29], v[28:29], v[10:11]
	;;#ASMEND
	;;#ASMSTART
	v_pk_mul_f32 v[26:27], v[26:27], v[10:11]
	;;#ASMEND
	;; [unrolled: 3-line block ×5, first 2 shown]
	v_pk_add_f32 v[10:11], v[18:19], 1.0 op_sel_hi:[1,0]
	;;#ASMSTART
	v_pk_mul_f32 v[18:19], v[12:13], v[10:11]
	;;#ASMEND
	v_cvt_f32_f16_sdwa v13, v8 dst_sel:DWORD dst_unused:UNUSED_PAD src0_sel:WORD_1
	v_cvt_f32_f16_e32 v12, v8
	v_cvt_f32_f16_sdwa v25, v9 dst_sel:DWORD dst_unused:UNUSED_PAD src0_sel:WORD_1
	v_cvt_f32_f16_e32 v24, v9
	v_pk_add_f32 v[10:11], v[20:21], 1.0 op_sel_hi:[1,0]
	;;#ASMSTART
	v_pk_mul_f32 v[22:23], v[14:15], v[10:11]
	;;#ASMEND
	s_waitcnt vmcnt(0)
	v_cvt_f32_f16_sdwa v11, v2 dst_sel:DWORD dst_unused:UNUSED_PAD src0_sel:WORD_1
	v_cvt_f32_f16_e32 v10, v2
	v_pk_add_f32 v[8:9], v[12:13], 1.0 op_sel_hi:[1,0]
	;;#ASMSTART
	v_pk_mul_f32 v[20:21], v[16:17], v[8:9]
	;;#ASMEND
	v_pk_add_f32 v[8:9], v[24:25], 1.0 op_sel_hi:[1,0]
	v_cvt_f32_f16_sdwa v13, v3 dst_sel:DWORD dst_unused:UNUSED_PAD src0_sel:WORD_1
	v_cvt_f32_f16_e32 v12, v3
	;;#ASMSTART
	v_pk_mul_f32 v[28:29], v[28:29], v[8:9]
	;;#ASMEND
	v_cvt_f32_f16_sdwa v9, v4 dst_sel:DWORD dst_unused:UNUSED_PAD src0_sel:WORD_1
	v_cvt_f32_f16_e32 v8, v4
	v_pk_add_f32 v[2:3], v[10:11], 1.0 op_sel_hi:[1,0]
	v_cvt_f32_f16_sdwa v11, v5 dst_sel:DWORD dst_unused:UNUSED_PAD src0_sel:WORD_1
	v_cvt_f32_f16_e32 v10, v5
	;;#ASMSTART
	v_pk_mul_f32 v[26:27], v[26:27], v[2:3]
	;;#ASMEND
	v_pk_add_f32 v[2:3], v[12:13], 1.0 op_sel_hi:[1,0]
	;;#ASMSTART
	v_pk_mul_f32 v[32:33], v[32:33], v[2:3]
	;;#ASMEND
	v_pk_add_f32 v[2:3], v[8:9], 1.0 op_sel_hi:[1,0]
	;; [unrolled: 4-line block ×3, first 2 shown]
	;;#ASMSTART
	v_pk_mul_f32 v[24:25], v[6:7], v[2:3]
	;;#ASMEND
.LBB691_9:
	s_or_b64 exec, exec, s[8:9]
	s_load_dword s7, s[4:5], 0x80
	s_mov_b64 s[8:9], -1
	s_and_b64 vcc, exec, s[14:15]
	s_cbranch_vccnz .LBB691_13
; %bb.10:
	s_andn2_b64 vcc, exec, s[8:9]
	s_cbranch_vccz .LBB691_16
.LBB691_11:
	s_cmp_lt_i32 s20, 1
	s_cbranch_scc0 .LBB691_23
.LBB691_12:
	s_endpgm
.LBB691_13:
	s_and_saveexec_b64 s[14:15], s[2:3]
	s_cbranch_execz .LBB691_15
; %bb.14:
	s_waitcnt lgkmcnt(0)
	s_mul_hi_i32 s9, s7, s6
	s_mul_i32 s8, s7, s6
	s_waitcnt vmcnt(0)
	v_cvt_f16_f32_e32 v2, v18
	v_cvt_f16_f32_e32 v3, v22
	;; [unrolled: 1-line block ×8, first 2 shown]
	s_lshl_b64 s[8:9], s[8:9], 1
	s_add_u32 s8, s28, s8
	s_addc_u32 s9, s29, s9
	s_and_b32 s9, s9, 0xffff
	s_mov_b32 s11, 0x20000
	v_pack_b32_f16 v5, v5, v6
	v_pack_b32_f16 v4, v4, v7
	;; [unrolled: 1-line block ×4, first 2 shown]
	v_lshlrev_b32_e32 v6, 5, v0
	buffer_store_dwordx4 v[2:5], v6, s[8:11], 0 offen
	v_cvt_f16_f32_e32 v7, v25
	v_cvt_f16_f32_e32 v2, v26
	;; [unrolled: 1-line block ×8, first 2 shown]
	v_pack_b32_f16 v5, v5, v7
	v_pack_b32_f16 v4, v4, v8
	;; [unrolled: 1-line block ×4, first 2 shown]
	;;#ASMSTART
	s_nop 0
	;;#ASMEND
	buffer_store_dwordx4 v[2:5], v6, s[8:11], 16 offen
	;;#ASMSTART
	s_nop 0
	;;#ASMEND
.LBB691_15:
	s_or_b64 exec, exec, s[14:15]
	s_cbranch_execnz .LBB691_11
.LBB691_16:
	s_waitcnt vmcnt(0)
	v_mov_b32_e32 v2, 0
	s_and_saveexec_b64 s[8:9], s[2:3]
	s_cbranch_execz .LBB691_18
; %bb.17:
	v_and_b32_e32 v2, 0x7fffffff, v18
	v_and_b32_e32 v3, 0x7fffffff, v19
	v_mov_b32_e32 v4, 0x2edbe6ff
	;;#ASMSTART
	v_max3_f32 v2, v4, v2, v3

	;;#ASMEND
	v_and_b32_e32 v3, 0x7fffffff, v22
	v_and_b32_e32 v4, 0x7fffffff, v23
	;;#ASMSTART
	v_max3_f32 v2, v2, v3, v4

	;;#ASMEND
	v_and_b32_e32 v3, 0x7fffffff, v20
	v_and_b32_e32 v4, 0x7fffffff, v21
	;; [unrolled: 6-line block ×7, first 2 shown]
	;;#ASMSTART
	v_max3_f32 v2, v2, v3, v4

	;;#ASMEND
.LBB691_18:
	s_or_b64 exec, exec, s[8:9]
	s_load_dwordx4 s[24:27], s[4:5], 0x70
	;;#ASMSTART
	v_max_f32 v3, v2, v2 quad_perm:[1,0,3,2] row_mask:0xf bank_mask:0xf bound_ctrl:1
	;;#ASMEND
	;;#ASMSTART
	v_max_f32 v2, v3, v3 quad_perm:[2,3,0,1] row_mask:0xf bank_mask:0xf bound_ctrl:1
	;;#ASMEND
	v_and_b32_e32 v3, 3, v0
	v_cmp_eq_u32_e32 vcc, 0, v3
	v_cmp_gt_i32_e64 s[8:9], s19, v1
	s_and_b64 s[10:11], vcc, s[8:9]
	s_and_saveexec_b64 s[8:9], s[10:11]
	s_cbranch_execz .LBB691_20
; %bb.19:
	s_load_dwordx2 s[10:11], s[4:5], 0x8
	v_mul_f32_e32 v2, 0x3e2aaaab, v2
	v_lshrrev_b32_e32 v3, 23, v2
	v_and_b32_e32 v4, 0x7f800000, v2
	v_and_b32_e32 v2, 0x7fffff, v2
	v_cmp_ne_u32_e32 vcc, 0, v2
	s_waitcnt lgkmcnt(0)
	s_mul_i32 s16, s25, s6
	s_mov_b32 s14, 0x7f800000
	v_addc_co_u32_e32 v2, vcc, 0, v3, vcc
	s_mul_hi_i32 s15, s25, s6
	s_add_u32 s10, s10, s16
	v_cmp_ne_u32_e32 vcc, s14, v4
	s_addc_u32 s11, s11, s15
	v_lshrrev_b32_e32 v5, 2, v0
	v_cndmask_b32_e32 v4, -1, v2, vcc
	v_pk_mov_b32 v[2:3], s[10:11], s[10:11] op_sel:[0,1]
	v_mad_i64_i32 v[2:3], s[10:11], s26, v5, v[2:3]
	global_store_byte v[2:3], v4, off
.LBB691_20:
	s_or_b64 exec, exec, s[8:9]
	s_and_saveexec_b64 s[8:9], s[2:3]
	s_cbranch_execz .LBB691_22
; %bb.21:
	s_load_dwordx2 s[2:3], s[4:5], 0x0
	s_waitcnt lgkmcnt(0)
	s_mul_i32 s11, s24, s6
	s_mul_hi_i32 s10, s24, s6
	v_mov_b32_e32 v2, 0
	v_lshlrev_b32_e32 v4, 3, v0
	s_add_u32 s24, s2, s11
	s_addc_u32 s2, s3, s10
	s_lshr_b32 s3, s19, 31
	s_add_i32 s3, s19, s3
	s_ashr_i32 s3, s3, 1
	s_add_i32 s3, s3, 3
	s_ashr_i32 s10, s3, 31
	s_lshr_b32 s10, s10, 30
	s_add_i32 s3, s3, s10
	s_and_b32 s26, s3, -4
	s_and_b32 s25, s2, 0xffff
	s_mov_b32 s27, 0x20000
	v_mov_b32_e32 v3, v2
	buffer_store_dwordx2 v[2:3], v4, s[24:27], 0 offen
	;;#ASMSTART
	s_nop 0
	;;#ASMEND
.LBB691_22:
	s_or_b64 exec, exec, s[8:9]
	s_cmp_lt_i32 s20, 1
	s_cbranch_scc1 .LBB691_12
.LBB691_23:
	s_load_dword s2, s[4:5], 0x94
	s_waitcnt lgkmcnt(0)
	s_cmp_lg_u32 s2, 1
	s_cbranch_scc1 .LBB691_12
; %bb.24:
	s_lshl_b32 s2, s20, 1
	s_add_i32 s2, s2, 2
	v_cmp_gt_u32_e32 vcc, s20, v1
	s_and_b32 s14, s2, -4
	v_mov_b32_e32 v18, 0
	v_lshlrev_b32_e32 v1, 5, v0
	v_mov_b32_e32 v14, 0
	v_mov_b32_e32 v15, 0
	v_mov_b32_e32 v16, 0
	v_mov_b32_e32 v17, 0
	v_mov_b32_e32 v10, 0
	v_mov_b32_e32 v11, 0
	v_mov_b32_e32 v12, 0
	v_mov_b32_e32 v13, 0
	s_waitcnt vmcnt(1)
	v_mov_b32_e32 v6, 0
	v_mov_b32_e32 v7, 0
	;; [unrolled: 1-line block ×4, first 2 shown]
	s_waitcnt vmcnt(0)
	v_mov_b32_e32 v2, 0
	v_mov_b32_e32 v3, 0
	;; [unrolled: 1-line block ×4, first 2 shown]
	s_barrier
	s_and_saveexec_b64 s[2:3], vcc
	s_cbranch_execz .LBB691_26
; %bb.25:
	s_mul_hi_i32 s5, s22, s6
	s_mul_i32 s4, s22, s6
	s_and_b32 s13, s13, 0xffff
	s_lshl_b64 s[4:5], s[4:5], 1
	s_add_u32 s8, s30, s4
	s_mov_b32 s15, 0x20000
	s_addc_u32 s4, s31, s5
	s_and_b32 s9, s4, 0xffff
	s_mov_b32 s10, s14
	s_mov_b32 s11, s15
	buffer_load_dwordx4 v[14:17], v1, s[8:11], 0 offen
	buffer_load_dwordx4 v[10:13], v1, s[8:11], 16 offen
	;; [unrolled: 1-line block ×4, first 2 shown]
.LBB691_26:
	s_or_b64 exec, exec, s[2:3]
	v_mov_b32_e32 v19, 0
	v_mov_b32_e32 v32, 0
	;; [unrolled: 1-line block ×15, first 2 shown]
	s_and_saveexec_b64 s[2:3], vcc
	s_cbranch_execz .LBB691_28
; %bb.27:
	s_waitcnt vmcnt(3)
	v_cvt_f32_f16_sdwa v19, v14 dst_sel:DWORD dst_unused:UNUSED_PAD src0_sel:WORD_1
	v_cvt_f32_f16_e32 v18, v14
	v_cvt_f32_f16_sdwa v33, v15 dst_sel:DWORD dst_unused:UNUSED_PAD src0_sel:WORD_1
	v_cvt_f32_f16_e32 v32, v15
	;; [unrolled: 2-line block ×4, first 2 shown]
	s_waitcnt vmcnt(2)
	v_cvt_f32_f16_sdwa v27, v10 dst_sel:DWORD dst_unused:UNUSED_PAD src0_sel:WORD_1
	v_cvt_f32_f16_e32 v26, v10
	v_cvt_f32_f16_sdwa v25, v11 dst_sel:DWORD dst_unused:UNUSED_PAD src0_sel:WORD_1
	v_cvt_f32_f16_e32 v24, v11
	;; [unrolled: 2-line block ×4, first 2 shown]
.LBB691_28:
	s_or_b64 exec, exec, s[2:3]
	s_waitcnt vmcnt(2)
	v_mul_f32_e32 v10, v19, v19
	v_fmac_f32_e32 v10, v18, v18
	v_fmac_f32_e32 v10, v32, v32
	;; [unrolled: 1-line block ×15, first 2 shown]
	s_nop 1
	v_mov_b32_dpp v11, v10 quad_perm:[1,0,3,2] row_mask:0xf bank_mask:0xf
	v_add_f32_e32 v10, v10, v11
	s_nop 1
	v_mov_b32_dpp v11, v10 quad_perm:[2,3,0,1] row_mask:0xf bank_mask:0xf
	v_add_f32_e32 v10, v10, v11
	s_nop 1
	v_mov_b32_dpp v11, v10 row_half_mirror row_mask:0xf bank_mask:0xf
	v_add_f32_e32 v10, v10, v11
	s_nop 1
	v_mov_b32_dpp v11, v10 row_mirror row_mask:0xf bank_mask:0xf
	v_add_f32_e32 v10, v10, v11
	s_nop 1
	v_mov_b32_dpp v11, v10 row_bcast:15 row_mask:0xf bank_mask:0xf
	v_add_f32_e32 v10, v10, v11
	s_nop 1
	v_mov_b32_dpp v11, v10 row_bcast:31 row_mask:0xf bank_mask:0xf
	s_and_saveexec_b64 s[2:3], s[0:1]
	s_cbranch_execz .LBB691_30
; %bb.29:
	v_lshrrev_b32_e32 v0, 4, v0
	v_add_f32_e32 v10, v10, v11
	v_and_b32_e32 v0, 60, v0
	ds_write_b32 v0, v10
.LBB691_30:
	s_or_b64 exec, exec, s[2:3]
	s_waitcnt lgkmcnt(0)
	s_barrier
	ds_read_b32 v0, v34
	s_waitcnt lgkmcnt(0)
	s_nop 0
	v_mov_b32_dpp v10, v0 quad_perm:[1,0,3,2] row_mask:0xf bank_mask:0xf
	s_and_saveexec_b64 s[0:1], vcc
	s_cbranch_execz .LBB691_12
; %bb.31:
	v_cvt_f32_u32_e32 v11, s20
	v_add_f32_e32 v0, v0, v10
	s_mov_b32 s15, 0x20000
	v_div_scale_f32 v10, s[0:1], v11, v11, v0
	v_rcp_f32_e32 v12, v10
	v_div_scale_f32 v13, vcc, v0, v11, v0
	s_mov_b32 s0, 0x800000
	v_fma_f32 v14, -v10, v12, 1.0
	v_fmac_f32_e32 v12, v14, v12
	v_mul_f32_e32 v14, v13, v12
	v_fma_f32 v15, -v10, v14, v13
	v_fmac_f32_e32 v14, v15, v12
	v_fma_f32 v10, -v10, v14, v13
	v_div_fmas_f32 v10, v10, v12, v14
	v_div_fixup_f32 v0, v10, v11, v0
	v_add_f32_e32 v0, s17, v0
	v_mul_f32_e32 v10, 0x4b800000, v0
	v_cmp_gt_f32_e32 vcc, s0, v0
	v_cndmask_b32_e32 v0, v0, v10, vcc
	v_rsq_f32_e32 v0, v0
	s_mul_hi_i32 s1, s7, s6
	s_mul_i32 s0, s7, s6
	s_lshl_b64 s[0:1], s[0:1], 1
	v_mul_f32_e32 v10, 0x45800000, v0
	v_cndmask_b32_e32 v10, v0, v10, vcc
	v_mov_b32_e32 v11, v10
	;;#ASMSTART
	v_pk_mul_f32 v[12:13], v[18:19], v[10:11]
	;;#ASMEND
	;;#ASMSTART
	v_pk_mul_f32 v[14:15], v[32:33], v[10:11]
	;;#ASMEND
	;; [unrolled: 3-line block ×4, first 2 shown]
	s_waitcnt vmcnt(1)
	v_cvt_f32_f16_sdwa v29, v6 dst_sel:DWORD dst_unused:UNUSED_PAD src0_sel:WORD_1
	v_cvt_f32_f16_e32 v28, v6
	v_cvt_f32_f16_sdwa v31, v7 dst_sel:DWORD dst_unused:UNUSED_PAD src0_sel:WORD_1
	v_cvt_f32_f16_e32 v30, v7
	;;#ASMSTART
	v_pk_mul_f32 v[26:27], v[26:27], v[10:11]
	;;#ASMEND
	;;#ASMSTART
	v_pk_mul_f32 v[24:25], v[24:25], v[10:11]
	;;#ASMEND
	;; [unrolled: 3-line block ×4, first 2 shown]
	v_cvt_f32_f16_sdwa v21, v8 dst_sel:DWORD dst_unused:UNUSED_PAD src0_sel:WORD_1
	v_cvt_f32_f16_e32 v20, v8
	v_pk_add_f32 v[10:11], v[28:29], 1.0 op_sel_hi:[1,0]
	;;#ASMSTART
	v_pk_mul_f32 v[10:11], v[12:13], v[10:11]
	;;#ASMEND
	v_pk_add_f32 v[12:13], v[30:31], 1.0 op_sel_hi:[1,0]
	v_cvt_f32_f16_sdwa v29, v9 dst_sel:DWORD dst_unused:UNUSED_PAD src0_sel:WORD_1
	v_cvt_f32_f16_e32 v28, v9
	;;#ASMSTART
	v_pk_mul_f32 v[8:9], v[14:15], v[12:13]
	;;#ASMEND
	v_pk_add_f32 v[12:13], v[20:21], 1.0 op_sel_hi:[1,0]
	;;#ASMSTART
	v_pk_mul_f32 v[12:13], v[16:17], v[12:13]
	;;#ASMEND
	s_waitcnt vmcnt(0)
	v_cvt_f32_f16_sdwa v17, v2 dst_sel:DWORD dst_unused:UNUSED_PAD src0_sel:WORD_1
	v_cvt_f32_f16_e32 v16, v2
	v_cvt_f32_f16_sdwa v21, v3 dst_sel:DWORD dst_unused:UNUSED_PAD src0_sel:WORD_1
	v_cvt_f32_f16_e32 v20, v3
	v_pk_add_f32 v[14:15], v[28:29], 1.0 op_sel_hi:[1,0]
	;;#ASMSTART
	v_pk_mul_f32 v[2:3], v[18:19], v[14:15]
	;;#ASMEND
	v_cvt_f32_f16_sdwa v19, v4 dst_sel:DWORD dst_unused:UNUSED_PAD src0_sel:WORD_1
	v_cvt_f32_f16_e32 v18, v4
	v_pk_add_f32 v[14:15], v[16:17], 1.0 op_sel_hi:[1,0]
	v_pk_add_f32 v[16:17], v[20:21], 1.0 op_sel_hi:[1,0]
	v_cvt_f32_f16_sdwa v21, v5 dst_sel:DWORD dst_unused:UNUSED_PAD src0_sel:WORD_1
	v_cvt_f32_f16_e32 v20, v5
	v_pk_add_f32 v[4:5], v[18:19], 1.0 op_sel_hi:[1,0]
	;;#ASMSTART
	v_pk_mul_f32 v[14:15], v[26:27], v[14:15]
	;;#ASMEND
	;;#ASMSTART
	v_pk_mul_f32 v[16:17], v[24:25], v[16:17]
	;;#ASMEND
	;;#ASMSTART
	v_pk_mul_f32 v[18:19], v[22:23], v[4:5]
	;;#ASMEND
	v_pk_add_f32 v[4:5], v[20:21], 1.0 op_sel_hi:[1,0]
	;;#ASMSTART
	v_pk_mul_f32 v[6:7], v[6:7], v[4:5]
	;;#ASMEND
	v_cvt_f16_f32_e32 v0, v10
	v_cvt_f16_f32_e32 v4, v11
	;; [unrolled: 1-line block ×8, first 2 shown]
	s_add_u32 s12, s28, s0
	s_addc_u32 s0, s29, s1
	s_and_b32 s13, s0, 0xffff
	v_pack_b32_f16 v2, v0, v4
	v_pack_b32_f16 v3, v5, v8
	;; [unrolled: 1-line block ×4, first 2 shown]
	buffer_store_dwordx4 v[2:5], v1, s[12:15], 0 offen
	v_cvt_f16_f32_e32 v0, v14
	v_cvt_f16_f32_e32 v2, v15
	;; [unrolled: 1-line block ×8, first 2 shown]
	v_pack_b32_f16 v2, v0, v2
	v_pack_b32_f16 v3, v3, v4
	;; [unrolled: 1-line block ×4, first 2 shown]
	;;#ASMSTART
	s_nop 0
	;;#ASMEND
	buffer_store_dwordx4 v[2:5], v1, s[12:15], 16 offen
	;;#ASMSTART
	s_nop 0
	;;#ASMEND
	s_endpgm
	.section	.rodata,"a",@progbits
	.p2align	6, 0x0
	.amdhsa_kernel _ZN5aiter35fused_qk_rmsnorm_group_quant_kernelIDF16_N4opus5fp4_tELi128ELi16ELi4ELb0ELb0ELb1ELb0ELb0ELb0EEEvPT0_PvPT_S7_S7_PKS6_S9_S9_S9_S9_ffiiiiiiiiiiiii
		.amdhsa_group_segment_fixed_size 16
		.amdhsa_private_segment_fixed_size 0
		.amdhsa_kernarg_size 400
		.amdhsa_user_sgpr_count 6
		.amdhsa_user_sgpr_private_segment_buffer 1
		.amdhsa_user_sgpr_dispatch_ptr 0
		.amdhsa_user_sgpr_queue_ptr 0
		.amdhsa_user_sgpr_kernarg_segment_ptr 1
		.amdhsa_user_sgpr_dispatch_id 0
		.amdhsa_user_sgpr_flat_scratch_init 0
		.amdhsa_user_sgpr_kernarg_preload_length 0
		.amdhsa_user_sgpr_kernarg_preload_offset 0
		.amdhsa_user_sgpr_private_segment_size 0
		.amdhsa_uses_dynamic_stack 0
		.amdhsa_system_sgpr_private_segment_wavefront_offset 0
		.amdhsa_system_sgpr_workgroup_id_x 1
		.amdhsa_system_sgpr_workgroup_id_y 1
		.amdhsa_system_sgpr_workgroup_id_z 0
		.amdhsa_system_sgpr_workgroup_info 0
		.amdhsa_system_vgpr_workitem_id 0
		.amdhsa_next_free_vgpr 35
		.amdhsa_next_free_sgpr 32
		.amdhsa_accum_offset 36
		.amdhsa_reserve_vcc 1
		.amdhsa_reserve_flat_scratch 0
		.amdhsa_float_round_mode_32 0
		.amdhsa_float_round_mode_16_64 0
		.amdhsa_float_denorm_mode_32 3
		.amdhsa_float_denorm_mode_16_64 3
		.amdhsa_dx10_clamp 1
		.amdhsa_ieee_mode 1
		.amdhsa_fp16_overflow 0
		.amdhsa_tg_split 0
		.amdhsa_exception_fp_ieee_invalid_op 0
		.amdhsa_exception_fp_denorm_src 0
		.amdhsa_exception_fp_ieee_div_zero 0
		.amdhsa_exception_fp_ieee_overflow 0
		.amdhsa_exception_fp_ieee_underflow 0
		.amdhsa_exception_fp_ieee_inexact 0
		.amdhsa_exception_int_div_zero 0
	.end_amdhsa_kernel
	.section	.text._ZN5aiter35fused_qk_rmsnorm_group_quant_kernelIDF16_N4opus5fp4_tELi128ELi16ELi4ELb0ELb0ELb1ELb0ELb0ELb0EEEvPT0_PvPT_S7_S7_PKS6_S9_S9_S9_S9_ffiiiiiiiiiiiii,"axG",@progbits,_ZN5aiter35fused_qk_rmsnorm_group_quant_kernelIDF16_N4opus5fp4_tELi128ELi16ELi4ELb0ELb0ELb1ELb0ELb0ELb0EEEvPT0_PvPT_S7_S7_PKS6_S9_S9_S9_S9_ffiiiiiiiiiiiii,comdat
.Lfunc_end691:
	.size	_ZN5aiter35fused_qk_rmsnorm_group_quant_kernelIDF16_N4opus5fp4_tELi128ELi16ELi4ELb0ELb0ELb1ELb0ELb0ELb0EEEvPT0_PvPT_S7_S7_PKS6_S9_S9_S9_S9_ffiiiiiiiiiiiii, .Lfunc_end691-_ZN5aiter35fused_qk_rmsnorm_group_quant_kernelIDF16_N4opus5fp4_tELi128ELi16ELi4ELb0ELb0ELb1ELb0ELb0ELb0EEEvPT0_PvPT_S7_S7_PKS6_S9_S9_S9_S9_ffiiiiiiiiiiiii
                                        ; -- End function
	.section	.AMDGPU.csdata,"",@progbits
; Kernel info:
; codeLenInByte = 3208
; NumSgprs: 36
; NumVgprs: 35
; NumAgprs: 0
; TotalNumVgprs: 35
; ScratchSize: 0
; MemoryBound: 0
; FloatMode: 240
; IeeeMode: 1
; LDSByteSize: 16 bytes/workgroup (compile time only)
; SGPRBlocks: 4
; VGPRBlocks: 4
; NumSGPRsForWavesPerEU: 36
; NumVGPRsForWavesPerEU: 35
; AccumOffset: 36
; Occupancy: 8
; WaveLimiterHint : 0
; COMPUTE_PGM_RSRC2:SCRATCH_EN: 0
; COMPUTE_PGM_RSRC2:USER_SGPR: 6
; COMPUTE_PGM_RSRC2:TRAP_HANDLER: 0
; COMPUTE_PGM_RSRC2:TGID_X_EN: 1
; COMPUTE_PGM_RSRC2:TGID_Y_EN: 1
; COMPUTE_PGM_RSRC2:TGID_Z_EN: 0
; COMPUTE_PGM_RSRC2:TIDIG_COMP_CNT: 0
; COMPUTE_PGM_RSRC3_GFX90A:ACCUM_OFFSET: 8
; COMPUTE_PGM_RSRC3_GFX90A:TG_SPLIT: 0
	.section	.text._ZN5aiter35fused_qk_rmsnorm_group_quant_kernelItN4opus5fp4_tELi128ELi16ELi4ELb0ELb0ELb1ELb0ELb0ELb0EEEvPT0_PvPT_S7_S7_PKS6_S9_S9_S9_S9_ffiiiiiiiiiiiii,"axG",@progbits,_ZN5aiter35fused_qk_rmsnorm_group_quant_kernelItN4opus5fp4_tELi128ELi16ELi4ELb0ELb0ELb1ELb0ELb0ELb0EEEvPT0_PvPT_S7_S7_PKS6_S9_S9_S9_S9_ffiiiiiiiiiiiii,comdat
	.protected	_ZN5aiter35fused_qk_rmsnorm_group_quant_kernelItN4opus5fp4_tELi128ELi16ELi4ELb0ELb0ELb1ELb0ELb0ELb0EEEvPT0_PvPT_S7_S7_PKS6_S9_S9_S9_S9_ffiiiiiiiiiiiii ; -- Begin function _ZN5aiter35fused_qk_rmsnorm_group_quant_kernelItN4opus5fp4_tELi128ELi16ELi4ELb0ELb0ELb1ELb0ELb0ELb0EEEvPT0_PvPT_S7_S7_PKS6_S9_S9_S9_S9_ffiiiiiiiiiiiii
	.globl	_ZN5aiter35fused_qk_rmsnorm_group_quant_kernelItN4opus5fp4_tELi128ELi16ELi4ELb0ELb0ELb1ELb0ELb0ELb0EEEvPT0_PvPT_S7_S7_PKS6_S9_S9_S9_S9_ffiiiiiiiiiiiii
	.p2align	8
	.type	_ZN5aiter35fused_qk_rmsnorm_group_quant_kernelItN4opus5fp4_tELi128ELi16ELi4ELb0ELb0ELb1ELb0ELb0ELb0EEEvPT0_PvPT_S7_S7_PKS6_S9_S9_S9_S9_ffiiiiiiiiiiiii,@function
_ZN5aiter35fused_qk_rmsnorm_group_quant_kernelItN4opus5fp4_tELi128ELi16ELi4ELb0ELb0ELb1ELb0ELb0ELb0EEEvPT0_PvPT_S7_S7_PKS6_S9_S9_S9_S9_ffiiiiiiiiiiiii: ; @_ZN5aiter35fused_qk_rmsnorm_group_quant_kernelItN4opus5fp4_tELi128ELi16ELi4ELb0ELb0ELb1ELb0ELb0ELb0EEEvPT0_PvPT_S7_S7_PKS6_S9_S9_S9_S9_ffiiiiiiiiiiiii
; %bb.0:
	s_load_dwordx4 s[16:19], s[4:5], 0x50
	s_waitcnt lgkmcnt(0)
	s_cmp_ge_i32 s6, s18
	s_cbranch_scc1 .LBB692_12
; %bb.1:
	s_load_dwordx2 s[12:13], s[4:5], 0x48
	s_load_dwordx2 s[30:31], s[4:5], 0x30
	s_load_dwordx4 s[20:23], s[4:5], 0x60
	s_cmp_lg_u32 s7, 0
	s_cselect_b64 s[14:15], -1, 0
	s_cmp_eq_u32 s7, 0
	s_cselect_b64 vcc, -1, 0
	s_and_b64 s[0:1], vcc, exec
	s_waitcnt lgkmcnt(0)
	s_cselect_b32 s7, s19, s20
	s_add_i32 s0, s7, 1
	s_lshr_b32 s1, s0, 31
	s_add_i32 s0, s0, s1
	s_lshl_b32 s0, s0, 1
	v_lshlrev_b32_e32 v1, 4, v0
	s_and_b32 s10, s0, -4
	v_cmp_gt_i32_e64 s[2:3], s7, v1
	v_mov_b32_e32 v18, 0
	v_mov_b32_e32 v6, 0
	;; [unrolled: 1-line block ×17, first 2 shown]
	s_and_saveexec_b64 s[0:1], s[2:3]
	s_cbranch_execz .LBB692_3
; %bb.2:
	s_load_dwordx2 s[8:9], s[4:5], 0x28
	s_load_dwordx2 s[26:27], s[4:5], 0x40
	s_and_b64 s[24:25], vcc, exec
	s_cselect_b32 s11, s21, s22
	v_lshlrev_b32_e32 v19, 5, v0
	s_waitcnt lgkmcnt(0)
	s_cselect_b32 s18, s9, s31
	s_cselect_b32 s21, s8, s30
	s_mul_hi_i32 s9, s11, s6
	s_mul_i32 s8, s11, s6
	s_lshl_b64 s[8:9], s[8:9], 1
	s_add_u32 s24, s21, s8
	s_addc_u32 s18, s18, s9
	s_and_b64 s[8:9], vcc, exec
	s_mov_b32 s11, 0x20000
	s_cselect_b32 s8, s26, s12
	s_cselect_b32 s9, s27, s13
	s_and_b32 s25, s18, 0xffff
	s_mov_b32 s26, s10
	s_mov_b32 s27, s11
	s_and_b32 s9, s9, 0xffff
	buffer_load_dwordx4 v[14:17], v19, s[24:27], 0 offen
	buffer_load_dwordx4 v[10:13], v19, s[24:27], 16 offen
	;; [unrolled: 1-line block ×4, first 2 shown]
.LBB692_3:
	s_or_b64 exec, exec, s[0:1]
	v_mov_b32_e32 v19, 0
	v_mov_b32_e32 v22, 0
	;; [unrolled: 1-line block ×15, first 2 shown]
	s_and_saveexec_b64 s[0:1], s[2:3]
	s_cbranch_execz .LBB692_5
; %bb.4:
	s_waitcnt vmcnt(3)
	v_cvt_f32_u32_sdwa v18, v14 dst_sel:DWORD dst_unused:UNUSED_PAD src0_sel:WORD_0
	v_cvt_f32_u32_sdwa v19, v14 dst_sel:DWORD dst_unused:UNUSED_PAD src0_sel:WORD_1
	v_cvt_f32_u32_sdwa v22, v15 dst_sel:DWORD dst_unused:UNUSED_PAD src0_sel:WORD_0
	v_cvt_f32_u32_sdwa v23, v15 dst_sel:DWORD dst_unused:UNUSED_PAD src0_sel:WORD_1
	;; [unrolled: 2-line block ×4, first 2 shown]
	s_waitcnt vmcnt(2)
	v_cvt_f32_u32_sdwa v24, v10 dst_sel:DWORD dst_unused:UNUSED_PAD src0_sel:WORD_0
	v_cvt_f32_u32_sdwa v25, v10 dst_sel:DWORD dst_unused:UNUSED_PAD src0_sel:WORD_1
	v_cvt_f32_u32_sdwa v32, v11 dst_sel:DWORD dst_unused:UNUSED_PAD src0_sel:WORD_0
	v_cvt_f32_u32_sdwa v33, v11 dst_sel:DWORD dst_unused:UNUSED_PAD src0_sel:WORD_1
	;; [unrolled: 2-line block ×4, first 2 shown]
.LBB692_5:
	s_or_b64 exec, exec, s[0:1]
	s_waitcnt vmcnt(2)
	v_mul_f32_e32 v10, v19, v19
	v_fmac_f32_e32 v10, v18, v18
	v_fmac_f32_e32 v10, v22, v22
	;; [unrolled: 1-line block ×15, first 2 shown]
	v_and_b32_e32 v12, 63, v0
	v_cmp_eq_u32_e64 s[0:1], 63, v12
	v_mov_b32_dpp v11, v10 quad_perm:[1,0,3,2] row_mask:0xf bank_mask:0xf
	v_add_f32_e32 v10, v10, v11
	s_nop 1
	v_mov_b32_dpp v11, v10 quad_perm:[2,3,0,1] row_mask:0xf bank_mask:0xf
	v_add_f32_e32 v10, v10, v11
	s_nop 1
	v_mov_b32_dpp v11, v10 row_half_mirror row_mask:0xf bank_mask:0xf
	v_add_f32_e32 v10, v10, v11
	s_nop 1
	v_mov_b32_dpp v11, v10 row_mirror row_mask:0xf bank_mask:0xf
	v_add_f32_e32 v10, v10, v11
	s_nop 1
	v_mov_b32_dpp v11, v10 row_bcast:15 row_mask:0xf bank_mask:0xf
	v_add_f32_e32 v10, v10, v11
	s_nop 1
	v_mov_b32_dpp v11, v10 row_bcast:31 row_mask:0xf bank_mask:0xf
	s_and_saveexec_b64 s[8:9], s[0:1]
	s_cbranch_execz .LBB692_7
; %bb.6:
	v_add_f32_e32 v10, v10, v11
	v_lshrrev_b32_e32 v11, 4, v0
	v_and_b32_e32 v11, 60, v11
	ds_write_b32 v11, v10 offset:8
.LBB692_7:
	s_or_b64 exec, exec, s[8:9]
	v_and_b32_e32 v10, 1, v0
	v_lshlrev_b32_e32 v34, 2, v10
	s_waitcnt lgkmcnt(0)
	s_barrier
	ds_read_b32 v10, v34 offset:8
	s_load_dwordx2 s[28:29], s[4:5], 0x18
	s_waitcnt lgkmcnt(0)
	v_mov_b32_dpp v11, v10 quad_perm:[1,0,3,2] row_mask:0xf bank_mask:0xf
	s_and_saveexec_b64 s[8:9], s[2:3]
	s_cbranch_execz .LBB692_9
; %bb.8:
	v_cvt_f32_u32_e32 v12, s7
	v_add_f32_e32 v10, v10, v11
	v_mov_b32_e32 v14, s17
	v_mov_b32_e32 v15, s16
	v_div_scale_f32 v11, s[24:25], v12, v12, v10
	v_rcp_f32_e32 v13, v11
	v_cndmask_b32_e32 v14, v14, v15, vcc
	s_mov_b32 s7, 0x800000
	v_fma_f32 v15, -v11, v13, 1.0
	v_fmac_f32_e32 v13, v15, v13
	v_div_scale_f32 v15, vcc, v10, v12, v10
	v_mul_f32_e32 v16, v15, v13
	v_fma_f32 v17, -v11, v16, v15
	v_fmac_f32_e32 v16, v17, v13
	v_fma_f32 v11, -v11, v16, v15
	v_div_fmas_f32 v11, v11, v13, v16
	v_div_fixup_f32 v10, v11, v12, v10
	v_add_f32_e32 v10, v14, v10
	v_mul_f32_e32 v11, 0x4b800000, v10
	v_cmp_gt_f32_e32 vcc, s7, v10
	v_cndmask_b32_e32 v10, v10, v11, vcc
	v_rsq_f32_e32 v10, v10
	v_mul_f32_e32 v11, 0x45800000, v10
	v_cndmask_b32_e32 v10, v10, v11, vcc
	v_mov_b32_e32 v11, v10
	;;#ASMSTART
	v_pk_mul_f32 v[12:13], v[18:19], v[10:11]
	;;#ASMEND
	s_waitcnt vmcnt(1)
	v_cvt_f32_u32_sdwa v19, v6 dst_sel:DWORD dst_unused:UNUSED_PAD src0_sel:WORD_1
	v_cvt_f32_u32_sdwa v18, v6 dst_sel:DWORD dst_unused:UNUSED_PAD src0_sel:WORD_0
	;;#ASMSTART
	v_pk_mul_f32 v[14:15], v[22:23], v[10:11]
	;;#ASMEND
	;;#ASMSTART
	v_pk_mul_f32 v[16:17], v[20:21], v[10:11]
	;;#ASMEND
	v_cvt_f32_u32_sdwa v21, v7 dst_sel:DWORD dst_unused:UNUSED_PAD src0_sel:WORD_1
	v_cvt_f32_u32_sdwa v20, v7 dst_sel:DWORD dst_unused:UNUSED_PAD src0_sel:WORD_0
	;;#ASMSTART
	v_pk_mul_f32 v[28:29], v[28:29], v[10:11]
	;;#ASMEND
	;;#ASMSTART
	v_pk_mul_f32 v[24:25], v[24:25], v[10:11]
	;;#ASMEND
	;; [unrolled: 3-line block ×5, first 2 shown]
	v_pk_add_f32 v[10:11], v[18:19], 1.0 op_sel_hi:[1,0]
	;;#ASMSTART
	v_pk_mul_f32 v[18:19], v[12:13], v[10:11]
	;;#ASMEND
	v_cvt_f32_u32_sdwa v13, v8 dst_sel:DWORD dst_unused:UNUSED_PAD src0_sel:WORD_1
	v_cvt_f32_u32_sdwa v12, v8 dst_sel:DWORD dst_unused:UNUSED_PAD src0_sel:WORD_0
	v_cvt_f32_u32_sdwa v27, v9 dst_sel:DWORD dst_unused:UNUSED_PAD src0_sel:WORD_1
	v_cvt_f32_u32_sdwa v26, v9 dst_sel:DWORD dst_unused:UNUSED_PAD src0_sel:WORD_0
	v_pk_add_f32 v[10:11], v[20:21], 1.0 op_sel_hi:[1,0]
	;;#ASMSTART
	v_pk_mul_f32 v[22:23], v[14:15], v[10:11]
	;;#ASMEND
	s_waitcnt vmcnt(0)
	v_cvt_f32_u32_sdwa v11, v2 dst_sel:DWORD dst_unused:UNUSED_PAD src0_sel:WORD_1
	v_cvt_f32_u32_sdwa v10, v2 dst_sel:DWORD dst_unused:UNUSED_PAD src0_sel:WORD_0
	v_pk_add_f32 v[8:9], v[12:13], 1.0 op_sel_hi:[1,0]
	;;#ASMSTART
	v_pk_mul_f32 v[20:21], v[16:17], v[8:9]
	;;#ASMEND
	v_pk_add_f32 v[8:9], v[26:27], 1.0 op_sel_hi:[1,0]
	v_cvt_f32_u32_sdwa v13, v3 dst_sel:DWORD dst_unused:UNUSED_PAD src0_sel:WORD_1
	v_cvt_f32_u32_sdwa v12, v3 dst_sel:DWORD dst_unused:UNUSED_PAD src0_sel:WORD_0
	;;#ASMSTART
	v_pk_mul_f32 v[28:29], v[28:29], v[8:9]
	;;#ASMEND
	v_cvt_f32_u32_sdwa v9, v4 dst_sel:DWORD dst_unused:UNUSED_PAD src0_sel:WORD_1
	v_cvt_f32_u32_sdwa v8, v4 dst_sel:DWORD dst_unused:UNUSED_PAD src0_sel:WORD_0
	v_pk_add_f32 v[2:3], v[10:11], 1.0 op_sel_hi:[1,0]
	v_cvt_f32_u32_sdwa v11, v5 dst_sel:DWORD dst_unused:UNUSED_PAD src0_sel:WORD_1
	v_cvt_f32_u32_sdwa v10, v5 dst_sel:DWORD dst_unused:UNUSED_PAD src0_sel:WORD_0
	;;#ASMSTART
	v_pk_mul_f32 v[24:25], v[24:25], v[2:3]
	;;#ASMEND
	v_pk_add_f32 v[2:3], v[12:13], 1.0 op_sel_hi:[1,0]
	;;#ASMSTART
	v_pk_mul_f32 v[32:33], v[32:33], v[2:3]
	;;#ASMEND
	v_pk_add_f32 v[2:3], v[8:9], 1.0 op_sel_hi:[1,0]
	;; [unrolled: 4-line block ×3, first 2 shown]
	;;#ASMSTART
	v_pk_mul_f32 v[26:27], v[6:7], v[2:3]
	;;#ASMEND
.LBB692_9:
	s_or_b64 exec, exec, s[8:9]
	s_load_dword s7, s[4:5], 0x80
	s_mov_b64 s[8:9], -1
	s_and_b64 vcc, exec, s[14:15]
	s_cbranch_vccnz .LBB692_13
; %bb.10:
	s_andn2_b64 vcc, exec, s[8:9]
	s_cbranch_vccz .LBB692_16
.LBB692_11:
	s_cmp_lt_i32 s20, 1
	s_cbranch_scc0 .LBB692_23
.LBB692_12:
	s_endpgm
.LBB692_13:
	s_and_saveexec_b64 s[14:15], s[2:3]
	s_cbranch_execz .LBB692_15
; %bb.14:
	s_waitcnt lgkmcnt(0)
	s_mul_hi_i32 s9, s7, s6
	s_mul_i32 s8, s7, s6
	s_lshl_b64 s[8:9], s[8:9], 1
	s_add_u32 s8, s28, s8
	s_addc_u32 s9, s29, s9
	s_mov_b32 s16, 0x7060302
	s_and_b32 s9, s9, 0xffff
	s_mov_b32 s11, 0x20000
	s_waitcnt vmcnt(0)
	v_perm_b32 v5, v29, v28, s16
	v_perm_b32 v4, v21, v20, s16
	;; [unrolled: 1-line block ×4, first 2 shown]
	v_lshlrev_b32_e32 v6, 5, v0
	buffer_store_dwordx4 v[2:5], v6, s[8:11], 0 offen
	;;#ASMSTART
	s_nop 0
	;;#ASMEND
	s_nop 0
	v_perm_b32 v5, v27, v26, s16
	v_perm_b32 v4, v31, v30, s16
	;; [unrolled: 1-line block ×4, first 2 shown]
	buffer_store_dwordx4 v[2:5], v6, s[8:11], 16 offen
	;;#ASMSTART
	s_nop 0
	;;#ASMEND
.LBB692_15:
	s_or_b64 exec, exec, s[14:15]
	s_cbranch_execnz .LBB692_11
.LBB692_16:
	s_waitcnt vmcnt(0)
	v_mov_b32_e32 v2, 0
	s_and_saveexec_b64 s[8:9], s[2:3]
	s_cbranch_execz .LBB692_18
; %bb.17:
	v_and_b32_e32 v2, 0x7fffffff, v18
	v_and_b32_e32 v3, 0x7fffffff, v19
	v_mov_b32_e32 v4, 0x2edbe6ff
	;;#ASMSTART
	v_max3_f32 v2, v4, v2, v3

	;;#ASMEND
	v_and_b32_e32 v3, 0x7fffffff, v22
	v_and_b32_e32 v4, 0x7fffffff, v23
	;;#ASMSTART
	v_max3_f32 v2, v2, v3, v4

	;;#ASMEND
	v_and_b32_e32 v3, 0x7fffffff, v20
	v_and_b32_e32 v4, 0x7fffffff, v21
	;; [unrolled: 6-line block ×7, first 2 shown]
	;;#ASMSTART
	v_max3_f32 v2, v2, v3, v4

	;;#ASMEND
.LBB692_18:
	s_or_b64 exec, exec, s[8:9]
	s_load_dwordx4 s[24:27], s[4:5], 0x70
	;;#ASMSTART
	v_max_f32 v3, v2, v2 quad_perm:[1,0,3,2] row_mask:0xf bank_mask:0xf bound_ctrl:1
	;;#ASMEND
	;;#ASMSTART
	v_max_f32 v2, v3, v3 quad_perm:[2,3,0,1] row_mask:0xf bank_mask:0xf bound_ctrl:1
	;;#ASMEND
	v_and_b32_e32 v3, 3, v0
	v_cmp_eq_u32_e32 vcc, 0, v3
	v_cmp_gt_i32_e64 s[8:9], s19, v1
	s_and_b64 s[10:11], vcc, s[8:9]
	s_and_saveexec_b64 s[8:9], s[10:11]
	s_cbranch_execz .LBB692_20
; %bb.19:
	s_load_dwordx2 s[10:11], s[4:5], 0x8
	v_mul_f32_e32 v2, 0x3e2aaaab, v2
	v_lshrrev_b32_e32 v3, 23, v2
	v_and_b32_e32 v4, 0x7f800000, v2
	v_and_b32_e32 v2, 0x7fffff, v2
	v_cmp_ne_u32_e32 vcc, 0, v2
	s_waitcnt lgkmcnt(0)
	s_mul_i32 s16, s25, s6
	s_mov_b32 s14, 0x7f800000
	v_addc_co_u32_e32 v2, vcc, 0, v3, vcc
	s_mul_hi_i32 s15, s25, s6
	s_add_u32 s10, s10, s16
	v_cmp_ne_u32_e32 vcc, s14, v4
	s_addc_u32 s11, s11, s15
	v_lshrrev_b32_e32 v5, 2, v0
	v_cndmask_b32_e32 v4, -1, v2, vcc
	v_pk_mov_b32 v[2:3], s[10:11], s[10:11] op_sel:[0,1]
	v_mad_i64_i32 v[2:3], s[10:11], s26, v5, v[2:3]
	global_store_byte v[2:3], v4, off
.LBB692_20:
	s_or_b64 exec, exec, s[8:9]
	s_and_saveexec_b64 s[8:9], s[2:3]
	s_cbranch_execz .LBB692_22
; %bb.21:
	s_load_dwordx2 s[2:3], s[4:5], 0x0
	s_waitcnt lgkmcnt(0)
	s_mul_i32 s11, s24, s6
	s_mul_hi_i32 s10, s24, s6
	v_mov_b32_e32 v2, 0
	v_lshlrev_b32_e32 v4, 3, v0
	s_add_u32 s24, s2, s11
	s_addc_u32 s2, s3, s10
	s_lshr_b32 s3, s19, 31
	s_add_i32 s3, s19, s3
	s_ashr_i32 s3, s3, 1
	s_add_i32 s3, s3, 3
	s_ashr_i32 s10, s3, 31
	s_lshr_b32 s10, s10, 30
	s_add_i32 s3, s3, s10
	s_and_b32 s26, s3, -4
	s_and_b32 s25, s2, 0xffff
	s_mov_b32 s27, 0x20000
	v_mov_b32_e32 v3, v2
	buffer_store_dwordx2 v[2:3], v4, s[24:27], 0 offen
	;;#ASMSTART
	s_nop 0
	;;#ASMEND
.LBB692_22:
	s_or_b64 exec, exec, s[8:9]
	s_cmp_lt_i32 s20, 1
	s_cbranch_scc1 .LBB692_12
.LBB692_23:
	s_load_dword s2, s[4:5], 0x94
	s_waitcnt lgkmcnt(0)
	s_cmp_lg_u32 s2, 1
	s_cbranch_scc1 .LBB692_12
; %bb.24:
	s_lshl_b32 s2, s20, 1
	s_add_i32 s2, s2, 2
	v_cmp_gt_u32_e32 vcc, s20, v1
	s_and_b32 s14, s2, -4
	v_mov_b32_e32 v18, 0
	v_lshlrev_b32_e32 v1, 5, v0
	v_mov_b32_e32 v14, 0
	v_mov_b32_e32 v15, 0
	;; [unrolled: 1-line block ×8, first 2 shown]
	s_waitcnt vmcnt(1)
	v_mov_b32_e32 v6, 0
	v_mov_b32_e32 v7, 0
	;; [unrolled: 1-line block ×4, first 2 shown]
	s_waitcnt vmcnt(0)
	v_mov_b32_e32 v2, 0
	v_mov_b32_e32 v3, 0
	;; [unrolled: 1-line block ×4, first 2 shown]
	s_barrier
	s_and_saveexec_b64 s[2:3], vcc
	s_cbranch_execz .LBB692_26
; %bb.25:
	s_mul_hi_i32 s5, s22, s6
	s_mul_i32 s4, s22, s6
	s_and_b32 s13, s13, 0xffff
	s_lshl_b64 s[4:5], s[4:5], 1
	s_add_u32 s8, s30, s4
	s_mov_b32 s15, 0x20000
	s_addc_u32 s4, s31, s5
	s_and_b32 s9, s4, 0xffff
	s_mov_b32 s10, s14
	s_mov_b32 s11, s15
	buffer_load_dwordx4 v[14:17], v1, s[8:11], 0 offen
	buffer_load_dwordx4 v[10:13], v1, s[8:11], 16 offen
	;; [unrolled: 1-line block ×4, first 2 shown]
.LBB692_26:
	s_or_b64 exec, exec, s[2:3]
	v_mov_b32_e32 v19, 0
	v_mov_b32_e32 v32, 0
	;; [unrolled: 1-line block ×15, first 2 shown]
	s_and_saveexec_b64 s[2:3], vcc
	s_cbranch_execz .LBB692_28
; %bb.27:
	s_waitcnt vmcnt(3)
	v_cvt_f32_u32_sdwa v18, v14 dst_sel:DWORD dst_unused:UNUSED_PAD src0_sel:WORD_0
	v_cvt_f32_u32_sdwa v19, v14 dst_sel:DWORD dst_unused:UNUSED_PAD src0_sel:WORD_1
	v_cvt_f32_u32_sdwa v32, v15 dst_sel:DWORD dst_unused:UNUSED_PAD src0_sel:WORD_0
	v_cvt_f32_u32_sdwa v33, v15 dst_sel:DWORD dst_unused:UNUSED_PAD src0_sel:WORD_1
	;; [unrolled: 2-line block ×4, first 2 shown]
	s_waitcnt vmcnt(2)
	v_cvt_f32_u32_sdwa v26, v10 dst_sel:DWORD dst_unused:UNUSED_PAD src0_sel:WORD_0
	v_cvt_f32_u32_sdwa v27, v10 dst_sel:DWORD dst_unused:UNUSED_PAD src0_sel:WORD_1
	v_cvt_f32_u32_sdwa v24, v11 dst_sel:DWORD dst_unused:UNUSED_PAD src0_sel:WORD_0
	v_cvt_f32_u32_sdwa v25, v11 dst_sel:DWORD dst_unused:UNUSED_PAD src0_sel:WORD_1
	;; [unrolled: 2-line block ×4, first 2 shown]
.LBB692_28:
	s_or_b64 exec, exec, s[2:3]
	s_waitcnt vmcnt(2)
	v_mul_f32_e32 v10, v19, v19
	v_fmac_f32_e32 v10, v18, v18
	v_fmac_f32_e32 v10, v32, v32
	;; [unrolled: 1-line block ×15, first 2 shown]
	s_nop 1
	v_mov_b32_dpp v11, v10 quad_perm:[1,0,3,2] row_mask:0xf bank_mask:0xf
	v_add_f32_e32 v10, v10, v11
	s_nop 1
	v_mov_b32_dpp v11, v10 quad_perm:[2,3,0,1] row_mask:0xf bank_mask:0xf
	v_add_f32_e32 v10, v10, v11
	s_nop 1
	v_mov_b32_dpp v11, v10 row_half_mirror row_mask:0xf bank_mask:0xf
	v_add_f32_e32 v10, v10, v11
	s_nop 1
	v_mov_b32_dpp v11, v10 row_mirror row_mask:0xf bank_mask:0xf
	v_add_f32_e32 v10, v10, v11
	s_nop 1
	v_mov_b32_dpp v11, v10 row_bcast:15 row_mask:0xf bank_mask:0xf
	v_add_f32_e32 v10, v10, v11
	s_nop 1
	v_mov_b32_dpp v11, v10 row_bcast:31 row_mask:0xf bank_mask:0xf
	s_and_saveexec_b64 s[2:3], s[0:1]
	s_cbranch_execz .LBB692_30
; %bb.29:
	v_lshrrev_b32_e32 v0, 4, v0
	v_add_f32_e32 v10, v10, v11
	v_and_b32_e32 v0, 60, v0
	ds_write_b32 v0, v10
.LBB692_30:
	s_or_b64 exec, exec, s[2:3]
	s_waitcnt lgkmcnt(0)
	s_barrier
	ds_read_b32 v0, v34
	s_waitcnt lgkmcnt(0)
	s_nop 0
	v_mov_b32_dpp v10, v0 quad_perm:[1,0,3,2] row_mask:0xf bank_mask:0xf
	s_and_saveexec_b64 s[0:1], vcc
	s_cbranch_execz .LBB692_12
; %bb.31:
	v_cvt_f32_u32_e32 v11, s20
	v_add_f32_e32 v0, v0, v10
	s_mov_b32 s15, 0x20000
	v_div_scale_f32 v10, s[0:1], v11, v11, v0
	v_rcp_f32_e32 v12, v10
	v_div_scale_f32 v13, vcc, v0, v11, v0
	s_mov_b32 s0, 0x800000
	v_fma_f32 v14, -v10, v12, 1.0
	v_fmac_f32_e32 v12, v14, v12
	v_mul_f32_e32 v14, v13, v12
	v_fma_f32 v15, -v10, v14, v13
	v_fmac_f32_e32 v14, v15, v12
	v_fma_f32 v10, -v10, v14, v13
	v_div_fmas_f32 v10, v10, v12, v14
	v_div_fixup_f32 v0, v10, v11, v0
	v_add_f32_e32 v0, s17, v0
	v_mul_f32_e32 v10, 0x4b800000, v0
	v_cmp_gt_f32_e32 vcc, s0, v0
	v_cndmask_b32_e32 v0, v0, v10, vcc
	v_rsq_f32_e32 v0, v0
	s_mul_hi_i32 s1, s7, s6
	s_mul_i32 s0, s7, s6
	s_lshl_b64 s[0:1], s[0:1], 1
	v_mul_f32_e32 v10, 0x45800000, v0
	v_cndmask_b32_e32 v10, v0, v10, vcc
	v_mov_b32_e32 v11, v10
	;;#ASMSTART
	v_pk_mul_f32 v[12:13], v[18:19], v[10:11]
	;;#ASMEND
	;;#ASMSTART
	v_pk_mul_f32 v[14:15], v[32:33], v[10:11]
	;;#ASMEND
	;; [unrolled: 3-line block ×4, first 2 shown]
	s_waitcnt vmcnt(1)
	v_cvt_f32_u32_sdwa v29, v6 dst_sel:DWORD dst_unused:UNUSED_PAD src0_sel:WORD_1
	v_cvt_f32_u32_sdwa v28, v6 dst_sel:DWORD dst_unused:UNUSED_PAD src0_sel:WORD_0
	v_cvt_f32_u32_sdwa v31, v7 dst_sel:DWORD dst_unused:UNUSED_PAD src0_sel:WORD_1
	v_cvt_f32_u32_sdwa v30, v7 dst_sel:DWORD dst_unused:UNUSED_PAD src0_sel:WORD_0
	;;#ASMSTART
	v_pk_mul_f32 v[26:27], v[26:27], v[10:11]
	;;#ASMEND
	;;#ASMSTART
	v_pk_mul_f32 v[24:25], v[24:25], v[10:11]
	;;#ASMEND
	;;#ASMSTART
	v_pk_mul_f32 v[22:23], v[22:23], v[10:11]
	;;#ASMEND
	;;#ASMSTART
	v_pk_mul_f32 v[6:7], v[20:21], v[10:11]
	;;#ASMEND
	v_cvt_f32_u32_sdwa v21, v8 dst_sel:DWORD dst_unused:UNUSED_PAD src0_sel:WORD_1
	v_cvt_f32_u32_sdwa v20, v8 dst_sel:DWORD dst_unused:UNUSED_PAD src0_sel:WORD_0
	v_pk_add_f32 v[10:11], v[28:29], 1.0 op_sel_hi:[1,0]
	;;#ASMSTART
	v_pk_mul_f32 v[10:11], v[12:13], v[10:11]
	;;#ASMEND
	v_pk_add_f32 v[12:13], v[30:31], 1.0 op_sel_hi:[1,0]
	v_cvt_f32_u32_sdwa v29, v9 dst_sel:DWORD dst_unused:UNUSED_PAD src0_sel:WORD_1
	v_cvt_f32_u32_sdwa v28, v9 dst_sel:DWORD dst_unused:UNUSED_PAD src0_sel:WORD_0
	;;#ASMSTART
	v_pk_mul_f32 v[8:9], v[14:15], v[12:13]
	;;#ASMEND
	v_pk_add_f32 v[12:13], v[20:21], 1.0 op_sel_hi:[1,0]
	;;#ASMSTART
	v_pk_mul_f32 v[12:13], v[16:17], v[12:13]
	;;#ASMEND
	s_waitcnt vmcnt(0)
	v_cvt_f32_u32_sdwa v17, v2 dst_sel:DWORD dst_unused:UNUSED_PAD src0_sel:WORD_1
	v_cvt_f32_u32_sdwa v16, v2 dst_sel:DWORD dst_unused:UNUSED_PAD src0_sel:WORD_0
	v_cvt_f32_u32_sdwa v21, v3 dst_sel:DWORD dst_unused:UNUSED_PAD src0_sel:WORD_1
	v_cvt_f32_u32_sdwa v20, v3 dst_sel:DWORD dst_unused:UNUSED_PAD src0_sel:WORD_0
	v_pk_add_f32 v[14:15], v[28:29], 1.0 op_sel_hi:[1,0]
	;;#ASMSTART
	v_pk_mul_f32 v[14:15], v[18:19], v[14:15]
	;;#ASMEND
	v_pk_add_f32 v[2:3], v[16:17], 1.0 op_sel_hi:[1,0]
	v_cvt_f32_u32_sdwa v19, v4 dst_sel:DWORD dst_unused:UNUSED_PAD src0_sel:WORD_1
	v_cvt_f32_u32_sdwa v18, v4 dst_sel:DWORD dst_unused:UNUSED_PAD src0_sel:WORD_0
	;;#ASMSTART
	v_pk_mul_f32 v[16:17], v[26:27], v[2:3]
	;;#ASMEND
	v_pk_add_f32 v[2:3], v[20:21], 1.0 op_sel_hi:[1,0]
	v_cvt_f32_u32_sdwa v21, v5 dst_sel:DWORD dst_unused:UNUSED_PAD src0_sel:WORD_1
	v_cvt_f32_u32_sdwa v20, v5 dst_sel:DWORD dst_unused:UNUSED_PAD src0_sel:WORD_0
	s_add_u32 s12, s28, s0
	;;#ASMSTART
	v_pk_mul_f32 v[24:25], v[24:25], v[2:3]
	;;#ASMEND
	v_pk_add_f32 v[2:3], v[18:19], 1.0 op_sel_hi:[1,0]
	s_addc_u32 s0, s29, s1
	;;#ASMSTART
	v_pk_mul_f32 v[18:19], v[22:23], v[2:3]
	;;#ASMEND
	v_pk_add_f32 v[2:3], v[20:21], 1.0 op_sel_hi:[1,0]
	s_and_b32 s13, s0, 0xffff
	s_mov_b32 s0, 0x7060302
	;;#ASMSTART
	v_pk_mul_f32 v[6:7], v[6:7], v[2:3]
	;;#ASMEND
	v_perm_b32 v2, v11, v10, s0
	v_perm_b32 v3, v9, v8, s0
	;; [unrolled: 1-line block ×4, first 2 shown]
	buffer_store_dwordx4 v[2:5], v1, s[12:15], 0 offen
	;;#ASMSTART
	s_nop 0
	;;#ASMEND
	s_nop 0
	v_perm_b32 v2, v17, v16, s0
	v_perm_b32 v3, v25, v24, s0
	;; [unrolled: 1-line block ×4, first 2 shown]
	buffer_store_dwordx4 v[2:5], v1, s[12:15], 16 offen
	;;#ASMSTART
	s_nop 0
	;;#ASMEND
	s_endpgm
	.section	.rodata,"a",@progbits
	.p2align	6, 0x0
	.amdhsa_kernel _ZN5aiter35fused_qk_rmsnorm_group_quant_kernelItN4opus5fp4_tELi128ELi16ELi4ELb0ELb0ELb1ELb0ELb0ELb0EEEvPT0_PvPT_S7_S7_PKS6_S9_S9_S9_S9_ffiiiiiiiiiiiii
		.amdhsa_group_segment_fixed_size 16
		.amdhsa_private_segment_fixed_size 0
		.amdhsa_kernarg_size 400
		.amdhsa_user_sgpr_count 6
		.amdhsa_user_sgpr_private_segment_buffer 1
		.amdhsa_user_sgpr_dispatch_ptr 0
		.amdhsa_user_sgpr_queue_ptr 0
		.amdhsa_user_sgpr_kernarg_segment_ptr 1
		.amdhsa_user_sgpr_dispatch_id 0
		.amdhsa_user_sgpr_flat_scratch_init 0
		.amdhsa_user_sgpr_kernarg_preload_length 0
		.amdhsa_user_sgpr_kernarg_preload_offset 0
		.amdhsa_user_sgpr_private_segment_size 0
		.amdhsa_uses_dynamic_stack 0
		.amdhsa_system_sgpr_private_segment_wavefront_offset 0
		.amdhsa_system_sgpr_workgroup_id_x 1
		.amdhsa_system_sgpr_workgroup_id_y 1
		.amdhsa_system_sgpr_workgroup_id_z 0
		.amdhsa_system_sgpr_workgroup_info 0
		.amdhsa_system_vgpr_workitem_id 0
		.amdhsa_next_free_vgpr 35
		.amdhsa_next_free_sgpr 32
		.amdhsa_accum_offset 36
		.amdhsa_reserve_vcc 1
		.amdhsa_reserve_flat_scratch 0
		.amdhsa_float_round_mode_32 0
		.amdhsa_float_round_mode_16_64 0
		.amdhsa_float_denorm_mode_32 3
		.amdhsa_float_denorm_mode_16_64 3
		.amdhsa_dx10_clamp 1
		.amdhsa_ieee_mode 1
		.amdhsa_fp16_overflow 0
		.amdhsa_tg_split 0
		.amdhsa_exception_fp_ieee_invalid_op 0
		.amdhsa_exception_fp_denorm_src 0
		.amdhsa_exception_fp_ieee_div_zero 0
		.amdhsa_exception_fp_ieee_overflow 0
		.amdhsa_exception_fp_ieee_underflow 0
		.amdhsa_exception_fp_ieee_inexact 0
		.amdhsa_exception_int_div_zero 0
	.end_amdhsa_kernel
	.section	.text._ZN5aiter35fused_qk_rmsnorm_group_quant_kernelItN4opus5fp4_tELi128ELi16ELi4ELb0ELb0ELb1ELb0ELb0ELb0EEEvPT0_PvPT_S7_S7_PKS6_S9_S9_S9_S9_ffiiiiiiiiiiiii,"axG",@progbits,_ZN5aiter35fused_qk_rmsnorm_group_quant_kernelItN4opus5fp4_tELi128ELi16ELi4ELb0ELb0ELb1ELb0ELb0ELb0EEEvPT0_PvPT_S7_S7_PKS6_S9_S9_S9_S9_ffiiiiiiiiiiiii,comdat
.Lfunc_end692:
	.size	_ZN5aiter35fused_qk_rmsnorm_group_quant_kernelItN4opus5fp4_tELi128ELi16ELi4ELb0ELb0ELb1ELb0ELb0ELb0EEEvPT0_PvPT_S7_S7_PKS6_S9_S9_S9_S9_ffiiiiiiiiiiiii, .Lfunc_end692-_ZN5aiter35fused_qk_rmsnorm_group_quant_kernelItN4opus5fp4_tELi128ELi16ELi4ELb0ELb0ELb1ELb0ELb0ELb0EEEvPT0_PvPT_S7_S7_PKS6_S9_S9_S9_S9_ffiiiiiiiiiiiii
                                        ; -- End function
	.section	.AMDGPU.csdata,"",@progbits
; Kernel info:
; codeLenInByte = 3232
; NumSgprs: 36
; NumVgprs: 35
; NumAgprs: 0
; TotalNumVgprs: 35
; ScratchSize: 0
; MemoryBound: 0
; FloatMode: 240
; IeeeMode: 1
; LDSByteSize: 16 bytes/workgroup (compile time only)
; SGPRBlocks: 4
; VGPRBlocks: 4
; NumSGPRsForWavesPerEU: 36
; NumVGPRsForWavesPerEU: 35
; AccumOffset: 36
; Occupancy: 8
; WaveLimiterHint : 0
; COMPUTE_PGM_RSRC2:SCRATCH_EN: 0
; COMPUTE_PGM_RSRC2:USER_SGPR: 6
; COMPUTE_PGM_RSRC2:TRAP_HANDLER: 0
; COMPUTE_PGM_RSRC2:TGID_X_EN: 1
; COMPUTE_PGM_RSRC2:TGID_Y_EN: 1
; COMPUTE_PGM_RSRC2:TGID_Z_EN: 0
; COMPUTE_PGM_RSRC2:TIDIG_COMP_CNT: 0
; COMPUTE_PGM_RSRC3_GFX90A:ACCUM_OFFSET: 8
; COMPUTE_PGM_RSRC3_GFX90A:TG_SPLIT: 0
	.section	.text._ZN5aiter35fused_qk_rmsnorm_group_quant_kernelIDF16_DB8_Li128ELi16ELi4ELb0ELb0ELb0ELb0ELb0ELb0EEEvPT0_PvPT_S6_S6_PKS5_S8_S8_S8_S8_ffiiiiiiiiiiiii,"axG",@progbits,_ZN5aiter35fused_qk_rmsnorm_group_quant_kernelIDF16_DB8_Li128ELi16ELi4ELb0ELb0ELb0ELb0ELb0ELb0EEEvPT0_PvPT_S6_S6_PKS5_S8_S8_S8_S8_ffiiiiiiiiiiiii,comdat
	.protected	_ZN5aiter35fused_qk_rmsnorm_group_quant_kernelIDF16_DB8_Li128ELi16ELi4ELb0ELb0ELb0ELb0ELb0ELb0EEEvPT0_PvPT_S6_S6_PKS5_S8_S8_S8_S8_ffiiiiiiiiiiiii ; -- Begin function _ZN5aiter35fused_qk_rmsnorm_group_quant_kernelIDF16_DB8_Li128ELi16ELi4ELb0ELb0ELb0ELb0ELb0ELb0EEEvPT0_PvPT_S6_S6_PKS5_S8_S8_S8_S8_ffiiiiiiiiiiiii
	.globl	_ZN5aiter35fused_qk_rmsnorm_group_quant_kernelIDF16_DB8_Li128ELi16ELi4ELb0ELb0ELb0ELb0ELb0ELb0EEEvPT0_PvPT_S6_S6_PKS5_S8_S8_S8_S8_ffiiiiiiiiiiiii
	.p2align	8
	.type	_ZN5aiter35fused_qk_rmsnorm_group_quant_kernelIDF16_DB8_Li128ELi16ELi4ELb0ELb0ELb0ELb0ELb0ELb0EEEvPT0_PvPT_S6_S6_PKS5_S8_S8_S8_S8_ffiiiiiiiiiiiii,@function
_ZN5aiter35fused_qk_rmsnorm_group_quant_kernelIDF16_DB8_Li128ELi16ELi4ELb0ELb0ELb0ELb0ELb0ELb0EEEvPT0_PvPT_S6_S6_PKS5_S8_S8_S8_S8_ffiiiiiiiiiiiii: ; @_ZN5aiter35fused_qk_rmsnorm_group_quant_kernelIDF16_DB8_Li128ELi16ELi4ELb0ELb0ELb0ELb0ELb0ELb0EEEvPT0_PvPT_S6_S6_PKS5_S8_S8_S8_S8_ffiiiiiiiiiiiii
; %bb.0:
	s_load_dwordx4 s[16:19], s[4:5], 0x50
	s_waitcnt lgkmcnt(0)
	s_cmp_ge_i32 s6, s18
	s_cbranch_scc1 .LBB693_12
; %bb.1:
	s_load_dwordx2 s[12:13], s[4:5], 0x48
	s_load_dwordx2 s[30:31], s[4:5], 0x30
	s_load_dwordx4 s[20:23], s[4:5], 0x60
	s_cmp_lg_u32 s7, 0
	s_cselect_b64 s[14:15], -1, 0
	s_cmp_eq_u32 s7, 0
	s_cselect_b64 vcc, -1, 0
	s_and_b64 s[0:1], vcc, exec
	s_waitcnt lgkmcnt(0)
	s_cselect_b32 s7, s19, s20
	s_add_i32 s0, s7, 1
	s_lshr_b32 s1, s0, 31
	s_add_i32 s0, s0, s1
	s_lshl_b32 s0, s0, 1
	v_lshlrev_b32_e32 v1, 4, v0
	s_and_b32 s10, s0, -4
	v_cmp_gt_i32_e64 s[2:3], s7, v1
	v_mov_b32_e32 v18, 0
	v_mov_b32_e32 v6, 0
	;; [unrolled: 1-line block ×17, first 2 shown]
	s_and_saveexec_b64 s[0:1], s[2:3]
	s_cbranch_execz .LBB693_3
; %bb.2:
	s_load_dwordx2 s[8:9], s[4:5], 0x28
	s_load_dwordx2 s[26:27], s[4:5], 0x40
	s_and_b64 s[24:25], vcc, exec
	s_cselect_b32 s11, s21, s22
	v_lshlrev_b32_e32 v19, 5, v0
	s_waitcnt lgkmcnt(0)
	s_cselect_b32 s18, s9, s31
	s_cselect_b32 s21, s8, s30
	s_mul_hi_i32 s9, s11, s6
	s_mul_i32 s8, s11, s6
	s_lshl_b64 s[8:9], s[8:9], 1
	s_add_u32 s24, s21, s8
	s_addc_u32 s18, s18, s9
	s_and_b64 s[8:9], vcc, exec
	s_mov_b32 s11, 0x20000
	s_cselect_b32 s8, s26, s12
	s_cselect_b32 s9, s27, s13
	s_and_b32 s25, s18, 0xffff
	s_mov_b32 s26, s10
	s_mov_b32 s27, s11
	s_and_b32 s9, s9, 0xffff
	buffer_load_dwordx4 v[14:17], v19, s[24:27], 0 offen
	buffer_load_dwordx4 v[10:13], v19, s[24:27], 16 offen
	;; [unrolled: 1-line block ×4, first 2 shown]
.LBB693_3:
	s_or_b64 exec, exec, s[0:1]
	v_mov_b32_e32 v19, 0
	v_mov_b32_e32 v32, 0
	;; [unrolled: 1-line block ×15, first 2 shown]
	s_and_saveexec_b64 s[0:1], s[2:3]
	s_cbranch_execz .LBB693_5
; %bb.4:
	s_waitcnt vmcnt(3)
	v_cvt_f32_f16_sdwa v19, v14 dst_sel:DWORD dst_unused:UNUSED_PAD src0_sel:WORD_1
	v_cvt_f32_f16_e32 v18, v14
	v_cvt_f32_f16_sdwa v33, v15 dst_sel:DWORD dst_unused:UNUSED_PAD src0_sel:WORD_1
	v_cvt_f32_f16_e32 v32, v15
	;; [unrolled: 2-line block ×4, first 2 shown]
	s_waitcnt vmcnt(2)
	v_cvt_f32_f16_sdwa v31, v10 dst_sel:DWORD dst_unused:UNUSED_PAD src0_sel:WORD_1
	v_cvt_f32_f16_e32 v30, v10
	v_cvt_f32_f16_sdwa v29, v11 dst_sel:DWORD dst_unused:UNUSED_PAD src0_sel:WORD_1
	v_cvt_f32_f16_e32 v28, v11
	;; [unrolled: 2-line block ×4, first 2 shown]
.LBB693_5:
	s_or_b64 exec, exec, s[0:1]
	s_waitcnt vmcnt(2)
	v_mul_f32_e32 v10, v19, v19
	v_fmac_f32_e32 v10, v18, v18
	v_fmac_f32_e32 v10, v32, v32
	;; [unrolled: 1-line block ×15, first 2 shown]
	v_and_b32_e32 v12, 63, v0
	v_cmp_eq_u32_e64 s[0:1], 63, v12
	v_mov_b32_dpp v11, v10 quad_perm:[1,0,3,2] row_mask:0xf bank_mask:0xf
	v_add_f32_e32 v10, v10, v11
	s_nop 1
	v_mov_b32_dpp v11, v10 quad_perm:[2,3,0,1] row_mask:0xf bank_mask:0xf
	v_add_f32_e32 v10, v10, v11
	s_nop 1
	v_mov_b32_dpp v11, v10 row_half_mirror row_mask:0xf bank_mask:0xf
	v_add_f32_e32 v10, v10, v11
	s_nop 1
	v_mov_b32_dpp v11, v10 row_mirror row_mask:0xf bank_mask:0xf
	v_add_f32_e32 v10, v10, v11
	s_nop 1
	v_mov_b32_dpp v11, v10 row_bcast:15 row_mask:0xf bank_mask:0xf
	v_add_f32_e32 v10, v10, v11
	s_nop 1
	v_mov_b32_dpp v11, v10 row_bcast:31 row_mask:0xf bank_mask:0xf
	s_and_saveexec_b64 s[8:9], s[0:1]
	s_cbranch_execz .LBB693_7
; %bb.6:
	v_add_f32_e32 v10, v10, v11
	v_lshrrev_b32_e32 v11, 4, v0
	v_and_b32_e32 v11, 60, v11
	ds_write_b32 v11, v10 offset:8
.LBB693_7:
	s_or_b64 exec, exec, s[8:9]
	v_and_b32_e32 v10, 1, v0
	v_lshlrev_b32_e32 v34, 2, v10
	s_waitcnt lgkmcnt(0)
	s_barrier
	ds_read_b32 v10, v34 offset:8
	s_load_dwordx2 s[28:29], s[4:5], 0x18
	s_waitcnt lgkmcnt(0)
	v_mov_b32_dpp v11, v10 quad_perm:[1,0,3,2] row_mask:0xf bank_mask:0xf
	s_and_saveexec_b64 s[8:9], s[2:3]
	s_cbranch_execz .LBB693_9
; %bb.8:
	v_cvt_f32_u32_e32 v12, s7
	v_add_f32_e32 v10, v10, v11
	v_mov_b32_e32 v14, s17
	v_mov_b32_e32 v15, s16
	v_div_scale_f32 v11, s[24:25], v12, v12, v10
	v_rcp_f32_e32 v13, v11
	v_cndmask_b32_e32 v14, v14, v15, vcc
	s_mov_b32 s7, 0x800000
	s_waitcnt vmcnt(1)
	v_cvt_f32_f16_sdwa v37, v9 dst_sel:DWORD dst_unused:UNUSED_PAD src0_sel:WORD_1
	v_fma_f32 v15, -v11, v13, 1.0
	v_fmac_f32_e32 v13, v15, v13
	v_div_scale_f32 v15, vcc, v10, v12, v10
	v_mul_f32_e32 v16, v15, v13
	v_fma_f32 v17, -v11, v16, v15
	v_fmac_f32_e32 v16, v17, v13
	v_fma_f32 v11, -v11, v16, v15
	v_div_fmas_f32 v11, v11, v13, v16
	v_div_fixup_f32 v10, v11, v12, v10
	v_add_f32_e32 v10, v14, v10
	v_mul_f32_e32 v11, 0x4b800000, v10
	v_cmp_gt_f32_e32 vcc, s7, v10
	v_cndmask_b32_e32 v10, v10, v11, vcc
	v_rsq_f32_e32 v10, v10
	v_cvt_f32_f16_e32 v36, v9
	s_waitcnt vmcnt(0)
	v_cvt_f32_f16_sdwa v9, v3 dst_sel:DWORD dst_unused:UNUSED_PAD src0_sel:WORD_1
	v_mul_f32_e32 v11, 0x45800000, v10
	v_cndmask_b32_e32 v10, v10, v11, vcc
	v_mov_b32_e32 v11, v10
	;;#ASMSTART
	v_pk_mul_f32 v[12:13], v[18:19], v[10:11]
	;;#ASMEND
	;;#ASMSTART
	v_pk_mul_f32 v[14:15], v[32:33], v[10:11]
	;;#ASMEND
	;; [unrolled: 3-line block ×8, first 2 shown]
	v_cvt_f32_f16_sdwa v19, v6 dst_sel:DWORD dst_unused:UNUSED_PAD src0_sel:WORD_1
	v_cvt_f32_f16_e32 v18, v6
	v_cvt_f32_f16_sdwa v21, v7 dst_sel:DWORD dst_unused:UNUSED_PAD src0_sel:WORD_1
	v_cvt_f32_f16_e32 v20, v7
	;; [unrolled: 2-line block ×3, first 2 shown]
	;;#ASMSTART
	v_pk_mul_f32 v[18:19], v[12:13], v[18:19]
	;;#ASMEND
	;;#ASMSTART
	v_pk_mul_f32 v[32:33], v[14:15], v[20:21]
	;;#ASMEND
	;; [unrolled: 3-line block ×4, first 2 shown]
	v_cvt_f32_f16_sdwa v7, v2 dst_sel:DWORD dst_unused:UNUSED_PAD src0_sel:WORD_1
	v_cvt_f32_f16_e32 v6, v2
	v_cvt_f32_f16_e32 v8, v3
	v_cvt_f32_f16_sdwa v3, v4 dst_sel:DWORD dst_unused:UNUSED_PAD src0_sel:WORD_1
	v_cvt_f32_f16_e32 v2, v4
	v_cvt_f32_f16_sdwa v13, v5 dst_sel:DWORD dst_unused:UNUSED_PAD src0_sel:WORD_1
	v_cvt_f32_f16_e32 v12, v5
	;;#ASMSTART
	v_pk_mul_f32 v[30:31], v[30:31], v[6:7]
	;;#ASMEND
	;;#ASMSTART
	v_pk_mul_f32 v[28:29], v[28:29], v[8:9]
	;;#ASMEND
	;; [unrolled: 3-line block ×4, first 2 shown]
.LBB693_9:
	s_or_b64 exec, exec, s[8:9]
	s_load_dword s7, s[4:5], 0x80
	s_mov_b64 s[8:9], -1
	s_and_b64 vcc, exec, s[14:15]
	s_cbranch_vccnz .LBB693_13
; %bb.10:
	s_andn2_b64 vcc, exec, s[8:9]
	s_cbranch_vccz .LBB693_16
.LBB693_11:
	s_cmp_lt_i32 s20, 1
	s_cbranch_scc0 .LBB693_23
.LBB693_12:
	s_endpgm
.LBB693_13:
	s_and_saveexec_b64 s[14:15], s[2:3]
	s_cbranch_execz .LBB693_15
; %bb.14:
	s_waitcnt lgkmcnt(0)
	s_mul_hi_i32 s9, s7, s6
	s_mul_i32 s8, s7, s6
	s_waitcnt vmcnt(0)
	v_cvt_f16_f32_e32 v2, v18
	v_cvt_f16_f32_e32 v3, v32
	;; [unrolled: 1-line block ×8, first 2 shown]
	s_lshl_b64 s[8:9], s[8:9], 1
	s_add_u32 s8, s28, s8
	s_addc_u32 s9, s29, s9
	s_and_b32 s9, s9, 0xffff
	s_mov_b32 s11, 0x20000
	v_pack_b32_f16 v5, v5, v6
	v_pack_b32_f16 v4, v4, v7
	;; [unrolled: 1-line block ×4, first 2 shown]
	v_lshlrev_b32_e32 v6, 5, v0
	buffer_store_dwordx4 v[2:5], v6, s[8:11], 0 offen
	v_cvt_f16_f32_e32 v7, v21
	v_cvt_f16_f32_e32 v2, v30
	;; [unrolled: 1-line block ×8, first 2 shown]
	v_pack_b32_f16 v5, v5, v7
	v_pack_b32_f16 v4, v4, v8
	v_pack_b32_f16 v3, v3, v9
	v_pack_b32_f16 v2, v2, v10
	;;#ASMSTART
	s_nop 0
	;;#ASMEND
	buffer_store_dwordx4 v[2:5], v6, s[8:11], 16 offen
	;;#ASMSTART
	s_nop 0
	;;#ASMEND
.LBB693_15:
	s_or_b64 exec, exec, s[14:15]
	s_cbranch_execnz .LBB693_11
.LBB693_16:
	s_waitcnt vmcnt(0)
	v_mov_b32_e32 v2, 0
	s_and_saveexec_b64 s[8:9], s[2:3]
	s_cbranch_execz .LBB693_18
; %bb.17:
	v_and_b32_e32 v2, 0x7fffffff, v18
	v_and_b32_e32 v3, 0x7fffffff, v19
	v_mov_b32_e32 v4, 0x2edbe6ff
	;;#ASMSTART
	v_max3_f32 v2, v4, v2, v3

	;;#ASMEND
	v_and_b32_e32 v3, 0x7fffffff, v32
	v_and_b32_e32 v4, 0x7fffffff, v33
	;;#ASMSTART
	v_max3_f32 v2, v2, v3, v4

	;;#ASMEND
	v_and_b32_e32 v3, 0x7fffffff, v26
	v_and_b32_e32 v4, 0x7fffffff, v27
	;; [unrolled: 6-line block ×7, first 2 shown]
	;;#ASMSTART
	v_max3_f32 v2, v2, v3, v4

	;;#ASMEND
.LBB693_18:
	s_or_b64 exec, exec, s[8:9]
	s_load_dwordx4 s[24:27], s[4:5], 0x70
	;;#ASMSTART
	v_max_f32 v3, v2, v2 quad_perm:[1,0,3,2] row_mask:0xf bank_mask:0xf bound_ctrl:1
	;;#ASMEND
	;;#ASMSTART
	v_max_f32 v2, v3, v3 quad_perm:[2,3,0,1] row_mask:0xf bank_mask:0xf bound_ctrl:1
	;;#ASMEND
	v_and_b32_e32 v3, 3, v0
	v_cmp_eq_u32_e32 vcc, 0, v3
	v_cmp_gt_i32_e64 s[8:9], s19, v1
	v_mul_f32_e32 v2, 0x3b124925, v2
	s_and_b64 s[10:11], vcc, s[8:9]
	s_and_saveexec_b64 s[8:9], s[10:11]
	s_cbranch_execz .LBB693_20
; %bb.19:
	s_load_dwordx2 s[10:11], s[4:5], 0x8
	s_waitcnt lgkmcnt(0)
	s_mul_hi_i32 s15, s25, s6
	s_mul_i32 s14, s25, s6
	v_lshrrev_b32_e32 v3, 2, v0
	s_lshl_b64 s[14:15], s[14:15], 2
	v_mad_i64_i32 v[4:5], s[26:27], s26, v3, 0
	s_add_u32 s10, s10, s14
	s_addc_u32 s11, s11, s15
	v_lshlrev_b64 v[4:5], 2, v[4:5]
	v_mov_b32_e32 v3, s11
	v_add_co_u32_e32 v4, vcc, s10, v4
	v_addc_co_u32_e32 v5, vcc, v3, v5, vcc
	global_store_dword v[4:5], v2, off
.LBB693_20:
	s_or_b64 exec, exec, s[8:9]
	;;#ASMSTART
	v_rcp_f32 v2, v2
	;;#ASMEND
	s_and_saveexec_b64 s[14:15], s[2:3]
	s_cbranch_execz .LBB693_22
; %bb.21:
	s_load_dwordx2 s[2:3], s[4:5], 0x0
	s_waitcnt lgkmcnt(0)
	s_mul_i32 s8, s24, s6
	s_mul_hi_i32 s9, s24, s6
	v_mov_b32_e32 v3, v2
	;;#ASMSTART
	v_pk_mul_f32 v[4:5], v[18:19], v[2:3]
	;;#ASMEND
	s_add_u32 s8, s2, s8
	s_addc_u32 s2, s3, s9
	s_add_i32 s3, s19, 3
	s_ashr_i32 s10, s3, 31
	v_mov_b32_e32 v10, 0xc3e00000
	v_mov_b32_e32 v11, 0x43e00000
	;;#ASMSTART
	v_med3_f32 v4, v4, v10, v11
v_med3_f32 v5, v5, v10, v11
v_cvt_pk_fp8_f32 v6, v4, v5
	;;#ASMEND
	s_and_b32 s9, s2, 0xffff
	s_lshr_b32 s2, s10, 30
	;;#ASMSTART
	v_pk_mul_f32 v[4:5], v[32:33], v[2:3]
	;;#ASMEND
	s_add_i32 s3, s3, s2
	;;#ASMSTART
	v_med3_f32 v4, v4, v10, v11
v_med3_f32 v5, v5, v10, v11
v_cvt_pk_fp8_f32 v7, v4, v5
	;;#ASMEND
	s_mov_b32 s2, 0x5040100
	v_perm_b32 v4, v7, v6, s2
	s_mov_b32 s2, 0x1060504
	v_perm_b32 v4, v4, v7, s2
	;;#ASMSTART
	v_pk_mul_f32 v[6:7], v[26:27], v[2:3]
	;;#ASMEND
	v_mov_b32_e32 v5, v7
	;;#ASMSTART
	v_med3_f32 v6, v6, v10, v11
v_med3_f32 v5, v5, v10, v11
v_cvt_pk_fp8_f32 v8, v6, v5
	;;#ASMEND
	;;#ASMSTART
	v_pk_mul_f32 v[6:7], v[24:25], v[2:3]
	;;#ASMEND
	v_mov_b32_e32 v5, v7
	;;#ASMSTART
	v_med3_f32 v6, v6, v10, v11
v_med3_f32 v5, v5, v10, v11
v_cvt_pk_fp8_f32 v7, v6, v5
	;;#ASMEND
	s_mov_b32 s2, 0x1000504
	v_perm_b32 v5, v8, v7, s2
	;;#ASMSTART
	v_pk_mul_f32 v[6:7], v[30:31], v[2:3]
	;;#ASMEND
	;;#ASMSTART
	v_med3_f32 v6, v6, v10, v11
v_med3_f32 v7, v7, v10, v11
v_cvt_pk_fp8_f32 v8, v6, v7
	;;#ASMEND
	;;#ASMSTART
	v_pk_mul_f32 v[6:7], v[28:29], v[2:3]
	;;#ASMEND
	;;#ASMSTART
	v_med3_f32 v6, v6, v10, v11
v_med3_f32 v7, v7, v10, v11
v_cvt_pk_fp8_f32 v9, v6, v7
	;;#ASMEND
	v_perm_b32 v6, v8, v9, s2
	;;#ASMSTART
	v_pk_mul_f32 v[8:9], v[22:23], v[2:3]
	;;#ASMEND
	v_mov_b32_e32 v7, v9
	;;#ASMSTART
	v_med3_f32 v8, v8, v10, v11
v_med3_f32 v7, v7, v10, v11
v_cvt_pk_fp8_f32 v9, v8, v7
	;;#ASMEND
	;;#ASMSTART
	v_pk_mul_f32 v[2:3], v[20:21], v[2:3]
	;;#ASMEND
	;;#ASMSTART
	v_med3_f32 v2, v2, v10, v11
v_med3_f32 v3, v3, v10, v11
v_cvt_pk_fp8_f32 v7, v2, v3
	;;#ASMEND
	s_and_b32 s10, s3, -4
	s_mov_b32 s11, 0x20000
	v_perm_b32 v7, v9, v7, s2
	buffer_store_dwordx4 v[4:7], v1, s[8:11], 0 offen
	;;#ASMSTART
	s_nop 0
	;;#ASMEND
.LBB693_22:
	s_or_b64 exec, exec, s[14:15]
	s_cmp_lt_i32 s20, 1
	s_cbranch_scc1 .LBB693_12
.LBB693_23:
	s_load_dword s2, s[4:5], 0x94
	s_waitcnt lgkmcnt(0)
	s_cmp_lg_u32 s2, 1
	s_cbranch_scc1 .LBB693_12
; %bb.24:
	s_lshl_b32 s2, s20, 1
	s_add_i32 s2, s2, 2
	v_cmp_gt_u32_e32 vcc, s20, v1
	s_and_b32 s14, s2, -4
	v_mov_b32_e32 v18, 0
	v_lshlrev_b32_e32 v1, 5, v0
	v_mov_b32_e32 v14, 0
	v_mov_b32_e32 v15, 0
	;; [unrolled: 1-line block ×8, first 2 shown]
	s_waitcnt vmcnt(1)
	v_mov_b32_e32 v6, 0
	v_mov_b32_e32 v7, 0
	;; [unrolled: 1-line block ×4, first 2 shown]
	s_waitcnt vmcnt(0)
	v_mov_b32_e32 v2, 0
	v_mov_b32_e32 v3, 0
	;; [unrolled: 1-line block ×4, first 2 shown]
	s_barrier
	s_and_saveexec_b64 s[2:3], vcc
	s_cbranch_execz .LBB693_26
; %bb.25:
	s_mul_hi_i32 s5, s22, s6
	s_mul_i32 s4, s22, s6
	s_and_b32 s13, s13, 0xffff
	s_lshl_b64 s[4:5], s[4:5], 1
	s_add_u32 s8, s30, s4
	s_mov_b32 s15, 0x20000
	s_addc_u32 s4, s31, s5
	s_and_b32 s9, s4, 0xffff
	s_mov_b32 s10, s14
	s_mov_b32 s11, s15
	buffer_load_dwordx4 v[14:17], v1, s[8:11], 0 offen
	buffer_load_dwordx4 v[10:13], v1, s[8:11], 16 offen
	;; [unrolled: 1-line block ×4, first 2 shown]
.LBB693_26:
	s_or_b64 exec, exec, s[2:3]
	v_mov_b32_e32 v19, 0
	v_mov_b32_e32 v32, 0
	;; [unrolled: 1-line block ×15, first 2 shown]
	s_and_saveexec_b64 s[2:3], vcc
	s_cbranch_execz .LBB693_28
; %bb.27:
	s_waitcnt vmcnt(3)
	v_cvt_f32_f16_sdwa v19, v14 dst_sel:DWORD dst_unused:UNUSED_PAD src0_sel:WORD_1
	v_cvt_f32_f16_e32 v18, v14
	v_cvt_f32_f16_sdwa v33, v15 dst_sel:DWORD dst_unused:UNUSED_PAD src0_sel:WORD_1
	v_cvt_f32_f16_e32 v32, v15
	;; [unrolled: 2-line block ×4, first 2 shown]
	s_waitcnt vmcnt(2)
	v_cvt_f32_f16_sdwa v27, v10 dst_sel:DWORD dst_unused:UNUSED_PAD src0_sel:WORD_1
	v_cvt_f32_f16_e32 v26, v10
	v_cvt_f32_f16_sdwa v25, v11 dst_sel:DWORD dst_unused:UNUSED_PAD src0_sel:WORD_1
	v_cvt_f32_f16_e32 v24, v11
	;; [unrolled: 2-line block ×4, first 2 shown]
.LBB693_28:
	s_or_b64 exec, exec, s[2:3]
	s_waitcnt vmcnt(2)
	v_mul_f32_e32 v10, v19, v19
	v_fmac_f32_e32 v10, v18, v18
	v_fmac_f32_e32 v10, v32, v32
	;; [unrolled: 1-line block ×15, first 2 shown]
	s_nop 1
	v_mov_b32_dpp v11, v10 quad_perm:[1,0,3,2] row_mask:0xf bank_mask:0xf
	v_add_f32_e32 v10, v10, v11
	s_nop 1
	v_mov_b32_dpp v11, v10 quad_perm:[2,3,0,1] row_mask:0xf bank_mask:0xf
	v_add_f32_e32 v10, v10, v11
	s_nop 1
	v_mov_b32_dpp v11, v10 row_half_mirror row_mask:0xf bank_mask:0xf
	v_add_f32_e32 v10, v10, v11
	s_nop 1
	v_mov_b32_dpp v11, v10 row_mirror row_mask:0xf bank_mask:0xf
	v_add_f32_e32 v10, v10, v11
	s_nop 1
	v_mov_b32_dpp v11, v10 row_bcast:15 row_mask:0xf bank_mask:0xf
	v_add_f32_e32 v10, v10, v11
	s_nop 1
	v_mov_b32_dpp v11, v10 row_bcast:31 row_mask:0xf bank_mask:0xf
	s_and_saveexec_b64 s[2:3], s[0:1]
	s_cbranch_execz .LBB693_30
; %bb.29:
	v_lshrrev_b32_e32 v0, 4, v0
	v_add_f32_e32 v10, v10, v11
	v_and_b32_e32 v0, 60, v0
	ds_write_b32 v0, v10
.LBB693_30:
	s_or_b64 exec, exec, s[2:3]
	s_waitcnt lgkmcnt(0)
	s_barrier
	ds_read_b32 v0, v34
	s_waitcnt lgkmcnt(0)
	s_nop 0
	v_mov_b32_dpp v10, v0 quad_perm:[1,0,3,2] row_mask:0xf bank_mask:0xf
	s_and_saveexec_b64 s[0:1], vcc
	s_cbranch_execz .LBB693_12
; %bb.31:
	v_cvt_f32_u32_e32 v11, s20
	v_add_f32_e32 v0, v0, v10
	s_mov_b32 s15, 0x20000
	v_div_scale_f32 v10, s[0:1], v11, v11, v0
	v_rcp_f32_e32 v12, v10
	v_div_scale_f32 v13, vcc, v0, v11, v0
	s_mov_b32 s0, 0x800000
	v_fma_f32 v14, -v10, v12, 1.0
	v_fmac_f32_e32 v12, v14, v12
	v_mul_f32_e32 v14, v13, v12
	v_fma_f32 v15, -v10, v14, v13
	v_fmac_f32_e32 v14, v15, v12
	v_fma_f32 v10, -v10, v14, v13
	v_div_fmas_f32 v10, v10, v12, v14
	v_div_fixup_f32 v0, v10, v11, v0
	v_add_f32_e32 v0, s17, v0
	v_mul_f32_e32 v10, 0x4b800000, v0
	v_cmp_gt_f32_e32 vcc, s0, v0
	v_cndmask_b32_e32 v0, v0, v10, vcc
	v_rsq_f32_e32 v0, v0
	s_mul_hi_i32 s1, s7, s6
	s_mul_i32 s0, s7, s6
	s_lshl_b64 s[0:1], s[0:1], 1
	v_mul_f32_e32 v10, 0x45800000, v0
	v_cndmask_b32_e32 v10, v0, v10, vcc
	v_mov_b32_e32 v11, v10
	;;#ASMSTART
	v_pk_mul_f32 v[12:13], v[18:19], v[10:11]
	;;#ASMEND
	;;#ASMSTART
	v_pk_mul_f32 v[14:15], v[32:33], v[10:11]
	;;#ASMEND
	;; [unrolled: 3-line block ×8, first 2 shown]
	s_waitcnt vmcnt(1)
	v_cvt_f32_f16_sdwa v21, v6 dst_sel:DWORD dst_unused:UNUSED_PAD src0_sel:WORD_1
	v_cvt_f32_f16_e32 v20, v6
	v_cvt_f32_f16_sdwa v29, v7 dst_sel:DWORD dst_unused:UNUSED_PAD src0_sel:WORD_1
	v_cvt_f32_f16_e32 v28, v7
	;; [unrolled: 2-line block ×4, first 2 shown]
	;;#ASMSTART
	v_pk_mul_f32 v[8:9], v[12:13], v[20:21]
	;;#ASMEND
	;;#ASMSTART
	v_pk_mul_f32 v[12:13], v[14:15], v[28:29]
	;;#ASMEND
	;; [unrolled: 3-line block ×4, first 2 shown]
	s_waitcnt vmcnt(0)
	v_cvt_f32_f16_sdwa v17, v2 dst_sel:DWORD dst_unused:UNUSED_PAD src0_sel:WORD_1
	v_cvt_f32_f16_e32 v16, v2
	v_cvt_f32_f16_sdwa v19, v3 dst_sel:DWORD dst_unused:UNUSED_PAD src0_sel:WORD_1
	v_cvt_f32_f16_e32 v18, v3
	v_cvt_f32_f16_sdwa v3, v4 dst_sel:DWORD dst_unused:UNUSED_PAD src0_sel:WORD_1
	v_cvt_f32_f16_e32 v2, v4
	v_cvt_f32_f16_sdwa v21, v5 dst_sel:DWORD dst_unused:UNUSED_PAD src0_sel:WORD_1
	v_cvt_f32_f16_e32 v20, v5
	;;#ASMSTART
	v_pk_mul_f32 v[16:17], v[26:27], v[16:17]
	;;#ASMEND
	;;#ASMSTART
	v_pk_mul_f32 v[18:19], v[24:25], v[18:19]
	;;#ASMEND
	;; [unrolled: 3-line block ×3, first 2 shown]
	v_cvt_f16_f32_e32 v0, v8
	v_cvt_f16_f32_e32 v2, v9
	;; [unrolled: 1-line block ×8, first 2 shown]
	s_add_u32 s12, s28, s0
	s_addc_u32 s0, s29, s1
	s_and_b32 s13, s0, 0xffff
	v_pack_b32_f16 v2, v0, v2
	v_pack_b32_f16 v3, v3, v4
	;; [unrolled: 1-line block ×4, first 2 shown]
	;;#ASMSTART
	v_pk_mul_f32 v[10:11], v[10:11], v[20:21]
	;;#ASMEND
	buffer_store_dwordx4 v[2:5], v1, s[12:15], 0 offen
	v_cvt_f16_f32_e32 v0, v16
	v_cvt_f16_f32_e32 v2, v17
	;; [unrolled: 1-line block ×8, first 2 shown]
	v_pack_b32_f16 v2, v0, v2
	v_pack_b32_f16 v3, v3, v4
	;; [unrolled: 1-line block ×4, first 2 shown]
	;;#ASMSTART
	s_nop 0
	;;#ASMEND
	buffer_store_dwordx4 v[2:5], v1, s[12:15], 16 offen
	;;#ASMSTART
	s_nop 0
	;;#ASMEND
	s_endpgm
	.section	.rodata,"a",@progbits
	.p2align	6, 0x0
	.amdhsa_kernel _ZN5aiter35fused_qk_rmsnorm_group_quant_kernelIDF16_DB8_Li128ELi16ELi4ELb0ELb0ELb0ELb0ELb0ELb0EEEvPT0_PvPT_S6_S6_PKS5_S8_S8_S8_S8_ffiiiiiiiiiiiii
		.amdhsa_group_segment_fixed_size 16
		.amdhsa_private_segment_fixed_size 0
		.amdhsa_kernarg_size 400
		.amdhsa_user_sgpr_count 6
		.amdhsa_user_sgpr_private_segment_buffer 1
		.amdhsa_user_sgpr_dispatch_ptr 0
		.amdhsa_user_sgpr_queue_ptr 0
		.amdhsa_user_sgpr_kernarg_segment_ptr 1
		.amdhsa_user_sgpr_dispatch_id 0
		.amdhsa_user_sgpr_flat_scratch_init 0
		.amdhsa_user_sgpr_kernarg_preload_length 0
		.amdhsa_user_sgpr_kernarg_preload_offset 0
		.amdhsa_user_sgpr_private_segment_size 0
		.amdhsa_uses_dynamic_stack 0
		.amdhsa_system_sgpr_private_segment_wavefront_offset 0
		.amdhsa_system_sgpr_workgroup_id_x 1
		.amdhsa_system_sgpr_workgroup_id_y 1
		.amdhsa_system_sgpr_workgroup_id_z 0
		.amdhsa_system_sgpr_workgroup_info 0
		.amdhsa_system_vgpr_workitem_id 0
		.amdhsa_next_free_vgpr 38
		.amdhsa_next_free_sgpr 32
		.amdhsa_accum_offset 40
		.amdhsa_reserve_vcc 1
		.amdhsa_reserve_flat_scratch 0
		.amdhsa_float_round_mode_32 0
		.amdhsa_float_round_mode_16_64 0
		.amdhsa_float_denorm_mode_32 3
		.amdhsa_float_denorm_mode_16_64 3
		.amdhsa_dx10_clamp 1
		.amdhsa_ieee_mode 1
		.amdhsa_fp16_overflow 0
		.amdhsa_tg_split 0
		.amdhsa_exception_fp_ieee_invalid_op 0
		.amdhsa_exception_fp_denorm_src 0
		.amdhsa_exception_fp_ieee_div_zero 0
		.amdhsa_exception_fp_ieee_overflow 0
		.amdhsa_exception_fp_ieee_underflow 0
		.amdhsa_exception_fp_ieee_inexact 0
		.amdhsa_exception_int_div_zero 0
	.end_amdhsa_kernel
	.section	.text._ZN5aiter35fused_qk_rmsnorm_group_quant_kernelIDF16_DB8_Li128ELi16ELi4ELb0ELb0ELb0ELb0ELb0ELb0EEEvPT0_PvPT_S6_S6_PKS5_S8_S8_S8_S8_ffiiiiiiiiiiiii,"axG",@progbits,_ZN5aiter35fused_qk_rmsnorm_group_quant_kernelIDF16_DB8_Li128ELi16ELi4ELb0ELb0ELb0ELb0ELb0ELb0EEEvPT0_PvPT_S6_S6_PKS5_S8_S8_S8_S8_ffiiiiiiiiiiiii,comdat
.Lfunc_end693:
	.size	_ZN5aiter35fused_qk_rmsnorm_group_quant_kernelIDF16_DB8_Li128ELi16ELi4ELb0ELb0ELb0ELb0ELb0ELb0EEEvPT0_PvPT_S6_S6_PKS5_S8_S8_S8_S8_ffiiiiiiiiiiiii, .Lfunc_end693-_ZN5aiter35fused_qk_rmsnorm_group_quant_kernelIDF16_DB8_Li128ELi16ELi4ELb0ELb0ELb0ELb0ELb0ELb0EEEvPT0_PvPT_S6_S6_PKS5_S8_S8_S8_S8_ffiiiiiiiiiiiii
                                        ; -- End function
	.section	.AMDGPU.csdata,"",@progbits
; Kernel info:
; codeLenInByte = 3388
; NumSgprs: 36
; NumVgprs: 38
; NumAgprs: 0
; TotalNumVgprs: 38
; ScratchSize: 0
; MemoryBound: 0
; FloatMode: 240
; IeeeMode: 1
; LDSByteSize: 16 bytes/workgroup (compile time only)
; SGPRBlocks: 4
; VGPRBlocks: 4
; NumSGPRsForWavesPerEU: 36
; NumVGPRsForWavesPerEU: 38
; AccumOffset: 40
; Occupancy: 8
; WaveLimiterHint : 0
; COMPUTE_PGM_RSRC2:SCRATCH_EN: 0
; COMPUTE_PGM_RSRC2:USER_SGPR: 6
; COMPUTE_PGM_RSRC2:TRAP_HANDLER: 0
; COMPUTE_PGM_RSRC2:TGID_X_EN: 1
; COMPUTE_PGM_RSRC2:TGID_Y_EN: 1
; COMPUTE_PGM_RSRC2:TGID_Z_EN: 0
; COMPUTE_PGM_RSRC2:TIDIG_COMP_CNT: 0
; COMPUTE_PGM_RSRC3_GFX90A:ACCUM_OFFSET: 9
; COMPUTE_PGM_RSRC3_GFX90A:TG_SPLIT: 0
	.section	.text._ZN5aiter35fused_qk_rmsnorm_group_quant_kernelItDB8_Li128ELi16ELi4ELb0ELb0ELb0ELb0ELb0ELb0EEEvPT0_PvPT_S6_S6_PKS5_S8_S8_S8_S8_ffiiiiiiiiiiiii,"axG",@progbits,_ZN5aiter35fused_qk_rmsnorm_group_quant_kernelItDB8_Li128ELi16ELi4ELb0ELb0ELb0ELb0ELb0ELb0EEEvPT0_PvPT_S6_S6_PKS5_S8_S8_S8_S8_ffiiiiiiiiiiiii,comdat
	.protected	_ZN5aiter35fused_qk_rmsnorm_group_quant_kernelItDB8_Li128ELi16ELi4ELb0ELb0ELb0ELb0ELb0ELb0EEEvPT0_PvPT_S6_S6_PKS5_S8_S8_S8_S8_ffiiiiiiiiiiiii ; -- Begin function _ZN5aiter35fused_qk_rmsnorm_group_quant_kernelItDB8_Li128ELi16ELi4ELb0ELb0ELb0ELb0ELb0ELb0EEEvPT0_PvPT_S6_S6_PKS5_S8_S8_S8_S8_ffiiiiiiiiiiiii
	.globl	_ZN5aiter35fused_qk_rmsnorm_group_quant_kernelItDB8_Li128ELi16ELi4ELb0ELb0ELb0ELb0ELb0ELb0EEEvPT0_PvPT_S6_S6_PKS5_S8_S8_S8_S8_ffiiiiiiiiiiiii
	.p2align	8
	.type	_ZN5aiter35fused_qk_rmsnorm_group_quant_kernelItDB8_Li128ELi16ELi4ELb0ELb0ELb0ELb0ELb0ELb0EEEvPT0_PvPT_S6_S6_PKS5_S8_S8_S8_S8_ffiiiiiiiiiiiii,@function
_ZN5aiter35fused_qk_rmsnorm_group_quant_kernelItDB8_Li128ELi16ELi4ELb0ELb0ELb0ELb0ELb0ELb0EEEvPT0_PvPT_S6_S6_PKS5_S8_S8_S8_S8_ffiiiiiiiiiiiii: ; @_ZN5aiter35fused_qk_rmsnorm_group_quant_kernelItDB8_Li128ELi16ELi4ELb0ELb0ELb0ELb0ELb0ELb0EEEvPT0_PvPT_S6_S6_PKS5_S8_S8_S8_S8_ffiiiiiiiiiiiii
; %bb.0:
	s_load_dwordx4 s[16:19], s[4:5], 0x50
	s_waitcnt lgkmcnt(0)
	s_cmp_ge_i32 s6, s18
	s_cbranch_scc1 .LBB694_12
; %bb.1:
	s_load_dwordx2 s[12:13], s[4:5], 0x48
	s_load_dwordx2 s[30:31], s[4:5], 0x30
	s_load_dwordx4 s[20:23], s[4:5], 0x60
	s_cmp_lg_u32 s7, 0
	s_cselect_b64 s[14:15], -1, 0
	s_cmp_eq_u32 s7, 0
	s_cselect_b64 vcc, -1, 0
	s_and_b64 s[0:1], vcc, exec
	s_waitcnt lgkmcnt(0)
	s_cselect_b32 s7, s19, s20
	s_add_i32 s0, s7, 1
	s_lshr_b32 s1, s0, 31
	s_add_i32 s0, s0, s1
	s_lshl_b32 s0, s0, 1
	v_lshlrev_b32_e32 v1, 4, v0
	s_and_b32 s10, s0, -4
	v_cmp_gt_i32_e64 s[2:3], s7, v1
	v_mov_b32_e32 v18, 0
	v_mov_b32_e32 v6, 0
	;; [unrolled: 1-line block ×17, first 2 shown]
	s_and_saveexec_b64 s[0:1], s[2:3]
	s_cbranch_execz .LBB694_3
; %bb.2:
	s_load_dwordx2 s[8:9], s[4:5], 0x28
	s_load_dwordx2 s[26:27], s[4:5], 0x40
	s_and_b64 s[24:25], vcc, exec
	s_cselect_b32 s11, s21, s22
	v_lshlrev_b32_e32 v19, 5, v0
	s_waitcnt lgkmcnt(0)
	s_cselect_b32 s18, s9, s31
	s_cselect_b32 s21, s8, s30
	s_mul_hi_i32 s9, s11, s6
	s_mul_i32 s8, s11, s6
	s_lshl_b64 s[8:9], s[8:9], 1
	s_add_u32 s24, s21, s8
	s_addc_u32 s18, s18, s9
	s_and_b64 s[8:9], vcc, exec
	s_mov_b32 s11, 0x20000
	s_cselect_b32 s8, s26, s12
	s_cselect_b32 s9, s27, s13
	s_and_b32 s25, s18, 0xffff
	s_mov_b32 s26, s10
	s_mov_b32 s27, s11
	s_and_b32 s9, s9, 0xffff
	buffer_load_dwordx4 v[14:17], v19, s[24:27], 0 offen
	buffer_load_dwordx4 v[10:13], v19, s[24:27], 16 offen
	;; [unrolled: 1-line block ×4, first 2 shown]
.LBB694_3:
	s_or_b64 exec, exec, s[0:1]
	v_mov_b32_e32 v19, 0
	v_mov_b32_e32 v32, 0
	;; [unrolled: 1-line block ×15, first 2 shown]
	s_and_saveexec_b64 s[0:1], s[2:3]
	s_cbranch_execz .LBB694_5
; %bb.4:
	s_waitcnt vmcnt(3)
	v_cvt_f32_u32_sdwa v18, v14 dst_sel:DWORD dst_unused:UNUSED_PAD src0_sel:WORD_0
	v_cvt_f32_u32_sdwa v19, v14 dst_sel:DWORD dst_unused:UNUSED_PAD src0_sel:WORD_1
	v_cvt_f32_u32_sdwa v32, v15 dst_sel:DWORD dst_unused:UNUSED_PAD src0_sel:WORD_0
	v_cvt_f32_u32_sdwa v33, v15 dst_sel:DWORD dst_unused:UNUSED_PAD src0_sel:WORD_1
	;; [unrolled: 2-line block ×4, first 2 shown]
	s_waitcnt vmcnt(2)
	v_cvt_f32_u32_sdwa v30, v10 dst_sel:DWORD dst_unused:UNUSED_PAD src0_sel:WORD_0
	v_cvt_f32_u32_sdwa v31, v10 dst_sel:DWORD dst_unused:UNUSED_PAD src0_sel:WORD_1
	v_cvt_f32_u32_sdwa v28, v11 dst_sel:DWORD dst_unused:UNUSED_PAD src0_sel:WORD_0
	v_cvt_f32_u32_sdwa v29, v11 dst_sel:DWORD dst_unused:UNUSED_PAD src0_sel:WORD_1
	;; [unrolled: 2-line block ×4, first 2 shown]
.LBB694_5:
	s_or_b64 exec, exec, s[0:1]
	s_waitcnt vmcnt(2)
	v_mul_f32_e32 v10, v19, v19
	v_fmac_f32_e32 v10, v18, v18
	v_fmac_f32_e32 v10, v32, v32
	v_fmac_f32_e32 v10, v33, v33
	v_fmac_f32_e32 v10, v26, v26
	v_fmac_f32_e32 v10, v27, v27
	v_fmac_f32_e32 v10, v24, v24
	v_fmac_f32_e32 v10, v25, v25
	v_fmac_f32_e32 v10, v30, v30
	v_fmac_f32_e32 v10, v31, v31
	v_fmac_f32_e32 v10, v28, v28
	v_fmac_f32_e32 v10, v29, v29
	v_fmac_f32_e32 v10, v22, v22
	v_fmac_f32_e32 v10, v23, v23
	v_fmac_f32_e32 v10, v20, v20
	v_fmac_f32_e32 v10, v21, v21
	v_and_b32_e32 v12, 63, v0
	v_cmp_eq_u32_e64 s[0:1], 63, v12
	v_mov_b32_dpp v11, v10 quad_perm:[1,0,3,2] row_mask:0xf bank_mask:0xf
	v_add_f32_e32 v10, v10, v11
	s_nop 1
	v_mov_b32_dpp v11, v10 quad_perm:[2,3,0,1] row_mask:0xf bank_mask:0xf
	v_add_f32_e32 v10, v10, v11
	s_nop 1
	v_mov_b32_dpp v11, v10 row_half_mirror row_mask:0xf bank_mask:0xf
	v_add_f32_e32 v10, v10, v11
	s_nop 1
	v_mov_b32_dpp v11, v10 row_mirror row_mask:0xf bank_mask:0xf
	v_add_f32_e32 v10, v10, v11
	s_nop 1
	v_mov_b32_dpp v11, v10 row_bcast:15 row_mask:0xf bank_mask:0xf
	v_add_f32_e32 v10, v10, v11
	s_nop 1
	v_mov_b32_dpp v11, v10 row_bcast:31 row_mask:0xf bank_mask:0xf
	s_and_saveexec_b64 s[8:9], s[0:1]
	s_cbranch_execz .LBB694_7
; %bb.6:
	v_add_f32_e32 v10, v10, v11
	v_lshrrev_b32_e32 v11, 4, v0
	v_and_b32_e32 v11, 60, v11
	ds_write_b32 v11, v10 offset:8
.LBB694_7:
	s_or_b64 exec, exec, s[8:9]
	v_and_b32_e32 v10, 1, v0
	v_lshlrev_b32_e32 v34, 2, v10
	s_waitcnt lgkmcnt(0)
	s_barrier
	ds_read_b32 v10, v34 offset:8
	s_load_dwordx2 s[28:29], s[4:5], 0x18
	s_waitcnt lgkmcnt(0)
	v_mov_b32_dpp v11, v10 quad_perm:[1,0,3,2] row_mask:0xf bank_mask:0xf
	s_and_saveexec_b64 s[8:9], s[2:3]
	s_cbranch_execz .LBB694_9
; %bb.8:
	v_cvt_f32_u32_e32 v12, s7
	v_add_f32_e32 v10, v10, v11
	v_mov_b32_e32 v14, s17
	v_mov_b32_e32 v15, s16
	v_div_scale_f32 v11, s[24:25], v12, v12, v10
	v_rcp_f32_e32 v13, v11
	v_cndmask_b32_e32 v14, v14, v15, vcc
	s_mov_b32 s7, 0x800000
	s_waitcnt vmcnt(1)
	v_cvt_f32_u32_sdwa v37, v9 dst_sel:DWORD dst_unused:UNUSED_PAD src0_sel:WORD_1
	v_fma_f32 v15, -v11, v13, 1.0
	v_fmac_f32_e32 v13, v15, v13
	v_div_scale_f32 v15, vcc, v10, v12, v10
	v_mul_f32_e32 v16, v15, v13
	v_fma_f32 v17, -v11, v16, v15
	v_fmac_f32_e32 v16, v17, v13
	v_fma_f32 v11, -v11, v16, v15
	v_div_fmas_f32 v11, v11, v13, v16
	v_div_fixup_f32 v10, v11, v12, v10
	v_add_f32_e32 v10, v14, v10
	v_mul_f32_e32 v11, 0x4b800000, v10
	v_cmp_gt_f32_e32 vcc, s7, v10
	v_cndmask_b32_e32 v10, v10, v11, vcc
	v_rsq_f32_e32 v10, v10
	v_cvt_f32_u32_sdwa v36, v9 dst_sel:DWORD dst_unused:UNUSED_PAD src0_sel:WORD_0
	s_waitcnt vmcnt(0)
	v_cvt_f32_u32_sdwa v9, v3 dst_sel:DWORD dst_unused:UNUSED_PAD src0_sel:WORD_1
	v_mul_f32_e32 v11, 0x45800000, v10
	v_cndmask_b32_e32 v10, v10, v11, vcc
	v_mov_b32_e32 v11, v10
	;;#ASMSTART
	v_pk_mul_f32 v[12:13], v[18:19], v[10:11]
	;;#ASMEND
	;;#ASMSTART
	v_pk_mul_f32 v[14:15], v[32:33], v[10:11]
	;;#ASMEND
	;; [unrolled: 3-line block ×8, first 2 shown]
	v_cvt_f32_u32_sdwa v19, v6 dst_sel:DWORD dst_unused:UNUSED_PAD src0_sel:WORD_1
	v_cvt_f32_u32_sdwa v18, v6 dst_sel:DWORD dst_unused:UNUSED_PAD src0_sel:WORD_0
	v_cvt_f32_u32_sdwa v21, v7 dst_sel:DWORD dst_unused:UNUSED_PAD src0_sel:WORD_1
	v_cvt_f32_u32_sdwa v20, v7 dst_sel:DWORD dst_unused:UNUSED_PAD src0_sel:WORD_0
	;; [unrolled: 2-line block ×3, first 2 shown]
	;;#ASMSTART
	v_pk_mul_f32 v[18:19], v[12:13], v[18:19]
	;;#ASMEND
	;;#ASMSTART
	v_pk_mul_f32 v[32:33], v[14:15], v[20:21]
	;;#ASMEND
	;; [unrolled: 3-line block ×4, first 2 shown]
	v_cvt_f32_u32_sdwa v7, v2 dst_sel:DWORD dst_unused:UNUSED_PAD src0_sel:WORD_1
	v_cvt_f32_u32_sdwa v6, v2 dst_sel:DWORD dst_unused:UNUSED_PAD src0_sel:WORD_0
	v_cvt_f32_u32_sdwa v8, v3 dst_sel:DWORD dst_unused:UNUSED_PAD src0_sel:WORD_0
	v_cvt_f32_u32_sdwa v3, v4 dst_sel:DWORD dst_unused:UNUSED_PAD src0_sel:WORD_1
	v_cvt_f32_u32_sdwa v2, v4 dst_sel:DWORD dst_unused:UNUSED_PAD src0_sel:WORD_0
	v_cvt_f32_u32_sdwa v13, v5 dst_sel:DWORD dst_unused:UNUSED_PAD src0_sel:WORD_1
	v_cvt_f32_u32_sdwa v12, v5 dst_sel:DWORD dst_unused:UNUSED_PAD src0_sel:WORD_0
	;;#ASMSTART
	v_pk_mul_f32 v[30:31], v[30:31], v[6:7]
	;;#ASMEND
	;;#ASMSTART
	v_pk_mul_f32 v[28:29], v[28:29], v[8:9]
	;;#ASMEND
	;; [unrolled: 3-line block ×4, first 2 shown]
.LBB694_9:
	s_or_b64 exec, exec, s[8:9]
	s_load_dword s7, s[4:5], 0x80
	s_mov_b64 s[8:9], -1
	s_and_b64 vcc, exec, s[14:15]
	s_cbranch_vccnz .LBB694_13
; %bb.10:
	s_andn2_b64 vcc, exec, s[8:9]
	s_cbranch_vccz .LBB694_16
.LBB694_11:
	s_cmp_lt_i32 s20, 1
	s_cbranch_scc0 .LBB694_23
.LBB694_12:
	s_endpgm
.LBB694_13:
	s_and_saveexec_b64 s[14:15], s[2:3]
	s_cbranch_execz .LBB694_15
; %bb.14:
	s_waitcnt lgkmcnt(0)
	s_mul_hi_i32 s9, s7, s6
	s_mul_i32 s8, s7, s6
	s_lshl_b64 s[8:9], s[8:9], 1
	s_add_u32 s8, s28, s8
	s_addc_u32 s9, s29, s9
	s_mov_b32 s16, 0x7060302
	s_and_b32 s9, s9, 0xffff
	s_mov_b32 s11, 0x20000
	s_waitcnt vmcnt(0)
	v_perm_b32 v5, v25, v24, s16
	v_perm_b32 v4, v27, v26, s16
	;; [unrolled: 1-line block ×4, first 2 shown]
	v_lshlrev_b32_e32 v6, 5, v0
	buffer_store_dwordx4 v[2:5], v6, s[8:11], 0 offen
	;;#ASMSTART
	s_nop 0
	;;#ASMEND
	s_nop 0
	v_perm_b32 v5, v21, v20, s16
	v_perm_b32 v4, v23, v22, s16
	v_perm_b32 v3, v29, v28, s16
	v_perm_b32 v2, v31, v30, s16
	buffer_store_dwordx4 v[2:5], v6, s[8:11], 16 offen
	;;#ASMSTART
	s_nop 0
	;;#ASMEND
.LBB694_15:
	s_or_b64 exec, exec, s[14:15]
	s_cbranch_execnz .LBB694_11
.LBB694_16:
	s_waitcnt vmcnt(0)
	v_mov_b32_e32 v2, 0
	s_and_saveexec_b64 s[8:9], s[2:3]
	s_cbranch_execz .LBB694_18
; %bb.17:
	v_and_b32_e32 v2, 0x7fffffff, v18
	v_and_b32_e32 v3, 0x7fffffff, v19
	v_mov_b32_e32 v4, 0x2edbe6ff
	;;#ASMSTART
	v_max3_f32 v2, v4, v2, v3

	;;#ASMEND
	v_and_b32_e32 v3, 0x7fffffff, v32
	v_and_b32_e32 v4, 0x7fffffff, v33
	;;#ASMSTART
	v_max3_f32 v2, v2, v3, v4

	;;#ASMEND
	v_and_b32_e32 v3, 0x7fffffff, v26
	v_and_b32_e32 v4, 0x7fffffff, v27
	;; [unrolled: 6-line block ×7, first 2 shown]
	;;#ASMSTART
	v_max3_f32 v2, v2, v3, v4

	;;#ASMEND
.LBB694_18:
	s_or_b64 exec, exec, s[8:9]
	s_load_dwordx4 s[24:27], s[4:5], 0x70
	;;#ASMSTART
	v_max_f32 v3, v2, v2 quad_perm:[1,0,3,2] row_mask:0xf bank_mask:0xf bound_ctrl:1
	;;#ASMEND
	;;#ASMSTART
	v_max_f32 v2, v3, v3 quad_perm:[2,3,0,1] row_mask:0xf bank_mask:0xf bound_ctrl:1
	;;#ASMEND
	v_and_b32_e32 v3, 3, v0
	v_cmp_eq_u32_e32 vcc, 0, v3
	v_cmp_gt_i32_e64 s[8:9], s19, v1
	v_mul_f32_e32 v2, 0x3b124925, v2
	s_and_b64 s[10:11], vcc, s[8:9]
	s_and_saveexec_b64 s[8:9], s[10:11]
	s_cbranch_execz .LBB694_20
; %bb.19:
	s_load_dwordx2 s[10:11], s[4:5], 0x8
	s_waitcnt lgkmcnt(0)
	s_mul_hi_i32 s15, s25, s6
	s_mul_i32 s14, s25, s6
	v_lshrrev_b32_e32 v3, 2, v0
	s_lshl_b64 s[14:15], s[14:15], 2
	v_mad_i64_i32 v[4:5], s[26:27], s26, v3, 0
	s_add_u32 s10, s10, s14
	s_addc_u32 s11, s11, s15
	v_lshlrev_b64 v[4:5], 2, v[4:5]
	v_mov_b32_e32 v3, s11
	v_add_co_u32_e32 v4, vcc, s10, v4
	v_addc_co_u32_e32 v5, vcc, v3, v5, vcc
	global_store_dword v[4:5], v2, off
.LBB694_20:
	s_or_b64 exec, exec, s[8:9]
	;;#ASMSTART
	v_rcp_f32 v2, v2
	;;#ASMEND
	s_and_saveexec_b64 s[14:15], s[2:3]
	s_cbranch_execz .LBB694_22
; %bb.21:
	s_load_dwordx2 s[2:3], s[4:5], 0x0
	s_waitcnt lgkmcnt(0)
	s_mul_i32 s8, s24, s6
	s_mul_hi_i32 s9, s24, s6
	v_mov_b32_e32 v3, v2
	;;#ASMSTART
	v_pk_mul_f32 v[4:5], v[18:19], v[2:3]
	;;#ASMEND
	s_add_u32 s8, s2, s8
	s_addc_u32 s2, s3, s9
	s_add_i32 s3, s19, 3
	s_ashr_i32 s10, s3, 31
	v_mov_b32_e32 v10, 0xc3e00000
	v_mov_b32_e32 v11, 0x43e00000
	;;#ASMSTART
	v_med3_f32 v4, v4, v10, v11
v_med3_f32 v5, v5, v10, v11
v_cvt_pk_fp8_f32 v6, v4, v5
	;;#ASMEND
	s_and_b32 s9, s2, 0xffff
	s_lshr_b32 s2, s10, 30
	;;#ASMSTART
	v_pk_mul_f32 v[4:5], v[32:33], v[2:3]
	;;#ASMEND
	s_add_i32 s3, s3, s2
	;;#ASMSTART
	v_med3_f32 v4, v4, v10, v11
v_med3_f32 v5, v5, v10, v11
v_cvt_pk_fp8_f32 v7, v4, v5
	;;#ASMEND
	s_mov_b32 s2, 0x5040100
	v_perm_b32 v4, v7, v6, s2
	s_mov_b32 s2, 0x1060504
	v_perm_b32 v4, v4, v7, s2
	;;#ASMSTART
	v_pk_mul_f32 v[6:7], v[26:27], v[2:3]
	;;#ASMEND
	v_mov_b32_e32 v5, v6
	;;#ASMSTART
	v_med3_f32 v5, v5, v10, v11
v_med3_f32 v7, v7, v10, v11
v_cvt_pk_fp8_f32 v8, v5, v7
	;;#ASMEND
	;;#ASMSTART
	v_pk_mul_f32 v[6:7], v[24:25], v[2:3]
	;;#ASMEND
	v_mov_b32_e32 v5, v7
	;;#ASMSTART
	v_med3_f32 v6, v6, v10, v11
v_med3_f32 v5, v5, v10, v11
v_cvt_pk_fp8_f32 v7, v6, v5
	;;#ASMEND
	s_mov_b32 s2, 0x1000504
	v_perm_b32 v5, v8, v7, s2
	;;#ASMSTART
	v_pk_mul_f32 v[6:7], v[30:31], v[2:3]
	;;#ASMEND
	;;#ASMSTART
	v_med3_f32 v6, v6, v10, v11
v_med3_f32 v7, v7, v10, v11
v_cvt_pk_fp8_f32 v8, v6, v7
	;;#ASMEND
	;;#ASMSTART
	v_pk_mul_f32 v[6:7], v[28:29], v[2:3]
	;;#ASMEND
	;;#ASMSTART
	v_med3_f32 v6, v6, v10, v11
v_med3_f32 v7, v7, v10, v11
v_cvt_pk_fp8_f32 v9, v6, v7
	;;#ASMEND
	v_perm_b32 v6, v8, v9, s2
	;;#ASMSTART
	v_pk_mul_f32 v[8:9], v[22:23], v[2:3]
	;;#ASMEND
	v_mov_b32_e32 v7, v8
	;;#ASMSTART
	v_med3_f32 v7, v7, v10, v11
v_med3_f32 v9, v9, v10, v11
v_cvt_pk_fp8_f32 v8, v7, v9
	;;#ASMEND
	;;#ASMSTART
	v_pk_mul_f32 v[2:3], v[20:21], v[2:3]
	;;#ASMEND
	;;#ASMSTART
	v_med3_f32 v2, v2, v10, v11
v_med3_f32 v3, v3, v10, v11
v_cvt_pk_fp8_f32 v7, v2, v3
	;;#ASMEND
	s_and_b32 s10, s3, -4
	s_mov_b32 s11, 0x20000
	v_perm_b32 v7, v8, v7, s2
	buffer_store_dwordx4 v[4:7], v1, s[8:11], 0 offen
	;;#ASMSTART
	s_nop 0
	;;#ASMEND
.LBB694_22:
	s_or_b64 exec, exec, s[14:15]
	s_cmp_lt_i32 s20, 1
	s_cbranch_scc1 .LBB694_12
.LBB694_23:
	s_load_dword s2, s[4:5], 0x94
	s_waitcnt lgkmcnt(0)
	s_cmp_lg_u32 s2, 1
	s_cbranch_scc1 .LBB694_12
; %bb.24:
	s_lshl_b32 s2, s20, 1
	s_add_i32 s2, s2, 2
	v_cmp_gt_u32_e32 vcc, s20, v1
	s_and_b32 s14, s2, -4
	v_mov_b32_e32 v18, 0
	v_lshlrev_b32_e32 v1, 5, v0
	v_mov_b32_e32 v14, 0
	v_mov_b32_e32 v15, 0
	;; [unrolled: 1-line block ×8, first 2 shown]
	s_waitcnt vmcnt(1)
	v_mov_b32_e32 v6, 0
	v_mov_b32_e32 v7, 0
	;; [unrolled: 1-line block ×4, first 2 shown]
	s_waitcnt vmcnt(0)
	v_mov_b32_e32 v2, 0
	v_mov_b32_e32 v3, 0
	v_mov_b32_e32 v4, 0
	v_mov_b32_e32 v5, 0
	s_barrier
	s_and_saveexec_b64 s[2:3], vcc
	s_cbranch_execz .LBB694_26
; %bb.25:
	s_mul_hi_i32 s5, s22, s6
	s_mul_i32 s4, s22, s6
	s_and_b32 s13, s13, 0xffff
	s_lshl_b64 s[4:5], s[4:5], 1
	s_add_u32 s8, s30, s4
	s_mov_b32 s15, 0x20000
	s_addc_u32 s4, s31, s5
	s_and_b32 s9, s4, 0xffff
	s_mov_b32 s10, s14
	s_mov_b32 s11, s15
	buffer_load_dwordx4 v[14:17], v1, s[8:11], 0 offen
	buffer_load_dwordx4 v[10:13], v1, s[8:11], 16 offen
	buffer_load_dwordx4 v[6:9], v1, s[12:15], 0 offen
	buffer_load_dwordx4 v[2:5], v1, s[12:15], 16 offen
.LBB694_26:
	s_or_b64 exec, exec, s[2:3]
	v_mov_b32_e32 v19, 0
	v_mov_b32_e32 v32, 0
	;; [unrolled: 1-line block ×15, first 2 shown]
	s_and_saveexec_b64 s[2:3], vcc
	s_cbranch_execz .LBB694_28
; %bb.27:
	s_waitcnt vmcnt(3)
	v_cvt_f32_u32_sdwa v18, v14 dst_sel:DWORD dst_unused:UNUSED_PAD src0_sel:WORD_0
	v_cvt_f32_u32_sdwa v19, v14 dst_sel:DWORD dst_unused:UNUSED_PAD src0_sel:WORD_1
	v_cvt_f32_u32_sdwa v32, v15 dst_sel:DWORD dst_unused:UNUSED_PAD src0_sel:WORD_0
	v_cvt_f32_u32_sdwa v33, v15 dst_sel:DWORD dst_unused:UNUSED_PAD src0_sel:WORD_1
	;; [unrolled: 2-line block ×4, first 2 shown]
	s_waitcnt vmcnt(2)
	v_cvt_f32_u32_sdwa v26, v10 dst_sel:DWORD dst_unused:UNUSED_PAD src0_sel:WORD_0
	v_cvt_f32_u32_sdwa v27, v10 dst_sel:DWORD dst_unused:UNUSED_PAD src0_sel:WORD_1
	v_cvt_f32_u32_sdwa v24, v11 dst_sel:DWORD dst_unused:UNUSED_PAD src0_sel:WORD_0
	v_cvt_f32_u32_sdwa v25, v11 dst_sel:DWORD dst_unused:UNUSED_PAD src0_sel:WORD_1
	;; [unrolled: 2-line block ×4, first 2 shown]
.LBB694_28:
	s_or_b64 exec, exec, s[2:3]
	s_waitcnt vmcnt(2)
	v_mul_f32_e32 v10, v19, v19
	v_fmac_f32_e32 v10, v18, v18
	v_fmac_f32_e32 v10, v32, v32
	;; [unrolled: 1-line block ×15, first 2 shown]
	s_nop 1
	v_mov_b32_dpp v11, v10 quad_perm:[1,0,3,2] row_mask:0xf bank_mask:0xf
	v_add_f32_e32 v10, v10, v11
	s_nop 1
	v_mov_b32_dpp v11, v10 quad_perm:[2,3,0,1] row_mask:0xf bank_mask:0xf
	v_add_f32_e32 v10, v10, v11
	s_nop 1
	v_mov_b32_dpp v11, v10 row_half_mirror row_mask:0xf bank_mask:0xf
	v_add_f32_e32 v10, v10, v11
	s_nop 1
	v_mov_b32_dpp v11, v10 row_mirror row_mask:0xf bank_mask:0xf
	v_add_f32_e32 v10, v10, v11
	s_nop 1
	v_mov_b32_dpp v11, v10 row_bcast:15 row_mask:0xf bank_mask:0xf
	v_add_f32_e32 v10, v10, v11
	s_nop 1
	v_mov_b32_dpp v11, v10 row_bcast:31 row_mask:0xf bank_mask:0xf
	s_and_saveexec_b64 s[2:3], s[0:1]
	s_cbranch_execz .LBB694_30
; %bb.29:
	v_lshrrev_b32_e32 v0, 4, v0
	v_add_f32_e32 v10, v10, v11
	v_and_b32_e32 v0, 60, v0
	ds_write_b32 v0, v10
.LBB694_30:
	s_or_b64 exec, exec, s[2:3]
	s_waitcnt lgkmcnt(0)
	s_barrier
	ds_read_b32 v0, v34
	s_waitcnt lgkmcnt(0)
	s_nop 0
	v_mov_b32_dpp v10, v0 quad_perm:[1,0,3,2] row_mask:0xf bank_mask:0xf
	s_and_saveexec_b64 s[0:1], vcc
	s_cbranch_execz .LBB694_12
; %bb.31:
	v_cvt_f32_u32_e32 v11, s20
	v_add_f32_e32 v0, v0, v10
	s_mov_b32 s15, 0x20000
	v_div_scale_f32 v10, s[0:1], v11, v11, v0
	v_rcp_f32_e32 v12, v10
	v_div_scale_f32 v13, vcc, v0, v11, v0
	s_mov_b32 s0, 0x800000
	v_fma_f32 v14, -v10, v12, 1.0
	v_fmac_f32_e32 v12, v14, v12
	v_mul_f32_e32 v14, v13, v12
	v_fma_f32 v15, -v10, v14, v13
	v_fmac_f32_e32 v14, v15, v12
	v_fma_f32 v10, -v10, v14, v13
	v_div_fmas_f32 v10, v10, v12, v14
	v_div_fixup_f32 v0, v10, v11, v0
	v_add_f32_e32 v0, s17, v0
	v_mul_f32_e32 v10, 0x4b800000, v0
	v_cmp_gt_f32_e32 vcc, s0, v0
	v_cndmask_b32_e32 v0, v0, v10, vcc
	v_rsq_f32_e32 v0, v0
	s_mul_hi_i32 s1, s7, s6
	s_mul_i32 s0, s7, s6
	s_lshl_b64 s[0:1], s[0:1], 1
	v_mul_f32_e32 v10, 0x45800000, v0
	v_cndmask_b32_e32 v10, v0, v10, vcc
	v_mov_b32_e32 v11, v10
	s_add_u32 s12, s28, s0
	;;#ASMSTART
	v_pk_mul_f32 v[12:13], v[18:19], v[10:11]
	;;#ASMEND
	;;#ASMSTART
	v_pk_mul_f32 v[14:15], v[32:33], v[10:11]
	;;#ASMEND
	;; [unrolled: 3-line block ×8, first 2 shown]
	s_waitcnt vmcnt(1)
	v_cvt_f32_u32_sdwa v21, v6 dst_sel:DWORD dst_unused:UNUSED_PAD src0_sel:WORD_1
	v_cvt_f32_u32_sdwa v20, v6 dst_sel:DWORD dst_unused:UNUSED_PAD src0_sel:WORD_0
	v_cvt_f32_u32_sdwa v29, v7 dst_sel:DWORD dst_unused:UNUSED_PAD src0_sel:WORD_1
	v_cvt_f32_u32_sdwa v28, v7 dst_sel:DWORD dst_unused:UNUSED_PAD src0_sel:WORD_0
	;; [unrolled: 2-line block ×3, first 2 shown]
	s_addc_u32 s0, s29, s1
	v_cvt_f32_u32_sdwa v31, v9 dst_sel:DWORD dst_unused:UNUSED_PAD src0_sel:WORD_1
	v_cvt_f32_u32_sdwa v30, v9 dst_sel:DWORD dst_unused:UNUSED_PAD src0_sel:WORD_0
	;;#ASMSTART
	v_pk_mul_f32 v[8:9], v[12:13], v[20:21]
	;;#ASMEND
	;;#ASMSTART
	v_pk_mul_f32 v[12:13], v[14:15], v[28:29]
	;;#ASMEND
	;; [unrolled: 3-line block ×4, first 2 shown]
	s_waitcnt vmcnt(0)
	v_cvt_f32_u32_sdwa v17, v2 dst_sel:DWORD dst_unused:UNUSED_PAD src0_sel:WORD_1
	v_cvt_f32_u32_sdwa v16, v2 dst_sel:DWORD dst_unused:UNUSED_PAD src0_sel:WORD_0
	v_cvt_f32_u32_sdwa v19, v3 dst_sel:DWORD dst_unused:UNUSED_PAD src0_sel:WORD_1
	v_cvt_f32_u32_sdwa v18, v3 dst_sel:DWORD dst_unused:UNUSED_PAD src0_sel:WORD_0
	;; [unrolled: 2-line block ×3, first 2 shown]
	s_and_b32 s13, s0, 0xffff
	s_mov_b32 s0, 0x7060302
	v_cvt_f32_u32_sdwa v21, v5 dst_sel:DWORD dst_unused:UNUSED_PAD src0_sel:WORD_1
	v_cvt_f32_u32_sdwa v20, v5 dst_sel:DWORD dst_unused:UNUSED_PAD src0_sel:WORD_0
	;;#ASMSTART
	v_pk_mul_f32 v[16:17], v[26:27], v[16:17]
	;;#ASMEND
	;;#ASMSTART
	v_pk_mul_f32 v[18:19], v[24:25], v[18:19]
	;;#ASMEND
	;;#ASMSTART
	v_pk_mul_f32 v[22:23], v[22:23], v[2:3]
	;;#ASMEND
	v_perm_b32 v2, v9, v8, s0
	v_perm_b32 v3, v13, v12, s0
	v_perm_b32 v4, v7, v6, s0
	v_perm_b32 v5, v15, v14, s0
	;;#ASMSTART
	v_pk_mul_f32 v[10:11], v[10:11], v[20:21]
	;;#ASMEND
	buffer_store_dwordx4 v[2:5], v1, s[12:15], 0 offen
	;;#ASMSTART
	s_nop 0
	;;#ASMEND
	s_nop 0
	v_perm_b32 v2, v17, v16, s0
	v_perm_b32 v3, v19, v18, s0
	;; [unrolled: 1-line block ×4, first 2 shown]
	buffer_store_dwordx4 v[2:5], v1, s[12:15], 16 offen
	;;#ASMSTART
	s_nop 0
	;;#ASMEND
	s_endpgm
	.section	.rodata,"a",@progbits
	.p2align	6, 0x0
	.amdhsa_kernel _ZN5aiter35fused_qk_rmsnorm_group_quant_kernelItDB8_Li128ELi16ELi4ELb0ELb0ELb0ELb0ELb0ELb0EEEvPT0_PvPT_S6_S6_PKS5_S8_S8_S8_S8_ffiiiiiiiiiiiii
		.amdhsa_group_segment_fixed_size 16
		.amdhsa_private_segment_fixed_size 0
		.amdhsa_kernarg_size 400
		.amdhsa_user_sgpr_count 6
		.amdhsa_user_sgpr_private_segment_buffer 1
		.amdhsa_user_sgpr_dispatch_ptr 0
		.amdhsa_user_sgpr_queue_ptr 0
		.amdhsa_user_sgpr_kernarg_segment_ptr 1
		.amdhsa_user_sgpr_dispatch_id 0
		.amdhsa_user_sgpr_flat_scratch_init 0
		.amdhsa_user_sgpr_kernarg_preload_length 0
		.amdhsa_user_sgpr_kernarg_preload_offset 0
		.amdhsa_user_sgpr_private_segment_size 0
		.amdhsa_uses_dynamic_stack 0
		.amdhsa_system_sgpr_private_segment_wavefront_offset 0
		.amdhsa_system_sgpr_workgroup_id_x 1
		.amdhsa_system_sgpr_workgroup_id_y 1
		.amdhsa_system_sgpr_workgroup_id_z 0
		.amdhsa_system_sgpr_workgroup_info 0
		.amdhsa_system_vgpr_workitem_id 0
		.amdhsa_next_free_vgpr 38
		.amdhsa_next_free_sgpr 32
		.amdhsa_accum_offset 40
		.amdhsa_reserve_vcc 1
		.amdhsa_reserve_flat_scratch 0
		.amdhsa_float_round_mode_32 0
		.amdhsa_float_round_mode_16_64 0
		.amdhsa_float_denorm_mode_32 3
		.amdhsa_float_denorm_mode_16_64 3
		.amdhsa_dx10_clamp 1
		.amdhsa_ieee_mode 1
		.amdhsa_fp16_overflow 0
		.amdhsa_tg_split 0
		.amdhsa_exception_fp_ieee_invalid_op 0
		.amdhsa_exception_fp_denorm_src 0
		.amdhsa_exception_fp_ieee_div_zero 0
		.amdhsa_exception_fp_ieee_overflow 0
		.amdhsa_exception_fp_ieee_underflow 0
		.amdhsa_exception_fp_ieee_inexact 0
		.amdhsa_exception_int_div_zero 0
	.end_amdhsa_kernel
	.section	.text._ZN5aiter35fused_qk_rmsnorm_group_quant_kernelItDB8_Li128ELi16ELi4ELb0ELb0ELb0ELb0ELb0ELb0EEEvPT0_PvPT_S6_S6_PKS5_S8_S8_S8_S8_ffiiiiiiiiiiiii,"axG",@progbits,_ZN5aiter35fused_qk_rmsnorm_group_quant_kernelItDB8_Li128ELi16ELi4ELb0ELb0ELb0ELb0ELb0ELb0EEEvPT0_PvPT_S6_S6_PKS5_S8_S8_S8_S8_ffiiiiiiiiiiiii,comdat
.Lfunc_end694:
	.size	_ZN5aiter35fused_qk_rmsnorm_group_quant_kernelItDB8_Li128ELi16ELi4ELb0ELb0ELb0ELb0ELb0ELb0EEEvPT0_PvPT_S6_S6_PKS5_S8_S8_S8_S8_ffiiiiiiiiiiiii, .Lfunc_end694-_ZN5aiter35fused_qk_rmsnorm_group_quant_kernelItDB8_Li128ELi16ELi4ELb0ELb0ELb0ELb0ELb0ELb0EEEvPT0_PvPT_S6_S6_PKS5_S8_S8_S8_S8_ffiiiiiiiiiiiii
                                        ; -- End function
	.section	.AMDGPU.csdata,"",@progbits
; Kernel info:
; codeLenInByte = 3412
; NumSgprs: 36
; NumVgprs: 38
; NumAgprs: 0
; TotalNumVgprs: 38
; ScratchSize: 0
; MemoryBound: 0
; FloatMode: 240
; IeeeMode: 1
; LDSByteSize: 16 bytes/workgroup (compile time only)
; SGPRBlocks: 4
; VGPRBlocks: 4
; NumSGPRsForWavesPerEU: 36
; NumVGPRsForWavesPerEU: 38
; AccumOffset: 40
; Occupancy: 8
; WaveLimiterHint : 0
; COMPUTE_PGM_RSRC2:SCRATCH_EN: 0
; COMPUTE_PGM_RSRC2:USER_SGPR: 6
; COMPUTE_PGM_RSRC2:TRAP_HANDLER: 0
; COMPUTE_PGM_RSRC2:TGID_X_EN: 1
; COMPUTE_PGM_RSRC2:TGID_Y_EN: 1
; COMPUTE_PGM_RSRC2:TGID_Z_EN: 0
; COMPUTE_PGM_RSRC2:TIDIG_COMP_CNT: 0
; COMPUTE_PGM_RSRC3_GFX90A:ACCUM_OFFSET: 9
; COMPUTE_PGM_RSRC3_GFX90A:TG_SPLIT: 0
	.section	.text._ZN5aiter35fused_qk_rmsnorm_group_quant_kernelIDF16_N4opus5fp4_tELi128ELi16ELi4ELb0ELb0ELb0ELb0ELb0ELb0EEEvPT0_PvPT_S7_S7_PKS6_S9_S9_S9_S9_ffiiiiiiiiiiiii,"axG",@progbits,_ZN5aiter35fused_qk_rmsnorm_group_quant_kernelIDF16_N4opus5fp4_tELi128ELi16ELi4ELb0ELb0ELb0ELb0ELb0ELb0EEEvPT0_PvPT_S7_S7_PKS6_S9_S9_S9_S9_ffiiiiiiiiiiiii,comdat
	.protected	_ZN5aiter35fused_qk_rmsnorm_group_quant_kernelIDF16_N4opus5fp4_tELi128ELi16ELi4ELb0ELb0ELb0ELb0ELb0ELb0EEEvPT0_PvPT_S7_S7_PKS6_S9_S9_S9_S9_ffiiiiiiiiiiiii ; -- Begin function _ZN5aiter35fused_qk_rmsnorm_group_quant_kernelIDF16_N4opus5fp4_tELi128ELi16ELi4ELb0ELb0ELb0ELb0ELb0ELb0EEEvPT0_PvPT_S7_S7_PKS6_S9_S9_S9_S9_ffiiiiiiiiiiiii
	.globl	_ZN5aiter35fused_qk_rmsnorm_group_quant_kernelIDF16_N4opus5fp4_tELi128ELi16ELi4ELb0ELb0ELb0ELb0ELb0ELb0EEEvPT0_PvPT_S7_S7_PKS6_S9_S9_S9_S9_ffiiiiiiiiiiiii
	.p2align	8
	.type	_ZN5aiter35fused_qk_rmsnorm_group_quant_kernelIDF16_N4opus5fp4_tELi128ELi16ELi4ELb0ELb0ELb0ELb0ELb0ELb0EEEvPT0_PvPT_S7_S7_PKS6_S9_S9_S9_S9_ffiiiiiiiiiiiii,@function
_ZN5aiter35fused_qk_rmsnorm_group_quant_kernelIDF16_N4opus5fp4_tELi128ELi16ELi4ELb0ELb0ELb0ELb0ELb0ELb0EEEvPT0_PvPT_S7_S7_PKS6_S9_S9_S9_S9_ffiiiiiiiiiiiii: ; @_ZN5aiter35fused_qk_rmsnorm_group_quant_kernelIDF16_N4opus5fp4_tELi128ELi16ELi4ELb0ELb0ELb0ELb0ELb0ELb0EEEvPT0_PvPT_S7_S7_PKS6_S9_S9_S9_S9_ffiiiiiiiiiiiii
; %bb.0:
	s_load_dwordx4 s[16:19], s[4:5], 0x50
	s_waitcnt lgkmcnt(0)
	s_cmp_ge_i32 s6, s18
	s_cbranch_scc1 .LBB695_12
; %bb.1:
	s_load_dwordx2 s[12:13], s[4:5], 0x48
	s_load_dwordx2 s[30:31], s[4:5], 0x30
	s_load_dwordx4 s[20:23], s[4:5], 0x60
	s_cmp_lg_u32 s7, 0
	s_cselect_b64 s[14:15], -1, 0
	s_cmp_eq_u32 s7, 0
	s_cselect_b64 vcc, -1, 0
	s_and_b64 s[0:1], vcc, exec
	s_waitcnt lgkmcnt(0)
	s_cselect_b32 s7, s19, s20
	s_add_i32 s0, s7, 1
	s_lshr_b32 s1, s0, 31
	s_add_i32 s0, s0, s1
	s_lshl_b32 s0, s0, 1
	v_lshlrev_b32_e32 v1, 4, v0
	s_and_b32 s10, s0, -4
	v_cmp_gt_i32_e64 s[2:3], s7, v1
	v_mov_b32_e32 v18, 0
	v_mov_b32_e32 v6, 0
	;; [unrolled: 1-line block ×17, first 2 shown]
	s_and_saveexec_b64 s[0:1], s[2:3]
	s_cbranch_execz .LBB695_3
; %bb.2:
	s_load_dwordx2 s[8:9], s[4:5], 0x28
	s_load_dwordx2 s[26:27], s[4:5], 0x40
	s_and_b64 s[24:25], vcc, exec
	s_cselect_b32 s11, s21, s22
	v_lshlrev_b32_e32 v19, 5, v0
	s_waitcnt lgkmcnt(0)
	s_cselect_b32 s18, s9, s31
	s_cselect_b32 s21, s8, s30
	s_mul_hi_i32 s9, s11, s6
	s_mul_i32 s8, s11, s6
	s_lshl_b64 s[8:9], s[8:9], 1
	s_add_u32 s24, s21, s8
	s_addc_u32 s18, s18, s9
	s_and_b64 s[8:9], vcc, exec
	s_mov_b32 s11, 0x20000
	s_cselect_b32 s8, s26, s12
	s_cselect_b32 s9, s27, s13
	s_and_b32 s25, s18, 0xffff
	s_mov_b32 s26, s10
	s_mov_b32 s27, s11
	s_and_b32 s9, s9, 0xffff
	buffer_load_dwordx4 v[14:17], v19, s[24:27], 0 offen
	buffer_load_dwordx4 v[10:13], v19, s[24:27], 16 offen
	;; [unrolled: 1-line block ×4, first 2 shown]
.LBB695_3:
	s_or_b64 exec, exec, s[0:1]
	v_mov_b32_e32 v19, 0
	v_mov_b32_e32 v24, 0
	;; [unrolled: 1-line block ×15, first 2 shown]
	s_and_saveexec_b64 s[0:1], s[2:3]
	s_cbranch_execz .LBB695_5
; %bb.4:
	s_waitcnt vmcnt(3)
	v_cvt_f32_f16_sdwa v19, v14 dst_sel:DWORD dst_unused:UNUSED_PAD src0_sel:WORD_1
	v_cvt_f32_f16_e32 v18, v14
	v_cvt_f32_f16_sdwa v25, v15 dst_sel:DWORD dst_unused:UNUSED_PAD src0_sel:WORD_1
	v_cvt_f32_f16_e32 v24, v15
	;; [unrolled: 2-line block ×4, first 2 shown]
	s_waitcnt vmcnt(2)
	v_cvt_f32_f16_sdwa v33, v10 dst_sel:DWORD dst_unused:UNUSED_PAD src0_sel:WORD_1
	v_cvt_f32_f16_e32 v32, v10
	v_cvt_f32_f16_sdwa v31, v11 dst_sel:DWORD dst_unused:UNUSED_PAD src0_sel:WORD_1
	v_cvt_f32_f16_e32 v30, v11
	v_cvt_f32_f16_sdwa v27, v12 dst_sel:DWORD dst_unused:UNUSED_PAD src0_sel:WORD_1
	v_cvt_f32_f16_e32 v26, v12
	v_cvt_f32_f16_sdwa v29, v13 dst_sel:DWORD dst_unused:UNUSED_PAD src0_sel:WORD_1
	v_cvt_f32_f16_e32 v28, v13
.LBB695_5:
	s_or_b64 exec, exec, s[0:1]
	s_waitcnt vmcnt(2)
	v_mul_f32_e32 v10, v19, v19
	v_fmac_f32_e32 v10, v18, v18
	v_fmac_f32_e32 v10, v24, v24
	;; [unrolled: 1-line block ×15, first 2 shown]
	v_and_b32_e32 v12, 63, v0
	v_cmp_eq_u32_e64 s[0:1], 63, v12
	v_mov_b32_dpp v11, v10 quad_perm:[1,0,3,2] row_mask:0xf bank_mask:0xf
	v_add_f32_e32 v10, v10, v11
	s_nop 1
	v_mov_b32_dpp v11, v10 quad_perm:[2,3,0,1] row_mask:0xf bank_mask:0xf
	v_add_f32_e32 v10, v10, v11
	s_nop 1
	v_mov_b32_dpp v11, v10 row_half_mirror row_mask:0xf bank_mask:0xf
	v_add_f32_e32 v10, v10, v11
	s_nop 1
	v_mov_b32_dpp v11, v10 row_mirror row_mask:0xf bank_mask:0xf
	v_add_f32_e32 v10, v10, v11
	s_nop 1
	v_mov_b32_dpp v11, v10 row_bcast:15 row_mask:0xf bank_mask:0xf
	v_add_f32_e32 v10, v10, v11
	s_nop 1
	v_mov_b32_dpp v11, v10 row_bcast:31 row_mask:0xf bank_mask:0xf
	s_and_saveexec_b64 s[8:9], s[0:1]
	s_cbranch_execz .LBB695_7
; %bb.6:
	v_add_f32_e32 v10, v10, v11
	v_lshrrev_b32_e32 v11, 4, v0
	v_and_b32_e32 v11, 60, v11
	ds_write_b32 v11, v10 offset:8
.LBB695_7:
	s_or_b64 exec, exec, s[8:9]
	v_and_b32_e32 v10, 1, v0
	v_lshlrev_b32_e32 v34, 2, v10
	s_waitcnt lgkmcnt(0)
	s_barrier
	ds_read_b32 v10, v34 offset:8
	s_load_dwordx2 s[28:29], s[4:5], 0x18
	s_waitcnt lgkmcnt(0)
	v_mov_b32_dpp v11, v10 quad_perm:[1,0,3,2] row_mask:0xf bank_mask:0xf
	s_and_saveexec_b64 s[8:9], s[2:3]
	s_cbranch_execz .LBB695_9
; %bb.8:
	v_cvt_f32_u32_e32 v12, s7
	v_add_f32_e32 v10, v10, v11
	v_mov_b32_e32 v14, s17
	v_mov_b32_e32 v15, s16
	v_div_scale_f32 v11, s[24:25], v12, v12, v10
	v_rcp_f32_e32 v13, v11
	v_cndmask_b32_e32 v14, v14, v15, vcc
	s_mov_b32 s7, 0x800000
	v_fma_f32 v15, -v11, v13, 1.0
	v_fmac_f32_e32 v13, v15, v13
	v_div_scale_f32 v15, vcc, v10, v12, v10
	v_mul_f32_e32 v16, v15, v13
	v_fma_f32 v17, -v11, v16, v15
	v_fmac_f32_e32 v16, v17, v13
	v_fma_f32 v11, -v11, v16, v15
	v_div_fmas_f32 v11, v11, v13, v16
	v_div_fixup_f32 v10, v11, v12, v10
	v_add_f32_e32 v10, v14, v10
	v_mul_f32_e32 v11, 0x4b800000, v10
	v_cmp_gt_f32_e32 vcc, s7, v10
	v_cndmask_b32_e32 v10, v10, v11, vcc
	v_rsq_f32_e32 v10, v10
	v_mul_f32_e32 v11, 0x45800000, v10
	v_cndmask_b32_e32 v10, v10, v11, vcc
	v_mov_b32_e32 v11, v10
	;;#ASMSTART
	v_pk_mul_f32 v[12:13], v[18:19], v[10:11]
	;;#ASMEND
	;;#ASMSTART
	v_pk_mul_f32 v[14:15], v[24:25], v[10:11]
	;;#ASMEND
	;;#ASMSTART
	v_pk_mul_f32 v[16:17], v[20:21], v[10:11]
	;;#ASMEND
	;;#ASMSTART
	v_pk_mul_f32 v[22:23], v[22:23], v[10:11]
	;;#ASMEND
	;;#ASMSTART
	v_pk_mul_f32 v[32:33], v[32:33], v[10:11]
	;;#ASMEND
	;;#ASMSTART
	v_pk_mul_f32 v[30:31], v[30:31], v[10:11]
	;;#ASMEND
	;;#ASMSTART
	v_pk_mul_f32 v[26:27], v[26:27], v[10:11]
	;;#ASMEND
	;;#ASMSTART
	v_pk_mul_f32 v[10:11], v[28:29], v[10:11]
	;;#ASMEND
	s_waitcnt vmcnt(1)
	v_cvt_f32_f16_sdwa v19, v6 dst_sel:DWORD dst_unused:UNUSED_PAD src0_sel:WORD_1
	v_cvt_f32_f16_e32 v18, v6
	v_cvt_f32_f16_sdwa v21, v7 dst_sel:DWORD dst_unused:UNUSED_PAD src0_sel:WORD_1
	v_cvt_f32_f16_e32 v20, v7
	;; [unrolled: 2-line block ×4, first 2 shown]
	;;#ASMSTART
	v_pk_mul_f32 v[18:19], v[12:13], v[18:19]
	;;#ASMEND
	;;#ASMSTART
	v_pk_mul_f32 v[24:25], v[14:15], v[20:21]
	;;#ASMEND
	;; [unrolled: 3-line block ×4, first 2 shown]
	s_waitcnt vmcnt(0)
	v_cvt_f32_f16_sdwa v7, v2 dst_sel:DWORD dst_unused:UNUSED_PAD src0_sel:WORD_1
	v_cvt_f32_f16_e32 v6, v2
	v_cvt_f32_f16_sdwa v9, v3 dst_sel:DWORD dst_unused:UNUSED_PAD src0_sel:WORD_1
	v_cvt_f32_f16_e32 v8, v3
	;; [unrolled: 2-line block ×4, first 2 shown]
	;;#ASMSTART
	v_pk_mul_f32 v[32:33], v[32:33], v[6:7]
	;;#ASMEND
	;;#ASMSTART
	v_pk_mul_f32 v[30:31], v[30:31], v[8:9]
	;;#ASMEND
	;; [unrolled: 3-line block ×4, first 2 shown]
.LBB695_9:
	s_or_b64 exec, exec, s[8:9]
	s_load_dword s7, s[4:5], 0x80
	s_mov_b64 s[8:9], -1
	s_and_b64 vcc, exec, s[14:15]
	s_cbranch_vccnz .LBB695_13
; %bb.10:
	s_andn2_b64 vcc, exec, s[8:9]
	s_cbranch_vccz .LBB695_16
.LBB695_11:
	s_cmp_lt_i32 s20, 1
	s_cbranch_scc0 .LBB695_23
.LBB695_12:
	s_endpgm
.LBB695_13:
	s_and_saveexec_b64 s[14:15], s[2:3]
	s_cbranch_execz .LBB695_15
; %bb.14:
	s_waitcnt lgkmcnt(0)
	s_mul_hi_i32 s9, s7, s6
	s_mul_i32 s8, s7, s6
	s_waitcnt vmcnt(0)
	v_cvt_f16_f32_e32 v2, v18
	v_cvt_f16_f32_e32 v3, v24
	v_cvt_f16_f32_e32 v4, v20
	v_cvt_f16_f32_e32 v5, v22
	v_cvt_f16_f32_e32 v6, v23
	v_cvt_f16_f32_e32 v7, v21
	v_cvt_f16_f32_e32 v8, v25
	v_cvt_f16_f32_e32 v9, v19
	s_lshl_b64 s[8:9], s[8:9], 1
	s_add_u32 s8, s28, s8
	s_addc_u32 s9, s29, s9
	s_and_b32 s9, s9, 0xffff
	s_mov_b32 s11, 0x20000
	v_pack_b32_f16 v5, v5, v6
	v_pack_b32_f16 v4, v4, v7
	v_pack_b32_f16 v3, v3, v8
	v_pack_b32_f16 v2, v2, v9
	v_lshlrev_b32_e32 v6, 5, v0
	buffer_store_dwordx4 v[2:5], v6, s[8:11], 0 offen
	v_cvt_f16_f32_e32 v7, v29
	v_cvt_f16_f32_e32 v2, v32
	v_cvt_f16_f32_e32 v3, v30
	v_cvt_f16_f32_e32 v4, v26
	v_cvt_f16_f32_e32 v5, v28
	v_cvt_f16_f32_e32 v8, v27
	v_cvt_f16_f32_e32 v9, v31
	v_cvt_f16_f32_e32 v10, v33
	v_pack_b32_f16 v5, v5, v7
	v_pack_b32_f16 v4, v4, v8
	;; [unrolled: 1-line block ×4, first 2 shown]
	;;#ASMSTART
	s_nop 0
	;;#ASMEND
	buffer_store_dwordx4 v[2:5], v6, s[8:11], 16 offen
	;;#ASMSTART
	s_nop 0
	;;#ASMEND
.LBB695_15:
	s_or_b64 exec, exec, s[14:15]
	s_cbranch_execnz .LBB695_11
.LBB695_16:
	s_waitcnt vmcnt(0)
	v_mov_b32_e32 v2, 0
	s_and_saveexec_b64 s[8:9], s[2:3]
	s_cbranch_execz .LBB695_18
; %bb.17:
	v_and_b32_e32 v2, 0x7fffffff, v18
	v_and_b32_e32 v3, 0x7fffffff, v19
	v_mov_b32_e32 v4, 0x2edbe6ff
	;;#ASMSTART
	v_max3_f32 v2, v4, v2, v3

	;;#ASMEND
	v_and_b32_e32 v3, 0x7fffffff, v24
	v_and_b32_e32 v4, 0x7fffffff, v25
	;;#ASMSTART
	v_max3_f32 v2, v2, v3, v4

	;;#ASMEND
	v_and_b32_e32 v3, 0x7fffffff, v20
	v_and_b32_e32 v4, 0x7fffffff, v21
	;; [unrolled: 6-line block ×7, first 2 shown]
	;;#ASMSTART
	v_max3_f32 v2, v2, v3, v4

	;;#ASMEND
.LBB695_18:
	s_or_b64 exec, exec, s[8:9]
	s_load_dwordx4 s[24:27], s[4:5], 0x70
	;;#ASMSTART
	v_max_f32 v3, v2, v2 quad_perm:[1,0,3,2] row_mask:0xf bank_mask:0xf bound_ctrl:1
	;;#ASMEND
	;;#ASMSTART
	v_max_f32 v2, v3, v3 quad_perm:[2,3,0,1] row_mask:0xf bank_mask:0xf bound_ctrl:1
	;;#ASMEND
	v_and_b32_e32 v3, 3, v0
	v_cmp_eq_u32_e32 vcc, 0, v3
	v_cmp_gt_i32_e64 s[8:9], s19, v1
	s_and_b64 s[10:11], vcc, s[8:9]
	s_and_saveexec_b64 s[8:9], s[10:11]
	s_cbranch_execz .LBB695_20
; %bb.19:
	s_load_dwordx2 s[10:11], s[4:5], 0x8
	v_mul_f32_e32 v2, 0x3e2aaaab, v2
	v_lshrrev_b32_e32 v3, 23, v2
	v_and_b32_e32 v4, 0x7f800000, v2
	v_and_b32_e32 v2, 0x7fffff, v2
	v_cmp_ne_u32_e32 vcc, 0, v2
	s_waitcnt lgkmcnt(0)
	s_mul_i32 s16, s25, s6
	s_mov_b32 s14, 0x7f800000
	v_addc_co_u32_e32 v2, vcc, 0, v3, vcc
	s_mul_hi_i32 s15, s25, s6
	s_add_u32 s10, s10, s16
	v_cmp_ne_u32_e32 vcc, s14, v4
	s_addc_u32 s11, s11, s15
	v_lshrrev_b32_e32 v5, 2, v0
	v_cndmask_b32_e32 v4, -1, v2, vcc
	v_pk_mov_b32 v[2:3], s[10:11], s[10:11] op_sel:[0,1]
	v_mad_i64_i32 v[2:3], s[10:11], s26, v5, v[2:3]
	global_store_byte v[2:3], v4, off
.LBB695_20:
	s_or_b64 exec, exec, s[8:9]
	s_and_saveexec_b64 s[8:9], s[2:3]
	s_cbranch_execz .LBB695_22
; %bb.21:
	s_load_dwordx2 s[2:3], s[4:5], 0x0
	s_waitcnt lgkmcnt(0)
	s_mul_i32 s11, s24, s6
	s_mul_hi_i32 s10, s24, s6
	v_mov_b32_e32 v2, 0
	v_lshlrev_b32_e32 v4, 3, v0
	s_add_u32 s24, s2, s11
	s_addc_u32 s2, s3, s10
	s_lshr_b32 s3, s19, 31
	s_add_i32 s3, s19, s3
	s_ashr_i32 s3, s3, 1
	s_add_i32 s3, s3, 3
	s_ashr_i32 s10, s3, 31
	s_lshr_b32 s10, s10, 30
	s_add_i32 s3, s3, s10
	s_and_b32 s26, s3, -4
	s_and_b32 s25, s2, 0xffff
	s_mov_b32 s27, 0x20000
	v_mov_b32_e32 v3, v2
	buffer_store_dwordx2 v[2:3], v4, s[24:27], 0 offen
	;;#ASMSTART
	s_nop 0
	;;#ASMEND
.LBB695_22:
	s_or_b64 exec, exec, s[8:9]
	s_cmp_lt_i32 s20, 1
	s_cbranch_scc1 .LBB695_12
.LBB695_23:
	s_load_dword s2, s[4:5], 0x94
	s_waitcnt lgkmcnt(0)
	s_cmp_lg_u32 s2, 1
	s_cbranch_scc1 .LBB695_12
; %bb.24:
	s_lshl_b32 s2, s20, 1
	s_add_i32 s2, s2, 2
	v_cmp_gt_u32_e32 vcc, s20, v1
	s_and_b32 s14, s2, -4
	v_mov_b32_e32 v18, 0
	v_lshlrev_b32_e32 v1, 5, v0
	v_mov_b32_e32 v14, 0
	v_mov_b32_e32 v15, 0
	;; [unrolled: 1-line block ×8, first 2 shown]
	s_waitcnt vmcnt(1)
	v_mov_b32_e32 v6, 0
	v_mov_b32_e32 v7, 0
	;; [unrolled: 1-line block ×4, first 2 shown]
	s_waitcnt vmcnt(0)
	v_mov_b32_e32 v2, 0
	v_mov_b32_e32 v3, 0
	;; [unrolled: 1-line block ×4, first 2 shown]
	s_barrier
	s_and_saveexec_b64 s[2:3], vcc
	s_cbranch_execz .LBB695_26
; %bb.25:
	s_mul_hi_i32 s5, s22, s6
	s_mul_i32 s4, s22, s6
	s_and_b32 s13, s13, 0xffff
	s_lshl_b64 s[4:5], s[4:5], 1
	s_add_u32 s8, s30, s4
	s_mov_b32 s15, 0x20000
	s_addc_u32 s4, s31, s5
	s_and_b32 s9, s4, 0xffff
	s_mov_b32 s10, s14
	s_mov_b32 s11, s15
	buffer_load_dwordx4 v[14:17], v1, s[8:11], 0 offen
	buffer_load_dwordx4 v[10:13], v1, s[8:11], 16 offen
	;; [unrolled: 1-line block ×4, first 2 shown]
.LBB695_26:
	s_or_b64 exec, exec, s[2:3]
	v_mov_b32_e32 v19, 0
	v_mov_b32_e32 v32, 0
	v_mov_b32_e32 v33, 0
	v_mov_b32_e32 v30, 0
	v_mov_b32_e32 v31, 0
	v_mov_b32_e32 v28, 0
	v_mov_b32_e32 v29, 0
	v_mov_b32_e32 v26, 0
	v_mov_b32_e32 v27, 0
	v_mov_b32_e32 v24, 0
	v_mov_b32_e32 v25, 0
	v_mov_b32_e32 v22, 0
	v_mov_b32_e32 v23, 0
	v_mov_b32_e32 v20, 0
	v_mov_b32_e32 v21, 0
	s_and_saveexec_b64 s[2:3], vcc
	s_cbranch_execz .LBB695_28
; %bb.27:
	s_waitcnt vmcnt(3)
	v_cvt_f32_f16_sdwa v19, v14 dst_sel:DWORD dst_unused:UNUSED_PAD src0_sel:WORD_1
	v_cvt_f32_f16_e32 v18, v14
	v_cvt_f32_f16_sdwa v33, v15 dst_sel:DWORD dst_unused:UNUSED_PAD src0_sel:WORD_1
	v_cvt_f32_f16_e32 v32, v15
	;; [unrolled: 2-line block ×4, first 2 shown]
	s_waitcnt vmcnt(2)
	v_cvt_f32_f16_sdwa v27, v10 dst_sel:DWORD dst_unused:UNUSED_PAD src0_sel:WORD_1
	v_cvt_f32_f16_e32 v26, v10
	v_cvt_f32_f16_sdwa v25, v11 dst_sel:DWORD dst_unused:UNUSED_PAD src0_sel:WORD_1
	v_cvt_f32_f16_e32 v24, v11
	;; [unrolled: 2-line block ×4, first 2 shown]
.LBB695_28:
	s_or_b64 exec, exec, s[2:3]
	s_waitcnt vmcnt(2)
	v_mul_f32_e32 v10, v19, v19
	v_fmac_f32_e32 v10, v18, v18
	v_fmac_f32_e32 v10, v32, v32
	;; [unrolled: 1-line block ×15, first 2 shown]
	s_nop 1
	v_mov_b32_dpp v11, v10 quad_perm:[1,0,3,2] row_mask:0xf bank_mask:0xf
	v_add_f32_e32 v10, v10, v11
	s_nop 1
	v_mov_b32_dpp v11, v10 quad_perm:[2,3,0,1] row_mask:0xf bank_mask:0xf
	v_add_f32_e32 v10, v10, v11
	s_nop 1
	v_mov_b32_dpp v11, v10 row_half_mirror row_mask:0xf bank_mask:0xf
	v_add_f32_e32 v10, v10, v11
	s_nop 1
	v_mov_b32_dpp v11, v10 row_mirror row_mask:0xf bank_mask:0xf
	v_add_f32_e32 v10, v10, v11
	s_nop 1
	v_mov_b32_dpp v11, v10 row_bcast:15 row_mask:0xf bank_mask:0xf
	v_add_f32_e32 v10, v10, v11
	s_nop 1
	v_mov_b32_dpp v11, v10 row_bcast:31 row_mask:0xf bank_mask:0xf
	s_and_saveexec_b64 s[2:3], s[0:1]
	s_cbranch_execz .LBB695_30
; %bb.29:
	v_lshrrev_b32_e32 v0, 4, v0
	v_add_f32_e32 v10, v10, v11
	v_and_b32_e32 v0, 60, v0
	ds_write_b32 v0, v10
.LBB695_30:
	s_or_b64 exec, exec, s[2:3]
	s_waitcnt lgkmcnt(0)
	s_barrier
	ds_read_b32 v0, v34
	s_waitcnt lgkmcnt(0)
	s_nop 0
	v_mov_b32_dpp v10, v0 quad_perm:[1,0,3,2] row_mask:0xf bank_mask:0xf
	s_and_saveexec_b64 s[0:1], vcc
	s_cbranch_execz .LBB695_12
; %bb.31:
	v_cvt_f32_u32_e32 v11, s20
	v_add_f32_e32 v0, v0, v10
	s_mov_b32 s15, 0x20000
	v_div_scale_f32 v10, s[0:1], v11, v11, v0
	v_rcp_f32_e32 v12, v10
	v_div_scale_f32 v13, vcc, v0, v11, v0
	s_mov_b32 s0, 0x800000
	v_fma_f32 v14, -v10, v12, 1.0
	v_fmac_f32_e32 v12, v14, v12
	v_mul_f32_e32 v14, v13, v12
	v_fma_f32 v15, -v10, v14, v13
	v_fmac_f32_e32 v14, v15, v12
	v_fma_f32 v10, -v10, v14, v13
	v_div_fmas_f32 v10, v10, v12, v14
	v_div_fixup_f32 v0, v10, v11, v0
	v_add_f32_e32 v0, s17, v0
	v_mul_f32_e32 v10, 0x4b800000, v0
	v_cmp_gt_f32_e32 vcc, s0, v0
	v_cndmask_b32_e32 v0, v0, v10, vcc
	v_rsq_f32_e32 v0, v0
	s_mul_hi_i32 s1, s7, s6
	s_mul_i32 s0, s7, s6
	s_lshl_b64 s[0:1], s[0:1], 1
	v_mul_f32_e32 v10, 0x45800000, v0
	v_cndmask_b32_e32 v10, v0, v10, vcc
	v_mov_b32_e32 v11, v10
	;;#ASMSTART
	v_pk_mul_f32 v[12:13], v[18:19], v[10:11]
	;;#ASMEND
	;;#ASMSTART
	v_pk_mul_f32 v[14:15], v[32:33], v[10:11]
	;;#ASMEND
	;; [unrolled: 3-line block ×8, first 2 shown]
	s_waitcnt vmcnt(1)
	v_cvt_f32_f16_sdwa v21, v6 dst_sel:DWORD dst_unused:UNUSED_PAD src0_sel:WORD_1
	v_cvt_f32_f16_e32 v20, v6
	v_cvt_f32_f16_sdwa v29, v7 dst_sel:DWORD dst_unused:UNUSED_PAD src0_sel:WORD_1
	v_cvt_f32_f16_e32 v28, v7
	;; [unrolled: 2-line block ×4, first 2 shown]
	;;#ASMSTART
	v_pk_mul_f32 v[8:9], v[12:13], v[20:21]
	;;#ASMEND
	;;#ASMSTART
	v_pk_mul_f32 v[12:13], v[14:15], v[28:29]
	;;#ASMEND
	;; [unrolled: 3-line block ×4, first 2 shown]
	s_waitcnt vmcnt(0)
	v_cvt_f32_f16_sdwa v17, v2 dst_sel:DWORD dst_unused:UNUSED_PAD src0_sel:WORD_1
	v_cvt_f32_f16_e32 v16, v2
	v_cvt_f32_f16_sdwa v19, v3 dst_sel:DWORD dst_unused:UNUSED_PAD src0_sel:WORD_1
	v_cvt_f32_f16_e32 v18, v3
	;; [unrolled: 2-line block ×4, first 2 shown]
	;;#ASMSTART
	v_pk_mul_f32 v[16:17], v[26:27], v[16:17]
	;;#ASMEND
	;;#ASMSTART
	v_pk_mul_f32 v[18:19], v[24:25], v[18:19]
	;;#ASMEND
	;; [unrolled: 3-line block ×3, first 2 shown]
	v_cvt_f16_f32_e32 v0, v8
	v_cvt_f16_f32_e32 v2, v9
	;; [unrolled: 1-line block ×8, first 2 shown]
	s_add_u32 s12, s28, s0
	s_addc_u32 s0, s29, s1
	s_and_b32 s13, s0, 0xffff
	v_pack_b32_f16 v2, v0, v2
	v_pack_b32_f16 v3, v3, v4
	;; [unrolled: 1-line block ×4, first 2 shown]
	;;#ASMSTART
	v_pk_mul_f32 v[10:11], v[10:11], v[20:21]
	;;#ASMEND
	buffer_store_dwordx4 v[2:5], v1, s[12:15], 0 offen
	v_cvt_f16_f32_e32 v0, v16
	v_cvt_f16_f32_e32 v2, v17
	;; [unrolled: 1-line block ×8, first 2 shown]
	v_pack_b32_f16 v2, v0, v2
	v_pack_b32_f16 v3, v3, v4
	;; [unrolled: 1-line block ×4, first 2 shown]
	;;#ASMSTART
	s_nop 0
	;;#ASMEND
	buffer_store_dwordx4 v[2:5], v1, s[12:15], 16 offen
	;;#ASMSTART
	s_nop 0
	;;#ASMEND
	s_endpgm
	.section	.rodata,"a",@progbits
	.p2align	6, 0x0
	.amdhsa_kernel _ZN5aiter35fused_qk_rmsnorm_group_quant_kernelIDF16_N4opus5fp4_tELi128ELi16ELi4ELb0ELb0ELb0ELb0ELb0ELb0EEEvPT0_PvPT_S7_S7_PKS6_S9_S9_S9_S9_ffiiiiiiiiiiiii
		.amdhsa_group_segment_fixed_size 16
		.amdhsa_private_segment_fixed_size 0
		.amdhsa_kernarg_size 400
		.amdhsa_user_sgpr_count 6
		.amdhsa_user_sgpr_private_segment_buffer 1
		.amdhsa_user_sgpr_dispatch_ptr 0
		.amdhsa_user_sgpr_queue_ptr 0
		.amdhsa_user_sgpr_kernarg_segment_ptr 1
		.amdhsa_user_sgpr_dispatch_id 0
		.amdhsa_user_sgpr_flat_scratch_init 0
		.amdhsa_user_sgpr_kernarg_preload_length 0
		.amdhsa_user_sgpr_kernarg_preload_offset 0
		.amdhsa_user_sgpr_private_segment_size 0
		.amdhsa_uses_dynamic_stack 0
		.amdhsa_system_sgpr_private_segment_wavefront_offset 0
		.amdhsa_system_sgpr_workgroup_id_x 1
		.amdhsa_system_sgpr_workgroup_id_y 1
		.amdhsa_system_sgpr_workgroup_id_z 0
		.amdhsa_system_sgpr_workgroup_info 0
		.amdhsa_system_vgpr_workitem_id 0
		.amdhsa_next_free_vgpr 35
		.amdhsa_next_free_sgpr 32
		.amdhsa_accum_offset 36
		.amdhsa_reserve_vcc 1
		.amdhsa_reserve_flat_scratch 0
		.amdhsa_float_round_mode_32 0
		.amdhsa_float_round_mode_16_64 0
		.amdhsa_float_denorm_mode_32 3
		.amdhsa_float_denorm_mode_16_64 3
		.amdhsa_dx10_clamp 1
		.amdhsa_ieee_mode 1
		.amdhsa_fp16_overflow 0
		.amdhsa_tg_split 0
		.amdhsa_exception_fp_ieee_invalid_op 0
		.amdhsa_exception_fp_denorm_src 0
		.amdhsa_exception_fp_ieee_div_zero 0
		.amdhsa_exception_fp_ieee_overflow 0
		.amdhsa_exception_fp_ieee_underflow 0
		.amdhsa_exception_fp_ieee_inexact 0
		.amdhsa_exception_int_div_zero 0
	.end_amdhsa_kernel
	.section	.text._ZN5aiter35fused_qk_rmsnorm_group_quant_kernelIDF16_N4opus5fp4_tELi128ELi16ELi4ELb0ELb0ELb0ELb0ELb0ELb0EEEvPT0_PvPT_S7_S7_PKS6_S9_S9_S9_S9_ffiiiiiiiiiiiii,"axG",@progbits,_ZN5aiter35fused_qk_rmsnorm_group_quant_kernelIDF16_N4opus5fp4_tELi128ELi16ELi4ELb0ELb0ELb0ELb0ELb0ELb0EEEvPT0_PvPT_S7_S7_PKS6_S9_S9_S9_S9_ffiiiiiiiiiiiii,comdat
.Lfunc_end695:
	.size	_ZN5aiter35fused_qk_rmsnorm_group_quant_kernelIDF16_N4opus5fp4_tELi128ELi16ELi4ELb0ELb0ELb0ELb0ELb0ELb0EEEvPT0_PvPT_S7_S7_PKS6_S9_S9_S9_S9_ffiiiiiiiiiiiii, .Lfunc_end695-_ZN5aiter35fused_qk_rmsnorm_group_quant_kernelIDF16_N4opus5fp4_tELi128ELi16ELi4ELb0ELb0ELb0ELb0ELb0ELb0EEEvPT0_PvPT_S7_S7_PKS6_S9_S9_S9_S9_ffiiiiiiiiiiiii
                                        ; -- End function
	.section	.AMDGPU.csdata,"",@progbits
; Kernel info:
; codeLenInByte = 3080
; NumSgprs: 36
; NumVgprs: 35
; NumAgprs: 0
; TotalNumVgprs: 35
; ScratchSize: 0
; MemoryBound: 0
; FloatMode: 240
; IeeeMode: 1
; LDSByteSize: 16 bytes/workgroup (compile time only)
; SGPRBlocks: 4
; VGPRBlocks: 4
; NumSGPRsForWavesPerEU: 36
; NumVGPRsForWavesPerEU: 35
; AccumOffset: 36
; Occupancy: 8
; WaveLimiterHint : 0
; COMPUTE_PGM_RSRC2:SCRATCH_EN: 0
; COMPUTE_PGM_RSRC2:USER_SGPR: 6
; COMPUTE_PGM_RSRC2:TRAP_HANDLER: 0
; COMPUTE_PGM_RSRC2:TGID_X_EN: 1
; COMPUTE_PGM_RSRC2:TGID_Y_EN: 1
; COMPUTE_PGM_RSRC2:TGID_Z_EN: 0
; COMPUTE_PGM_RSRC2:TIDIG_COMP_CNT: 0
; COMPUTE_PGM_RSRC3_GFX90A:ACCUM_OFFSET: 8
; COMPUTE_PGM_RSRC3_GFX90A:TG_SPLIT: 0
	.section	.text._ZN5aiter35fused_qk_rmsnorm_group_quant_kernelItN4opus5fp4_tELi128ELi16ELi4ELb0ELb0ELb0ELb0ELb0ELb0EEEvPT0_PvPT_S7_S7_PKS6_S9_S9_S9_S9_ffiiiiiiiiiiiii,"axG",@progbits,_ZN5aiter35fused_qk_rmsnorm_group_quant_kernelItN4opus5fp4_tELi128ELi16ELi4ELb0ELb0ELb0ELb0ELb0ELb0EEEvPT0_PvPT_S7_S7_PKS6_S9_S9_S9_S9_ffiiiiiiiiiiiii,comdat
	.protected	_ZN5aiter35fused_qk_rmsnorm_group_quant_kernelItN4opus5fp4_tELi128ELi16ELi4ELb0ELb0ELb0ELb0ELb0ELb0EEEvPT0_PvPT_S7_S7_PKS6_S9_S9_S9_S9_ffiiiiiiiiiiiii ; -- Begin function _ZN5aiter35fused_qk_rmsnorm_group_quant_kernelItN4opus5fp4_tELi128ELi16ELi4ELb0ELb0ELb0ELb0ELb0ELb0EEEvPT0_PvPT_S7_S7_PKS6_S9_S9_S9_S9_ffiiiiiiiiiiiii
	.globl	_ZN5aiter35fused_qk_rmsnorm_group_quant_kernelItN4opus5fp4_tELi128ELi16ELi4ELb0ELb0ELb0ELb0ELb0ELb0EEEvPT0_PvPT_S7_S7_PKS6_S9_S9_S9_S9_ffiiiiiiiiiiiii
	.p2align	8
	.type	_ZN5aiter35fused_qk_rmsnorm_group_quant_kernelItN4opus5fp4_tELi128ELi16ELi4ELb0ELb0ELb0ELb0ELb0ELb0EEEvPT0_PvPT_S7_S7_PKS6_S9_S9_S9_S9_ffiiiiiiiiiiiii,@function
_ZN5aiter35fused_qk_rmsnorm_group_quant_kernelItN4opus5fp4_tELi128ELi16ELi4ELb0ELb0ELb0ELb0ELb0ELb0EEEvPT0_PvPT_S7_S7_PKS6_S9_S9_S9_S9_ffiiiiiiiiiiiii: ; @_ZN5aiter35fused_qk_rmsnorm_group_quant_kernelItN4opus5fp4_tELi128ELi16ELi4ELb0ELb0ELb0ELb0ELb0ELb0EEEvPT0_PvPT_S7_S7_PKS6_S9_S9_S9_S9_ffiiiiiiiiiiiii
; %bb.0:
	s_load_dwordx4 s[16:19], s[4:5], 0x50
	s_waitcnt lgkmcnt(0)
	s_cmp_ge_i32 s6, s18
	s_cbranch_scc1 .LBB696_12
; %bb.1:
	s_load_dwordx2 s[12:13], s[4:5], 0x48
	s_load_dwordx2 s[30:31], s[4:5], 0x30
	s_load_dwordx4 s[20:23], s[4:5], 0x60
	s_cmp_lg_u32 s7, 0
	s_cselect_b64 s[14:15], -1, 0
	s_cmp_eq_u32 s7, 0
	s_cselect_b64 vcc, -1, 0
	s_and_b64 s[0:1], vcc, exec
	s_waitcnt lgkmcnt(0)
	s_cselect_b32 s7, s19, s20
	s_add_i32 s0, s7, 1
	s_lshr_b32 s1, s0, 31
	s_add_i32 s0, s0, s1
	s_lshl_b32 s0, s0, 1
	v_lshlrev_b32_e32 v1, 4, v0
	s_and_b32 s10, s0, -4
	v_cmp_gt_i32_e64 s[2:3], s7, v1
	v_mov_b32_e32 v18, 0
	v_mov_b32_e32 v6, 0
	v_mov_b32_e32 v7, 0
	v_mov_b32_e32 v8, 0
	v_mov_b32_e32 v9, 0
	v_mov_b32_e32 v2, 0
	v_mov_b32_e32 v3, 0
	v_mov_b32_e32 v4, 0
	v_mov_b32_e32 v5, 0
	v_mov_b32_e32 v14, 0
	v_mov_b32_e32 v15, 0
	v_mov_b32_e32 v16, 0
	v_mov_b32_e32 v17, 0
	v_mov_b32_e32 v10, 0
	v_mov_b32_e32 v11, 0
	v_mov_b32_e32 v12, 0
	v_mov_b32_e32 v13, 0
	s_and_saveexec_b64 s[0:1], s[2:3]
	s_cbranch_execz .LBB696_3
; %bb.2:
	s_load_dwordx2 s[8:9], s[4:5], 0x28
	s_load_dwordx2 s[26:27], s[4:5], 0x40
	s_and_b64 s[24:25], vcc, exec
	s_cselect_b32 s11, s21, s22
	v_lshlrev_b32_e32 v19, 5, v0
	s_waitcnt lgkmcnt(0)
	s_cselect_b32 s18, s9, s31
	s_cselect_b32 s21, s8, s30
	s_mul_hi_i32 s9, s11, s6
	s_mul_i32 s8, s11, s6
	s_lshl_b64 s[8:9], s[8:9], 1
	s_add_u32 s24, s21, s8
	s_addc_u32 s18, s18, s9
	s_and_b64 s[8:9], vcc, exec
	s_mov_b32 s11, 0x20000
	s_cselect_b32 s8, s26, s12
	s_cselect_b32 s9, s27, s13
	s_and_b32 s25, s18, 0xffff
	s_mov_b32 s26, s10
	s_mov_b32 s27, s11
	s_and_b32 s9, s9, 0xffff
	buffer_load_dwordx4 v[14:17], v19, s[24:27], 0 offen
	buffer_load_dwordx4 v[10:13], v19, s[24:27], 16 offen
	;; [unrolled: 1-line block ×4, first 2 shown]
.LBB696_3:
	s_or_b64 exec, exec, s[0:1]
	v_mov_b32_e32 v19, 0
	v_mov_b32_e32 v24, 0
	v_mov_b32_e32 v25, 0
	v_mov_b32_e32 v20, 0
	v_mov_b32_e32 v21, 0
	v_mov_b32_e32 v22, 0
	v_mov_b32_e32 v23, 0
	v_mov_b32_e32 v32, 0
	v_mov_b32_e32 v33, 0
	v_mov_b32_e32 v30, 0
	v_mov_b32_e32 v31, 0
	v_mov_b32_e32 v26, 0
	v_mov_b32_e32 v27, 0
	v_mov_b32_e32 v28, 0
	v_mov_b32_e32 v29, 0
	s_and_saveexec_b64 s[0:1], s[2:3]
	s_cbranch_execz .LBB696_5
; %bb.4:
	s_waitcnt vmcnt(3)
	v_cvt_f32_u32_sdwa v18, v14 dst_sel:DWORD dst_unused:UNUSED_PAD src0_sel:WORD_0
	v_cvt_f32_u32_sdwa v19, v14 dst_sel:DWORD dst_unused:UNUSED_PAD src0_sel:WORD_1
	v_cvt_f32_u32_sdwa v24, v15 dst_sel:DWORD dst_unused:UNUSED_PAD src0_sel:WORD_0
	v_cvt_f32_u32_sdwa v25, v15 dst_sel:DWORD dst_unused:UNUSED_PAD src0_sel:WORD_1
	v_cvt_f32_u32_sdwa v20, v16 dst_sel:DWORD dst_unused:UNUSED_PAD src0_sel:WORD_0
	v_cvt_f32_u32_sdwa v21, v16 dst_sel:DWORD dst_unused:UNUSED_PAD src0_sel:WORD_1
	v_cvt_f32_u32_sdwa v22, v17 dst_sel:DWORD dst_unused:UNUSED_PAD src0_sel:WORD_0
	v_cvt_f32_u32_sdwa v23, v17 dst_sel:DWORD dst_unused:UNUSED_PAD src0_sel:WORD_1
	s_waitcnt vmcnt(2)
	v_cvt_f32_u32_sdwa v32, v10 dst_sel:DWORD dst_unused:UNUSED_PAD src0_sel:WORD_0
	v_cvt_f32_u32_sdwa v33, v10 dst_sel:DWORD dst_unused:UNUSED_PAD src0_sel:WORD_1
	v_cvt_f32_u32_sdwa v30, v11 dst_sel:DWORD dst_unused:UNUSED_PAD src0_sel:WORD_0
	v_cvt_f32_u32_sdwa v31, v11 dst_sel:DWORD dst_unused:UNUSED_PAD src0_sel:WORD_1
	;; [unrolled: 2-line block ×4, first 2 shown]
.LBB696_5:
	s_or_b64 exec, exec, s[0:1]
	s_waitcnt vmcnt(2)
	v_mul_f32_e32 v10, v19, v19
	v_fmac_f32_e32 v10, v18, v18
	v_fmac_f32_e32 v10, v24, v24
	;; [unrolled: 1-line block ×15, first 2 shown]
	v_and_b32_e32 v12, 63, v0
	v_cmp_eq_u32_e64 s[0:1], 63, v12
	v_mov_b32_dpp v11, v10 quad_perm:[1,0,3,2] row_mask:0xf bank_mask:0xf
	v_add_f32_e32 v10, v10, v11
	s_nop 1
	v_mov_b32_dpp v11, v10 quad_perm:[2,3,0,1] row_mask:0xf bank_mask:0xf
	v_add_f32_e32 v10, v10, v11
	s_nop 1
	v_mov_b32_dpp v11, v10 row_half_mirror row_mask:0xf bank_mask:0xf
	v_add_f32_e32 v10, v10, v11
	s_nop 1
	v_mov_b32_dpp v11, v10 row_mirror row_mask:0xf bank_mask:0xf
	v_add_f32_e32 v10, v10, v11
	s_nop 1
	v_mov_b32_dpp v11, v10 row_bcast:15 row_mask:0xf bank_mask:0xf
	v_add_f32_e32 v10, v10, v11
	s_nop 1
	v_mov_b32_dpp v11, v10 row_bcast:31 row_mask:0xf bank_mask:0xf
	s_and_saveexec_b64 s[8:9], s[0:1]
	s_cbranch_execz .LBB696_7
; %bb.6:
	v_add_f32_e32 v10, v10, v11
	v_lshrrev_b32_e32 v11, 4, v0
	v_and_b32_e32 v11, 60, v11
	ds_write_b32 v11, v10 offset:8
.LBB696_7:
	s_or_b64 exec, exec, s[8:9]
	v_and_b32_e32 v10, 1, v0
	v_lshlrev_b32_e32 v34, 2, v10
	s_waitcnt lgkmcnt(0)
	s_barrier
	ds_read_b32 v10, v34 offset:8
	s_load_dwordx2 s[28:29], s[4:5], 0x18
	s_waitcnt lgkmcnt(0)
	v_mov_b32_dpp v11, v10 quad_perm:[1,0,3,2] row_mask:0xf bank_mask:0xf
	s_and_saveexec_b64 s[8:9], s[2:3]
	s_cbranch_execz .LBB696_9
; %bb.8:
	v_cvt_f32_u32_e32 v12, s7
	v_add_f32_e32 v10, v10, v11
	v_mov_b32_e32 v14, s17
	v_mov_b32_e32 v15, s16
	v_div_scale_f32 v11, s[24:25], v12, v12, v10
	v_rcp_f32_e32 v13, v11
	v_cndmask_b32_e32 v14, v14, v15, vcc
	s_mov_b32 s7, 0x800000
	v_fma_f32 v15, -v11, v13, 1.0
	v_fmac_f32_e32 v13, v15, v13
	v_div_scale_f32 v15, vcc, v10, v12, v10
	v_mul_f32_e32 v16, v15, v13
	v_fma_f32 v17, -v11, v16, v15
	v_fmac_f32_e32 v16, v17, v13
	v_fma_f32 v11, -v11, v16, v15
	v_div_fmas_f32 v11, v11, v13, v16
	v_div_fixup_f32 v10, v11, v12, v10
	v_add_f32_e32 v10, v14, v10
	v_mul_f32_e32 v11, 0x4b800000, v10
	v_cmp_gt_f32_e32 vcc, s7, v10
	v_cndmask_b32_e32 v10, v10, v11, vcc
	v_rsq_f32_e32 v10, v10
	v_mul_f32_e32 v11, 0x45800000, v10
	v_cndmask_b32_e32 v10, v10, v11, vcc
	v_mov_b32_e32 v11, v10
	;;#ASMSTART
	v_pk_mul_f32 v[12:13], v[18:19], v[10:11]
	;;#ASMEND
	;;#ASMSTART
	v_pk_mul_f32 v[14:15], v[24:25], v[10:11]
	;;#ASMEND
	;; [unrolled: 3-line block ×8, first 2 shown]
	s_waitcnt vmcnt(1)
	v_cvt_f32_u32_sdwa v19, v6 dst_sel:DWORD dst_unused:UNUSED_PAD src0_sel:WORD_1
	v_cvt_f32_u32_sdwa v18, v6 dst_sel:DWORD dst_unused:UNUSED_PAD src0_sel:WORD_0
	v_cvt_f32_u32_sdwa v21, v7 dst_sel:DWORD dst_unused:UNUSED_PAD src0_sel:WORD_1
	v_cvt_f32_u32_sdwa v20, v7 dst_sel:DWORD dst_unused:UNUSED_PAD src0_sel:WORD_0
	;; [unrolled: 2-line block ×4, first 2 shown]
	;;#ASMSTART
	v_pk_mul_f32 v[18:19], v[12:13], v[18:19]
	;;#ASMEND
	;;#ASMSTART
	v_pk_mul_f32 v[24:25], v[14:15], v[20:21]
	;;#ASMEND
	;; [unrolled: 3-line block ×4, first 2 shown]
	s_waitcnt vmcnt(0)
	v_cvt_f32_u32_sdwa v7, v2 dst_sel:DWORD dst_unused:UNUSED_PAD src0_sel:WORD_1
	v_cvt_f32_u32_sdwa v6, v2 dst_sel:DWORD dst_unused:UNUSED_PAD src0_sel:WORD_0
	v_cvt_f32_u32_sdwa v9, v3 dst_sel:DWORD dst_unused:UNUSED_PAD src0_sel:WORD_1
	v_cvt_f32_u32_sdwa v8, v3 dst_sel:DWORD dst_unused:UNUSED_PAD src0_sel:WORD_0
	;; [unrolled: 2-line block ×4, first 2 shown]
	;;#ASMSTART
	v_pk_mul_f32 v[32:33], v[32:33], v[6:7]
	;;#ASMEND
	;;#ASMSTART
	v_pk_mul_f32 v[30:31], v[30:31], v[8:9]
	;;#ASMEND
	;; [unrolled: 3-line block ×4, first 2 shown]
.LBB696_9:
	s_or_b64 exec, exec, s[8:9]
	s_load_dword s7, s[4:5], 0x80
	s_mov_b64 s[8:9], -1
	s_and_b64 vcc, exec, s[14:15]
	s_cbranch_vccnz .LBB696_13
; %bb.10:
	s_andn2_b64 vcc, exec, s[8:9]
	s_cbranch_vccz .LBB696_16
.LBB696_11:
	s_cmp_lt_i32 s20, 1
	s_cbranch_scc0 .LBB696_23
.LBB696_12:
	s_endpgm
.LBB696_13:
	s_and_saveexec_b64 s[14:15], s[2:3]
	s_cbranch_execz .LBB696_15
; %bb.14:
	s_waitcnt lgkmcnt(0)
	s_mul_hi_i32 s9, s7, s6
	s_mul_i32 s8, s7, s6
	s_lshl_b64 s[8:9], s[8:9], 1
	s_add_u32 s8, s28, s8
	s_addc_u32 s9, s29, s9
	s_mov_b32 s16, 0x7060302
	s_and_b32 s9, s9, 0xffff
	s_mov_b32 s11, 0x20000
	s_waitcnt vmcnt(0)
	v_perm_b32 v5, v23, v22, s16
	v_perm_b32 v4, v21, v20, s16
	;; [unrolled: 1-line block ×4, first 2 shown]
	v_lshlrev_b32_e32 v6, 5, v0
	buffer_store_dwordx4 v[2:5], v6, s[8:11], 0 offen
	;;#ASMSTART
	s_nop 0
	;;#ASMEND
	s_nop 0
	v_perm_b32 v5, v29, v28, s16
	v_perm_b32 v4, v27, v26, s16
	;; [unrolled: 1-line block ×4, first 2 shown]
	buffer_store_dwordx4 v[2:5], v6, s[8:11], 16 offen
	;;#ASMSTART
	s_nop 0
	;;#ASMEND
.LBB696_15:
	s_or_b64 exec, exec, s[14:15]
	s_cbranch_execnz .LBB696_11
.LBB696_16:
	s_waitcnt vmcnt(0)
	v_mov_b32_e32 v2, 0
	s_and_saveexec_b64 s[8:9], s[2:3]
	s_cbranch_execz .LBB696_18
; %bb.17:
	v_and_b32_e32 v2, 0x7fffffff, v18
	v_and_b32_e32 v3, 0x7fffffff, v19
	v_mov_b32_e32 v4, 0x2edbe6ff
	;;#ASMSTART
	v_max3_f32 v2, v4, v2, v3

	;;#ASMEND
	v_and_b32_e32 v3, 0x7fffffff, v24
	v_and_b32_e32 v4, 0x7fffffff, v25
	;;#ASMSTART
	v_max3_f32 v2, v2, v3, v4

	;;#ASMEND
	v_and_b32_e32 v3, 0x7fffffff, v20
	v_and_b32_e32 v4, 0x7fffffff, v21
	;; [unrolled: 6-line block ×7, first 2 shown]
	;;#ASMSTART
	v_max3_f32 v2, v2, v3, v4

	;;#ASMEND
.LBB696_18:
	s_or_b64 exec, exec, s[8:9]
	s_load_dwordx4 s[24:27], s[4:5], 0x70
	;;#ASMSTART
	v_max_f32 v3, v2, v2 quad_perm:[1,0,3,2] row_mask:0xf bank_mask:0xf bound_ctrl:1
	;;#ASMEND
	;;#ASMSTART
	v_max_f32 v2, v3, v3 quad_perm:[2,3,0,1] row_mask:0xf bank_mask:0xf bound_ctrl:1
	;;#ASMEND
	v_and_b32_e32 v3, 3, v0
	v_cmp_eq_u32_e32 vcc, 0, v3
	v_cmp_gt_i32_e64 s[8:9], s19, v1
	s_and_b64 s[10:11], vcc, s[8:9]
	s_and_saveexec_b64 s[8:9], s[10:11]
	s_cbranch_execz .LBB696_20
; %bb.19:
	s_load_dwordx2 s[10:11], s[4:5], 0x8
	v_mul_f32_e32 v2, 0x3e2aaaab, v2
	v_lshrrev_b32_e32 v3, 23, v2
	v_and_b32_e32 v4, 0x7f800000, v2
	v_and_b32_e32 v2, 0x7fffff, v2
	v_cmp_ne_u32_e32 vcc, 0, v2
	s_waitcnt lgkmcnt(0)
	s_mul_i32 s16, s25, s6
	s_mov_b32 s14, 0x7f800000
	v_addc_co_u32_e32 v2, vcc, 0, v3, vcc
	s_mul_hi_i32 s15, s25, s6
	s_add_u32 s10, s10, s16
	v_cmp_ne_u32_e32 vcc, s14, v4
	s_addc_u32 s11, s11, s15
	v_lshrrev_b32_e32 v5, 2, v0
	v_cndmask_b32_e32 v4, -1, v2, vcc
	v_pk_mov_b32 v[2:3], s[10:11], s[10:11] op_sel:[0,1]
	v_mad_i64_i32 v[2:3], s[10:11], s26, v5, v[2:3]
	global_store_byte v[2:3], v4, off
.LBB696_20:
	s_or_b64 exec, exec, s[8:9]
	s_and_saveexec_b64 s[8:9], s[2:3]
	s_cbranch_execz .LBB696_22
; %bb.21:
	s_load_dwordx2 s[2:3], s[4:5], 0x0
	s_waitcnt lgkmcnt(0)
	s_mul_i32 s11, s24, s6
	s_mul_hi_i32 s10, s24, s6
	v_mov_b32_e32 v2, 0
	v_lshlrev_b32_e32 v4, 3, v0
	s_add_u32 s24, s2, s11
	s_addc_u32 s2, s3, s10
	s_lshr_b32 s3, s19, 31
	s_add_i32 s3, s19, s3
	s_ashr_i32 s3, s3, 1
	s_add_i32 s3, s3, 3
	s_ashr_i32 s10, s3, 31
	s_lshr_b32 s10, s10, 30
	s_add_i32 s3, s3, s10
	s_and_b32 s26, s3, -4
	s_and_b32 s25, s2, 0xffff
	s_mov_b32 s27, 0x20000
	v_mov_b32_e32 v3, v2
	buffer_store_dwordx2 v[2:3], v4, s[24:27], 0 offen
	;;#ASMSTART
	s_nop 0
	;;#ASMEND
.LBB696_22:
	s_or_b64 exec, exec, s[8:9]
	s_cmp_lt_i32 s20, 1
	s_cbranch_scc1 .LBB696_12
.LBB696_23:
	s_load_dword s2, s[4:5], 0x94
	s_waitcnt lgkmcnt(0)
	s_cmp_lg_u32 s2, 1
	s_cbranch_scc1 .LBB696_12
; %bb.24:
	s_lshl_b32 s2, s20, 1
	s_add_i32 s2, s2, 2
	v_cmp_gt_u32_e32 vcc, s20, v1
	s_and_b32 s14, s2, -4
	v_mov_b32_e32 v18, 0
	v_lshlrev_b32_e32 v1, 5, v0
	v_mov_b32_e32 v14, 0
	v_mov_b32_e32 v15, 0
	;; [unrolled: 1-line block ×8, first 2 shown]
	s_waitcnt vmcnt(1)
	v_mov_b32_e32 v6, 0
	v_mov_b32_e32 v7, 0
	;; [unrolled: 1-line block ×4, first 2 shown]
	s_waitcnt vmcnt(0)
	v_mov_b32_e32 v2, 0
	v_mov_b32_e32 v3, 0
	;; [unrolled: 1-line block ×4, first 2 shown]
	s_barrier
	s_and_saveexec_b64 s[2:3], vcc
	s_cbranch_execz .LBB696_26
; %bb.25:
	s_mul_hi_i32 s5, s22, s6
	s_mul_i32 s4, s22, s6
	s_and_b32 s13, s13, 0xffff
	s_lshl_b64 s[4:5], s[4:5], 1
	s_add_u32 s8, s30, s4
	s_mov_b32 s15, 0x20000
	s_addc_u32 s4, s31, s5
	s_and_b32 s9, s4, 0xffff
	s_mov_b32 s10, s14
	s_mov_b32 s11, s15
	buffer_load_dwordx4 v[14:17], v1, s[8:11], 0 offen
	buffer_load_dwordx4 v[10:13], v1, s[8:11], 16 offen
	;; [unrolled: 1-line block ×4, first 2 shown]
.LBB696_26:
	s_or_b64 exec, exec, s[2:3]
	v_mov_b32_e32 v19, 0
	v_mov_b32_e32 v32, 0
	;; [unrolled: 1-line block ×15, first 2 shown]
	s_and_saveexec_b64 s[2:3], vcc
	s_cbranch_execz .LBB696_28
; %bb.27:
	s_waitcnt vmcnt(3)
	v_cvt_f32_u32_sdwa v18, v14 dst_sel:DWORD dst_unused:UNUSED_PAD src0_sel:WORD_0
	v_cvt_f32_u32_sdwa v19, v14 dst_sel:DWORD dst_unused:UNUSED_PAD src0_sel:WORD_1
	v_cvt_f32_u32_sdwa v32, v15 dst_sel:DWORD dst_unused:UNUSED_PAD src0_sel:WORD_0
	v_cvt_f32_u32_sdwa v33, v15 dst_sel:DWORD dst_unused:UNUSED_PAD src0_sel:WORD_1
	;; [unrolled: 2-line block ×4, first 2 shown]
	s_waitcnt vmcnt(2)
	v_cvt_f32_u32_sdwa v26, v10 dst_sel:DWORD dst_unused:UNUSED_PAD src0_sel:WORD_0
	v_cvt_f32_u32_sdwa v27, v10 dst_sel:DWORD dst_unused:UNUSED_PAD src0_sel:WORD_1
	v_cvt_f32_u32_sdwa v24, v11 dst_sel:DWORD dst_unused:UNUSED_PAD src0_sel:WORD_0
	v_cvt_f32_u32_sdwa v25, v11 dst_sel:DWORD dst_unused:UNUSED_PAD src0_sel:WORD_1
	;; [unrolled: 2-line block ×4, first 2 shown]
.LBB696_28:
	s_or_b64 exec, exec, s[2:3]
	s_waitcnt vmcnt(2)
	v_mul_f32_e32 v10, v19, v19
	v_fmac_f32_e32 v10, v18, v18
	v_fmac_f32_e32 v10, v32, v32
	v_fmac_f32_e32 v10, v33, v33
	v_fmac_f32_e32 v10, v30, v30
	v_fmac_f32_e32 v10, v31, v31
	v_fmac_f32_e32 v10, v28, v28
	v_fmac_f32_e32 v10, v29, v29
	v_fmac_f32_e32 v10, v26, v26
	v_fmac_f32_e32 v10, v27, v27
	v_fmac_f32_e32 v10, v24, v24
	v_fmac_f32_e32 v10, v25, v25
	v_fmac_f32_e32 v10, v22, v22
	v_fmac_f32_e32 v10, v23, v23
	v_fmac_f32_e32 v10, v20, v20
	v_fmac_f32_e32 v10, v21, v21
	s_nop 1
	v_mov_b32_dpp v11, v10 quad_perm:[1,0,3,2] row_mask:0xf bank_mask:0xf
	v_add_f32_e32 v10, v10, v11
	s_nop 1
	v_mov_b32_dpp v11, v10 quad_perm:[2,3,0,1] row_mask:0xf bank_mask:0xf
	v_add_f32_e32 v10, v10, v11
	s_nop 1
	v_mov_b32_dpp v11, v10 row_half_mirror row_mask:0xf bank_mask:0xf
	v_add_f32_e32 v10, v10, v11
	s_nop 1
	v_mov_b32_dpp v11, v10 row_mirror row_mask:0xf bank_mask:0xf
	v_add_f32_e32 v10, v10, v11
	s_nop 1
	v_mov_b32_dpp v11, v10 row_bcast:15 row_mask:0xf bank_mask:0xf
	v_add_f32_e32 v10, v10, v11
	s_nop 1
	v_mov_b32_dpp v11, v10 row_bcast:31 row_mask:0xf bank_mask:0xf
	s_and_saveexec_b64 s[2:3], s[0:1]
	s_cbranch_execz .LBB696_30
; %bb.29:
	v_lshrrev_b32_e32 v0, 4, v0
	v_add_f32_e32 v10, v10, v11
	v_and_b32_e32 v0, 60, v0
	ds_write_b32 v0, v10
.LBB696_30:
	s_or_b64 exec, exec, s[2:3]
	s_waitcnt lgkmcnt(0)
	s_barrier
	ds_read_b32 v0, v34
	s_waitcnt lgkmcnt(0)
	s_nop 0
	v_mov_b32_dpp v10, v0 quad_perm:[1,0,3,2] row_mask:0xf bank_mask:0xf
	s_and_saveexec_b64 s[0:1], vcc
	s_cbranch_execz .LBB696_12
; %bb.31:
	v_cvt_f32_u32_e32 v11, s20
	v_add_f32_e32 v0, v0, v10
	s_mov_b32 s15, 0x20000
	v_div_scale_f32 v10, s[0:1], v11, v11, v0
	v_rcp_f32_e32 v12, v10
	v_div_scale_f32 v13, vcc, v0, v11, v0
	s_mov_b32 s0, 0x800000
	v_fma_f32 v14, -v10, v12, 1.0
	v_fmac_f32_e32 v12, v14, v12
	v_mul_f32_e32 v14, v13, v12
	v_fma_f32 v15, -v10, v14, v13
	v_fmac_f32_e32 v14, v15, v12
	v_fma_f32 v10, -v10, v14, v13
	v_div_fmas_f32 v10, v10, v12, v14
	v_div_fixup_f32 v0, v10, v11, v0
	v_add_f32_e32 v0, s17, v0
	v_mul_f32_e32 v10, 0x4b800000, v0
	v_cmp_gt_f32_e32 vcc, s0, v0
	v_cndmask_b32_e32 v0, v0, v10, vcc
	v_rsq_f32_e32 v0, v0
	s_mul_hi_i32 s1, s7, s6
	s_mul_i32 s0, s7, s6
	s_lshl_b64 s[0:1], s[0:1], 1
	v_mul_f32_e32 v10, 0x45800000, v0
	v_cndmask_b32_e32 v10, v0, v10, vcc
	v_mov_b32_e32 v11, v10
	s_add_u32 s12, s28, s0
	;;#ASMSTART
	v_pk_mul_f32 v[12:13], v[18:19], v[10:11]
	;;#ASMEND
	;;#ASMSTART
	v_pk_mul_f32 v[14:15], v[32:33], v[10:11]
	;;#ASMEND
	;; [unrolled: 3-line block ×8, first 2 shown]
	s_waitcnt vmcnt(1)
	v_cvt_f32_u32_sdwa v21, v6 dst_sel:DWORD dst_unused:UNUSED_PAD src0_sel:WORD_1
	v_cvt_f32_u32_sdwa v20, v6 dst_sel:DWORD dst_unused:UNUSED_PAD src0_sel:WORD_0
	v_cvt_f32_u32_sdwa v29, v7 dst_sel:DWORD dst_unused:UNUSED_PAD src0_sel:WORD_1
	v_cvt_f32_u32_sdwa v28, v7 dst_sel:DWORD dst_unused:UNUSED_PAD src0_sel:WORD_0
	;; [unrolled: 2-line block ×3, first 2 shown]
	s_addc_u32 s0, s29, s1
	v_cvt_f32_u32_sdwa v31, v9 dst_sel:DWORD dst_unused:UNUSED_PAD src0_sel:WORD_1
	v_cvt_f32_u32_sdwa v30, v9 dst_sel:DWORD dst_unused:UNUSED_PAD src0_sel:WORD_0
	;;#ASMSTART
	v_pk_mul_f32 v[8:9], v[12:13], v[20:21]
	;;#ASMEND
	;;#ASMSTART
	v_pk_mul_f32 v[12:13], v[14:15], v[28:29]
	;;#ASMEND
	;; [unrolled: 3-line block ×4, first 2 shown]
	s_waitcnt vmcnt(0)
	v_cvt_f32_u32_sdwa v17, v2 dst_sel:DWORD dst_unused:UNUSED_PAD src0_sel:WORD_1
	v_cvt_f32_u32_sdwa v16, v2 dst_sel:DWORD dst_unused:UNUSED_PAD src0_sel:WORD_0
	v_cvt_f32_u32_sdwa v19, v3 dst_sel:DWORD dst_unused:UNUSED_PAD src0_sel:WORD_1
	v_cvt_f32_u32_sdwa v18, v3 dst_sel:DWORD dst_unused:UNUSED_PAD src0_sel:WORD_0
	;; [unrolled: 2-line block ×3, first 2 shown]
	s_and_b32 s13, s0, 0xffff
	s_mov_b32 s0, 0x7060302
	v_cvt_f32_u32_sdwa v21, v5 dst_sel:DWORD dst_unused:UNUSED_PAD src0_sel:WORD_1
	v_cvt_f32_u32_sdwa v20, v5 dst_sel:DWORD dst_unused:UNUSED_PAD src0_sel:WORD_0
	;;#ASMSTART
	v_pk_mul_f32 v[16:17], v[26:27], v[16:17]
	;;#ASMEND
	;;#ASMSTART
	v_pk_mul_f32 v[18:19], v[24:25], v[18:19]
	;;#ASMEND
	;; [unrolled: 3-line block ×3, first 2 shown]
	v_perm_b32 v2, v9, v8, s0
	v_perm_b32 v3, v13, v12, s0
	;; [unrolled: 1-line block ×4, first 2 shown]
	;;#ASMSTART
	v_pk_mul_f32 v[10:11], v[10:11], v[20:21]
	;;#ASMEND
	buffer_store_dwordx4 v[2:5], v1, s[12:15], 0 offen
	;;#ASMSTART
	s_nop 0
	;;#ASMEND
	s_nop 0
	v_perm_b32 v2, v17, v16, s0
	v_perm_b32 v3, v19, v18, s0
	;; [unrolled: 1-line block ×4, first 2 shown]
	buffer_store_dwordx4 v[2:5], v1, s[12:15], 16 offen
	;;#ASMSTART
	s_nop 0
	;;#ASMEND
	s_endpgm
	.section	.rodata,"a",@progbits
	.p2align	6, 0x0
	.amdhsa_kernel _ZN5aiter35fused_qk_rmsnorm_group_quant_kernelItN4opus5fp4_tELi128ELi16ELi4ELb0ELb0ELb0ELb0ELb0ELb0EEEvPT0_PvPT_S7_S7_PKS6_S9_S9_S9_S9_ffiiiiiiiiiiiii
		.amdhsa_group_segment_fixed_size 16
		.amdhsa_private_segment_fixed_size 0
		.amdhsa_kernarg_size 400
		.amdhsa_user_sgpr_count 6
		.amdhsa_user_sgpr_private_segment_buffer 1
		.amdhsa_user_sgpr_dispatch_ptr 0
		.amdhsa_user_sgpr_queue_ptr 0
		.amdhsa_user_sgpr_kernarg_segment_ptr 1
		.amdhsa_user_sgpr_dispatch_id 0
		.amdhsa_user_sgpr_flat_scratch_init 0
		.amdhsa_user_sgpr_kernarg_preload_length 0
		.amdhsa_user_sgpr_kernarg_preload_offset 0
		.amdhsa_user_sgpr_private_segment_size 0
		.amdhsa_uses_dynamic_stack 0
		.amdhsa_system_sgpr_private_segment_wavefront_offset 0
		.amdhsa_system_sgpr_workgroup_id_x 1
		.amdhsa_system_sgpr_workgroup_id_y 1
		.amdhsa_system_sgpr_workgroup_id_z 0
		.amdhsa_system_sgpr_workgroup_info 0
		.amdhsa_system_vgpr_workitem_id 0
		.amdhsa_next_free_vgpr 35
		.amdhsa_next_free_sgpr 32
		.amdhsa_accum_offset 36
		.amdhsa_reserve_vcc 1
		.amdhsa_reserve_flat_scratch 0
		.amdhsa_float_round_mode_32 0
		.amdhsa_float_round_mode_16_64 0
		.amdhsa_float_denorm_mode_32 3
		.amdhsa_float_denorm_mode_16_64 3
		.amdhsa_dx10_clamp 1
		.amdhsa_ieee_mode 1
		.amdhsa_fp16_overflow 0
		.amdhsa_tg_split 0
		.amdhsa_exception_fp_ieee_invalid_op 0
		.amdhsa_exception_fp_denorm_src 0
		.amdhsa_exception_fp_ieee_div_zero 0
		.amdhsa_exception_fp_ieee_overflow 0
		.amdhsa_exception_fp_ieee_underflow 0
		.amdhsa_exception_fp_ieee_inexact 0
		.amdhsa_exception_int_div_zero 0
	.end_amdhsa_kernel
	.section	.text._ZN5aiter35fused_qk_rmsnorm_group_quant_kernelItN4opus5fp4_tELi128ELi16ELi4ELb0ELb0ELb0ELb0ELb0ELb0EEEvPT0_PvPT_S7_S7_PKS6_S9_S9_S9_S9_ffiiiiiiiiiiiii,"axG",@progbits,_ZN5aiter35fused_qk_rmsnorm_group_quant_kernelItN4opus5fp4_tELi128ELi16ELi4ELb0ELb0ELb0ELb0ELb0ELb0EEEvPT0_PvPT_S7_S7_PKS6_S9_S9_S9_S9_ffiiiiiiiiiiiii,comdat
.Lfunc_end696:
	.size	_ZN5aiter35fused_qk_rmsnorm_group_quant_kernelItN4opus5fp4_tELi128ELi16ELi4ELb0ELb0ELb0ELb0ELb0ELb0EEEvPT0_PvPT_S7_S7_PKS6_S9_S9_S9_S9_ffiiiiiiiiiiiii, .Lfunc_end696-_ZN5aiter35fused_qk_rmsnorm_group_quant_kernelItN4opus5fp4_tELi128ELi16ELi4ELb0ELb0ELb0ELb0ELb0ELb0EEEvPT0_PvPT_S7_S7_PKS6_S9_S9_S9_S9_ffiiiiiiiiiiiii
                                        ; -- End function
	.section	.AMDGPU.csdata,"",@progbits
; Kernel info:
; codeLenInByte = 3104
; NumSgprs: 36
; NumVgprs: 35
; NumAgprs: 0
; TotalNumVgprs: 35
; ScratchSize: 0
; MemoryBound: 0
; FloatMode: 240
; IeeeMode: 1
; LDSByteSize: 16 bytes/workgroup (compile time only)
; SGPRBlocks: 4
; VGPRBlocks: 4
; NumSGPRsForWavesPerEU: 36
; NumVGPRsForWavesPerEU: 35
; AccumOffset: 36
; Occupancy: 8
; WaveLimiterHint : 0
; COMPUTE_PGM_RSRC2:SCRATCH_EN: 0
; COMPUTE_PGM_RSRC2:USER_SGPR: 6
; COMPUTE_PGM_RSRC2:TRAP_HANDLER: 0
; COMPUTE_PGM_RSRC2:TGID_X_EN: 1
; COMPUTE_PGM_RSRC2:TGID_Y_EN: 1
; COMPUTE_PGM_RSRC2:TGID_Z_EN: 0
; COMPUTE_PGM_RSRC2:TIDIG_COMP_CNT: 0
; COMPUTE_PGM_RSRC3_GFX90A:ACCUM_OFFSET: 8
; COMPUTE_PGM_RSRC3_GFX90A:TG_SPLIT: 0
	.section	.text._ZN5aiter35fused_qk_rmsnorm_group_quant_kernelIDF16_DB8_Li128ELi16ELi2ELb1ELb1ELb1ELb1ELb0ELb0EEEvPT0_PvPT_S6_S6_PKS5_S8_S8_S8_S8_ffiiiiiiiiiiiii,"axG",@progbits,_ZN5aiter35fused_qk_rmsnorm_group_quant_kernelIDF16_DB8_Li128ELi16ELi2ELb1ELb1ELb1ELb1ELb0ELb0EEEvPT0_PvPT_S6_S6_PKS5_S8_S8_S8_S8_ffiiiiiiiiiiiii,comdat
	.protected	_ZN5aiter35fused_qk_rmsnorm_group_quant_kernelIDF16_DB8_Li128ELi16ELi2ELb1ELb1ELb1ELb1ELb0ELb0EEEvPT0_PvPT_S6_S6_PKS5_S8_S8_S8_S8_ffiiiiiiiiiiiii ; -- Begin function _ZN5aiter35fused_qk_rmsnorm_group_quant_kernelIDF16_DB8_Li128ELi16ELi2ELb1ELb1ELb1ELb1ELb0ELb0EEEvPT0_PvPT_S6_S6_PKS5_S8_S8_S8_S8_ffiiiiiiiiiiiii
	.globl	_ZN5aiter35fused_qk_rmsnorm_group_quant_kernelIDF16_DB8_Li128ELi16ELi2ELb1ELb1ELb1ELb1ELb0ELb0EEEvPT0_PvPT_S6_S6_PKS5_S8_S8_S8_S8_ffiiiiiiiiiiiii
	.p2align	8
	.type	_ZN5aiter35fused_qk_rmsnorm_group_quant_kernelIDF16_DB8_Li128ELi16ELi2ELb1ELb1ELb1ELb1ELb0ELb0EEEvPT0_PvPT_S6_S6_PKS5_S8_S8_S8_S8_ffiiiiiiiiiiiii,@function
_ZN5aiter35fused_qk_rmsnorm_group_quant_kernelIDF16_DB8_Li128ELi16ELi2ELb1ELb1ELb1ELb1ELb0ELb0EEEvPT0_PvPT_S6_S6_PKS5_S8_S8_S8_S8_ffiiiiiiiiiiiii: ; @_ZN5aiter35fused_qk_rmsnorm_group_quant_kernelIDF16_DB8_Li128ELi16ELi2ELb1ELb1ELb1ELb1ELb0ELb0EEEvPT0_PvPT_S6_S6_PKS5_S8_S8_S8_S8_ffiiiiiiiiiiiii
; %bb.0:
	s_load_dwordx8 s[12:19], s[4:5], 0x50
	s_waitcnt lgkmcnt(0)
	s_cmp_ge_i32 s6, s14
	s_cbranch_scc1 .LBB697_17
; %bb.1:
	s_cmp_lg_u32 s7, 0
	s_cselect_b64 s[22:23], -1, 0
	s_cmp_eq_u32 s7, 0
	s_cselect_b64 s[2:3], -1, 0
	s_and_b64 s[0:1], s[2:3], exec
	s_cselect_b32 s7, s15, s16
	s_load_dwordx2 s[10:11], s[4:5], 0x30
	s_load_dwordx2 s[20:21], s[4:5], 0x48
	s_add_i32 s0, s7, 1
	s_lshr_b32 s1, s0, 31
	s_add_i32 s0, s0, s1
	s_lshl_b32 s0, s0, 1
	v_lshlrev_b32_e32 v1, 4, v0
	s_and_b32 s30, s0, -4
	v_cmp_gt_i32_e64 s[0:1], s7, v1
	v_mov_b32_e32 v6, 0
	v_mov_b32_e32 v7, 0
	;; [unrolled: 1-line block ×16, first 2 shown]
	s_and_saveexec_b64 s[8:9], s[0:1]
	s_cbranch_execz .LBB697_3
; %bb.2:
	s_load_dwordx2 s[14:15], s[4:5], 0x28
	s_load_dwordx2 s[26:27], s[4:5], 0x40
	s_and_b64 s[24:25], s[2:3], exec
	s_cselect_b32 s17, s17, s18
	s_mov_b32 s31, 0x20000
	s_waitcnt lgkmcnt(0)
	s_cselect_b32 s25, s15, s11
	s_cselect_b32 s24, s14, s10
	s_mul_hi_i32 s15, s17, s6
	s_mul_i32 s14, s17, s6
	s_lshl_b64 s[14:15], s[14:15], 1
	s_add_u32 s24, s24, s14
	s_addc_u32 s17, s25, s15
	s_and_b64 s[14:15], s[2:3], exec
	s_cselect_b32 s28, s26, s20
	s_cselect_b32 s14, s27, s21
	s_and_b32 s25, s17, 0xffff
	s_mov_b32 s26, s30
	s_mov_b32 s27, s31
	v_lshlrev_b32_e32 v18, 5, v0
	s_and_b32 s29, s14, 0xffff
	buffer_load_dwordx4 v[10:13], v18, s[24:27], 0 offen
	buffer_load_dwordx4 v[14:17], v18, s[24:27], 16 offen
	;; [unrolled: 1-line block ×4, first 2 shown]
.LBB697_3:
	s_or_b64 exec, exec, s[8:9]
	s_load_dwordx4 s[24:27], s[4:5], 0x7c
	s_and_b64 vcc, exec, s[22:23]
	s_cbranch_vccz .LBB697_7
; %bb.4:
	v_mov_b32_e32 v19, 0
	v_mov_b32_e32 v18, 0
	;; [unrolled: 1-line block ×16, first 2 shown]
	s_and_saveexec_b64 s[8:9], s[0:1]
	s_cbranch_execz .LBB697_6
; %bb.5:
	s_waitcnt vmcnt(3)
	v_cvt_f32_f16_sdwa v27, v10 dst_sel:DWORD dst_unused:UNUSED_PAD src0_sel:WORD_1
	v_cvt_f32_f16_e32 v26, v10
	v_cvt_f32_f16_sdwa v31, v11 dst_sel:DWORD dst_unused:UNUSED_PAD src0_sel:WORD_1
	v_cvt_f32_f16_e32 v30, v11
	v_cvt_f32_f16_sdwa v29, v12 dst_sel:DWORD dst_unused:UNUSED_PAD src0_sel:WORD_1
	v_cvt_f32_f16_e32 v28, v12
	v_cvt_f32_f16_sdwa v33, v13 dst_sel:DWORD dst_unused:UNUSED_PAD src0_sel:WORD_1
	v_cvt_f32_f16_e32 v32, v13
	s_waitcnt vmcnt(2)
	v_cvt_f32_f16_sdwa v21, v14 dst_sel:DWORD dst_unused:UNUSED_PAD src0_sel:WORD_1
	v_cvt_f32_f16_e32 v20, v14
	v_cvt_f32_f16_sdwa v25, v15 dst_sel:DWORD dst_unused:UNUSED_PAD src0_sel:WORD_1
	v_cvt_f32_f16_e32 v24, v15
	;; [unrolled: 2-line block ×4, first 2 shown]
.LBB697_6:
	s_or_b64 exec, exec, s[8:9]
	s_cbranch_execz .LBB697_8
	s_branch .LBB697_11
.LBB697_7:
                                        ; implicit-def: $vgpr19
                                        ; implicit-def: $vgpr23
                                        ; implicit-def: $vgpr25
                                        ; implicit-def: $vgpr21
                                        ; implicit-def: $vgpr33
                                        ; implicit-def: $vgpr29
                                        ; implicit-def: $vgpr31
                                        ; implicit-def: $vgpr27
.LBB697_8:
	v_mov_b32_e32 v19, 0
	v_mov_b32_e32 v18, 0
	;; [unrolled: 1-line block ×16, first 2 shown]
	s_and_saveexec_b64 s[8:9], s[0:1]
	s_cbranch_execz .LBB697_10
; %bb.9:
	s_load_dwordx2 s[14:15], s[4:5], 0x38
	s_mul_hi_i32 s29, s19, s6
	s_mul_i32 s28, s19, s6
	s_lshl_b64 s[28:29], s[28:29], 1
	s_mov_b32 s31, 0x20000
	s_waitcnt lgkmcnt(0)
	s_add_u32 s28, s14, s28
	s_addc_u32 s14, s15, s29
	s_and_b32 s29, s14, 0xffff
	v_lshlrev_b32_e32 v48, 5, v0
	buffer_load_dwordx4 v[18:21], v48, s[28:31], 16 offen
	buffer_load_dwordx4 v[22:25], v48, s[28:31], 0 offen
	s_waitcnt vmcnt(4)
	v_cvt_f32_f16_sdwa v27, v14 dst_sel:DWORD dst_unused:UNUSED_PAD src0_sel:WORD_1
	v_cvt_f32_f16_e32 v26, v14
	v_cvt_f32_f16_sdwa v29, v15 dst_sel:DWORD dst_unused:UNUSED_PAD src0_sel:WORD_1
	v_cvt_f32_f16_e32 v28, v15
	;; [unrolled: 2-line block ×8, first 2 shown]
	s_load_dwordx2 s[14:15], s[4:5], 0x20
	s_mul_hi_i32 s27, s26, s6
	s_mul_i32 s26, s26, s6
	s_lshl_b64 s[26:27], s[26:27], 1
	s_waitcnt lgkmcnt(0)
	s_add_u32 s28, s14, s26
	s_addc_u32 s14, s15, s27
	s_and_b32 s29, s14, 0xffff
	s_waitcnt vmcnt(1)
	v_cvt_f32_f16_e32 v12, v18
	v_cvt_f32_f16_sdwa v13, v18 dst_sel:DWORD dst_unused:UNUSED_PAD src0_sel:WORD_1
	v_cvt_f32_f16_e32 v18, v19
	v_cvt_f32_f16_sdwa v19, v19 dst_sel:DWORD dst_unused:UNUSED_PAD src0_sel:WORD_1
	v_cvt_f32_f16_e32 v36, v20
	v_cvt_f32_f16_sdwa v37, v20 dst_sel:DWORD dst_unused:UNUSED_PAD src0_sel:WORD_1
	v_cvt_f32_f16_e32 v38, v21
	v_cvt_f32_f16_sdwa v39, v21 dst_sel:DWORD dst_unused:UNUSED_PAD src0_sel:WORD_1
	s_waitcnt vmcnt(0)
	v_cvt_f32_f16_e32 v40, v22
	v_cvt_f32_f16_sdwa v41, v22 dst_sel:DWORD dst_unused:UNUSED_PAD src0_sel:WORD_1
	v_cvt_f32_f16_e32 v42, v23
	v_cvt_f32_f16_sdwa v43, v23 dst_sel:DWORD dst_unused:UNUSED_PAD src0_sel:WORD_1
	;; [unrolled: 2-line block ×4, first 2 shown]
	v_pk_add_f32 v[20:21], v[26:27], v[12:13]
	v_pk_add_f32 v[24:25], v[28:29], v[18:19]
	;; [unrolled: 1-line block ×8, first 2 shown]
	v_cvt_f16_f32_e32 v10, v27
	v_cvt_f16_f32_e32 v14, v26
	;; [unrolled: 1-line block ×16, first 2 shown]
	v_pack_b32_f16 v13, v17, v13
	v_pack_b32_f16 v12, v16, v12
	;; [unrolled: 1-line block ×8, first 2 shown]
	buffer_store_dwordx4 v[10:13], v48, s[28:31], 0 offen
	;;#ASMSTART
	s_nop 0
	;;#ASMEND
	buffer_store_dwordx4 v[14:17], v48, s[28:31], 16 offen
	;;#ASMSTART
	s_nop 0
	;;#ASMEND
.LBB697_10:
	s_or_b64 exec, exec, s[8:9]
.LBB697_11:
	s_waitcnt vmcnt(3)
	v_mul_f32_e32 v10, v27, v27
	v_fmac_f32_e32 v10, v26, v26
	v_fmac_f32_e32 v10, v30, v30
	;; [unrolled: 1-line block ×15, first 2 shown]
	v_and_b32_e32 v12, 63, v0
	v_cmp_eq_u32_e64 s[8:9], 63, v12
	v_mov_b32_dpp v11, v10 quad_perm:[1,0,3,2] row_mask:0xf bank_mask:0xf
	v_add_f32_e32 v10, v10, v11
	s_nop 1
	v_mov_b32_dpp v11, v10 quad_perm:[2,3,0,1] row_mask:0xf bank_mask:0xf
	v_add_f32_e32 v10, v10, v11
	s_nop 1
	v_mov_b32_dpp v11, v10 row_half_mirror row_mask:0xf bank_mask:0xf
	v_add_f32_e32 v10, v10, v11
	s_nop 1
	v_mov_b32_dpp v11, v10 row_mirror row_mask:0xf bank_mask:0xf
	v_add_f32_e32 v10, v10, v11
	s_nop 1
	v_mov_b32_dpp v11, v10 row_bcast:15 row_mask:0xf bank_mask:0xf
	v_add_f32_e32 v10, v10, v11
	s_nop 1
	v_mov_b32_dpp v11, v10 row_bcast:31 row_mask:0xf bank_mask:0xf
	s_and_saveexec_b64 s[14:15], s[8:9]
	s_cbranch_execz .LBB697_13
; %bb.12:
	v_add_f32_e32 v10, v10, v11
	v_lshrrev_b32_e32 v11, 4, v0
	v_and_b32_e32 v11, 60, v11
	ds_write_b32 v11, v10 offset:8
.LBB697_13:
	s_or_b64 exec, exec, s[14:15]
	v_and_b32_e32 v10, 1, v0
	v_lshlrev_b32_e32 v34, 2, v10
	s_waitcnt lgkmcnt(0)
	s_barrier
	ds_read_b32 v10, v34 offset:8
	s_load_dwordx2 s[14:15], s[4:5], 0x18
	s_waitcnt lgkmcnt(0)
	v_mov_b32_dpp v11, v10 quad_perm:[1,0,3,2] row_mask:0xf bank_mask:0xf
	s_and_saveexec_b64 s[26:27], s[0:1]
	s_cbranch_execnz .LBB697_18
; %bb.14:
	s_or_b64 exec, exec, s[26:27]
	s_mov_b64 s[2:3], -1
	s_and_b64 vcc, exec, s[22:23]
	s_cbranch_vccnz .LBB697_19
.LBB697_15:
	s_andn2_b64 vcc, exec, s[2:3]
	s_cbranch_vccz .LBB697_22
.LBB697_16:
	s_cmp_lt_i32 s16, 1
	s_cbranch_scc0 .LBB697_25
.LBB697_17:
	s_endpgm
.LBB697_18:
	v_cvt_f32_u32_e32 v12, s7
	v_add_f32_e32 v10, v10, v11
	s_waitcnt vmcnt(2)
	v_mov_b32_e32 v14, s13
	v_mov_b32_e32 v15, s12
	v_div_scale_f32 v11, s[28:29], v12, v12, v10
	v_rcp_f32_e32 v13, v11
	v_cndmask_b32_e64 v14, v14, v15, s[2:3]
	s_mov_b32 s2, 0x800000
	v_fma_f32 v15, -v11, v13, 1.0
	v_fmac_f32_e32 v13, v15, v13
	v_div_scale_f32 v15, vcc, v10, v12, v10
	v_mul_f32_e32 v16, v15, v13
	v_fma_f32 v17, -v11, v16, v15
	v_fmac_f32_e32 v16, v17, v13
	v_fma_f32 v11, -v11, v16, v15
	v_div_fmas_f32 v11, v11, v13, v16
	v_div_fixup_f32 v10, v11, v12, v10
	v_add_f32_e32 v10, v14, v10
	v_mul_f32_e32 v11, 0x4b800000, v10
	v_cmp_gt_f32_e32 vcc, s2, v10
	v_cndmask_b32_e32 v10, v10, v11, vcc
	v_rsq_f32_e32 v10, v10
	v_mul_f32_e32 v11, 0x45800000, v10
	v_cndmask_b32_e32 v10, v10, v11, vcc
	v_mov_b32_e32 v11, v10
	;;#ASMSTART
	v_pk_mul_f32 v[12:13], v[26:27], v[10:11]
	;;#ASMEND
	s_waitcnt vmcnt(1)
	v_cvt_f32_f16_sdwa v27, v6 dst_sel:DWORD dst_unused:UNUSED_PAD src0_sel:WORD_1
	v_cvt_f32_f16_e32 v26, v6
	;;#ASMSTART
	v_pk_mul_f32 v[14:15], v[30:31], v[10:11]
	;;#ASMEND
	;;#ASMSTART
	v_pk_mul_f32 v[16:17], v[28:29], v[10:11]
	;;#ASMEND
	v_cvt_f32_f16_sdwa v29, v7 dst_sel:DWORD dst_unused:UNUSED_PAD src0_sel:WORD_1
	v_cvt_f32_f16_e32 v28, v7
	;;#ASMSTART
	v_pk_mul_f32 v[32:33], v[32:33], v[10:11]
	;;#ASMEND
	;;#ASMSTART
	v_pk_mul_f32 v[20:21], v[20:21], v[10:11]
	;;#ASMEND
	;; [unrolled: 3-line block ×5, first 2 shown]
	v_pk_add_f32 v[10:11], v[26:27], 1.0 op_sel_hi:[1,0]
	;;#ASMSTART
	v_pk_mul_f32 v[26:27], v[12:13], v[10:11]
	;;#ASMEND
	v_cvt_f32_f16_sdwa v13, v8 dst_sel:DWORD dst_unused:UNUSED_PAD src0_sel:WORD_1
	v_cvt_f32_f16_e32 v12, v8
	v_cvt_f32_f16_sdwa v19, v9 dst_sel:DWORD dst_unused:UNUSED_PAD src0_sel:WORD_1
	v_cvt_f32_f16_e32 v18, v9
	v_pk_add_f32 v[10:11], v[28:29], 1.0 op_sel_hi:[1,0]
	;;#ASMSTART
	v_pk_mul_f32 v[30:31], v[14:15], v[10:11]
	;;#ASMEND
	s_waitcnt vmcnt(0)
	v_cvt_f32_f16_sdwa v11, v2 dst_sel:DWORD dst_unused:UNUSED_PAD src0_sel:WORD_1
	v_cvt_f32_f16_e32 v10, v2
	v_pk_add_f32 v[8:9], v[12:13], 1.0 op_sel_hi:[1,0]
	;;#ASMSTART
	v_pk_mul_f32 v[28:29], v[16:17], v[8:9]
	;;#ASMEND
	v_pk_add_f32 v[8:9], v[18:19], 1.0 op_sel_hi:[1,0]
	v_cvt_f32_f16_sdwa v13, v3 dst_sel:DWORD dst_unused:UNUSED_PAD src0_sel:WORD_1
	v_cvt_f32_f16_e32 v12, v3
	;;#ASMSTART
	v_pk_mul_f32 v[32:33], v[32:33], v[8:9]
	;;#ASMEND
	v_cvt_f32_f16_sdwa v9, v4 dst_sel:DWORD dst_unused:UNUSED_PAD src0_sel:WORD_1
	v_cvt_f32_f16_e32 v8, v4
	v_pk_add_f32 v[2:3], v[10:11], 1.0 op_sel_hi:[1,0]
	v_cvt_f32_f16_sdwa v11, v5 dst_sel:DWORD dst_unused:UNUSED_PAD src0_sel:WORD_1
	v_cvt_f32_f16_e32 v10, v5
	;;#ASMSTART
	v_pk_mul_f32 v[20:21], v[20:21], v[2:3]
	;;#ASMEND
	v_pk_add_f32 v[2:3], v[12:13], 1.0 op_sel_hi:[1,0]
	;;#ASMSTART
	v_pk_mul_f32 v[24:25], v[24:25], v[2:3]
	;;#ASMEND
	v_pk_add_f32 v[2:3], v[8:9], 1.0 op_sel_hi:[1,0]
	;; [unrolled: 4-line block ×3, first 2 shown]
	;;#ASMSTART
	v_pk_mul_f32 v[18:19], v[6:7], v[2:3]
	;;#ASMEND
	s_or_b64 exec, exec, s[26:27]
	s_mov_b64 s[2:3], -1
	s_and_b64 vcc, exec, s[22:23]
	s_cbranch_vccz .LBB697_15
.LBB697_19:
	s_and_saveexec_b64 s[2:3], s[0:1]
	s_cbranch_execz .LBB697_21
; %bb.20:
	s_mul_hi_i32 s23, s25, s6
	s_mul_i32 s22, s25, s6
	s_waitcnt vmcnt(0)
	v_cvt_f16_f32_e32 v2, v26
	v_cvt_f16_f32_e32 v3, v30
	;; [unrolled: 1-line block ×8, first 2 shown]
	s_lshl_b64 s[22:23], s[22:23], 1
	s_add_u32 s28, s14, s22
	s_addc_u32 s7, s15, s23
	s_and_b32 s29, s7, 0xffff
	s_mov_b32 s31, 0x20000
	v_pack_b32_f16 v5, v5, v6
	v_pack_b32_f16 v4, v4, v7
	;; [unrolled: 1-line block ×4, first 2 shown]
	v_lshlrev_b32_e32 v6, 5, v0
	buffer_store_dwordx4 v[2:5], v6, s[28:31], 0 offen
	v_cvt_f16_f32_e32 v7, v19
	v_cvt_f16_f32_e32 v2, v20
	;; [unrolled: 1-line block ×8, first 2 shown]
	v_pack_b32_f16 v5, v5, v7
	v_pack_b32_f16 v4, v4, v8
	;; [unrolled: 1-line block ×4, first 2 shown]
	;;#ASMSTART
	s_nop 0
	;;#ASMEND
	buffer_store_dwordx4 v[2:5], v6, s[28:31], 16 offen
	;;#ASMSTART
	s_nop 0
	;;#ASMEND
.LBB697_21:
	s_or_b64 exec, exec, s[2:3]
	s_cbranch_execnz .LBB697_16
.LBB697_22:
	s_and_saveexec_b64 s[2:3], s[0:1]
	s_cbranch_execz .LBB697_24
; %bb.23:
	s_load_dwordx2 s[0:1], s[4:5], 0x10
	s_mul_hi_i32 s23, s24, s6
	s_mul_i32 s22, s24, s6
	s_waitcnt vmcnt(0)
	v_cvt_f16_f32_e32 v2, v26
	v_cvt_f16_f32_e32 v3, v30
	;; [unrolled: 1-line block ×8, first 2 shown]
	s_lshl_b64 s[22:23], s[22:23], 1
	s_waitcnt lgkmcnt(0)
	s_add_u32 s28, s0, s22
	s_addc_u32 s0, s1, s23
	s_mov_b32 s31, 0x20000
	s_and_b32 s29, s0, 0xffff
	v_pack_b32_f16 v5, v5, v6
	v_pack_b32_f16 v4, v4, v7
	v_pack_b32_f16 v3, v3, v8
	v_pack_b32_f16 v2, v2, v9
	v_lshlrev_b32_e32 v6, 5, v0
	buffer_store_dwordx4 v[2:5], v6, s[28:31], 0 offen
	v_cvt_f16_f32_e32 v7, v19
	v_cvt_f16_f32_e32 v2, v20
	;; [unrolled: 1-line block ×8, first 2 shown]
	v_pack_b32_f16 v5, v5, v7
	v_pack_b32_f16 v4, v4, v8
	v_pack_b32_f16 v3, v3, v9
	v_pack_b32_f16 v2, v2, v10
	;;#ASMSTART
	s_nop 0
	;;#ASMEND
	buffer_store_dwordx4 v[2:5], v6, s[28:31], 16 offen
	;;#ASMSTART
	s_nop 0
	;;#ASMEND
.LBB697_24:
	s_or_b64 exec, exec, s[2:3]
	s_cmp_lt_i32 s16, 1
	s_cbranch_scc1 .LBB697_17
.LBB697_25:
	s_load_dword s0, s[4:5], 0x94
	s_waitcnt lgkmcnt(0)
	s_cmp_lg_u32 s0, 1
	s_cbranch_scc1 .LBB697_17
; %bb.26:
	s_lshl_b32 s0, s16, 1
	s_add_i32 s0, s0, 2
	v_cmp_gt_u32_e32 vcc, s16, v1
	s_and_b32 s22, s0, -4
	v_mov_b32_e32 v18, 0
	v_lshlrev_b32_e32 v1, 5, v0
	s_waitcnt vmcnt(2)
	v_mov_b32_e32 v14, 0
	v_mov_b32_e32 v15, 0
	;; [unrolled: 1-line block ×8, first 2 shown]
	s_waitcnt vmcnt(1)
	v_mov_b32_e32 v6, 0
	v_mov_b32_e32 v7, 0
	v_mov_b32_e32 v8, 0
	v_mov_b32_e32 v9, 0
	s_waitcnt vmcnt(0)
	v_mov_b32_e32 v2, 0
	v_mov_b32_e32 v3, 0
	;; [unrolled: 1-line block ×4, first 2 shown]
	s_barrier
	s_and_saveexec_b64 s[0:1], vcc
	s_cbranch_execz .LBB697_28
; %bb.27:
	s_mul_hi_i32 s3, s18, s6
	s_mul_i32 s2, s18, s6
	s_and_b32 s21, s21, 0xffff
	s_lshl_b64 s[2:3], s[2:3], 1
	s_add_u32 s28, s10, s2
	s_mov_b32 s23, 0x20000
	s_addc_u32 s2, s11, s3
	s_and_b32 s29, s2, 0xffff
	s_mov_b32 s30, s22
	s_mov_b32 s31, s23
	buffer_load_dwordx4 v[14:17], v1, s[28:31], 0 offen
	buffer_load_dwordx4 v[10:13], v1, s[28:31], 16 offen
	;; [unrolled: 1-line block ×4, first 2 shown]
.LBB697_28:
	s_or_b64 exec, exec, s[0:1]
	v_mov_b32_e32 v19, 0
	v_mov_b32_e32 v32, 0
	;; [unrolled: 1-line block ×15, first 2 shown]
	s_and_saveexec_b64 s[0:1], vcc
	s_cbranch_execz .LBB697_30
; %bb.29:
	s_waitcnt vmcnt(3)
	v_cvt_f32_f16_sdwa v19, v14 dst_sel:DWORD dst_unused:UNUSED_PAD src0_sel:WORD_1
	v_cvt_f32_f16_e32 v18, v14
	v_cvt_f32_f16_sdwa v33, v15 dst_sel:DWORD dst_unused:UNUSED_PAD src0_sel:WORD_1
	v_cvt_f32_f16_e32 v32, v15
	;; [unrolled: 2-line block ×4, first 2 shown]
	s_waitcnt vmcnt(2)
	v_cvt_f32_f16_sdwa v27, v10 dst_sel:DWORD dst_unused:UNUSED_PAD src0_sel:WORD_1
	v_cvt_f32_f16_e32 v26, v10
	v_cvt_f32_f16_sdwa v25, v11 dst_sel:DWORD dst_unused:UNUSED_PAD src0_sel:WORD_1
	v_cvt_f32_f16_e32 v24, v11
	;; [unrolled: 2-line block ×4, first 2 shown]
.LBB697_30:
	s_or_b64 exec, exec, s[0:1]
	s_waitcnt vmcnt(2)
	v_mul_f32_e32 v10, v19, v19
	v_fmac_f32_e32 v10, v18, v18
	v_fmac_f32_e32 v10, v32, v32
	;; [unrolled: 1-line block ×15, first 2 shown]
	s_nop 1
	v_mov_b32_dpp v11, v10 quad_perm:[1,0,3,2] row_mask:0xf bank_mask:0xf
	v_add_f32_e32 v10, v10, v11
	s_nop 1
	v_mov_b32_dpp v11, v10 quad_perm:[2,3,0,1] row_mask:0xf bank_mask:0xf
	v_add_f32_e32 v10, v10, v11
	s_nop 1
	v_mov_b32_dpp v11, v10 row_half_mirror row_mask:0xf bank_mask:0xf
	v_add_f32_e32 v10, v10, v11
	s_nop 1
	v_mov_b32_dpp v11, v10 row_mirror row_mask:0xf bank_mask:0xf
	v_add_f32_e32 v10, v10, v11
	s_nop 1
	v_mov_b32_dpp v11, v10 row_bcast:15 row_mask:0xf bank_mask:0xf
	v_add_f32_e32 v10, v10, v11
	s_nop 1
	v_mov_b32_dpp v11, v10 row_bcast:31 row_mask:0xf bank_mask:0xf
	s_and_saveexec_b64 s[0:1], s[8:9]
	s_cbranch_execz .LBB697_32
; %bb.31:
	v_lshrrev_b32_e32 v0, 4, v0
	v_add_f32_e32 v10, v10, v11
	v_and_b32_e32 v0, 60, v0
	ds_write_b32 v0, v10
.LBB697_32:
	s_or_b64 exec, exec, s[0:1]
	s_waitcnt lgkmcnt(0)
	s_barrier
	ds_read_b32 v0, v34
	s_waitcnt lgkmcnt(0)
	s_nop 0
	v_mov_b32_dpp v10, v0 quad_perm:[1,0,3,2] row_mask:0xf bank_mask:0xf
	s_and_saveexec_b64 s[0:1], vcc
	s_cbranch_execz .LBB697_17
; %bb.33:
	v_cvt_f32_u32_e32 v11, s16
	v_add_f32_e32 v0, v0, v10
	s_mov_b32 s23, 0x20000
	v_div_scale_f32 v10, s[0:1], v11, v11, v0
	v_rcp_f32_e32 v12, v10
	v_div_scale_f32 v13, vcc, v0, v11, v0
	s_mov_b32 s0, 0x800000
	v_fma_f32 v14, -v10, v12, 1.0
	v_fmac_f32_e32 v12, v14, v12
	v_mul_f32_e32 v14, v13, v12
	v_fma_f32 v15, -v10, v14, v13
	v_fmac_f32_e32 v14, v15, v12
	v_fma_f32 v10, -v10, v14, v13
	v_div_fmas_f32 v10, v10, v12, v14
	v_div_fixup_f32 v0, v10, v11, v0
	v_add_f32_e32 v0, s13, v0
	v_mul_f32_e32 v10, 0x4b800000, v0
	v_cmp_gt_f32_e32 vcc, s0, v0
	v_cndmask_b32_e32 v0, v0, v10, vcc
	v_rsq_f32_e32 v0, v0
	s_mul_hi_i32 s1, s25, s6
	s_mul_i32 s0, s25, s6
	s_lshl_b64 s[0:1], s[0:1], 1
	v_mul_f32_e32 v10, 0x45800000, v0
	v_cndmask_b32_e32 v10, v0, v10, vcc
	v_mov_b32_e32 v11, v10
	;;#ASMSTART
	v_pk_mul_f32 v[12:13], v[18:19], v[10:11]
	;;#ASMEND
	;;#ASMSTART
	v_pk_mul_f32 v[14:15], v[32:33], v[10:11]
	;;#ASMEND
	;; [unrolled: 3-line block ×4, first 2 shown]
	s_waitcnt vmcnt(1)
	v_cvt_f32_f16_sdwa v29, v6 dst_sel:DWORD dst_unused:UNUSED_PAD src0_sel:WORD_1
	v_cvt_f32_f16_e32 v28, v6
	v_cvt_f32_f16_sdwa v31, v7 dst_sel:DWORD dst_unused:UNUSED_PAD src0_sel:WORD_1
	v_cvt_f32_f16_e32 v30, v7
	;;#ASMSTART
	v_pk_mul_f32 v[26:27], v[26:27], v[10:11]
	;;#ASMEND
	;;#ASMSTART
	v_pk_mul_f32 v[24:25], v[24:25], v[10:11]
	;;#ASMEND
	;;#ASMSTART
	v_pk_mul_f32 v[22:23], v[22:23], v[10:11]
	;;#ASMEND
	;;#ASMSTART
	v_pk_mul_f32 v[6:7], v[20:21], v[10:11]
	;;#ASMEND
	v_cvt_f32_f16_sdwa v21, v8 dst_sel:DWORD dst_unused:UNUSED_PAD src0_sel:WORD_1
	v_cvt_f32_f16_e32 v20, v8
	v_pk_add_f32 v[10:11], v[28:29], 1.0 op_sel_hi:[1,0]
	;;#ASMSTART
	v_pk_mul_f32 v[10:11], v[12:13], v[10:11]
	;;#ASMEND
	v_pk_add_f32 v[12:13], v[30:31], 1.0 op_sel_hi:[1,0]
	v_cvt_f32_f16_sdwa v29, v9 dst_sel:DWORD dst_unused:UNUSED_PAD src0_sel:WORD_1
	v_cvt_f32_f16_e32 v28, v9
	;;#ASMSTART
	v_pk_mul_f32 v[8:9], v[14:15], v[12:13]
	;;#ASMEND
	v_pk_add_f32 v[12:13], v[20:21], 1.0 op_sel_hi:[1,0]
	;;#ASMSTART
	v_pk_mul_f32 v[12:13], v[16:17], v[12:13]
	;;#ASMEND
	s_waitcnt vmcnt(0)
	v_cvt_f32_f16_sdwa v17, v2 dst_sel:DWORD dst_unused:UNUSED_PAD src0_sel:WORD_1
	v_cvt_f32_f16_e32 v16, v2
	v_cvt_f32_f16_sdwa v21, v3 dst_sel:DWORD dst_unused:UNUSED_PAD src0_sel:WORD_1
	v_cvt_f32_f16_e32 v20, v3
	v_pk_add_f32 v[14:15], v[28:29], 1.0 op_sel_hi:[1,0]
	;;#ASMSTART
	v_pk_mul_f32 v[2:3], v[18:19], v[14:15]
	;;#ASMEND
	v_cvt_f32_f16_sdwa v19, v4 dst_sel:DWORD dst_unused:UNUSED_PAD src0_sel:WORD_1
	v_cvt_f32_f16_e32 v18, v4
	v_pk_add_f32 v[14:15], v[16:17], 1.0 op_sel_hi:[1,0]
	v_pk_add_f32 v[16:17], v[20:21], 1.0 op_sel_hi:[1,0]
	v_cvt_f32_f16_sdwa v21, v5 dst_sel:DWORD dst_unused:UNUSED_PAD src0_sel:WORD_1
	v_cvt_f32_f16_e32 v20, v5
	v_pk_add_f32 v[4:5], v[18:19], 1.0 op_sel_hi:[1,0]
	;;#ASMSTART
	v_pk_mul_f32 v[14:15], v[26:27], v[14:15]
	;;#ASMEND
	;;#ASMSTART
	v_pk_mul_f32 v[16:17], v[24:25], v[16:17]
	;;#ASMEND
	;; [unrolled: 3-line block ×3, first 2 shown]
	v_pk_add_f32 v[4:5], v[20:21], 1.0 op_sel_hi:[1,0]
	;;#ASMSTART
	v_pk_mul_f32 v[6:7], v[6:7], v[4:5]
	;;#ASMEND
	v_cvt_f16_f32_e32 v0, v10
	v_cvt_f16_f32_e32 v4, v11
	;; [unrolled: 1-line block ×8, first 2 shown]
	s_add_u32 s20, s14, s0
	s_addc_u32 s0, s15, s1
	s_and_b32 s21, s0, 0xffff
	v_pack_b32_f16 v2, v0, v4
	v_pack_b32_f16 v3, v5, v8
	;; [unrolled: 1-line block ×4, first 2 shown]
	buffer_store_dwordx4 v[2:5], v1, s[20:23], 0 offen
	v_cvt_f16_f32_e32 v0, v14
	v_cvt_f16_f32_e32 v2, v15
	v_cvt_f16_f32_e32 v3, v16
	v_cvt_f16_f32_e32 v4, v17
	v_cvt_f16_f32_e32 v5, v18
	v_cvt_f16_f32_e32 v8, v19
	v_cvt_f16_f32_e32 v6, v6
	v_cvt_f16_f32_e32 v7, v7
	v_pack_b32_f16 v2, v0, v2
	v_pack_b32_f16 v3, v3, v4
	;; [unrolled: 1-line block ×4, first 2 shown]
	;;#ASMSTART
	s_nop 0
	;;#ASMEND
	buffer_store_dwordx4 v[2:5], v1, s[20:23], 16 offen
	;;#ASMSTART
	s_nop 0
	;;#ASMEND
	s_endpgm
	.section	.rodata,"a",@progbits
	.p2align	6, 0x0
	.amdhsa_kernel _ZN5aiter35fused_qk_rmsnorm_group_quant_kernelIDF16_DB8_Li128ELi16ELi2ELb1ELb1ELb1ELb1ELb0ELb0EEEvPT0_PvPT_S6_S6_PKS5_S8_S8_S8_S8_ffiiiiiiiiiiiii
		.amdhsa_group_segment_fixed_size 16
		.amdhsa_private_segment_fixed_size 0
		.amdhsa_kernarg_size 400
		.amdhsa_user_sgpr_count 6
		.amdhsa_user_sgpr_private_segment_buffer 1
		.amdhsa_user_sgpr_dispatch_ptr 0
		.amdhsa_user_sgpr_queue_ptr 0
		.amdhsa_user_sgpr_kernarg_segment_ptr 1
		.amdhsa_user_sgpr_dispatch_id 0
		.amdhsa_user_sgpr_flat_scratch_init 0
		.amdhsa_user_sgpr_kernarg_preload_length 0
		.amdhsa_user_sgpr_kernarg_preload_offset 0
		.amdhsa_user_sgpr_private_segment_size 0
		.amdhsa_uses_dynamic_stack 0
		.amdhsa_system_sgpr_private_segment_wavefront_offset 0
		.amdhsa_system_sgpr_workgroup_id_x 1
		.amdhsa_system_sgpr_workgroup_id_y 1
		.amdhsa_system_sgpr_workgroup_id_z 0
		.amdhsa_system_sgpr_workgroup_info 0
		.amdhsa_system_vgpr_workitem_id 0
		.amdhsa_next_free_vgpr 49
		.amdhsa_next_free_sgpr 32
		.amdhsa_accum_offset 52
		.amdhsa_reserve_vcc 1
		.amdhsa_reserve_flat_scratch 0
		.amdhsa_float_round_mode_32 0
		.amdhsa_float_round_mode_16_64 0
		.amdhsa_float_denorm_mode_32 3
		.amdhsa_float_denorm_mode_16_64 3
		.amdhsa_dx10_clamp 1
		.amdhsa_ieee_mode 1
		.amdhsa_fp16_overflow 0
		.amdhsa_tg_split 0
		.amdhsa_exception_fp_ieee_invalid_op 0
		.amdhsa_exception_fp_denorm_src 0
		.amdhsa_exception_fp_ieee_div_zero 0
		.amdhsa_exception_fp_ieee_overflow 0
		.amdhsa_exception_fp_ieee_underflow 0
		.amdhsa_exception_fp_ieee_inexact 0
		.amdhsa_exception_int_div_zero 0
	.end_amdhsa_kernel
	.section	.text._ZN5aiter35fused_qk_rmsnorm_group_quant_kernelIDF16_DB8_Li128ELi16ELi2ELb1ELb1ELb1ELb1ELb0ELb0EEEvPT0_PvPT_S6_S6_PKS5_S8_S8_S8_S8_ffiiiiiiiiiiiii,"axG",@progbits,_ZN5aiter35fused_qk_rmsnorm_group_quant_kernelIDF16_DB8_Li128ELi16ELi2ELb1ELb1ELb1ELb1ELb0ELb0EEEvPT0_PvPT_S6_S6_PKS5_S8_S8_S8_S8_ffiiiiiiiiiiiii,comdat
.Lfunc_end697:
	.size	_ZN5aiter35fused_qk_rmsnorm_group_quant_kernelIDF16_DB8_Li128ELi16ELi2ELb1ELb1ELb1ELb1ELb0ELb0EEEvPT0_PvPT_S6_S6_PKS5_S8_S8_S8_S8_ffiiiiiiiiiiiii, .Lfunc_end697-_ZN5aiter35fused_qk_rmsnorm_group_quant_kernelIDF16_DB8_Li128ELi16ELi2ELb1ELb1ELb1ELb1ELb0ELb0EEEvPT0_PvPT_S6_S6_PKS5_S8_S8_S8_S8_ffiiiiiiiiiiiii
                                        ; -- End function
	.section	.AMDGPU.csdata,"",@progbits
; Kernel info:
; codeLenInByte = 3576
; NumSgprs: 36
; NumVgprs: 49
; NumAgprs: 0
; TotalNumVgprs: 49
; ScratchSize: 0
; MemoryBound: 0
; FloatMode: 240
; IeeeMode: 1
; LDSByteSize: 16 bytes/workgroup (compile time only)
; SGPRBlocks: 4
; VGPRBlocks: 6
; NumSGPRsForWavesPerEU: 36
; NumVGPRsForWavesPerEU: 49
; AccumOffset: 52
; Occupancy: 8
; WaveLimiterHint : 0
; COMPUTE_PGM_RSRC2:SCRATCH_EN: 0
; COMPUTE_PGM_RSRC2:USER_SGPR: 6
; COMPUTE_PGM_RSRC2:TRAP_HANDLER: 0
; COMPUTE_PGM_RSRC2:TGID_X_EN: 1
; COMPUTE_PGM_RSRC2:TGID_Y_EN: 1
; COMPUTE_PGM_RSRC2:TGID_Z_EN: 0
; COMPUTE_PGM_RSRC2:TIDIG_COMP_CNT: 0
; COMPUTE_PGM_RSRC3_GFX90A:ACCUM_OFFSET: 12
; COMPUTE_PGM_RSRC3_GFX90A:TG_SPLIT: 0
	.section	.text._ZN5aiter35fused_qk_rmsnorm_group_quant_kernelItDB8_Li128ELi16ELi2ELb1ELb1ELb1ELb1ELb0ELb0EEEvPT0_PvPT_S6_S6_PKS5_S8_S8_S8_S8_ffiiiiiiiiiiiii,"axG",@progbits,_ZN5aiter35fused_qk_rmsnorm_group_quant_kernelItDB8_Li128ELi16ELi2ELb1ELb1ELb1ELb1ELb0ELb0EEEvPT0_PvPT_S6_S6_PKS5_S8_S8_S8_S8_ffiiiiiiiiiiiii,comdat
	.protected	_ZN5aiter35fused_qk_rmsnorm_group_quant_kernelItDB8_Li128ELi16ELi2ELb1ELb1ELb1ELb1ELb0ELb0EEEvPT0_PvPT_S6_S6_PKS5_S8_S8_S8_S8_ffiiiiiiiiiiiii ; -- Begin function _ZN5aiter35fused_qk_rmsnorm_group_quant_kernelItDB8_Li128ELi16ELi2ELb1ELb1ELb1ELb1ELb0ELb0EEEvPT0_PvPT_S6_S6_PKS5_S8_S8_S8_S8_ffiiiiiiiiiiiii
	.globl	_ZN5aiter35fused_qk_rmsnorm_group_quant_kernelItDB8_Li128ELi16ELi2ELb1ELb1ELb1ELb1ELb0ELb0EEEvPT0_PvPT_S6_S6_PKS5_S8_S8_S8_S8_ffiiiiiiiiiiiii
	.p2align	8
	.type	_ZN5aiter35fused_qk_rmsnorm_group_quant_kernelItDB8_Li128ELi16ELi2ELb1ELb1ELb1ELb1ELb0ELb0EEEvPT0_PvPT_S6_S6_PKS5_S8_S8_S8_S8_ffiiiiiiiiiiiii,@function
_ZN5aiter35fused_qk_rmsnorm_group_quant_kernelItDB8_Li128ELi16ELi2ELb1ELb1ELb1ELb1ELb0ELb0EEEvPT0_PvPT_S6_S6_PKS5_S8_S8_S8_S8_ffiiiiiiiiiiiii: ; @_ZN5aiter35fused_qk_rmsnorm_group_quant_kernelItDB8_Li128ELi16ELi2ELb1ELb1ELb1ELb1ELb0ELb0EEEvPT0_PvPT_S6_S6_PKS5_S8_S8_S8_S8_ffiiiiiiiiiiiii
; %bb.0:
	s_load_dwordx8 s[12:19], s[4:5], 0x50
	s_waitcnt lgkmcnt(0)
	s_cmp_ge_i32 s6, s14
	s_cbranch_scc1 .LBB698_17
; %bb.1:
	s_cmp_lg_u32 s7, 0
	s_cselect_b64 s[22:23], -1, 0
	s_cmp_eq_u32 s7, 0
	s_cselect_b64 s[2:3], -1, 0
	s_and_b64 s[0:1], s[2:3], exec
	s_cselect_b32 s7, s15, s16
	s_load_dwordx2 s[10:11], s[4:5], 0x30
	s_load_dwordx2 s[20:21], s[4:5], 0x48
	s_add_i32 s0, s7, 1
	s_lshr_b32 s1, s0, 31
	s_add_i32 s0, s0, s1
	s_lshl_b32 s0, s0, 1
	v_lshlrev_b32_e32 v1, 4, v0
	s_and_b32 s30, s0, -4
	v_cmp_gt_i32_e64 s[0:1], s7, v1
	v_mov_b32_e32 v62, 0
	v_mov_b32_e32 v63, 0
	;; [unrolled: 1-line block ×16, first 2 shown]
	s_and_saveexec_b64 s[8:9], s[0:1]
	s_cbranch_execz .LBB698_3
; %bb.2:
	s_load_dwordx2 s[14:15], s[4:5], 0x28
	s_load_dwordx2 s[26:27], s[4:5], 0x40
	s_and_b64 s[24:25], s[2:3], exec
	s_cselect_b32 s17, s17, s18
	s_mov_b32 s31, 0x20000
	s_waitcnt lgkmcnt(0)
	s_cselect_b32 s25, s15, s11
	s_cselect_b32 s24, s14, s10
	s_mul_hi_i32 s15, s17, s6
	s_mul_i32 s14, s17, s6
	s_lshl_b64 s[14:15], s[14:15], 1
	s_add_u32 s24, s24, s14
	s_addc_u32 s17, s25, s15
	s_and_b64 s[14:15], s[2:3], exec
	s_cselect_b32 s28, s26, s20
	s_cselect_b32 s14, s27, s21
	s_and_b32 s25, s17, 0xffff
	s_mov_b32 s26, s30
	s_mov_b32 s27, s31
	v_lshlrev_b32_e32 v2, 5, v0
	s_and_b32 s29, s14, 0xffff
	buffer_load_dwordx4 v[66:69], v2, s[24:27], 0 offen
	buffer_load_dwordx4 v[70:73], v2, s[24:27], 16 offen
	;; [unrolled: 1-line block ×4, first 2 shown]
.LBB698_3:
	s_or_b64 exec, exec, s[8:9]
	s_load_dwordx4 s[24:27], s[4:5], 0x7c
	s_and_b64 vcc, exec, s[22:23]
	s_cbranch_vccz .LBB698_7
; %bb.4:
	v_mov_b32_e32 v75, 0
	v_mov_b32_e32 v74, 0
	;; [unrolled: 1-line block ×16, first 2 shown]
	s_and_saveexec_b64 s[8:9], s[0:1]
	s_cbranch_execz .LBB698_6
; %bb.5:
	s_waitcnt vmcnt(3)
	v_cvt_f32_u32_sdwa v2, v66 dst_sel:DWORD dst_unused:UNUSED_PAD src0_sel:WORD_0
	v_cvt_f32_u32_sdwa v3, v66 dst_sel:DWORD dst_unused:UNUSED_PAD src0_sel:WORD_1
	v_cvt_f32_u32_sdwa v6, v67 dst_sel:DWORD dst_unused:UNUSED_PAD src0_sel:WORD_0
	v_cvt_f32_u32_sdwa v7, v67 dst_sel:DWORD dst_unused:UNUSED_PAD src0_sel:WORD_1
	;; [unrolled: 2-line block ×4, first 2 shown]
	s_waitcnt vmcnt(2)
	v_cvt_f32_u32_sdwa v50, v70 dst_sel:DWORD dst_unused:UNUSED_PAD src0_sel:WORD_0
	v_cvt_f32_u32_sdwa v51, v70 dst_sel:DWORD dst_unused:UNUSED_PAD src0_sel:WORD_1
	v_cvt_f32_u32_sdwa v24, v71 dst_sel:DWORD dst_unused:UNUSED_PAD src0_sel:WORD_0
	v_cvt_f32_u32_sdwa v25, v71 dst_sel:DWORD dst_unused:UNUSED_PAD src0_sel:WORD_1
	;; [unrolled: 2-line block ×4, first 2 shown]
.LBB698_6:
	s_or_b64 exec, exec, s[8:9]
	s_cbranch_execz .LBB698_8
	s_branch .LBB698_11
.LBB698_7:
                                        ; implicit-def: $vgpr2_vgpr3_vgpr4_vgpr5_vgpr6_vgpr7_vgpr8_vgpr9_vgpr10_vgpr11_vgpr12_vgpr13_vgpr14_vgpr15_vgpr16_vgpr17
                                        ; implicit-def: $vgpr36_vgpr37_vgpr38_vgpr39_vgpr40_vgpr41_vgpr42_vgpr43_vgpr44_vgpr45_vgpr46_vgpr47_vgpr48_vgpr49_vgpr50_vgpr51
                                        ; implicit-def: $vgpr4_vgpr5_vgpr6_vgpr7_vgpr8_vgpr9_vgpr10_vgpr11_vgpr12_vgpr13_vgpr14_vgpr15_vgpr16_vgpr17_vgpr18_vgpr19
                                        ; implicit-def: $vgpr24_vgpr25_vgpr26_vgpr27_vgpr28_vgpr29_vgpr30_vgpr31_vgpr32_vgpr33_vgpr34_vgpr35_vgpr36_vgpr37_vgpr38_vgpr39
                                        ; implicit-def: $vgpr75
                                        ; implicit-def: $vgpr42_vgpr43_vgpr44_vgpr45_vgpr46_vgpr47_vgpr48_vgpr49_vgpr50_vgpr51_vgpr52_vgpr53_vgpr54_vgpr55_vgpr56_vgpr57
                                        ; implicit-def: $vgpr14_vgpr15_vgpr16_vgpr17_vgpr18_vgpr19_vgpr20_vgpr21_vgpr22_vgpr23_vgpr24_vgpr25_vgpr26_vgpr27_vgpr28_vgpr29
                                        ; implicit-def: $vgpr8_vgpr9_vgpr10_vgpr11_vgpr12_vgpr13_vgpr14_vgpr15_vgpr16_vgpr17_vgpr18_vgpr19_vgpr20_vgpr21_vgpr22_vgpr23
.LBB698_8:
	v_mov_b32_e32 v75, 0
	v_mov_b32_e32 v74, 0
	;; [unrolled: 1-line block ×16, first 2 shown]
	s_and_saveexec_b64 s[8:9], s[0:1]
	s_cbranch_execz .LBB698_10
; %bb.9:
	s_load_dwordx2 s[14:15], s[4:5], 0x38
	s_mul_hi_i32 s29, s19, s6
	s_mul_i32 s28, s19, s6
	s_lshl_b64 s[28:29], s[28:29], 1
	s_mov_b32 s31, 0x20000
	s_waitcnt lgkmcnt(0)
	s_add_u32 s28, s14, s28
	s_addc_u32 s14, s15, s29
	s_and_b32 s29, s14, 0xffff
	v_lshlrev_b32_e32 v38, 5, v0
	buffer_load_dwordx4 v[6:9], v38, s[28:31], 16 offen
	buffer_load_dwordx4 v[10:13], v38, s[28:31], 0 offen
	s_load_dwordx2 s[14:15], s[4:5], 0x20
	s_waitcnt vmcnt(5)
	v_cvt_f32_u32_sdwa v3, v66 dst_sel:DWORD dst_unused:UNUSED_PAD src0_sel:WORD_1
	v_cvt_f32_u32_sdwa v2, v66 dst_sel:DWORD dst_unused:UNUSED_PAD src0_sel:WORD_0
	v_cvt_f32_u32_sdwa v21, v67 dst_sel:DWORD dst_unused:UNUSED_PAD src0_sel:WORD_1
	v_cvt_f32_u32_sdwa v20, v67 dst_sel:DWORD dst_unused:UNUSED_PAD src0_sel:WORD_0
	v_cvt_f32_u32_sdwa v23, v68 dst_sel:DWORD dst_unused:UNUSED_PAD src0_sel:WORD_1
	v_cvt_f32_u32_sdwa v22, v68 dst_sel:DWORD dst_unused:UNUSED_PAD src0_sel:WORD_0
	v_cvt_f32_u32_sdwa v25, v69 dst_sel:DWORD dst_unused:UNUSED_PAD src0_sel:WORD_1
	v_cvt_f32_u32_sdwa v24, v69 dst_sel:DWORD dst_unused:UNUSED_PAD src0_sel:WORD_0
	s_waitcnt vmcnt(4)
	v_cvt_f32_u32_sdwa v5, v70 dst_sel:DWORD dst_unused:UNUSED_PAD src0_sel:WORD_1
	v_cvt_f32_u32_sdwa v4, v70 dst_sel:DWORD dst_unused:UNUSED_PAD src0_sel:WORD_0
	v_cvt_f32_u32_sdwa v15, v71 dst_sel:DWORD dst_unused:UNUSED_PAD src0_sel:WORD_1
	v_cvt_f32_u32_sdwa v14, v71 dst_sel:DWORD dst_unused:UNUSED_PAD src0_sel:WORD_0
	;; [unrolled: 2-line block ×3, first 2 shown]
	v_cvt_f32_u32_sdwa v18, v73 dst_sel:DWORD dst_unused:UNUSED_PAD src0_sel:WORD_0
	v_cvt_f32_u32_sdwa v19, v73 dst_sel:DWORD dst_unused:UNUSED_PAD src0_sel:WORD_1
	s_mul_hi_i32 s27, s26, s6
	s_mul_i32 s26, s26, s6
	s_lshl_b64 s[26:27], s[26:27], 1
	s_waitcnt lgkmcnt(0)
	s_add_u32 s28, s14, s26
	s_mov_b32 s17, 0x7060302
	s_addc_u32 s14, s15, s27
	s_and_b32 s29, s14, 0xffff
	s_waitcnt vmcnt(1)
	v_cvt_f32_u32_sdwa v27, v6 dst_sel:DWORD dst_unused:UNUSED_PAD src0_sel:WORD_1
	v_cvt_f32_u32_sdwa v26, v6 dst_sel:DWORD dst_unused:UNUSED_PAD src0_sel:WORD_0
	v_cvt_f32_u32_sdwa v29, v7 dst_sel:DWORD dst_unused:UNUSED_PAD src0_sel:WORD_1
	v_cvt_f32_u32_sdwa v28, v7 dst_sel:DWORD dst_unused:UNUSED_PAD src0_sel:WORD_0
	;; [unrolled: 2-line block ×3, first 2 shown]
	v_cvt_f32_u32_sdwa v34, v9 dst_sel:DWORD dst_unused:UNUSED_PAD src0_sel:WORD_0
	v_cvt_f32_u32_sdwa v35, v9 dst_sel:DWORD dst_unused:UNUSED_PAD src0_sel:WORD_1
	s_waitcnt vmcnt(0)
	v_cvt_f32_u32_sdwa v37, v10 dst_sel:DWORD dst_unused:UNUSED_PAD src0_sel:WORD_1
	v_cvt_f32_u32_sdwa v36, v10 dst_sel:DWORD dst_unused:UNUSED_PAD src0_sel:WORD_0
	v_cvt_f32_u32_sdwa v7, v12 dst_sel:DWORD dst_unused:UNUSED_PAD src0_sel:WORD_1
	v_cvt_f32_u32_sdwa v6, v12 dst_sel:DWORD dst_unused:UNUSED_PAD src0_sel:WORD_0
	;; [unrolled: 2-line block ×4, first 2 shown]
	v_pk_add_f32 v[40:41], v[22:23], v[6:7]
	v_pk_add_f32 v[30:31], v[24:25], v[8:9]
	;; [unrolled: 1-line block ×4, first 2 shown]
	v_perm_b32 v11, v31, v30, s17
	v_perm_b32 v10, v41, v40, s17
	;; [unrolled: 1-line block ×4, first 2 shown]
	v_pk_add_f32 v[74:75], v[18:19], v[34:35]
	v_pk_add_f32 v[20:21], v[16:17], v[32:33]
	;; [unrolled: 1-line block ×4, first 2 shown]
	buffer_store_dwordx4 v[8:11], v38, s[28:31], 0 offen
	;;#ASMSTART
	s_nop 0
	;;#ASMEND
	s_nop 0
	v_perm_b32 v11, v75, v74, s17
	v_perm_b32 v10, v21, v20, s17
	v_perm_b32 v9, v25, v24, s17
	v_perm_b32 v8, v51, v50, s17
	buffer_store_dwordx4 v[8:11], v38, s[28:31], 16 offen
	;;#ASMSTART
	s_nop 0
	;;#ASMEND
.LBB698_10:
	s_or_b64 exec, exec, s[8:9]
.LBB698_11:
	v_mul_f32_e32 v4, v3, v3
	v_fmac_f32_e32 v4, v2, v2
	v_fmac_f32_e32 v4, v6, v6
	;; [unrolled: 1-line block ×15, first 2 shown]
	s_nop 1
	v_mov_b32_dpp v5, v4 quad_perm:[1,0,3,2] row_mask:0xf bank_mask:0xf
	v_add_f32_e32 v4, v4, v5
	s_nop 1
	v_mov_b32_dpp v5, v4 quad_perm:[2,3,0,1] row_mask:0xf bank_mask:0xf
	v_add_f32_e32 v4, v4, v5
	s_nop 1
	v_mov_b32_dpp v5, v4 row_half_mirror row_mask:0xf bank_mask:0xf
	v_add_f32_e32 v4, v4, v5
	s_nop 1
	v_mov_b32_dpp v5, v4 row_mirror row_mask:0xf bank_mask:0xf
	v_add_f32_e32 v4, v4, v5
	s_nop 1
	v_mov_b32_dpp v5, v4 row_bcast:15 row_mask:0xf bank_mask:0xf
	v_add_f32_e32 v4, v4, v5
	v_and_b32_e32 v5, 63, v0
	v_cmp_eq_u32_e64 s[8:9], 63, v5
	s_nop 0
	v_mov_b32_dpp v5, v4 row_bcast:31 row_mask:0xf bank_mask:0xf
	s_and_saveexec_b64 s[14:15], s[8:9]
	s_cbranch_execz .LBB698_13
; %bb.12:
	v_add_f32_e32 v4, v4, v5
	v_lshrrev_b32_e32 v5, 4, v0
	v_and_b32_e32 v5, 60, v5
	ds_write_b32 v5, v4 offset:8
.LBB698_13:
	s_or_b64 exec, exec, s[14:15]
	v_and_b32_e32 v4, 1, v0
	v_lshlrev_b32_e32 v34, 2, v4
	s_waitcnt lgkmcnt(0)
	s_barrier
	ds_read_b32 v4, v34 offset:8
	s_load_dwordx2 s[14:15], s[4:5], 0x18
	s_waitcnt lgkmcnt(0)
	v_mov_b32_dpp v5, v4 quad_perm:[1,0,3,2] row_mask:0xf bank_mask:0xf
	s_and_saveexec_b64 s[26:27], s[0:1]
	s_cbranch_execnz .LBB698_18
; %bb.14:
	s_or_b64 exec, exec, s[26:27]
	s_mov_b64 s[2:3], -1
	s_and_b64 vcc, exec, s[22:23]
	s_cbranch_vccnz .LBB698_19
.LBB698_15:
	s_andn2_b64 vcc, exec, s[2:3]
	s_cbranch_vccz .LBB698_22
.LBB698_16:
	s_cmp_lt_i32 s16, 1
	s_cbranch_scc0 .LBB698_25
.LBB698_17:
	s_endpgm
.LBB698_18:
	v_add_f32_e32 v4, v4, v5
	v_cvt_f32_u32_e32 v5, s7
	s_waitcnt vmcnt(1)
	v_cvt_f32_u32_sdwa v15, v62 dst_sel:DWORD dst_unused:UNUSED_PAD src0_sel:WORD_1
	v_cvt_f32_u32_sdwa v14, v62 dst_sel:DWORD dst_unused:UNUSED_PAD src0_sel:WORD_0
	v_cvt_f32_u32_sdwa v23, v65 dst_sel:DWORD dst_unused:UNUSED_PAD src0_sel:WORD_1
	v_div_scale_f32 v8, s[28:29], v5, v5, v4
	v_rcp_f32_e32 v9, v8
	v_pk_add_f32 v[14:15], v[14:15], 1.0 op_sel_hi:[1,0]
	v_cvt_f32_u32_sdwa v22, v65 dst_sel:DWORD dst_unused:UNUSED_PAD src0_sel:WORD_0
	s_waitcnt vmcnt(0)
	v_cvt_f32_u32_sdwa v27, v60 dst_sel:DWORD dst_unused:UNUSED_PAD src0_sel:WORD_1
	v_fma_f32 v10, -v8, v9, 1.0
	v_fmac_f32_e32 v9, v10, v9
	v_div_scale_f32 v10, vcc, v4, v5, v4
	v_mul_f32_e32 v11, v10, v9
	v_fma_f32 v12, -v8, v11, v10
	v_fmac_f32_e32 v11, v12, v9
	v_fma_f32 v8, -v8, v11, v10
	v_div_fmas_f32 v8, v8, v9, v11
	v_div_fixup_f32 v4, v8, v5, v4
	v_mov_b32_e32 v5, s13
	v_mov_b32_e32 v8, s12
	v_cndmask_b32_e64 v5, v5, v8, s[2:3]
	v_add_f32_e32 v4, v5, v4
	s_mov_b32 s2, 0x800000
	v_mul_f32_e32 v5, 0x4b800000, v4
	v_cmp_gt_f32_e32 vcc, s2, v4
	v_cndmask_b32_e32 v4, v4, v5, vcc
	v_rsq_f32_e32 v4, v4
	v_cvt_f32_u32_sdwa v26, v60 dst_sel:DWORD dst_unused:UNUSED_PAD src0_sel:WORD_0
	v_cvt_f32_u32_sdwa v29, v61 dst_sel:DWORD dst_unused:UNUSED_PAD src0_sel:WORD_1
	v_cvt_f32_u32_sdwa v28, v61 dst_sel:DWORD dst_unused:UNUSED_PAD src0_sel:WORD_0
	v_mul_f32_e32 v5, 0x45800000, v4
	v_cndmask_b32_e32 v4, v4, v5, vcc
	v_mov_b32_e32 v5, v4
	;;#ASMSTART
	v_pk_mul_f32 v[2:3], v[2:3], v[4:5]
	;;#ASMEND
	;;#ASMSTART
	v_pk_mul_f32 v[6:7], v[6:7], v[4:5]
	;;#ASMEND
	;; [unrolled: 3-line block ×9, first 2 shown]
	v_cvt_f32_u32_sdwa v15, v63 dst_sel:DWORD dst_unused:UNUSED_PAD src0_sel:WORD_1
	v_cvt_f32_u32_sdwa v14, v63 dst_sel:DWORD dst_unused:UNUSED_PAD src0_sel:WORD_0
	v_cvt_f32_u32_sdwa v21, v64 dst_sel:DWORD dst_unused:UNUSED_PAD src0_sel:WORD_1
	v_cvt_f32_u32_sdwa v20, v64 dst_sel:DWORD dst_unused:UNUSED_PAD src0_sel:WORD_0
	v_cvt_f32_u32_sdwa v25, v59 dst_sel:DWORD dst_unused:UNUSED_PAD src0_sel:WORD_1
	v_pk_add_f32 v[14:15], v[14:15], 1.0 op_sel_hi:[1,0]
	v_cvt_f32_u32_sdwa v24, v59 dst_sel:DWORD dst_unused:UNUSED_PAD src0_sel:WORD_0
	;;#ASMSTART
	v_pk_mul_f32 v[6:7], v[6:7], v[14:15]
	;;#ASMEND
	v_pk_add_f32 v[14:15], v[20:21], 1.0 op_sel_hi:[1,0]
	v_pk_add_f32 v[20:21], v[22:23], 1.0 op_sel_hi:[1,0]
	v_cvt_f32_u32_sdwa v23, v58 dst_sel:DWORD dst_unused:UNUSED_PAD src0_sel:WORD_1
	v_cvt_f32_u32_sdwa v22, v58 dst_sel:DWORD dst_unused:UNUSED_PAD src0_sel:WORD_0
	v_pk_add_f32 v[24:25], v[24:25], 1.0 op_sel_hi:[1,0]
	v_pk_add_f32 v[26:27], v[26:27], 1.0 op_sel_hi:[1,0]
	;; [unrolled: 1-line block ×4, first 2 shown]
	;;#ASMSTART
	v_pk_mul_f32 v[40:41], v[8:9], v[14:15]
	;;#ASMEND
	;;#ASMSTART
	v_pk_mul_f32 v[30:31], v[10:11], v[20:21]
	;;#ASMEND
	;; [unrolled: 3-line block ×6, first 2 shown]
	s_or_b64 exec, exec, s[26:27]
	s_mov_b64 s[2:3], -1
	s_and_b64 vcc, exec, s[22:23]
	s_cbranch_vccz .LBB698_15
.LBB698_19:
	s_and_saveexec_b64 s[2:3], s[0:1]
	s_cbranch_execz .LBB698_21
; %bb.20:
	s_mul_hi_i32 s23, s25, s6
	s_mul_i32 s22, s25, s6
	s_lshl_b64 s[22:23], s[22:23], 1
	s_add_u32 s28, s14, s22
	s_addc_u32 s7, s15, s23
	s_and_b32 s29, s7, 0xffff
	s_mov_b32 s7, 0x7060302
	s_mov_b32 s31, 0x20000
	v_perm_b32 v11, v31, v30, s7
	v_perm_b32 v10, v41, v40, s7
	;; [unrolled: 1-line block ×4, first 2 shown]
	v_lshlrev_b32_e32 v4, 5, v0
	buffer_store_dwordx4 v[8:11], v4, s[28:31], 0 offen
	;;#ASMSTART
	s_nop 0
	;;#ASMEND
	s_nop 0
	v_perm_b32 v11, v75, v74, s7
	v_perm_b32 v10, v21, v20, s7
	;; [unrolled: 1-line block ×4, first 2 shown]
	buffer_store_dwordx4 v[8:11], v4, s[28:31], 16 offen
	;;#ASMSTART
	s_nop 0
	;;#ASMEND
.LBB698_21:
	s_or_b64 exec, exec, s[2:3]
	s_cbranch_execnz .LBB698_16
.LBB698_22:
	s_and_saveexec_b64 s[2:3], s[0:1]
	s_cbranch_execz .LBB698_24
; %bb.23:
	s_load_dwordx2 s[0:1], s[4:5], 0x10
	s_mul_hi_i32 s23, s24, s6
	s_mul_i32 s22, s24, s6
	s_lshl_b64 s[22:23], s[22:23], 1
	s_mov_b32 s7, 0x7060302
	s_waitcnt lgkmcnt(0)
	s_add_u32 s28, s0, s22
	s_addc_u32 s0, s1, s23
	v_perm_b32 v9, v31, v30, s7
	v_perm_b32 v8, v41, v40, s7
	v_perm_b32 v7, v7, v6, s7
	v_perm_b32 v6, v3, v2, s7
	s_and_b32 s29, s0, 0xffff
	s_mov_b32 s31, 0x20000
	v_lshlrev_b32_e32 v10, 5, v0
	v_perm_b32 v5, v75, v74, s7
	v_perm_b32 v4, v21, v20, s7
	;; [unrolled: 1-line block ×4, first 2 shown]
	buffer_store_dwordx4 v[6:9], v10, s[28:31], 0 offen
	;;#ASMSTART
	s_nop 0
	;;#ASMEND
	buffer_store_dwordx4 v[2:5], v10, s[28:31], 16 offen
	;;#ASMSTART
	s_nop 0
	;;#ASMEND
.LBB698_24:
	s_or_b64 exec, exec, s[2:3]
	s_cmp_lt_i32 s16, 1
	s_cbranch_scc1 .LBB698_17
.LBB698_25:
	s_load_dword s0, s[4:5], 0x94
	s_waitcnt lgkmcnt(0)
	s_cmp_lg_u32 s0, 1
	s_cbranch_scc1 .LBB698_17
; %bb.26:
	s_lshl_b32 s0, s16, 1
	s_add_i32 s0, s0, 2
	v_cmp_gt_u32_e32 vcc, s16, v1
	s_and_b32 s22, s0, -4
	v_mov_b32_e32 v18, 0
	v_lshlrev_b32_e32 v1, 5, v0
	v_mov_b32_e32 v14, 0
	v_mov_b32_e32 v15, 0
	;; [unrolled: 1-line block ×16, first 2 shown]
	s_barrier
	s_and_saveexec_b64 s[0:1], vcc
	s_cbranch_execz .LBB698_28
; %bb.27:
	s_mul_hi_i32 s3, s18, s6
	s_mul_i32 s2, s18, s6
	s_and_b32 s21, s21, 0xffff
	s_lshl_b64 s[2:3], s[2:3], 1
	s_add_u32 s28, s10, s2
	s_mov_b32 s23, 0x20000
	s_addc_u32 s2, s11, s3
	s_and_b32 s29, s2, 0xffff
	s_mov_b32 s30, s22
	s_mov_b32 s31, s23
	buffer_load_dwordx4 v[14:17], v1, s[28:31], 0 offen
	buffer_load_dwordx4 v[10:13], v1, s[28:31], 16 offen
	;; [unrolled: 1-line block ×4, first 2 shown]
.LBB698_28:
	s_or_b64 exec, exec, s[0:1]
	v_mov_b32_e32 v19, 0
	v_mov_b32_e32 v32, 0
	;; [unrolled: 1-line block ×15, first 2 shown]
	s_and_saveexec_b64 s[0:1], vcc
	s_cbranch_execz .LBB698_30
; %bb.29:
	s_waitcnt vmcnt(3)
	v_cvt_f32_u32_sdwa v18, v14 dst_sel:DWORD dst_unused:UNUSED_PAD src0_sel:WORD_0
	v_cvt_f32_u32_sdwa v19, v14 dst_sel:DWORD dst_unused:UNUSED_PAD src0_sel:WORD_1
	v_cvt_f32_u32_sdwa v32, v15 dst_sel:DWORD dst_unused:UNUSED_PAD src0_sel:WORD_0
	v_cvt_f32_u32_sdwa v33, v15 dst_sel:DWORD dst_unused:UNUSED_PAD src0_sel:WORD_1
	v_cvt_f32_u32_sdwa v30, v16 dst_sel:DWORD dst_unused:UNUSED_PAD src0_sel:WORD_0
	v_cvt_f32_u32_sdwa v31, v16 dst_sel:DWORD dst_unused:UNUSED_PAD src0_sel:WORD_1
	v_cvt_f32_u32_sdwa v28, v17 dst_sel:DWORD dst_unused:UNUSED_PAD src0_sel:WORD_0
	v_cvt_f32_u32_sdwa v29, v17 dst_sel:DWORD dst_unused:UNUSED_PAD src0_sel:WORD_1
	s_waitcnt vmcnt(2)
	v_cvt_f32_u32_sdwa v26, v10 dst_sel:DWORD dst_unused:UNUSED_PAD src0_sel:WORD_0
	v_cvt_f32_u32_sdwa v27, v10 dst_sel:DWORD dst_unused:UNUSED_PAD src0_sel:WORD_1
	v_cvt_f32_u32_sdwa v24, v11 dst_sel:DWORD dst_unused:UNUSED_PAD src0_sel:WORD_0
	v_cvt_f32_u32_sdwa v25, v11 dst_sel:DWORD dst_unused:UNUSED_PAD src0_sel:WORD_1
	;; [unrolled: 2-line block ×4, first 2 shown]
.LBB698_30:
	s_or_b64 exec, exec, s[0:1]
	s_waitcnt vmcnt(2)
	v_mul_f32_e32 v10, v19, v19
	v_fmac_f32_e32 v10, v18, v18
	v_fmac_f32_e32 v10, v32, v32
	;; [unrolled: 1-line block ×15, first 2 shown]
	s_nop 1
	v_mov_b32_dpp v11, v10 quad_perm:[1,0,3,2] row_mask:0xf bank_mask:0xf
	v_add_f32_e32 v10, v10, v11
	s_nop 1
	v_mov_b32_dpp v11, v10 quad_perm:[2,3,0,1] row_mask:0xf bank_mask:0xf
	v_add_f32_e32 v10, v10, v11
	s_nop 1
	v_mov_b32_dpp v11, v10 row_half_mirror row_mask:0xf bank_mask:0xf
	v_add_f32_e32 v10, v10, v11
	s_nop 1
	v_mov_b32_dpp v11, v10 row_mirror row_mask:0xf bank_mask:0xf
	v_add_f32_e32 v10, v10, v11
	s_nop 1
	v_mov_b32_dpp v11, v10 row_bcast:15 row_mask:0xf bank_mask:0xf
	v_add_f32_e32 v10, v10, v11
	s_nop 1
	v_mov_b32_dpp v11, v10 row_bcast:31 row_mask:0xf bank_mask:0xf
	s_and_saveexec_b64 s[0:1], s[8:9]
	s_cbranch_execz .LBB698_32
; %bb.31:
	v_lshrrev_b32_e32 v0, 4, v0
	v_add_f32_e32 v10, v10, v11
	v_and_b32_e32 v0, 60, v0
	ds_write_b32 v0, v10
.LBB698_32:
	s_or_b64 exec, exec, s[0:1]
	s_waitcnt lgkmcnt(0)
	s_barrier
	ds_read_b32 v0, v34
	s_waitcnt lgkmcnt(0)
	s_nop 0
	v_mov_b32_dpp v10, v0 quad_perm:[1,0,3,2] row_mask:0xf bank_mask:0xf
	s_and_saveexec_b64 s[0:1], vcc
	s_cbranch_execz .LBB698_17
; %bb.33:
	v_cvt_f32_u32_e32 v11, s16
	v_add_f32_e32 v0, v0, v10
	s_mov_b32 s23, 0x20000
	v_div_scale_f32 v10, s[0:1], v11, v11, v0
	v_rcp_f32_e32 v12, v10
	v_div_scale_f32 v13, vcc, v0, v11, v0
	s_mov_b32 s0, 0x800000
	v_fma_f32 v14, -v10, v12, 1.0
	v_fmac_f32_e32 v12, v14, v12
	v_mul_f32_e32 v14, v13, v12
	v_fma_f32 v15, -v10, v14, v13
	v_fmac_f32_e32 v14, v15, v12
	v_fma_f32 v10, -v10, v14, v13
	v_div_fmas_f32 v10, v10, v12, v14
	v_div_fixup_f32 v0, v10, v11, v0
	v_add_f32_e32 v0, s13, v0
	v_mul_f32_e32 v10, 0x4b800000, v0
	v_cmp_gt_f32_e32 vcc, s0, v0
	v_cndmask_b32_e32 v0, v0, v10, vcc
	v_rsq_f32_e32 v0, v0
	s_mul_hi_i32 s1, s25, s6
	s_mul_i32 s0, s25, s6
	s_lshl_b64 s[0:1], s[0:1], 1
	v_mul_f32_e32 v10, 0x45800000, v0
	v_cndmask_b32_e32 v10, v0, v10, vcc
	v_mov_b32_e32 v11, v10
	;;#ASMSTART
	v_pk_mul_f32 v[12:13], v[18:19], v[10:11]
	;;#ASMEND
	;;#ASMSTART
	v_pk_mul_f32 v[14:15], v[32:33], v[10:11]
	;;#ASMEND
	;; [unrolled: 3-line block ×4, first 2 shown]
	s_waitcnt vmcnt(1)
	v_cvt_f32_u32_sdwa v29, v6 dst_sel:DWORD dst_unused:UNUSED_PAD src0_sel:WORD_1
	v_cvt_f32_u32_sdwa v28, v6 dst_sel:DWORD dst_unused:UNUSED_PAD src0_sel:WORD_0
	v_cvt_f32_u32_sdwa v31, v7 dst_sel:DWORD dst_unused:UNUSED_PAD src0_sel:WORD_1
	v_cvt_f32_u32_sdwa v30, v7 dst_sel:DWORD dst_unused:UNUSED_PAD src0_sel:WORD_0
	;;#ASMSTART
	v_pk_mul_f32 v[26:27], v[26:27], v[10:11]
	;;#ASMEND
	;;#ASMSTART
	v_pk_mul_f32 v[24:25], v[24:25], v[10:11]
	;;#ASMEND
	;; [unrolled: 3-line block ×4, first 2 shown]
	v_cvt_f32_u32_sdwa v21, v8 dst_sel:DWORD dst_unused:UNUSED_PAD src0_sel:WORD_1
	v_cvt_f32_u32_sdwa v20, v8 dst_sel:DWORD dst_unused:UNUSED_PAD src0_sel:WORD_0
	v_pk_add_f32 v[10:11], v[28:29], 1.0 op_sel_hi:[1,0]
	;;#ASMSTART
	v_pk_mul_f32 v[10:11], v[12:13], v[10:11]
	;;#ASMEND
	v_pk_add_f32 v[12:13], v[30:31], 1.0 op_sel_hi:[1,0]
	v_cvt_f32_u32_sdwa v29, v9 dst_sel:DWORD dst_unused:UNUSED_PAD src0_sel:WORD_1
	v_cvt_f32_u32_sdwa v28, v9 dst_sel:DWORD dst_unused:UNUSED_PAD src0_sel:WORD_0
	;;#ASMSTART
	v_pk_mul_f32 v[8:9], v[14:15], v[12:13]
	;;#ASMEND
	v_pk_add_f32 v[12:13], v[20:21], 1.0 op_sel_hi:[1,0]
	;;#ASMSTART
	v_pk_mul_f32 v[12:13], v[16:17], v[12:13]
	;;#ASMEND
	s_waitcnt vmcnt(0)
	v_cvt_f32_u32_sdwa v17, v2 dst_sel:DWORD dst_unused:UNUSED_PAD src0_sel:WORD_1
	v_cvt_f32_u32_sdwa v16, v2 dst_sel:DWORD dst_unused:UNUSED_PAD src0_sel:WORD_0
	v_cvt_f32_u32_sdwa v21, v3 dst_sel:DWORD dst_unused:UNUSED_PAD src0_sel:WORD_1
	v_cvt_f32_u32_sdwa v20, v3 dst_sel:DWORD dst_unused:UNUSED_PAD src0_sel:WORD_0
	v_pk_add_f32 v[14:15], v[28:29], 1.0 op_sel_hi:[1,0]
	;;#ASMSTART
	v_pk_mul_f32 v[14:15], v[18:19], v[14:15]
	;;#ASMEND
	v_pk_add_f32 v[2:3], v[16:17], 1.0 op_sel_hi:[1,0]
	v_cvt_f32_u32_sdwa v19, v4 dst_sel:DWORD dst_unused:UNUSED_PAD src0_sel:WORD_1
	v_cvt_f32_u32_sdwa v18, v4 dst_sel:DWORD dst_unused:UNUSED_PAD src0_sel:WORD_0
	;;#ASMSTART
	v_pk_mul_f32 v[16:17], v[26:27], v[2:3]
	;;#ASMEND
	v_pk_add_f32 v[2:3], v[20:21], 1.0 op_sel_hi:[1,0]
	v_cvt_f32_u32_sdwa v21, v5 dst_sel:DWORD dst_unused:UNUSED_PAD src0_sel:WORD_1
	v_cvt_f32_u32_sdwa v20, v5 dst_sel:DWORD dst_unused:UNUSED_PAD src0_sel:WORD_0
	s_add_u32 s20, s14, s0
	;;#ASMSTART
	v_pk_mul_f32 v[24:25], v[24:25], v[2:3]
	;;#ASMEND
	v_pk_add_f32 v[2:3], v[18:19], 1.0 op_sel_hi:[1,0]
	s_addc_u32 s0, s15, s1
	;;#ASMSTART
	v_pk_mul_f32 v[18:19], v[22:23], v[2:3]
	;;#ASMEND
	v_pk_add_f32 v[2:3], v[20:21], 1.0 op_sel_hi:[1,0]
	s_and_b32 s21, s0, 0xffff
	s_mov_b32 s0, 0x7060302
	;;#ASMSTART
	v_pk_mul_f32 v[6:7], v[6:7], v[2:3]
	;;#ASMEND
	v_perm_b32 v2, v11, v10, s0
	v_perm_b32 v3, v9, v8, s0
	;; [unrolled: 1-line block ×4, first 2 shown]
	buffer_store_dwordx4 v[2:5], v1, s[20:23], 0 offen
	;;#ASMSTART
	s_nop 0
	;;#ASMEND
	s_nop 0
	v_perm_b32 v2, v17, v16, s0
	v_perm_b32 v3, v25, v24, s0
	;; [unrolled: 1-line block ×4, first 2 shown]
	buffer_store_dwordx4 v[2:5], v1, s[20:23], 16 offen
	;;#ASMSTART
	s_nop 0
	;;#ASMEND
	s_endpgm
	.section	.rodata,"a",@progbits
	.p2align	6, 0x0
	.amdhsa_kernel _ZN5aiter35fused_qk_rmsnorm_group_quant_kernelItDB8_Li128ELi16ELi2ELb1ELb1ELb1ELb1ELb0ELb0EEEvPT0_PvPT_S6_S6_PKS5_S8_S8_S8_S8_ffiiiiiiiiiiiii
		.amdhsa_group_segment_fixed_size 16
		.amdhsa_private_segment_fixed_size 0
		.amdhsa_kernarg_size 400
		.amdhsa_user_sgpr_count 6
		.amdhsa_user_sgpr_private_segment_buffer 1
		.amdhsa_user_sgpr_dispatch_ptr 0
		.amdhsa_user_sgpr_queue_ptr 0
		.amdhsa_user_sgpr_kernarg_segment_ptr 1
		.amdhsa_user_sgpr_dispatch_id 0
		.amdhsa_user_sgpr_flat_scratch_init 0
		.amdhsa_user_sgpr_kernarg_preload_length 0
		.amdhsa_user_sgpr_kernarg_preload_offset 0
		.amdhsa_user_sgpr_private_segment_size 0
		.amdhsa_uses_dynamic_stack 0
		.amdhsa_system_sgpr_private_segment_wavefront_offset 0
		.amdhsa_system_sgpr_workgroup_id_x 1
		.amdhsa_system_sgpr_workgroup_id_y 1
		.amdhsa_system_sgpr_workgroup_id_z 0
		.amdhsa_system_sgpr_workgroup_info 0
		.amdhsa_system_vgpr_workitem_id 0
		.amdhsa_next_free_vgpr 76
		.amdhsa_next_free_sgpr 32
		.amdhsa_accum_offset 76
		.amdhsa_reserve_vcc 1
		.amdhsa_reserve_flat_scratch 0
		.amdhsa_float_round_mode_32 0
		.amdhsa_float_round_mode_16_64 0
		.amdhsa_float_denorm_mode_32 3
		.amdhsa_float_denorm_mode_16_64 3
		.amdhsa_dx10_clamp 1
		.amdhsa_ieee_mode 1
		.amdhsa_fp16_overflow 0
		.amdhsa_tg_split 0
		.amdhsa_exception_fp_ieee_invalid_op 0
		.amdhsa_exception_fp_denorm_src 0
		.amdhsa_exception_fp_ieee_div_zero 0
		.amdhsa_exception_fp_ieee_overflow 0
		.amdhsa_exception_fp_ieee_underflow 0
		.amdhsa_exception_fp_ieee_inexact 0
		.amdhsa_exception_int_div_zero 0
	.end_amdhsa_kernel
	.section	.text._ZN5aiter35fused_qk_rmsnorm_group_quant_kernelItDB8_Li128ELi16ELi2ELb1ELb1ELb1ELb1ELb0ELb0EEEvPT0_PvPT_S6_S6_PKS5_S8_S8_S8_S8_ffiiiiiiiiiiiii,"axG",@progbits,_ZN5aiter35fused_qk_rmsnorm_group_quant_kernelItDB8_Li128ELi16ELi2ELb1ELb1ELb1ELb1ELb0ELb0EEEvPT0_PvPT_S6_S6_PKS5_S8_S8_S8_S8_ffiiiiiiiiiiiii,comdat
.Lfunc_end698:
	.size	_ZN5aiter35fused_qk_rmsnorm_group_quant_kernelItDB8_Li128ELi16ELi2ELb1ELb1ELb1ELb1ELb0ELb0EEEvPT0_PvPT_S6_S6_PKS5_S8_S8_S8_S8_ffiiiiiiiiiiiii, .Lfunc_end698-_ZN5aiter35fused_qk_rmsnorm_group_quant_kernelItDB8_Li128ELi16ELi2ELb1ELb1ELb1ELb1ELb0ELb0EEEvPT0_PvPT_S6_S6_PKS5_S8_S8_S8_S8_ffiiiiiiiiiiiii
                                        ; -- End function
	.section	.AMDGPU.csdata,"",@progbits
; Kernel info:
; codeLenInByte = 3536
; NumSgprs: 36
; NumVgprs: 76
; NumAgprs: 0
; TotalNumVgprs: 76
; ScratchSize: 0
; MemoryBound: 0
; FloatMode: 240
; IeeeMode: 1
; LDSByteSize: 16 bytes/workgroup (compile time only)
; SGPRBlocks: 4
; VGPRBlocks: 9
; NumSGPRsForWavesPerEU: 36
; NumVGPRsForWavesPerEU: 76
; AccumOffset: 76
; Occupancy: 6
; WaveLimiterHint : 0
; COMPUTE_PGM_RSRC2:SCRATCH_EN: 0
; COMPUTE_PGM_RSRC2:USER_SGPR: 6
; COMPUTE_PGM_RSRC2:TRAP_HANDLER: 0
; COMPUTE_PGM_RSRC2:TGID_X_EN: 1
; COMPUTE_PGM_RSRC2:TGID_Y_EN: 1
; COMPUTE_PGM_RSRC2:TGID_Z_EN: 0
; COMPUTE_PGM_RSRC2:TIDIG_COMP_CNT: 0
; COMPUTE_PGM_RSRC3_GFX90A:ACCUM_OFFSET: 18
; COMPUTE_PGM_RSRC3_GFX90A:TG_SPLIT: 0
	.section	.text._ZN5aiter35fused_qk_rmsnorm_group_quant_kernelIDF16_N4opus5fp4_tELi128ELi16ELi2ELb1ELb1ELb1ELb1ELb0ELb0EEEvPT0_PvPT_S7_S7_PKS6_S9_S9_S9_S9_ffiiiiiiiiiiiii,"axG",@progbits,_ZN5aiter35fused_qk_rmsnorm_group_quant_kernelIDF16_N4opus5fp4_tELi128ELi16ELi2ELb1ELb1ELb1ELb1ELb0ELb0EEEvPT0_PvPT_S7_S7_PKS6_S9_S9_S9_S9_ffiiiiiiiiiiiii,comdat
	.protected	_ZN5aiter35fused_qk_rmsnorm_group_quant_kernelIDF16_N4opus5fp4_tELi128ELi16ELi2ELb1ELb1ELb1ELb1ELb0ELb0EEEvPT0_PvPT_S7_S7_PKS6_S9_S9_S9_S9_ffiiiiiiiiiiiii ; -- Begin function _ZN5aiter35fused_qk_rmsnorm_group_quant_kernelIDF16_N4opus5fp4_tELi128ELi16ELi2ELb1ELb1ELb1ELb1ELb0ELb0EEEvPT0_PvPT_S7_S7_PKS6_S9_S9_S9_S9_ffiiiiiiiiiiiii
	.globl	_ZN5aiter35fused_qk_rmsnorm_group_quant_kernelIDF16_N4opus5fp4_tELi128ELi16ELi2ELb1ELb1ELb1ELb1ELb0ELb0EEEvPT0_PvPT_S7_S7_PKS6_S9_S9_S9_S9_ffiiiiiiiiiiiii
	.p2align	8
	.type	_ZN5aiter35fused_qk_rmsnorm_group_quant_kernelIDF16_N4opus5fp4_tELi128ELi16ELi2ELb1ELb1ELb1ELb1ELb0ELb0EEEvPT0_PvPT_S7_S7_PKS6_S9_S9_S9_S9_ffiiiiiiiiiiiii,@function
_ZN5aiter35fused_qk_rmsnorm_group_quant_kernelIDF16_N4opus5fp4_tELi128ELi16ELi2ELb1ELb1ELb1ELb1ELb0ELb0EEEvPT0_PvPT_S7_S7_PKS6_S9_S9_S9_S9_ffiiiiiiiiiiiii: ; @_ZN5aiter35fused_qk_rmsnorm_group_quant_kernelIDF16_N4opus5fp4_tELi128ELi16ELi2ELb1ELb1ELb1ELb1ELb0ELb0EEEvPT0_PvPT_S7_S7_PKS6_S9_S9_S9_S9_ffiiiiiiiiiiiii
; %bb.0:
	s_load_dwordx8 s[12:19], s[4:5], 0x50
	s_waitcnt lgkmcnt(0)
	s_cmp_ge_i32 s6, s14
	s_cbranch_scc1 .LBB699_17
; %bb.1:
	s_cmp_lg_u32 s7, 0
	s_cselect_b64 s[22:23], -1, 0
	s_cmp_eq_u32 s7, 0
	s_cselect_b64 s[2:3], -1, 0
	s_and_b64 s[0:1], s[2:3], exec
	s_cselect_b32 s7, s15, s16
	s_load_dwordx2 s[10:11], s[4:5], 0x30
	s_load_dwordx2 s[20:21], s[4:5], 0x48
	s_add_i32 s0, s7, 1
	s_lshr_b32 s1, s0, 31
	s_add_i32 s0, s0, s1
	s_lshl_b32 s0, s0, 1
	v_lshlrev_b32_e32 v1, 4, v0
	s_and_b32 s30, s0, -4
	v_cmp_gt_i32_e64 s[0:1], s7, v1
	v_mov_b32_e32 v6, 0
	v_mov_b32_e32 v7, 0
	v_mov_b32_e32 v8, 0
	v_mov_b32_e32 v9, 0
	v_mov_b32_e32 v2, 0
	v_mov_b32_e32 v3, 0
	v_mov_b32_e32 v4, 0
	v_mov_b32_e32 v5, 0
	v_mov_b32_e32 v10, 0
	v_mov_b32_e32 v11, 0
	v_mov_b32_e32 v12, 0
	v_mov_b32_e32 v13, 0
	v_mov_b32_e32 v14, 0
	v_mov_b32_e32 v15, 0
	v_mov_b32_e32 v16, 0
	v_mov_b32_e32 v17, 0
	s_and_saveexec_b64 s[8:9], s[0:1]
	s_cbranch_execz .LBB699_3
; %bb.2:
	s_load_dwordx2 s[14:15], s[4:5], 0x28
	s_load_dwordx2 s[26:27], s[4:5], 0x40
	s_and_b64 s[24:25], s[2:3], exec
	s_cselect_b32 s17, s17, s18
	s_mov_b32 s31, 0x20000
	s_waitcnt lgkmcnt(0)
	s_cselect_b32 s25, s15, s11
	s_cselect_b32 s24, s14, s10
	s_mul_hi_i32 s15, s17, s6
	s_mul_i32 s14, s17, s6
	s_lshl_b64 s[14:15], s[14:15], 1
	s_add_u32 s24, s24, s14
	s_addc_u32 s17, s25, s15
	s_and_b64 s[14:15], s[2:3], exec
	s_cselect_b32 s28, s26, s20
	s_cselect_b32 s14, s27, s21
	s_and_b32 s25, s17, 0xffff
	s_mov_b32 s26, s30
	s_mov_b32 s27, s31
	v_lshlrev_b32_e32 v18, 5, v0
	s_and_b32 s29, s14, 0xffff
	buffer_load_dwordx4 v[10:13], v18, s[24:27], 0 offen
	buffer_load_dwordx4 v[14:17], v18, s[24:27], 16 offen
	;; [unrolled: 1-line block ×4, first 2 shown]
.LBB699_3:
	s_or_b64 exec, exec, s[8:9]
	s_load_dwordx4 s[24:27], s[4:5], 0x7c
	s_and_b64 vcc, exec, s[22:23]
	s_cbranch_vccz .LBB699_7
; %bb.4:
	v_mov_b32_e32 v19, 0
	v_mov_b32_e32 v18, 0
	;; [unrolled: 1-line block ×16, first 2 shown]
	s_and_saveexec_b64 s[8:9], s[0:1]
	s_cbranch_execz .LBB699_6
; %bb.5:
	s_waitcnt vmcnt(3)
	v_cvt_f32_f16_sdwa v27, v10 dst_sel:DWORD dst_unused:UNUSED_PAD src0_sel:WORD_1
	v_cvt_f32_f16_e32 v26, v10
	v_cvt_f32_f16_sdwa v31, v11 dst_sel:DWORD dst_unused:UNUSED_PAD src0_sel:WORD_1
	v_cvt_f32_f16_e32 v30, v11
	;; [unrolled: 2-line block ×4, first 2 shown]
	s_waitcnt vmcnt(2)
	v_cvt_f32_f16_sdwa v21, v14 dst_sel:DWORD dst_unused:UNUSED_PAD src0_sel:WORD_1
	v_cvt_f32_f16_e32 v20, v14
	v_cvt_f32_f16_sdwa v25, v15 dst_sel:DWORD dst_unused:UNUSED_PAD src0_sel:WORD_1
	v_cvt_f32_f16_e32 v24, v15
	;; [unrolled: 2-line block ×4, first 2 shown]
.LBB699_6:
	s_or_b64 exec, exec, s[8:9]
	s_cbranch_execz .LBB699_8
	s_branch .LBB699_11
.LBB699_7:
                                        ; implicit-def: $vgpr19
                                        ; implicit-def: $vgpr23
                                        ; implicit-def: $vgpr25
                                        ; implicit-def: $vgpr21
                                        ; implicit-def: $vgpr33
                                        ; implicit-def: $vgpr29
                                        ; implicit-def: $vgpr31
                                        ; implicit-def: $vgpr27
.LBB699_8:
	v_mov_b32_e32 v19, 0
	v_mov_b32_e32 v18, 0
	;; [unrolled: 1-line block ×16, first 2 shown]
	s_and_saveexec_b64 s[8:9], s[0:1]
	s_cbranch_execz .LBB699_10
; %bb.9:
	s_load_dwordx2 s[14:15], s[4:5], 0x38
	s_mul_hi_i32 s29, s19, s6
	s_mul_i32 s28, s19, s6
	s_lshl_b64 s[28:29], s[28:29], 1
	s_mov_b32 s31, 0x20000
	s_waitcnt lgkmcnt(0)
	s_add_u32 s28, s14, s28
	s_addc_u32 s14, s15, s29
	s_and_b32 s29, s14, 0xffff
	v_lshlrev_b32_e32 v48, 5, v0
	buffer_load_dwordx4 v[18:21], v48, s[28:31], 16 offen
	buffer_load_dwordx4 v[22:25], v48, s[28:31], 0 offen
	s_waitcnt vmcnt(4)
	v_cvt_f32_f16_sdwa v27, v14 dst_sel:DWORD dst_unused:UNUSED_PAD src0_sel:WORD_1
	v_cvt_f32_f16_e32 v26, v14
	v_cvt_f32_f16_sdwa v29, v15 dst_sel:DWORD dst_unused:UNUSED_PAD src0_sel:WORD_1
	v_cvt_f32_f16_e32 v28, v15
	v_cvt_f32_f16_sdwa v15, v16 dst_sel:DWORD dst_unused:UNUSED_PAD src0_sel:WORD_1
	v_cvt_f32_f16_e32 v14, v16
	v_cvt_f32_f16_sdwa v31, v17 dst_sel:DWORD dst_unused:UNUSED_PAD src0_sel:WORD_1
	v_cvt_f32_f16_e32 v30, v17
	v_cvt_f32_f16_sdwa v17, v10 dst_sel:DWORD dst_unused:UNUSED_PAD src0_sel:WORD_1
	v_cvt_f32_f16_e32 v16, v10
	v_cvt_f32_f16_sdwa v33, v11 dst_sel:DWORD dst_unused:UNUSED_PAD src0_sel:WORD_1
	v_cvt_f32_f16_e32 v32, v11
	v_cvt_f32_f16_sdwa v11, v12 dst_sel:DWORD dst_unused:UNUSED_PAD src0_sel:WORD_1
	v_cvt_f32_f16_e32 v10, v12
	v_cvt_f32_f16_sdwa v35, v13 dst_sel:DWORD dst_unused:UNUSED_PAD src0_sel:WORD_1
	v_cvt_f32_f16_e32 v34, v13
	s_load_dwordx2 s[14:15], s[4:5], 0x20
	s_mul_hi_i32 s27, s26, s6
	s_mul_i32 s26, s26, s6
	s_lshl_b64 s[26:27], s[26:27], 1
	s_waitcnt lgkmcnt(0)
	s_add_u32 s28, s14, s26
	s_addc_u32 s14, s15, s27
	s_and_b32 s29, s14, 0xffff
	s_waitcnt vmcnt(1)
	v_cvt_f32_f16_e32 v12, v18
	v_cvt_f32_f16_sdwa v13, v18 dst_sel:DWORD dst_unused:UNUSED_PAD src0_sel:WORD_1
	v_cvt_f32_f16_e32 v18, v19
	v_cvt_f32_f16_sdwa v19, v19 dst_sel:DWORD dst_unused:UNUSED_PAD src0_sel:WORD_1
	;; [unrolled: 2-line block ×4, first 2 shown]
	s_waitcnt vmcnt(0)
	v_cvt_f32_f16_e32 v40, v22
	v_cvt_f32_f16_sdwa v41, v22 dst_sel:DWORD dst_unused:UNUSED_PAD src0_sel:WORD_1
	v_cvt_f32_f16_e32 v42, v23
	v_cvt_f32_f16_sdwa v43, v23 dst_sel:DWORD dst_unused:UNUSED_PAD src0_sel:WORD_1
	;; [unrolled: 2-line block ×4, first 2 shown]
	v_pk_add_f32 v[20:21], v[26:27], v[12:13]
	v_pk_add_f32 v[24:25], v[28:29], v[18:19]
	;; [unrolled: 1-line block ×8, first 2 shown]
	v_cvt_f16_f32_e32 v10, v27
	v_cvt_f16_f32_e32 v14, v26
	;; [unrolled: 1-line block ×16, first 2 shown]
	v_pack_b32_f16 v13, v17, v13
	v_pack_b32_f16 v12, v16, v12
	;; [unrolled: 1-line block ×8, first 2 shown]
	buffer_store_dwordx4 v[10:13], v48, s[28:31], 0 offen
	;;#ASMSTART
	s_nop 0
	;;#ASMEND
	buffer_store_dwordx4 v[14:17], v48, s[28:31], 16 offen
	;;#ASMSTART
	s_nop 0
	;;#ASMEND
.LBB699_10:
	s_or_b64 exec, exec, s[8:9]
.LBB699_11:
	s_waitcnt vmcnt(3)
	v_mul_f32_e32 v10, v27, v27
	v_fmac_f32_e32 v10, v26, v26
	v_fmac_f32_e32 v10, v30, v30
	;; [unrolled: 1-line block ×15, first 2 shown]
	v_and_b32_e32 v12, 63, v0
	v_cmp_eq_u32_e64 s[8:9], 63, v12
	v_mov_b32_dpp v11, v10 quad_perm:[1,0,3,2] row_mask:0xf bank_mask:0xf
	v_add_f32_e32 v10, v10, v11
	s_nop 1
	v_mov_b32_dpp v11, v10 quad_perm:[2,3,0,1] row_mask:0xf bank_mask:0xf
	v_add_f32_e32 v10, v10, v11
	s_nop 1
	v_mov_b32_dpp v11, v10 row_half_mirror row_mask:0xf bank_mask:0xf
	v_add_f32_e32 v10, v10, v11
	s_nop 1
	v_mov_b32_dpp v11, v10 row_mirror row_mask:0xf bank_mask:0xf
	v_add_f32_e32 v10, v10, v11
	s_nop 1
	v_mov_b32_dpp v11, v10 row_bcast:15 row_mask:0xf bank_mask:0xf
	v_add_f32_e32 v10, v10, v11
	s_nop 1
	v_mov_b32_dpp v11, v10 row_bcast:31 row_mask:0xf bank_mask:0xf
	s_and_saveexec_b64 s[14:15], s[8:9]
	s_cbranch_execz .LBB699_13
; %bb.12:
	v_add_f32_e32 v10, v10, v11
	v_lshrrev_b32_e32 v11, 4, v0
	v_and_b32_e32 v11, 60, v11
	ds_write_b32 v11, v10 offset:8
.LBB699_13:
	s_or_b64 exec, exec, s[14:15]
	v_and_b32_e32 v10, 1, v0
	v_lshlrev_b32_e32 v34, 2, v10
	s_waitcnt lgkmcnt(0)
	s_barrier
	ds_read_b32 v10, v34 offset:8
	s_load_dwordx2 s[14:15], s[4:5], 0x18
	s_waitcnt lgkmcnt(0)
	v_mov_b32_dpp v11, v10 quad_perm:[1,0,3,2] row_mask:0xf bank_mask:0xf
	s_and_saveexec_b64 s[26:27], s[0:1]
	s_cbranch_execnz .LBB699_18
; %bb.14:
	s_or_b64 exec, exec, s[26:27]
	s_mov_b64 s[2:3], -1
	s_and_b64 vcc, exec, s[22:23]
	s_cbranch_vccnz .LBB699_19
.LBB699_15:
	s_andn2_b64 vcc, exec, s[2:3]
	s_cbranch_vccz .LBB699_22
.LBB699_16:
	s_cmp_lt_i32 s16, 1
	s_cbranch_scc0 .LBB699_25
.LBB699_17:
	s_endpgm
.LBB699_18:
	v_cvt_f32_u32_e32 v12, s7
	v_add_f32_e32 v10, v10, v11
	s_waitcnt vmcnt(2)
	v_mov_b32_e32 v14, s13
	v_mov_b32_e32 v15, s12
	v_div_scale_f32 v11, s[28:29], v12, v12, v10
	v_rcp_f32_e32 v13, v11
	v_cndmask_b32_e64 v14, v14, v15, s[2:3]
	s_mov_b32 s2, 0x800000
	v_fma_f32 v15, -v11, v13, 1.0
	v_fmac_f32_e32 v13, v15, v13
	v_div_scale_f32 v15, vcc, v10, v12, v10
	v_mul_f32_e32 v16, v15, v13
	v_fma_f32 v17, -v11, v16, v15
	v_fmac_f32_e32 v16, v17, v13
	v_fma_f32 v11, -v11, v16, v15
	v_div_fmas_f32 v11, v11, v13, v16
	v_div_fixup_f32 v10, v11, v12, v10
	v_add_f32_e32 v10, v14, v10
	v_mul_f32_e32 v11, 0x4b800000, v10
	v_cmp_gt_f32_e32 vcc, s2, v10
	v_cndmask_b32_e32 v10, v10, v11, vcc
	v_rsq_f32_e32 v10, v10
	v_mul_f32_e32 v11, 0x45800000, v10
	v_cndmask_b32_e32 v10, v10, v11, vcc
	v_mov_b32_e32 v11, v10
	;;#ASMSTART
	v_pk_mul_f32 v[12:13], v[26:27], v[10:11]
	;;#ASMEND
	s_waitcnt vmcnt(1)
	v_cvt_f32_f16_sdwa v27, v6 dst_sel:DWORD dst_unused:UNUSED_PAD src0_sel:WORD_1
	v_cvt_f32_f16_e32 v26, v6
	;;#ASMSTART
	v_pk_mul_f32 v[14:15], v[30:31], v[10:11]
	;;#ASMEND
	;;#ASMSTART
	v_pk_mul_f32 v[16:17], v[28:29], v[10:11]
	;;#ASMEND
	v_cvt_f32_f16_sdwa v29, v7 dst_sel:DWORD dst_unused:UNUSED_PAD src0_sel:WORD_1
	v_cvt_f32_f16_e32 v28, v7
	;;#ASMSTART
	v_pk_mul_f32 v[32:33], v[32:33], v[10:11]
	;;#ASMEND
	;;#ASMSTART
	v_pk_mul_f32 v[20:21], v[20:21], v[10:11]
	;;#ASMEND
	;; [unrolled: 3-line block ×5, first 2 shown]
	v_pk_add_f32 v[10:11], v[26:27], 1.0 op_sel_hi:[1,0]
	;;#ASMSTART
	v_pk_mul_f32 v[26:27], v[12:13], v[10:11]
	;;#ASMEND
	v_cvt_f32_f16_sdwa v13, v8 dst_sel:DWORD dst_unused:UNUSED_PAD src0_sel:WORD_1
	v_cvt_f32_f16_e32 v12, v8
	v_cvt_f32_f16_sdwa v19, v9 dst_sel:DWORD dst_unused:UNUSED_PAD src0_sel:WORD_1
	v_cvt_f32_f16_e32 v18, v9
	v_pk_add_f32 v[10:11], v[28:29], 1.0 op_sel_hi:[1,0]
	;;#ASMSTART
	v_pk_mul_f32 v[30:31], v[14:15], v[10:11]
	;;#ASMEND
	s_waitcnt vmcnt(0)
	v_cvt_f32_f16_sdwa v11, v2 dst_sel:DWORD dst_unused:UNUSED_PAD src0_sel:WORD_1
	v_cvt_f32_f16_e32 v10, v2
	v_pk_add_f32 v[8:9], v[12:13], 1.0 op_sel_hi:[1,0]
	;;#ASMSTART
	v_pk_mul_f32 v[28:29], v[16:17], v[8:9]
	;;#ASMEND
	v_pk_add_f32 v[8:9], v[18:19], 1.0 op_sel_hi:[1,0]
	v_cvt_f32_f16_sdwa v13, v3 dst_sel:DWORD dst_unused:UNUSED_PAD src0_sel:WORD_1
	v_cvt_f32_f16_e32 v12, v3
	;;#ASMSTART
	v_pk_mul_f32 v[32:33], v[32:33], v[8:9]
	;;#ASMEND
	v_cvt_f32_f16_sdwa v9, v4 dst_sel:DWORD dst_unused:UNUSED_PAD src0_sel:WORD_1
	v_cvt_f32_f16_e32 v8, v4
	v_pk_add_f32 v[2:3], v[10:11], 1.0 op_sel_hi:[1,0]
	v_cvt_f32_f16_sdwa v11, v5 dst_sel:DWORD dst_unused:UNUSED_PAD src0_sel:WORD_1
	v_cvt_f32_f16_e32 v10, v5
	;;#ASMSTART
	v_pk_mul_f32 v[20:21], v[20:21], v[2:3]
	;;#ASMEND
	v_pk_add_f32 v[2:3], v[12:13], 1.0 op_sel_hi:[1,0]
	;;#ASMSTART
	v_pk_mul_f32 v[24:25], v[24:25], v[2:3]
	;;#ASMEND
	v_pk_add_f32 v[2:3], v[8:9], 1.0 op_sel_hi:[1,0]
	;; [unrolled: 4-line block ×3, first 2 shown]
	;;#ASMSTART
	v_pk_mul_f32 v[18:19], v[6:7], v[2:3]
	;;#ASMEND
	s_or_b64 exec, exec, s[26:27]
	s_mov_b64 s[2:3], -1
	s_and_b64 vcc, exec, s[22:23]
	s_cbranch_vccz .LBB699_15
.LBB699_19:
	s_and_saveexec_b64 s[2:3], s[0:1]
	s_cbranch_execz .LBB699_21
; %bb.20:
	s_mul_hi_i32 s23, s25, s6
	s_mul_i32 s22, s25, s6
	s_waitcnt vmcnt(0)
	v_cvt_f16_f32_e32 v2, v26
	v_cvt_f16_f32_e32 v3, v30
	;; [unrolled: 1-line block ×8, first 2 shown]
	s_lshl_b64 s[22:23], s[22:23], 1
	s_add_u32 s28, s14, s22
	s_addc_u32 s7, s15, s23
	s_and_b32 s29, s7, 0xffff
	s_mov_b32 s31, 0x20000
	v_pack_b32_f16 v5, v5, v6
	v_pack_b32_f16 v4, v4, v7
	;; [unrolled: 1-line block ×4, first 2 shown]
	v_lshlrev_b32_e32 v6, 5, v0
	buffer_store_dwordx4 v[2:5], v6, s[28:31], 0 offen
	v_cvt_f16_f32_e32 v7, v19
	v_cvt_f16_f32_e32 v2, v20
	;; [unrolled: 1-line block ×8, first 2 shown]
	v_pack_b32_f16 v5, v5, v7
	v_pack_b32_f16 v4, v4, v8
	;; [unrolled: 1-line block ×4, first 2 shown]
	;;#ASMSTART
	s_nop 0
	;;#ASMEND
	buffer_store_dwordx4 v[2:5], v6, s[28:31], 16 offen
	;;#ASMSTART
	s_nop 0
	;;#ASMEND
.LBB699_21:
	s_or_b64 exec, exec, s[2:3]
	s_cbranch_execnz .LBB699_16
.LBB699_22:
	s_and_saveexec_b64 s[2:3], s[0:1]
	s_cbranch_execz .LBB699_24
; %bb.23:
	s_load_dwordx2 s[0:1], s[4:5], 0x10
	s_mul_hi_i32 s23, s24, s6
	s_mul_i32 s22, s24, s6
	s_waitcnt vmcnt(0)
	v_cvt_f16_f32_e32 v2, v26
	v_cvt_f16_f32_e32 v3, v30
	;; [unrolled: 1-line block ×8, first 2 shown]
	s_lshl_b64 s[22:23], s[22:23], 1
	s_waitcnt lgkmcnt(0)
	s_add_u32 s28, s0, s22
	s_addc_u32 s0, s1, s23
	s_mov_b32 s31, 0x20000
	s_and_b32 s29, s0, 0xffff
	v_pack_b32_f16 v5, v5, v6
	v_pack_b32_f16 v4, v4, v7
	v_pack_b32_f16 v3, v3, v8
	v_pack_b32_f16 v2, v2, v9
	v_lshlrev_b32_e32 v6, 5, v0
	buffer_store_dwordx4 v[2:5], v6, s[28:31], 0 offen
	v_cvt_f16_f32_e32 v7, v19
	v_cvt_f16_f32_e32 v2, v20
	;; [unrolled: 1-line block ×8, first 2 shown]
	v_pack_b32_f16 v5, v5, v7
	v_pack_b32_f16 v4, v4, v8
	v_pack_b32_f16 v3, v3, v9
	v_pack_b32_f16 v2, v2, v10
	;;#ASMSTART
	s_nop 0
	;;#ASMEND
	buffer_store_dwordx4 v[2:5], v6, s[28:31], 16 offen
	;;#ASMSTART
	s_nop 0
	;;#ASMEND
.LBB699_24:
	s_or_b64 exec, exec, s[2:3]
	s_cmp_lt_i32 s16, 1
	s_cbranch_scc1 .LBB699_17
.LBB699_25:
	s_load_dword s0, s[4:5], 0x94
	s_waitcnt lgkmcnt(0)
	s_cmp_lg_u32 s0, 1
	s_cbranch_scc1 .LBB699_17
; %bb.26:
	s_lshl_b32 s0, s16, 1
	s_add_i32 s0, s0, 2
	v_cmp_gt_u32_e32 vcc, s16, v1
	s_and_b32 s22, s0, -4
	v_mov_b32_e32 v18, 0
	v_lshlrev_b32_e32 v1, 5, v0
	s_waitcnt vmcnt(2)
	v_mov_b32_e32 v14, 0
	v_mov_b32_e32 v15, 0
	;; [unrolled: 1-line block ×8, first 2 shown]
	s_waitcnt vmcnt(1)
	v_mov_b32_e32 v6, 0
	v_mov_b32_e32 v7, 0
	;; [unrolled: 1-line block ×4, first 2 shown]
	s_waitcnt vmcnt(0)
	v_mov_b32_e32 v2, 0
	v_mov_b32_e32 v3, 0
	v_mov_b32_e32 v4, 0
	v_mov_b32_e32 v5, 0
	s_barrier
	s_and_saveexec_b64 s[0:1], vcc
	s_cbranch_execz .LBB699_28
; %bb.27:
	s_mul_hi_i32 s3, s18, s6
	s_mul_i32 s2, s18, s6
	s_and_b32 s21, s21, 0xffff
	s_lshl_b64 s[2:3], s[2:3], 1
	s_add_u32 s28, s10, s2
	s_mov_b32 s23, 0x20000
	s_addc_u32 s2, s11, s3
	s_and_b32 s29, s2, 0xffff
	s_mov_b32 s30, s22
	s_mov_b32 s31, s23
	buffer_load_dwordx4 v[14:17], v1, s[28:31], 0 offen
	buffer_load_dwordx4 v[10:13], v1, s[28:31], 16 offen
	;; [unrolled: 1-line block ×4, first 2 shown]
.LBB699_28:
	s_or_b64 exec, exec, s[0:1]
	v_mov_b32_e32 v19, 0
	v_mov_b32_e32 v32, 0
	;; [unrolled: 1-line block ×15, first 2 shown]
	s_and_saveexec_b64 s[0:1], vcc
	s_cbranch_execz .LBB699_30
; %bb.29:
	s_waitcnt vmcnt(3)
	v_cvt_f32_f16_sdwa v19, v14 dst_sel:DWORD dst_unused:UNUSED_PAD src0_sel:WORD_1
	v_cvt_f32_f16_e32 v18, v14
	v_cvt_f32_f16_sdwa v33, v15 dst_sel:DWORD dst_unused:UNUSED_PAD src0_sel:WORD_1
	v_cvt_f32_f16_e32 v32, v15
	;; [unrolled: 2-line block ×4, first 2 shown]
	s_waitcnt vmcnt(2)
	v_cvt_f32_f16_sdwa v27, v10 dst_sel:DWORD dst_unused:UNUSED_PAD src0_sel:WORD_1
	v_cvt_f32_f16_e32 v26, v10
	v_cvt_f32_f16_sdwa v25, v11 dst_sel:DWORD dst_unused:UNUSED_PAD src0_sel:WORD_1
	v_cvt_f32_f16_e32 v24, v11
	;; [unrolled: 2-line block ×4, first 2 shown]
.LBB699_30:
	s_or_b64 exec, exec, s[0:1]
	s_waitcnt vmcnt(2)
	v_mul_f32_e32 v10, v19, v19
	v_fmac_f32_e32 v10, v18, v18
	v_fmac_f32_e32 v10, v32, v32
	;; [unrolled: 1-line block ×15, first 2 shown]
	s_nop 1
	v_mov_b32_dpp v11, v10 quad_perm:[1,0,3,2] row_mask:0xf bank_mask:0xf
	v_add_f32_e32 v10, v10, v11
	s_nop 1
	v_mov_b32_dpp v11, v10 quad_perm:[2,3,0,1] row_mask:0xf bank_mask:0xf
	v_add_f32_e32 v10, v10, v11
	s_nop 1
	v_mov_b32_dpp v11, v10 row_half_mirror row_mask:0xf bank_mask:0xf
	v_add_f32_e32 v10, v10, v11
	s_nop 1
	v_mov_b32_dpp v11, v10 row_mirror row_mask:0xf bank_mask:0xf
	v_add_f32_e32 v10, v10, v11
	s_nop 1
	v_mov_b32_dpp v11, v10 row_bcast:15 row_mask:0xf bank_mask:0xf
	v_add_f32_e32 v10, v10, v11
	s_nop 1
	v_mov_b32_dpp v11, v10 row_bcast:31 row_mask:0xf bank_mask:0xf
	s_and_saveexec_b64 s[0:1], s[8:9]
	s_cbranch_execz .LBB699_32
; %bb.31:
	v_lshrrev_b32_e32 v0, 4, v0
	v_add_f32_e32 v10, v10, v11
	v_and_b32_e32 v0, 60, v0
	ds_write_b32 v0, v10
.LBB699_32:
	s_or_b64 exec, exec, s[0:1]
	s_waitcnt lgkmcnt(0)
	s_barrier
	ds_read_b32 v0, v34
	s_waitcnt lgkmcnt(0)
	s_nop 0
	v_mov_b32_dpp v10, v0 quad_perm:[1,0,3,2] row_mask:0xf bank_mask:0xf
	s_and_saveexec_b64 s[0:1], vcc
	s_cbranch_execz .LBB699_17
; %bb.33:
	v_cvt_f32_u32_e32 v11, s16
	v_add_f32_e32 v0, v0, v10
	s_mov_b32 s23, 0x20000
	v_div_scale_f32 v10, s[0:1], v11, v11, v0
	v_rcp_f32_e32 v12, v10
	v_div_scale_f32 v13, vcc, v0, v11, v0
	s_mov_b32 s0, 0x800000
	v_fma_f32 v14, -v10, v12, 1.0
	v_fmac_f32_e32 v12, v14, v12
	v_mul_f32_e32 v14, v13, v12
	v_fma_f32 v15, -v10, v14, v13
	v_fmac_f32_e32 v14, v15, v12
	v_fma_f32 v10, -v10, v14, v13
	v_div_fmas_f32 v10, v10, v12, v14
	v_div_fixup_f32 v0, v10, v11, v0
	v_add_f32_e32 v0, s13, v0
	v_mul_f32_e32 v10, 0x4b800000, v0
	v_cmp_gt_f32_e32 vcc, s0, v0
	v_cndmask_b32_e32 v0, v0, v10, vcc
	v_rsq_f32_e32 v0, v0
	s_mul_hi_i32 s1, s25, s6
	s_mul_i32 s0, s25, s6
	s_lshl_b64 s[0:1], s[0:1], 1
	v_mul_f32_e32 v10, 0x45800000, v0
	v_cndmask_b32_e32 v10, v0, v10, vcc
	v_mov_b32_e32 v11, v10
	;;#ASMSTART
	v_pk_mul_f32 v[12:13], v[18:19], v[10:11]
	;;#ASMEND
	;;#ASMSTART
	v_pk_mul_f32 v[14:15], v[32:33], v[10:11]
	;;#ASMEND
	;; [unrolled: 3-line block ×4, first 2 shown]
	s_waitcnt vmcnt(1)
	v_cvt_f32_f16_sdwa v29, v6 dst_sel:DWORD dst_unused:UNUSED_PAD src0_sel:WORD_1
	v_cvt_f32_f16_e32 v28, v6
	v_cvt_f32_f16_sdwa v31, v7 dst_sel:DWORD dst_unused:UNUSED_PAD src0_sel:WORD_1
	v_cvt_f32_f16_e32 v30, v7
	;;#ASMSTART
	v_pk_mul_f32 v[26:27], v[26:27], v[10:11]
	;;#ASMEND
	;;#ASMSTART
	v_pk_mul_f32 v[24:25], v[24:25], v[10:11]
	;;#ASMEND
	;; [unrolled: 3-line block ×4, first 2 shown]
	v_cvt_f32_f16_sdwa v21, v8 dst_sel:DWORD dst_unused:UNUSED_PAD src0_sel:WORD_1
	v_cvt_f32_f16_e32 v20, v8
	v_pk_add_f32 v[10:11], v[28:29], 1.0 op_sel_hi:[1,0]
	;;#ASMSTART
	v_pk_mul_f32 v[10:11], v[12:13], v[10:11]
	;;#ASMEND
	v_pk_add_f32 v[12:13], v[30:31], 1.0 op_sel_hi:[1,0]
	v_cvt_f32_f16_sdwa v29, v9 dst_sel:DWORD dst_unused:UNUSED_PAD src0_sel:WORD_1
	v_cvt_f32_f16_e32 v28, v9
	;;#ASMSTART
	v_pk_mul_f32 v[8:9], v[14:15], v[12:13]
	;;#ASMEND
	v_pk_add_f32 v[12:13], v[20:21], 1.0 op_sel_hi:[1,0]
	;;#ASMSTART
	v_pk_mul_f32 v[12:13], v[16:17], v[12:13]
	;;#ASMEND
	s_waitcnt vmcnt(0)
	v_cvt_f32_f16_sdwa v17, v2 dst_sel:DWORD dst_unused:UNUSED_PAD src0_sel:WORD_1
	v_cvt_f32_f16_e32 v16, v2
	v_cvt_f32_f16_sdwa v21, v3 dst_sel:DWORD dst_unused:UNUSED_PAD src0_sel:WORD_1
	v_cvt_f32_f16_e32 v20, v3
	v_pk_add_f32 v[14:15], v[28:29], 1.0 op_sel_hi:[1,0]
	;;#ASMSTART
	v_pk_mul_f32 v[2:3], v[18:19], v[14:15]
	;;#ASMEND
	v_cvt_f32_f16_sdwa v19, v4 dst_sel:DWORD dst_unused:UNUSED_PAD src0_sel:WORD_1
	v_cvt_f32_f16_e32 v18, v4
	v_pk_add_f32 v[14:15], v[16:17], 1.0 op_sel_hi:[1,0]
	v_pk_add_f32 v[16:17], v[20:21], 1.0 op_sel_hi:[1,0]
	v_cvt_f32_f16_sdwa v21, v5 dst_sel:DWORD dst_unused:UNUSED_PAD src0_sel:WORD_1
	v_cvt_f32_f16_e32 v20, v5
	v_pk_add_f32 v[4:5], v[18:19], 1.0 op_sel_hi:[1,0]
	;;#ASMSTART
	v_pk_mul_f32 v[14:15], v[26:27], v[14:15]
	;;#ASMEND
	;;#ASMSTART
	v_pk_mul_f32 v[16:17], v[24:25], v[16:17]
	;;#ASMEND
	;; [unrolled: 3-line block ×3, first 2 shown]
	v_pk_add_f32 v[4:5], v[20:21], 1.0 op_sel_hi:[1,0]
	;;#ASMSTART
	v_pk_mul_f32 v[6:7], v[6:7], v[4:5]
	;;#ASMEND
	v_cvt_f16_f32_e32 v0, v10
	v_cvt_f16_f32_e32 v4, v11
	;; [unrolled: 1-line block ×8, first 2 shown]
	s_add_u32 s20, s14, s0
	s_addc_u32 s0, s15, s1
	s_and_b32 s21, s0, 0xffff
	v_pack_b32_f16 v2, v0, v4
	v_pack_b32_f16 v3, v5, v8
	;; [unrolled: 1-line block ×4, first 2 shown]
	buffer_store_dwordx4 v[2:5], v1, s[20:23], 0 offen
	v_cvt_f16_f32_e32 v0, v14
	v_cvt_f16_f32_e32 v2, v15
	;; [unrolled: 1-line block ×8, first 2 shown]
	v_pack_b32_f16 v2, v0, v2
	v_pack_b32_f16 v3, v3, v4
	;; [unrolled: 1-line block ×4, first 2 shown]
	;;#ASMSTART
	s_nop 0
	;;#ASMEND
	buffer_store_dwordx4 v[2:5], v1, s[20:23], 16 offen
	;;#ASMSTART
	s_nop 0
	;;#ASMEND
	s_endpgm
	.section	.rodata,"a",@progbits
	.p2align	6, 0x0
	.amdhsa_kernel _ZN5aiter35fused_qk_rmsnorm_group_quant_kernelIDF16_N4opus5fp4_tELi128ELi16ELi2ELb1ELb1ELb1ELb1ELb0ELb0EEEvPT0_PvPT_S7_S7_PKS6_S9_S9_S9_S9_ffiiiiiiiiiiiii
		.amdhsa_group_segment_fixed_size 16
		.amdhsa_private_segment_fixed_size 0
		.amdhsa_kernarg_size 400
		.amdhsa_user_sgpr_count 6
		.amdhsa_user_sgpr_private_segment_buffer 1
		.amdhsa_user_sgpr_dispatch_ptr 0
		.amdhsa_user_sgpr_queue_ptr 0
		.amdhsa_user_sgpr_kernarg_segment_ptr 1
		.amdhsa_user_sgpr_dispatch_id 0
		.amdhsa_user_sgpr_flat_scratch_init 0
		.amdhsa_user_sgpr_kernarg_preload_length 0
		.amdhsa_user_sgpr_kernarg_preload_offset 0
		.amdhsa_user_sgpr_private_segment_size 0
		.amdhsa_uses_dynamic_stack 0
		.amdhsa_system_sgpr_private_segment_wavefront_offset 0
		.amdhsa_system_sgpr_workgroup_id_x 1
		.amdhsa_system_sgpr_workgroup_id_y 1
		.amdhsa_system_sgpr_workgroup_id_z 0
		.amdhsa_system_sgpr_workgroup_info 0
		.amdhsa_system_vgpr_workitem_id 0
		.amdhsa_next_free_vgpr 49
		.amdhsa_next_free_sgpr 32
		.amdhsa_accum_offset 52
		.amdhsa_reserve_vcc 1
		.amdhsa_reserve_flat_scratch 0
		.amdhsa_float_round_mode_32 0
		.amdhsa_float_round_mode_16_64 0
		.amdhsa_float_denorm_mode_32 3
		.amdhsa_float_denorm_mode_16_64 3
		.amdhsa_dx10_clamp 1
		.amdhsa_ieee_mode 1
		.amdhsa_fp16_overflow 0
		.amdhsa_tg_split 0
		.amdhsa_exception_fp_ieee_invalid_op 0
		.amdhsa_exception_fp_denorm_src 0
		.amdhsa_exception_fp_ieee_div_zero 0
		.amdhsa_exception_fp_ieee_overflow 0
		.amdhsa_exception_fp_ieee_underflow 0
		.amdhsa_exception_fp_ieee_inexact 0
		.amdhsa_exception_int_div_zero 0
	.end_amdhsa_kernel
	.section	.text._ZN5aiter35fused_qk_rmsnorm_group_quant_kernelIDF16_N4opus5fp4_tELi128ELi16ELi2ELb1ELb1ELb1ELb1ELb0ELb0EEEvPT0_PvPT_S7_S7_PKS6_S9_S9_S9_S9_ffiiiiiiiiiiiii,"axG",@progbits,_ZN5aiter35fused_qk_rmsnorm_group_quant_kernelIDF16_N4opus5fp4_tELi128ELi16ELi2ELb1ELb1ELb1ELb1ELb0ELb0EEEvPT0_PvPT_S7_S7_PKS6_S9_S9_S9_S9_ffiiiiiiiiiiiii,comdat
.Lfunc_end699:
	.size	_ZN5aiter35fused_qk_rmsnorm_group_quant_kernelIDF16_N4opus5fp4_tELi128ELi16ELi2ELb1ELb1ELb1ELb1ELb0ELb0EEEvPT0_PvPT_S7_S7_PKS6_S9_S9_S9_S9_ffiiiiiiiiiiiii, .Lfunc_end699-_ZN5aiter35fused_qk_rmsnorm_group_quant_kernelIDF16_N4opus5fp4_tELi128ELi16ELi2ELb1ELb1ELb1ELb1ELb0ELb0EEEvPT0_PvPT_S7_S7_PKS6_S9_S9_S9_S9_ffiiiiiiiiiiiii
                                        ; -- End function
	.section	.AMDGPU.csdata,"",@progbits
; Kernel info:
; codeLenInByte = 3576
; NumSgprs: 36
; NumVgprs: 49
; NumAgprs: 0
; TotalNumVgprs: 49
; ScratchSize: 0
; MemoryBound: 0
; FloatMode: 240
; IeeeMode: 1
; LDSByteSize: 16 bytes/workgroup (compile time only)
; SGPRBlocks: 4
; VGPRBlocks: 6
; NumSGPRsForWavesPerEU: 36
; NumVGPRsForWavesPerEU: 49
; AccumOffset: 52
; Occupancy: 8
; WaveLimiterHint : 0
; COMPUTE_PGM_RSRC2:SCRATCH_EN: 0
; COMPUTE_PGM_RSRC2:USER_SGPR: 6
; COMPUTE_PGM_RSRC2:TRAP_HANDLER: 0
; COMPUTE_PGM_RSRC2:TGID_X_EN: 1
; COMPUTE_PGM_RSRC2:TGID_Y_EN: 1
; COMPUTE_PGM_RSRC2:TGID_Z_EN: 0
; COMPUTE_PGM_RSRC2:TIDIG_COMP_CNT: 0
; COMPUTE_PGM_RSRC3_GFX90A:ACCUM_OFFSET: 12
; COMPUTE_PGM_RSRC3_GFX90A:TG_SPLIT: 0
	.section	.text._ZN5aiter35fused_qk_rmsnorm_group_quant_kernelItN4opus5fp4_tELi128ELi16ELi2ELb1ELb1ELb1ELb1ELb0ELb0EEEvPT0_PvPT_S7_S7_PKS6_S9_S9_S9_S9_ffiiiiiiiiiiiii,"axG",@progbits,_ZN5aiter35fused_qk_rmsnorm_group_quant_kernelItN4opus5fp4_tELi128ELi16ELi2ELb1ELb1ELb1ELb1ELb0ELb0EEEvPT0_PvPT_S7_S7_PKS6_S9_S9_S9_S9_ffiiiiiiiiiiiii,comdat
	.protected	_ZN5aiter35fused_qk_rmsnorm_group_quant_kernelItN4opus5fp4_tELi128ELi16ELi2ELb1ELb1ELb1ELb1ELb0ELb0EEEvPT0_PvPT_S7_S7_PKS6_S9_S9_S9_S9_ffiiiiiiiiiiiii ; -- Begin function _ZN5aiter35fused_qk_rmsnorm_group_quant_kernelItN4opus5fp4_tELi128ELi16ELi2ELb1ELb1ELb1ELb1ELb0ELb0EEEvPT0_PvPT_S7_S7_PKS6_S9_S9_S9_S9_ffiiiiiiiiiiiii
	.globl	_ZN5aiter35fused_qk_rmsnorm_group_quant_kernelItN4opus5fp4_tELi128ELi16ELi2ELb1ELb1ELb1ELb1ELb0ELb0EEEvPT0_PvPT_S7_S7_PKS6_S9_S9_S9_S9_ffiiiiiiiiiiiii
	.p2align	8
	.type	_ZN5aiter35fused_qk_rmsnorm_group_quant_kernelItN4opus5fp4_tELi128ELi16ELi2ELb1ELb1ELb1ELb1ELb0ELb0EEEvPT0_PvPT_S7_S7_PKS6_S9_S9_S9_S9_ffiiiiiiiiiiiii,@function
_ZN5aiter35fused_qk_rmsnorm_group_quant_kernelItN4opus5fp4_tELi128ELi16ELi2ELb1ELb1ELb1ELb1ELb0ELb0EEEvPT0_PvPT_S7_S7_PKS6_S9_S9_S9_S9_ffiiiiiiiiiiiii: ; @_ZN5aiter35fused_qk_rmsnorm_group_quant_kernelItN4opus5fp4_tELi128ELi16ELi2ELb1ELb1ELb1ELb1ELb0ELb0EEEvPT0_PvPT_S7_S7_PKS6_S9_S9_S9_S9_ffiiiiiiiiiiiii
; %bb.0:
	s_load_dwordx8 s[12:19], s[4:5], 0x50
	s_waitcnt lgkmcnt(0)
	s_cmp_ge_i32 s6, s14
	s_cbranch_scc1 .LBB700_17
; %bb.1:
	s_cmp_lg_u32 s7, 0
	s_cselect_b64 s[22:23], -1, 0
	s_cmp_eq_u32 s7, 0
	s_cselect_b64 s[2:3], -1, 0
	s_and_b64 s[0:1], s[2:3], exec
	s_cselect_b32 s7, s15, s16
	s_load_dwordx2 s[10:11], s[4:5], 0x30
	s_load_dwordx2 s[20:21], s[4:5], 0x48
	s_add_i32 s0, s7, 1
	s_lshr_b32 s1, s0, 31
	s_add_i32 s0, s0, s1
	s_lshl_b32 s0, s0, 1
	v_lshlrev_b32_e32 v1, 4, v0
	s_and_b32 s30, s0, -4
	v_cmp_gt_i32_e64 s[0:1], s7, v1
	v_mov_b32_e32 v62, 0
	v_mov_b32_e32 v63, 0
	;; [unrolled: 1-line block ×16, first 2 shown]
	s_and_saveexec_b64 s[8:9], s[0:1]
	s_cbranch_execz .LBB700_3
; %bb.2:
	s_load_dwordx2 s[14:15], s[4:5], 0x28
	s_load_dwordx2 s[26:27], s[4:5], 0x40
	s_and_b64 s[24:25], s[2:3], exec
	s_cselect_b32 s17, s17, s18
	s_mov_b32 s31, 0x20000
	s_waitcnt lgkmcnt(0)
	s_cselect_b32 s25, s15, s11
	s_cselect_b32 s24, s14, s10
	s_mul_hi_i32 s15, s17, s6
	s_mul_i32 s14, s17, s6
	s_lshl_b64 s[14:15], s[14:15], 1
	s_add_u32 s24, s24, s14
	s_addc_u32 s17, s25, s15
	s_and_b64 s[14:15], s[2:3], exec
	s_cselect_b32 s28, s26, s20
	s_cselect_b32 s14, s27, s21
	s_and_b32 s25, s17, 0xffff
	s_mov_b32 s26, s30
	s_mov_b32 s27, s31
	v_lshlrev_b32_e32 v2, 5, v0
	s_and_b32 s29, s14, 0xffff
	buffer_load_dwordx4 v[66:69], v2, s[24:27], 0 offen
	buffer_load_dwordx4 v[70:73], v2, s[24:27], 16 offen
	;; [unrolled: 1-line block ×4, first 2 shown]
.LBB700_3:
	s_or_b64 exec, exec, s[8:9]
	s_load_dwordx4 s[24:27], s[4:5], 0x7c
	s_and_b64 vcc, exec, s[22:23]
	s_cbranch_vccz .LBB700_7
; %bb.4:
	v_mov_b32_e32 v75, 0
	v_mov_b32_e32 v74, 0
	;; [unrolled: 1-line block ×16, first 2 shown]
	s_and_saveexec_b64 s[8:9], s[0:1]
	s_cbranch_execz .LBB700_6
; %bb.5:
	s_waitcnt vmcnt(3)
	v_cvt_f32_u32_sdwa v2, v66 dst_sel:DWORD dst_unused:UNUSED_PAD src0_sel:WORD_0
	v_cvt_f32_u32_sdwa v3, v66 dst_sel:DWORD dst_unused:UNUSED_PAD src0_sel:WORD_1
	v_cvt_f32_u32_sdwa v6, v67 dst_sel:DWORD dst_unused:UNUSED_PAD src0_sel:WORD_0
	v_cvt_f32_u32_sdwa v7, v67 dst_sel:DWORD dst_unused:UNUSED_PAD src0_sel:WORD_1
	;; [unrolled: 2-line block ×4, first 2 shown]
	s_waitcnt vmcnt(2)
	v_cvt_f32_u32_sdwa v50, v70 dst_sel:DWORD dst_unused:UNUSED_PAD src0_sel:WORD_0
	v_cvt_f32_u32_sdwa v51, v70 dst_sel:DWORD dst_unused:UNUSED_PAD src0_sel:WORD_1
	v_cvt_f32_u32_sdwa v24, v71 dst_sel:DWORD dst_unused:UNUSED_PAD src0_sel:WORD_0
	v_cvt_f32_u32_sdwa v25, v71 dst_sel:DWORD dst_unused:UNUSED_PAD src0_sel:WORD_1
	;; [unrolled: 2-line block ×4, first 2 shown]
.LBB700_6:
	s_or_b64 exec, exec, s[8:9]
	s_cbranch_execz .LBB700_8
	s_branch .LBB700_11
.LBB700_7:
                                        ; implicit-def: $vgpr2_vgpr3_vgpr4_vgpr5_vgpr6_vgpr7_vgpr8_vgpr9_vgpr10_vgpr11_vgpr12_vgpr13_vgpr14_vgpr15_vgpr16_vgpr17
                                        ; implicit-def: $vgpr36_vgpr37_vgpr38_vgpr39_vgpr40_vgpr41_vgpr42_vgpr43_vgpr44_vgpr45_vgpr46_vgpr47_vgpr48_vgpr49_vgpr50_vgpr51
                                        ; implicit-def: $vgpr4_vgpr5_vgpr6_vgpr7_vgpr8_vgpr9_vgpr10_vgpr11_vgpr12_vgpr13_vgpr14_vgpr15_vgpr16_vgpr17_vgpr18_vgpr19
                                        ; implicit-def: $vgpr24_vgpr25_vgpr26_vgpr27_vgpr28_vgpr29_vgpr30_vgpr31_vgpr32_vgpr33_vgpr34_vgpr35_vgpr36_vgpr37_vgpr38_vgpr39
                                        ; implicit-def: $vgpr75
                                        ; implicit-def: $vgpr42_vgpr43_vgpr44_vgpr45_vgpr46_vgpr47_vgpr48_vgpr49_vgpr50_vgpr51_vgpr52_vgpr53_vgpr54_vgpr55_vgpr56_vgpr57
                                        ; implicit-def: $vgpr14_vgpr15_vgpr16_vgpr17_vgpr18_vgpr19_vgpr20_vgpr21_vgpr22_vgpr23_vgpr24_vgpr25_vgpr26_vgpr27_vgpr28_vgpr29
                                        ; implicit-def: $vgpr8_vgpr9_vgpr10_vgpr11_vgpr12_vgpr13_vgpr14_vgpr15_vgpr16_vgpr17_vgpr18_vgpr19_vgpr20_vgpr21_vgpr22_vgpr23
.LBB700_8:
	v_mov_b32_e32 v75, 0
	v_mov_b32_e32 v74, 0
	v_mov_b32_e32 v21, 0
	v_mov_b32_e32 v20, 0
	v_mov_b32_e32 v25, 0
	v_mov_b32_e32 v24, 0
	v_mov_b32_e32 v51, 0
	v_mov_b32_e32 v50, 0
	v_mov_b32_e32 v31, 0
	v_mov_b32_e32 v30, 0
	v_mov_b32_e32 v41, 0
	v_mov_b32_e32 v40, 0
	v_mov_b32_e32 v7, 0
	v_mov_b32_e32 v6, 0
	v_mov_b32_e32 v3, 0
	v_mov_b32_e32 v2, 0
	s_and_saveexec_b64 s[8:9], s[0:1]
	s_cbranch_execz .LBB700_10
; %bb.9:
	s_load_dwordx2 s[14:15], s[4:5], 0x38
	s_mul_hi_i32 s29, s19, s6
	s_mul_i32 s28, s19, s6
	s_lshl_b64 s[28:29], s[28:29], 1
	s_mov_b32 s31, 0x20000
	s_waitcnt lgkmcnt(0)
	s_add_u32 s28, s14, s28
	s_addc_u32 s14, s15, s29
	s_and_b32 s29, s14, 0xffff
	v_lshlrev_b32_e32 v38, 5, v0
	buffer_load_dwordx4 v[6:9], v38, s[28:31], 16 offen
	buffer_load_dwordx4 v[10:13], v38, s[28:31], 0 offen
	s_load_dwordx2 s[14:15], s[4:5], 0x20
	s_waitcnt vmcnt(5)
	v_cvt_f32_u32_sdwa v3, v66 dst_sel:DWORD dst_unused:UNUSED_PAD src0_sel:WORD_1
	v_cvt_f32_u32_sdwa v2, v66 dst_sel:DWORD dst_unused:UNUSED_PAD src0_sel:WORD_0
	v_cvt_f32_u32_sdwa v21, v67 dst_sel:DWORD dst_unused:UNUSED_PAD src0_sel:WORD_1
	v_cvt_f32_u32_sdwa v20, v67 dst_sel:DWORD dst_unused:UNUSED_PAD src0_sel:WORD_0
	;; [unrolled: 2-line block ×4, first 2 shown]
	s_waitcnt vmcnt(4)
	v_cvt_f32_u32_sdwa v5, v70 dst_sel:DWORD dst_unused:UNUSED_PAD src0_sel:WORD_1
	v_cvt_f32_u32_sdwa v4, v70 dst_sel:DWORD dst_unused:UNUSED_PAD src0_sel:WORD_0
	v_cvt_f32_u32_sdwa v15, v71 dst_sel:DWORD dst_unused:UNUSED_PAD src0_sel:WORD_1
	v_cvt_f32_u32_sdwa v14, v71 dst_sel:DWORD dst_unused:UNUSED_PAD src0_sel:WORD_0
	;; [unrolled: 2-line block ×3, first 2 shown]
	v_cvt_f32_u32_sdwa v18, v73 dst_sel:DWORD dst_unused:UNUSED_PAD src0_sel:WORD_0
	v_cvt_f32_u32_sdwa v19, v73 dst_sel:DWORD dst_unused:UNUSED_PAD src0_sel:WORD_1
	s_mul_hi_i32 s27, s26, s6
	s_mul_i32 s26, s26, s6
	s_lshl_b64 s[26:27], s[26:27], 1
	s_waitcnt lgkmcnt(0)
	s_add_u32 s28, s14, s26
	s_mov_b32 s17, 0x7060302
	s_addc_u32 s14, s15, s27
	s_and_b32 s29, s14, 0xffff
	s_waitcnt vmcnt(1)
	v_cvt_f32_u32_sdwa v27, v6 dst_sel:DWORD dst_unused:UNUSED_PAD src0_sel:WORD_1
	v_cvt_f32_u32_sdwa v26, v6 dst_sel:DWORD dst_unused:UNUSED_PAD src0_sel:WORD_0
	v_cvt_f32_u32_sdwa v29, v7 dst_sel:DWORD dst_unused:UNUSED_PAD src0_sel:WORD_1
	v_cvt_f32_u32_sdwa v28, v7 dst_sel:DWORD dst_unused:UNUSED_PAD src0_sel:WORD_0
	;; [unrolled: 2-line block ×3, first 2 shown]
	v_cvt_f32_u32_sdwa v34, v9 dst_sel:DWORD dst_unused:UNUSED_PAD src0_sel:WORD_0
	v_cvt_f32_u32_sdwa v35, v9 dst_sel:DWORD dst_unused:UNUSED_PAD src0_sel:WORD_1
	s_waitcnt vmcnt(0)
	v_cvt_f32_u32_sdwa v37, v10 dst_sel:DWORD dst_unused:UNUSED_PAD src0_sel:WORD_1
	v_cvt_f32_u32_sdwa v36, v10 dst_sel:DWORD dst_unused:UNUSED_PAD src0_sel:WORD_0
	v_cvt_f32_u32_sdwa v7, v12 dst_sel:DWORD dst_unused:UNUSED_PAD src0_sel:WORD_1
	v_cvt_f32_u32_sdwa v6, v12 dst_sel:DWORD dst_unused:UNUSED_PAD src0_sel:WORD_0
	;; [unrolled: 2-line block ×4, first 2 shown]
	v_pk_add_f32 v[40:41], v[22:23], v[6:7]
	v_pk_add_f32 v[30:31], v[24:25], v[8:9]
	;; [unrolled: 1-line block ×4, first 2 shown]
	v_perm_b32 v11, v31, v30, s17
	v_perm_b32 v10, v41, v40, s17
	;; [unrolled: 1-line block ×4, first 2 shown]
	v_pk_add_f32 v[74:75], v[18:19], v[34:35]
	v_pk_add_f32 v[20:21], v[16:17], v[32:33]
	;; [unrolled: 1-line block ×4, first 2 shown]
	buffer_store_dwordx4 v[8:11], v38, s[28:31], 0 offen
	;;#ASMSTART
	s_nop 0
	;;#ASMEND
	s_nop 0
	v_perm_b32 v11, v75, v74, s17
	v_perm_b32 v10, v21, v20, s17
	;; [unrolled: 1-line block ×4, first 2 shown]
	buffer_store_dwordx4 v[8:11], v38, s[28:31], 16 offen
	;;#ASMSTART
	s_nop 0
	;;#ASMEND
.LBB700_10:
	s_or_b64 exec, exec, s[8:9]
.LBB700_11:
	v_mul_f32_e32 v4, v3, v3
	v_fmac_f32_e32 v4, v2, v2
	v_fmac_f32_e32 v4, v6, v6
	;; [unrolled: 1-line block ×15, first 2 shown]
	s_nop 1
	v_mov_b32_dpp v5, v4 quad_perm:[1,0,3,2] row_mask:0xf bank_mask:0xf
	v_add_f32_e32 v4, v4, v5
	s_nop 1
	v_mov_b32_dpp v5, v4 quad_perm:[2,3,0,1] row_mask:0xf bank_mask:0xf
	v_add_f32_e32 v4, v4, v5
	s_nop 1
	v_mov_b32_dpp v5, v4 row_half_mirror row_mask:0xf bank_mask:0xf
	v_add_f32_e32 v4, v4, v5
	s_nop 1
	v_mov_b32_dpp v5, v4 row_mirror row_mask:0xf bank_mask:0xf
	v_add_f32_e32 v4, v4, v5
	s_nop 1
	v_mov_b32_dpp v5, v4 row_bcast:15 row_mask:0xf bank_mask:0xf
	v_add_f32_e32 v4, v4, v5
	v_and_b32_e32 v5, 63, v0
	v_cmp_eq_u32_e64 s[8:9], 63, v5
	s_nop 0
	v_mov_b32_dpp v5, v4 row_bcast:31 row_mask:0xf bank_mask:0xf
	s_and_saveexec_b64 s[14:15], s[8:9]
	s_cbranch_execz .LBB700_13
; %bb.12:
	v_add_f32_e32 v4, v4, v5
	v_lshrrev_b32_e32 v5, 4, v0
	v_and_b32_e32 v5, 60, v5
	ds_write_b32 v5, v4 offset:8
.LBB700_13:
	s_or_b64 exec, exec, s[14:15]
	v_and_b32_e32 v4, 1, v0
	v_lshlrev_b32_e32 v34, 2, v4
	s_waitcnt lgkmcnt(0)
	s_barrier
	ds_read_b32 v4, v34 offset:8
	s_load_dwordx2 s[14:15], s[4:5], 0x18
	s_waitcnt lgkmcnt(0)
	v_mov_b32_dpp v5, v4 quad_perm:[1,0,3,2] row_mask:0xf bank_mask:0xf
	s_and_saveexec_b64 s[26:27], s[0:1]
	s_cbranch_execnz .LBB700_18
; %bb.14:
	s_or_b64 exec, exec, s[26:27]
	s_mov_b64 s[2:3], -1
	s_and_b64 vcc, exec, s[22:23]
	s_cbranch_vccnz .LBB700_19
.LBB700_15:
	s_andn2_b64 vcc, exec, s[2:3]
	s_cbranch_vccz .LBB700_22
.LBB700_16:
	s_cmp_lt_i32 s16, 1
	s_cbranch_scc0 .LBB700_25
.LBB700_17:
	s_endpgm
.LBB700_18:
	v_add_f32_e32 v4, v4, v5
	v_cvt_f32_u32_e32 v5, s7
	s_waitcnt vmcnt(1)
	v_cvt_f32_u32_sdwa v15, v62 dst_sel:DWORD dst_unused:UNUSED_PAD src0_sel:WORD_1
	v_cvt_f32_u32_sdwa v14, v62 dst_sel:DWORD dst_unused:UNUSED_PAD src0_sel:WORD_0
	v_cvt_f32_u32_sdwa v23, v65 dst_sel:DWORD dst_unused:UNUSED_PAD src0_sel:WORD_1
	v_div_scale_f32 v8, s[28:29], v5, v5, v4
	v_rcp_f32_e32 v9, v8
	v_pk_add_f32 v[14:15], v[14:15], 1.0 op_sel_hi:[1,0]
	v_cvt_f32_u32_sdwa v22, v65 dst_sel:DWORD dst_unused:UNUSED_PAD src0_sel:WORD_0
	s_waitcnt vmcnt(0)
	v_cvt_f32_u32_sdwa v27, v60 dst_sel:DWORD dst_unused:UNUSED_PAD src0_sel:WORD_1
	v_fma_f32 v10, -v8, v9, 1.0
	v_fmac_f32_e32 v9, v10, v9
	v_div_scale_f32 v10, vcc, v4, v5, v4
	v_mul_f32_e32 v11, v10, v9
	v_fma_f32 v12, -v8, v11, v10
	v_fmac_f32_e32 v11, v12, v9
	v_fma_f32 v8, -v8, v11, v10
	v_div_fmas_f32 v8, v8, v9, v11
	v_div_fixup_f32 v4, v8, v5, v4
	v_mov_b32_e32 v5, s13
	v_mov_b32_e32 v8, s12
	v_cndmask_b32_e64 v5, v5, v8, s[2:3]
	v_add_f32_e32 v4, v5, v4
	s_mov_b32 s2, 0x800000
	v_mul_f32_e32 v5, 0x4b800000, v4
	v_cmp_gt_f32_e32 vcc, s2, v4
	v_cndmask_b32_e32 v4, v4, v5, vcc
	v_rsq_f32_e32 v4, v4
	v_cvt_f32_u32_sdwa v26, v60 dst_sel:DWORD dst_unused:UNUSED_PAD src0_sel:WORD_0
	v_cvt_f32_u32_sdwa v29, v61 dst_sel:DWORD dst_unused:UNUSED_PAD src0_sel:WORD_1
	v_cvt_f32_u32_sdwa v28, v61 dst_sel:DWORD dst_unused:UNUSED_PAD src0_sel:WORD_0
	v_mul_f32_e32 v5, 0x45800000, v4
	v_cndmask_b32_e32 v4, v4, v5, vcc
	v_mov_b32_e32 v5, v4
	;;#ASMSTART
	v_pk_mul_f32 v[2:3], v[2:3], v[4:5]
	;;#ASMEND
	;;#ASMSTART
	v_pk_mul_f32 v[6:7], v[6:7], v[4:5]
	;;#ASMEND
	;; [unrolled: 3-line block ×9, first 2 shown]
	v_cvt_f32_u32_sdwa v15, v63 dst_sel:DWORD dst_unused:UNUSED_PAD src0_sel:WORD_1
	v_cvt_f32_u32_sdwa v14, v63 dst_sel:DWORD dst_unused:UNUSED_PAD src0_sel:WORD_0
	v_cvt_f32_u32_sdwa v21, v64 dst_sel:DWORD dst_unused:UNUSED_PAD src0_sel:WORD_1
	v_cvt_f32_u32_sdwa v20, v64 dst_sel:DWORD dst_unused:UNUSED_PAD src0_sel:WORD_0
	v_cvt_f32_u32_sdwa v25, v59 dst_sel:DWORD dst_unused:UNUSED_PAD src0_sel:WORD_1
	v_pk_add_f32 v[14:15], v[14:15], 1.0 op_sel_hi:[1,0]
	v_cvt_f32_u32_sdwa v24, v59 dst_sel:DWORD dst_unused:UNUSED_PAD src0_sel:WORD_0
	;;#ASMSTART
	v_pk_mul_f32 v[6:7], v[6:7], v[14:15]
	;;#ASMEND
	v_pk_add_f32 v[14:15], v[20:21], 1.0 op_sel_hi:[1,0]
	v_pk_add_f32 v[20:21], v[22:23], 1.0 op_sel_hi:[1,0]
	v_cvt_f32_u32_sdwa v23, v58 dst_sel:DWORD dst_unused:UNUSED_PAD src0_sel:WORD_1
	v_cvt_f32_u32_sdwa v22, v58 dst_sel:DWORD dst_unused:UNUSED_PAD src0_sel:WORD_0
	v_pk_add_f32 v[24:25], v[24:25], 1.0 op_sel_hi:[1,0]
	v_pk_add_f32 v[26:27], v[26:27], 1.0 op_sel_hi:[1,0]
	v_pk_add_f32 v[28:29], v[28:29], 1.0 op_sel_hi:[1,0]
	v_pk_add_f32 v[22:23], v[22:23], 1.0 op_sel_hi:[1,0]
	;;#ASMSTART
	v_pk_mul_f32 v[40:41], v[8:9], v[14:15]
	;;#ASMEND
	;;#ASMSTART
	v_pk_mul_f32 v[30:31], v[10:11], v[20:21]
	;;#ASMEND
	;; [unrolled: 3-line block ×6, first 2 shown]
	s_or_b64 exec, exec, s[26:27]
	s_mov_b64 s[2:3], -1
	s_and_b64 vcc, exec, s[22:23]
	s_cbranch_vccz .LBB700_15
.LBB700_19:
	s_and_saveexec_b64 s[2:3], s[0:1]
	s_cbranch_execz .LBB700_21
; %bb.20:
	s_mul_hi_i32 s23, s25, s6
	s_mul_i32 s22, s25, s6
	s_lshl_b64 s[22:23], s[22:23], 1
	s_add_u32 s28, s14, s22
	s_addc_u32 s7, s15, s23
	s_and_b32 s29, s7, 0xffff
	s_mov_b32 s7, 0x7060302
	s_mov_b32 s31, 0x20000
	v_perm_b32 v11, v31, v30, s7
	v_perm_b32 v10, v41, v40, s7
	v_perm_b32 v9, v7, v6, s7
	v_perm_b32 v8, v3, v2, s7
	v_lshlrev_b32_e32 v4, 5, v0
	buffer_store_dwordx4 v[8:11], v4, s[28:31], 0 offen
	;;#ASMSTART
	s_nop 0
	;;#ASMEND
	s_nop 0
	v_perm_b32 v11, v75, v74, s7
	v_perm_b32 v10, v21, v20, s7
	;; [unrolled: 1-line block ×4, first 2 shown]
	buffer_store_dwordx4 v[8:11], v4, s[28:31], 16 offen
	;;#ASMSTART
	s_nop 0
	;;#ASMEND
.LBB700_21:
	s_or_b64 exec, exec, s[2:3]
	s_cbranch_execnz .LBB700_16
.LBB700_22:
	s_and_saveexec_b64 s[2:3], s[0:1]
	s_cbranch_execz .LBB700_24
; %bb.23:
	s_load_dwordx2 s[0:1], s[4:5], 0x10
	s_mul_hi_i32 s23, s24, s6
	s_mul_i32 s22, s24, s6
	s_lshl_b64 s[22:23], s[22:23], 1
	s_mov_b32 s7, 0x7060302
	s_waitcnt lgkmcnt(0)
	s_add_u32 s28, s0, s22
	s_addc_u32 s0, s1, s23
	v_perm_b32 v9, v31, v30, s7
	v_perm_b32 v8, v41, v40, s7
	;; [unrolled: 1-line block ×4, first 2 shown]
	s_and_b32 s29, s0, 0xffff
	s_mov_b32 s31, 0x20000
	v_lshlrev_b32_e32 v10, 5, v0
	v_perm_b32 v5, v75, v74, s7
	v_perm_b32 v4, v21, v20, s7
	;; [unrolled: 1-line block ×4, first 2 shown]
	buffer_store_dwordx4 v[6:9], v10, s[28:31], 0 offen
	;;#ASMSTART
	s_nop 0
	;;#ASMEND
	buffer_store_dwordx4 v[2:5], v10, s[28:31], 16 offen
	;;#ASMSTART
	s_nop 0
	;;#ASMEND
.LBB700_24:
	s_or_b64 exec, exec, s[2:3]
	s_cmp_lt_i32 s16, 1
	s_cbranch_scc1 .LBB700_17
.LBB700_25:
	s_load_dword s0, s[4:5], 0x94
	s_waitcnt lgkmcnt(0)
	s_cmp_lg_u32 s0, 1
	s_cbranch_scc1 .LBB700_17
; %bb.26:
	s_lshl_b32 s0, s16, 1
	s_add_i32 s0, s0, 2
	v_cmp_gt_u32_e32 vcc, s16, v1
	s_and_b32 s22, s0, -4
	v_mov_b32_e32 v18, 0
	v_lshlrev_b32_e32 v1, 5, v0
	v_mov_b32_e32 v14, 0
	v_mov_b32_e32 v15, 0
	;; [unrolled: 1-line block ×16, first 2 shown]
	s_barrier
	s_and_saveexec_b64 s[0:1], vcc
	s_cbranch_execz .LBB700_28
; %bb.27:
	s_mul_hi_i32 s3, s18, s6
	s_mul_i32 s2, s18, s6
	s_and_b32 s21, s21, 0xffff
	s_lshl_b64 s[2:3], s[2:3], 1
	s_add_u32 s28, s10, s2
	s_mov_b32 s23, 0x20000
	s_addc_u32 s2, s11, s3
	s_and_b32 s29, s2, 0xffff
	s_mov_b32 s30, s22
	s_mov_b32 s31, s23
	buffer_load_dwordx4 v[14:17], v1, s[28:31], 0 offen
	buffer_load_dwordx4 v[10:13], v1, s[28:31], 16 offen
	;; [unrolled: 1-line block ×4, first 2 shown]
.LBB700_28:
	s_or_b64 exec, exec, s[0:1]
	v_mov_b32_e32 v19, 0
	v_mov_b32_e32 v32, 0
	;; [unrolled: 1-line block ×15, first 2 shown]
	s_and_saveexec_b64 s[0:1], vcc
	s_cbranch_execz .LBB700_30
; %bb.29:
	s_waitcnt vmcnt(3)
	v_cvt_f32_u32_sdwa v18, v14 dst_sel:DWORD dst_unused:UNUSED_PAD src0_sel:WORD_0
	v_cvt_f32_u32_sdwa v19, v14 dst_sel:DWORD dst_unused:UNUSED_PAD src0_sel:WORD_1
	v_cvt_f32_u32_sdwa v32, v15 dst_sel:DWORD dst_unused:UNUSED_PAD src0_sel:WORD_0
	v_cvt_f32_u32_sdwa v33, v15 dst_sel:DWORD dst_unused:UNUSED_PAD src0_sel:WORD_1
	v_cvt_f32_u32_sdwa v30, v16 dst_sel:DWORD dst_unused:UNUSED_PAD src0_sel:WORD_0
	v_cvt_f32_u32_sdwa v31, v16 dst_sel:DWORD dst_unused:UNUSED_PAD src0_sel:WORD_1
	v_cvt_f32_u32_sdwa v28, v17 dst_sel:DWORD dst_unused:UNUSED_PAD src0_sel:WORD_0
	v_cvt_f32_u32_sdwa v29, v17 dst_sel:DWORD dst_unused:UNUSED_PAD src0_sel:WORD_1
	s_waitcnt vmcnt(2)
	v_cvt_f32_u32_sdwa v26, v10 dst_sel:DWORD dst_unused:UNUSED_PAD src0_sel:WORD_0
	v_cvt_f32_u32_sdwa v27, v10 dst_sel:DWORD dst_unused:UNUSED_PAD src0_sel:WORD_1
	v_cvt_f32_u32_sdwa v24, v11 dst_sel:DWORD dst_unused:UNUSED_PAD src0_sel:WORD_0
	v_cvt_f32_u32_sdwa v25, v11 dst_sel:DWORD dst_unused:UNUSED_PAD src0_sel:WORD_1
	;; [unrolled: 2-line block ×4, first 2 shown]
.LBB700_30:
	s_or_b64 exec, exec, s[0:1]
	s_waitcnt vmcnt(2)
	v_mul_f32_e32 v10, v19, v19
	v_fmac_f32_e32 v10, v18, v18
	v_fmac_f32_e32 v10, v32, v32
	;; [unrolled: 1-line block ×15, first 2 shown]
	s_nop 1
	v_mov_b32_dpp v11, v10 quad_perm:[1,0,3,2] row_mask:0xf bank_mask:0xf
	v_add_f32_e32 v10, v10, v11
	s_nop 1
	v_mov_b32_dpp v11, v10 quad_perm:[2,3,0,1] row_mask:0xf bank_mask:0xf
	v_add_f32_e32 v10, v10, v11
	s_nop 1
	v_mov_b32_dpp v11, v10 row_half_mirror row_mask:0xf bank_mask:0xf
	v_add_f32_e32 v10, v10, v11
	s_nop 1
	v_mov_b32_dpp v11, v10 row_mirror row_mask:0xf bank_mask:0xf
	v_add_f32_e32 v10, v10, v11
	s_nop 1
	v_mov_b32_dpp v11, v10 row_bcast:15 row_mask:0xf bank_mask:0xf
	v_add_f32_e32 v10, v10, v11
	s_nop 1
	v_mov_b32_dpp v11, v10 row_bcast:31 row_mask:0xf bank_mask:0xf
	s_and_saveexec_b64 s[0:1], s[8:9]
	s_cbranch_execz .LBB700_32
; %bb.31:
	v_lshrrev_b32_e32 v0, 4, v0
	v_add_f32_e32 v10, v10, v11
	v_and_b32_e32 v0, 60, v0
	ds_write_b32 v0, v10
.LBB700_32:
	s_or_b64 exec, exec, s[0:1]
	s_waitcnt lgkmcnt(0)
	s_barrier
	ds_read_b32 v0, v34
	s_waitcnt lgkmcnt(0)
	s_nop 0
	v_mov_b32_dpp v10, v0 quad_perm:[1,0,3,2] row_mask:0xf bank_mask:0xf
	s_and_saveexec_b64 s[0:1], vcc
	s_cbranch_execz .LBB700_17
; %bb.33:
	v_cvt_f32_u32_e32 v11, s16
	v_add_f32_e32 v0, v0, v10
	s_mov_b32 s23, 0x20000
	v_div_scale_f32 v10, s[0:1], v11, v11, v0
	v_rcp_f32_e32 v12, v10
	v_div_scale_f32 v13, vcc, v0, v11, v0
	s_mov_b32 s0, 0x800000
	v_fma_f32 v14, -v10, v12, 1.0
	v_fmac_f32_e32 v12, v14, v12
	v_mul_f32_e32 v14, v13, v12
	v_fma_f32 v15, -v10, v14, v13
	v_fmac_f32_e32 v14, v15, v12
	v_fma_f32 v10, -v10, v14, v13
	v_div_fmas_f32 v10, v10, v12, v14
	v_div_fixup_f32 v0, v10, v11, v0
	v_add_f32_e32 v0, s13, v0
	v_mul_f32_e32 v10, 0x4b800000, v0
	v_cmp_gt_f32_e32 vcc, s0, v0
	v_cndmask_b32_e32 v0, v0, v10, vcc
	v_rsq_f32_e32 v0, v0
	s_mul_hi_i32 s1, s25, s6
	s_mul_i32 s0, s25, s6
	s_lshl_b64 s[0:1], s[0:1], 1
	v_mul_f32_e32 v10, 0x45800000, v0
	v_cndmask_b32_e32 v10, v0, v10, vcc
	v_mov_b32_e32 v11, v10
	;;#ASMSTART
	v_pk_mul_f32 v[12:13], v[18:19], v[10:11]
	;;#ASMEND
	;;#ASMSTART
	v_pk_mul_f32 v[14:15], v[32:33], v[10:11]
	;;#ASMEND
	;; [unrolled: 3-line block ×4, first 2 shown]
	s_waitcnt vmcnt(1)
	v_cvt_f32_u32_sdwa v29, v6 dst_sel:DWORD dst_unused:UNUSED_PAD src0_sel:WORD_1
	v_cvt_f32_u32_sdwa v28, v6 dst_sel:DWORD dst_unused:UNUSED_PAD src0_sel:WORD_0
	v_cvt_f32_u32_sdwa v31, v7 dst_sel:DWORD dst_unused:UNUSED_PAD src0_sel:WORD_1
	v_cvt_f32_u32_sdwa v30, v7 dst_sel:DWORD dst_unused:UNUSED_PAD src0_sel:WORD_0
	;;#ASMSTART
	v_pk_mul_f32 v[26:27], v[26:27], v[10:11]
	;;#ASMEND
	;;#ASMSTART
	v_pk_mul_f32 v[24:25], v[24:25], v[10:11]
	;;#ASMEND
	;; [unrolled: 3-line block ×4, first 2 shown]
	v_cvt_f32_u32_sdwa v21, v8 dst_sel:DWORD dst_unused:UNUSED_PAD src0_sel:WORD_1
	v_cvt_f32_u32_sdwa v20, v8 dst_sel:DWORD dst_unused:UNUSED_PAD src0_sel:WORD_0
	v_pk_add_f32 v[10:11], v[28:29], 1.0 op_sel_hi:[1,0]
	;;#ASMSTART
	v_pk_mul_f32 v[10:11], v[12:13], v[10:11]
	;;#ASMEND
	v_pk_add_f32 v[12:13], v[30:31], 1.0 op_sel_hi:[1,0]
	v_cvt_f32_u32_sdwa v29, v9 dst_sel:DWORD dst_unused:UNUSED_PAD src0_sel:WORD_1
	v_cvt_f32_u32_sdwa v28, v9 dst_sel:DWORD dst_unused:UNUSED_PAD src0_sel:WORD_0
	;;#ASMSTART
	v_pk_mul_f32 v[8:9], v[14:15], v[12:13]
	;;#ASMEND
	v_pk_add_f32 v[12:13], v[20:21], 1.0 op_sel_hi:[1,0]
	;;#ASMSTART
	v_pk_mul_f32 v[12:13], v[16:17], v[12:13]
	;;#ASMEND
	s_waitcnt vmcnt(0)
	v_cvt_f32_u32_sdwa v17, v2 dst_sel:DWORD dst_unused:UNUSED_PAD src0_sel:WORD_1
	v_cvt_f32_u32_sdwa v16, v2 dst_sel:DWORD dst_unused:UNUSED_PAD src0_sel:WORD_0
	v_cvt_f32_u32_sdwa v21, v3 dst_sel:DWORD dst_unused:UNUSED_PAD src0_sel:WORD_1
	v_cvt_f32_u32_sdwa v20, v3 dst_sel:DWORD dst_unused:UNUSED_PAD src0_sel:WORD_0
	v_pk_add_f32 v[14:15], v[28:29], 1.0 op_sel_hi:[1,0]
	;;#ASMSTART
	v_pk_mul_f32 v[14:15], v[18:19], v[14:15]
	;;#ASMEND
	v_pk_add_f32 v[2:3], v[16:17], 1.0 op_sel_hi:[1,0]
	v_cvt_f32_u32_sdwa v19, v4 dst_sel:DWORD dst_unused:UNUSED_PAD src0_sel:WORD_1
	v_cvt_f32_u32_sdwa v18, v4 dst_sel:DWORD dst_unused:UNUSED_PAD src0_sel:WORD_0
	;;#ASMSTART
	v_pk_mul_f32 v[16:17], v[26:27], v[2:3]
	;;#ASMEND
	v_pk_add_f32 v[2:3], v[20:21], 1.0 op_sel_hi:[1,0]
	v_cvt_f32_u32_sdwa v21, v5 dst_sel:DWORD dst_unused:UNUSED_PAD src0_sel:WORD_1
	v_cvt_f32_u32_sdwa v20, v5 dst_sel:DWORD dst_unused:UNUSED_PAD src0_sel:WORD_0
	s_add_u32 s20, s14, s0
	;;#ASMSTART
	v_pk_mul_f32 v[24:25], v[24:25], v[2:3]
	;;#ASMEND
	v_pk_add_f32 v[2:3], v[18:19], 1.0 op_sel_hi:[1,0]
	s_addc_u32 s0, s15, s1
	;;#ASMSTART
	v_pk_mul_f32 v[18:19], v[22:23], v[2:3]
	;;#ASMEND
	v_pk_add_f32 v[2:3], v[20:21], 1.0 op_sel_hi:[1,0]
	s_and_b32 s21, s0, 0xffff
	s_mov_b32 s0, 0x7060302
	;;#ASMSTART
	v_pk_mul_f32 v[6:7], v[6:7], v[2:3]
	;;#ASMEND
	v_perm_b32 v2, v11, v10, s0
	v_perm_b32 v3, v9, v8, s0
	;; [unrolled: 1-line block ×4, first 2 shown]
	buffer_store_dwordx4 v[2:5], v1, s[20:23], 0 offen
	;;#ASMSTART
	s_nop 0
	;;#ASMEND
	s_nop 0
	v_perm_b32 v2, v17, v16, s0
	v_perm_b32 v3, v25, v24, s0
	;; [unrolled: 1-line block ×4, first 2 shown]
	buffer_store_dwordx4 v[2:5], v1, s[20:23], 16 offen
	;;#ASMSTART
	s_nop 0
	;;#ASMEND
	s_endpgm
	.section	.rodata,"a",@progbits
	.p2align	6, 0x0
	.amdhsa_kernel _ZN5aiter35fused_qk_rmsnorm_group_quant_kernelItN4opus5fp4_tELi128ELi16ELi2ELb1ELb1ELb1ELb1ELb0ELb0EEEvPT0_PvPT_S7_S7_PKS6_S9_S9_S9_S9_ffiiiiiiiiiiiii
		.amdhsa_group_segment_fixed_size 16
		.amdhsa_private_segment_fixed_size 0
		.amdhsa_kernarg_size 400
		.amdhsa_user_sgpr_count 6
		.amdhsa_user_sgpr_private_segment_buffer 1
		.amdhsa_user_sgpr_dispatch_ptr 0
		.amdhsa_user_sgpr_queue_ptr 0
		.amdhsa_user_sgpr_kernarg_segment_ptr 1
		.amdhsa_user_sgpr_dispatch_id 0
		.amdhsa_user_sgpr_flat_scratch_init 0
		.amdhsa_user_sgpr_kernarg_preload_length 0
		.amdhsa_user_sgpr_kernarg_preload_offset 0
		.amdhsa_user_sgpr_private_segment_size 0
		.amdhsa_uses_dynamic_stack 0
		.amdhsa_system_sgpr_private_segment_wavefront_offset 0
		.amdhsa_system_sgpr_workgroup_id_x 1
		.amdhsa_system_sgpr_workgroup_id_y 1
		.amdhsa_system_sgpr_workgroup_id_z 0
		.amdhsa_system_sgpr_workgroup_info 0
		.amdhsa_system_vgpr_workitem_id 0
		.amdhsa_next_free_vgpr 76
		.amdhsa_next_free_sgpr 32
		.amdhsa_accum_offset 76
		.amdhsa_reserve_vcc 1
		.amdhsa_reserve_flat_scratch 0
		.amdhsa_float_round_mode_32 0
		.amdhsa_float_round_mode_16_64 0
		.amdhsa_float_denorm_mode_32 3
		.amdhsa_float_denorm_mode_16_64 3
		.amdhsa_dx10_clamp 1
		.amdhsa_ieee_mode 1
		.amdhsa_fp16_overflow 0
		.amdhsa_tg_split 0
		.amdhsa_exception_fp_ieee_invalid_op 0
		.amdhsa_exception_fp_denorm_src 0
		.amdhsa_exception_fp_ieee_div_zero 0
		.amdhsa_exception_fp_ieee_overflow 0
		.amdhsa_exception_fp_ieee_underflow 0
		.amdhsa_exception_fp_ieee_inexact 0
		.amdhsa_exception_int_div_zero 0
	.end_amdhsa_kernel
	.section	.text._ZN5aiter35fused_qk_rmsnorm_group_quant_kernelItN4opus5fp4_tELi128ELi16ELi2ELb1ELb1ELb1ELb1ELb0ELb0EEEvPT0_PvPT_S7_S7_PKS6_S9_S9_S9_S9_ffiiiiiiiiiiiii,"axG",@progbits,_ZN5aiter35fused_qk_rmsnorm_group_quant_kernelItN4opus5fp4_tELi128ELi16ELi2ELb1ELb1ELb1ELb1ELb0ELb0EEEvPT0_PvPT_S7_S7_PKS6_S9_S9_S9_S9_ffiiiiiiiiiiiii,comdat
.Lfunc_end700:
	.size	_ZN5aiter35fused_qk_rmsnorm_group_quant_kernelItN4opus5fp4_tELi128ELi16ELi2ELb1ELb1ELb1ELb1ELb0ELb0EEEvPT0_PvPT_S7_S7_PKS6_S9_S9_S9_S9_ffiiiiiiiiiiiii, .Lfunc_end700-_ZN5aiter35fused_qk_rmsnorm_group_quant_kernelItN4opus5fp4_tELi128ELi16ELi2ELb1ELb1ELb1ELb1ELb0ELb0EEEvPT0_PvPT_S7_S7_PKS6_S9_S9_S9_S9_ffiiiiiiiiiiiii
                                        ; -- End function
	.section	.AMDGPU.csdata,"",@progbits
; Kernel info:
; codeLenInByte = 3536
; NumSgprs: 36
; NumVgprs: 76
; NumAgprs: 0
; TotalNumVgprs: 76
; ScratchSize: 0
; MemoryBound: 0
; FloatMode: 240
; IeeeMode: 1
; LDSByteSize: 16 bytes/workgroup (compile time only)
; SGPRBlocks: 4
; VGPRBlocks: 9
; NumSGPRsForWavesPerEU: 36
; NumVGPRsForWavesPerEU: 76
; AccumOffset: 76
; Occupancy: 6
; WaveLimiterHint : 0
; COMPUTE_PGM_RSRC2:SCRATCH_EN: 0
; COMPUTE_PGM_RSRC2:USER_SGPR: 6
; COMPUTE_PGM_RSRC2:TRAP_HANDLER: 0
; COMPUTE_PGM_RSRC2:TGID_X_EN: 1
; COMPUTE_PGM_RSRC2:TGID_Y_EN: 1
; COMPUTE_PGM_RSRC2:TGID_Z_EN: 0
; COMPUTE_PGM_RSRC2:TIDIG_COMP_CNT: 0
; COMPUTE_PGM_RSRC3_GFX90A:ACCUM_OFFSET: 18
; COMPUTE_PGM_RSRC3_GFX90A:TG_SPLIT: 0
	.section	.text._ZN5aiter35fused_qk_rmsnorm_group_quant_kernelIDF16_DB8_Li128ELi16ELi2ELb1ELb1ELb0ELb1ELb0ELb0EEEvPT0_PvPT_S6_S6_PKS5_S8_S8_S8_S8_ffiiiiiiiiiiiii,"axG",@progbits,_ZN5aiter35fused_qk_rmsnorm_group_quant_kernelIDF16_DB8_Li128ELi16ELi2ELb1ELb1ELb0ELb1ELb0ELb0EEEvPT0_PvPT_S6_S6_PKS5_S8_S8_S8_S8_ffiiiiiiiiiiiii,comdat
	.protected	_ZN5aiter35fused_qk_rmsnorm_group_quant_kernelIDF16_DB8_Li128ELi16ELi2ELb1ELb1ELb0ELb1ELb0ELb0EEEvPT0_PvPT_S6_S6_PKS5_S8_S8_S8_S8_ffiiiiiiiiiiiii ; -- Begin function _ZN5aiter35fused_qk_rmsnorm_group_quant_kernelIDF16_DB8_Li128ELi16ELi2ELb1ELb1ELb0ELb1ELb0ELb0EEEvPT0_PvPT_S6_S6_PKS5_S8_S8_S8_S8_ffiiiiiiiiiiiii
	.globl	_ZN5aiter35fused_qk_rmsnorm_group_quant_kernelIDF16_DB8_Li128ELi16ELi2ELb1ELb1ELb0ELb1ELb0ELb0EEEvPT0_PvPT_S6_S6_PKS5_S8_S8_S8_S8_ffiiiiiiiiiiiii
	.p2align	8
	.type	_ZN5aiter35fused_qk_rmsnorm_group_quant_kernelIDF16_DB8_Li128ELi16ELi2ELb1ELb1ELb0ELb1ELb0ELb0EEEvPT0_PvPT_S6_S6_PKS5_S8_S8_S8_S8_ffiiiiiiiiiiiii,@function
_ZN5aiter35fused_qk_rmsnorm_group_quant_kernelIDF16_DB8_Li128ELi16ELi2ELb1ELb1ELb0ELb1ELb0ELb0EEEvPT0_PvPT_S6_S6_PKS5_S8_S8_S8_S8_ffiiiiiiiiiiiii: ; @_ZN5aiter35fused_qk_rmsnorm_group_quant_kernelIDF16_DB8_Li128ELi16ELi2ELb1ELb1ELb0ELb1ELb0ELb0EEEvPT0_PvPT_S6_S6_PKS5_S8_S8_S8_S8_ffiiiiiiiiiiiii
; %bb.0:
	s_load_dwordx8 s[12:19], s[4:5], 0x50
	s_waitcnt lgkmcnt(0)
	s_cmp_ge_i32 s6, s14
	s_cbranch_scc1 .LBB701_17
; %bb.1:
	s_cmp_lg_u32 s7, 0
	s_cselect_b64 s[22:23], -1, 0
	s_cmp_eq_u32 s7, 0
	s_cselect_b64 s[2:3], -1, 0
	s_and_b64 s[0:1], s[2:3], exec
	s_cselect_b32 s7, s15, s16
	s_load_dwordx2 s[10:11], s[4:5], 0x30
	s_load_dwordx2 s[20:21], s[4:5], 0x48
	s_add_i32 s0, s7, 1
	s_lshr_b32 s1, s0, 31
	s_add_i32 s0, s0, s1
	s_lshl_b32 s0, s0, 1
	v_lshlrev_b32_e32 v1, 4, v0
	s_and_b32 s30, s0, -4
	v_cmp_gt_i32_e64 s[0:1], s7, v1
	v_mov_b32_e32 v6, 0
	v_mov_b32_e32 v7, 0
	;; [unrolled: 1-line block ×16, first 2 shown]
	s_and_saveexec_b64 s[8:9], s[0:1]
	s_cbranch_execz .LBB701_3
; %bb.2:
	s_load_dwordx2 s[14:15], s[4:5], 0x28
	s_load_dwordx2 s[26:27], s[4:5], 0x40
	s_and_b64 s[24:25], s[2:3], exec
	s_cselect_b32 s17, s17, s18
	s_mov_b32 s31, 0x20000
	s_waitcnt lgkmcnt(0)
	s_cselect_b32 s25, s15, s11
	s_cselect_b32 s24, s14, s10
	s_mul_hi_i32 s15, s17, s6
	s_mul_i32 s14, s17, s6
	s_lshl_b64 s[14:15], s[14:15], 1
	s_add_u32 s24, s24, s14
	s_addc_u32 s17, s25, s15
	s_and_b64 s[14:15], s[2:3], exec
	s_cselect_b32 s28, s26, s20
	s_cselect_b32 s14, s27, s21
	s_and_b32 s25, s17, 0xffff
	s_mov_b32 s26, s30
	s_mov_b32 s27, s31
	v_lshlrev_b32_e32 v18, 5, v0
	s_and_b32 s29, s14, 0xffff
	buffer_load_dwordx4 v[10:13], v18, s[24:27], 0 offen
	buffer_load_dwordx4 v[14:17], v18, s[24:27], 16 offen
	;; [unrolled: 1-line block ×4, first 2 shown]
.LBB701_3:
	s_or_b64 exec, exec, s[8:9]
	s_load_dwordx4 s[24:27], s[4:5], 0x7c
	s_and_b64 vcc, exec, s[22:23]
	s_cbranch_vccz .LBB701_7
; %bb.4:
	v_mov_b32_e32 v19, 0
	v_mov_b32_e32 v18, 0
	;; [unrolled: 1-line block ×16, first 2 shown]
	s_and_saveexec_b64 s[8:9], s[0:1]
	s_cbranch_execz .LBB701_6
; %bb.5:
	s_waitcnt vmcnt(3)
	v_cvt_f32_f16_sdwa v33, v10 dst_sel:DWORD dst_unused:UNUSED_PAD src0_sel:WORD_1
	v_cvt_f32_f16_e32 v32, v10
	v_cvt_f32_f16_sdwa v31, v11 dst_sel:DWORD dst_unused:UNUSED_PAD src0_sel:WORD_1
	v_cvt_f32_f16_e32 v30, v11
	;; [unrolled: 2-line block ×4, first 2 shown]
	s_waitcnt vmcnt(2)
	v_cvt_f32_f16_sdwa v25, v14 dst_sel:DWORD dst_unused:UNUSED_PAD src0_sel:WORD_1
	v_cvt_f32_f16_e32 v24, v14
	v_cvt_f32_f16_sdwa v23, v15 dst_sel:DWORD dst_unused:UNUSED_PAD src0_sel:WORD_1
	v_cvt_f32_f16_e32 v22, v15
	;; [unrolled: 2-line block ×4, first 2 shown]
.LBB701_6:
	s_or_b64 exec, exec, s[8:9]
	s_cbranch_execz .LBB701_8
	s_branch .LBB701_11
.LBB701_7:
                                        ; implicit-def: $vgpr19
                                        ; implicit-def: $vgpr21
                                        ; implicit-def: $vgpr23
                                        ; implicit-def: $vgpr25
                                        ; implicit-def: $vgpr29
                                        ; implicit-def: $vgpr27
                                        ; implicit-def: $vgpr31
                                        ; implicit-def: $vgpr33
.LBB701_8:
	v_mov_b32_e32 v19, 0
	v_mov_b32_e32 v18, 0
	;; [unrolled: 1-line block ×16, first 2 shown]
	s_and_saveexec_b64 s[8:9], s[0:1]
	s_cbranch_execz .LBB701_10
; %bb.9:
	s_load_dwordx2 s[14:15], s[4:5], 0x38
	s_mul_hi_i32 s29, s19, s6
	s_mul_i32 s28, s19, s6
	s_lshl_b64 s[28:29], s[28:29], 1
	s_mov_b32 s31, 0x20000
	s_waitcnt lgkmcnt(0)
	s_add_u32 s28, s14, s28
	s_addc_u32 s14, s15, s29
	s_and_b32 s29, s14, 0xffff
	v_lshlrev_b32_e32 v48, 5, v0
	buffer_load_dwordx4 v[18:21], v48, s[28:31], 16 offen
	buffer_load_dwordx4 v[22:25], v48, s[28:31], 0 offen
	s_waitcnt vmcnt(4)
	v_cvt_f32_f16_sdwa v27, v14 dst_sel:DWORD dst_unused:UNUSED_PAD src0_sel:WORD_1
	v_cvt_f32_f16_e32 v26, v14
	v_cvt_f32_f16_sdwa v29, v15 dst_sel:DWORD dst_unused:UNUSED_PAD src0_sel:WORD_1
	v_cvt_f32_f16_e32 v28, v15
	;; [unrolled: 2-line block ×8, first 2 shown]
	s_load_dwordx2 s[14:15], s[4:5], 0x20
	s_mul_hi_i32 s27, s26, s6
	s_mul_i32 s26, s26, s6
	s_lshl_b64 s[26:27], s[26:27], 1
	s_waitcnt lgkmcnt(0)
	s_add_u32 s28, s14, s26
	s_addc_u32 s14, s15, s27
	s_and_b32 s29, s14, 0xffff
	s_waitcnt vmcnt(1)
	v_cvt_f32_f16_e32 v12, v18
	v_cvt_f32_f16_sdwa v13, v18 dst_sel:DWORD dst_unused:UNUSED_PAD src0_sel:WORD_1
	v_cvt_f32_f16_e32 v18, v19
	v_cvt_f32_f16_sdwa v19, v19 dst_sel:DWORD dst_unused:UNUSED_PAD src0_sel:WORD_1
	;; [unrolled: 2-line block ×4, first 2 shown]
	s_waitcnt vmcnt(0)
	v_cvt_f32_f16_e32 v40, v22
	v_cvt_f32_f16_sdwa v41, v22 dst_sel:DWORD dst_unused:UNUSED_PAD src0_sel:WORD_1
	v_cvt_f32_f16_e32 v42, v23
	v_cvt_f32_f16_sdwa v43, v23 dst_sel:DWORD dst_unused:UNUSED_PAD src0_sel:WORD_1
	v_cvt_f32_f16_e32 v44, v24
	v_cvt_f32_f16_sdwa v45, v24 dst_sel:DWORD dst_unused:UNUSED_PAD src0_sel:WORD_1
	v_cvt_f32_f16_e32 v46, v25
	v_cvt_f32_f16_sdwa v47, v25 dst_sel:DWORD dst_unused:UNUSED_PAD src0_sel:WORD_1
	v_pk_add_f32 v[24:25], v[26:27], v[12:13]
	v_pk_add_f32 v[22:23], v[28:29], v[18:19]
	;; [unrolled: 1-line block ×8, first 2 shown]
	v_cvt_f16_f32_e32 v10, v33
	v_cvt_f16_f32_e32 v14, v32
	;; [unrolled: 1-line block ×16, first 2 shown]
	v_pack_b32_f16 v13, v17, v13
	v_pack_b32_f16 v12, v16, v12
	;; [unrolled: 1-line block ×8, first 2 shown]
	buffer_store_dwordx4 v[10:13], v48, s[28:31], 0 offen
	;;#ASMSTART
	s_nop 0
	;;#ASMEND
	buffer_store_dwordx4 v[14:17], v48, s[28:31], 16 offen
	;;#ASMSTART
	s_nop 0
	;;#ASMEND
.LBB701_10:
	s_or_b64 exec, exec, s[8:9]
.LBB701_11:
	s_waitcnt vmcnt(3)
	v_mul_f32_e32 v10, v33, v33
	v_fmac_f32_e32 v10, v32, v32
	v_fmac_f32_e32 v10, v30, v30
	;; [unrolled: 1-line block ×15, first 2 shown]
	v_and_b32_e32 v12, 63, v0
	v_cmp_eq_u32_e64 s[8:9], 63, v12
	v_mov_b32_dpp v11, v10 quad_perm:[1,0,3,2] row_mask:0xf bank_mask:0xf
	v_add_f32_e32 v10, v10, v11
	s_nop 1
	v_mov_b32_dpp v11, v10 quad_perm:[2,3,0,1] row_mask:0xf bank_mask:0xf
	v_add_f32_e32 v10, v10, v11
	s_nop 1
	v_mov_b32_dpp v11, v10 row_half_mirror row_mask:0xf bank_mask:0xf
	v_add_f32_e32 v10, v10, v11
	s_nop 1
	v_mov_b32_dpp v11, v10 row_mirror row_mask:0xf bank_mask:0xf
	v_add_f32_e32 v10, v10, v11
	s_nop 1
	v_mov_b32_dpp v11, v10 row_bcast:15 row_mask:0xf bank_mask:0xf
	v_add_f32_e32 v10, v10, v11
	s_nop 1
	v_mov_b32_dpp v11, v10 row_bcast:31 row_mask:0xf bank_mask:0xf
	s_and_saveexec_b64 s[14:15], s[8:9]
	s_cbranch_execz .LBB701_13
; %bb.12:
	v_add_f32_e32 v10, v10, v11
	v_lshrrev_b32_e32 v11, 4, v0
	v_and_b32_e32 v11, 60, v11
	ds_write_b32 v11, v10 offset:8
.LBB701_13:
	s_or_b64 exec, exec, s[14:15]
	v_and_b32_e32 v10, 1, v0
	v_lshlrev_b32_e32 v34, 2, v10
	s_waitcnt lgkmcnt(0)
	s_barrier
	ds_read_b32 v10, v34 offset:8
	s_load_dwordx2 s[14:15], s[4:5], 0x18
	s_waitcnt lgkmcnt(0)
	v_mov_b32_dpp v11, v10 quad_perm:[1,0,3,2] row_mask:0xf bank_mask:0xf
	s_and_saveexec_b64 s[26:27], s[0:1]
	s_cbranch_execnz .LBB701_18
; %bb.14:
	s_or_b64 exec, exec, s[26:27]
	s_mov_b64 s[2:3], -1
	s_and_b64 vcc, exec, s[22:23]
	s_cbranch_vccnz .LBB701_19
.LBB701_15:
	s_andn2_b64 vcc, exec, s[2:3]
	s_cbranch_vccz .LBB701_22
.LBB701_16:
	s_cmp_lt_i32 s16, 1
	s_cbranch_scc0 .LBB701_25
.LBB701_17:
	s_endpgm
.LBB701_18:
	v_cvt_f32_u32_e32 v12, s7
	v_add_f32_e32 v10, v10, v11
	s_waitcnt vmcnt(2)
	v_mov_b32_e32 v14, s13
	v_mov_b32_e32 v15, s12
	v_div_scale_f32 v11, s[28:29], v12, v12, v10
	v_rcp_f32_e32 v13, v11
	v_cndmask_b32_e64 v14, v14, v15, s[2:3]
	s_mov_b32 s2, 0x800000
	s_waitcnt vmcnt(1)
	v_cvt_f32_f16_sdwa v37, v9 dst_sel:DWORD dst_unused:UNUSED_PAD src0_sel:WORD_1
	v_fma_f32 v15, -v11, v13, 1.0
	v_fmac_f32_e32 v13, v15, v13
	v_div_scale_f32 v15, vcc, v10, v12, v10
	v_mul_f32_e32 v16, v15, v13
	v_fma_f32 v17, -v11, v16, v15
	v_fmac_f32_e32 v16, v17, v13
	v_fma_f32 v11, -v11, v16, v15
	v_div_fmas_f32 v11, v11, v13, v16
	v_div_fixup_f32 v10, v11, v12, v10
	v_add_f32_e32 v10, v14, v10
	v_mul_f32_e32 v11, 0x4b800000, v10
	v_cmp_gt_f32_e32 vcc, s2, v10
	v_cndmask_b32_e32 v10, v10, v11, vcc
	v_rsq_f32_e32 v10, v10
	v_cvt_f32_f16_e32 v36, v9
	s_waitcnt vmcnt(0)
	v_cvt_f32_f16_sdwa v9, v3 dst_sel:DWORD dst_unused:UNUSED_PAD src0_sel:WORD_1
	v_mul_f32_e32 v11, 0x45800000, v10
	v_cndmask_b32_e32 v10, v10, v11, vcc
	v_mov_b32_e32 v11, v10
	;;#ASMSTART
	v_pk_mul_f32 v[12:13], v[32:33], v[10:11]
	;;#ASMEND
	;;#ASMSTART
	v_pk_mul_f32 v[14:15], v[30:31], v[10:11]
	;;#ASMEND
	;; [unrolled: 3-line block ×8, first 2 shown]
	v_cvt_f32_f16_sdwa v19, v6 dst_sel:DWORD dst_unused:UNUSED_PAD src0_sel:WORD_1
	v_cvt_f32_f16_e32 v18, v6
	v_cvt_f32_f16_sdwa v27, v7 dst_sel:DWORD dst_unused:UNUSED_PAD src0_sel:WORD_1
	v_cvt_f32_f16_e32 v26, v7
	;; [unrolled: 2-line block ×3, first 2 shown]
	;;#ASMSTART
	v_pk_mul_f32 v[32:33], v[12:13], v[18:19]
	;;#ASMEND
	;;#ASMSTART
	v_pk_mul_f32 v[30:31], v[14:15], v[26:27]
	;;#ASMEND
	;; [unrolled: 3-line block ×4, first 2 shown]
	v_cvt_f32_f16_sdwa v7, v2 dst_sel:DWORD dst_unused:UNUSED_PAD src0_sel:WORD_1
	v_cvt_f32_f16_e32 v6, v2
	v_cvt_f32_f16_e32 v8, v3
	v_cvt_f32_f16_sdwa v3, v4 dst_sel:DWORD dst_unused:UNUSED_PAD src0_sel:WORD_1
	v_cvt_f32_f16_e32 v2, v4
	v_cvt_f32_f16_sdwa v13, v5 dst_sel:DWORD dst_unused:UNUSED_PAD src0_sel:WORD_1
	v_cvt_f32_f16_e32 v12, v5
	;;#ASMSTART
	v_pk_mul_f32 v[24:25], v[24:25], v[6:7]
	;;#ASMEND
	;;#ASMSTART
	v_pk_mul_f32 v[22:23], v[22:23], v[8:9]
	;;#ASMEND
	;; [unrolled: 3-line block ×4, first 2 shown]
	s_or_b64 exec, exec, s[26:27]
	s_mov_b64 s[2:3], -1
	s_and_b64 vcc, exec, s[22:23]
	s_cbranch_vccz .LBB701_15
.LBB701_19:
	s_and_saveexec_b64 s[2:3], s[0:1]
	s_cbranch_execz .LBB701_21
; %bb.20:
	s_mul_hi_i32 s23, s25, s6
	s_mul_i32 s22, s25, s6
	s_waitcnt vmcnt(0)
	v_cvt_f16_f32_e32 v2, v32
	v_cvt_f16_f32_e32 v3, v30
	;; [unrolled: 1-line block ×8, first 2 shown]
	s_lshl_b64 s[22:23], s[22:23], 1
	s_add_u32 s28, s14, s22
	s_addc_u32 s7, s15, s23
	s_and_b32 s29, s7, 0xffff
	s_mov_b32 s31, 0x20000
	v_pack_b32_f16 v5, v5, v6
	v_pack_b32_f16 v4, v4, v7
	;; [unrolled: 1-line block ×4, first 2 shown]
	v_lshlrev_b32_e32 v6, 5, v0
	buffer_store_dwordx4 v[2:5], v6, s[28:31], 0 offen
	v_cvt_f16_f32_e32 v7, v19
	v_cvt_f16_f32_e32 v2, v24
	;; [unrolled: 1-line block ×8, first 2 shown]
	v_pack_b32_f16 v5, v5, v7
	v_pack_b32_f16 v4, v4, v8
	;; [unrolled: 1-line block ×4, first 2 shown]
	;;#ASMSTART
	s_nop 0
	;;#ASMEND
	buffer_store_dwordx4 v[2:5], v6, s[28:31], 16 offen
	;;#ASMSTART
	s_nop 0
	;;#ASMEND
.LBB701_21:
	s_or_b64 exec, exec, s[2:3]
	s_cbranch_execnz .LBB701_16
.LBB701_22:
	s_and_saveexec_b64 s[2:3], s[0:1]
	s_cbranch_execz .LBB701_24
; %bb.23:
	s_load_dwordx2 s[0:1], s[4:5], 0x10
	s_mul_hi_i32 s23, s24, s6
	s_mul_i32 s22, s24, s6
	s_waitcnt vmcnt(0)
	v_cvt_f16_f32_e32 v2, v32
	v_cvt_f16_f32_e32 v3, v30
	;; [unrolled: 1-line block ×8, first 2 shown]
	s_lshl_b64 s[22:23], s[22:23], 1
	s_waitcnt lgkmcnt(0)
	s_add_u32 s28, s0, s22
	s_addc_u32 s0, s1, s23
	s_mov_b32 s31, 0x20000
	s_and_b32 s29, s0, 0xffff
	v_pack_b32_f16 v5, v5, v6
	v_pack_b32_f16 v4, v4, v7
	;; [unrolled: 1-line block ×4, first 2 shown]
	v_lshlrev_b32_e32 v6, 5, v0
	buffer_store_dwordx4 v[2:5], v6, s[28:31], 0 offen
	v_cvt_f16_f32_e32 v7, v19
	v_cvt_f16_f32_e32 v2, v24
	;; [unrolled: 1-line block ×8, first 2 shown]
	v_pack_b32_f16 v5, v5, v7
	v_pack_b32_f16 v4, v4, v8
	;; [unrolled: 1-line block ×4, first 2 shown]
	;;#ASMSTART
	s_nop 0
	;;#ASMEND
	buffer_store_dwordx4 v[2:5], v6, s[28:31], 16 offen
	;;#ASMSTART
	s_nop 0
	;;#ASMEND
.LBB701_24:
	s_or_b64 exec, exec, s[2:3]
	s_cmp_lt_i32 s16, 1
	s_cbranch_scc1 .LBB701_17
.LBB701_25:
	s_load_dword s0, s[4:5], 0x94
	s_waitcnt lgkmcnt(0)
	s_cmp_lg_u32 s0, 1
	s_cbranch_scc1 .LBB701_17
; %bb.26:
	s_lshl_b32 s0, s16, 1
	s_add_i32 s0, s0, 2
	v_cmp_gt_u32_e32 vcc, s16, v1
	s_and_b32 s22, s0, -4
	v_mov_b32_e32 v18, 0
	v_lshlrev_b32_e32 v1, 5, v0
	s_waitcnt vmcnt(2)
	v_mov_b32_e32 v14, 0
	v_mov_b32_e32 v15, 0
	;; [unrolled: 1-line block ×8, first 2 shown]
	s_waitcnt vmcnt(1)
	v_mov_b32_e32 v6, 0
	v_mov_b32_e32 v7, 0
	;; [unrolled: 1-line block ×4, first 2 shown]
	s_waitcnt vmcnt(0)
	v_mov_b32_e32 v2, 0
	v_mov_b32_e32 v3, 0
	;; [unrolled: 1-line block ×4, first 2 shown]
	s_barrier
	s_and_saveexec_b64 s[0:1], vcc
	s_cbranch_execz .LBB701_28
; %bb.27:
	s_mul_hi_i32 s3, s18, s6
	s_mul_i32 s2, s18, s6
	s_and_b32 s21, s21, 0xffff
	s_lshl_b64 s[2:3], s[2:3], 1
	s_add_u32 s28, s10, s2
	s_mov_b32 s23, 0x20000
	s_addc_u32 s2, s11, s3
	s_and_b32 s29, s2, 0xffff
	s_mov_b32 s30, s22
	s_mov_b32 s31, s23
	buffer_load_dwordx4 v[14:17], v1, s[28:31], 0 offen
	buffer_load_dwordx4 v[10:13], v1, s[28:31], 16 offen
	;; [unrolled: 1-line block ×4, first 2 shown]
.LBB701_28:
	s_or_b64 exec, exec, s[0:1]
	v_mov_b32_e32 v19, 0
	v_mov_b32_e32 v32, 0
	;; [unrolled: 1-line block ×15, first 2 shown]
	s_and_saveexec_b64 s[0:1], vcc
	s_cbranch_execz .LBB701_30
; %bb.29:
	s_waitcnt vmcnt(3)
	v_cvt_f32_f16_sdwa v19, v14 dst_sel:DWORD dst_unused:UNUSED_PAD src0_sel:WORD_1
	v_cvt_f32_f16_e32 v18, v14
	v_cvt_f32_f16_sdwa v33, v15 dst_sel:DWORD dst_unused:UNUSED_PAD src0_sel:WORD_1
	v_cvt_f32_f16_e32 v32, v15
	;; [unrolled: 2-line block ×4, first 2 shown]
	s_waitcnt vmcnt(2)
	v_cvt_f32_f16_sdwa v27, v10 dst_sel:DWORD dst_unused:UNUSED_PAD src0_sel:WORD_1
	v_cvt_f32_f16_e32 v26, v10
	v_cvt_f32_f16_sdwa v25, v11 dst_sel:DWORD dst_unused:UNUSED_PAD src0_sel:WORD_1
	v_cvt_f32_f16_e32 v24, v11
	;; [unrolled: 2-line block ×4, first 2 shown]
.LBB701_30:
	s_or_b64 exec, exec, s[0:1]
	s_waitcnt vmcnt(2)
	v_mul_f32_e32 v10, v19, v19
	v_fmac_f32_e32 v10, v18, v18
	v_fmac_f32_e32 v10, v32, v32
	;; [unrolled: 1-line block ×15, first 2 shown]
	s_nop 1
	v_mov_b32_dpp v11, v10 quad_perm:[1,0,3,2] row_mask:0xf bank_mask:0xf
	v_add_f32_e32 v10, v10, v11
	s_nop 1
	v_mov_b32_dpp v11, v10 quad_perm:[2,3,0,1] row_mask:0xf bank_mask:0xf
	v_add_f32_e32 v10, v10, v11
	s_nop 1
	v_mov_b32_dpp v11, v10 row_half_mirror row_mask:0xf bank_mask:0xf
	v_add_f32_e32 v10, v10, v11
	s_nop 1
	v_mov_b32_dpp v11, v10 row_mirror row_mask:0xf bank_mask:0xf
	v_add_f32_e32 v10, v10, v11
	s_nop 1
	v_mov_b32_dpp v11, v10 row_bcast:15 row_mask:0xf bank_mask:0xf
	v_add_f32_e32 v10, v10, v11
	s_nop 1
	v_mov_b32_dpp v11, v10 row_bcast:31 row_mask:0xf bank_mask:0xf
	s_and_saveexec_b64 s[0:1], s[8:9]
	s_cbranch_execz .LBB701_32
; %bb.31:
	v_lshrrev_b32_e32 v0, 4, v0
	v_add_f32_e32 v10, v10, v11
	v_and_b32_e32 v0, 60, v0
	ds_write_b32 v0, v10
.LBB701_32:
	s_or_b64 exec, exec, s[0:1]
	s_waitcnt lgkmcnt(0)
	s_barrier
	ds_read_b32 v0, v34
	s_waitcnt lgkmcnt(0)
	s_nop 0
	v_mov_b32_dpp v10, v0 quad_perm:[1,0,3,2] row_mask:0xf bank_mask:0xf
	s_and_saveexec_b64 s[0:1], vcc
	s_cbranch_execz .LBB701_17
; %bb.33:
	v_cvt_f32_u32_e32 v11, s16
	v_add_f32_e32 v0, v0, v10
	s_mov_b32 s23, 0x20000
	v_div_scale_f32 v10, s[0:1], v11, v11, v0
	v_rcp_f32_e32 v12, v10
	v_div_scale_f32 v13, vcc, v0, v11, v0
	s_mov_b32 s0, 0x800000
	v_fma_f32 v14, -v10, v12, 1.0
	v_fmac_f32_e32 v12, v14, v12
	v_mul_f32_e32 v14, v13, v12
	v_fma_f32 v15, -v10, v14, v13
	v_fmac_f32_e32 v14, v15, v12
	v_fma_f32 v10, -v10, v14, v13
	v_div_fmas_f32 v10, v10, v12, v14
	v_div_fixup_f32 v0, v10, v11, v0
	v_add_f32_e32 v0, s13, v0
	v_mul_f32_e32 v10, 0x4b800000, v0
	v_cmp_gt_f32_e32 vcc, s0, v0
	v_cndmask_b32_e32 v0, v0, v10, vcc
	v_rsq_f32_e32 v0, v0
	s_mul_hi_i32 s1, s25, s6
	s_mul_i32 s0, s25, s6
	s_lshl_b64 s[0:1], s[0:1], 1
	v_mul_f32_e32 v10, 0x45800000, v0
	v_cndmask_b32_e32 v10, v0, v10, vcc
	v_mov_b32_e32 v11, v10
	;;#ASMSTART
	v_pk_mul_f32 v[12:13], v[18:19], v[10:11]
	;;#ASMEND
	;;#ASMSTART
	v_pk_mul_f32 v[14:15], v[32:33], v[10:11]
	;;#ASMEND
	;; [unrolled: 3-line block ×8, first 2 shown]
	s_waitcnt vmcnt(1)
	v_cvt_f32_f16_sdwa v21, v6 dst_sel:DWORD dst_unused:UNUSED_PAD src0_sel:WORD_1
	v_cvt_f32_f16_e32 v20, v6
	v_cvt_f32_f16_sdwa v29, v7 dst_sel:DWORD dst_unused:UNUSED_PAD src0_sel:WORD_1
	v_cvt_f32_f16_e32 v28, v7
	;; [unrolled: 2-line block ×4, first 2 shown]
	;;#ASMSTART
	v_pk_mul_f32 v[8:9], v[12:13], v[20:21]
	;;#ASMEND
	;;#ASMSTART
	v_pk_mul_f32 v[12:13], v[14:15], v[28:29]
	;;#ASMEND
	;; [unrolled: 3-line block ×4, first 2 shown]
	s_waitcnt vmcnt(0)
	v_cvt_f32_f16_sdwa v17, v2 dst_sel:DWORD dst_unused:UNUSED_PAD src0_sel:WORD_1
	v_cvt_f32_f16_e32 v16, v2
	v_cvt_f32_f16_sdwa v19, v3 dst_sel:DWORD dst_unused:UNUSED_PAD src0_sel:WORD_1
	v_cvt_f32_f16_e32 v18, v3
	v_cvt_f32_f16_sdwa v3, v4 dst_sel:DWORD dst_unused:UNUSED_PAD src0_sel:WORD_1
	v_cvt_f32_f16_e32 v2, v4
	v_cvt_f32_f16_sdwa v21, v5 dst_sel:DWORD dst_unused:UNUSED_PAD src0_sel:WORD_1
	v_cvt_f32_f16_e32 v20, v5
	;;#ASMSTART
	v_pk_mul_f32 v[16:17], v[26:27], v[16:17]
	;;#ASMEND
	;;#ASMSTART
	v_pk_mul_f32 v[18:19], v[24:25], v[18:19]
	;;#ASMEND
	;; [unrolled: 3-line block ×3, first 2 shown]
	v_cvt_f16_f32_e32 v0, v8
	v_cvt_f16_f32_e32 v2, v9
	;; [unrolled: 1-line block ×8, first 2 shown]
	s_add_u32 s20, s14, s0
	s_addc_u32 s0, s15, s1
	s_and_b32 s21, s0, 0xffff
	v_pack_b32_f16 v2, v0, v2
	v_pack_b32_f16 v3, v3, v4
	;; [unrolled: 1-line block ×4, first 2 shown]
	;;#ASMSTART
	v_pk_mul_f32 v[10:11], v[10:11], v[20:21]
	;;#ASMEND
	buffer_store_dwordx4 v[2:5], v1, s[20:23], 0 offen
	v_cvt_f16_f32_e32 v0, v16
	v_cvt_f16_f32_e32 v2, v17
	;; [unrolled: 1-line block ×8, first 2 shown]
	v_pack_b32_f16 v2, v0, v2
	v_pack_b32_f16 v3, v3, v4
	;; [unrolled: 1-line block ×4, first 2 shown]
	;;#ASMSTART
	s_nop 0
	;;#ASMEND
	buffer_store_dwordx4 v[2:5], v1, s[20:23], 16 offen
	;;#ASMSTART
	s_nop 0
	;;#ASMEND
	s_endpgm
	.section	.rodata,"a",@progbits
	.p2align	6, 0x0
	.amdhsa_kernel _ZN5aiter35fused_qk_rmsnorm_group_quant_kernelIDF16_DB8_Li128ELi16ELi2ELb1ELb1ELb0ELb1ELb0ELb0EEEvPT0_PvPT_S6_S6_PKS5_S8_S8_S8_S8_ffiiiiiiiiiiiii
		.amdhsa_group_segment_fixed_size 16
		.amdhsa_private_segment_fixed_size 0
		.amdhsa_kernarg_size 400
		.amdhsa_user_sgpr_count 6
		.amdhsa_user_sgpr_private_segment_buffer 1
		.amdhsa_user_sgpr_dispatch_ptr 0
		.amdhsa_user_sgpr_queue_ptr 0
		.amdhsa_user_sgpr_kernarg_segment_ptr 1
		.amdhsa_user_sgpr_dispatch_id 0
		.amdhsa_user_sgpr_flat_scratch_init 0
		.amdhsa_user_sgpr_kernarg_preload_length 0
		.amdhsa_user_sgpr_kernarg_preload_offset 0
		.amdhsa_user_sgpr_private_segment_size 0
		.amdhsa_uses_dynamic_stack 0
		.amdhsa_system_sgpr_private_segment_wavefront_offset 0
		.amdhsa_system_sgpr_workgroup_id_x 1
		.amdhsa_system_sgpr_workgroup_id_y 1
		.amdhsa_system_sgpr_workgroup_id_z 0
		.amdhsa_system_sgpr_workgroup_info 0
		.amdhsa_system_vgpr_workitem_id 0
		.amdhsa_next_free_vgpr 49
		.amdhsa_next_free_sgpr 32
		.amdhsa_accum_offset 52
		.amdhsa_reserve_vcc 1
		.amdhsa_reserve_flat_scratch 0
		.amdhsa_float_round_mode_32 0
		.amdhsa_float_round_mode_16_64 0
		.amdhsa_float_denorm_mode_32 3
		.amdhsa_float_denorm_mode_16_64 3
		.amdhsa_dx10_clamp 1
		.amdhsa_ieee_mode 1
		.amdhsa_fp16_overflow 0
		.amdhsa_tg_split 0
		.amdhsa_exception_fp_ieee_invalid_op 0
		.amdhsa_exception_fp_denorm_src 0
		.amdhsa_exception_fp_ieee_div_zero 0
		.amdhsa_exception_fp_ieee_overflow 0
		.amdhsa_exception_fp_ieee_underflow 0
		.amdhsa_exception_fp_ieee_inexact 0
		.amdhsa_exception_int_div_zero 0
	.end_amdhsa_kernel
	.section	.text._ZN5aiter35fused_qk_rmsnorm_group_quant_kernelIDF16_DB8_Li128ELi16ELi2ELb1ELb1ELb0ELb1ELb0ELb0EEEvPT0_PvPT_S6_S6_PKS5_S8_S8_S8_S8_ffiiiiiiiiiiiii,"axG",@progbits,_ZN5aiter35fused_qk_rmsnorm_group_quant_kernelIDF16_DB8_Li128ELi16ELi2ELb1ELb1ELb0ELb1ELb0ELb0EEEvPT0_PvPT_S6_S6_PKS5_S8_S8_S8_S8_ffiiiiiiiiiiiii,comdat
.Lfunc_end701:
	.size	_ZN5aiter35fused_qk_rmsnorm_group_quant_kernelIDF16_DB8_Li128ELi16ELi2ELb1ELb1ELb0ELb1ELb0ELb0EEEvPT0_PvPT_S6_S6_PKS5_S8_S8_S8_S8_ffiiiiiiiiiiiii, .Lfunc_end701-_ZN5aiter35fused_qk_rmsnorm_group_quant_kernelIDF16_DB8_Li128ELi16ELi2ELb1ELb1ELb0ELb1ELb0ELb0EEEvPT0_PvPT_S6_S6_PKS5_S8_S8_S8_S8_ffiiiiiiiiiiiii
                                        ; -- End function
	.section	.AMDGPU.csdata,"",@progbits
; Kernel info:
; codeLenInByte = 3448
; NumSgprs: 36
; NumVgprs: 49
; NumAgprs: 0
; TotalNumVgprs: 49
; ScratchSize: 0
; MemoryBound: 0
; FloatMode: 240
; IeeeMode: 1
; LDSByteSize: 16 bytes/workgroup (compile time only)
; SGPRBlocks: 4
; VGPRBlocks: 6
; NumSGPRsForWavesPerEU: 36
; NumVGPRsForWavesPerEU: 49
; AccumOffset: 52
; Occupancy: 8
; WaveLimiterHint : 0
; COMPUTE_PGM_RSRC2:SCRATCH_EN: 0
; COMPUTE_PGM_RSRC2:USER_SGPR: 6
; COMPUTE_PGM_RSRC2:TRAP_HANDLER: 0
; COMPUTE_PGM_RSRC2:TGID_X_EN: 1
; COMPUTE_PGM_RSRC2:TGID_Y_EN: 1
; COMPUTE_PGM_RSRC2:TGID_Z_EN: 0
; COMPUTE_PGM_RSRC2:TIDIG_COMP_CNT: 0
; COMPUTE_PGM_RSRC3_GFX90A:ACCUM_OFFSET: 12
; COMPUTE_PGM_RSRC3_GFX90A:TG_SPLIT: 0
	.section	.text._ZN5aiter35fused_qk_rmsnorm_group_quant_kernelItDB8_Li128ELi16ELi2ELb1ELb1ELb0ELb1ELb0ELb0EEEvPT0_PvPT_S6_S6_PKS5_S8_S8_S8_S8_ffiiiiiiiiiiiii,"axG",@progbits,_ZN5aiter35fused_qk_rmsnorm_group_quant_kernelItDB8_Li128ELi16ELi2ELb1ELb1ELb0ELb1ELb0ELb0EEEvPT0_PvPT_S6_S6_PKS5_S8_S8_S8_S8_ffiiiiiiiiiiiii,comdat
	.protected	_ZN5aiter35fused_qk_rmsnorm_group_quant_kernelItDB8_Li128ELi16ELi2ELb1ELb1ELb0ELb1ELb0ELb0EEEvPT0_PvPT_S6_S6_PKS5_S8_S8_S8_S8_ffiiiiiiiiiiiii ; -- Begin function _ZN5aiter35fused_qk_rmsnorm_group_quant_kernelItDB8_Li128ELi16ELi2ELb1ELb1ELb0ELb1ELb0ELb0EEEvPT0_PvPT_S6_S6_PKS5_S8_S8_S8_S8_ffiiiiiiiiiiiii
	.globl	_ZN5aiter35fused_qk_rmsnorm_group_quant_kernelItDB8_Li128ELi16ELi2ELb1ELb1ELb0ELb1ELb0ELb0EEEvPT0_PvPT_S6_S6_PKS5_S8_S8_S8_S8_ffiiiiiiiiiiiii
	.p2align	8
	.type	_ZN5aiter35fused_qk_rmsnorm_group_quant_kernelItDB8_Li128ELi16ELi2ELb1ELb1ELb0ELb1ELb0ELb0EEEvPT0_PvPT_S6_S6_PKS5_S8_S8_S8_S8_ffiiiiiiiiiiiii,@function
_ZN5aiter35fused_qk_rmsnorm_group_quant_kernelItDB8_Li128ELi16ELi2ELb1ELb1ELb0ELb1ELb0ELb0EEEvPT0_PvPT_S6_S6_PKS5_S8_S8_S8_S8_ffiiiiiiiiiiiii: ; @_ZN5aiter35fused_qk_rmsnorm_group_quant_kernelItDB8_Li128ELi16ELi2ELb1ELb1ELb0ELb1ELb0ELb0EEEvPT0_PvPT_S6_S6_PKS5_S8_S8_S8_S8_ffiiiiiiiiiiiii
; %bb.0:
	s_load_dwordx8 s[12:19], s[4:5], 0x50
	s_waitcnt lgkmcnt(0)
	s_cmp_ge_i32 s6, s14
	s_cbranch_scc1 .LBB702_17
; %bb.1:
	s_cmp_lg_u32 s7, 0
	s_cselect_b64 s[22:23], -1, 0
	s_cmp_eq_u32 s7, 0
	s_cselect_b64 s[2:3], -1, 0
	s_and_b64 s[0:1], s[2:3], exec
	s_cselect_b32 s7, s15, s16
	s_load_dwordx2 s[10:11], s[4:5], 0x30
	s_load_dwordx2 s[20:21], s[4:5], 0x48
	s_add_i32 s0, s7, 1
	s_lshr_b32 s1, s0, 31
	s_add_i32 s0, s0, s1
	s_lshl_b32 s0, s0, 1
	v_lshlrev_b32_e32 v1, 4, v0
	s_and_b32 s30, s0, -4
	v_cmp_gt_i32_e64 s[0:1], s7, v1
	v_mov_b32_e32 v76, 0
	v_mov_b32_e32 v77, 0
	;; [unrolled: 1-line block ×16, first 2 shown]
	s_and_saveexec_b64 s[8:9], s[0:1]
	s_cbranch_execz .LBB702_3
; %bb.2:
	s_load_dwordx2 s[14:15], s[4:5], 0x28
	s_load_dwordx2 s[26:27], s[4:5], 0x40
	s_and_b64 s[24:25], s[2:3], exec
	s_cselect_b32 s17, s17, s18
	s_mov_b32 s31, 0x20000
	s_waitcnt lgkmcnt(0)
	s_cselect_b32 s25, s15, s11
	s_cselect_b32 s24, s14, s10
	s_mul_hi_i32 s15, s17, s6
	s_mul_i32 s14, s17, s6
	s_lshl_b64 s[14:15], s[14:15], 1
	s_add_u32 s24, s24, s14
	s_addc_u32 s17, s25, s15
	s_and_b64 s[14:15], s[2:3], exec
	s_cselect_b32 s28, s26, s20
	s_cselect_b32 s14, s27, s21
	s_and_b32 s25, s17, 0xffff
	s_mov_b32 s26, s30
	s_mov_b32 s27, s31
	v_lshlrev_b32_e32 v2, 5, v0
	s_and_b32 s29, s14, 0xffff
	buffer_load_dwordx4 v[80:83], v2, s[24:27], 0 offen
	buffer_load_dwordx4 v[84:87], v2, s[24:27], 16 offen
	;; [unrolled: 1-line block ×4, first 2 shown]
.LBB702_3:
	s_or_b64 exec, exec, s[8:9]
	s_load_dwordx4 s[24:27], s[4:5], 0x7c
	s_and_b64 vcc, exec, s[22:23]
	s_cbranch_vccz .LBB702_7
; %bb.4:
	v_mov_b32_e32 v89, 0
	v_mov_b32_e32 v88, 0
	;; [unrolled: 1-line block ×16, first 2 shown]
	s_and_saveexec_b64 s[8:9], s[0:1]
	s_cbranch_execz .LBB702_6
; %bb.5:
	s_waitcnt vmcnt(3)
	v_cvt_f32_u32_sdwa v18, v80 dst_sel:DWORD dst_unused:UNUSED_PAD src0_sel:WORD_0
	v_cvt_f32_u32_sdwa v19, v80 dst_sel:DWORD dst_unused:UNUSED_PAD src0_sel:WORD_1
	v_cvt_f32_u32_sdwa v4, v81 dst_sel:DWORD dst_unused:UNUSED_PAD src0_sel:WORD_0
	v_cvt_f32_u32_sdwa v5, v81 dst_sel:DWORD dst_unused:UNUSED_PAD src0_sel:WORD_1
	;; [unrolled: 2-line block ×4, first 2 shown]
	s_waitcnt vmcnt(2)
	v_cvt_f32_u32_sdwa v64, v84 dst_sel:DWORD dst_unused:UNUSED_PAD src0_sel:WORD_0
	v_cvt_f32_u32_sdwa v65, v84 dst_sel:DWORD dst_unused:UNUSED_PAD src0_sel:WORD_1
	v_cvt_f32_u32_sdwa v48, v85 dst_sel:DWORD dst_unused:UNUSED_PAD src0_sel:WORD_0
	v_cvt_f32_u32_sdwa v49, v85 dst_sel:DWORD dst_unused:UNUSED_PAD src0_sel:WORD_1
	;; [unrolled: 2-line block ×4, first 2 shown]
.LBB702_6:
	s_or_b64 exec, exec, s[8:9]
	s_cbranch_execz .LBB702_8
	s_branch .LBB702_11
.LBB702_7:
                                        ; implicit-def: $vgpr18_vgpr19_vgpr20_vgpr21_vgpr22_vgpr23_vgpr24_vgpr25_vgpr26_vgpr27_vgpr28_vgpr29_vgpr30_vgpr31_vgpr32_vgpr33
                                        ; implicit-def: $vgpr50_vgpr51_vgpr52_vgpr53_vgpr54_vgpr55_vgpr56_vgpr57_vgpr58_vgpr59_vgpr60_vgpr61_vgpr62_vgpr63_vgpr64_vgpr65
                                        ; implicit-def: $vgpr30_vgpr31_vgpr32_vgpr33_vgpr34_vgpr35_vgpr36_vgpr37_vgpr38_vgpr39_vgpr40_vgpr41_vgpr42_vgpr43_vgpr44_vgpr45
                                        ; implicit-def: $vgpr89
                                        ; implicit-def: $vgpr2_vgpr3_vgpr4_vgpr5_vgpr6_vgpr7_vgpr8_vgpr9_vgpr10_vgpr11_vgpr12_vgpr13_vgpr14_vgpr15_vgpr16_vgpr17
                                        ; implicit-def: $vgpr56_vgpr57_vgpr58_vgpr59_vgpr60_vgpr61_vgpr62_vgpr63_vgpr64_vgpr65_vgpr66_vgpr67_vgpr68_vgpr69_vgpr70_vgpr71
                                        ; implicit-def: $vgpr38_vgpr39_vgpr40_vgpr41_vgpr42_vgpr43_vgpr44_vgpr45_vgpr46_vgpr47_vgpr48_vgpr49_vgpr50_vgpr51_vgpr52_vgpr53
                                        ; implicit-def: $vgpr20_vgpr21_vgpr22_vgpr23_vgpr24_vgpr25_vgpr26_vgpr27_vgpr28_vgpr29_vgpr30_vgpr31_vgpr32_vgpr33_vgpr34_vgpr35
.LBB702_8:
	v_mov_b32_e32 v89, 0
	v_mov_b32_e32 v88, 0
	v_mov_b32_e32 v33, 0
	v_mov_b32_e32 v32, 0
	v_mov_b32_e32 v49, 0
	v_mov_b32_e32 v48, 0
	v_mov_b32_e32 v65, 0
	v_mov_b32_e32 v64, 0
	v_mov_b32_e32 v37, 0
	v_mov_b32_e32 v36, 0
	v_mov_b32_e32 v55, 0
	v_mov_b32_e32 v54, 0
	v_mov_b32_e32 v5, 0
	v_mov_b32_e32 v4, 0
	v_mov_b32_e32 v19, 0
	v_mov_b32_e32 v18, 0
	s_and_saveexec_b64 s[8:9], s[0:1]
	s_cbranch_execz .LBB702_10
; %bb.9:
	s_load_dwordx2 s[14:15], s[4:5], 0x38
	s_mul_hi_i32 s29, s19, s6
	s_mul_i32 s28, s19, s6
	s_lshl_b64 s[28:29], s[28:29], 1
	s_mov_b32 s31, 0x20000
	s_waitcnt lgkmcnt(0)
	s_add_u32 s28, s14, s28
	s_addc_u32 s14, s15, s29
	s_and_b32 s29, s14, 0xffff
	v_lshlrev_b32_e32 v38, 5, v0
	buffer_load_dwordx4 v[4:7], v38, s[28:31], 16 offen
	buffer_load_dwordx4 v[8:11], v38, s[28:31], 0 offen
	s_load_dwordx2 s[14:15], s[4:5], 0x20
	s_waitcnt vmcnt(5)
	v_cvt_f32_u32_sdwa v19, v80 dst_sel:DWORD dst_unused:UNUSED_PAD src0_sel:WORD_1
	v_cvt_f32_u32_sdwa v18, v80 dst_sel:DWORD dst_unused:UNUSED_PAD src0_sel:WORD_0
	v_cvt_f32_u32_sdwa v21, v81 dst_sel:DWORD dst_unused:UNUSED_PAD src0_sel:WORD_1
	v_cvt_f32_u32_sdwa v20, v81 dst_sel:DWORD dst_unused:UNUSED_PAD src0_sel:WORD_0
	;; [unrolled: 2-line block ×4, first 2 shown]
	s_waitcnt vmcnt(4)
	v_cvt_f32_u32_sdwa v3, v84 dst_sel:DWORD dst_unused:UNUSED_PAD src0_sel:WORD_1
	v_cvt_f32_u32_sdwa v2, v84 dst_sel:DWORD dst_unused:UNUSED_PAD src0_sel:WORD_0
	v_cvt_f32_u32_sdwa v13, v85 dst_sel:DWORD dst_unused:UNUSED_PAD src0_sel:WORD_1
	v_cvt_f32_u32_sdwa v12, v85 dst_sel:DWORD dst_unused:UNUSED_PAD src0_sel:WORD_0
	;; [unrolled: 2-line block ×3, first 2 shown]
	v_cvt_f32_u32_sdwa v16, v87 dst_sel:DWORD dst_unused:UNUSED_PAD src0_sel:WORD_0
	v_cvt_f32_u32_sdwa v17, v87 dst_sel:DWORD dst_unused:UNUSED_PAD src0_sel:WORD_1
	s_mul_hi_i32 s27, s26, s6
	s_mul_i32 s26, s26, s6
	s_lshl_b64 s[26:27], s[26:27], 1
	s_waitcnt lgkmcnt(0)
	s_add_u32 s28, s14, s26
	s_mov_b32 s17, 0x7060302
	s_addc_u32 s14, s15, s27
	s_and_b32 s29, s14, 0xffff
	s_waitcnt vmcnt(1)
	v_cvt_f32_u32_sdwa v27, v4 dst_sel:DWORD dst_unused:UNUSED_PAD src0_sel:WORD_1
	v_cvt_f32_u32_sdwa v26, v4 dst_sel:DWORD dst_unused:UNUSED_PAD src0_sel:WORD_0
	v_cvt_f32_u32_sdwa v29, v5 dst_sel:DWORD dst_unused:UNUSED_PAD src0_sel:WORD_1
	v_cvt_f32_u32_sdwa v28, v5 dst_sel:DWORD dst_unused:UNUSED_PAD src0_sel:WORD_0
	v_cvt_f32_u32_sdwa v31, v6 dst_sel:DWORD dst_unused:UNUSED_PAD src0_sel:WORD_1
	v_cvt_f32_u32_sdwa v30, v6 dst_sel:DWORD dst_unused:UNUSED_PAD src0_sel:WORD_0
	v_cvt_f32_u32_sdwa v32, v7 dst_sel:DWORD dst_unused:UNUSED_PAD src0_sel:WORD_0
	v_cvt_f32_u32_sdwa v33, v7 dst_sel:DWORD dst_unused:UNUSED_PAD src0_sel:WORD_1
	s_waitcnt vmcnt(0)
	v_cvt_f32_u32_sdwa v35, v8 dst_sel:DWORD dst_unused:UNUSED_PAD src0_sel:WORD_1
	v_cvt_f32_u32_sdwa v34, v8 dst_sel:DWORD dst_unused:UNUSED_PAD src0_sel:WORD_0
	v_cvt_f32_u32_sdwa v5, v10 dst_sel:DWORD dst_unused:UNUSED_PAD src0_sel:WORD_1
	v_cvt_f32_u32_sdwa v4, v10 dst_sel:DWORD dst_unused:UNUSED_PAD src0_sel:WORD_0
	;; [unrolled: 2-line block ×4, first 2 shown]
	v_pk_add_f32 v[54:55], v[22:23], v[4:5]
	v_pk_add_f32 v[36:37], v[24:25], v[6:7]
	v_pk_add_f32 v[18:19], v[18:19], v[34:35]
	v_pk_add_f32 v[4:5], v[20:21], v[10:11]
	v_perm_b32 v9, v37, v36, s17
	v_perm_b32 v8, v55, v54, s17
	;; [unrolled: 1-line block ×4, first 2 shown]
	v_pk_add_f32 v[88:89], v[16:17], v[32:33]
	v_pk_add_f32 v[32:33], v[14:15], v[30:31]
	;; [unrolled: 1-line block ×4, first 2 shown]
	buffer_store_dwordx4 v[6:9], v38, s[28:31], 0 offen
	;;#ASMSTART
	s_nop 0
	;;#ASMEND
	s_nop 0
	v_perm_b32 v9, v89, v88, s17
	v_perm_b32 v8, v33, v32, s17
	;; [unrolled: 1-line block ×4, first 2 shown]
	buffer_store_dwordx4 v[6:9], v38, s[28:31], 16 offen
	;;#ASMSTART
	s_nop 0
	;;#ASMEND
.LBB702_10:
	s_or_b64 exec, exec, s[8:9]
.LBB702_11:
	v_mul_f32_e32 v2, v19, v19
	v_fmac_f32_e32 v2, v18, v18
	v_fmac_f32_e32 v2, v4, v4
	;; [unrolled: 1-line block ×15, first 2 shown]
	s_nop 1
	v_mov_b32_dpp v3, v2 quad_perm:[1,0,3,2] row_mask:0xf bank_mask:0xf
	v_add_f32_e32 v2, v2, v3
	s_nop 1
	v_mov_b32_dpp v3, v2 quad_perm:[2,3,0,1] row_mask:0xf bank_mask:0xf
	v_add_f32_e32 v2, v2, v3
	s_nop 1
	v_mov_b32_dpp v3, v2 row_half_mirror row_mask:0xf bank_mask:0xf
	v_add_f32_e32 v2, v2, v3
	s_nop 1
	v_mov_b32_dpp v3, v2 row_mirror row_mask:0xf bank_mask:0xf
	v_add_f32_e32 v2, v2, v3
	s_nop 1
	v_mov_b32_dpp v3, v2 row_bcast:15 row_mask:0xf bank_mask:0xf
	v_add_f32_e32 v2, v2, v3
	v_and_b32_e32 v3, 63, v0
	v_cmp_eq_u32_e64 s[8:9], 63, v3
	s_nop 0
	v_mov_b32_dpp v3, v2 row_bcast:31 row_mask:0xf bank_mask:0xf
	s_and_saveexec_b64 s[14:15], s[8:9]
	s_cbranch_execz .LBB702_13
; %bb.12:
	v_add_f32_e32 v2, v2, v3
	v_lshrrev_b32_e32 v3, 4, v0
	v_and_b32_e32 v3, 60, v3
	ds_write_b32 v3, v2 offset:8
.LBB702_13:
	s_or_b64 exec, exec, s[14:15]
	v_and_b32_e32 v2, 1, v0
	v_lshlrev_b32_e32 v34, 2, v2
	s_waitcnt lgkmcnt(0)
	s_barrier
	ds_read_b32 v2, v34 offset:8
	s_load_dwordx2 s[14:15], s[4:5], 0x18
	s_waitcnt lgkmcnt(0)
	v_mov_b32_dpp v3, v2 quad_perm:[1,0,3,2] row_mask:0xf bank_mask:0xf
	s_and_saveexec_b64 s[26:27], s[0:1]
	s_cbranch_execnz .LBB702_18
; %bb.14:
	s_or_b64 exec, exec, s[26:27]
	s_mov_b64 s[2:3], -1
	s_and_b64 vcc, exec, s[22:23]
	s_cbranch_vccnz .LBB702_19
.LBB702_15:
	s_andn2_b64 vcc, exec, s[2:3]
	s_cbranch_vccz .LBB702_22
.LBB702_16:
	s_cmp_lt_i32 s16, 1
	s_cbranch_scc0 .LBB702_25
.LBB702_17:
	s_endpgm
.LBB702_18:
	v_add_f32_e32 v2, v2, v3
	v_cvt_f32_u32_e32 v3, s7
	s_waitcnt vmcnt(1)
	v_cvt_f32_u32_sdwa v17, v76 dst_sel:DWORD dst_unused:UNUSED_PAD src0_sel:WORD_1
	v_cvt_f32_u32_sdwa v16, v76 dst_sel:DWORD dst_unused:UNUSED_PAD src0_sel:WORD_0
	v_cvt_f32_u32_sdwa v21, v77 dst_sel:DWORD dst_unused:UNUSED_PAD src0_sel:WORD_1
	v_div_scale_f32 v6, s[28:29], v3, v3, v2
	v_rcp_f32_e32 v7, v6
	v_cvt_f32_u32_sdwa v20, v77 dst_sel:DWORD dst_unused:UNUSED_PAD src0_sel:WORD_0
	s_waitcnt vmcnt(0)
	v_cvt_f32_u32_sdwa v25, v73 dst_sel:DWORD dst_unused:UNUSED_PAD src0_sel:WORD_1
	v_cvt_f32_u32_sdwa v24, v73 dst_sel:DWORD dst_unused:UNUSED_PAD src0_sel:WORD_0
	v_fma_f32 v8, -v6, v7, 1.0
	v_fmac_f32_e32 v7, v8, v7
	v_div_scale_f32 v8, vcc, v2, v3, v2
	v_mul_f32_e32 v9, v8, v7
	v_fma_f32 v10, -v6, v9, v8
	v_fmac_f32_e32 v9, v10, v7
	v_fma_f32 v6, -v6, v9, v8
	v_div_fmas_f32 v6, v6, v7, v9
	v_div_fixup_f32 v2, v6, v3, v2
	v_mov_b32_e32 v3, s13
	v_mov_b32_e32 v6, s12
	v_cndmask_b32_e64 v3, v3, v6, s[2:3]
	v_add_f32_e32 v2, v3, v2
	s_mov_b32 s2, 0x800000
	v_mul_f32_e32 v3, 0x4b800000, v2
	v_cmp_gt_f32_e32 vcc, s2, v2
	v_cndmask_b32_e32 v2, v2, v3, vcc
	v_rsq_f32_e32 v2, v2
	v_cvt_f32_u32_sdwa v27, v74 dst_sel:DWORD dst_unused:UNUSED_PAD src0_sel:WORD_1
	v_cvt_f32_u32_sdwa v26, v74 dst_sel:DWORD dst_unused:UNUSED_PAD src0_sel:WORD_0
	v_cvt_f32_u32_sdwa v29, v75 dst_sel:DWORD dst_unused:UNUSED_PAD src0_sel:WORD_1
	v_mul_f32_e32 v3, 0x45800000, v2
	v_cndmask_b32_e32 v2, v2, v3, vcc
	v_mov_b32_e32 v3, v2
	;;#ASMSTART
	v_pk_mul_f32 v[6:7], v[18:19], v[2:3]
	;;#ASMEND
	;;#ASMSTART
	v_pk_mul_f32 v[4:5], v[4:5], v[2:3]
	;;#ASMEND
	;; [unrolled: 3-line block ×10, first 2 shown]
	v_cvt_f32_u32_sdwa v7, v78 dst_sel:DWORD dst_unused:UNUSED_PAD src0_sel:WORD_1
	v_cvt_f32_u32_sdwa v6, v78 dst_sel:DWORD dst_unused:UNUSED_PAD src0_sel:WORD_0
	v_cvt_f32_u32_sdwa v17, v79 dst_sel:DWORD dst_unused:UNUSED_PAD src0_sel:WORD_1
	v_cvt_f32_u32_sdwa v16, v79 dst_sel:DWORD dst_unused:UNUSED_PAD src0_sel:WORD_0
	;; [unrolled: 2-line block ×3, first 2 shown]
	v_cvt_f32_u32_sdwa v28, v75 dst_sel:DWORD dst_unused:UNUSED_PAD src0_sel:WORD_0
	;;#ASMSTART
	v_pk_mul_f32 v[54:55], v[8:9], v[6:7]
	;;#ASMEND
	;;#ASMSTART
	v_pk_mul_f32 v[36:37], v[10:11], v[16:17]
	;;#ASMEND
	;; [unrolled: 3-line block ×6, first 2 shown]
	s_or_b64 exec, exec, s[26:27]
	s_mov_b64 s[2:3], -1
	s_and_b64 vcc, exec, s[22:23]
	s_cbranch_vccz .LBB702_15
.LBB702_19:
	s_and_saveexec_b64 s[2:3], s[0:1]
	s_cbranch_execz .LBB702_21
; %bb.20:
	s_mul_hi_i32 s23, s25, s6
	s_mul_i32 s22, s25, s6
	s_lshl_b64 s[22:23], s[22:23], 1
	s_add_u32 s28, s14, s22
	s_addc_u32 s7, s15, s23
	s_and_b32 s29, s7, 0xffff
	s_mov_b32 s7, 0x7060302
	s_mov_b32 s31, 0x20000
	v_perm_b32 v9, v37, v36, s7
	v_perm_b32 v8, v55, v54, s7
	;; [unrolled: 1-line block ×4, first 2 shown]
	v_lshlrev_b32_e32 v2, 5, v0
	buffer_store_dwordx4 v[6:9], v2, s[28:31], 0 offen
	;;#ASMSTART
	s_nop 0
	;;#ASMEND
	s_nop 0
	v_perm_b32 v9, v89, v88, s7
	v_perm_b32 v8, v33, v32, s7
	;; [unrolled: 1-line block ×4, first 2 shown]
	buffer_store_dwordx4 v[6:9], v2, s[28:31], 16 offen
	;;#ASMSTART
	s_nop 0
	;;#ASMEND
.LBB702_21:
	s_or_b64 exec, exec, s[2:3]
	s_cbranch_execnz .LBB702_16
.LBB702_22:
	s_and_saveexec_b64 s[2:3], s[0:1]
	s_cbranch_execz .LBB702_24
; %bb.23:
	s_load_dwordx2 s[0:1], s[4:5], 0x10
	s_mul_hi_i32 s23, s24, s6
	s_mul_i32 s22, s24, s6
	s_lshl_b64 s[22:23], s[22:23], 1
	s_mov_b32 s7, 0x7060302
	s_waitcnt lgkmcnt(0)
	s_add_u32 s28, s0, s22
	s_addc_u32 s0, s1, s23
	v_perm_b32 v7, v37, v36, s7
	v_perm_b32 v6, v55, v54, s7
	;; [unrolled: 1-line block ×4, first 2 shown]
	s_and_b32 s29, s0, 0xffff
	s_mov_b32 s31, 0x20000
	v_lshlrev_b32_e32 v8, 5, v0
	buffer_store_dwordx4 v[4:7], v8, s[28:31], 0 offen
	v_perm_b32 v3, v49, v48, s7
	v_perm_b32 v5, v89, v88, s7
	;; [unrolled: 1-line block ×4, first 2 shown]
	;;#ASMSTART
	s_nop 0
	;;#ASMEND
	buffer_store_dwordx4 v[2:5], v8, s[28:31], 16 offen
	;;#ASMSTART
	s_nop 0
	;;#ASMEND
.LBB702_24:
	s_or_b64 exec, exec, s[2:3]
	s_cmp_lt_i32 s16, 1
	s_cbranch_scc1 .LBB702_17
.LBB702_25:
	s_load_dword s0, s[4:5], 0x94
	s_waitcnt lgkmcnt(0)
	s_cmp_lg_u32 s0, 1
	s_cbranch_scc1 .LBB702_17
; %bb.26:
	s_lshl_b32 s0, s16, 1
	s_add_i32 s0, s0, 2
	v_cmp_gt_u32_e32 vcc, s16, v1
	s_and_b32 s22, s0, -4
	v_mov_b32_e32 v18, 0
	v_lshlrev_b32_e32 v1, 5, v0
	v_mov_b32_e32 v14, 0
	v_mov_b32_e32 v15, 0
	;; [unrolled: 1-line block ×16, first 2 shown]
	s_barrier
	s_and_saveexec_b64 s[0:1], vcc
	s_cbranch_execz .LBB702_28
; %bb.27:
	s_mul_hi_i32 s3, s18, s6
	s_mul_i32 s2, s18, s6
	s_and_b32 s21, s21, 0xffff
	s_lshl_b64 s[2:3], s[2:3], 1
	s_add_u32 s28, s10, s2
	s_mov_b32 s23, 0x20000
	s_addc_u32 s2, s11, s3
	s_and_b32 s29, s2, 0xffff
	s_mov_b32 s30, s22
	s_mov_b32 s31, s23
	buffer_load_dwordx4 v[14:17], v1, s[28:31], 0 offen
	buffer_load_dwordx4 v[10:13], v1, s[28:31], 16 offen
	;; [unrolled: 1-line block ×4, first 2 shown]
.LBB702_28:
	s_or_b64 exec, exec, s[0:1]
	v_mov_b32_e32 v19, 0
	v_mov_b32_e32 v32, 0
	;; [unrolled: 1-line block ×15, first 2 shown]
	s_and_saveexec_b64 s[0:1], vcc
	s_cbranch_execz .LBB702_30
; %bb.29:
	s_waitcnt vmcnt(3)
	v_cvt_f32_u32_sdwa v18, v14 dst_sel:DWORD dst_unused:UNUSED_PAD src0_sel:WORD_0
	v_cvt_f32_u32_sdwa v19, v14 dst_sel:DWORD dst_unused:UNUSED_PAD src0_sel:WORD_1
	v_cvt_f32_u32_sdwa v32, v15 dst_sel:DWORD dst_unused:UNUSED_PAD src0_sel:WORD_0
	v_cvt_f32_u32_sdwa v33, v15 dst_sel:DWORD dst_unused:UNUSED_PAD src0_sel:WORD_1
	;; [unrolled: 2-line block ×4, first 2 shown]
	s_waitcnt vmcnt(2)
	v_cvt_f32_u32_sdwa v26, v10 dst_sel:DWORD dst_unused:UNUSED_PAD src0_sel:WORD_0
	v_cvt_f32_u32_sdwa v27, v10 dst_sel:DWORD dst_unused:UNUSED_PAD src0_sel:WORD_1
	v_cvt_f32_u32_sdwa v24, v11 dst_sel:DWORD dst_unused:UNUSED_PAD src0_sel:WORD_0
	v_cvt_f32_u32_sdwa v25, v11 dst_sel:DWORD dst_unused:UNUSED_PAD src0_sel:WORD_1
	;; [unrolled: 2-line block ×4, first 2 shown]
.LBB702_30:
	s_or_b64 exec, exec, s[0:1]
	s_waitcnt vmcnt(2)
	v_mul_f32_e32 v10, v19, v19
	v_fmac_f32_e32 v10, v18, v18
	v_fmac_f32_e32 v10, v32, v32
	;; [unrolled: 1-line block ×15, first 2 shown]
	s_nop 1
	v_mov_b32_dpp v11, v10 quad_perm:[1,0,3,2] row_mask:0xf bank_mask:0xf
	v_add_f32_e32 v10, v10, v11
	s_nop 1
	v_mov_b32_dpp v11, v10 quad_perm:[2,3,0,1] row_mask:0xf bank_mask:0xf
	v_add_f32_e32 v10, v10, v11
	s_nop 1
	v_mov_b32_dpp v11, v10 row_half_mirror row_mask:0xf bank_mask:0xf
	v_add_f32_e32 v10, v10, v11
	s_nop 1
	v_mov_b32_dpp v11, v10 row_mirror row_mask:0xf bank_mask:0xf
	v_add_f32_e32 v10, v10, v11
	s_nop 1
	v_mov_b32_dpp v11, v10 row_bcast:15 row_mask:0xf bank_mask:0xf
	v_add_f32_e32 v10, v10, v11
	s_nop 1
	v_mov_b32_dpp v11, v10 row_bcast:31 row_mask:0xf bank_mask:0xf
	s_and_saveexec_b64 s[0:1], s[8:9]
	s_cbranch_execz .LBB702_32
; %bb.31:
	v_lshrrev_b32_e32 v0, 4, v0
	v_add_f32_e32 v10, v10, v11
	v_and_b32_e32 v0, 60, v0
	ds_write_b32 v0, v10
.LBB702_32:
	s_or_b64 exec, exec, s[0:1]
	s_waitcnt lgkmcnt(0)
	s_barrier
	ds_read_b32 v0, v34
	s_waitcnt lgkmcnt(0)
	s_nop 0
	v_mov_b32_dpp v10, v0 quad_perm:[1,0,3,2] row_mask:0xf bank_mask:0xf
	s_and_saveexec_b64 s[0:1], vcc
	s_cbranch_execz .LBB702_17
; %bb.33:
	v_cvt_f32_u32_e32 v11, s16
	v_add_f32_e32 v0, v0, v10
	s_mov_b32 s23, 0x20000
	v_div_scale_f32 v10, s[0:1], v11, v11, v0
	v_rcp_f32_e32 v12, v10
	v_div_scale_f32 v13, vcc, v0, v11, v0
	s_mov_b32 s0, 0x800000
	v_fma_f32 v14, -v10, v12, 1.0
	v_fmac_f32_e32 v12, v14, v12
	v_mul_f32_e32 v14, v13, v12
	v_fma_f32 v15, -v10, v14, v13
	v_fmac_f32_e32 v14, v15, v12
	v_fma_f32 v10, -v10, v14, v13
	v_div_fmas_f32 v10, v10, v12, v14
	v_div_fixup_f32 v0, v10, v11, v0
	v_add_f32_e32 v0, s13, v0
	v_mul_f32_e32 v10, 0x4b800000, v0
	v_cmp_gt_f32_e32 vcc, s0, v0
	v_cndmask_b32_e32 v0, v0, v10, vcc
	v_rsq_f32_e32 v0, v0
	s_mul_hi_i32 s1, s25, s6
	s_mul_i32 s0, s25, s6
	s_lshl_b64 s[0:1], s[0:1], 1
	v_mul_f32_e32 v10, 0x45800000, v0
	v_cndmask_b32_e32 v10, v0, v10, vcc
	v_mov_b32_e32 v11, v10
	s_add_u32 s20, s14, s0
	;;#ASMSTART
	v_pk_mul_f32 v[12:13], v[18:19], v[10:11]
	;;#ASMEND
	;;#ASMSTART
	v_pk_mul_f32 v[14:15], v[32:33], v[10:11]
	;;#ASMEND
	;; [unrolled: 3-line block ×8, first 2 shown]
	s_waitcnt vmcnt(1)
	v_cvt_f32_u32_sdwa v21, v6 dst_sel:DWORD dst_unused:UNUSED_PAD src0_sel:WORD_1
	v_cvt_f32_u32_sdwa v20, v6 dst_sel:DWORD dst_unused:UNUSED_PAD src0_sel:WORD_0
	v_cvt_f32_u32_sdwa v29, v7 dst_sel:DWORD dst_unused:UNUSED_PAD src0_sel:WORD_1
	v_cvt_f32_u32_sdwa v28, v7 dst_sel:DWORD dst_unused:UNUSED_PAD src0_sel:WORD_0
	;; [unrolled: 2-line block ×3, first 2 shown]
	s_addc_u32 s0, s15, s1
	v_cvt_f32_u32_sdwa v31, v9 dst_sel:DWORD dst_unused:UNUSED_PAD src0_sel:WORD_1
	v_cvt_f32_u32_sdwa v30, v9 dst_sel:DWORD dst_unused:UNUSED_PAD src0_sel:WORD_0
	;;#ASMSTART
	v_pk_mul_f32 v[8:9], v[12:13], v[20:21]
	;;#ASMEND
	;;#ASMSTART
	v_pk_mul_f32 v[12:13], v[14:15], v[28:29]
	;;#ASMEND
	;; [unrolled: 3-line block ×4, first 2 shown]
	s_waitcnt vmcnt(0)
	v_cvt_f32_u32_sdwa v17, v2 dst_sel:DWORD dst_unused:UNUSED_PAD src0_sel:WORD_1
	v_cvt_f32_u32_sdwa v16, v2 dst_sel:DWORD dst_unused:UNUSED_PAD src0_sel:WORD_0
	v_cvt_f32_u32_sdwa v19, v3 dst_sel:DWORD dst_unused:UNUSED_PAD src0_sel:WORD_1
	v_cvt_f32_u32_sdwa v18, v3 dst_sel:DWORD dst_unused:UNUSED_PAD src0_sel:WORD_0
	;; [unrolled: 2-line block ×3, first 2 shown]
	s_and_b32 s21, s0, 0xffff
	s_mov_b32 s0, 0x7060302
	v_cvt_f32_u32_sdwa v21, v5 dst_sel:DWORD dst_unused:UNUSED_PAD src0_sel:WORD_1
	v_cvt_f32_u32_sdwa v20, v5 dst_sel:DWORD dst_unused:UNUSED_PAD src0_sel:WORD_0
	;;#ASMSTART
	v_pk_mul_f32 v[16:17], v[26:27], v[16:17]
	;;#ASMEND
	;;#ASMSTART
	v_pk_mul_f32 v[18:19], v[24:25], v[18:19]
	;;#ASMEND
	;; [unrolled: 3-line block ×3, first 2 shown]
	v_perm_b32 v2, v9, v8, s0
	v_perm_b32 v3, v13, v12, s0
	;; [unrolled: 1-line block ×4, first 2 shown]
	;;#ASMSTART
	v_pk_mul_f32 v[10:11], v[10:11], v[20:21]
	;;#ASMEND
	buffer_store_dwordx4 v[2:5], v1, s[20:23], 0 offen
	;;#ASMSTART
	s_nop 0
	;;#ASMEND
	s_nop 0
	v_perm_b32 v2, v17, v16, s0
	v_perm_b32 v3, v19, v18, s0
	;; [unrolled: 1-line block ×4, first 2 shown]
	buffer_store_dwordx4 v[2:5], v1, s[20:23], 16 offen
	;;#ASMSTART
	s_nop 0
	;;#ASMEND
	s_endpgm
	.section	.rodata,"a",@progbits
	.p2align	6, 0x0
	.amdhsa_kernel _ZN5aiter35fused_qk_rmsnorm_group_quant_kernelItDB8_Li128ELi16ELi2ELb1ELb1ELb0ELb1ELb0ELb0EEEvPT0_PvPT_S6_S6_PKS5_S8_S8_S8_S8_ffiiiiiiiiiiiii
		.amdhsa_group_segment_fixed_size 16
		.amdhsa_private_segment_fixed_size 0
		.amdhsa_kernarg_size 400
		.amdhsa_user_sgpr_count 6
		.amdhsa_user_sgpr_private_segment_buffer 1
		.amdhsa_user_sgpr_dispatch_ptr 0
		.amdhsa_user_sgpr_queue_ptr 0
		.amdhsa_user_sgpr_kernarg_segment_ptr 1
		.amdhsa_user_sgpr_dispatch_id 0
		.amdhsa_user_sgpr_flat_scratch_init 0
		.amdhsa_user_sgpr_kernarg_preload_length 0
		.amdhsa_user_sgpr_kernarg_preload_offset 0
		.amdhsa_user_sgpr_private_segment_size 0
		.amdhsa_uses_dynamic_stack 0
		.amdhsa_system_sgpr_private_segment_wavefront_offset 0
		.amdhsa_system_sgpr_workgroup_id_x 1
		.amdhsa_system_sgpr_workgroup_id_y 1
		.amdhsa_system_sgpr_workgroup_id_z 0
		.amdhsa_system_sgpr_workgroup_info 0
		.amdhsa_system_vgpr_workitem_id 0
		.amdhsa_next_free_vgpr 90
		.amdhsa_next_free_sgpr 32
		.amdhsa_accum_offset 92
		.amdhsa_reserve_vcc 1
		.amdhsa_reserve_flat_scratch 0
		.amdhsa_float_round_mode_32 0
		.amdhsa_float_round_mode_16_64 0
		.amdhsa_float_denorm_mode_32 3
		.amdhsa_float_denorm_mode_16_64 3
		.amdhsa_dx10_clamp 1
		.amdhsa_ieee_mode 1
		.amdhsa_fp16_overflow 0
		.amdhsa_tg_split 0
		.amdhsa_exception_fp_ieee_invalid_op 0
		.amdhsa_exception_fp_denorm_src 0
		.amdhsa_exception_fp_ieee_div_zero 0
		.amdhsa_exception_fp_ieee_overflow 0
		.amdhsa_exception_fp_ieee_underflow 0
		.amdhsa_exception_fp_ieee_inexact 0
		.amdhsa_exception_int_div_zero 0
	.end_amdhsa_kernel
	.section	.text._ZN5aiter35fused_qk_rmsnorm_group_quant_kernelItDB8_Li128ELi16ELi2ELb1ELb1ELb0ELb1ELb0ELb0EEEvPT0_PvPT_S6_S6_PKS5_S8_S8_S8_S8_ffiiiiiiiiiiiii,"axG",@progbits,_ZN5aiter35fused_qk_rmsnorm_group_quant_kernelItDB8_Li128ELi16ELi2ELb1ELb1ELb0ELb1ELb0ELb0EEEvPT0_PvPT_S6_S6_PKS5_S8_S8_S8_S8_ffiiiiiiiiiiiii,comdat
.Lfunc_end702:
	.size	_ZN5aiter35fused_qk_rmsnorm_group_quant_kernelItDB8_Li128ELi16ELi2ELb1ELb1ELb0ELb1ELb0ELb0EEEvPT0_PvPT_S6_S6_PKS5_S8_S8_S8_S8_ffiiiiiiiiiiiii, .Lfunc_end702-_ZN5aiter35fused_qk_rmsnorm_group_quant_kernelItDB8_Li128ELi16ELi2ELb1ELb1ELb0ELb1ELb0ELb0EEEvPT0_PvPT_S6_S6_PKS5_S8_S8_S8_S8_ffiiiiiiiiiiiii
                                        ; -- End function
	.section	.AMDGPU.csdata,"",@progbits
; Kernel info:
; codeLenInByte = 3408
; NumSgprs: 36
; NumVgprs: 90
; NumAgprs: 0
; TotalNumVgprs: 90
; ScratchSize: 0
; MemoryBound: 0
; FloatMode: 240
; IeeeMode: 1
; LDSByteSize: 16 bytes/workgroup (compile time only)
; SGPRBlocks: 4
; VGPRBlocks: 11
; NumSGPRsForWavesPerEU: 36
; NumVGPRsForWavesPerEU: 90
; AccumOffset: 92
; Occupancy: 5
; WaveLimiterHint : 0
; COMPUTE_PGM_RSRC2:SCRATCH_EN: 0
; COMPUTE_PGM_RSRC2:USER_SGPR: 6
; COMPUTE_PGM_RSRC2:TRAP_HANDLER: 0
; COMPUTE_PGM_RSRC2:TGID_X_EN: 1
; COMPUTE_PGM_RSRC2:TGID_Y_EN: 1
; COMPUTE_PGM_RSRC2:TGID_Z_EN: 0
; COMPUTE_PGM_RSRC2:TIDIG_COMP_CNT: 0
; COMPUTE_PGM_RSRC3_GFX90A:ACCUM_OFFSET: 22
; COMPUTE_PGM_RSRC3_GFX90A:TG_SPLIT: 0
	.section	.text._ZN5aiter35fused_qk_rmsnorm_group_quant_kernelIDF16_N4opus5fp4_tELi128ELi16ELi2ELb1ELb1ELb0ELb1ELb0ELb0EEEvPT0_PvPT_S7_S7_PKS6_S9_S9_S9_S9_ffiiiiiiiiiiiii,"axG",@progbits,_ZN5aiter35fused_qk_rmsnorm_group_quant_kernelIDF16_N4opus5fp4_tELi128ELi16ELi2ELb1ELb1ELb0ELb1ELb0ELb0EEEvPT0_PvPT_S7_S7_PKS6_S9_S9_S9_S9_ffiiiiiiiiiiiii,comdat
	.protected	_ZN5aiter35fused_qk_rmsnorm_group_quant_kernelIDF16_N4opus5fp4_tELi128ELi16ELi2ELb1ELb1ELb0ELb1ELb0ELb0EEEvPT0_PvPT_S7_S7_PKS6_S9_S9_S9_S9_ffiiiiiiiiiiiii ; -- Begin function _ZN5aiter35fused_qk_rmsnorm_group_quant_kernelIDF16_N4opus5fp4_tELi128ELi16ELi2ELb1ELb1ELb0ELb1ELb0ELb0EEEvPT0_PvPT_S7_S7_PKS6_S9_S9_S9_S9_ffiiiiiiiiiiiii
	.globl	_ZN5aiter35fused_qk_rmsnorm_group_quant_kernelIDF16_N4opus5fp4_tELi128ELi16ELi2ELb1ELb1ELb0ELb1ELb0ELb0EEEvPT0_PvPT_S7_S7_PKS6_S9_S9_S9_S9_ffiiiiiiiiiiiii
	.p2align	8
	.type	_ZN5aiter35fused_qk_rmsnorm_group_quant_kernelIDF16_N4opus5fp4_tELi128ELi16ELi2ELb1ELb1ELb0ELb1ELb0ELb0EEEvPT0_PvPT_S7_S7_PKS6_S9_S9_S9_S9_ffiiiiiiiiiiiii,@function
_ZN5aiter35fused_qk_rmsnorm_group_quant_kernelIDF16_N4opus5fp4_tELi128ELi16ELi2ELb1ELb1ELb0ELb1ELb0ELb0EEEvPT0_PvPT_S7_S7_PKS6_S9_S9_S9_S9_ffiiiiiiiiiiiii: ; @_ZN5aiter35fused_qk_rmsnorm_group_quant_kernelIDF16_N4opus5fp4_tELi128ELi16ELi2ELb1ELb1ELb0ELb1ELb0ELb0EEEvPT0_PvPT_S7_S7_PKS6_S9_S9_S9_S9_ffiiiiiiiiiiiii
; %bb.0:
	s_load_dwordx8 s[12:19], s[4:5], 0x50
	s_waitcnt lgkmcnt(0)
	s_cmp_ge_i32 s6, s14
	s_cbranch_scc1 .LBB703_17
; %bb.1:
	s_cmp_lg_u32 s7, 0
	s_cselect_b64 s[22:23], -1, 0
	s_cmp_eq_u32 s7, 0
	s_cselect_b64 s[2:3], -1, 0
	s_and_b64 s[0:1], s[2:3], exec
	s_cselect_b32 s7, s15, s16
	s_load_dwordx2 s[10:11], s[4:5], 0x30
	s_load_dwordx2 s[20:21], s[4:5], 0x48
	s_add_i32 s0, s7, 1
	s_lshr_b32 s1, s0, 31
	s_add_i32 s0, s0, s1
	s_lshl_b32 s0, s0, 1
	v_lshlrev_b32_e32 v1, 4, v0
	s_and_b32 s30, s0, -4
	v_cmp_gt_i32_e64 s[0:1], s7, v1
	v_mov_b32_e32 v6, 0
	v_mov_b32_e32 v7, 0
	;; [unrolled: 1-line block ×16, first 2 shown]
	s_and_saveexec_b64 s[8:9], s[0:1]
	s_cbranch_execz .LBB703_3
; %bb.2:
	s_load_dwordx2 s[14:15], s[4:5], 0x28
	s_load_dwordx2 s[26:27], s[4:5], 0x40
	s_and_b64 s[24:25], s[2:3], exec
	s_cselect_b32 s17, s17, s18
	s_mov_b32 s31, 0x20000
	s_waitcnt lgkmcnt(0)
	s_cselect_b32 s25, s15, s11
	s_cselect_b32 s24, s14, s10
	s_mul_hi_i32 s15, s17, s6
	s_mul_i32 s14, s17, s6
	s_lshl_b64 s[14:15], s[14:15], 1
	s_add_u32 s24, s24, s14
	s_addc_u32 s17, s25, s15
	s_and_b64 s[14:15], s[2:3], exec
	s_cselect_b32 s28, s26, s20
	s_cselect_b32 s14, s27, s21
	s_and_b32 s25, s17, 0xffff
	s_mov_b32 s26, s30
	s_mov_b32 s27, s31
	v_lshlrev_b32_e32 v18, 5, v0
	s_and_b32 s29, s14, 0xffff
	buffer_load_dwordx4 v[10:13], v18, s[24:27], 0 offen
	buffer_load_dwordx4 v[14:17], v18, s[24:27], 16 offen
	;; [unrolled: 1-line block ×4, first 2 shown]
.LBB703_3:
	s_or_b64 exec, exec, s[8:9]
	s_load_dwordx4 s[24:27], s[4:5], 0x7c
	s_and_b64 vcc, exec, s[22:23]
	s_cbranch_vccz .LBB703_7
; %bb.4:
	v_mov_b32_e32 v19, 0
	v_mov_b32_e32 v18, 0
	;; [unrolled: 1-line block ×16, first 2 shown]
	s_and_saveexec_b64 s[8:9], s[0:1]
	s_cbranch_execz .LBB703_6
; %bb.5:
	s_waitcnt vmcnt(3)
	v_cvt_f32_f16_sdwa v33, v10 dst_sel:DWORD dst_unused:UNUSED_PAD src0_sel:WORD_1
	v_cvt_f32_f16_e32 v32, v10
	v_cvt_f32_f16_sdwa v31, v11 dst_sel:DWORD dst_unused:UNUSED_PAD src0_sel:WORD_1
	v_cvt_f32_f16_e32 v30, v11
	;; [unrolled: 2-line block ×4, first 2 shown]
	s_waitcnt vmcnt(2)
	v_cvt_f32_f16_sdwa v25, v14 dst_sel:DWORD dst_unused:UNUSED_PAD src0_sel:WORD_1
	v_cvt_f32_f16_e32 v24, v14
	v_cvt_f32_f16_sdwa v23, v15 dst_sel:DWORD dst_unused:UNUSED_PAD src0_sel:WORD_1
	v_cvt_f32_f16_e32 v22, v15
	;; [unrolled: 2-line block ×4, first 2 shown]
.LBB703_6:
	s_or_b64 exec, exec, s[8:9]
	s_cbranch_execz .LBB703_8
	s_branch .LBB703_11
.LBB703_7:
                                        ; implicit-def: $vgpr19
                                        ; implicit-def: $vgpr21
                                        ; implicit-def: $vgpr23
                                        ; implicit-def: $vgpr25
                                        ; implicit-def: $vgpr29
                                        ; implicit-def: $vgpr27
                                        ; implicit-def: $vgpr31
                                        ; implicit-def: $vgpr33
.LBB703_8:
	v_mov_b32_e32 v19, 0
	v_mov_b32_e32 v18, 0
	;; [unrolled: 1-line block ×16, first 2 shown]
	s_and_saveexec_b64 s[8:9], s[0:1]
	s_cbranch_execz .LBB703_10
; %bb.9:
	s_load_dwordx2 s[14:15], s[4:5], 0x38
	s_mul_hi_i32 s29, s19, s6
	s_mul_i32 s28, s19, s6
	s_lshl_b64 s[28:29], s[28:29], 1
	s_mov_b32 s31, 0x20000
	s_waitcnt lgkmcnt(0)
	s_add_u32 s28, s14, s28
	s_addc_u32 s14, s15, s29
	s_and_b32 s29, s14, 0xffff
	v_lshlrev_b32_e32 v48, 5, v0
	buffer_load_dwordx4 v[18:21], v48, s[28:31], 16 offen
	buffer_load_dwordx4 v[22:25], v48, s[28:31], 0 offen
	s_waitcnt vmcnt(4)
	v_cvt_f32_f16_sdwa v27, v14 dst_sel:DWORD dst_unused:UNUSED_PAD src0_sel:WORD_1
	v_cvt_f32_f16_e32 v26, v14
	v_cvt_f32_f16_sdwa v29, v15 dst_sel:DWORD dst_unused:UNUSED_PAD src0_sel:WORD_1
	v_cvt_f32_f16_e32 v28, v15
	;; [unrolled: 2-line block ×8, first 2 shown]
	s_load_dwordx2 s[14:15], s[4:5], 0x20
	s_mul_hi_i32 s27, s26, s6
	s_mul_i32 s26, s26, s6
	s_lshl_b64 s[26:27], s[26:27], 1
	s_waitcnt lgkmcnt(0)
	s_add_u32 s28, s14, s26
	s_addc_u32 s14, s15, s27
	s_and_b32 s29, s14, 0xffff
	s_waitcnt vmcnt(1)
	v_cvt_f32_f16_e32 v12, v18
	v_cvt_f32_f16_sdwa v13, v18 dst_sel:DWORD dst_unused:UNUSED_PAD src0_sel:WORD_1
	v_cvt_f32_f16_e32 v18, v19
	v_cvt_f32_f16_sdwa v19, v19 dst_sel:DWORD dst_unused:UNUSED_PAD src0_sel:WORD_1
	;; [unrolled: 2-line block ×4, first 2 shown]
	s_waitcnt vmcnt(0)
	v_cvt_f32_f16_e32 v40, v22
	v_cvt_f32_f16_sdwa v41, v22 dst_sel:DWORD dst_unused:UNUSED_PAD src0_sel:WORD_1
	v_cvt_f32_f16_e32 v42, v23
	v_cvt_f32_f16_sdwa v43, v23 dst_sel:DWORD dst_unused:UNUSED_PAD src0_sel:WORD_1
	v_cvt_f32_f16_e32 v44, v24
	v_cvt_f32_f16_sdwa v45, v24 dst_sel:DWORD dst_unused:UNUSED_PAD src0_sel:WORD_1
	v_cvt_f32_f16_e32 v46, v25
	v_cvt_f32_f16_sdwa v47, v25 dst_sel:DWORD dst_unused:UNUSED_PAD src0_sel:WORD_1
	v_pk_add_f32 v[24:25], v[26:27], v[12:13]
	v_pk_add_f32 v[22:23], v[28:29], v[18:19]
	;; [unrolled: 1-line block ×8, first 2 shown]
	v_cvt_f16_f32_e32 v10, v33
	v_cvt_f16_f32_e32 v14, v32
	;; [unrolled: 1-line block ×16, first 2 shown]
	v_pack_b32_f16 v13, v17, v13
	v_pack_b32_f16 v12, v16, v12
	;; [unrolled: 1-line block ×8, first 2 shown]
	buffer_store_dwordx4 v[10:13], v48, s[28:31], 0 offen
	;;#ASMSTART
	s_nop 0
	;;#ASMEND
	buffer_store_dwordx4 v[14:17], v48, s[28:31], 16 offen
	;;#ASMSTART
	s_nop 0
	;;#ASMEND
.LBB703_10:
	s_or_b64 exec, exec, s[8:9]
.LBB703_11:
	s_waitcnt vmcnt(3)
	v_mul_f32_e32 v10, v33, v33
	v_fmac_f32_e32 v10, v32, v32
	v_fmac_f32_e32 v10, v30, v30
	;; [unrolled: 1-line block ×15, first 2 shown]
	v_and_b32_e32 v12, 63, v0
	v_cmp_eq_u32_e64 s[8:9], 63, v12
	v_mov_b32_dpp v11, v10 quad_perm:[1,0,3,2] row_mask:0xf bank_mask:0xf
	v_add_f32_e32 v10, v10, v11
	s_nop 1
	v_mov_b32_dpp v11, v10 quad_perm:[2,3,0,1] row_mask:0xf bank_mask:0xf
	v_add_f32_e32 v10, v10, v11
	s_nop 1
	v_mov_b32_dpp v11, v10 row_half_mirror row_mask:0xf bank_mask:0xf
	v_add_f32_e32 v10, v10, v11
	s_nop 1
	v_mov_b32_dpp v11, v10 row_mirror row_mask:0xf bank_mask:0xf
	v_add_f32_e32 v10, v10, v11
	s_nop 1
	v_mov_b32_dpp v11, v10 row_bcast:15 row_mask:0xf bank_mask:0xf
	v_add_f32_e32 v10, v10, v11
	s_nop 1
	v_mov_b32_dpp v11, v10 row_bcast:31 row_mask:0xf bank_mask:0xf
	s_and_saveexec_b64 s[14:15], s[8:9]
	s_cbranch_execz .LBB703_13
; %bb.12:
	v_add_f32_e32 v10, v10, v11
	v_lshrrev_b32_e32 v11, 4, v0
	v_and_b32_e32 v11, 60, v11
	ds_write_b32 v11, v10 offset:8
.LBB703_13:
	s_or_b64 exec, exec, s[14:15]
	v_and_b32_e32 v10, 1, v0
	v_lshlrev_b32_e32 v34, 2, v10
	s_waitcnt lgkmcnt(0)
	s_barrier
	ds_read_b32 v10, v34 offset:8
	s_load_dwordx2 s[14:15], s[4:5], 0x18
	s_waitcnt lgkmcnt(0)
	v_mov_b32_dpp v11, v10 quad_perm:[1,0,3,2] row_mask:0xf bank_mask:0xf
	s_and_saveexec_b64 s[26:27], s[0:1]
	s_cbranch_execnz .LBB703_18
; %bb.14:
	s_or_b64 exec, exec, s[26:27]
	s_mov_b64 s[2:3], -1
	s_and_b64 vcc, exec, s[22:23]
	s_cbranch_vccnz .LBB703_19
.LBB703_15:
	s_andn2_b64 vcc, exec, s[2:3]
	s_cbranch_vccz .LBB703_22
.LBB703_16:
	s_cmp_lt_i32 s16, 1
	s_cbranch_scc0 .LBB703_25
.LBB703_17:
	s_endpgm
.LBB703_18:
	v_cvt_f32_u32_e32 v12, s7
	v_add_f32_e32 v10, v10, v11
	s_waitcnt vmcnt(2)
	v_mov_b32_e32 v14, s13
	v_mov_b32_e32 v15, s12
	v_div_scale_f32 v11, s[28:29], v12, v12, v10
	v_rcp_f32_e32 v13, v11
	v_cndmask_b32_e64 v14, v14, v15, s[2:3]
	s_mov_b32 s2, 0x800000
	s_waitcnt vmcnt(1)
	v_cvt_f32_f16_sdwa v37, v9 dst_sel:DWORD dst_unused:UNUSED_PAD src0_sel:WORD_1
	v_fma_f32 v15, -v11, v13, 1.0
	v_fmac_f32_e32 v13, v15, v13
	v_div_scale_f32 v15, vcc, v10, v12, v10
	v_mul_f32_e32 v16, v15, v13
	v_fma_f32 v17, -v11, v16, v15
	v_fmac_f32_e32 v16, v17, v13
	v_fma_f32 v11, -v11, v16, v15
	v_div_fmas_f32 v11, v11, v13, v16
	v_div_fixup_f32 v10, v11, v12, v10
	v_add_f32_e32 v10, v14, v10
	v_mul_f32_e32 v11, 0x4b800000, v10
	v_cmp_gt_f32_e32 vcc, s2, v10
	v_cndmask_b32_e32 v10, v10, v11, vcc
	v_rsq_f32_e32 v10, v10
	v_cvt_f32_f16_e32 v36, v9
	s_waitcnt vmcnt(0)
	v_cvt_f32_f16_sdwa v9, v3 dst_sel:DWORD dst_unused:UNUSED_PAD src0_sel:WORD_1
	v_mul_f32_e32 v11, 0x45800000, v10
	v_cndmask_b32_e32 v10, v10, v11, vcc
	v_mov_b32_e32 v11, v10
	;;#ASMSTART
	v_pk_mul_f32 v[12:13], v[32:33], v[10:11]
	;;#ASMEND
	;;#ASMSTART
	v_pk_mul_f32 v[14:15], v[30:31], v[10:11]
	;;#ASMEND
	;; [unrolled: 3-line block ×8, first 2 shown]
	v_cvt_f32_f16_sdwa v19, v6 dst_sel:DWORD dst_unused:UNUSED_PAD src0_sel:WORD_1
	v_cvt_f32_f16_e32 v18, v6
	v_cvt_f32_f16_sdwa v27, v7 dst_sel:DWORD dst_unused:UNUSED_PAD src0_sel:WORD_1
	v_cvt_f32_f16_e32 v26, v7
	;; [unrolled: 2-line block ×3, first 2 shown]
	;;#ASMSTART
	v_pk_mul_f32 v[32:33], v[12:13], v[18:19]
	;;#ASMEND
	;;#ASMSTART
	v_pk_mul_f32 v[30:31], v[14:15], v[26:27]
	;;#ASMEND
	;;#ASMSTART
	v_pk_mul_f32 v[26:27], v[16:17], v[6:7]
	;;#ASMEND
	;;#ASMSTART
	v_pk_mul_f32 v[28:29], v[28:29], v[36:37]
	;;#ASMEND
	v_cvt_f32_f16_sdwa v7, v2 dst_sel:DWORD dst_unused:UNUSED_PAD src0_sel:WORD_1
	v_cvt_f32_f16_e32 v6, v2
	v_cvt_f32_f16_e32 v8, v3
	v_cvt_f32_f16_sdwa v3, v4 dst_sel:DWORD dst_unused:UNUSED_PAD src0_sel:WORD_1
	v_cvt_f32_f16_e32 v2, v4
	v_cvt_f32_f16_sdwa v13, v5 dst_sel:DWORD dst_unused:UNUSED_PAD src0_sel:WORD_1
	v_cvt_f32_f16_e32 v12, v5
	;;#ASMSTART
	v_pk_mul_f32 v[24:25], v[24:25], v[6:7]
	;;#ASMEND
	;;#ASMSTART
	v_pk_mul_f32 v[22:23], v[22:23], v[8:9]
	;;#ASMEND
	;;#ASMSTART
	v_pk_mul_f32 v[20:21], v[20:21], v[2:3]
	;;#ASMEND
	;;#ASMSTART
	v_pk_mul_f32 v[18:19], v[10:11], v[12:13]
	;;#ASMEND
	s_or_b64 exec, exec, s[26:27]
	s_mov_b64 s[2:3], -1
	s_and_b64 vcc, exec, s[22:23]
	s_cbranch_vccz .LBB703_15
.LBB703_19:
	s_and_saveexec_b64 s[2:3], s[0:1]
	s_cbranch_execz .LBB703_21
; %bb.20:
	s_mul_hi_i32 s23, s25, s6
	s_mul_i32 s22, s25, s6
	s_waitcnt vmcnt(0)
	v_cvt_f16_f32_e32 v2, v32
	v_cvt_f16_f32_e32 v3, v30
	;; [unrolled: 1-line block ×8, first 2 shown]
	s_lshl_b64 s[22:23], s[22:23], 1
	s_add_u32 s28, s14, s22
	s_addc_u32 s7, s15, s23
	s_and_b32 s29, s7, 0xffff
	s_mov_b32 s31, 0x20000
	v_pack_b32_f16 v5, v5, v6
	v_pack_b32_f16 v4, v4, v7
	;; [unrolled: 1-line block ×4, first 2 shown]
	v_lshlrev_b32_e32 v6, 5, v0
	buffer_store_dwordx4 v[2:5], v6, s[28:31], 0 offen
	v_cvt_f16_f32_e32 v7, v19
	v_cvt_f16_f32_e32 v2, v24
	;; [unrolled: 1-line block ×8, first 2 shown]
	v_pack_b32_f16 v5, v5, v7
	v_pack_b32_f16 v4, v4, v8
	;; [unrolled: 1-line block ×4, first 2 shown]
	;;#ASMSTART
	s_nop 0
	;;#ASMEND
	buffer_store_dwordx4 v[2:5], v6, s[28:31], 16 offen
	;;#ASMSTART
	s_nop 0
	;;#ASMEND
.LBB703_21:
	s_or_b64 exec, exec, s[2:3]
	s_cbranch_execnz .LBB703_16
.LBB703_22:
	s_and_saveexec_b64 s[2:3], s[0:1]
	s_cbranch_execz .LBB703_24
; %bb.23:
	s_load_dwordx2 s[0:1], s[4:5], 0x10
	s_mul_hi_i32 s23, s24, s6
	s_mul_i32 s22, s24, s6
	s_waitcnt vmcnt(0)
	v_cvt_f16_f32_e32 v2, v32
	v_cvt_f16_f32_e32 v3, v30
	;; [unrolled: 1-line block ×8, first 2 shown]
	s_lshl_b64 s[22:23], s[22:23], 1
	s_waitcnt lgkmcnt(0)
	s_add_u32 s28, s0, s22
	s_addc_u32 s0, s1, s23
	s_mov_b32 s31, 0x20000
	s_and_b32 s29, s0, 0xffff
	v_pack_b32_f16 v5, v5, v6
	v_pack_b32_f16 v4, v4, v7
	v_pack_b32_f16 v3, v3, v8
	v_pack_b32_f16 v2, v2, v9
	v_lshlrev_b32_e32 v6, 5, v0
	buffer_store_dwordx4 v[2:5], v6, s[28:31], 0 offen
	v_cvt_f16_f32_e32 v7, v19
	v_cvt_f16_f32_e32 v2, v24
	;; [unrolled: 1-line block ×8, first 2 shown]
	v_pack_b32_f16 v5, v5, v7
	v_pack_b32_f16 v4, v4, v8
	;; [unrolled: 1-line block ×4, first 2 shown]
	;;#ASMSTART
	s_nop 0
	;;#ASMEND
	buffer_store_dwordx4 v[2:5], v6, s[28:31], 16 offen
	;;#ASMSTART
	s_nop 0
	;;#ASMEND
.LBB703_24:
	s_or_b64 exec, exec, s[2:3]
	s_cmp_lt_i32 s16, 1
	s_cbranch_scc1 .LBB703_17
.LBB703_25:
	s_load_dword s0, s[4:5], 0x94
	s_waitcnt lgkmcnt(0)
	s_cmp_lg_u32 s0, 1
	s_cbranch_scc1 .LBB703_17
; %bb.26:
	s_lshl_b32 s0, s16, 1
	s_add_i32 s0, s0, 2
	v_cmp_gt_u32_e32 vcc, s16, v1
	s_and_b32 s22, s0, -4
	v_mov_b32_e32 v18, 0
	v_lshlrev_b32_e32 v1, 5, v0
	s_waitcnt vmcnt(2)
	v_mov_b32_e32 v14, 0
	v_mov_b32_e32 v15, 0
	;; [unrolled: 1-line block ×8, first 2 shown]
	s_waitcnt vmcnt(1)
	v_mov_b32_e32 v6, 0
	v_mov_b32_e32 v7, 0
	;; [unrolled: 1-line block ×4, first 2 shown]
	s_waitcnt vmcnt(0)
	v_mov_b32_e32 v2, 0
	v_mov_b32_e32 v3, 0
	;; [unrolled: 1-line block ×4, first 2 shown]
	s_barrier
	s_and_saveexec_b64 s[0:1], vcc
	s_cbranch_execz .LBB703_28
; %bb.27:
	s_mul_hi_i32 s3, s18, s6
	s_mul_i32 s2, s18, s6
	s_and_b32 s21, s21, 0xffff
	s_lshl_b64 s[2:3], s[2:3], 1
	s_add_u32 s28, s10, s2
	s_mov_b32 s23, 0x20000
	s_addc_u32 s2, s11, s3
	s_and_b32 s29, s2, 0xffff
	s_mov_b32 s30, s22
	s_mov_b32 s31, s23
	buffer_load_dwordx4 v[14:17], v1, s[28:31], 0 offen
	buffer_load_dwordx4 v[10:13], v1, s[28:31], 16 offen
	;; [unrolled: 1-line block ×4, first 2 shown]
.LBB703_28:
	s_or_b64 exec, exec, s[0:1]
	v_mov_b32_e32 v19, 0
	v_mov_b32_e32 v32, 0
	;; [unrolled: 1-line block ×15, first 2 shown]
	s_and_saveexec_b64 s[0:1], vcc
	s_cbranch_execz .LBB703_30
; %bb.29:
	s_waitcnt vmcnt(3)
	v_cvt_f32_f16_sdwa v19, v14 dst_sel:DWORD dst_unused:UNUSED_PAD src0_sel:WORD_1
	v_cvt_f32_f16_e32 v18, v14
	v_cvt_f32_f16_sdwa v33, v15 dst_sel:DWORD dst_unused:UNUSED_PAD src0_sel:WORD_1
	v_cvt_f32_f16_e32 v32, v15
	;; [unrolled: 2-line block ×4, first 2 shown]
	s_waitcnt vmcnt(2)
	v_cvt_f32_f16_sdwa v27, v10 dst_sel:DWORD dst_unused:UNUSED_PAD src0_sel:WORD_1
	v_cvt_f32_f16_e32 v26, v10
	v_cvt_f32_f16_sdwa v25, v11 dst_sel:DWORD dst_unused:UNUSED_PAD src0_sel:WORD_1
	v_cvt_f32_f16_e32 v24, v11
	;; [unrolled: 2-line block ×4, first 2 shown]
.LBB703_30:
	s_or_b64 exec, exec, s[0:1]
	s_waitcnt vmcnt(2)
	v_mul_f32_e32 v10, v19, v19
	v_fmac_f32_e32 v10, v18, v18
	v_fmac_f32_e32 v10, v32, v32
	;; [unrolled: 1-line block ×15, first 2 shown]
	s_nop 1
	v_mov_b32_dpp v11, v10 quad_perm:[1,0,3,2] row_mask:0xf bank_mask:0xf
	v_add_f32_e32 v10, v10, v11
	s_nop 1
	v_mov_b32_dpp v11, v10 quad_perm:[2,3,0,1] row_mask:0xf bank_mask:0xf
	v_add_f32_e32 v10, v10, v11
	s_nop 1
	v_mov_b32_dpp v11, v10 row_half_mirror row_mask:0xf bank_mask:0xf
	v_add_f32_e32 v10, v10, v11
	s_nop 1
	v_mov_b32_dpp v11, v10 row_mirror row_mask:0xf bank_mask:0xf
	v_add_f32_e32 v10, v10, v11
	s_nop 1
	v_mov_b32_dpp v11, v10 row_bcast:15 row_mask:0xf bank_mask:0xf
	v_add_f32_e32 v10, v10, v11
	s_nop 1
	v_mov_b32_dpp v11, v10 row_bcast:31 row_mask:0xf bank_mask:0xf
	s_and_saveexec_b64 s[0:1], s[8:9]
	s_cbranch_execz .LBB703_32
; %bb.31:
	v_lshrrev_b32_e32 v0, 4, v0
	v_add_f32_e32 v10, v10, v11
	v_and_b32_e32 v0, 60, v0
	ds_write_b32 v0, v10
.LBB703_32:
	s_or_b64 exec, exec, s[0:1]
	s_waitcnt lgkmcnt(0)
	s_barrier
	ds_read_b32 v0, v34
	s_waitcnt lgkmcnt(0)
	s_nop 0
	v_mov_b32_dpp v10, v0 quad_perm:[1,0,3,2] row_mask:0xf bank_mask:0xf
	s_and_saveexec_b64 s[0:1], vcc
	s_cbranch_execz .LBB703_17
; %bb.33:
	v_cvt_f32_u32_e32 v11, s16
	v_add_f32_e32 v0, v0, v10
	s_mov_b32 s23, 0x20000
	v_div_scale_f32 v10, s[0:1], v11, v11, v0
	v_rcp_f32_e32 v12, v10
	v_div_scale_f32 v13, vcc, v0, v11, v0
	s_mov_b32 s0, 0x800000
	v_fma_f32 v14, -v10, v12, 1.0
	v_fmac_f32_e32 v12, v14, v12
	v_mul_f32_e32 v14, v13, v12
	v_fma_f32 v15, -v10, v14, v13
	v_fmac_f32_e32 v14, v15, v12
	v_fma_f32 v10, -v10, v14, v13
	v_div_fmas_f32 v10, v10, v12, v14
	v_div_fixup_f32 v0, v10, v11, v0
	v_add_f32_e32 v0, s13, v0
	v_mul_f32_e32 v10, 0x4b800000, v0
	v_cmp_gt_f32_e32 vcc, s0, v0
	v_cndmask_b32_e32 v0, v0, v10, vcc
	v_rsq_f32_e32 v0, v0
	s_mul_hi_i32 s1, s25, s6
	s_mul_i32 s0, s25, s6
	s_lshl_b64 s[0:1], s[0:1], 1
	v_mul_f32_e32 v10, 0x45800000, v0
	v_cndmask_b32_e32 v10, v0, v10, vcc
	v_mov_b32_e32 v11, v10
	;;#ASMSTART
	v_pk_mul_f32 v[12:13], v[18:19], v[10:11]
	;;#ASMEND
	;;#ASMSTART
	v_pk_mul_f32 v[14:15], v[32:33], v[10:11]
	;;#ASMEND
	;; [unrolled: 3-line block ×8, first 2 shown]
	s_waitcnt vmcnt(1)
	v_cvt_f32_f16_sdwa v21, v6 dst_sel:DWORD dst_unused:UNUSED_PAD src0_sel:WORD_1
	v_cvt_f32_f16_e32 v20, v6
	v_cvt_f32_f16_sdwa v29, v7 dst_sel:DWORD dst_unused:UNUSED_PAD src0_sel:WORD_1
	v_cvt_f32_f16_e32 v28, v7
	;; [unrolled: 2-line block ×4, first 2 shown]
	;;#ASMSTART
	v_pk_mul_f32 v[8:9], v[12:13], v[20:21]
	;;#ASMEND
	;;#ASMSTART
	v_pk_mul_f32 v[12:13], v[14:15], v[28:29]
	;;#ASMEND
	;; [unrolled: 3-line block ×4, first 2 shown]
	s_waitcnt vmcnt(0)
	v_cvt_f32_f16_sdwa v17, v2 dst_sel:DWORD dst_unused:UNUSED_PAD src0_sel:WORD_1
	v_cvt_f32_f16_e32 v16, v2
	v_cvt_f32_f16_sdwa v19, v3 dst_sel:DWORD dst_unused:UNUSED_PAD src0_sel:WORD_1
	v_cvt_f32_f16_e32 v18, v3
	;; [unrolled: 2-line block ×4, first 2 shown]
	;;#ASMSTART
	v_pk_mul_f32 v[16:17], v[26:27], v[16:17]
	;;#ASMEND
	;;#ASMSTART
	v_pk_mul_f32 v[18:19], v[24:25], v[18:19]
	;;#ASMEND
	;; [unrolled: 3-line block ×3, first 2 shown]
	v_cvt_f16_f32_e32 v0, v8
	v_cvt_f16_f32_e32 v2, v9
	;; [unrolled: 1-line block ×8, first 2 shown]
	s_add_u32 s20, s14, s0
	s_addc_u32 s0, s15, s1
	s_and_b32 s21, s0, 0xffff
	v_pack_b32_f16 v2, v0, v2
	v_pack_b32_f16 v3, v3, v4
	;; [unrolled: 1-line block ×4, first 2 shown]
	;;#ASMSTART
	v_pk_mul_f32 v[10:11], v[10:11], v[20:21]
	;;#ASMEND
	buffer_store_dwordx4 v[2:5], v1, s[20:23], 0 offen
	v_cvt_f16_f32_e32 v0, v16
	v_cvt_f16_f32_e32 v2, v17
	;; [unrolled: 1-line block ×8, first 2 shown]
	v_pack_b32_f16 v2, v0, v2
	v_pack_b32_f16 v3, v3, v4
	;; [unrolled: 1-line block ×4, first 2 shown]
	;;#ASMSTART
	s_nop 0
	;;#ASMEND
	buffer_store_dwordx4 v[2:5], v1, s[20:23], 16 offen
	;;#ASMSTART
	s_nop 0
	;;#ASMEND
	s_endpgm
	.section	.rodata,"a",@progbits
	.p2align	6, 0x0
	.amdhsa_kernel _ZN5aiter35fused_qk_rmsnorm_group_quant_kernelIDF16_N4opus5fp4_tELi128ELi16ELi2ELb1ELb1ELb0ELb1ELb0ELb0EEEvPT0_PvPT_S7_S7_PKS6_S9_S9_S9_S9_ffiiiiiiiiiiiii
		.amdhsa_group_segment_fixed_size 16
		.amdhsa_private_segment_fixed_size 0
		.amdhsa_kernarg_size 400
		.amdhsa_user_sgpr_count 6
		.amdhsa_user_sgpr_private_segment_buffer 1
		.amdhsa_user_sgpr_dispatch_ptr 0
		.amdhsa_user_sgpr_queue_ptr 0
		.amdhsa_user_sgpr_kernarg_segment_ptr 1
		.amdhsa_user_sgpr_dispatch_id 0
		.amdhsa_user_sgpr_flat_scratch_init 0
		.amdhsa_user_sgpr_kernarg_preload_length 0
		.amdhsa_user_sgpr_kernarg_preload_offset 0
		.amdhsa_user_sgpr_private_segment_size 0
		.amdhsa_uses_dynamic_stack 0
		.amdhsa_system_sgpr_private_segment_wavefront_offset 0
		.amdhsa_system_sgpr_workgroup_id_x 1
		.amdhsa_system_sgpr_workgroup_id_y 1
		.amdhsa_system_sgpr_workgroup_id_z 0
		.amdhsa_system_sgpr_workgroup_info 0
		.amdhsa_system_vgpr_workitem_id 0
		.amdhsa_next_free_vgpr 49
		.amdhsa_next_free_sgpr 32
		.amdhsa_accum_offset 52
		.amdhsa_reserve_vcc 1
		.amdhsa_reserve_flat_scratch 0
		.amdhsa_float_round_mode_32 0
		.amdhsa_float_round_mode_16_64 0
		.amdhsa_float_denorm_mode_32 3
		.amdhsa_float_denorm_mode_16_64 3
		.amdhsa_dx10_clamp 1
		.amdhsa_ieee_mode 1
		.amdhsa_fp16_overflow 0
		.amdhsa_tg_split 0
		.amdhsa_exception_fp_ieee_invalid_op 0
		.amdhsa_exception_fp_denorm_src 0
		.amdhsa_exception_fp_ieee_div_zero 0
		.amdhsa_exception_fp_ieee_overflow 0
		.amdhsa_exception_fp_ieee_underflow 0
		.amdhsa_exception_fp_ieee_inexact 0
		.amdhsa_exception_int_div_zero 0
	.end_amdhsa_kernel
	.section	.text._ZN5aiter35fused_qk_rmsnorm_group_quant_kernelIDF16_N4opus5fp4_tELi128ELi16ELi2ELb1ELb1ELb0ELb1ELb0ELb0EEEvPT0_PvPT_S7_S7_PKS6_S9_S9_S9_S9_ffiiiiiiiiiiiii,"axG",@progbits,_ZN5aiter35fused_qk_rmsnorm_group_quant_kernelIDF16_N4opus5fp4_tELi128ELi16ELi2ELb1ELb1ELb0ELb1ELb0ELb0EEEvPT0_PvPT_S7_S7_PKS6_S9_S9_S9_S9_ffiiiiiiiiiiiii,comdat
.Lfunc_end703:
	.size	_ZN5aiter35fused_qk_rmsnorm_group_quant_kernelIDF16_N4opus5fp4_tELi128ELi16ELi2ELb1ELb1ELb0ELb1ELb0ELb0EEEvPT0_PvPT_S7_S7_PKS6_S9_S9_S9_S9_ffiiiiiiiiiiiii, .Lfunc_end703-_ZN5aiter35fused_qk_rmsnorm_group_quant_kernelIDF16_N4opus5fp4_tELi128ELi16ELi2ELb1ELb1ELb0ELb1ELb0ELb0EEEvPT0_PvPT_S7_S7_PKS6_S9_S9_S9_S9_ffiiiiiiiiiiiii
                                        ; -- End function
	.section	.AMDGPU.csdata,"",@progbits
; Kernel info:
; codeLenInByte = 3448
; NumSgprs: 36
; NumVgprs: 49
; NumAgprs: 0
; TotalNumVgprs: 49
; ScratchSize: 0
; MemoryBound: 0
; FloatMode: 240
; IeeeMode: 1
; LDSByteSize: 16 bytes/workgroup (compile time only)
; SGPRBlocks: 4
; VGPRBlocks: 6
; NumSGPRsForWavesPerEU: 36
; NumVGPRsForWavesPerEU: 49
; AccumOffset: 52
; Occupancy: 8
; WaveLimiterHint : 0
; COMPUTE_PGM_RSRC2:SCRATCH_EN: 0
; COMPUTE_PGM_RSRC2:USER_SGPR: 6
; COMPUTE_PGM_RSRC2:TRAP_HANDLER: 0
; COMPUTE_PGM_RSRC2:TGID_X_EN: 1
; COMPUTE_PGM_RSRC2:TGID_Y_EN: 1
; COMPUTE_PGM_RSRC2:TGID_Z_EN: 0
; COMPUTE_PGM_RSRC2:TIDIG_COMP_CNT: 0
; COMPUTE_PGM_RSRC3_GFX90A:ACCUM_OFFSET: 12
; COMPUTE_PGM_RSRC3_GFX90A:TG_SPLIT: 0
	.section	.text._ZN5aiter35fused_qk_rmsnorm_group_quant_kernelItN4opus5fp4_tELi128ELi16ELi2ELb1ELb1ELb0ELb1ELb0ELb0EEEvPT0_PvPT_S7_S7_PKS6_S9_S9_S9_S9_ffiiiiiiiiiiiii,"axG",@progbits,_ZN5aiter35fused_qk_rmsnorm_group_quant_kernelItN4opus5fp4_tELi128ELi16ELi2ELb1ELb1ELb0ELb1ELb0ELb0EEEvPT0_PvPT_S7_S7_PKS6_S9_S9_S9_S9_ffiiiiiiiiiiiii,comdat
	.protected	_ZN5aiter35fused_qk_rmsnorm_group_quant_kernelItN4opus5fp4_tELi128ELi16ELi2ELb1ELb1ELb0ELb1ELb0ELb0EEEvPT0_PvPT_S7_S7_PKS6_S9_S9_S9_S9_ffiiiiiiiiiiiii ; -- Begin function _ZN5aiter35fused_qk_rmsnorm_group_quant_kernelItN4opus5fp4_tELi128ELi16ELi2ELb1ELb1ELb0ELb1ELb0ELb0EEEvPT0_PvPT_S7_S7_PKS6_S9_S9_S9_S9_ffiiiiiiiiiiiii
	.globl	_ZN5aiter35fused_qk_rmsnorm_group_quant_kernelItN4opus5fp4_tELi128ELi16ELi2ELb1ELb1ELb0ELb1ELb0ELb0EEEvPT0_PvPT_S7_S7_PKS6_S9_S9_S9_S9_ffiiiiiiiiiiiii
	.p2align	8
	.type	_ZN5aiter35fused_qk_rmsnorm_group_quant_kernelItN4opus5fp4_tELi128ELi16ELi2ELb1ELb1ELb0ELb1ELb0ELb0EEEvPT0_PvPT_S7_S7_PKS6_S9_S9_S9_S9_ffiiiiiiiiiiiii,@function
_ZN5aiter35fused_qk_rmsnorm_group_quant_kernelItN4opus5fp4_tELi128ELi16ELi2ELb1ELb1ELb0ELb1ELb0ELb0EEEvPT0_PvPT_S7_S7_PKS6_S9_S9_S9_S9_ffiiiiiiiiiiiii: ; @_ZN5aiter35fused_qk_rmsnorm_group_quant_kernelItN4opus5fp4_tELi128ELi16ELi2ELb1ELb1ELb0ELb1ELb0ELb0EEEvPT0_PvPT_S7_S7_PKS6_S9_S9_S9_S9_ffiiiiiiiiiiiii
; %bb.0:
	s_load_dwordx8 s[12:19], s[4:5], 0x50
	s_waitcnt lgkmcnt(0)
	s_cmp_ge_i32 s6, s14
	s_cbranch_scc1 .LBB704_17
; %bb.1:
	s_cmp_lg_u32 s7, 0
	s_cselect_b64 s[22:23], -1, 0
	s_cmp_eq_u32 s7, 0
	s_cselect_b64 s[2:3], -1, 0
	s_and_b64 s[0:1], s[2:3], exec
	s_cselect_b32 s7, s15, s16
	s_load_dwordx2 s[10:11], s[4:5], 0x30
	s_load_dwordx2 s[20:21], s[4:5], 0x48
	s_add_i32 s0, s7, 1
	s_lshr_b32 s1, s0, 31
	s_add_i32 s0, s0, s1
	s_lshl_b32 s0, s0, 1
	v_lshlrev_b32_e32 v1, 4, v0
	s_and_b32 s30, s0, -4
	v_cmp_gt_i32_e64 s[0:1], s7, v1
	v_mov_b32_e32 v76, 0
	v_mov_b32_e32 v77, 0
	;; [unrolled: 1-line block ×16, first 2 shown]
	s_and_saveexec_b64 s[8:9], s[0:1]
	s_cbranch_execz .LBB704_3
; %bb.2:
	s_load_dwordx2 s[14:15], s[4:5], 0x28
	s_load_dwordx2 s[26:27], s[4:5], 0x40
	s_and_b64 s[24:25], s[2:3], exec
	s_cselect_b32 s17, s17, s18
	s_mov_b32 s31, 0x20000
	s_waitcnt lgkmcnt(0)
	s_cselect_b32 s25, s15, s11
	s_cselect_b32 s24, s14, s10
	s_mul_hi_i32 s15, s17, s6
	s_mul_i32 s14, s17, s6
	s_lshl_b64 s[14:15], s[14:15], 1
	s_add_u32 s24, s24, s14
	s_addc_u32 s17, s25, s15
	s_and_b64 s[14:15], s[2:3], exec
	s_cselect_b32 s28, s26, s20
	s_cselect_b32 s14, s27, s21
	s_and_b32 s25, s17, 0xffff
	s_mov_b32 s26, s30
	s_mov_b32 s27, s31
	v_lshlrev_b32_e32 v2, 5, v0
	s_and_b32 s29, s14, 0xffff
	buffer_load_dwordx4 v[80:83], v2, s[24:27], 0 offen
	buffer_load_dwordx4 v[84:87], v2, s[24:27], 16 offen
	;; [unrolled: 1-line block ×4, first 2 shown]
.LBB704_3:
	s_or_b64 exec, exec, s[8:9]
	s_load_dwordx4 s[24:27], s[4:5], 0x7c
	s_and_b64 vcc, exec, s[22:23]
	s_cbranch_vccz .LBB704_7
; %bb.4:
	v_mov_b32_e32 v89, 0
	v_mov_b32_e32 v88, 0
	;; [unrolled: 1-line block ×16, first 2 shown]
	s_and_saveexec_b64 s[8:9], s[0:1]
	s_cbranch_execz .LBB704_6
; %bb.5:
	s_waitcnt vmcnt(3)
	v_cvt_f32_u32_sdwa v18, v80 dst_sel:DWORD dst_unused:UNUSED_PAD src0_sel:WORD_0
	v_cvt_f32_u32_sdwa v19, v80 dst_sel:DWORD dst_unused:UNUSED_PAD src0_sel:WORD_1
	v_cvt_f32_u32_sdwa v4, v81 dst_sel:DWORD dst_unused:UNUSED_PAD src0_sel:WORD_0
	v_cvt_f32_u32_sdwa v5, v81 dst_sel:DWORD dst_unused:UNUSED_PAD src0_sel:WORD_1
	;; [unrolled: 2-line block ×4, first 2 shown]
	s_waitcnt vmcnt(2)
	v_cvt_f32_u32_sdwa v64, v84 dst_sel:DWORD dst_unused:UNUSED_PAD src0_sel:WORD_0
	v_cvt_f32_u32_sdwa v65, v84 dst_sel:DWORD dst_unused:UNUSED_PAD src0_sel:WORD_1
	v_cvt_f32_u32_sdwa v48, v85 dst_sel:DWORD dst_unused:UNUSED_PAD src0_sel:WORD_0
	v_cvt_f32_u32_sdwa v49, v85 dst_sel:DWORD dst_unused:UNUSED_PAD src0_sel:WORD_1
	;; [unrolled: 2-line block ×4, first 2 shown]
.LBB704_6:
	s_or_b64 exec, exec, s[8:9]
	s_cbranch_execz .LBB704_8
	s_branch .LBB704_11
.LBB704_7:
                                        ; implicit-def: $vgpr18_vgpr19_vgpr20_vgpr21_vgpr22_vgpr23_vgpr24_vgpr25_vgpr26_vgpr27_vgpr28_vgpr29_vgpr30_vgpr31_vgpr32_vgpr33
                                        ; implicit-def: $vgpr50_vgpr51_vgpr52_vgpr53_vgpr54_vgpr55_vgpr56_vgpr57_vgpr58_vgpr59_vgpr60_vgpr61_vgpr62_vgpr63_vgpr64_vgpr65
                                        ; implicit-def: $vgpr30_vgpr31_vgpr32_vgpr33_vgpr34_vgpr35_vgpr36_vgpr37_vgpr38_vgpr39_vgpr40_vgpr41_vgpr42_vgpr43_vgpr44_vgpr45
                                        ; implicit-def: $vgpr89
                                        ; implicit-def: $vgpr2_vgpr3_vgpr4_vgpr5_vgpr6_vgpr7_vgpr8_vgpr9_vgpr10_vgpr11_vgpr12_vgpr13_vgpr14_vgpr15_vgpr16_vgpr17
                                        ; implicit-def: $vgpr56_vgpr57_vgpr58_vgpr59_vgpr60_vgpr61_vgpr62_vgpr63_vgpr64_vgpr65_vgpr66_vgpr67_vgpr68_vgpr69_vgpr70_vgpr71
                                        ; implicit-def: $vgpr38_vgpr39_vgpr40_vgpr41_vgpr42_vgpr43_vgpr44_vgpr45_vgpr46_vgpr47_vgpr48_vgpr49_vgpr50_vgpr51_vgpr52_vgpr53
                                        ; implicit-def: $vgpr20_vgpr21_vgpr22_vgpr23_vgpr24_vgpr25_vgpr26_vgpr27_vgpr28_vgpr29_vgpr30_vgpr31_vgpr32_vgpr33_vgpr34_vgpr35
.LBB704_8:
	v_mov_b32_e32 v89, 0
	v_mov_b32_e32 v88, 0
	;; [unrolled: 1-line block ×16, first 2 shown]
	s_and_saveexec_b64 s[8:9], s[0:1]
	s_cbranch_execz .LBB704_10
; %bb.9:
	s_load_dwordx2 s[14:15], s[4:5], 0x38
	s_mul_hi_i32 s29, s19, s6
	s_mul_i32 s28, s19, s6
	s_lshl_b64 s[28:29], s[28:29], 1
	s_mov_b32 s31, 0x20000
	s_waitcnt lgkmcnt(0)
	s_add_u32 s28, s14, s28
	s_addc_u32 s14, s15, s29
	s_and_b32 s29, s14, 0xffff
	v_lshlrev_b32_e32 v38, 5, v0
	buffer_load_dwordx4 v[4:7], v38, s[28:31], 16 offen
	buffer_load_dwordx4 v[8:11], v38, s[28:31], 0 offen
	s_load_dwordx2 s[14:15], s[4:5], 0x20
	s_waitcnt vmcnt(5)
	v_cvt_f32_u32_sdwa v19, v80 dst_sel:DWORD dst_unused:UNUSED_PAD src0_sel:WORD_1
	v_cvt_f32_u32_sdwa v18, v80 dst_sel:DWORD dst_unused:UNUSED_PAD src0_sel:WORD_0
	v_cvt_f32_u32_sdwa v21, v81 dst_sel:DWORD dst_unused:UNUSED_PAD src0_sel:WORD_1
	v_cvt_f32_u32_sdwa v20, v81 dst_sel:DWORD dst_unused:UNUSED_PAD src0_sel:WORD_0
	;; [unrolled: 2-line block ×4, first 2 shown]
	s_waitcnt vmcnt(4)
	v_cvt_f32_u32_sdwa v3, v84 dst_sel:DWORD dst_unused:UNUSED_PAD src0_sel:WORD_1
	v_cvt_f32_u32_sdwa v2, v84 dst_sel:DWORD dst_unused:UNUSED_PAD src0_sel:WORD_0
	v_cvt_f32_u32_sdwa v13, v85 dst_sel:DWORD dst_unused:UNUSED_PAD src0_sel:WORD_1
	v_cvt_f32_u32_sdwa v12, v85 dst_sel:DWORD dst_unused:UNUSED_PAD src0_sel:WORD_0
	v_cvt_f32_u32_sdwa v15, v86 dst_sel:DWORD dst_unused:UNUSED_PAD src0_sel:WORD_1
	v_cvt_f32_u32_sdwa v14, v86 dst_sel:DWORD dst_unused:UNUSED_PAD src0_sel:WORD_0
	v_cvt_f32_u32_sdwa v16, v87 dst_sel:DWORD dst_unused:UNUSED_PAD src0_sel:WORD_0
	v_cvt_f32_u32_sdwa v17, v87 dst_sel:DWORD dst_unused:UNUSED_PAD src0_sel:WORD_1
	s_mul_hi_i32 s27, s26, s6
	s_mul_i32 s26, s26, s6
	s_lshl_b64 s[26:27], s[26:27], 1
	s_waitcnt lgkmcnt(0)
	s_add_u32 s28, s14, s26
	s_mov_b32 s17, 0x7060302
	s_addc_u32 s14, s15, s27
	s_and_b32 s29, s14, 0xffff
	s_waitcnt vmcnt(1)
	v_cvt_f32_u32_sdwa v27, v4 dst_sel:DWORD dst_unused:UNUSED_PAD src0_sel:WORD_1
	v_cvt_f32_u32_sdwa v26, v4 dst_sel:DWORD dst_unused:UNUSED_PAD src0_sel:WORD_0
	v_cvt_f32_u32_sdwa v29, v5 dst_sel:DWORD dst_unused:UNUSED_PAD src0_sel:WORD_1
	v_cvt_f32_u32_sdwa v28, v5 dst_sel:DWORD dst_unused:UNUSED_PAD src0_sel:WORD_0
	;; [unrolled: 2-line block ×3, first 2 shown]
	v_cvt_f32_u32_sdwa v32, v7 dst_sel:DWORD dst_unused:UNUSED_PAD src0_sel:WORD_0
	v_cvt_f32_u32_sdwa v33, v7 dst_sel:DWORD dst_unused:UNUSED_PAD src0_sel:WORD_1
	s_waitcnt vmcnt(0)
	v_cvt_f32_u32_sdwa v35, v8 dst_sel:DWORD dst_unused:UNUSED_PAD src0_sel:WORD_1
	v_cvt_f32_u32_sdwa v34, v8 dst_sel:DWORD dst_unused:UNUSED_PAD src0_sel:WORD_0
	v_cvt_f32_u32_sdwa v5, v10 dst_sel:DWORD dst_unused:UNUSED_PAD src0_sel:WORD_1
	v_cvt_f32_u32_sdwa v4, v10 dst_sel:DWORD dst_unused:UNUSED_PAD src0_sel:WORD_0
	;; [unrolled: 2-line block ×4, first 2 shown]
	v_pk_add_f32 v[54:55], v[22:23], v[4:5]
	v_pk_add_f32 v[36:37], v[24:25], v[6:7]
	;; [unrolled: 1-line block ×4, first 2 shown]
	v_perm_b32 v9, v37, v36, s17
	v_perm_b32 v8, v55, v54, s17
	;; [unrolled: 1-line block ×4, first 2 shown]
	v_pk_add_f32 v[88:89], v[16:17], v[32:33]
	v_pk_add_f32 v[32:33], v[14:15], v[30:31]
	;; [unrolled: 1-line block ×4, first 2 shown]
	buffer_store_dwordx4 v[6:9], v38, s[28:31], 0 offen
	;;#ASMSTART
	s_nop 0
	;;#ASMEND
	s_nop 0
	v_perm_b32 v9, v89, v88, s17
	v_perm_b32 v8, v33, v32, s17
	;; [unrolled: 1-line block ×4, first 2 shown]
	buffer_store_dwordx4 v[6:9], v38, s[28:31], 16 offen
	;;#ASMSTART
	s_nop 0
	;;#ASMEND
.LBB704_10:
	s_or_b64 exec, exec, s[8:9]
.LBB704_11:
	v_mul_f32_e32 v2, v19, v19
	v_fmac_f32_e32 v2, v18, v18
	v_fmac_f32_e32 v2, v4, v4
	;; [unrolled: 1-line block ×15, first 2 shown]
	s_nop 1
	v_mov_b32_dpp v3, v2 quad_perm:[1,0,3,2] row_mask:0xf bank_mask:0xf
	v_add_f32_e32 v2, v2, v3
	s_nop 1
	v_mov_b32_dpp v3, v2 quad_perm:[2,3,0,1] row_mask:0xf bank_mask:0xf
	v_add_f32_e32 v2, v2, v3
	s_nop 1
	v_mov_b32_dpp v3, v2 row_half_mirror row_mask:0xf bank_mask:0xf
	v_add_f32_e32 v2, v2, v3
	s_nop 1
	v_mov_b32_dpp v3, v2 row_mirror row_mask:0xf bank_mask:0xf
	v_add_f32_e32 v2, v2, v3
	s_nop 1
	v_mov_b32_dpp v3, v2 row_bcast:15 row_mask:0xf bank_mask:0xf
	v_add_f32_e32 v2, v2, v3
	v_and_b32_e32 v3, 63, v0
	v_cmp_eq_u32_e64 s[8:9], 63, v3
	s_nop 0
	v_mov_b32_dpp v3, v2 row_bcast:31 row_mask:0xf bank_mask:0xf
	s_and_saveexec_b64 s[14:15], s[8:9]
	s_cbranch_execz .LBB704_13
; %bb.12:
	v_add_f32_e32 v2, v2, v3
	v_lshrrev_b32_e32 v3, 4, v0
	v_and_b32_e32 v3, 60, v3
	ds_write_b32 v3, v2 offset:8
.LBB704_13:
	s_or_b64 exec, exec, s[14:15]
	v_and_b32_e32 v2, 1, v0
	v_lshlrev_b32_e32 v34, 2, v2
	s_waitcnt lgkmcnt(0)
	s_barrier
	ds_read_b32 v2, v34 offset:8
	s_load_dwordx2 s[14:15], s[4:5], 0x18
	s_waitcnt lgkmcnt(0)
	v_mov_b32_dpp v3, v2 quad_perm:[1,0,3,2] row_mask:0xf bank_mask:0xf
	s_and_saveexec_b64 s[26:27], s[0:1]
	s_cbranch_execnz .LBB704_18
; %bb.14:
	s_or_b64 exec, exec, s[26:27]
	s_mov_b64 s[2:3], -1
	s_and_b64 vcc, exec, s[22:23]
	s_cbranch_vccnz .LBB704_19
.LBB704_15:
	s_andn2_b64 vcc, exec, s[2:3]
	s_cbranch_vccz .LBB704_22
.LBB704_16:
	s_cmp_lt_i32 s16, 1
	s_cbranch_scc0 .LBB704_25
.LBB704_17:
	s_endpgm
.LBB704_18:
	v_add_f32_e32 v2, v2, v3
	v_cvt_f32_u32_e32 v3, s7
	s_waitcnt vmcnt(1)
	v_cvt_f32_u32_sdwa v17, v76 dst_sel:DWORD dst_unused:UNUSED_PAD src0_sel:WORD_1
	v_cvt_f32_u32_sdwa v16, v76 dst_sel:DWORD dst_unused:UNUSED_PAD src0_sel:WORD_0
	v_cvt_f32_u32_sdwa v21, v77 dst_sel:DWORD dst_unused:UNUSED_PAD src0_sel:WORD_1
	v_div_scale_f32 v6, s[28:29], v3, v3, v2
	v_rcp_f32_e32 v7, v6
	v_cvt_f32_u32_sdwa v20, v77 dst_sel:DWORD dst_unused:UNUSED_PAD src0_sel:WORD_0
	s_waitcnt vmcnt(0)
	v_cvt_f32_u32_sdwa v25, v73 dst_sel:DWORD dst_unused:UNUSED_PAD src0_sel:WORD_1
	v_cvt_f32_u32_sdwa v24, v73 dst_sel:DWORD dst_unused:UNUSED_PAD src0_sel:WORD_0
	v_fma_f32 v8, -v6, v7, 1.0
	v_fmac_f32_e32 v7, v8, v7
	v_div_scale_f32 v8, vcc, v2, v3, v2
	v_mul_f32_e32 v9, v8, v7
	v_fma_f32 v10, -v6, v9, v8
	v_fmac_f32_e32 v9, v10, v7
	v_fma_f32 v6, -v6, v9, v8
	v_div_fmas_f32 v6, v6, v7, v9
	v_div_fixup_f32 v2, v6, v3, v2
	v_mov_b32_e32 v3, s13
	v_mov_b32_e32 v6, s12
	v_cndmask_b32_e64 v3, v3, v6, s[2:3]
	v_add_f32_e32 v2, v3, v2
	s_mov_b32 s2, 0x800000
	v_mul_f32_e32 v3, 0x4b800000, v2
	v_cmp_gt_f32_e32 vcc, s2, v2
	v_cndmask_b32_e32 v2, v2, v3, vcc
	v_rsq_f32_e32 v2, v2
	v_cvt_f32_u32_sdwa v27, v74 dst_sel:DWORD dst_unused:UNUSED_PAD src0_sel:WORD_1
	v_cvt_f32_u32_sdwa v26, v74 dst_sel:DWORD dst_unused:UNUSED_PAD src0_sel:WORD_0
	v_cvt_f32_u32_sdwa v29, v75 dst_sel:DWORD dst_unused:UNUSED_PAD src0_sel:WORD_1
	v_mul_f32_e32 v3, 0x45800000, v2
	v_cndmask_b32_e32 v2, v2, v3, vcc
	v_mov_b32_e32 v3, v2
	;;#ASMSTART
	v_pk_mul_f32 v[6:7], v[18:19], v[2:3]
	;;#ASMEND
	;;#ASMSTART
	v_pk_mul_f32 v[4:5], v[4:5], v[2:3]
	;;#ASMEND
	;; [unrolled: 3-line block ×10, first 2 shown]
	v_cvt_f32_u32_sdwa v7, v78 dst_sel:DWORD dst_unused:UNUSED_PAD src0_sel:WORD_1
	v_cvt_f32_u32_sdwa v6, v78 dst_sel:DWORD dst_unused:UNUSED_PAD src0_sel:WORD_0
	v_cvt_f32_u32_sdwa v17, v79 dst_sel:DWORD dst_unused:UNUSED_PAD src0_sel:WORD_1
	v_cvt_f32_u32_sdwa v16, v79 dst_sel:DWORD dst_unused:UNUSED_PAD src0_sel:WORD_0
	;; [unrolled: 2-line block ×3, first 2 shown]
	v_cvt_f32_u32_sdwa v28, v75 dst_sel:DWORD dst_unused:UNUSED_PAD src0_sel:WORD_0
	;;#ASMSTART
	v_pk_mul_f32 v[54:55], v[8:9], v[6:7]
	;;#ASMEND
	;;#ASMSTART
	v_pk_mul_f32 v[36:37], v[10:11], v[16:17]
	;;#ASMEND
	;; [unrolled: 3-line block ×6, first 2 shown]
	s_or_b64 exec, exec, s[26:27]
	s_mov_b64 s[2:3], -1
	s_and_b64 vcc, exec, s[22:23]
	s_cbranch_vccz .LBB704_15
.LBB704_19:
	s_and_saveexec_b64 s[2:3], s[0:1]
	s_cbranch_execz .LBB704_21
; %bb.20:
	s_mul_hi_i32 s23, s25, s6
	s_mul_i32 s22, s25, s6
	s_lshl_b64 s[22:23], s[22:23], 1
	s_add_u32 s28, s14, s22
	s_addc_u32 s7, s15, s23
	s_and_b32 s29, s7, 0xffff
	s_mov_b32 s7, 0x7060302
	s_mov_b32 s31, 0x20000
	v_perm_b32 v9, v37, v36, s7
	v_perm_b32 v8, v55, v54, s7
	;; [unrolled: 1-line block ×4, first 2 shown]
	v_lshlrev_b32_e32 v2, 5, v0
	buffer_store_dwordx4 v[6:9], v2, s[28:31], 0 offen
	;;#ASMSTART
	s_nop 0
	;;#ASMEND
	s_nop 0
	v_perm_b32 v9, v89, v88, s7
	v_perm_b32 v8, v33, v32, s7
	;; [unrolled: 1-line block ×4, first 2 shown]
	buffer_store_dwordx4 v[6:9], v2, s[28:31], 16 offen
	;;#ASMSTART
	s_nop 0
	;;#ASMEND
.LBB704_21:
	s_or_b64 exec, exec, s[2:3]
	s_cbranch_execnz .LBB704_16
.LBB704_22:
	s_and_saveexec_b64 s[2:3], s[0:1]
	s_cbranch_execz .LBB704_24
; %bb.23:
	s_load_dwordx2 s[0:1], s[4:5], 0x10
	s_mul_hi_i32 s23, s24, s6
	s_mul_i32 s22, s24, s6
	s_lshl_b64 s[22:23], s[22:23], 1
	s_mov_b32 s7, 0x7060302
	s_waitcnt lgkmcnt(0)
	s_add_u32 s28, s0, s22
	s_addc_u32 s0, s1, s23
	v_perm_b32 v7, v37, v36, s7
	v_perm_b32 v6, v55, v54, s7
	;; [unrolled: 1-line block ×4, first 2 shown]
	s_and_b32 s29, s0, 0xffff
	s_mov_b32 s31, 0x20000
	v_lshlrev_b32_e32 v8, 5, v0
	buffer_store_dwordx4 v[4:7], v8, s[28:31], 0 offen
	v_perm_b32 v3, v49, v48, s7
	v_perm_b32 v5, v89, v88, s7
	;; [unrolled: 1-line block ×4, first 2 shown]
	;;#ASMSTART
	s_nop 0
	;;#ASMEND
	buffer_store_dwordx4 v[2:5], v8, s[28:31], 16 offen
	;;#ASMSTART
	s_nop 0
	;;#ASMEND
.LBB704_24:
	s_or_b64 exec, exec, s[2:3]
	s_cmp_lt_i32 s16, 1
	s_cbranch_scc1 .LBB704_17
.LBB704_25:
	s_load_dword s0, s[4:5], 0x94
	s_waitcnt lgkmcnt(0)
	s_cmp_lg_u32 s0, 1
	s_cbranch_scc1 .LBB704_17
; %bb.26:
	s_lshl_b32 s0, s16, 1
	s_add_i32 s0, s0, 2
	v_cmp_gt_u32_e32 vcc, s16, v1
	s_and_b32 s22, s0, -4
	v_mov_b32_e32 v18, 0
	v_lshlrev_b32_e32 v1, 5, v0
	v_mov_b32_e32 v14, 0
	v_mov_b32_e32 v15, 0
	;; [unrolled: 1-line block ×16, first 2 shown]
	s_barrier
	s_and_saveexec_b64 s[0:1], vcc
	s_cbranch_execz .LBB704_28
; %bb.27:
	s_mul_hi_i32 s3, s18, s6
	s_mul_i32 s2, s18, s6
	s_and_b32 s21, s21, 0xffff
	s_lshl_b64 s[2:3], s[2:3], 1
	s_add_u32 s28, s10, s2
	s_mov_b32 s23, 0x20000
	s_addc_u32 s2, s11, s3
	s_and_b32 s29, s2, 0xffff
	s_mov_b32 s30, s22
	s_mov_b32 s31, s23
	buffer_load_dwordx4 v[14:17], v1, s[28:31], 0 offen
	buffer_load_dwordx4 v[10:13], v1, s[28:31], 16 offen
	;; [unrolled: 1-line block ×4, first 2 shown]
.LBB704_28:
	s_or_b64 exec, exec, s[0:1]
	v_mov_b32_e32 v19, 0
	v_mov_b32_e32 v32, 0
	;; [unrolled: 1-line block ×15, first 2 shown]
	s_and_saveexec_b64 s[0:1], vcc
	s_cbranch_execz .LBB704_30
; %bb.29:
	s_waitcnt vmcnt(3)
	v_cvt_f32_u32_sdwa v18, v14 dst_sel:DWORD dst_unused:UNUSED_PAD src0_sel:WORD_0
	v_cvt_f32_u32_sdwa v19, v14 dst_sel:DWORD dst_unused:UNUSED_PAD src0_sel:WORD_1
	v_cvt_f32_u32_sdwa v32, v15 dst_sel:DWORD dst_unused:UNUSED_PAD src0_sel:WORD_0
	v_cvt_f32_u32_sdwa v33, v15 dst_sel:DWORD dst_unused:UNUSED_PAD src0_sel:WORD_1
	;; [unrolled: 2-line block ×4, first 2 shown]
	s_waitcnt vmcnt(2)
	v_cvt_f32_u32_sdwa v26, v10 dst_sel:DWORD dst_unused:UNUSED_PAD src0_sel:WORD_0
	v_cvt_f32_u32_sdwa v27, v10 dst_sel:DWORD dst_unused:UNUSED_PAD src0_sel:WORD_1
	v_cvt_f32_u32_sdwa v24, v11 dst_sel:DWORD dst_unused:UNUSED_PAD src0_sel:WORD_0
	v_cvt_f32_u32_sdwa v25, v11 dst_sel:DWORD dst_unused:UNUSED_PAD src0_sel:WORD_1
	;; [unrolled: 2-line block ×4, first 2 shown]
.LBB704_30:
	s_or_b64 exec, exec, s[0:1]
	s_waitcnt vmcnt(2)
	v_mul_f32_e32 v10, v19, v19
	v_fmac_f32_e32 v10, v18, v18
	v_fmac_f32_e32 v10, v32, v32
	;; [unrolled: 1-line block ×15, first 2 shown]
	s_nop 1
	v_mov_b32_dpp v11, v10 quad_perm:[1,0,3,2] row_mask:0xf bank_mask:0xf
	v_add_f32_e32 v10, v10, v11
	s_nop 1
	v_mov_b32_dpp v11, v10 quad_perm:[2,3,0,1] row_mask:0xf bank_mask:0xf
	v_add_f32_e32 v10, v10, v11
	s_nop 1
	v_mov_b32_dpp v11, v10 row_half_mirror row_mask:0xf bank_mask:0xf
	v_add_f32_e32 v10, v10, v11
	s_nop 1
	v_mov_b32_dpp v11, v10 row_mirror row_mask:0xf bank_mask:0xf
	v_add_f32_e32 v10, v10, v11
	s_nop 1
	v_mov_b32_dpp v11, v10 row_bcast:15 row_mask:0xf bank_mask:0xf
	v_add_f32_e32 v10, v10, v11
	s_nop 1
	v_mov_b32_dpp v11, v10 row_bcast:31 row_mask:0xf bank_mask:0xf
	s_and_saveexec_b64 s[0:1], s[8:9]
	s_cbranch_execz .LBB704_32
; %bb.31:
	v_lshrrev_b32_e32 v0, 4, v0
	v_add_f32_e32 v10, v10, v11
	v_and_b32_e32 v0, 60, v0
	ds_write_b32 v0, v10
.LBB704_32:
	s_or_b64 exec, exec, s[0:1]
	s_waitcnt lgkmcnt(0)
	s_barrier
	ds_read_b32 v0, v34
	s_waitcnt lgkmcnt(0)
	s_nop 0
	v_mov_b32_dpp v10, v0 quad_perm:[1,0,3,2] row_mask:0xf bank_mask:0xf
	s_and_saveexec_b64 s[0:1], vcc
	s_cbranch_execz .LBB704_17
; %bb.33:
	v_cvt_f32_u32_e32 v11, s16
	v_add_f32_e32 v0, v0, v10
	s_mov_b32 s23, 0x20000
	v_div_scale_f32 v10, s[0:1], v11, v11, v0
	v_rcp_f32_e32 v12, v10
	v_div_scale_f32 v13, vcc, v0, v11, v0
	s_mov_b32 s0, 0x800000
	v_fma_f32 v14, -v10, v12, 1.0
	v_fmac_f32_e32 v12, v14, v12
	v_mul_f32_e32 v14, v13, v12
	v_fma_f32 v15, -v10, v14, v13
	v_fmac_f32_e32 v14, v15, v12
	v_fma_f32 v10, -v10, v14, v13
	v_div_fmas_f32 v10, v10, v12, v14
	v_div_fixup_f32 v0, v10, v11, v0
	v_add_f32_e32 v0, s13, v0
	v_mul_f32_e32 v10, 0x4b800000, v0
	v_cmp_gt_f32_e32 vcc, s0, v0
	v_cndmask_b32_e32 v0, v0, v10, vcc
	v_rsq_f32_e32 v0, v0
	s_mul_hi_i32 s1, s25, s6
	s_mul_i32 s0, s25, s6
	s_lshl_b64 s[0:1], s[0:1], 1
	v_mul_f32_e32 v10, 0x45800000, v0
	v_cndmask_b32_e32 v10, v0, v10, vcc
	v_mov_b32_e32 v11, v10
	s_add_u32 s20, s14, s0
	;;#ASMSTART
	v_pk_mul_f32 v[12:13], v[18:19], v[10:11]
	;;#ASMEND
	;;#ASMSTART
	v_pk_mul_f32 v[14:15], v[32:33], v[10:11]
	;;#ASMEND
	;; [unrolled: 3-line block ×8, first 2 shown]
	s_waitcnt vmcnt(1)
	v_cvt_f32_u32_sdwa v21, v6 dst_sel:DWORD dst_unused:UNUSED_PAD src0_sel:WORD_1
	v_cvt_f32_u32_sdwa v20, v6 dst_sel:DWORD dst_unused:UNUSED_PAD src0_sel:WORD_0
	v_cvt_f32_u32_sdwa v29, v7 dst_sel:DWORD dst_unused:UNUSED_PAD src0_sel:WORD_1
	v_cvt_f32_u32_sdwa v28, v7 dst_sel:DWORD dst_unused:UNUSED_PAD src0_sel:WORD_0
	;; [unrolled: 2-line block ×3, first 2 shown]
	s_addc_u32 s0, s15, s1
	v_cvt_f32_u32_sdwa v31, v9 dst_sel:DWORD dst_unused:UNUSED_PAD src0_sel:WORD_1
	v_cvt_f32_u32_sdwa v30, v9 dst_sel:DWORD dst_unused:UNUSED_PAD src0_sel:WORD_0
	;;#ASMSTART
	v_pk_mul_f32 v[8:9], v[12:13], v[20:21]
	;;#ASMEND
	;;#ASMSTART
	v_pk_mul_f32 v[12:13], v[14:15], v[28:29]
	;;#ASMEND
	;; [unrolled: 3-line block ×4, first 2 shown]
	s_waitcnt vmcnt(0)
	v_cvt_f32_u32_sdwa v17, v2 dst_sel:DWORD dst_unused:UNUSED_PAD src0_sel:WORD_1
	v_cvt_f32_u32_sdwa v16, v2 dst_sel:DWORD dst_unused:UNUSED_PAD src0_sel:WORD_0
	v_cvt_f32_u32_sdwa v19, v3 dst_sel:DWORD dst_unused:UNUSED_PAD src0_sel:WORD_1
	v_cvt_f32_u32_sdwa v18, v3 dst_sel:DWORD dst_unused:UNUSED_PAD src0_sel:WORD_0
	;; [unrolled: 2-line block ×3, first 2 shown]
	s_and_b32 s21, s0, 0xffff
	s_mov_b32 s0, 0x7060302
	v_cvt_f32_u32_sdwa v21, v5 dst_sel:DWORD dst_unused:UNUSED_PAD src0_sel:WORD_1
	v_cvt_f32_u32_sdwa v20, v5 dst_sel:DWORD dst_unused:UNUSED_PAD src0_sel:WORD_0
	;;#ASMSTART
	v_pk_mul_f32 v[16:17], v[26:27], v[16:17]
	;;#ASMEND
	;;#ASMSTART
	v_pk_mul_f32 v[18:19], v[24:25], v[18:19]
	;;#ASMEND
	;; [unrolled: 3-line block ×3, first 2 shown]
	v_perm_b32 v2, v9, v8, s0
	v_perm_b32 v3, v13, v12, s0
	;; [unrolled: 1-line block ×4, first 2 shown]
	;;#ASMSTART
	v_pk_mul_f32 v[10:11], v[10:11], v[20:21]
	;;#ASMEND
	buffer_store_dwordx4 v[2:5], v1, s[20:23], 0 offen
	;;#ASMSTART
	s_nop 0
	;;#ASMEND
	s_nop 0
	v_perm_b32 v2, v17, v16, s0
	v_perm_b32 v3, v19, v18, s0
	;; [unrolled: 1-line block ×4, first 2 shown]
	buffer_store_dwordx4 v[2:5], v1, s[20:23], 16 offen
	;;#ASMSTART
	s_nop 0
	;;#ASMEND
	s_endpgm
	.section	.rodata,"a",@progbits
	.p2align	6, 0x0
	.amdhsa_kernel _ZN5aiter35fused_qk_rmsnorm_group_quant_kernelItN4opus5fp4_tELi128ELi16ELi2ELb1ELb1ELb0ELb1ELb0ELb0EEEvPT0_PvPT_S7_S7_PKS6_S9_S9_S9_S9_ffiiiiiiiiiiiii
		.amdhsa_group_segment_fixed_size 16
		.amdhsa_private_segment_fixed_size 0
		.amdhsa_kernarg_size 400
		.amdhsa_user_sgpr_count 6
		.amdhsa_user_sgpr_private_segment_buffer 1
		.amdhsa_user_sgpr_dispatch_ptr 0
		.amdhsa_user_sgpr_queue_ptr 0
		.amdhsa_user_sgpr_kernarg_segment_ptr 1
		.amdhsa_user_sgpr_dispatch_id 0
		.amdhsa_user_sgpr_flat_scratch_init 0
		.amdhsa_user_sgpr_kernarg_preload_length 0
		.amdhsa_user_sgpr_kernarg_preload_offset 0
		.amdhsa_user_sgpr_private_segment_size 0
		.amdhsa_uses_dynamic_stack 0
		.amdhsa_system_sgpr_private_segment_wavefront_offset 0
		.amdhsa_system_sgpr_workgroup_id_x 1
		.amdhsa_system_sgpr_workgroup_id_y 1
		.amdhsa_system_sgpr_workgroup_id_z 0
		.amdhsa_system_sgpr_workgroup_info 0
		.amdhsa_system_vgpr_workitem_id 0
		.amdhsa_next_free_vgpr 90
		.amdhsa_next_free_sgpr 32
		.amdhsa_accum_offset 92
		.amdhsa_reserve_vcc 1
		.amdhsa_reserve_flat_scratch 0
		.amdhsa_float_round_mode_32 0
		.amdhsa_float_round_mode_16_64 0
		.amdhsa_float_denorm_mode_32 3
		.amdhsa_float_denorm_mode_16_64 3
		.amdhsa_dx10_clamp 1
		.amdhsa_ieee_mode 1
		.amdhsa_fp16_overflow 0
		.amdhsa_tg_split 0
		.amdhsa_exception_fp_ieee_invalid_op 0
		.amdhsa_exception_fp_denorm_src 0
		.amdhsa_exception_fp_ieee_div_zero 0
		.amdhsa_exception_fp_ieee_overflow 0
		.amdhsa_exception_fp_ieee_underflow 0
		.amdhsa_exception_fp_ieee_inexact 0
		.amdhsa_exception_int_div_zero 0
	.end_amdhsa_kernel
	.section	.text._ZN5aiter35fused_qk_rmsnorm_group_quant_kernelItN4opus5fp4_tELi128ELi16ELi2ELb1ELb1ELb0ELb1ELb0ELb0EEEvPT0_PvPT_S7_S7_PKS6_S9_S9_S9_S9_ffiiiiiiiiiiiii,"axG",@progbits,_ZN5aiter35fused_qk_rmsnorm_group_quant_kernelItN4opus5fp4_tELi128ELi16ELi2ELb1ELb1ELb0ELb1ELb0ELb0EEEvPT0_PvPT_S7_S7_PKS6_S9_S9_S9_S9_ffiiiiiiiiiiiii,comdat
.Lfunc_end704:
	.size	_ZN5aiter35fused_qk_rmsnorm_group_quant_kernelItN4opus5fp4_tELi128ELi16ELi2ELb1ELb1ELb0ELb1ELb0ELb0EEEvPT0_PvPT_S7_S7_PKS6_S9_S9_S9_S9_ffiiiiiiiiiiiii, .Lfunc_end704-_ZN5aiter35fused_qk_rmsnorm_group_quant_kernelItN4opus5fp4_tELi128ELi16ELi2ELb1ELb1ELb0ELb1ELb0ELb0EEEvPT0_PvPT_S7_S7_PKS6_S9_S9_S9_S9_ffiiiiiiiiiiiii
                                        ; -- End function
	.section	.AMDGPU.csdata,"",@progbits
; Kernel info:
; codeLenInByte = 3408
; NumSgprs: 36
; NumVgprs: 90
; NumAgprs: 0
; TotalNumVgprs: 90
; ScratchSize: 0
; MemoryBound: 0
; FloatMode: 240
; IeeeMode: 1
; LDSByteSize: 16 bytes/workgroup (compile time only)
; SGPRBlocks: 4
; VGPRBlocks: 11
; NumSGPRsForWavesPerEU: 36
; NumVGPRsForWavesPerEU: 90
; AccumOffset: 92
; Occupancy: 5
; WaveLimiterHint : 0
; COMPUTE_PGM_RSRC2:SCRATCH_EN: 0
; COMPUTE_PGM_RSRC2:USER_SGPR: 6
; COMPUTE_PGM_RSRC2:TRAP_HANDLER: 0
; COMPUTE_PGM_RSRC2:TGID_X_EN: 1
; COMPUTE_PGM_RSRC2:TGID_Y_EN: 1
; COMPUTE_PGM_RSRC2:TGID_Z_EN: 0
; COMPUTE_PGM_RSRC2:TIDIG_COMP_CNT: 0
; COMPUTE_PGM_RSRC3_GFX90A:ACCUM_OFFSET: 22
; COMPUTE_PGM_RSRC3_GFX90A:TG_SPLIT: 0
	.section	.text._ZN5aiter35fused_qk_rmsnorm_group_quant_kernelIDF16_DB8_Li128ELi16ELi2ELb0ELb1ELb1ELb1ELb0ELb0EEEvPT0_PvPT_S6_S6_PKS5_S8_S8_S8_S8_ffiiiiiiiiiiiii,"axG",@progbits,_ZN5aiter35fused_qk_rmsnorm_group_quant_kernelIDF16_DB8_Li128ELi16ELi2ELb0ELb1ELb1ELb1ELb0ELb0EEEvPT0_PvPT_S6_S6_PKS5_S8_S8_S8_S8_ffiiiiiiiiiiiii,comdat
	.protected	_ZN5aiter35fused_qk_rmsnorm_group_quant_kernelIDF16_DB8_Li128ELi16ELi2ELb0ELb1ELb1ELb1ELb0ELb0EEEvPT0_PvPT_S6_S6_PKS5_S8_S8_S8_S8_ffiiiiiiiiiiiii ; -- Begin function _ZN5aiter35fused_qk_rmsnorm_group_quant_kernelIDF16_DB8_Li128ELi16ELi2ELb0ELb1ELb1ELb1ELb0ELb0EEEvPT0_PvPT_S6_S6_PKS5_S8_S8_S8_S8_ffiiiiiiiiiiiii
	.globl	_ZN5aiter35fused_qk_rmsnorm_group_quant_kernelIDF16_DB8_Li128ELi16ELi2ELb0ELb1ELb1ELb1ELb0ELb0EEEvPT0_PvPT_S6_S6_PKS5_S8_S8_S8_S8_ffiiiiiiiiiiiii
	.p2align	8
	.type	_ZN5aiter35fused_qk_rmsnorm_group_quant_kernelIDF16_DB8_Li128ELi16ELi2ELb0ELb1ELb1ELb1ELb0ELb0EEEvPT0_PvPT_S6_S6_PKS5_S8_S8_S8_S8_ffiiiiiiiiiiiii,@function
_ZN5aiter35fused_qk_rmsnorm_group_quant_kernelIDF16_DB8_Li128ELi16ELi2ELb0ELb1ELb1ELb1ELb0ELb0EEEvPT0_PvPT_S6_S6_PKS5_S8_S8_S8_S8_ffiiiiiiiiiiiii: ; @_ZN5aiter35fused_qk_rmsnorm_group_quant_kernelIDF16_DB8_Li128ELi16ELi2ELb0ELb1ELb1ELb1ELb0ELb0EEEvPT0_PvPT_S6_S6_PKS5_S8_S8_S8_S8_ffiiiiiiiiiiiii
; %bb.0:
	s_load_dwordx4 s[12:15], s[4:5], 0x50
	s_waitcnt lgkmcnt(0)
	s_cmp_ge_i32 s6, s14
	s_cbranch_scc1 .LBB705_12
; %bb.1:
	s_load_dwordx2 s[24:25], s[4:5], 0x30
	s_load_dwordx2 s[8:9], s[4:5], 0x48
	s_load_dwordx4 s[16:19], s[4:5], 0x60
	s_cmp_lg_u32 s7, 0
	s_cselect_b64 s[10:11], -1, 0
	s_cmp_eq_u32 s7, 0
	s_cselect_b64 vcc, -1, 0
	s_and_b64 s[0:1], vcc, exec
	s_waitcnt lgkmcnt(0)
	s_cselect_b32 s7, s15, s16
	s_add_i32 s0, s7, 1
	s_lshr_b32 s1, s0, 31
	s_add_i32 s0, s0, s1
	s_lshl_b32 s0, s0, 1
	v_lshlrev_b32_e32 v1, 4, v0
	s_and_b32 s22, s0, -4
	v_cmp_gt_i32_e64 s[2:3], s7, v1
	v_mov_b32_e32 v18, 0
	v_mov_b32_e32 v6, 0
	;; [unrolled: 1-line block ×17, first 2 shown]
	s_and_saveexec_b64 s[0:1], s[2:3]
	s_cbranch_execz .LBB705_3
; %bb.2:
	s_load_dwordx2 s[14:15], s[4:5], 0x28
	s_load_dwordx2 s[20:21], s[4:5], 0x40
	s_and_b64 s[26:27], vcc, exec
	s_cselect_b32 s17, s17, s18
	s_mov_b32 s30, s22
	s_waitcnt lgkmcnt(0)
	s_cselect_b32 s19, s15, s25
	s_cselect_b32 s23, s14, s24
	s_mul_hi_i32 s15, s17, s6
	s_mul_i32 s14, s17, s6
	s_lshl_b64 s[14:15], s[14:15], 1
	s_add_u32 s28, s23, s14
	s_addc_u32 s17, s19, s15
	s_and_b64 s[14:15], vcc, exec
	s_mov_b32 s23, 0x20000
	s_cselect_b32 s20, s20, s8
	s_cselect_b32 s14, s21, s9
	s_and_b32 s29, s17, 0xffff
	s_mov_b32 s31, s23
	v_lshlrev_b32_e32 v19, 5, v0
	s_and_b32 s21, s14, 0xffff
	buffer_load_dwordx4 v[14:17], v19, s[28:31], 0 offen
	buffer_load_dwordx4 v[10:13], v19, s[28:31], 16 offen
	;; [unrolled: 1-line block ×4, first 2 shown]
.LBB705_3:
	s_or_b64 exec, exec, s[0:1]
	v_mov_b32_e32 v19, 0
	v_mov_b32_e32 v22, 0
	;; [unrolled: 1-line block ×15, first 2 shown]
	s_and_saveexec_b64 s[0:1], s[2:3]
	s_cbranch_execz .LBB705_5
; %bb.4:
	s_waitcnt vmcnt(3)
	v_cvt_f32_f16_sdwa v19, v14 dst_sel:DWORD dst_unused:UNUSED_PAD src0_sel:WORD_1
	v_cvt_f32_f16_e32 v18, v14
	v_cvt_f32_f16_sdwa v23, v15 dst_sel:DWORD dst_unused:UNUSED_PAD src0_sel:WORD_1
	v_cvt_f32_f16_e32 v22, v15
	;; [unrolled: 2-line block ×4, first 2 shown]
	s_waitcnt vmcnt(2)
	v_cvt_f32_f16_sdwa v21, v10 dst_sel:DWORD dst_unused:UNUSED_PAD src0_sel:WORD_1
	v_cvt_f32_f16_e32 v20, v10
	v_cvt_f32_f16_sdwa v29, v11 dst_sel:DWORD dst_unused:UNUSED_PAD src0_sel:WORD_1
	v_cvt_f32_f16_e32 v28, v11
	;; [unrolled: 2-line block ×4, first 2 shown]
.LBB705_5:
	s_or_b64 exec, exec, s[0:1]
	s_waitcnt vmcnt(2)
	v_mul_f32_e32 v10, v19, v19
	v_fmac_f32_e32 v10, v18, v18
	v_fmac_f32_e32 v10, v22, v22
	;; [unrolled: 1-line block ×15, first 2 shown]
	v_and_b32_e32 v12, 63, v0
	v_cmp_eq_u32_e64 s[0:1], 63, v12
	v_mov_b32_dpp v11, v10 quad_perm:[1,0,3,2] row_mask:0xf bank_mask:0xf
	v_add_f32_e32 v10, v10, v11
	s_nop 1
	v_mov_b32_dpp v11, v10 quad_perm:[2,3,0,1] row_mask:0xf bank_mask:0xf
	v_add_f32_e32 v10, v10, v11
	s_nop 1
	v_mov_b32_dpp v11, v10 row_half_mirror row_mask:0xf bank_mask:0xf
	v_add_f32_e32 v10, v10, v11
	s_nop 1
	v_mov_b32_dpp v11, v10 row_mirror row_mask:0xf bank_mask:0xf
	v_add_f32_e32 v10, v10, v11
	s_nop 1
	v_mov_b32_dpp v11, v10 row_bcast:15 row_mask:0xf bank_mask:0xf
	v_add_f32_e32 v10, v10, v11
	s_nop 1
	v_mov_b32_dpp v11, v10 row_bcast:31 row_mask:0xf bank_mask:0xf
	s_and_saveexec_b64 s[14:15], s[0:1]
	s_cbranch_execz .LBB705_7
; %bb.6:
	v_add_f32_e32 v10, v10, v11
	v_lshrrev_b32_e32 v11, 4, v0
	v_and_b32_e32 v11, 60, v11
	ds_write_b32 v11, v10 offset:8
.LBB705_7:
	s_or_b64 exec, exec, s[14:15]
	v_and_b32_e32 v10, 1, v0
	v_lshlrev_b32_e32 v34, 2, v10
	s_waitcnt lgkmcnt(0)
	s_barrier
	ds_read_b32 v10, v34 offset:8
	s_load_dwordx2 s[14:15], s[4:5], 0x18
	s_waitcnt lgkmcnt(0)
	v_mov_b32_dpp v11, v10 quad_perm:[1,0,3,2] row_mask:0xf bank_mask:0xf
	s_and_saveexec_b64 s[20:21], s[2:3]
	s_cbranch_execz .LBB705_9
; %bb.8:
	v_cvt_f32_u32_e32 v12, s7
	v_add_f32_e32 v10, v10, v11
	v_mov_b32_e32 v14, s13
	v_mov_b32_e32 v15, s12
	v_div_scale_f32 v11, s[26:27], v12, v12, v10
	v_rcp_f32_e32 v13, v11
	v_cndmask_b32_e32 v14, v14, v15, vcc
	s_mov_b32 s7, 0x800000
	v_fma_f32 v15, -v11, v13, 1.0
	v_fmac_f32_e32 v13, v15, v13
	v_div_scale_f32 v15, vcc, v10, v12, v10
	v_mul_f32_e32 v16, v15, v13
	v_fma_f32 v17, -v11, v16, v15
	v_fmac_f32_e32 v16, v17, v13
	v_fma_f32 v11, -v11, v16, v15
	v_div_fmas_f32 v11, v11, v13, v16
	v_div_fixup_f32 v10, v11, v12, v10
	v_add_f32_e32 v10, v14, v10
	v_mul_f32_e32 v11, 0x4b800000, v10
	v_cmp_gt_f32_e32 vcc, s7, v10
	v_cndmask_b32_e32 v10, v10, v11, vcc
	v_rsq_f32_e32 v10, v10
	v_mul_f32_e32 v11, 0x45800000, v10
	v_cndmask_b32_e32 v10, v10, v11, vcc
	v_mov_b32_e32 v11, v10
	;;#ASMSTART
	v_pk_mul_f32 v[12:13], v[18:19], v[10:11]
	;;#ASMEND
	s_waitcnt vmcnt(1)
	v_cvt_f32_f16_sdwa v19, v6 dst_sel:DWORD dst_unused:UNUSED_PAD src0_sel:WORD_1
	v_cvt_f32_f16_e32 v18, v6
	;;#ASMSTART
	v_pk_mul_f32 v[14:15], v[22:23], v[10:11]
	;;#ASMEND
	v_cvt_f32_f16_sdwa v23, v7 dst_sel:DWORD dst_unused:UNUSED_PAD src0_sel:WORD_1
	v_cvt_f32_f16_e32 v22, v7
	;;#ASMSTART
	v_pk_mul_f32 v[16:17], v[24:25], v[10:11]
	;;#ASMEND
	;;#ASMSTART
	v_pk_mul_f32 v[32:33], v[32:33], v[10:11]
	;;#ASMEND
	;; [unrolled: 3-line block ×6, first 2 shown]
	v_pk_add_f32 v[10:11], v[18:19], 1.0 op_sel_hi:[1,0]
	;;#ASMSTART
	v_pk_mul_f32 v[18:19], v[12:13], v[10:11]
	;;#ASMEND
	v_cvt_f32_f16_sdwa v13, v8 dst_sel:DWORD dst_unused:UNUSED_PAD src0_sel:WORD_1
	v_cvt_f32_f16_e32 v12, v8
	v_cvt_f32_f16_sdwa v27, v9 dst_sel:DWORD dst_unused:UNUSED_PAD src0_sel:WORD_1
	v_cvt_f32_f16_e32 v26, v9
	v_pk_add_f32 v[10:11], v[22:23], 1.0 op_sel_hi:[1,0]
	;;#ASMSTART
	v_pk_mul_f32 v[22:23], v[14:15], v[10:11]
	;;#ASMEND
	s_waitcnt vmcnt(0)
	v_cvt_f32_f16_sdwa v11, v2 dst_sel:DWORD dst_unused:UNUSED_PAD src0_sel:WORD_1
	v_cvt_f32_f16_e32 v10, v2
	v_pk_add_f32 v[8:9], v[12:13], 1.0 op_sel_hi:[1,0]
	;;#ASMSTART
	v_pk_mul_f32 v[24:25], v[16:17], v[8:9]
	;;#ASMEND
	v_pk_add_f32 v[8:9], v[26:27], 1.0 op_sel_hi:[1,0]
	v_cvt_f32_f16_sdwa v13, v3 dst_sel:DWORD dst_unused:UNUSED_PAD src0_sel:WORD_1
	v_cvt_f32_f16_e32 v12, v3
	;;#ASMSTART
	v_pk_mul_f32 v[32:33], v[32:33], v[8:9]
	;;#ASMEND
	v_cvt_f32_f16_sdwa v9, v4 dst_sel:DWORD dst_unused:UNUSED_PAD src0_sel:WORD_1
	v_cvt_f32_f16_e32 v8, v4
	v_pk_add_f32 v[2:3], v[10:11], 1.0 op_sel_hi:[1,0]
	v_cvt_f32_f16_sdwa v11, v5 dst_sel:DWORD dst_unused:UNUSED_PAD src0_sel:WORD_1
	v_cvt_f32_f16_e32 v10, v5
	;;#ASMSTART
	v_pk_mul_f32 v[20:21], v[20:21], v[2:3]
	;;#ASMEND
	v_pk_add_f32 v[2:3], v[12:13], 1.0 op_sel_hi:[1,0]
	;;#ASMSTART
	v_pk_mul_f32 v[28:29], v[28:29], v[2:3]
	;;#ASMEND
	v_pk_add_f32 v[2:3], v[8:9], 1.0 op_sel_hi:[1,0]
	;; [unrolled: 4-line block ×3, first 2 shown]
	;;#ASMSTART
	v_pk_mul_f32 v[26:27], v[6:7], v[2:3]
	;;#ASMEND
.LBB705_9:
	s_or_b64 exec, exec, s[20:21]
	s_load_dwordx2 s[26:27], s[4:5], 0x7c
	s_mov_b64 s[20:21], -1
	s_and_b64 vcc, exec, s[10:11]
	s_cbranch_vccnz .LBB705_13
; %bb.10:
	s_andn2_b64 vcc, exec, s[20:21]
	s_cbranch_vccz .LBB705_16
.LBB705_11:
	s_cmp_lt_i32 s16, 1
	s_cbranch_scc0 .LBB705_19
.LBB705_12:
	s_endpgm
.LBB705_13:
	s_and_saveexec_b64 s[10:11], s[2:3]
	s_cbranch_execz .LBB705_15
; %bb.14:
	s_waitcnt lgkmcnt(0)
	s_mul_hi_i32 s21, s27, s6
	s_mul_i32 s20, s27, s6
	s_waitcnt vmcnt(0)
	v_cvt_f16_f32_e32 v2, v18
	v_cvt_f16_f32_e32 v3, v22
	;; [unrolled: 1-line block ×8, first 2 shown]
	s_lshl_b64 s[20:21], s[20:21], 1
	s_add_u32 s20, s14, s20
	s_addc_u32 s7, s15, s21
	s_and_b32 s21, s7, 0xffff
	s_mov_b32 s23, 0x20000
	v_pack_b32_f16 v5, v5, v6
	v_pack_b32_f16 v4, v4, v7
	v_pack_b32_f16 v3, v3, v8
	v_pack_b32_f16 v2, v2, v9
	v_lshlrev_b32_e32 v6, 5, v0
	buffer_store_dwordx4 v[2:5], v6, s[20:23], 0 offen
	v_cvt_f16_f32_e32 v7, v27
	v_cvt_f16_f32_e32 v2, v20
	;; [unrolled: 1-line block ×8, first 2 shown]
	v_pack_b32_f16 v5, v5, v7
	v_pack_b32_f16 v4, v4, v8
	;; [unrolled: 1-line block ×4, first 2 shown]
	;;#ASMSTART
	s_nop 0
	;;#ASMEND
	buffer_store_dwordx4 v[2:5], v6, s[20:23], 16 offen
	;;#ASMSTART
	s_nop 0
	;;#ASMEND
.LBB705_15:
	s_or_b64 exec, exec, s[10:11]
	s_cbranch_execnz .LBB705_11
.LBB705_16:
	s_and_saveexec_b64 s[10:11], s[2:3]
	s_cbranch_execz .LBB705_18
; %bb.17:
	s_load_dwordx2 s[2:3], s[4:5], 0x10
	s_waitcnt lgkmcnt(0)
	s_mul_hi_i32 s21, s26, s6
	s_mul_i32 s20, s26, s6
	s_waitcnt vmcnt(0)
	v_cvt_f16_f32_e32 v2, v18
	v_cvt_f16_f32_e32 v3, v22
	;; [unrolled: 1-line block ×8, first 2 shown]
	s_lshl_b64 s[20:21], s[20:21], 1
	s_add_u32 s20, s2, s20
	s_addc_u32 s2, s3, s21
	s_mov_b32 s23, 0x20000
	s_and_b32 s21, s2, 0xffff
	v_pack_b32_f16 v5, v5, v6
	v_pack_b32_f16 v4, v4, v7
	;; [unrolled: 1-line block ×4, first 2 shown]
	v_lshlrev_b32_e32 v6, 5, v0
	buffer_store_dwordx4 v[2:5], v6, s[20:23], 0 offen
	v_cvt_f16_f32_e32 v7, v27
	v_cvt_f16_f32_e32 v2, v20
	;; [unrolled: 1-line block ×8, first 2 shown]
	v_pack_b32_f16 v5, v5, v7
	v_pack_b32_f16 v4, v4, v8
	;; [unrolled: 1-line block ×4, first 2 shown]
	;;#ASMSTART
	s_nop 0
	;;#ASMEND
	buffer_store_dwordx4 v[2:5], v6, s[20:23], 16 offen
	;;#ASMSTART
	s_nop 0
	;;#ASMEND
.LBB705_18:
	s_or_b64 exec, exec, s[10:11]
	s_cmp_lt_i32 s16, 1
	s_cbranch_scc1 .LBB705_12
.LBB705_19:
	s_load_dword s2, s[4:5], 0x94
	s_waitcnt lgkmcnt(0)
	s_cmp_lg_u32 s2, 1
	s_cbranch_scc1 .LBB705_12
; %bb.20:
	s_lshl_b32 s2, s16, 1
	s_add_i32 s2, s2, 2
	v_cmp_gt_u32_e32 vcc, s16, v1
	s_and_b32 s10, s2, -4
	v_mov_b32_e32 v18, 0
	v_lshlrev_b32_e32 v1, 5, v0
	v_mov_b32_e32 v14, 0
	v_mov_b32_e32 v15, 0
	;; [unrolled: 1-line block ×8, first 2 shown]
	s_waitcnt vmcnt(1)
	v_mov_b32_e32 v6, 0
	v_mov_b32_e32 v7, 0
	;; [unrolled: 1-line block ×4, first 2 shown]
	s_waitcnt vmcnt(0)
	v_mov_b32_e32 v2, 0
	v_mov_b32_e32 v3, 0
	;; [unrolled: 1-line block ×4, first 2 shown]
	s_barrier
	s_and_saveexec_b64 s[2:3], vcc
	s_cbranch_execz .LBB705_22
; %bb.21:
	s_mul_hi_i32 s5, s18, s6
	s_mul_i32 s4, s18, s6
	s_and_b32 s9, s9, 0xffff
	s_lshl_b64 s[4:5], s[4:5], 1
	s_add_u32 s20, s24, s4
	s_mov_b32 s11, 0x20000
	s_addc_u32 s4, s25, s5
	s_and_b32 s21, s4, 0xffff
	s_mov_b32 s22, s10
	s_mov_b32 s23, s11
	buffer_load_dwordx4 v[14:17], v1, s[20:23], 0 offen
	buffer_load_dwordx4 v[10:13], v1, s[20:23], 16 offen
	buffer_load_dwordx4 v[6:9], v1, s[8:11], 0 offen
	buffer_load_dwordx4 v[2:5], v1, s[8:11], 16 offen
.LBB705_22:
	s_or_b64 exec, exec, s[2:3]
	v_mov_b32_e32 v19, 0
	v_mov_b32_e32 v32, 0
	;; [unrolled: 1-line block ×15, first 2 shown]
	s_and_saveexec_b64 s[2:3], vcc
	s_cbranch_execz .LBB705_24
; %bb.23:
	s_waitcnt vmcnt(3)
	v_cvt_f32_f16_sdwa v19, v14 dst_sel:DWORD dst_unused:UNUSED_PAD src0_sel:WORD_1
	v_cvt_f32_f16_e32 v18, v14
	v_cvt_f32_f16_sdwa v33, v15 dst_sel:DWORD dst_unused:UNUSED_PAD src0_sel:WORD_1
	v_cvt_f32_f16_e32 v32, v15
	;; [unrolled: 2-line block ×4, first 2 shown]
	s_waitcnt vmcnt(2)
	v_cvt_f32_f16_sdwa v27, v10 dst_sel:DWORD dst_unused:UNUSED_PAD src0_sel:WORD_1
	v_cvt_f32_f16_e32 v26, v10
	v_cvt_f32_f16_sdwa v25, v11 dst_sel:DWORD dst_unused:UNUSED_PAD src0_sel:WORD_1
	v_cvt_f32_f16_e32 v24, v11
	;; [unrolled: 2-line block ×4, first 2 shown]
.LBB705_24:
	s_or_b64 exec, exec, s[2:3]
	s_waitcnt vmcnt(2)
	v_mul_f32_e32 v10, v19, v19
	v_fmac_f32_e32 v10, v18, v18
	v_fmac_f32_e32 v10, v32, v32
	;; [unrolled: 1-line block ×15, first 2 shown]
	s_nop 1
	v_mov_b32_dpp v11, v10 quad_perm:[1,0,3,2] row_mask:0xf bank_mask:0xf
	v_add_f32_e32 v10, v10, v11
	s_nop 1
	v_mov_b32_dpp v11, v10 quad_perm:[2,3,0,1] row_mask:0xf bank_mask:0xf
	v_add_f32_e32 v10, v10, v11
	s_nop 1
	v_mov_b32_dpp v11, v10 row_half_mirror row_mask:0xf bank_mask:0xf
	v_add_f32_e32 v10, v10, v11
	s_nop 1
	v_mov_b32_dpp v11, v10 row_mirror row_mask:0xf bank_mask:0xf
	v_add_f32_e32 v10, v10, v11
	s_nop 1
	v_mov_b32_dpp v11, v10 row_bcast:15 row_mask:0xf bank_mask:0xf
	v_add_f32_e32 v10, v10, v11
	s_nop 1
	v_mov_b32_dpp v11, v10 row_bcast:31 row_mask:0xf bank_mask:0xf
	s_and_saveexec_b64 s[2:3], s[0:1]
	s_cbranch_execz .LBB705_26
; %bb.25:
	v_lshrrev_b32_e32 v0, 4, v0
	v_add_f32_e32 v10, v10, v11
	v_and_b32_e32 v0, 60, v0
	ds_write_b32 v0, v10
.LBB705_26:
	s_or_b64 exec, exec, s[2:3]
	s_waitcnt lgkmcnt(0)
	s_barrier
	ds_read_b32 v0, v34
	s_waitcnt lgkmcnt(0)
	s_nop 0
	v_mov_b32_dpp v10, v0 quad_perm:[1,0,3,2] row_mask:0xf bank_mask:0xf
	s_and_saveexec_b64 s[0:1], vcc
	s_cbranch_execz .LBB705_12
; %bb.27:
	v_cvt_f32_u32_e32 v11, s16
	v_add_f32_e32 v0, v0, v10
	s_mov_b32 s11, 0x20000
	v_div_scale_f32 v10, s[0:1], v11, v11, v0
	v_rcp_f32_e32 v12, v10
	v_div_scale_f32 v13, vcc, v0, v11, v0
	s_mov_b32 s0, 0x800000
	v_fma_f32 v14, -v10, v12, 1.0
	v_fmac_f32_e32 v12, v14, v12
	v_mul_f32_e32 v14, v13, v12
	v_fma_f32 v15, -v10, v14, v13
	v_fmac_f32_e32 v14, v15, v12
	v_fma_f32 v10, -v10, v14, v13
	v_div_fmas_f32 v10, v10, v12, v14
	v_div_fixup_f32 v0, v10, v11, v0
	v_add_f32_e32 v0, s13, v0
	v_mul_f32_e32 v10, 0x4b800000, v0
	v_cmp_gt_f32_e32 vcc, s0, v0
	v_cndmask_b32_e32 v0, v0, v10, vcc
	v_rsq_f32_e32 v0, v0
	s_mul_hi_i32 s1, s27, s6
	s_mul_i32 s0, s27, s6
	s_lshl_b64 s[0:1], s[0:1], 1
	v_mul_f32_e32 v10, 0x45800000, v0
	v_cndmask_b32_e32 v10, v0, v10, vcc
	v_mov_b32_e32 v11, v10
	;;#ASMSTART
	v_pk_mul_f32 v[12:13], v[18:19], v[10:11]
	;;#ASMEND
	;;#ASMSTART
	v_pk_mul_f32 v[14:15], v[32:33], v[10:11]
	;;#ASMEND
	;;#ASMSTART
	v_pk_mul_f32 v[16:17], v[30:31], v[10:11]
	;;#ASMEND
	;;#ASMSTART
	v_pk_mul_f32 v[18:19], v[28:29], v[10:11]
	;;#ASMEND
	s_waitcnt vmcnt(1)
	v_cvt_f32_f16_sdwa v29, v6 dst_sel:DWORD dst_unused:UNUSED_PAD src0_sel:WORD_1
	v_cvt_f32_f16_e32 v28, v6
	v_cvt_f32_f16_sdwa v31, v7 dst_sel:DWORD dst_unused:UNUSED_PAD src0_sel:WORD_1
	v_cvt_f32_f16_e32 v30, v7
	;;#ASMSTART
	v_pk_mul_f32 v[26:27], v[26:27], v[10:11]
	;;#ASMEND
	;;#ASMSTART
	v_pk_mul_f32 v[24:25], v[24:25], v[10:11]
	;;#ASMEND
	;; [unrolled: 3-line block ×4, first 2 shown]
	v_cvt_f32_f16_sdwa v21, v8 dst_sel:DWORD dst_unused:UNUSED_PAD src0_sel:WORD_1
	v_cvt_f32_f16_e32 v20, v8
	v_pk_add_f32 v[10:11], v[28:29], 1.0 op_sel_hi:[1,0]
	;;#ASMSTART
	v_pk_mul_f32 v[10:11], v[12:13], v[10:11]
	;;#ASMEND
	v_pk_add_f32 v[12:13], v[30:31], 1.0 op_sel_hi:[1,0]
	v_cvt_f32_f16_sdwa v29, v9 dst_sel:DWORD dst_unused:UNUSED_PAD src0_sel:WORD_1
	v_cvt_f32_f16_e32 v28, v9
	;;#ASMSTART
	v_pk_mul_f32 v[8:9], v[14:15], v[12:13]
	;;#ASMEND
	v_pk_add_f32 v[12:13], v[20:21], 1.0 op_sel_hi:[1,0]
	;;#ASMSTART
	v_pk_mul_f32 v[12:13], v[16:17], v[12:13]
	;;#ASMEND
	s_waitcnt vmcnt(0)
	v_cvt_f32_f16_sdwa v17, v2 dst_sel:DWORD dst_unused:UNUSED_PAD src0_sel:WORD_1
	v_cvt_f32_f16_e32 v16, v2
	v_cvt_f32_f16_sdwa v21, v3 dst_sel:DWORD dst_unused:UNUSED_PAD src0_sel:WORD_1
	v_cvt_f32_f16_e32 v20, v3
	v_pk_add_f32 v[14:15], v[28:29], 1.0 op_sel_hi:[1,0]
	;;#ASMSTART
	v_pk_mul_f32 v[2:3], v[18:19], v[14:15]
	;;#ASMEND
	v_cvt_f32_f16_sdwa v19, v4 dst_sel:DWORD dst_unused:UNUSED_PAD src0_sel:WORD_1
	v_cvt_f32_f16_e32 v18, v4
	v_pk_add_f32 v[14:15], v[16:17], 1.0 op_sel_hi:[1,0]
	v_pk_add_f32 v[16:17], v[20:21], 1.0 op_sel_hi:[1,0]
	v_cvt_f32_f16_sdwa v21, v5 dst_sel:DWORD dst_unused:UNUSED_PAD src0_sel:WORD_1
	v_cvt_f32_f16_e32 v20, v5
	v_pk_add_f32 v[4:5], v[18:19], 1.0 op_sel_hi:[1,0]
	;;#ASMSTART
	v_pk_mul_f32 v[14:15], v[26:27], v[14:15]
	;;#ASMEND
	;;#ASMSTART
	v_pk_mul_f32 v[16:17], v[24:25], v[16:17]
	;;#ASMEND
	;; [unrolled: 3-line block ×3, first 2 shown]
	v_pk_add_f32 v[4:5], v[20:21], 1.0 op_sel_hi:[1,0]
	;;#ASMSTART
	v_pk_mul_f32 v[6:7], v[6:7], v[4:5]
	;;#ASMEND
	v_cvt_f16_f32_e32 v0, v10
	v_cvt_f16_f32_e32 v4, v11
	;; [unrolled: 1-line block ×8, first 2 shown]
	s_add_u32 s8, s14, s0
	s_addc_u32 s0, s15, s1
	s_and_b32 s9, s0, 0xffff
	v_pack_b32_f16 v2, v0, v4
	v_pack_b32_f16 v3, v5, v8
	;; [unrolled: 1-line block ×4, first 2 shown]
	buffer_store_dwordx4 v[2:5], v1, s[8:11], 0 offen
	v_cvt_f16_f32_e32 v0, v14
	v_cvt_f16_f32_e32 v2, v15
	;; [unrolled: 1-line block ×8, first 2 shown]
	v_pack_b32_f16 v2, v0, v2
	v_pack_b32_f16 v3, v3, v4
	v_pack_b32_f16 v4, v5, v8
	v_pack_b32_f16 v5, v6, v7
	;;#ASMSTART
	s_nop 0
	;;#ASMEND
	buffer_store_dwordx4 v[2:5], v1, s[8:11], 16 offen
	;;#ASMSTART
	s_nop 0
	;;#ASMEND
	s_endpgm
	.section	.rodata,"a",@progbits
	.p2align	6, 0x0
	.amdhsa_kernel _ZN5aiter35fused_qk_rmsnorm_group_quant_kernelIDF16_DB8_Li128ELi16ELi2ELb0ELb1ELb1ELb1ELb0ELb0EEEvPT0_PvPT_S6_S6_PKS5_S8_S8_S8_S8_ffiiiiiiiiiiiii
		.amdhsa_group_segment_fixed_size 16
		.amdhsa_private_segment_fixed_size 0
		.amdhsa_kernarg_size 400
		.amdhsa_user_sgpr_count 6
		.amdhsa_user_sgpr_private_segment_buffer 1
		.amdhsa_user_sgpr_dispatch_ptr 0
		.amdhsa_user_sgpr_queue_ptr 0
		.amdhsa_user_sgpr_kernarg_segment_ptr 1
		.amdhsa_user_sgpr_dispatch_id 0
		.amdhsa_user_sgpr_flat_scratch_init 0
		.amdhsa_user_sgpr_kernarg_preload_length 0
		.amdhsa_user_sgpr_kernarg_preload_offset 0
		.amdhsa_user_sgpr_private_segment_size 0
		.amdhsa_uses_dynamic_stack 0
		.amdhsa_system_sgpr_private_segment_wavefront_offset 0
		.amdhsa_system_sgpr_workgroup_id_x 1
		.amdhsa_system_sgpr_workgroup_id_y 1
		.amdhsa_system_sgpr_workgroup_id_z 0
		.amdhsa_system_sgpr_workgroup_info 0
		.amdhsa_system_vgpr_workitem_id 0
		.amdhsa_next_free_vgpr 35
		.amdhsa_next_free_sgpr 32
		.amdhsa_accum_offset 36
		.amdhsa_reserve_vcc 1
		.amdhsa_reserve_flat_scratch 0
		.amdhsa_float_round_mode_32 0
		.amdhsa_float_round_mode_16_64 0
		.amdhsa_float_denorm_mode_32 3
		.amdhsa_float_denorm_mode_16_64 3
		.amdhsa_dx10_clamp 1
		.amdhsa_ieee_mode 1
		.amdhsa_fp16_overflow 0
		.amdhsa_tg_split 0
		.amdhsa_exception_fp_ieee_invalid_op 0
		.amdhsa_exception_fp_denorm_src 0
		.amdhsa_exception_fp_ieee_div_zero 0
		.amdhsa_exception_fp_ieee_overflow 0
		.amdhsa_exception_fp_ieee_underflow 0
		.amdhsa_exception_fp_ieee_inexact 0
		.amdhsa_exception_int_div_zero 0
	.end_amdhsa_kernel
	.section	.text._ZN5aiter35fused_qk_rmsnorm_group_quant_kernelIDF16_DB8_Li128ELi16ELi2ELb0ELb1ELb1ELb1ELb0ELb0EEEvPT0_PvPT_S6_S6_PKS5_S8_S8_S8_S8_ffiiiiiiiiiiiii,"axG",@progbits,_ZN5aiter35fused_qk_rmsnorm_group_quant_kernelIDF16_DB8_Li128ELi16ELi2ELb0ELb1ELb1ELb1ELb0ELb0EEEvPT0_PvPT_S6_S6_PKS5_S8_S8_S8_S8_ffiiiiiiiiiiiii,comdat
.Lfunc_end705:
	.size	_ZN5aiter35fused_qk_rmsnorm_group_quant_kernelIDF16_DB8_Li128ELi16ELi2ELb0ELb1ELb1ELb1ELb0ELb0EEEvPT0_PvPT_S6_S6_PKS5_S8_S8_S8_S8_ffiiiiiiiiiiiii, .Lfunc_end705-_ZN5aiter35fused_qk_rmsnorm_group_quant_kernelIDF16_DB8_Li128ELi16ELi2ELb0ELb1ELb1ELb1ELb0ELb0EEEvPT0_PvPT_S6_S6_PKS5_S8_S8_S8_S8_ffiiiiiiiiiiiii
                                        ; -- End function
	.section	.AMDGPU.csdata,"",@progbits
; Kernel info:
; codeLenInByte = 2936
; NumSgprs: 36
; NumVgprs: 35
; NumAgprs: 0
; TotalNumVgprs: 35
; ScratchSize: 0
; MemoryBound: 0
; FloatMode: 240
; IeeeMode: 1
; LDSByteSize: 16 bytes/workgroup (compile time only)
; SGPRBlocks: 4
; VGPRBlocks: 4
; NumSGPRsForWavesPerEU: 36
; NumVGPRsForWavesPerEU: 35
; AccumOffset: 36
; Occupancy: 8
; WaveLimiterHint : 0
; COMPUTE_PGM_RSRC2:SCRATCH_EN: 0
; COMPUTE_PGM_RSRC2:USER_SGPR: 6
; COMPUTE_PGM_RSRC2:TRAP_HANDLER: 0
; COMPUTE_PGM_RSRC2:TGID_X_EN: 1
; COMPUTE_PGM_RSRC2:TGID_Y_EN: 1
; COMPUTE_PGM_RSRC2:TGID_Z_EN: 0
; COMPUTE_PGM_RSRC2:TIDIG_COMP_CNT: 0
; COMPUTE_PGM_RSRC3_GFX90A:ACCUM_OFFSET: 8
; COMPUTE_PGM_RSRC3_GFX90A:TG_SPLIT: 0
	.section	.text._ZN5aiter35fused_qk_rmsnorm_group_quant_kernelItDB8_Li128ELi16ELi2ELb0ELb1ELb1ELb1ELb0ELb0EEEvPT0_PvPT_S6_S6_PKS5_S8_S8_S8_S8_ffiiiiiiiiiiiii,"axG",@progbits,_ZN5aiter35fused_qk_rmsnorm_group_quant_kernelItDB8_Li128ELi16ELi2ELb0ELb1ELb1ELb1ELb0ELb0EEEvPT0_PvPT_S6_S6_PKS5_S8_S8_S8_S8_ffiiiiiiiiiiiii,comdat
	.protected	_ZN5aiter35fused_qk_rmsnorm_group_quant_kernelItDB8_Li128ELi16ELi2ELb0ELb1ELb1ELb1ELb0ELb0EEEvPT0_PvPT_S6_S6_PKS5_S8_S8_S8_S8_ffiiiiiiiiiiiii ; -- Begin function _ZN5aiter35fused_qk_rmsnorm_group_quant_kernelItDB8_Li128ELi16ELi2ELb0ELb1ELb1ELb1ELb0ELb0EEEvPT0_PvPT_S6_S6_PKS5_S8_S8_S8_S8_ffiiiiiiiiiiiii
	.globl	_ZN5aiter35fused_qk_rmsnorm_group_quant_kernelItDB8_Li128ELi16ELi2ELb0ELb1ELb1ELb1ELb0ELb0EEEvPT0_PvPT_S6_S6_PKS5_S8_S8_S8_S8_ffiiiiiiiiiiiii
	.p2align	8
	.type	_ZN5aiter35fused_qk_rmsnorm_group_quant_kernelItDB8_Li128ELi16ELi2ELb0ELb1ELb1ELb1ELb0ELb0EEEvPT0_PvPT_S6_S6_PKS5_S8_S8_S8_S8_ffiiiiiiiiiiiii,@function
_ZN5aiter35fused_qk_rmsnorm_group_quant_kernelItDB8_Li128ELi16ELi2ELb0ELb1ELb1ELb1ELb0ELb0EEEvPT0_PvPT_S6_S6_PKS5_S8_S8_S8_S8_ffiiiiiiiiiiiii: ; @_ZN5aiter35fused_qk_rmsnorm_group_quant_kernelItDB8_Li128ELi16ELi2ELb0ELb1ELb1ELb1ELb0ELb0EEEvPT0_PvPT_S6_S6_PKS5_S8_S8_S8_S8_ffiiiiiiiiiiiii
; %bb.0:
	s_load_dwordx4 s[12:15], s[4:5], 0x50
	s_waitcnt lgkmcnt(0)
	s_cmp_ge_i32 s6, s14
	s_cbranch_scc1 .LBB706_12
; %bb.1:
	s_load_dwordx2 s[24:25], s[4:5], 0x30
	s_load_dwordx2 s[8:9], s[4:5], 0x48
	s_load_dwordx4 s[16:19], s[4:5], 0x60
	s_cmp_lg_u32 s7, 0
	s_cselect_b64 s[10:11], -1, 0
	s_cmp_eq_u32 s7, 0
	s_cselect_b64 vcc, -1, 0
	s_and_b64 s[0:1], vcc, exec
	s_waitcnt lgkmcnt(0)
	s_cselect_b32 s7, s15, s16
	s_add_i32 s0, s7, 1
	s_lshr_b32 s1, s0, 31
	s_add_i32 s0, s0, s1
	s_lshl_b32 s0, s0, 1
	v_lshlrev_b32_e32 v1, 4, v0
	s_and_b32 s22, s0, -4
	v_cmp_gt_i32_e64 s[2:3], s7, v1
	v_mov_b32_e32 v18, 0
	v_mov_b32_e32 v6, 0
	;; [unrolled: 1-line block ×17, first 2 shown]
	s_and_saveexec_b64 s[0:1], s[2:3]
	s_cbranch_execz .LBB706_3
; %bb.2:
	s_load_dwordx2 s[14:15], s[4:5], 0x28
	s_load_dwordx2 s[20:21], s[4:5], 0x40
	s_and_b64 s[26:27], vcc, exec
	s_cselect_b32 s17, s17, s18
	s_mov_b32 s30, s22
	s_waitcnt lgkmcnt(0)
	s_cselect_b32 s19, s15, s25
	s_cselect_b32 s23, s14, s24
	s_mul_hi_i32 s15, s17, s6
	s_mul_i32 s14, s17, s6
	s_lshl_b64 s[14:15], s[14:15], 1
	s_add_u32 s28, s23, s14
	s_addc_u32 s17, s19, s15
	s_and_b64 s[14:15], vcc, exec
	s_mov_b32 s23, 0x20000
	s_cselect_b32 s20, s20, s8
	s_cselect_b32 s14, s21, s9
	s_and_b32 s29, s17, 0xffff
	s_mov_b32 s31, s23
	v_lshlrev_b32_e32 v19, 5, v0
	s_and_b32 s21, s14, 0xffff
	buffer_load_dwordx4 v[14:17], v19, s[28:31], 0 offen
	buffer_load_dwordx4 v[10:13], v19, s[28:31], 16 offen
	;; [unrolled: 1-line block ×4, first 2 shown]
.LBB706_3:
	s_or_b64 exec, exec, s[0:1]
	v_mov_b32_e32 v19, 0
	v_mov_b32_e32 v20, 0
	;; [unrolled: 1-line block ×15, first 2 shown]
	s_and_saveexec_b64 s[0:1], s[2:3]
	s_cbranch_execz .LBB706_5
; %bb.4:
	s_waitcnt vmcnt(3)
	v_cvt_f32_u32_sdwa v18, v14 dst_sel:DWORD dst_unused:UNUSED_PAD src0_sel:WORD_0
	v_cvt_f32_u32_sdwa v19, v14 dst_sel:DWORD dst_unused:UNUSED_PAD src0_sel:WORD_1
	v_cvt_f32_u32_sdwa v20, v15 dst_sel:DWORD dst_unused:UNUSED_PAD src0_sel:WORD_0
	v_cvt_f32_u32_sdwa v21, v15 dst_sel:DWORD dst_unused:UNUSED_PAD src0_sel:WORD_1
	;; [unrolled: 2-line block ×4, first 2 shown]
	s_waitcnt vmcnt(2)
	v_cvt_f32_u32_sdwa v24, v10 dst_sel:DWORD dst_unused:UNUSED_PAD src0_sel:WORD_0
	v_cvt_f32_u32_sdwa v25, v10 dst_sel:DWORD dst_unused:UNUSED_PAD src0_sel:WORD_1
	v_cvt_f32_u32_sdwa v30, v11 dst_sel:DWORD dst_unused:UNUSED_PAD src0_sel:WORD_0
	v_cvt_f32_u32_sdwa v31, v11 dst_sel:DWORD dst_unused:UNUSED_PAD src0_sel:WORD_1
	v_cvt_f32_u32_sdwa v32, v12 dst_sel:DWORD dst_unused:UNUSED_PAD src0_sel:WORD_0
	v_cvt_f32_u32_sdwa v33, v12 dst_sel:DWORD dst_unused:UNUSED_PAD src0_sel:WORD_1
	v_cvt_f32_u32_sdwa v28, v13 dst_sel:DWORD dst_unused:UNUSED_PAD src0_sel:WORD_0
	v_cvt_f32_u32_sdwa v29, v13 dst_sel:DWORD dst_unused:UNUSED_PAD src0_sel:WORD_1
.LBB706_5:
	s_or_b64 exec, exec, s[0:1]
	s_waitcnt vmcnt(2)
	v_mul_f32_e32 v10, v19, v19
	v_fmac_f32_e32 v10, v18, v18
	v_fmac_f32_e32 v10, v20, v20
	;; [unrolled: 1-line block ×15, first 2 shown]
	v_and_b32_e32 v12, 63, v0
	v_cmp_eq_u32_e64 s[0:1], 63, v12
	v_mov_b32_dpp v11, v10 quad_perm:[1,0,3,2] row_mask:0xf bank_mask:0xf
	v_add_f32_e32 v10, v10, v11
	s_nop 1
	v_mov_b32_dpp v11, v10 quad_perm:[2,3,0,1] row_mask:0xf bank_mask:0xf
	v_add_f32_e32 v10, v10, v11
	s_nop 1
	v_mov_b32_dpp v11, v10 row_half_mirror row_mask:0xf bank_mask:0xf
	v_add_f32_e32 v10, v10, v11
	s_nop 1
	v_mov_b32_dpp v11, v10 row_mirror row_mask:0xf bank_mask:0xf
	v_add_f32_e32 v10, v10, v11
	s_nop 1
	v_mov_b32_dpp v11, v10 row_bcast:15 row_mask:0xf bank_mask:0xf
	v_add_f32_e32 v10, v10, v11
	s_nop 1
	v_mov_b32_dpp v11, v10 row_bcast:31 row_mask:0xf bank_mask:0xf
	s_and_saveexec_b64 s[14:15], s[0:1]
	s_cbranch_execz .LBB706_7
; %bb.6:
	v_add_f32_e32 v10, v10, v11
	v_lshrrev_b32_e32 v11, 4, v0
	v_and_b32_e32 v11, 60, v11
	ds_write_b32 v11, v10 offset:8
.LBB706_7:
	s_or_b64 exec, exec, s[14:15]
	v_and_b32_e32 v10, 1, v0
	v_lshlrev_b32_e32 v34, 2, v10
	s_waitcnt lgkmcnt(0)
	s_barrier
	ds_read_b32 v10, v34 offset:8
	s_load_dwordx2 s[14:15], s[4:5], 0x18
	s_waitcnt lgkmcnt(0)
	v_mov_b32_dpp v11, v10 quad_perm:[1,0,3,2] row_mask:0xf bank_mask:0xf
	s_and_saveexec_b64 s[20:21], s[2:3]
	s_cbranch_execz .LBB706_9
; %bb.8:
	v_cvt_f32_u32_e32 v12, s7
	v_add_f32_e32 v10, v10, v11
	v_mov_b32_e32 v14, s13
	v_mov_b32_e32 v15, s12
	v_div_scale_f32 v11, s[26:27], v12, v12, v10
	v_rcp_f32_e32 v13, v11
	v_cndmask_b32_e32 v14, v14, v15, vcc
	s_mov_b32 s7, 0x800000
	v_fma_f32 v15, -v11, v13, 1.0
	v_fmac_f32_e32 v13, v15, v13
	v_div_scale_f32 v15, vcc, v10, v12, v10
	v_mul_f32_e32 v16, v15, v13
	v_fma_f32 v17, -v11, v16, v15
	v_fmac_f32_e32 v16, v17, v13
	v_fma_f32 v11, -v11, v16, v15
	v_div_fmas_f32 v11, v11, v13, v16
	v_div_fixup_f32 v10, v11, v12, v10
	v_add_f32_e32 v10, v14, v10
	v_mul_f32_e32 v11, 0x4b800000, v10
	v_cmp_gt_f32_e32 vcc, s7, v10
	v_cndmask_b32_e32 v10, v10, v11, vcc
	v_rsq_f32_e32 v10, v10
	v_mul_f32_e32 v11, 0x45800000, v10
	v_cndmask_b32_e32 v10, v10, v11, vcc
	v_mov_b32_e32 v11, v10
	;;#ASMSTART
	v_pk_mul_f32 v[12:13], v[18:19], v[10:11]
	;;#ASMEND
	s_waitcnt vmcnt(1)
	v_cvt_f32_u32_sdwa v19, v6 dst_sel:DWORD dst_unused:UNUSED_PAD src0_sel:WORD_1
	v_cvt_f32_u32_sdwa v18, v6 dst_sel:DWORD dst_unused:UNUSED_PAD src0_sel:WORD_0
	;;#ASMSTART
	v_pk_mul_f32 v[14:15], v[20:21], v[10:11]
	;;#ASMEND
	v_cvt_f32_u32_sdwa v21, v7 dst_sel:DWORD dst_unused:UNUSED_PAD src0_sel:WORD_1
	v_cvt_f32_u32_sdwa v20, v7 dst_sel:DWORD dst_unused:UNUSED_PAD src0_sel:WORD_0
	;;#ASMSTART
	v_pk_mul_f32 v[16:17], v[22:23], v[10:11]
	;;#ASMEND
	;;#ASMSTART
	v_pk_mul_f32 v[26:27], v[26:27], v[10:11]
	;;#ASMEND
	;; [unrolled: 3-line block ×6, first 2 shown]
	v_pk_add_f32 v[10:11], v[18:19], 1.0 op_sel_hi:[1,0]
	;;#ASMSTART
	v_pk_mul_f32 v[18:19], v[12:13], v[10:11]
	;;#ASMEND
	v_cvt_f32_u32_sdwa v13, v8 dst_sel:DWORD dst_unused:UNUSED_PAD src0_sel:WORD_1
	v_cvt_f32_u32_sdwa v12, v8 dst_sel:DWORD dst_unused:UNUSED_PAD src0_sel:WORD_0
	v_cvt_f32_u32_sdwa v29, v9 dst_sel:DWORD dst_unused:UNUSED_PAD src0_sel:WORD_1
	v_cvt_f32_u32_sdwa v28, v9 dst_sel:DWORD dst_unused:UNUSED_PAD src0_sel:WORD_0
	v_pk_add_f32 v[10:11], v[20:21], 1.0 op_sel_hi:[1,0]
	;;#ASMSTART
	v_pk_mul_f32 v[20:21], v[14:15], v[10:11]
	;;#ASMEND
	s_waitcnt vmcnt(0)
	v_cvt_f32_u32_sdwa v11, v2 dst_sel:DWORD dst_unused:UNUSED_PAD src0_sel:WORD_1
	v_cvt_f32_u32_sdwa v10, v2 dst_sel:DWORD dst_unused:UNUSED_PAD src0_sel:WORD_0
	v_pk_add_f32 v[8:9], v[12:13], 1.0 op_sel_hi:[1,0]
	;;#ASMSTART
	v_pk_mul_f32 v[22:23], v[16:17], v[8:9]
	;;#ASMEND
	v_pk_add_f32 v[8:9], v[28:29], 1.0 op_sel_hi:[1,0]
	v_cvt_f32_u32_sdwa v13, v3 dst_sel:DWORD dst_unused:UNUSED_PAD src0_sel:WORD_1
	v_cvt_f32_u32_sdwa v12, v3 dst_sel:DWORD dst_unused:UNUSED_PAD src0_sel:WORD_0
	;;#ASMSTART
	v_pk_mul_f32 v[26:27], v[26:27], v[8:9]
	;;#ASMEND
	v_cvt_f32_u32_sdwa v9, v4 dst_sel:DWORD dst_unused:UNUSED_PAD src0_sel:WORD_1
	v_cvt_f32_u32_sdwa v8, v4 dst_sel:DWORD dst_unused:UNUSED_PAD src0_sel:WORD_0
	v_pk_add_f32 v[2:3], v[10:11], 1.0 op_sel_hi:[1,0]
	v_cvt_f32_u32_sdwa v11, v5 dst_sel:DWORD dst_unused:UNUSED_PAD src0_sel:WORD_1
	v_cvt_f32_u32_sdwa v10, v5 dst_sel:DWORD dst_unused:UNUSED_PAD src0_sel:WORD_0
	;;#ASMSTART
	v_pk_mul_f32 v[24:25], v[24:25], v[2:3]
	;;#ASMEND
	v_pk_add_f32 v[2:3], v[12:13], 1.0 op_sel_hi:[1,0]
	;;#ASMSTART
	v_pk_mul_f32 v[30:31], v[30:31], v[2:3]
	;;#ASMEND
	v_pk_add_f32 v[2:3], v[8:9], 1.0 op_sel_hi:[1,0]
	;; [unrolled: 4-line block ×3, first 2 shown]
	;;#ASMSTART
	v_pk_mul_f32 v[28:29], v[6:7], v[2:3]
	;;#ASMEND
.LBB706_9:
	s_or_b64 exec, exec, s[20:21]
	s_load_dwordx2 s[26:27], s[4:5], 0x7c
	s_mov_b64 s[20:21], -1
	s_and_b64 vcc, exec, s[10:11]
	s_cbranch_vccnz .LBB706_13
; %bb.10:
	s_andn2_b64 vcc, exec, s[20:21]
	s_cbranch_vccz .LBB706_16
.LBB706_11:
	s_cmp_lt_i32 s16, 1
	s_cbranch_scc0 .LBB706_19
.LBB706_12:
	s_endpgm
.LBB706_13:
	s_and_saveexec_b64 s[10:11], s[2:3]
	s_cbranch_execz .LBB706_15
; %bb.14:
	s_waitcnt lgkmcnt(0)
	s_mul_hi_i32 s21, s27, s6
	s_mul_i32 s20, s27, s6
	s_lshl_b64 s[20:21], s[20:21], 1
	s_add_u32 s20, s14, s20
	s_addc_u32 s7, s15, s21
	s_and_b32 s21, s7, 0xffff
	s_mov_b32 s7, 0x7060302
	s_mov_b32 s23, 0x20000
	s_waitcnt vmcnt(0)
	v_perm_b32 v5, v27, v26, s7
	v_perm_b32 v4, v23, v22, s7
	;; [unrolled: 1-line block ×4, first 2 shown]
	v_lshlrev_b32_e32 v6, 5, v0
	buffer_store_dwordx4 v[2:5], v6, s[20:23], 0 offen
	;;#ASMSTART
	s_nop 0
	;;#ASMEND
	s_nop 0
	v_perm_b32 v5, v29, v28, s7
	v_perm_b32 v4, v33, v32, s7
	;; [unrolled: 1-line block ×4, first 2 shown]
	buffer_store_dwordx4 v[2:5], v6, s[20:23], 16 offen
	;;#ASMSTART
	s_nop 0
	;;#ASMEND
.LBB706_15:
	s_or_b64 exec, exec, s[10:11]
	s_cbranch_execnz .LBB706_11
.LBB706_16:
	s_and_saveexec_b64 s[10:11], s[2:3]
	s_cbranch_execz .LBB706_18
; %bb.17:
	s_load_dwordx2 s[2:3], s[4:5], 0x10
	s_waitcnt lgkmcnt(0)
	s_mul_hi_i32 s21, s26, s6
	s_mul_i32 s20, s26, s6
	s_lshl_b64 s[20:21], s[20:21], 1
	s_mov_b32 s23, 0x20000
	s_add_u32 s20, s2, s20
	s_addc_u32 s2, s3, s21
	s_and_b32 s21, s2, 0xffff
	s_mov_b32 s2, 0x7060302
	s_waitcnt vmcnt(0)
	v_perm_b32 v5, v27, v26, s2
	v_perm_b32 v4, v23, v22, s2
	;; [unrolled: 1-line block ×4, first 2 shown]
	v_lshlrev_b32_e32 v6, 5, v0
	buffer_store_dwordx4 v[2:5], v6, s[20:23], 0 offen
	;;#ASMSTART
	s_nop 0
	;;#ASMEND
	s_nop 0
	v_perm_b32 v5, v29, v28, s2
	v_perm_b32 v4, v33, v32, s2
	;; [unrolled: 1-line block ×4, first 2 shown]
	buffer_store_dwordx4 v[2:5], v6, s[20:23], 16 offen
	;;#ASMSTART
	s_nop 0
	;;#ASMEND
.LBB706_18:
	s_or_b64 exec, exec, s[10:11]
	s_cmp_lt_i32 s16, 1
	s_cbranch_scc1 .LBB706_12
.LBB706_19:
	s_load_dword s2, s[4:5], 0x94
	s_waitcnt lgkmcnt(0)
	s_cmp_lg_u32 s2, 1
	s_cbranch_scc1 .LBB706_12
; %bb.20:
	s_lshl_b32 s2, s16, 1
	s_add_i32 s2, s2, 2
	v_cmp_gt_u32_e32 vcc, s16, v1
	s_and_b32 s10, s2, -4
	v_mov_b32_e32 v18, 0
	v_lshlrev_b32_e32 v1, 5, v0
	v_mov_b32_e32 v14, 0
	v_mov_b32_e32 v15, 0
	v_mov_b32_e32 v16, 0
	v_mov_b32_e32 v17, 0
	v_mov_b32_e32 v10, 0
	v_mov_b32_e32 v11, 0
	v_mov_b32_e32 v12, 0
	v_mov_b32_e32 v13, 0
	s_waitcnt vmcnt(1)
	v_mov_b32_e32 v6, 0
	v_mov_b32_e32 v7, 0
	;; [unrolled: 1-line block ×4, first 2 shown]
	s_waitcnt vmcnt(0)
	v_mov_b32_e32 v2, 0
	v_mov_b32_e32 v3, 0
	;; [unrolled: 1-line block ×4, first 2 shown]
	s_barrier
	s_and_saveexec_b64 s[2:3], vcc
	s_cbranch_execz .LBB706_22
; %bb.21:
	s_mul_hi_i32 s5, s18, s6
	s_mul_i32 s4, s18, s6
	s_and_b32 s9, s9, 0xffff
	s_lshl_b64 s[4:5], s[4:5], 1
	s_add_u32 s20, s24, s4
	s_mov_b32 s11, 0x20000
	s_addc_u32 s4, s25, s5
	s_and_b32 s21, s4, 0xffff
	s_mov_b32 s22, s10
	s_mov_b32 s23, s11
	buffer_load_dwordx4 v[14:17], v1, s[20:23], 0 offen
	buffer_load_dwordx4 v[10:13], v1, s[20:23], 16 offen
	;; [unrolled: 1-line block ×4, first 2 shown]
.LBB706_22:
	s_or_b64 exec, exec, s[2:3]
	v_mov_b32_e32 v19, 0
	v_mov_b32_e32 v32, 0
	;; [unrolled: 1-line block ×15, first 2 shown]
	s_and_saveexec_b64 s[2:3], vcc
	s_cbranch_execz .LBB706_24
; %bb.23:
	s_waitcnt vmcnt(3)
	v_cvt_f32_u32_sdwa v18, v14 dst_sel:DWORD dst_unused:UNUSED_PAD src0_sel:WORD_0
	v_cvt_f32_u32_sdwa v19, v14 dst_sel:DWORD dst_unused:UNUSED_PAD src0_sel:WORD_1
	v_cvt_f32_u32_sdwa v32, v15 dst_sel:DWORD dst_unused:UNUSED_PAD src0_sel:WORD_0
	v_cvt_f32_u32_sdwa v33, v15 dst_sel:DWORD dst_unused:UNUSED_PAD src0_sel:WORD_1
	;; [unrolled: 2-line block ×4, first 2 shown]
	s_waitcnt vmcnt(2)
	v_cvt_f32_u32_sdwa v26, v10 dst_sel:DWORD dst_unused:UNUSED_PAD src0_sel:WORD_0
	v_cvt_f32_u32_sdwa v27, v10 dst_sel:DWORD dst_unused:UNUSED_PAD src0_sel:WORD_1
	v_cvt_f32_u32_sdwa v24, v11 dst_sel:DWORD dst_unused:UNUSED_PAD src0_sel:WORD_0
	v_cvt_f32_u32_sdwa v25, v11 dst_sel:DWORD dst_unused:UNUSED_PAD src0_sel:WORD_1
	;; [unrolled: 2-line block ×4, first 2 shown]
.LBB706_24:
	s_or_b64 exec, exec, s[2:3]
	s_waitcnt vmcnt(2)
	v_mul_f32_e32 v10, v19, v19
	v_fmac_f32_e32 v10, v18, v18
	v_fmac_f32_e32 v10, v32, v32
	;; [unrolled: 1-line block ×15, first 2 shown]
	s_nop 1
	v_mov_b32_dpp v11, v10 quad_perm:[1,0,3,2] row_mask:0xf bank_mask:0xf
	v_add_f32_e32 v10, v10, v11
	s_nop 1
	v_mov_b32_dpp v11, v10 quad_perm:[2,3,0,1] row_mask:0xf bank_mask:0xf
	v_add_f32_e32 v10, v10, v11
	s_nop 1
	v_mov_b32_dpp v11, v10 row_half_mirror row_mask:0xf bank_mask:0xf
	v_add_f32_e32 v10, v10, v11
	s_nop 1
	v_mov_b32_dpp v11, v10 row_mirror row_mask:0xf bank_mask:0xf
	v_add_f32_e32 v10, v10, v11
	s_nop 1
	v_mov_b32_dpp v11, v10 row_bcast:15 row_mask:0xf bank_mask:0xf
	v_add_f32_e32 v10, v10, v11
	s_nop 1
	v_mov_b32_dpp v11, v10 row_bcast:31 row_mask:0xf bank_mask:0xf
	s_and_saveexec_b64 s[2:3], s[0:1]
	s_cbranch_execz .LBB706_26
; %bb.25:
	v_lshrrev_b32_e32 v0, 4, v0
	v_add_f32_e32 v10, v10, v11
	v_and_b32_e32 v0, 60, v0
	ds_write_b32 v0, v10
.LBB706_26:
	s_or_b64 exec, exec, s[2:3]
	s_waitcnt lgkmcnt(0)
	s_barrier
	ds_read_b32 v0, v34
	s_waitcnt lgkmcnt(0)
	s_nop 0
	v_mov_b32_dpp v10, v0 quad_perm:[1,0,3,2] row_mask:0xf bank_mask:0xf
	s_and_saveexec_b64 s[0:1], vcc
	s_cbranch_execz .LBB706_12
; %bb.27:
	v_cvt_f32_u32_e32 v11, s16
	v_add_f32_e32 v0, v0, v10
	s_mov_b32 s11, 0x20000
	v_div_scale_f32 v10, s[0:1], v11, v11, v0
	v_rcp_f32_e32 v12, v10
	v_div_scale_f32 v13, vcc, v0, v11, v0
	s_mov_b32 s0, 0x800000
	v_fma_f32 v14, -v10, v12, 1.0
	v_fmac_f32_e32 v12, v14, v12
	v_mul_f32_e32 v14, v13, v12
	v_fma_f32 v15, -v10, v14, v13
	v_fmac_f32_e32 v14, v15, v12
	v_fma_f32 v10, -v10, v14, v13
	v_div_fmas_f32 v10, v10, v12, v14
	v_div_fixup_f32 v0, v10, v11, v0
	v_add_f32_e32 v0, s13, v0
	v_mul_f32_e32 v10, 0x4b800000, v0
	v_cmp_gt_f32_e32 vcc, s0, v0
	v_cndmask_b32_e32 v0, v0, v10, vcc
	v_rsq_f32_e32 v0, v0
	s_mul_hi_i32 s1, s27, s6
	s_mul_i32 s0, s27, s6
	s_lshl_b64 s[0:1], s[0:1], 1
	v_mul_f32_e32 v10, 0x45800000, v0
	v_cndmask_b32_e32 v10, v0, v10, vcc
	v_mov_b32_e32 v11, v10
	;;#ASMSTART
	v_pk_mul_f32 v[12:13], v[18:19], v[10:11]
	;;#ASMEND
	;;#ASMSTART
	v_pk_mul_f32 v[14:15], v[32:33], v[10:11]
	;;#ASMEND
	;; [unrolled: 3-line block ×4, first 2 shown]
	s_waitcnt vmcnt(1)
	v_cvt_f32_u32_sdwa v29, v6 dst_sel:DWORD dst_unused:UNUSED_PAD src0_sel:WORD_1
	v_cvt_f32_u32_sdwa v28, v6 dst_sel:DWORD dst_unused:UNUSED_PAD src0_sel:WORD_0
	v_cvt_f32_u32_sdwa v31, v7 dst_sel:DWORD dst_unused:UNUSED_PAD src0_sel:WORD_1
	v_cvt_f32_u32_sdwa v30, v7 dst_sel:DWORD dst_unused:UNUSED_PAD src0_sel:WORD_0
	;;#ASMSTART
	v_pk_mul_f32 v[26:27], v[26:27], v[10:11]
	;;#ASMEND
	;;#ASMSTART
	v_pk_mul_f32 v[24:25], v[24:25], v[10:11]
	;;#ASMEND
	;; [unrolled: 3-line block ×4, first 2 shown]
	v_cvt_f32_u32_sdwa v21, v8 dst_sel:DWORD dst_unused:UNUSED_PAD src0_sel:WORD_1
	v_cvt_f32_u32_sdwa v20, v8 dst_sel:DWORD dst_unused:UNUSED_PAD src0_sel:WORD_0
	v_pk_add_f32 v[10:11], v[28:29], 1.0 op_sel_hi:[1,0]
	;;#ASMSTART
	v_pk_mul_f32 v[10:11], v[12:13], v[10:11]
	;;#ASMEND
	v_pk_add_f32 v[12:13], v[30:31], 1.0 op_sel_hi:[1,0]
	v_cvt_f32_u32_sdwa v29, v9 dst_sel:DWORD dst_unused:UNUSED_PAD src0_sel:WORD_1
	v_cvt_f32_u32_sdwa v28, v9 dst_sel:DWORD dst_unused:UNUSED_PAD src0_sel:WORD_0
	;;#ASMSTART
	v_pk_mul_f32 v[8:9], v[14:15], v[12:13]
	;;#ASMEND
	v_pk_add_f32 v[12:13], v[20:21], 1.0 op_sel_hi:[1,0]
	;;#ASMSTART
	v_pk_mul_f32 v[12:13], v[16:17], v[12:13]
	;;#ASMEND
	s_waitcnt vmcnt(0)
	v_cvt_f32_u32_sdwa v17, v2 dst_sel:DWORD dst_unused:UNUSED_PAD src0_sel:WORD_1
	v_cvt_f32_u32_sdwa v16, v2 dst_sel:DWORD dst_unused:UNUSED_PAD src0_sel:WORD_0
	v_cvt_f32_u32_sdwa v21, v3 dst_sel:DWORD dst_unused:UNUSED_PAD src0_sel:WORD_1
	v_cvt_f32_u32_sdwa v20, v3 dst_sel:DWORD dst_unused:UNUSED_PAD src0_sel:WORD_0
	v_pk_add_f32 v[14:15], v[28:29], 1.0 op_sel_hi:[1,0]
	;;#ASMSTART
	v_pk_mul_f32 v[14:15], v[18:19], v[14:15]
	;;#ASMEND
	v_pk_add_f32 v[2:3], v[16:17], 1.0 op_sel_hi:[1,0]
	v_cvt_f32_u32_sdwa v19, v4 dst_sel:DWORD dst_unused:UNUSED_PAD src0_sel:WORD_1
	v_cvt_f32_u32_sdwa v18, v4 dst_sel:DWORD dst_unused:UNUSED_PAD src0_sel:WORD_0
	;;#ASMSTART
	v_pk_mul_f32 v[16:17], v[26:27], v[2:3]
	;;#ASMEND
	v_pk_add_f32 v[2:3], v[20:21], 1.0 op_sel_hi:[1,0]
	v_cvt_f32_u32_sdwa v21, v5 dst_sel:DWORD dst_unused:UNUSED_PAD src0_sel:WORD_1
	v_cvt_f32_u32_sdwa v20, v5 dst_sel:DWORD dst_unused:UNUSED_PAD src0_sel:WORD_0
	s_add_u32 s8, s14, s0
	;;#ASMSTART
	v_pk_mul_f32 v[24:25], v[24:25], v[2:3]
	;;#ASMEND
	v_pk_add_f32 v[2:3], v[18:19], 1.0 op_sel_hi:[1,0]
	s_addc_u32 s0, s15, s1
	;;#ASMSTART
	v_pk_mul_f32 v[18:19], v[22:23], v[2:3]
	;;#ASMEND
	v_pk_add_f32 v[2:3], v[20:21], 1.0 op_sel_hi:[1,0]
	s_and_b32 s9, s0, 0xffff
	s_mov_b32 s0, 0x7060302
	;;#ASMSTART
	v_pk_mul_f32 v[6:7], v[6:7], v[2:3]
	;;#ASMEND
	v_perm_b32 v2, v11, v10, s0
	v_perm_b32 v3, v9, v8, s0
	;; [unrolled: 1-line block ×4, first 2 shown]
	buffer_store_dwordx4 v[2:5], v1, s[8:11], 0 offen
	;;#ASMSTART
	s_nop 0
	;;#ASMEND
	s_nop 0
	v_perm_b32 v2, v17, v16, s0
	v_perm_b32 v3, v25, v24, s0
	;; [unrolled: 1-line block ×4, first 2 shown]
	buffer_store_dwordx4 v[2:5], v1, s[8:11], 16 offen
	;;#ASMSTART
	s_nop 0
	;;#ASMEND
	s_endpgm
	.section	.rodata,"a",@progbits
	.p2align	6, 0x0
	.amdhsa_kernel _ZN5aiter35fused_qk_rmsnorm_group_quant_kernelItDB8_Li128ELi16ELi2ELb0ELb1ELb1ELb1ELb0ELb0EEEvPT0_PvPT_S6_S6_PKS5_S8_S8_S8_S8_ffiiiiiiiiiiiii
		.amdhsa_group_segment_fixed_size 16
		.amdhsa_private_segment_fixed_size 0
		.amdhsa_kernarg_size 400
		.amdhsa_user_sgpr_count 6
		.amdhsa_user_sgpr_private_segment_buffer 1
		.amdhsa_user_sgpr_dispatch_ptr 0
		.amdhsa_user_sgpr_queue_ptr 0
		.amdhsa_user_sgpr_kernarg_segment_ptr 1
		.amdhsa_user_sgpr_dispatch_id 0
		.amdhsa_user_sgpr_flat_scratch_init 0
		.amdhsa_user_sgpr_kernarg_preload_length 0
		.amdhsa_user_sgpr_kernarg_preload_offset 0
		.amdhsa_user_sgpr_private_segment_size 0
		.amdhsa_uses_dynamic_stack 0
		.amdhsa_system_sgpr_private_segment_wavefront_offset 0
		.amdhsa_system_sgpr_workgroup_id_x 1
		.amdhsa_system_sgpr_workgroup_id_y 1
		.amdhsa_system_sgpr_workgroup_id_z 0
		.amdhsa_system_sgpr_workgroup_info 0
		.amdhsa_system_vgpr_workitem_id 0
		.amdhsa_next_free_vgpr 35
		.amdhsa_next_free_sgpr 32
		.amdhsa_accum_offset 36
		.amdhsa_reserve_vcc 1
		.amdhsa_reserve_flat_scratch 0
		.amdhsa_float_round_mode_32 0
		.amdhsa_float_round_mode_16_64 0
		.amdhsa_float_denorm_mode_32 3
		.amdhsa_float_denorm_mode_16_64 3
		.amdhsa_dx10_clamp 1
		.amdhsa_ieee_mode 1
		.amdhsa_fp16_overflow 0
		.amdhsa_tg_split 0
		.amdhsa_exception_fp_ieee_invalid_op 0
		.amdhsa_exception_fp_denorm_src 0
		.amdhsa_exception_fp_ieee_div_zero 0
		.amdhsa_exception_fp_ieee_overflow 0
		.amdhsa_exception_fp_ieee_underflow 0
		.amdhsa_exception_fp_ieee_inexact 0
		.amdhsa_exception_int_div_zero 0
	.end_amdhsa_kernel
	.section	.text._ZN5aiter35fused_qk_rmsnorm_group_quant_kernelItDB8_Li128ELi16ELi2ELb0ELb1ELb1ELb1ELb0ELb0EEEvPT0_PvPT_S6_S6_PKS5_S8_S8_S8_S8_ffiiiiiiiiiiiii,"axG",@progbits,_ZN5aiter35fused_qk_rmsnorm_group_quant_kernelItDB8_Li128ELi16ELi2ELb0ELb1ELb1ELb1ELb0ELb0EEEvPT0_PvPT_S6_S6_PKS5_S8_S8_S8_S8_ffiiiiiiiiiiiii,comdat
.Lfunc_end706:
	.size	_ZN5aiter35fused_qk_rmsnorm_group_quant_kernelItDB8_Li128ELi16ELi2ELb0ELb1ELb1ELb1ELb0ELb0EEEvPT0_PvPT_S6_S6_PKS5_S8_S8_S8_S8_ffiiiiiiiiiiiii, .Lfunc_end706-_ZN5aiter35fused_qk_rmsnorm_group_quant_kernelItDB8_Li128ELi16ELi2ELb0ELb1ELb1ELb1ELb0ELb0EEEvPT0_PvPT_S6_S6_PKS5_S8_S8_S8_S8_ffiiiiiiiiiiiii
                                        ; -- End function
	.section	.AMDGPU.csdata,"",@progbits
; Kernel info:
; codeLenInByte = 2908
; NumSgprs: 36
; NumVgprs: 35
; NumAgprs: 0
; TotalNumVgprs: 35
; ScratchSize: 0
; MemoryBound: 0
; FloatMode: 240
; IeeeMode: 1
; LDSByteSize: 16 bytes/workgroup (compile time only)
; SGPRBlocks: 4
; VGPRBlocks: 4
; NumSGPRsForWavesPerEU: 36
; NumVGPRsForWavesPerEU: 35
; AccumOffset: 36
; Occupancy: 8
; WaveLimiterHint : 0
; COMPUTE_PGM_RSRC2:SCRATCH_EN: 0
; COMPUTE_PGM_RSRC2:USER_SGPR: 6
; COMPUTE_PGM_RSRC2:TRAP_HANDLER: 0
; COMPUTE_PGM_RSRC2:TGID_X_EN: 1
; COMPUTE_PGM_RSRC2:TGID_Y_EN: 1
; COMPUTE_PGM_RSRC2:TGID_Z_EN: 0
; COMPUTE_PGM_RSRC2:TIDIG_COMP_CNT: 0
; COMPUTE_PGM_RSRC3_GFX90A:ACCUM_OFFSET: 8
; COMPUTE_PGM_RSRC3_GFX90A:TG_SPLIT: 0
	.section	.text._ZN5aiter35fused_qk_rmsnorm_group_quant_kernelIDF16_N4opus5fp4_tELi128ELi16ELi2ELb0ELb1ELb1ELb1ELb0ELb0EEEvPT0_PvPT_S7_S7_PKS6_S9_S9_S9_S9_ffiiiiiiiiiiiii,"axG",@progbits,_ZN5aiter35fused_qk_rmsnorm_group_quant_kernelIDF16_N4opus5fp4_tELi128ELi16ELi2ELb0ELb1ELb1ELb1ELb0ELb0EEEvPT0_PvPT_S7_S7_PKS6_S9_S9_S9_S9_ffiiiiiiiiiiiii,comdat
	.protected	_ZN5aiter35fused_qk_rmsnorm_group_quant_kernelIDF16_N4opus5fp4_tELi128ELi16ELi2ELb0ELb1ELb1ELb1ELb0ELb0EEEvPT0_PvPT_S7_S7_PKS6_S9_S9_S9_S9_ffiiiiiiiiiiiii ; -- Begin function _ZN5aiter35fused_qk_rmsnorm_group_quant_kernelIDF16_N4opus5fp4_tELi128ELi16ELi2ELb0ELb1ELb1ELb1ELb0ELb0EEEvPT0_PvPT_S7_S7_PKS6_S9_S9_S9_S9_ffiiiiiiiiiiiii
	.globl	_ZN5aiter35fused_qk_rmsnorm_group_quant_kernelIDF16_N4opus5fp4_tELi128ELi16ELi2ELb0ELb1ELb1ELb1ELb0ELb0EEEvPT0_PvPT_S7_S7_PKS6_S9_S9_S9_S9_ffiiiiiiiiiiiii
	.p2align	8
	.type	_ZN5aiter35fused_qk_rmsnorm_group_quant_kernelIDF16_N4opus5fp4_tELi128ELi16ELi2ELb0ELb1ELb1ELb1ELb0ELb0EEEvPT0_PvPT_S7_S7_PKS6_S9_S9_S9_S9_ffiiiiiiiiiiiii,@function
_ZN5aiter35fused_qk_rmsnorm_group_quant_kernelIDF16_N4opus5fp4_tELi128ELi16ELi2ELb0ELb1ELb1ELb1ELb0ELb0EEEvPT0_PvPT_S7_S7_PKS6_S9_S9_S9_S9_ffiiiiiiiiiiiii: ; @_ZN5aiter35fused_qk_rmsnorm_group_quant_kernelIDF16_N4opus5fp4_tELi128ELi16ELi2ELb0ELb1ELb1ELb1ELb0ELb0EEEvPT0_PvPT_S7_S7_PKS6_S9_S9_S9_S9_ffiiiiiiiiiiiii
; %bb.0:
	s_load_dwordx4 s[12:15], s[4:5], 0x50
	s_waitcnt lgkmcnt(0)
	s_cmp_ge_i32 s6, s14
	s_cbranch_scc1 .LBB707_12
; %bb.1:
	s_load_dwordx2 s[24:25], s[4:5], 0x30
	s_load_dwordx2 s[8:9], s[4:5], 0x48
	s_load_dwordx4 s[16:19], s[4:5], 0x60
	s_cmp_lg_u32 s7, 0
	s_cselect_b64 s[10:11], -1, 0
	s_cmp_eq_u32 s7, 0
	s_cselect_b64 vcc, -1, 0
	s_and_b64 s[0:1], vcc, exec
	s_waitcnt lgkmcnt(0)
	s_cselect_b32 s7, s15, s16
	s_add_i32 s0, s7, 1
	s_lshr_b32 s1, s0, 31
	s_add_i32 s0, s0, s1
	s_lshl_b32 s0, s0, 1
	v_lshlrev_b32_e32 v1, 4, v0
	s_and_b32 s22, s0, -4
	v_cmp_gt_i32_e64 s[2:3], s7, v1
	v_mov_b32_e32 v18, 0
	v_mov_b32_e32 v6, 0
	;; [unrolled: 1-line block ×17, first 2 shown]
	s_and_saveexec_b64 s[0:1], s[2:3]
	s_cbranch_execz .LBB707_3
; %bb.2:
	s_load_dwordx2 s[14:15], s[4:5], 0x28
	s_load_dwordx2 s[20:21], s[4:5], 0x40
	s_and_b64 s[26:27], vcc, exec
	s_cselect_b32 s17, s17, s18
	s_mov_b32 s30, s22
	s_waitcnt lgkmcnt(0)
	s_cselect_b32 s19, s15, s25
	s_cselect_b32 s23, s14, s24
	s_mul_hi_i32 s15, s17, s6
	s_mul_i32 s14, s17, s6
	s_lshl_b64 s[14:15], s[14:15], 1
	s_add_u32 s28, s23, s14
	s_addc_u32 s17, s19, s15
	s_and_b64 s[14:15], vcc, exec
	s_mov_b32 s23, 0x20000
	s_cselect_b32 s20, s20, s8
	s_cselect_b32 s14, s21, s9
	s_and_b32 s29, s17, 0xffff
	s_mov_b32 s31, s23
	v_lshlrev_b32_e32 v19, 5, v0
	s_and_b32 s21, s14, 0xffff
	buffer_load_dwordx4 v[14:17], v19, s[28:31], 0 offen
	buffer_load_dwordx4 v[10:13], v19, s[28:31], 16 offen
	;; [unrolled: 1-line block ×4, first 2 shown]
.LBB707_3:
	s_or_b64 exec, exec, s[0:1]
	v_mov_b32_e32 v19, 0
	v_mov_b32_e32 v22, 0
	;; [unrolled: 1-line block ×15, first 2 shown]
	s_and_saveexec_b64 s[0:1], s[2:3]
	s_cbranch_execz .LBB707_5
; %bb.4:
	s_waitcnt vmcnt(3)
	v_cvt_f32_f16_sdwa v19, v14 dst_sel:DWORD dst_unused:UNUSED_PAD src0_sel:WORD_1
	v_cvt_f32_f16_e32 v18, v14
	v_cvt_f32_f16_sdwa v23, v15 dst_sel:DWORD dst_unused:UNUSED_PAD src0_sel:WORD_1
	v_cvt_f32_f16_e32 v22, v15
	;; [unrolled: 2-line block ×4, first 2 shown]
	s_waitcnt vmcnt(2)
	v_cvt_f32_f16_sdwa v21, v10 dst_sel:DWORD dst_unused:UNUSED_PAD src0_sel:WORD_1
	v_cvt_f32_f16_e32 v20, v10
	v_cvt_f32_f16_sdwa v29, v11 dst_sel:DWORD dst_unused:UNUSED_PAD src0_sel:WORD_1
	v_cvt_f32_f16_e32 v28, v11
	;; [unrolled: 2-line block ×4, first 2 shown]
.LBB707_5:
	s_or_b64 exec, exec, s[0:1]
	s_waitcnt vmcnt(2)
	v_mul_f32_e32 v10, v19, v19
	v_fmac_f32_e32 v10, v18, v18
	v_fmac_f32_e32 v10, v22, v22
	;; [unrolled: 1-line block ×15, first 2 shown]
	v_and_b32_e32 v12, 63, v0
	v_cmp_eq_u32_e64 s[0:1], 63, v12
	v_mov_b32_dpp v11, v10 quad_perm:[1,0,3,2] row_mask:0xf bank_mask:0xf
	v_add_f32_e32 v10, v10, v11
	s_nop 1
	v_mov_b32_dpp v11, v10 quad_perm:[2,3,0,1] row_mask:0xf bank_mask:0xf
	v_add_f32_e32 v10, v10, v11
	s_nop 1
	v_mov_b32_dpp v11, v10 row_half_mirror row_mask:0xf bank_mask:0xf
	v_add_f32_e32 v10, v10, v11
	s_nop 1
	v_mov_b32_dpp v11, v10 row_mirror row_mask:0xf bank_mask:0xf
	v_add_f32_e32 v10, v10, v11
	s_nop 1
	v_mov_b32_dpp v11, v10 row_bcast:15 row_mask:0xf bank_mask:0xf
	v_add_f32_e32 v10, v10, v11
	s_nop 1
	v_mov_b32_dpp v11, v10 row_bcast:31 row_mask:0xf bank_mask:0xf
	s_and_saveexec_b64 s[14:15], s[0:1]
	s_cbranch_execz .LBB707_7
; %bb.6:
	v_add_f32_e32 v10, v10, v11
	v_lshrrev_b32_e32 v11, 4, v0
	v_and_b32_e32 v11, 60, v11
	ds_write_b32 v11, v10 offset:8
.LBB707_7:
	s_or_b64 exec, exec, s[14:15]
	v_and_b32_e32 v10, 1, v0
	v_lshlrev_b32_e32 v34, 2, v10
	s_waitcnt lgkmcnt(0)
	s_barrier
	ds_read_b32 v10, v34 offset:8
	s_load_dwordx2 s[14:15], s[4:5], 0x18
	s_waitcnt lgkmcnt(0)
	v_mov_b32_dpp v11, v10 quad_perm:[1,0,3,2] row_mask:0xf bank_mask:0xf
	s_and_saveexec_b64 s[20:21], s[2:3]
	s_cbranch_execz .LBB707_9
; %bb.8:
	v_cvt_f32_u32_e32 v12, s7
	v_add_f32_e32 v10, v10, v11
	v_mov_b32_e32 v14, s13
	v_mov_b32_e32 v15, s12
	v_div_scale_f32 v11, s[26:27], v12, v12, v10
	v_rcp_f32_e32 v13, v11
	v_cndmask_b32_e32 v14, v14, v15, vcc
	s_mov_b32 s7, 0x800000
	v_fma_f32 v15, -v11, v13, 1.0
	v_fmac_f32_e32 v13, v15, v13
	v_div_scale_f32 v15, vcc, v10, v12, v10
	v_mul_f32_e32 v16, v15, v13
	v_fma_f32 v17, -v11, v16, v15
	v_fmac_f32_e32 v16, v17, v13
	v_fma_f32 v11, -v11, v16, v15
	v_div_fmas_f32 v11, v11, v13, v16
	v_div_fixup_f32 v10, v11, v12, v10
	v_add_f32_e32 v10, v14, v10
	v_mul_f32_e32 v11, 0x4b800000, v10
	v_cmp_gt_f32_e32 vcc, s7, v10
	v_cndmask_b32_e32 v10, v10, v11, vcc
	v_rsq_f32_e32 v10, v10
	v_mul_f32_e32 v11, 0x45800000, v10
	v_cndmask_b32_e32 v10, v10, v11, vcc
	v_mov_b32_e32 v11, v10
	;;#ASMSTART
	v_pk_mul_f32 v[12:13], v[18:19], v[10:11]
	;;#ASMEND
	s_waitcnt vmcnt(1)
	v_cvt_f32_f16_sdwa v19, v6 dst_sel:DWORD dst_unused:UNUSED_PAD src0_sel:WORD_1
	v_cvt_f32_f16_e32 v18, v6
	;;#ASMSTART
	v_pk_mul_f32 v[14:15], v[22:23], v[10:11]
	;;#ASMEND
	v_cvt_f32_f16_sdwa v23, v7 dst_sel:DWORD dst_unused:UNUSED_PAD src0_sel:WORD_1
	v_cvt_f32_f16_e32 v22, v7
	;;#ASMSTART
	v_pk_mul_f32 v[16:17], v[24:25], v[10:11]
	;;#ASMEND
	;;#ASMSTART
	v_pk_mul_f32 v[32:33], v[32:33], v[10:11]
	;;#ASMEND
	;; [unrolled: 3-line block ×6, first 2 shown]
	v_pk_add_f32 v[10:11], v[18:19], 1.0 op_sel_hi:[1,0]
	;;#ASMSTART
	v_pk_mul_f32 v[18:19], v[12:13], v[10:11]
	;;#ASMEND
	v_cvt_f32_f16_sdwa v13, v8 dst_sel:DWORD dst_unused:UNUSED_PAD src0_sel:WORD_1
	v_cvt_f32_f16_e32 v12, v8
	v_cvt_f32_f16_sdwa v27, v9 dst_sel:DWORD dst_unused:UNUSED_PAD src0_sel:WORD_1
	v_cvt_f32_f16_e32 v26, v9
	v_pk_add_f32 v[10:11], v[22:23], 1.0 op_sel_hi:[1,0]
	;;#ASMSTART
	v_pk_mul_f32 v[22:23], v[14:15], v[10:11]
	;;#ASMEND
	s_waitcnt vmcnt(0)
	v_cvt_f32_f16_sdwa v11, v2 dst_sel:DWORD dst_unused:UNUSED_PAD src0_sel:WORD_1
	v_cvt_f32_f16_e32 v10, v2
	v_pk_add_f32 v[8:9], v[12:13], 1.0 op_sel_hi:[1,0]
	;;#ASMSTART
	v_pk_mul_f32 v[24:25], v[16:17], v[8:9]
	;;#ASMEND
	v_pk_add_f32 v[8:9], v[26:27], 1.0 op_sel_hi:[1,0]
	v_cvt_f32_f16_sdwa v13, v3 dst_sel:DWORD dst_unused:UNUSED_PAD src0_sel:WORD_1
	v_cvt_f32_f16_e32 v12, v3
	;;#ASMSTART
	v_pk_mul_f32 v[32:33], v[32:33], v[8:9]
	;;#ASMEND
	v_cvt_f32_f16_sdwa v9, v4 dst_sel:DWORD dst_unused:UNUSED_PAD src0_sel:WORD_1
	v_cvt_f32_f16_e32 v8, v4
	v_pk_add_f32 v[2:3], v[10:11], 1.0 op_sel_hi:[1,0]
	v_cvt_f32_f16_sdwa v11, v5 dst_sel:DWORD dst_unused:UNUSED_PAD src0_sel:WORD_1
	v_cvt_f32_f16_e32 v10, v5
	;;#ASMSTART
	v_pk_mul_f32 v[20:21], v[20:21], v[2:3]
	;;#ASMEND
	v_pk_add_f32 v[2:3], v[12:13], 1.0 op_sel_hi:[1,0]
	;;#ASMSTART
	v_pk_mul_f32 v[28:29], v[28:29], v[2:3]
	;;#ASMEND
	v_pk_add_f32 v[2:3], v[8:9], 1.0 op_sel_hi:[1,0]
	;; [unrolled: 4-line block ×3, first 2 shown]
	;;#ASMSTART
	v_pk_mul_f32 v[26:27], v[6:7], v[2:3]
	;;#ASMEND
.LBB707_9:
	s_or_b64 exec, exec, s[20:21]
	s_load_dwordx2 s[26:27], s[4:5], 0x7c
	s_mov_b64 s[20:21], -1
	s_and_b64 vcc, exec, s[10:11]
	s_cbranch_vccnz .LBB707_13
; %bb.10:
	s_andn2_b64 vcc, exec, s[20:21]
	s_cbranch_vccz .LBB707_16
.LBB707_11:
	s_cmp_lt_i32 s16, 1
	s_cbranch_scc0 .LBB707_19
.LBB707_12:
	s_endpgm
.LBB707_13:
	s_and_saveexec_b64 s[10:11], s[2:3]
	s_cbranch_execz .LBB707_15
; %bb.14:
	s_waitcnt lgkmcnt(0)
	s_mul_hi_i32 s21, s27, s6
	s_mul_i32 s20, s27, s6
	s_waitcnt vmcnt(0)
	v_cvt_f16_f32_e32 v2, v18
	v_cvt_f16_f32_e32 v3, v22
	;; [unrolled: 1-line block ×8, first 2 shown]
	s_lshl_b64 s[20:21], s[20:21], 1
	s_add_u32 s20, s14, s20
	s_addc_u32 s7, s15, s21
	s_and_b32 s21, s7, 0xffff
	s_mov_b32 s23, 0x20000
	v_pack_b32_f16 v5, v5, v6
	v_pack_b32_f16 v4, v4, v7
	;; [unrolled: 1-line block ×4, first 2 shown]
	v_lshlrev_b32_e32 v6, 5, v0
	buffer_store_dwordx4 v[2:5], v6, s[20:23], 0 offen
	v_cvt_f16_f32_e32 v7, v27
	v_cvt_f16_f32_e32 v2, v20
	v_cvt_f16_f32_e32 v3, v28
	v_cvt_f16_f32_e32 v4, v30
	v_cvt_f16_f32_e32 v5, v26
	v_cvt_f16_f32_e32 v8, v31
	v_cvt_f16_f32_e32 v9, v29
	v_cvt_f16_f32_e32 v10, v21
	v_pack_b32_f16 v5, v5, v7
	v_pack_b32_f16 v4, v4, v8
	;; [unrolled: 1-line block ×4, first 2 shown]
	;;#ASMSTART
	s_nop 0
	;;#ASMEND
	buffer_store_dwordx4 v[2:5], v6, s[20:23], 16 offen
	;;#ASMSTART
	s_nop 0
	;;#ASMEND
.LBB707_15:
	s_or_b64 exec, exec, s[10:11]
	s_cbranch_execnz .LBB707_11
.LBB707_16:
	s_and_saveexec_b64 s[10:11], s[2:3]
	s_cbranch_execz .LBB707_18
; %bb.17:
	s_load_dwordx2 s[2:3], s[4:5], 0x10
	s_waitcnt lgkmcnt(0)
	s_mul_hi_i32 s21, s26, s6
	s_mul_i32 s20, s26, s6
	s_waitcnt vmcnt(0)
	v_cvt_f16_f32_e32 v2, v18
	v_cvt_f16_f32_e32 v3, v22
	;; [unrolled: 1-line block ×8, first 2 shown]
	s_lshl_b64 s[20:21], s[20:21], 1
	s_add_u32 s20, s2, s20
	s_addc_u32 s2, s3, s21
	s_mov_b32 s23, 0x20000
	s_and_b32 s21, s2, 0xffff
	v_pack_b32_f16 v5, v5, v6
	v_pack_b32_f16 v4, v4, v7
	;; [unrolled: 1-line block ×4, first 2 shown]
	v_lshlrev_b32_e32 v6, 5, v0
	buffer_store_dwordx4 v[2:5], v6, s[20:23], 0 offen
	v_cvt_f16_f32_e32 v7, v27
	v_cvt_f16_f32_e32 v2, v20
	;; [unrolled: 1-line block ×8, first 2 shown]
	v_pack_b32_f16 v5, v5, v7
	v_pack_b32_f16 v4, v4, v8
	;; [unrolled: 1-line block ×4, first 2 shown]
	;;#ASMSTART
	s_nop 0
	;;#ASMEND
	buffer_store_dwordx4 v[2:5], v6, s[20:23], 16 offen
	;;#ASMSTART
	s_nop 0
	;;#ASMEND
.LBB707_18:
	s_or_b64 exec, exec, s[10:11]
	s_cmp_lt_i32 s16, 1
	s_cbranch_scc1 .LBB707_12
.LBB707_19:
	s_load_dword s2, s[4:5], 0x94
	s_waitcnt lgkmcnt(0)
	s_cmp_lg_u32 s2, 1
	s_cbranch_scc1 .LBB707_12
; %bb.20:
	s_lshl_b32 s2, s16, 1
	s_add_i32 s2, s2, 2
	v_cmp_gt_u32_e32 vcc, s16, v1
	s_and_b32 s10, s2, -4
	v_mov_b32_e32 v18, 0
	v_lshlrev_b32_e32 v1, 5, v0
	v_mov_b32_e32 v14, 0
	v_mov_b32_e32 v15, 0
	;; [unrolled: 1-line block ×8, first 2 shown]
	s_waitcnt vmcnt(1)
	v_mov_b32_e32 v6, 0
	v_mov_b32_e32 v7, 0
	v_mov_b32_e32 v8, 0
	v_mov_b32_e32 v9, 0
	s_waitcnt vmcnt(0)
	v_mov_b32_e32 v2, 0
	v_mov_b32_e32 v3, 0
	;; [unrolled: 1-line block ×4, first 2 shown]
	s_barrier
	s_and_saveexec_b64 s[2:3], vcc
	s_cbranch_execz .LBB707_22
; %bb.21:
	s_mul_hi_i32 s5, s18, s6
	s_mul_i32 s4, s18, s6
	s_and_b32 s9, s9, 0xffff
	s_lshl_b64 s[4:5], s[4:5], 1
	s_add_u32 s20, s24, s4
	s_mov_b32 s11, 0x20000
	s_addc_u32 s4, s25, s5
	s_and_b32 s21, s4, 0xffff
	s_mov_b32 s22, s10
	s_mov_b32 s23, s11
	buffer_load_dwordx4 v[14:17], v1, s[20:23], 0 offen
	buffer_load_dwordx4 v[10:13], v1, s[20:23], 16 offen
	buffer_load_dwordx4 v[6:9], v1, s[8:11], 0 offen
	buffer_load_dwordx4 v[2:5], v1, s[8:11], 16 offen
.LBB707_22:
	s_or_b64 exec, exec, s[2:3]
	v_mov_b32_e32 v19, 0
	v_mov_b32_e32 v32, 0
	;; [unrolled: 1-line block ×15, first 2 shown]
	s_and_saveexec_b64 s[2:3], vcc
	s_cbranch_execz .LBB707_24
; %bb.23:
	s_waitcnt vmcnt(3)
	v_cvt_f32_f16_sdwa v19, v14 dst_sel:DWORD dst_unused:UNUSED_PAD src0_sel:WORD_1
	v_cvt_f32_f16_e32 v18, v14
	v_cvt_f32_f16_sdwa v33, v15 dst_sel:DWORD dst_unused:UNUSED_PAD src0_sel:WORD_1
	v_cvt_f32_f16_e32 v32, v15
	;; [unrolled: 2-line block ×4, first 2 shown]
	s_waitcnt vmcnt(2)
	v_cvt_f32_f16_sdwa v27, v10 dst_sel:DWORD dst_unused:UNUSED_PAD src0_sel:WORD_1
	v_cvt_f32_f16_e32 v26, v10
	v_cvt_f32_f16_sdwa v25, v11 dst_sel:DWORD dst_unused:UNUSED_PAD src0_sel:WORD_1
	v_cvt_f32_f16_e32 v24, v11
	v_cvt_f32_f16_sdwa v23, v12 dst_sel:DWORD dst_unused:UNUSED_PAD src0_sel:WORD_1
	v_cvt_f32_f16_e32 v22, v12
	v_cvt_f32_f16_sdwa v21, v13 dst_sel:DWORD dst_unused:UNUSED_PAD src0_sel:WORD_1
	v_cvt_f32_f16_e32 v20, v13
.LBB707_24:
	s_or_b64 exec, exec, s[2:3]
	s_waitcnt vmcnt(2)
	v_mul_f32_e32 v10, v19, v19
	v_fmac_f32_e32 v10, v18, v18
	v_fmac_f32_e32 v10, v32, v32
	;; [unrolled: 1-line block ×15, first 2 shown]
	s_nop 1
	v_mov_b32_dpp v11, v10 quad_perm:[1,0,3,2] row_mask:0xf bank_mask:0xf
	v_add_f32_e32 v10, v10, v11
	s_nop 1
	v_mov_b32_dpp v11, v10 quad_perm:[2,3,0,1] row_mask:0xf bank_mask:0xf
	v_add_f32_e32 v10, v10, v11
	s_nop 1
	v_mov_b32_dpp v11, v10 row_half_mirror row_mask:0xf bank_mask:0xf
	v_add_f32_e32 v10, v10, v11
	s_nop 1
	v_mov_b32_dpp v11, v10 row_mirror row_mask:0xf bank_mask:0xf
	v_add_f32_e32 v10, v10, v11
	s_nop 1
	v_mov_b32_dpp v11, v10 row_bcast:15 row_mask:0xf bank_mask:0xf
	v_add_f32_e32 v10, v10, v11
	s_nop 1
	v_mov_b32_dpp v11, v10 row_bcast:31 row_mask:0xf bank_mask:0xf
	s_and_saveexec_b64 s[2:3], s[0:1]
	s_cbranch_execz .LBB707_26
; %bb.25:
	v_lshrrev_b32_e32 v0, 4, v0
	v_add_f32_e32 v10, v10, v11
	v_and_b32_e32 v0, 60, v0
	ds_write_b32 v0, v10
.LBB707_26:
	s_or_b64 exec, exec, s[2:3]
	s_waitcnt lgkmcnt(0)
	s_barrier
	ds_read_b32 v0, v34
	s_waitcnt lgkmcnt(0)
	s_nop 0
	v_mov_b32_dpp v10, v0 quad_perm:[1,0,3,2] row_mask:0xf bank_mask:0xf
	s_and_saveexec_b64 s[0:1], vcc
	s_cbranch_execz .LBB707_12
; %bb.27:
	v_cvt_f32_u32_e32 v11, s16
	v_add_f32_e32 v0, v0, v10
	s_mov_b32 s11, 0x20000
	v_div_scale_f32 v10, s[0:1], v11, v11, v0
	v_rcp_f32_e32 v12, v10
	v_div_scale_f32 v13, vcc, v0, v11, v0
	s_mov_b32 s0, 0x800000
	v_fma_f32 v14, -v10, v12, 1.0
	v_fmac_f32_e32 v12, v14, v12
	v_mul_f32_e32 v14, v13, v12
	v_fma_f32 v15, -v10, v14, v13
	v_fmac_f32_e32 v14, v15, v12
	v_fma_f32 v10, -v10, v14, v13
	v_div_fmas_f32 v10, v10, v12, v14
	v_div_fixup_f32 v0, v10, v11, v0
	v_add_f32_e32 v0, s13, v0
	v_mul_f32_e32 v10, 0x4b800000, v0
	v_cmp_gt_f32_e32 vcc, s0, v0
	v_cndmask_b32_e32 v0, v0, v10, vcc
	v_rsq_f32_e32 v0, v0
	s_mul_hi_i32 s1, s27, s6
	s_mul_i32 s0, s27, s6
	s_lshl_b64 s[0:1], s[0:1], 1
	v_mul_f32_e32 v10, 0x45800000, v0
	v_cndmask_b32_e32 v10, v0, v10, vcc
	v_mov_b32_e32 v11, v10
	;;#ASMSTART
	v_pk_mul_f32 v[12:13], v[18:19], v[10:11]
	;;#ASMEND
	;;#ASMSTART
	v_pk_mul_f32 v[14:15], v[32:33], v[10:11]
	;;#ASMEND
	;; [unrolled: 3-line block ×4, first 2 shown]
	s_waitcnt vmcnt(1)
	v_cvt_f32_f16_sdwa v29, v6 dst_sel:DWORD dst_unused:UNUSED_PAD src0_sel:WORD_1
	v_cvt_f32_f16_e32 v28, v6
	v_cvt_f32_f16_sdwa v31, v7 dst_sel:DWORD dst_unused:UNUSED_PAD src0_sel:WORD_1
	v_cvt_f32_f16_e32 v30, v7
	;;#ASMSTART
	v_pk_mul_f32 v[26:27], v[26:27], v[10:11]
	;;#ASMEND
	;;#ASMSTART
	v_pk_mul_f32 v[24:25], v[24:25], v[10:11]
	;;#ASMEND
	;; [unrolled: 3-line block ×4, first 2 shown]
	v_cvt_f32_f16_sdwa v21, v8 dst_sel:DWORD dst_unused:UNUSED_PAD src0_sel:WORD_1
	v_cvt_f32_f16_e32 v20, v8
	v_pk_add_f32 v[10:11], v[28:29], 1.0 op_sel_hi:[1,0]
	;;#ASMSTART
	v_pk_mul_f32 v[10:11], v[12:13], v[10:11]
	;;#ASMEND
	v_pk_add_f32 v[12:13], v[30:31], 1.0 op_sel_hi:[1,0]
	v_cvt_f32_f16_sdwa v29, v9 dst_sel:DWORD dst_unused:UNUSED_PAD src0_sel:WORD_1
	v_cvt_f32_f16_e32 v28, v9
	;;#ASMSTART
	v_pk_mul_f32 v[8:9], v[14:15], v[12:13]
	;;#ASMEND
	v_pk_add_f32 v[12:13], v[20:21], 1.0 op_sel_hi:[1,0]
	;;#ASMSTART
	v_pk_mul_f32 v[12:13], v[16:17], v[12:13]
	;;#ASMEND
	s_waitcnt vmcnt(0)
	v_cvt_f32_f16_sdwa v17, v2 dst_sel:DWORD dst_unused:UNUSED_PAD src0_sel:WORD_1
	v_cvt_f32_f16_e32 v16, v2
	v_cvt_f32_f16_sdwa v21, v3 dst_sel:DWORD dst_unused:UNUSED_PAD src0_sel:WORD_1
	v_cvt_f32_f16_e32 v20, v3
	v_pk_add_f32 v[14:15], v[28:29], 1.0 op_sel_hi:[1,0]
	;;#ASMSTART
	v_pk_mul_f32 v[2:3], v[18:19], v[14:15]
	;;#ASMEND
	v_cvt_f32_f16_sdwa v19, v4 dst_sel:DWORD dst_unused:UNUSED_PAD src0_sel:WORD_1
	v_cvt_f32_f16_e32 v18, v4
	v_pk_add_f32 v[14:15], v[16:17], 1.0 op_sel_hi:[1,0]
	v_pk_add_f32 v[16:17], v[20:21], 1.0 op_sel_hi:[1,0]
	v_cvt_f32_f16_sdwa v21, v5 dst_sel:DWORD dst_unused:UNUSED_PAD src0_sel:WORD_1
	v_cvt_f32_f16_e32 v20, v5
	v_pk_add_f32 v[4:5], v[18:19], 1.0 op_sel_hi:[1,0]
	;;#ASMSTART
	v_pk_mul_f32 v[14:15], v[26:27], v[14:15]
	;;#ASMEND
	;;#ASMSTART
	v_pk_mul_f32 v[16:17], v[24:25], v[16:17]
	;;#ASMEND
	;; [unrolled: 3-line block ×3, first 2 shown]
	v_pk_add_f32 v[4:5], v[20:21], 1.0 op_sel_hi:[1,0]
	;;#ASMSTART
	v_pk_mul_f32 v[6:7], v[6:7], v[4:5]
	;;#ASMEND
	v_cvt_f16_f32_e32 v0, v10
	v_cvt_f16_f32_e32 v4, v11
	;; [unrolled: 1-line block ×8, first 2 shown]
	s_add_u32 s8, s14, s0
	s_addc_u32 s0, s15, s1
	s_and_b32 s9, s0, 0xffff
	v_pack_b32_f16 v2, v0, v4
	v_pack_b32_f16 v3, v5, v8
	;; [unrolled: 1-line block ×4, first 2 shown]
	buffer_store_dwordx4 v[2:5], v1, s[8:11], 0 offen
	v_cvt_f16_f32_e32 v0, v14
	v_cvt_f16_f32_e32 v2, v15
	;; [unrolled: 1-line block ×8, first 2 shown]
	v_pack_b32_f16 v2, v0, v2
	v_pack_b32_f16 v3, v3, v4
	;; [unrolled: 1-line block ×4, first 2 shown]
	;;#ASMSTART
	s_nop 0
	;;#ASMEND
	buffer_store_dwordx4 v[2:5], v1, s[8:11], 16 offen
	;;#ASMSTART
	s_nop 0
	;;#ASMEND
	s_endpgm
	.section	.rodata,"a",@progbits
	.p2align	6, 0x0
	.amdhsa_kernel _ZN5aiter35fused_qk_rmsnorm_group_quant_kernelIDF16_N4opus5fp4_tELi128ELi16ELi2ELb0ELb1ELb1ELb1ELb0ELb0EEEvPT0_PvPT_S7_S7_PKS6_S9_S9_S9_S9_ffiiiiiiiiiiiii
		.amdhsa_group_segment_fixed_size 16
		.amdhsa_private_segment_fixed_size 0
		.amdhsa_kernarg_size 400
		.amdhsa_user_sgpr_count 6
		.amdhsa_user_sgpr_private_segment_buffer 1
		.amdhsa_user_sgpr_dispatch_ptr 0
		.amdhsa_user_sgpr_queue_ptr 0
		.amdhsa_user_sgpr_kernarg_segment_ptr 1
		.amdhsa_user_sgpr_dispatch_id 0
		.amdhsa_user_sgpr_flat_scratch_init 0
		.amdhsa_user_sgpr_kernarg_preload_length 0
		.amdhsa_user_sgpr_kernarg_preload_offset 0
		.amdhsa_user_sgpr_private_segment_size 0
		.amdhsa_uses_dynamic_stack 0
		.amdhsa_system_sgpr_private_segment_wavefront_offset 0
		.amdhsa_system_sgpr_workgroup_id_x 1
		.amdhsa_system_sgpr_workgroup_id_y 1
		.amdhsa_system_sgpr_workgroup_id_z 0
		.amdhsa_system_sgpr_workgroup_info 0
		.amdhsa_system_vgpr_workitem_id 0
		.amdhsa_next_free_vgpr 35
		.amdhsa_next_free_sgpr 32
		.amdhsa_accum_offset 36
		.amdhsa_reserve_vcc 1
		.amdhsa_reserve_flat_scratch 0
		.amdhsa_float_round_mode_32 0
		.amdhsa_float_round_mode_16_64 0
		.amdhsa_float_denorm_mode_32 3
		.amdhsa_float_denorm_mode_16_64 3
		.amdhsa_dx10_clamp 1
		.amdhsa_ieee_mode 1
		.amdhsa_fp16_overflow 0
		.amdhsa_tg_split 0
		.amdhsa_exception_fp_ieee_invalid_op 0
		.amdhsa_exception_fp_denorm_src 0
		.amdhsa_exception_fp_ieee_div_zero 0
		.amdhsa_exception_fp_ieee_overflow 0
		.amdhsa_exception_fp_ieee_underflow 0
		.amdhsa_exception_fp_ieee_inexact 0
		.amdhsa_exception_int_div_zero 0
	.end_amdhsa_kernel
	.section	.text._ZN5aiter35fused_qk_rmsnorm_group_quant_kernelIDF16_N4opus5fp4_tELi128ELi16ELi2ELb0ELb1ELb1ELb1ELb0ELb0EEEvPT0_PvPT_S7_S7_PKS6_S9_S9_S9_S9_ffiiiiiiiiiiiii,"axG",@progbits,_ZN5aiter35fused_qk_rmsnorm_group_quant_kernelIDF16_N4opus5fp4_tELi128ELi16ELi2ELb0ELb1ELb1ELb1ELb0ELb0EEEvPT0_PvPT_S7_S7_PKS6_S9_S9_S9_S9_ffiiiiiiiiiiiii,comdat
.Lfunc_end707:
	.size	_ZN5aiter35fused_qk_rmsnorm_group_quant_kernelIDF16_N4opus5fp4_tELi128ELi16ELi2ELb0ELb1ELb1ELb1ELb0ELb0EEEvPT0_PvPT_S7_S7_PKS6_S9_S9_S9_S9_ffiiiiiiiiiiiii, .Lfunc_end707-_ZN5aiter35fused_qk_rmsnorm_group_quant_kernelIDF16_N4opus5fp4_tELi128ELi16ELi2ELb0ELb1ELb1ELb1ELb0ELb0EEEvPT0_PvPT_S7_S7_PKS6_S9_S9_S9_S9_ffiiiiiiiiiiiii
                                        ; -- End function
	.section	.AMDGPU.csdata,"",@progbits
; Kernel info:
; codeLenInByte = 2936
; NumSgprs: 36
; NumVgprs: 35
; NumAgprs: 0
; TotalNumVgprs: 35
; ScratchSize: 0
; MemoryBound: 0
; FloatMode: 240
; IeeeMode: 1
; LDSByteSize: 16 bytes/workgroup (compile time only)
; SGPRBlocks: 4
; VGPRBlocks: 4
; NumSGPRsForWavesPerEU: 36
; NumVGPRsForWavesPerEU: 35
; AccumOffset: 36
; Occupancy: 8
; WaveLimiterHint : 0
; COMPUTE_PGM_RSRC2:SCRATCH_EN: 0
; COMPUTE_PGM_RSRC2:USER_SGPR: 6
; COMPUTE_PGM_RSRC2:TRAP_HANDLER: 0
; COMPUTE_PGM_RSRC2:TGID_X_EN: 1
; COMPUTE_PGM_RSRC2:TGID_Y_EN: 1
; COMPUTE_PGM_RSRC2:TGID_Z_EN: 0
; COMPUTE_PGM_RSRC2:TIDIG_COMP_CNT: 0
; COMPUTE_PGM_RSRC3_GFX90A:ACCUM_OFFSET: 8
; COMPUTE_PGM_RSRC3_GFX90A:TG_SPLIT: 0
	.section	.text._ZN5aiter35fused_qk_rmsnorm_group_quant_kernelItN4opus5fp4_tELi128ELi16ELi2ELb0ELb1ELb1ELb1ELb0ELb0EEEvPT0_PvPT_S7_S7_PKS6_S9_S9_S9_S9_ffiiiiiiiiiiiii,"axG",@progbits,_ZN5aiter35fused_qk_rmsnorm_group_quant_kernelItN4opus5fp4_tELi128ELi16ELi2ELb0ELb1ELb1ELb1ELb0ELb0EEEvPT0_PvPT_S7_S7_PKS6_S9_S9_S9_S9_ffiiiiiiiiiiiii,comdat
	.protected	_ZN5aiter35fused_qk_rmsnorm_group_quant_kernelItN4opus5fp4_tELi128ELi16ELi2ELb0ELb1ELb1ELb1ELb0ELb0EEEvPT0_PvPT_S7_S7_PKS6_S9_S9_S9_S9_ffiiiiiiiiiiiii ; -- Begin function _ZN5aiter35fused_qk_rmsnorm_group_quant_kernelItN4opus5fp4_tELi128ELi16ELi2ELb0ELb1ELb1ELb1ELb0ELb0EEEvPT0_PvPT_S7_S7_PKS6_S9_S9_S9_S9_ffiiiiiiiiiiiii
	.globl	_ZN5aiter35fused_qk_rmsnorm_group_quant_kernelItN4opus5fp4_tELi128ELi16ELi2ELb0ELb1ELb1ELb1ELb0ELb0EEEvPT0_PvPT_S7_S7_PKS6_S9_S9_S9_S9_ffiiiiiiiiiiiii
	.p2align	8
	.type	_ZN5aiter35fused_qk_rmsnorm_group_quant_kernelItN4opus5fp4_tELi128ELi16ELi2ELb0ELb1ELb1ELb1ELb0ELb0EEEvPT0_PvPT_S7_S7_PKS6_S9_S9_S9_S9_ffiiiiiiiiiiiii,@function
_ZN5aiter35fused_qk_rmsnorm_group_quant_kernelItN4opus5fp4_tELi128ELi16ELi2ELb0ELb1ELb1ELb1ELb0ELb0EEEvPT0_PvPT_S7_S7_PKS6_S9_S9_S9_S9_ffiiiiiiiiiiiii: ; @_ZN5aiter35fused_qk_rmsnorm_group_quant_kernelItN4opus5fp4_tELi128ELi16ELi2ELb0ELb1ELb1ELb1ELb0ELb0EEEvPT0_PvPT_S7_S7_PKS6_S9_S9_S9_S9_ffiiiiiiiiiiiii
; %bb.0:
	s_load_dwordx4 s[12:15], s[4:5], 0x50
	s_waitcnt lgkmcnt(0)
	s_cmp_ge_i32 s6, s14
	s_cbranch_scc1 .LBB708_12
; %bb.1:
	s_load_dwordx2 s[24:25], s[4:5], 0x30
	s_load_dwordx2 s[8:9], s[4:5], 0x48
	s_load_dwordx4 s[16:19], s[4:5], 0x60
	s_cmp_lg_u32 s7, 0
	s_cselect_b64 s[10:11], -1, 0
	s_cmp_eq_u32 s7, 0
	s_cselect_b64 vcc, -1, 0
	s_and_b64 s[0:1], vcc, exec
	s_waitcnt lgkmcnt(0)
	s_cselect_b32 s7, s15, s16
	s_add_i32 s0, s7, 1
	s_lshr_b32 s1, s0, 31
	s_add_i32 s0, s0, s1
	s_lshl_b32 s0, s0, 1
	v_lshlrev_b32_e32 v1, 4, v0
	s_and_b32 s22, s0, -4
	v_cmp_gt_i32_e64 s[2:3], s7, v1
	v_mov_b32_e32 v18, 0
	v_mov_b32_e32 v6, 0
	;; [unrolled: 1-line block ×17, first 2 shown]
	s_and_saveexec_b64 s[0:1], s[2:3]
	s_cbranch_execz .LBB708_3
; %bb.2:
	s_load_dwordx2 s[14:15], s[4:5], 0x28
	s_load_dwordx2 s[20:21], s[4:5], 0x40
	s_and_b64 s[26:27], vcc, exec
	s_cselect_b32 s17, s17, s18
	s_mov_b32 s30, s22
	s_waitcnt lgkmcnt(0)
	s_cselect_b32 s19, s15, s25
	s_cselect_b32 s23, s14, s24
	s_mul_hi_i32 s15, s17, s6
	s_mul_i32 s14, s17, s6
	s_lshl_b64 s[14:15], s[14:15], 1
	s_add_u32 s28, s23, s14
	s_addc_u32 s17, s19, s15
	s_and_b64 s[14:15], vcc, exec
	s_mov_b32 s23, 0x20000
	s_cselect_b32 s20, s20, s8
	s_cselect_b32 s14, s21, s9
	s_and_b32 s29, s17, 0xffff
	s_mov_b32 s31, s23
	v_lshlrev_b32_e32 v19, 5, v0
	s_and_b32 s21, s14, 0xffff
	buffer_load_dwordx4 v[14:17], v19, s[28:31], 0 offen
	buffer_load_dwordx4 v[10:13], v19, s[28:31], 16 offen
	;; [unrolled: 1-line block ×4, first 2 shown]
.LBB708_3:
	s_or_b64 exec, exec, s[0:1]
	v_mov_b32_e32 v19, 0
	v_mov_b32_e32 v20, 0
	;; [unrolled: 1-line block ×15, first 2 shown]
	s_and_saveexec_b64 s[0:1], s[2:3]
	s_cbranch_execz .LBB708_5
; %bb.4:
	s_waitcnt vmcnt(3)
	v_cvt_f32_u32_sdwa v18, v14 dst_sel:DWORD dst_unused:UNUSED_PAD src0_sel:WORD_0
	v_cvt_f32_u32_sdwa v19, v14 dst_sel:DWORD dst_unused:UNUSED_PAD src0_sel:WORD_1
	v_cvt_f32_u32_sdwa v20, v15 dst_sel:DWORD dst_unused:UNUSED_PAD src0_sel:WORD_0
	v_cvt_f32_u32_sdwa v21, v15 dst_sel:DWORD dst_unused:UNUSED_PAD src0_sel:WORD_1
	;; [unrolled: 2-line block ×4, first 2 shown]
	s_waitcnt vmcnt(2)
	v_cvt_f32_u32_sdwa v24, v10 dst_sel:DWORD dst_unused:UNUSED_PAD src0_sel:WORD_0
	v_cvt_f32_u32_sdwa v25, v10 dst_sel:DWORD dst_unused:UNUSED_PAD src0_sel:WORD_1
	v_cvt_f32_u32_sdwa v30, v11 dst_sel:DWORD dst_unused:UNUSED_PAD src0_sel:WORD_0
	v_cvt_f32_u32_sdwa v31, v11 dst_sel:DWORD dst_unused:UNUSED_PAD src0_sel:WORD_1
	;; [unrolled: 2-line block ×4, first 2 shown]
.LBB708_5:
	s_or_b64 exec, exec, s[0:1]
	s_waitcnt vmcnt(2)
	v_mul_f32_e32 v10, v19, v19
	v_fmac_f32_e32 v10, v18, v18
	v_fmac_f32_e32 v10, v20, v20
	;; [unrolled: 1-line block ×15, first 2 shown]
	v_and_b32_e32 v12, 63, v0
	v_cmp_eq_u32_e64 s[0:1], 63, v12
	v_mov_b32_dpp v11, v10 quad_perm:[1,0,3,2] row_mask:0xf bank_mask:0xf
	v_add_f32_e32 v10, v10, v11
	s_nop 1
	v_mov_b32_dpp v11, v10 quad_perm:[2,3,0,1] row_mask:0xf bank_mask:0xf
	v_add_f32_e32 v10, v10, v11
	s_nop 1
	v_mov_b32_dpp v11, v10 row_half_mirror row_mask:0xf bank_mask:0xf
	v_add_f32_e32 v10, v10, v11
	s_nop 1
	v_mov_b32_dpp v11, v10 row_mirror row_mask:0xf bank_mask:0xf
	v_add_f32_e32 v10, v10, v11
	s_nop 1
	v_mov_b32_dpp v11, v10 row_bcast:15 row_mask:0xf bank_mask:0xf
	v_add_f32_e32 v10, v10, v11
	s_nop 1
	v_mov_b32_dpp v11, v10 row_bcast:31 row_mask:0xf bank_mask:0xf
	s_and_saveexec_b64 s[14:15], s[0:1]
	s_cbranch_execz .LBB708_7
; %bb.6:
	v_add_f32_e32 v10, v10, v11
	v_lshrrev_b32_e32 v11, 4, v0
	v_and_b32_e32 v11, 60, v11
	ds_write_b32 v11, v10 offset:8
.LBB708_7:
	s_or_b64 exec, exec, s[14:15]
	v_and_b32_e32 v10, 1, v0
	v_lshlrev_b32_e32 v34, 2, v10
	s_waitcnt lgkmcnt(0)
	s_barrier
	ds_read_b32 v10, v34 offset:8
	s_load_dwordx2 s[14:15], s[4:5], 0x18
	s_waitcnt lgkmcnt(0)
	v_mov_b32_dpp v11, v10 quad_perm:[1,0,3,2] row_mask:0xf bank_mask:0xf
	s_and_saveexec_b64 s[20:21], s[2:3]
	s_cbranch_execz .LBB708_9
; %bb.8:
	v_cvt_f32_u32_e32 v12, s7
	v_add_f32_e32 v10, v10, v11
	v_mov_b32_e32 v14, s13
	v_mov_b32_e32 v15, s12
	v_div_scale_f32 v11, s[26:27], v12, v12, v10
	v_rcp_f32_e32 v13, v11
	v_cndmask_b32_e32 v14, v14, v15, vcc
	s_mov_b32 s7, 0x800000
	v_fma_f32 v15, -v11, v13, 1.0
	v_fmac_f32_e32 v13, v15, v13
	v_div_scale_f32 v15, vcc, v10, v12, v10
	v_mul_f32_e32 v16, v15, v13
	v_fma_f32 v17, -v11, v16, v15
	v_fmac_f32_e32 v16, v17, v13
	v_fma_f32 v11, -v11, v16, v15
	v_div_fmas_f32 v11, v11, v13, v16
	v_div_fixup_f32 v10, v11, v12, v10
	v_add_f32_e32 v10, v14, v10
	v_mul_f32_e32 v11, 0x4b800000, v10
	v_cmp_gt_f32_e32 vcc, s7, v10
	v_cndmask_b32_e32 v10, v10, v11, vcc
	v_rsq_f32_e32 v10, v10
	v_mul_f32_e32 v11, 0x45800000, v10
	v_cndmask_b32_e32 v10, v10, v11, vcc
	v_mov_b32_e32 v11, v10
	;;#ASMSTART
	v_pk_mul_f32 v[12:13], v[18:19], v[10:11]
	;;#ASMEND
	s_waitcnt vmcnt(1)
	v_cvt_f32_u32_sdwa v19, v6 dst_sel:DWORD dst_unused:UNUSED_PAD src0_sel:WORD_1
	v_cvt_f32_u32_sdwa v18, v6 dst_sel:DWORD dst_unused:UNUSED_PAD src0_sel:WORD_0
	;;#ASMSTART
	v_pk_mul_f32 v[14:15], v[20:21], v[10:11]
	;;#ASMEND
	v_cvt_f32_u32_sdwa v21, v7 dst_sel:DWORD dst_unused:UNUSED_PAD src0_sel:WORD_1
	v_cvt_f32_u32_sdwa v20, v7 dst_sel:DWORD dst_unused:UNUSED_PAD src0_sel:WORD_0
	;;#ASMSTART
	v_pk_mul_f32 v[16:17], v[22:23], v[10:11]
	;;#ASMEND
	;;#ASMSTART
	v_pk_mul_f32 v[26:27], v[26:27], v[10:11]
	;;#ASMEND
	;; [unrolled: 3-line block ×6, first 2 shown]
	v_pk_add_f32 v[10:11], v[18:19], 1.0 op_sel_hi:[1,0]
	;;#ASMSTART
	v_pk_mul_f32 v[18:19], v[12:13], v[10:11]
	;;#ASMEND
	v_cvt_f32_u32_sdwa v13, v8 dst_sel:DWORD dst_unused:UNUSED_PAD src0_sel:WORD_1
	v_cvt_f32_u32_sdwa v12, v8 dst_sel:DWORD dst_unused:UNUSED_PAD src0_sel:WORD_0
	v_cvt_f32_u32_sdwa v29, v9 dst_sel:DWORD dst_unused:UNUSED_PAD src0_sel:WORD_1
	v_cvt_f32_u32_sdwa v28, v9 dst_sel:DWORD dst_unused:UNUSED_PAD src0_sel:WORD_0
	v_pk_add_f32 v[10:11], v[20:21], 1.0 op_sel_hi:[1,0]
	;;#ASMSTART
	v_pk_mul_f32 v[20:21], v[14:15], v[10:11]
	;;#ASMEND
	s_waitcnt vmcnt(0)
	v_cvt_f32_u32_sdwa v11, v2 dst_sel:DWORD dst_unused:UNUSED_PAD src0_sel:WORD_1
	v_cvt_f32_u32_sdwa v10, v2 dst_sel:DWORD dst_unused:UNUSED_PAD src0_sel:WORD_0
	v_pk_add_f32 v[8:9], v[12:13], 1.0 op_sel_hi:[1,0]
	;;#ASMSTART
	v_pk_mul_f32 v[22:23], v[16:17], v[8:9]
	;;#ASMEND
	v_pk_add_f32 v[8:9], v[28:29], 1.0 op_sel_hi:[1,0]
	v_cvt_f32_u32_sdwa v13, v3 dst_sel:DWORD dst_unused:UNUSED_PAD src0_sel:WORD_1
	v_cvt_f32_u32_sdwa v12, v3 dst_sel:DWORD dst_unused:UNUSED_PAD src0_sel:WORD_0
	;;#ASMSTART
	v_pk_mul_f32 v[26:27], v[26:27], v[8:9]
	;;#ASMEND
	v_cvt_f32_u32_sdwa v9, v4 dst_sel:DWORD dst_unused:UNUSED_PAD src0_sel:WORD_1
	v_cvt_f32_u32_sdwa v8, v4 dst_sel:DWORD dst_unused:UNUSED_PAD src0_sel:WORD_0
	v_pk_add_f32 v[2:3], v[10:11], 1.0 op_sel_hi:[1,0]
	v_cvt_f32_u32_sdwa v11, v5 dst_sel:DWORD dst_unused:UNUSED_PAD src0_sel:WORD_1
	v_cvt_f32_u32_sdwa v10, v5 dst_sel:DWORD dst_unused:UNUSED_PAD src0_sel:WORD_0
	;;#ASMSTART
	v_pk_mul_f32 v[24:25], v[24:25], v[2:3]
	;;#ASMEND
	v_pk_add_f32 v[2:3], v[12:13], 1.0 op_sel_hi:[1,0]
	;;#ASMSTART
	v_pk_mul_f32 v[30:31], v[30:31], v[2:3]
	;;#ASMEND
	v_pk_add_f32 v[2:3], v[8:9], 1.0 op_sel_hi:[1,0]
	;; [unrolled: 4-line block ×3, first 2 shown]
	;;#ASMSTART
	v_pk_mul_f32 v[28:29], v[6:7], v[2:3]
	;;#ASMEND
.LBB708_9:
	s_or_b64 exec, exec, s[20:21]
	s_load_dwordx2 s[26:27], s[4:5], 0x7c
	s_mov_b64 s[20:21], -1
	s_and_b64 vcc, exec, s[10:11]
	s_cbranch_vccnz .LBB708_13
; %bb.10:
	s_andn2_b64 vcc, exec, s[20:21]
	s_cbranch_vccz .LBB708_16
.LBB708_11:
	s_cmp_lt_i32 s16, 1
	s_cbranch_scc0 .LBB708_19
.LBB708_12:
	s_endpgm
.LBB708_13:
	s_and_saveexec_b64 s[10:11], s[2:3]
	s_cbranch_execz .LBB708_15
; %bb.14:
	s_waitcnt lgkmcnt(0)
	s_mul_hi_i32 s21, s27, s6
	s_mul_i32 s20, s27, s6
	s_lshl_b64 s[20:21], s[20:21], 1
	s_add_u32 s20, s14, s20
	s_addc_u32 s7, s15, s21
	s_and_b32 s21, s7, 0xffff
	s_mov_b32 s7, 0x7060302
	s_mov_b32 s23, 0x20000
	s_waitcnt vmcnt(0)
	v_perm_b32 v5, v27, v26, s7
	v_perm_b32 v4, v23, v22, s7
	;; [unrolled: 1-line block ×4, first 2 shown]
	v_lshlrev_b32_e32 v6, 5, v0
	buffer_store_dwordx4 v[2:5], v6, s[20:23], 0 offen
	;;#ASMSTART
	s_nop 0
	;;#ASMEND
	s_nop 0
	v_perm_b32 v5, v29, v28, s7
	v_perm_b32 v4, v33, v32, s7
	;; [unrolled: 1-line block ×4, first 2 shown]
	buffer_store_dwordx4 v[2:5], v6, s[20:23], 16 offen
	;;#ASMSTART
	s_nop 0
	;;#ASMEND
.LBB708_15:
	s_or_b64 exec, exec, s[10:11]
	s_cbranch_execnz .LBB708_11
.LBB708_16:
	s_and_saveexec_b64 s[10:11], s[2:3]
	s_cbranch_execz .LBB708_18
; %bb.17:
	s_load_dwordx2 s[2:3], s[4:5], 0x10
	s_waitcnt lgkmcnt(0)
	s_mul_hi_i32 s21, s26, s6
	s_mul_i32 s20, s26, s6
	s_lshl_b64 s[20:21], s[20:21], 1
	s_mov_b32 s23, 0x20000
	s_add_u32 s20, s2, s20
	s_addc_u32 s2, s3, s21
	s_and_b32 s21, s2, 0xffff
	s_mov_b32 s2, 0x7060302
	s_waitcnt vmcnt(0)
	v_perm_b32 v5, v27, v26, s2
	v_perm_b32 v4, v23, v22, s2
	;; [unrolled: 1-line block ×4, first 2 shown]
	v_lshlrev_b32_e32 v6, 5, v0
	buffer_store_dwordx4 v[2:5], v6, s[20:23], 0 offen
	;;#ASMSTART
	s_nop 0
	;;#ASMEND
	s_nop 0
	v_perm_b32 v5, v29, v28, s2
	v_perm_b32 v4, v33, v32, s2
	;; [unrolled: 1-line block ×4, first 2 shown]
	buffer_store_dwordx4 v[2:5], v6, s[20:23], 16 offen
	;;#ASMSTART
	s_nop 0
	;;#ASMEND
.LBB708_18:
	s_or_b64 exec, exec, s[10:11]
	s_cmp_lt_i32 s16, 1
	s_cbranch_scc1 .LBB708_12
.LBB708_19:
	s_load_dword s2, s[4:5], 0x94
	s_waitcnt lgkmcnt(0)
	s_cmp_lg_u32 s2, 1
	s_cbranch_scc1 .LBB708_12
; %bb.20:
	s_lshl_b32 s2, s16, 1
	s_add_i32 s2, s2, 2
	v_cmp_gt_u32_e32 vcc, s16, v1
	s_and_b32 s10, s2, -4
	v_mov_b32_e32 v18, 0
	v_lshlrev_b32_e32 v1, 5, v0
	v_mov_b32_e32 v14, 0
	v_mov_b32_e32 v15, 0
	;; [unrolled: 1-line block ×8, first 2 shown]
	s_waitcnt vmcnt(1)
	v_mov_b32_e32 v6, 0
	v_mov_b32_e32 v7, 0
	;; [unrolled: 1-line block ×4, first 2 shown]
	s_waitcnt vmcnt(0)
	v_mov_b32_e32 v2, 0
	v_mov_b32_e32 v3, 0
	;; [unrolled: 1-line block ×4, first 2 shown]
	s_barrier
	s_and_saveexec_b64 s[2:3], vcc
	s_cbranch_execz .LBB708_22
; %bb.21:
	s_mul_hi_i32 s5, s18, s6
	s_mul_i32 s4, s18, s6
	s_and_b32 s9, s9, 0xffff
	s_lshl_b64 s[4:5], s[4:5], 1
	s_add_u32 s20, s24, s4
	s_mov_b32 s11, 0x20000
	s_addc_u32 s4, s25, s5
	s_and_b32 s21, s4, 0xffff
	s_mov_b32 s22, s10
	s_mov_b32 s23, s11
	buffer_load_dwordx4 v[14:17], v1, s[20:23], 0 offen
	buffer_load_dwordx4 v[10:13], v1, s[20:23], 16 offen
	;; [unrolled: 1-line block ×4, first 2 shown]
.LBB708_22:
	s_or_b64 exec, exec, s[2:3]
	v_mov_b32_e32 v19, 0
	v_mov_b32_e32 v32, 0
	v_mov_b32_e32 v33, 0
	v_mov_b32_e32 v30, 0
	v_mov_b32_e32 v31, 0
	v_mov_b32_e32 v28, 0
	v_mov_b32_e32 v29, 0
	v_mov_b32_e32 v26, 0
	v_mov_b32_e32 v27, 0
	v_mov_b32_e32 v24, 0
	v_mov_b32_e32 v25, 0
	v_mov_b32_e32 v22, 0
	v_mov_b32_e32 v23, 0
	v_mov_b32_e32 v20, 0
	v_mov_b32_e32 v21, 0
	s_and_saveexec_b64 s[2:3], vcc
	s_cbranch_execz .LBB708_24
; %bb.23:
	s_waitcnt vmcnt(3)
	v_cvt_f32_u32_sdwa v18, v14 dst_sel:DWORD dst_unused:UNUSED_PAD src0_sel:WORD_0
	v_cvt_f32_u32_sdwa v19, v14 dst_sel:DWORD dst_unused:UNUSED_PAD src0_sel:WORD_1
	v_cvt_f32_u32_sdwa v32, v15 dst_sel:DWORD dst_unused:UNUSED_PAD src0_sel:WORD_0
	v_cvt_f32_u32_sdwa v33, v15 dst_sel:DWORD dst_unused:UNUSED_PAD src0_sel:WORD_1
	;; [unrolled: 2-line block ×4, first 2 shown]
	s_waitcnt vmcnt(2)
	v_cvt_f32_u32_sdwa v26, v10 dst_sel:DWORD dst_unused:UNUSED_PAD src0_sel:WORD_0
	v_cvt_f32_u32_sdwa v27, v10 dst_sel:DWORD dst_unused:UNUSED_PAD src0_sel:WORD_1
	v_cvt_f32_u32_sdwa v24, v11 dst_sel:DWORD dst_unused:UNUSED_PAD src0_sel:WORD_0
	v_cvt_f32_u32_sdwa v25, v11 dst_sel:DWORD dst_unused:UNUSED_PAD src0_sel:WORD_1
	v_cvt_f32_u32_sdwa v22, v12 dst_sel:DWORD dst_unused:UNUSED_PAD src0_sel:WORD_0
	v_cvt_f32_u32_sdwa v23, v12 dst_sel:DWORD dst_unused:UNUSED_PAD src0_sel:WORD_1
	v_cvt_f32_u32_sdwa v20, v13 dst_sel:DWORD dst_unused:UNUSED_PAD src0_sel:WORD_0
	v_cvt_f32_u32_sdwa v21, v13 dst_sel:DWORD dst_unused:UNUSED_PAD src0_sel:WORD_1
.LBB708_24:
	s_or_b64 exec, exec, s[2:3]
	s_waitcnt vmcnt(2)
	v_mul_f32_e32 v10, v19, v19
	v_fmac_f32_e32 v10, v18, v18
	v_fmac_f32_e32 v10, v32, v32
	;; [unrolled: 1-line block ×15, first 2 shown]
	s_nop 1
	v_mov_b32_dpp v11, v10 quad_perm:[1,0,3,2] row_mask:0xf bank_mask:0xf
	v_add_f32_e32 v10, v10, v11
	s_nop 1
	v_mov_b32_dpp v11, v10 quad_perm:[2,3,0,1] row_mask:0xf bank_mask:0xf
	v_add_f32_e32 v10, v10, v11
	s_nop 1
	v_mov_b32_dpp v11, v10 row_half_mirror row_mask:0xf bank_mask:0xf
	v_add_f32_e32 v10, v10, v11
	s_nop 1
	v_mov_b32_dpp v11, v10 row_mirror row_mask:0xf bank_mask:0xf
	v_add_f32_e32 v10, v10, v11
	s_nop 1
	v_mov_b32_dpp v11, v10 row_bcast:15 row_mask:0xf bank_mask:0xf
	v_add_f32_e32 v10, v10, v11
	s_nop 1
	v_mov_b32_dpp v11, v10 row_bcast:31 row_mask:0xf bank_mask:0xf
	s_and_saveexec_b64 s[2:3], s[0:1]
	s_cbranch_execz .LBB708_26
; %bb.25:
	v_lshrrev_b32_e32 v0, 4, v0
	v_add_f32_e32 v10, v10, v11
	v_and_b32_e32 v0, 60, v0
	ds_write_b32 v0, v10
.LBB708_26:
	s_or_b64 exec, exec, s[2:3]
	s_waitcnt lgkmcnt(0)
	s_barrier
	ds_read_b32 v0, v34
	s_waitcnt lgkmcnt(0)
	s_nop 0
	v_mov_b32_dpp v10, v0 quad_perm:[1,0,3,2] row_mask:0xf bank_mask:0xf
	s_and_saveexec_b64 s[0:1], vcc
	s_cbranch_execz .LBB708_12
; %bb.27:
	v_cvt_f32_u32_e32 v11, s16
	v_add_f32_e32 v0, v0, v10
	s_mov_b32 s11, 0x20000
	v_div_scale_f32 v10, s[0:1], v11, v11, v0
	v_rcp_f32_e32 v12, v10
	v_div_scale_f32 v13, vcc, v0, v11, v0
	s_mov_b32 s0, 0x800000
	v_fma_f32 v14, -v10, v12, 1.0
	v_fmac_f32_e32 v12, v14, v12
	v_mul_f32_e32 v14, v13, v12
	v_fma_f32 v15, -v10, v14, v13
	v_fmac_f32_e32 v14, v15, v12
	v_fma_f32 v10, -v10, v14, v13
	v_div_fmas_f32 v10, v10, v12, v14
	v_div_fixup_f32 v0, v10, v11, v0
	v_add_f32_e32 v0, s13, v0
	v_mul_f32_e32 v10, 0x4b800000, v0
	v_cmp_gt_f32_e32 vcc, s0, v0
	v_cndmask_b32_e32 v0, v0, v10, vcc
	v_rsq_f32_e32 v0, v0
	s_mul_hi_i32 s1, s27, s6
	s_mul_i32 s0, s27, s6
	s_lshl_b64 s[0:1], s[0:1], 1
	v_mul_f32_e32 v10, 0x45800000, v0
	v_cndmask_b32_e32 v10, v0, v10, vcc
	v_mov_b32_e32 v11, v10
	;;#ASMSTART
	v_pk_mul_f32 v[12:13], v[18:19], v[10:11]
	;;#ASMEND
	;;#ASMSTART
	v_pk_mul_f32 v[14:15], v[32:33], v[10:11]
	;;#ASMEND
	;; [unrolled: 3-line block ×4, first 2 shown]
	s_waitcnt vmcnt(1)
	v_cvt_f32_u32_sdwa v29, v6 dst_sel:DWORD dst_unused:UNUSED_PAD src0_sel:WORD_1
	v_cvt_f32_u32_sdwa v28, v6 dst_sel:DWORD dst_unused:UNUSED_PAD src0_sel:WORD_0
	v_cvt_f32_u32_sdwa v31, v7 dst_sel:DWORD dst_unused:UNUSED_PAD src0_sel:WORD_1
	v_cvt_f32_u32_sdwa v30, v7 dst_sel:DWORD dst_unused:UNUSED_PAD src0_sel:WORD_0
	;;#ASMSTART
	v_pk_mul_f32 v[26:27], v[26:27], v[10:11]
	;;#ASMEND
	;;#ASMSTART
	v_pk_mul_f32 v[24:25], v[24:25], v[10:11]
	;;#ASMEND
	;; [unrolled: 3-line block ×4, first 2 shown]
	v_cvt_f32_u32_sdwa v21, v8 dst_sel:DWORD dst_unused:UNUSED_PAD src0_sel:WORD_1
	v_cvt_f32_u32_sdwa v20, v8 dst_sel:DWORD dst_unused:UNUSED_PAD src0_sel:WORD_0
	v_pk_add_f32 v[10:11], v[28:29], 1.0 op_sel_hi:[1,0]
	;;#ASMSTART
	v_pk_mul_f32 v[10:11], v[12:13], v[10:11]
	;;#ASMEND
	v_pk_add_f32 v[12:13], v[30:31], 1.0 op_sel_hi:[1,0]
	v_cvt_f32_u32_sdwa v29, v9 dst_sel:DWORD dst_unused:UNUSED_PAD src0_sel:WORD_1
	v_cvt_f32_u32_sdwa v28, v9 dst_sel:DWORD dst_unused:UNUSED_PAD src0_sel:WORD_0
	;;#ASMSTART
	v_pk_mul_f32 v[8:9], v[14:15], v[12:13]
	;;#ASMEND
	v_pk_add_f32 v[12:13], v[20:21], 1.0 op_sel_hi:[1,0]
	;;#ASMSTART
	v_pk_mul_f32 v[12:13], v[16:17], v[12:13]
	;;#ASMEND
	s_waitcnt vmcnt(0)
	v_cvt_f32_u32_sdwa v17, v2 dst_sel:DWORD dst_unused:UNUSED_PAD src0_sel:WORD_1
	v_cvt_f32_u32_sdwa v16, v2 dst_sel:DWORD dst_unused:UNUSED_PAD src0_sel:WORD_0
	v_cvt_f32_u32_sdwa v21, v3 dst_sel:DWORD dst_unused:UNUSED_PAD src0_sel:WORD_1
	v_cvt_f32_u32_sdwa v20, v3 dst_sel:DWORD dst_unused:UNUSED_PAD src0_sel:WORD_0
	v_pk_add_f32 v[14:15], v[28:29], 1.0 op_sel_hi:[1,0]
	;;#ASMSTART
	v_pk_mul_f32 v[14:15], v[18:19], v[14:15]
	;;#ASMEND
	v_pk_add_f32 v[2:3], v[16:17], 1.0 op_sel_hi:[1,0]
	v_cvt_f32_u32_sdwa v19, v4 dst_sel:DWORD dst_unused:UNUSED_PAD src0_sel:WORD_1
	v_cvt_f32_u32_sdwa v18, v4 dst_sel:DWORD dst_unused:UNUSED_PAD src0_sel:WORD_0
	;;#ASMSTART
	v_pk_mul_f32 v[16:17], v[26:27], v[2:3]
	;;#ASMEND
	v_pk_add_f32 v[2:3], v[20:21], 1.0 op_sel_hi:[1,0]
	v_cvt_f32_u32_sdwa v21, v5 dst_sel:DWORD dst_unused:UNUSED_PAD src0_sel:WORD_1
	v_cvt_f32_u32_sdwa v20, v5 dst_sel:DWORD dst_unused:UNUSED_PAD src0_sel:WORD_0
	s_add_u32 s8, s14, s0
	;;#ASMSTART
	v_pk_mul_f32 v[24:25], v[24:25], v[2:3]
	;;#ASMEND
	v_pk_add_f32 v[2:3], v[18:19], 1.0 op_sel_hi:[1,0]
	s_addc_u32 s0, s15, s1
	;;#ASMSTART
	v_pk_mul_f32 v[18:19], v[22:23], v[2:3]
	;;#ASMEND
	v_pk_add_f32 v[2:3], v[20:21], 1.0 op_sel_hi:[1,0]
	s_and_b32 s9, s0, 0xffff
	s_mov_b32 s0, 0x7060302
	;;#ASMSTART
	v_pk_mul_f32 v[6:7], v[6:7], v[2:3]
	;;#ASMEND
	v_perm_b32 v2, v11, v10, s0
	v_perm_b32 v3, v9, v8, s0
	;; [unrolled: 1-line block ×4, first 2 shown]
	buffer_store_dwordx4 v[2:5], v1, s[8:11], 0 offen
	;;#ASMSTART
	s_nop 0
	;;#ASMEND
	s_nop 0
	v_perm_b32 v2, v17, v16, s0
	v_perm_b32 v3, v25, v24, s0
	;; [unrolled: 1-line block ×4, first 2 shown]
	buffer_store_dwordx4 v[2:5], v1, s[8:11], 16 offen
	;;#ASMSTART
	s_nop 0
	;;#ASMEND
	s_endpgm
	.section	.rodata,"a",@progbits
	.p2align	6, 0x0
	.amdhsa_kernel _ZN5aiter35fused_qk_rmsnorm_group_quant_kernelItN4opus5fp4_tELi128ELi16ELi2ELb0ELb1ELb1ELb1ELb0ELb0EEEvPT0_PvPT_S7_S7_PKS6_S9_S9_S9_S9_ffiiiiiiiiiiiii
		.amdhsa_group_segment_fixed_size 16
		.amdhsa_private_segment_fixed_size 0
		.amdhsa_kernarg_size 400
		.amdhsa_user_sgpr_count 6
		.amdhsa_user_sgpr_private_segment_buffer 1
		.amdhsa_user_sgpr_dispatch_ptr 0
		.amdhsa_user_sgpr_queue_ptr 0
		.amdhsa_user_sgpr_kernarg_segment_ptr 1
		.amdhsa_user_sgpr_dispatch_id 0
		.amdhsa_user_sgpr_flat_scratch_init 0
		.amdhsa_user_sgpr_kernarg_preload_length 0
		.amdhsa_user_sgpr_kernarg_preload_offset 0
		.amdhsa_user_sgpr_private_segment_size 0
		.amdhsa_uses_dynamic_stack 0
		.amdhsa_system_sgpr_private_segment_wavefront_offset 0
		.amdhsa_system_sgpr_workgroup_id_x 1
		.amdhsa_system_sgpr_workgroup_id_y 1
		.amdhsa_system_sgpr_workgroup_id_z 0
		.amdhsa_system_sgpr_workgroup_info 0
		.amdhsa_system_vgpr_workitem_id 0
		.amdhsa_next_free_vgpr 35
		.amdhsa_next_free_sgpr 32
		.amdhsa_accum_offset 36
		.amdhsa_reserve_vcc 1
		.amdhsa_reserve_flat_scratch 0
		.amdhsa_float_round_mode_32 0
		.amdhsa_float_round_mode_16_64 0
		.amdhsa_float_denorm_mode_32 3
		.amdhsa_float_denorm_mode_16_64 3
		.amdhsa_dx10_clamp 1
		.amdhsa_ieee_mode 1
		.amdhsa_fp16_overflow 0
		.amdhsa_tg_split 0
		.amdhsa_exception_fp_ieee_invalid_op 0
		.amdhsa_exception_fp_denorm_src 0
		.amdhsa_exception_fp_ieee_div_zero 0
		.amdhsa_exception_fp_ieee_overflow 0
		.amdhsa_exception_fp_ieee_underflow 0
		.amdhsa_exception_fp_ieee_inexact 0
		.amdhsa_exception_int_div_zero 0
	.end_amdhsa_kernel
	.section	.text._ZN5aiter35fused_qk_rmsnorm_group_quant_kernelItN4opus5fp4_tELi128ELi16ELi2ELb0ELb1ELb1ELb1ELb0ELb0EEEvPT0_PvPT_S7_S7_PKS6_S9_S9_S9_S9_ffiiiiiiiiiiiii,"axG",@progbits,_ZN5aiter35fused_qk_rmsnorm_group_quant_kernelItN4opus5fp4_tELi128ELi16ELi2ELb0ELb1ELb1ELb1ELb0ELb0EEEvPT0_PvPT_S7_S7_PKS6_S9_S9_S9_S9_ffiiiiiiiiiiiii,comdat
.Lfunc_end708:
	.size	_ZN5aiter35fused_qk_rmsnorm_group_quant_kernelItN4opus5fp4_tELi128ELi16ELi2ELb0ELb1ELb1ELb1ELb0ELb0EEEvPT0_PvPT_S7_S7_PKS6_S9_S9_S9_S9_ffiiiiiiiiiiiii, .Lfunc_end708-_ZN5aiter35fused_qk_rmsnorm_group_quant_kernelItN4opus5fp4_tELi128ELi16ELi2ELb0ELb1ELb1ELb1ELb0ELb0EEEvPT0_PvPT_S7_S7_PKS6_S9_S9_S9_S9_ffiiiiiiiiiiiii
                                        ; -- End function
	.section	.AMDGPU.csdata,"",@progbits
; Kernel info:
; codeLenInByte = 2908
; NumSgprs: 36
; NumVgprs: 35
; NumAgprs: 0
; TotalNumVgprs: 35
; ScratchSize: 0
; MemoryBound: 0
; FloatMode: 240
; IeeeMode: 1
; LDSByteSize: 16 bytes/workgroup (compile time only)
; SGPRBlocks: 4
; VGPRBlocks: 4
; NumSGPRsForWavesPerEU: 36
; NumVGPRsForWavesPerEU: 35
; AccumOffset: 36
; Occupancy: 8
; WaveLimiterHint : 0
; COMPUTE_PGM_RSRC2:SCRATCH_EN: 0
; COMPUTE_PGM_RSRC2:USER_SGPR: 6
; COMPUTE_PGM_RSRC2:TRAP_HANDLER: 0
; COMPUTE_PGM_RSRC2:TGID_X_EN: 1
; COMPUTE_PGM_RSRC2:TGID_Y_EN: 1
; COMPUTE_PGM_RSRC2:TGID_Z_EN: 0
; COMPUTE_PGM_RSRC2:TIDIG_COMP_CNT: 0
; COMPUTE_PGM_RSRC3_GFX90A:ACCUM_OFFSET: 8
; COMPUTE_PGM_RSRC3_GFX90A:TG_SPLIT: 0
	.section	.text._ZN5aiter35fused_qk_rmsnorm_group_quant_kernelIDF16_DB8_Li128ELi16ELi2ELb0ELb1ELb0ELb1ELb0ELb0EEEvPT0_PvPT_S6_S6_PKS5_S8_S8_S8_S8_ffiiiiiiiiiiiii,"axG",@progbits,_ZN5aiter35fused_qk_rmsnorm_group_quant_kernelIDF16_DB8_Li128ELi16ELi2ELb0ELb1ELb0ELb1ELb0ELb0EEEvPT0_PvPT_S6_S6_PKS5_S8_S8_S8_S8_ffiiiiiiiiiiiii,comdat
	.protected	_ZN5aiter35fused_qk_rmsnorm_group_quant_kernelIDF16_DB8_Li128ELi16ELi2ELb0ELb1ELb0ELb1ELb0ELb0EEEvPT0_PvPT_S6_S6_PKS5_S8_S8_S8_S8_ffiiiiiiiiiiiii ; -- Begin function _ZN5aiter35fused_qk_rmsnorm_group_quant_kernelIDF16_DB8_Li128ELi16ELi2ELb0ELb1ELb0ELb1ELb0ELb0EEEvPT0_PvPT_S6_S6_PKS5_S8_S8_S8_S8_ffiiiiiiiiiiiii
	.globl	_ZN5aiter35fused_qk_rmsnorm_group_quant_kernelIDF16_DB8_Li128ELi16ELi2ELb0ELb1ELb0ELb1ELb0ELb0EEEvPT0_PvPT_S6_S6_PKS5_S8_S8_S8_S8_ffiiiiiiiiiiiii
	.p2align	8
	.type	_ZN5aiter35fused_qk_rmsnorm_group_quant_kernelIDF16_DB8_Li128ELi16ELi2ELb0ELb1ELb0ELb1ELb0ELb0EEEvPT0_PvPT_S6_S6_PKS5_S8_S8_S8_S8_ffiiiiiiiiiiiii,@function
_ZN5aiter35fused_qk_rmsnorm_group_quant_kernelIDF16_DB8_Li128ELi16ELi2ELb0ELb1ELb0ELb1ELb0ELb0EEEvPT0_PvPT_S6_S6_PKS5_S8_S8_S8_S8_ffiiiiiiiiiiiii: ; @_ZN5aiter35fused_qk_rmsnorm_group_quant_kernelIDF16_DB8_Li128ELi16ELi2ELb0ELb1ELb0ELb1ELb0ELb0EEEvPT0_PvPT_S6_S6_PKS5_S8_S8_S8_S8_ffiiiiiiiiiiiii
; %bb.0:
	s_load_dwordx4 s[12:15], s[4:5], 0x50
	s_waitcnt lgkmcnt(0)
	s_cmp_ge_i32 s6, s14
	s_cbranch_scc1 .LBB709_12
; %bb.1:
	s_load_dwordx2 s[24:25], s[4:5], 0x30
	s_load_dwordx2 s[8:9], s[4:5], 0x48
	s_load_dwordx4 s[16:19], s[4:5], 0x60
	s_cmp_lg_u32 s7, 0
	s_cselect_b64 s[10:11], -1, 0
	s_cmp_eq_u32 s7, 0
	s_cselect_b64 vcc, -1, 0
	s_and_b64 s[0:1], vcc, exec
	s_waitcnt lgkmcnt(0)
	s_cselect_b32 s7, s15, s16
	s_add_i32 s0, s7, 1
	s_lshr_b32 s1, s0, 31
	s_add_i32 s0, s0, s1
	s_lshl_b32 s0, s0, 1
	v_lshlrev_b32_e32 v1, 4, v0
	s_and_b32 s22, s0, -4
	v_cmp_gt_i32_e64 s[2:3], s7, v1
	v_mov_b32_e32 v18, 0
	v_mov_b32_e32 v6, 0
	;; [unrolled: 1-line block ×17, first 2 shown]
	s_and_saveexec_b64 s[0:1], s[2:3]
	s_cbranch_execz .LBB709_3
; %bb.2:
	s_load_dwordx2 s[14:15], s[4:5], 0x28
	s_load_dwordx2 s[20:21], s[4:5], 0x40
	s_and_b64 s[26:27], vcc, exec
	s_cselect_b32 s17, s17, s18
	s_mov_b32 s30, s22
	s_waitcnt lgkmcnt(0)
	s_cselect_b32 s19, s15, s25
	s_cselect_b32 s23, s14, s24
	s_mul_hi_i32 s15, s17, s6
	s_mul_i32 s14, s17, s6
	s_lshl_b64 s[14:15], s[14:15], 1
	s_add_u32 s28, s23, s14
	s_addc_u32 s17, s19, s15
	s_and_b64 s[14:15], vcc, exec
	s_mov_b32 s23, 0x20000
	s_cselect_b32 s20, s20, s8
	s_cselect_b32 s14, s21, s9
	s_and_b32 s29, s17, 0xffff
	s_mov_b32 s31, s23
	v_lshlrev_b32_e32 v19, 5, v0
	s_and_b32 s21, s14, 0xffff
	buffer_load_dwordx4 v[14:17], v19, s[28:31], 0 offen
	buffer_load_dwordx4 v[10:13], v19, s[28:31], 16 offen
	;; [unrolled: 1-line block ×4, first 2 shown]
.LBB709_3:
	s_or_b64 exec, exec, s[0:1]
	v_mov_b32_e32 v19, 0
	v_mov_b32_e32 v20, 0
	;; [unrolled: 1-line block ×15, first 2 shown]
	s_and_saveexec_b64 s[0:1], s[2:3]
	s_cbranch_execz .LBB709_5
; %bb.4:
	s_waitcnt vmcnt(3)
	v_cvt_f32_f16_sdwa v19, v14 dst_sel:DWORD dst_unused:UNUSED_PAD src0_sel:WORD_1
	v_cvt_f32_f16_e32 v18, v14
	v_cvt_f32_f16_sdwa v21, v15 dst_sel:DWORD dst_unused:UNUSED_PAD src0_sel:WORD_1
	v_cvt_f32_f16_e32 v20, v15
	;; [unrolled: 2-line block ×4, first 2 shown]
	s_waitcnt vmcnt(2)
	v_cvt_f32_f16_sdwa v25, v10 dst_sel:DWORD dst_unused:UNUSED_PAD src0_sel:WORD_1
	v_cvt_f32_f16_e32 v24, v10
	v_cvt_f32_f16_sdwa v29, v11 dst_sel:DWORD dst_unused:UNUSED_PAD src0_sel:WORD_1
	v_cvt_f32_f16_e32 v28, v11
	;; [unrolled: 2-line block ×4, first 2 shown]
.LBB709_5:
	s_or_b64 exec, exec, s[0:1]
	s_waitcnt vmcnt(2)
	v_mul_f32_e32 v10, v19, v19
	v_fmac_f32_e32 v10, v18, v18
	v_fmac_f32_e32 v10, v20, v20
	;; [unrolled: 1-line block ×15, first 2 shown]
	v_and_b32_e32 v12, 63, v0
	v_cmp_eq_u32_e64 s[0:1], 63, v12
	v_mov_b32_dpp v11, v10 quad_perm:[1,0,3,2] row_mask:0xf bank_mask:0xf
	v_add_f32_e32 v10, v10, v11
	s_nop 1
	v_mov_b32_dpp v11, v10 quad_perm:[2,3,0,1] row_mask:0xf bank_mask:0xf
	v_add_f32_e32 v10, v10, v11
	s_nop 1
	v_mov_b32_dpp v11, v10 row_half_mirror row_mask:0xf bank_mask:0xf
	v_add_f32_e32 v10, v10, v11
	s_nop 1
	v_mov_b32_dpp v11, v10 row_mirror row_mask:0xf bank_mask:0xf
	v_add_f32_e32 v10, v10, v11
	s_nop 1
	v_mov_b32_dpp v11, v10 row_bcast:15 row_mask:0xf bank_mask:0xf
	v_add_f32_e32 v10, v10, v11
	s_nop 1
	v_mov_b32_dpp v11, v10 row_bcast:31 row_mask:0xf bank_mask:0xf
	s_and_saveexec_b64 s[14:15], s[0:1]
	s_cbranch_execz .LBB709_7
; %bb.6:
	v_add_f32_e32 v10, v10, v11
	v_lshrrev_b32_e32 v11, 4, v0
	v_and_b32_e32 v11, 60, v11
	ds_write_b32 v11, v10 offset:8
.LBB709_7:
	s_or_b64 exec, exec, s[14:15]
	v_and_b32_e32 v10, 1, v0
	v_lshlrev_b32_e32 v34, 2, v10
	s_waitcnt lgkmcnt(0)
	s_barrier
	ds_read_b32 v10, v34 offset:8
	s_load_dwordx2 s[14:15], s[4:5], 0x18
	s_waitcnt lgkmcnt(0)
	v_mov_b32_dpp v11, v10 quad_perm:[1,0,3,2] row_mask:0xf bank_mask:0xf
	s_and_saveexec_b64 s[20:21], s[2:3]
	s_cbranch_execz .LBB709_9
; %bb.8:
	v_cvt_f32_u32_e32 v12, s7
	v_add_f32_e32 v10, v10, v11
	v_mov_b32_e32 v14, s13
	v_mov_b32_e32 v15, s12
	v_div_scale_f32 v11, s[26:27], v12, v12, v10
	v_rcp_f32_e32 v13, v11
	v_cndmask_b32_e32 v14, v14, v15, vcc
	s_mov_b32 s7, 0x800000
	v_fma_f32 v15, -v11, v13, 1.0
	v_fmac_f32_e32 v13, v15, v13
	v_div_scale_f32 v15, vcc, v10, v12, v10
	v_mul_f32_e32 v16, v15, v13
	v_fma_f32 v17, -v11, v16, v15
	v_fmac_f32_e32 v16, v17, v13
	v_fma_f32 v11, -v11, v16, v15
	v_div_fmas_f32 v11, v11, v13, v16
	v_div_fixup_f32 v10, v11, v12, v10
	v_add_f32_e32 v10, v14, v10
	v_mul_f32_e32 v11, 0x4b800000, v10
	v_cmp_gt_f32_e32 vcc, s7, v10
	v_cndmask_b32_e32 v10, v10, v11, vcc
	v_rsq_f32_e32 v10, v10
	v_mul_f32_e32 v11, 0x45800000, v10
	v_cndmask_b32_e32 v10, v10, v11, vcc
	v_mov_b32_e32 v11, v10
	;;#ASMSTART
	v_pk_mul_f32 v[12:13], v[18:19], v[10:11]
	;;#ASMEND
	;;#ASMSTART
	v_pk_mul_f32 v[14:15], v[20:21], v[10:11]
	;;#ASMEND
	;; [unrolled: 3-line block ×8, first 2 shown]
	s_waitcnt vmcnt(1)
	v_cvt_f32_f16_sdwa v19, v6 dst_sel:DWORD dst_unused:UNUSED_PAD src0_sel:WORD_1
	v_cvt_f32_f16_e32 v18, v6
	v_cvt_f32_f16_sdwa v21, v7 dst_sel:DWORD dst_unused:UNUSED_PAD src0_sel:WORD_1
	v_cvt_f32_f16_e32 v20, v7
	;; [unrolled: 2-line block ×4, first 2 shown]
	;;#ASMSTART
	v_pk_mul_f32 v[18:19], v[12:13], v[18:19]
	;;#ASMEND
	;;#ASMSTART
	v_pk_mul_f32 v[20:21], v[14:15], v[20:21]
	;;#ASMEND
	;; [unrolled: 3-line block ×4, first 2 shown]
	s_waitcnt vmcnt(0)
	v_cvt_f32_f16_sdwa v7, v2 dst_sel:DWORD dst_unused:UNUSED_PAD src0_sel:WORD_1
	v_cvt_f32_f16_e32 v6, v2
	v_cvt_f32_f16_sdwa v9, v3 dst_sel:DWORD dst_unused:UNUSED_PAD src0_sel:WORD_1
	v_cvt_f32_f16_e32 v8, v3
	;; [unrolled: 2-line block ×4, first 2 shown]
	;;#ASMSTART
	v_pk_mul_f32 v[24:25], v[24:25], v[6:7]
	;;#ASMEND
	;;#ASMSTART
	v_pk_mul_f32 v[28:29], v[28:29], v[8:9]
	;;#ASMEND
	;; [unrolled: 3-line block ×4, first 2 shown]
.LBB709_9:
	s_or_b64 exec, exec, s[20:21]
	s_load_dwordx2 s[26:27], s[4:5], 0x7c
	s_mov_b64 s[20:21], -1
	s_and_b64 vcc, exec, s[10:11]
	s_cbranch_vccnz .LBB709_13
; %bb.10:
	s_andn2_b64 vcc, exec, s[20:21]
	s_cbranch_vccz .LBB709_16
.LBB709_11:
	s_cmp_lt_i32 s16, 1
	s_cbranch_scc0 .LBB709_19
.LBB709_12:
	s_endpgm
.LBB709_13:
	s_and_saveexec_b64 s[10:11], s[2:3]
	s_cbranch_execz .LBB709_15
; %bb.14:
	s_waitcnt lgkmcnt(0)
	s_mul_hi_i32 s21, s27, s6
	s_mul_i32 s20, s27, s6
	s_waitcnt vmcnt(0)
	v_cvt_f16_f32_e32 v2, v18
	v_cvt_f16_f32_e32 v3, v20
	;; [unrolled: 1-line block ×8, first 2 shown]
	s_lshl_b64 s[20:21], s[20:21], 1
	s_add_u32 s20, s14, s20
	s_addc_u32 s7, s15, s21
	s_and_b32 s21, s7, 0xffff
	s_mov_b32 s23, 0x20000
	v_pack_b32_f16 v5, v5, v6
	v_pack_b32_f16 v4, v4, v7
	v_pack_b32_f16 v3, v3, v8
	v_pack_b32_f16 v2, v2, v9
	v_lshlrev_b32_e32 v6, 5, v0
	buffer_store_dwordx4 v[2:5], v6, s[20:23], 0 offen
	v_cvt_f16_f32_e32 v7, v33
	v_cvt_f16_f32_e32 v2, v24
	;; [unrolled: 1-line block ×8, first 2 shown]
	v_pack_b32_f16 v5, v5, v7
	v_pack_b32_f16 v4, v4, v8
	;; [unrolled: 1-line block ×4, first 2 shown]
	;;#ASMSTART
	s_nop 0
	;;#ASMEND
	buffer_store_dwordx4 v[2:5], v6, s[20:23], 16 offen
	;;#ASMSTART
	s_nop 0
	;;#ASMEND
.LBB709_15:
	s_or_b64 exec, exec, s[10:11]
	s_cbranch_execnz .LBB709_11
.LBB709_16:
	s_and_saveexec_b64 s[10:11], s[2:3]
	s_cbranch_execz .LBB709_18
; %bb.17:
	s_load_dwordx2 s[2:3], s[4:5], 0x10
	s_waitcnt lgkmcnt(0)
	s_mul_hi_i32 s21, s26, s6
	s_mul_i32 s20, s26, s6
	s_waitcnt vmcnt(0)
	v_cvt_f16_f32_e32 v2, v18
	v_cvt_f16_f32_e32 v3, v20
	;; [unrolled: 1-line block ×8, first 2 shown]
	s_lshl_b64 s[20:21], s[20:21], 1
	s_add_u32 s20, s2, s20
	s_addc_u32 s2, s3, s21
	s_mov_b32 s23, 0x20000
	s_and_b32 s21, s2, 0xffff
	v_pack_b32_f16 v5, v5, v6
	v_pack_b32_f16 v4, v4, v7
	;; [unrolled: 1-line block ×4, first 2 shown]
	v_lshlrev_b32_e32 v6, 5, v0
	buffer_store_dwordx4 v[2:5], v6, s[20:23], 0 offen
	v_cvt_f16_f32_e32 v7, v33
	v_cvt_f16_f32_e32 v2, v24
	;; [unrolled: 1-line block ×8, first 2 shown]
	v_pack_b32_f16 v5, v5, v7
	v_pack_b32_f16 v4, v4, v8
	;; [unrolled: 1-line block ×4, first 2 shown]
	;;#ASMSTART
	s_nop 0
	;;#ASMEND
	buffer_store_dwordx4 v[2:5], v6, s[20:23], 16 offen
	;;#ASMSTART
	s_nop 0
	;;#ASMEND
.LBB709_18:
	s_or_b64 exec, exec, s[10:11]
	s_cmp_lt_i32 s16, 1
	s_cbranch_scc1 .LBB709_12
.LBB709_19:
	s_load_dword s2, s[4:5], 0x94
	s_waitcnt lgkmcnt(0)
	s_cmp_lg_u32 s2, 1
	s_cbranch_scc1 .LBB709_12
; %bb.20:
	s_lshl_b32 s2, s16, 1
	s_add_i32 s2, s2, 2
	v_cmp_gt_u32_e32 vcc, s16, v1
	s_and_b32 s10, s2, -4
	v_mov_b32_e32 v18, 0
	v_lshlrev_b32_e32 v1, 5, v0
	v_mov_b32_e32 v14, 0
	v_mov_b32_e32 v15, 0
	;; [unrolled: 1-line block ×8, first 2 shown]
	s_waitcnt vmcnt(1)
	v_mov_b32_e32 v6, 0
	v_mov_b32_e32 v7, 0
	;; [unrolled: 1-line block ×4, first 2 shown]
	s_waitcnt vmcnt(0)
	v_mov_b32_e32 v2, 0
	v_mov_b32_e32 v3, 0
	;; [unrolled: 1-line block ×4, first 2 shown]
	s_barrier
	s_and_saveexec_b64 s[2:3], vcc
	s_cbranch_execz .LBB709_22
; %bb.21:
	s_mul_hi_i32 s5, s18, s6
	s_mul_i32 s4, s18, s6
	s_and_b32 s9, s9, 0xffff
	s_lshl_b64 s[4:5], s[4:5], 1
	s_add_u32 s20, s24, s4
	s_mov_b32 s11, 0x20000
	s_addc_u32 s4, s25, s5
	s_and_b32 s21, s4, 0xffff
	s_mov_b32 s22, s10
	s_mov_b32 s23, s11
	buffer_load_dwordx4 v[14:17], v1, s[20:23], 0 offen
	buffer_load_dwordx4 v[10:13], v1, s[20:23], 16 offen
	;; [unrolled: 1-line block ×4, first 2 shown]
.LBB709_22:
	s_or_b64 exec, exec, s[2:3]
	v_mov_b32_e32 v19, 0
	v_mov_b32_e32 v32, 0
	;; [unrolled: 1-line block ×15, first 2 shown]
	s_and_saveexec_b64 s[2:3], vcc
	s_cbranch_execz .LBB709_24
; %bb.23:
	s_waitcnt vmcnt(3)
	v_cvt_f32_f16_sdwa v19, v14 dst_sel:DWORD dst_unused:UNUSED_PAD src0_sel:WORD_1
	v_cvt_f32_f16_e32 v18, v14
	v_cvt_f32_f16_sdwa v33, v15 dst_sel:DWORD dst_unused:UNUSED_PAD src0_sel:WORD_1
	v_cvt_f32_f16_e32 v32, v15
	;; [unrolled: 2-line block ×4, first 2 shown]
	s_waitcnt vmcnt(2)
	v_cvt_f32_f16_sdwa v27, v10 dst_sel:DWORD dst_unused:UNUSED_PAD src0_sel:WORD_1
	v_cvt_f32_f16_e32 v26, v10
	v_cvt_f32_f16_sdwa v25, v11 dst_sel:DWORD dst_unused:UNUSED_PAD src0_sel:WORD_1
	v_cvt_f32_f16_e32 v24, v11
	;; [unrolled: 2-line block ×4, first 2 shown]
.LBB709_24:
	s_or_b64 exec, exec, s[2:3]
	s_waitcnt vmcnt(2)
	v_mul_f32_e32 v10, v19, v19
	v_fmac_f32_e32 v10, v18, v18
	v_fmac_f32_e32 v10, v32, v32
	;; [unrolled: 1-line block ×15, first 2 shown]
	s_nop 1
	v_mov_b32_dpp v11, v10 quad_perm:[1,0,3,2] row_mask:0xf bank_mask:0xf
	v_add_f32_e32 v10, v10, v11
	s_nop 1
	v_mov_b32_dpp v11, v10 quad_perm:[2,3,0,1] row_mask:0xf bank_mask:0xf
	v_add_f32_e32 v10, v10, v11
	s_nop 1
	v_mov_b32_dpp v11, v10 row_half_mirror row_mask:0xf bank_mask:0xf
	v_add_f32_e32 v10, v10, v11
	s_nop 1
	v_mov_b32_dpp v11, v10 row_mirror row_mask:0xf bank_mask:0xf
	v_add_f32_e32 v10, v10, v11
	s_nop 1
	v_mov_b32_dpp v11, v10 row_bcast:15 row_mask:0xf bank_mask:0xf
	v_add_f32_e32 v10, v10, v11
	s_nop 1
	v_mov_b32_dpp v11, v10 row_bcast:31 row_mask:0xf bank_mask:0xf
	s_and_saveexec_b64 s[2:3], s[0:1]
	s_cbranch_execz .LBB709_26
; %bb.25:
	v_lshrrev_b32_e32 v0, 4, v0
	v_add_f32_e32 v10, v10, v11
	v_and_b32_e32 v0, 60, v0
	ds_write_b32 v0, v10
.LBB709_26:
	s_or_b64 exec, exec, s[2:3]
	s_waitcnt lgkmcnt(0)
	s_barrier
	ds_read_b32 v0, v34
	s_waitcnt lgkmcnt(0)
	s_nop 0
	v_mov_b32_dpp v10, v0 quad_perm:[1,0,3,2] row_mask:0xf bank_mask:0xf
	s_and_saveexec_b64 s[0:1], vcc
	s_cbranch_execz .LBB709_12
; %bb.27:
	v_cvt_f32_u32_e32 v11, s16
	v_add_f32_e32 v0, v0, v10
	s_mov_b32 s11, 0x20000
	v_div_scale_f32 v10, s[0:1], v11, v11, v0
	v_rcp_f32_e32 v12, v10
	v_div_scale_f32 v13, vcc, v0, v11, v0
	s_mov_b32 s0, 0x800000
	v_fma_f32 v14, -v10, v12, 1.0
	v_fmac_f32_e32 v12, v14, v12
	v_mul_f32_e32 v14, v13, v12
	v_fma_f32 v15, -v10, v14, v13
	v_fmac_f32_e32 v14, v15, v12
	v_fma_f32 v10, -v10, v14, v13
	v_div_fmas_f32 v10, v10, v12, v14
	v_div_fixup_f32 v0, v10, v11, v0
	v_add_f32_e32 v0, s13, v0
	v_mul_f32_e32 v10, 0x4b800000, v0
	v_cmp_gt_f32_e32 vcc, s0, v0
	v_cndmask_b32_e32 v0, v0, v10, vcc
	v_rsq_f32_e32 v0, v0
	s_mul_hi_i32 s1, s27, s6
	s_mul_i32 s0, s27, s6
	s_lshl_b64 s[0:1], s[0:1], 1
	v_mul_f32_e32 v10, 0x45800000, v0
	v_cndmask_b32_e32 v10, v0, v10, vcc
	v_mov_b32_e32 v11, v10
	;;#ASMSTART
	v_pk_mul_f32 v[12:13], v[18:19], v[10:11]
	;;#ASMEND
	;;#ASMSTART
	v_pk_mul_f32 v[14:15], v[32:33], v[10:11]
	;;#ASMEND
	;; [unrolled: 3-line block ×8, first 2 shown]
	s_waitcnt vmcnt(1)
	v_cvt_f32_f16_sdwa v21, v6 dst_sel:DWORD dst_unused:UNUSED_PAD src0_sel:WORD_1
	v_cvt_f32_f16_e32 v20, v6
	v_cvt_f32_f16_sdwa v29, v7 dst_sel:DWORD dst_unused:UNUSED_PAD src0_sel:WORD_1
	v_cvt_f32_f16_e32 v28, v7
	;; [unrolled: 2-line block ×4, first 2 shown]
	;;#ASMSTART
	v_pk_mul_f32 v[8:9], v[12:13], v[20:21]
	;;#ASMEND
	;;#ASMSTART
	v_pk_mul_f32 v[12:13], v[14:15], v[28:29]
	;;#ASMEND
	;; [unrolled: 3-line block ×4, first 2 shown]
	s_waitcnt vmcnt(0)
	v_cvt_f32_f16_sdwa v17, v2 dst_sel:DWORD dst_unused:UNUSED_PAD src0_sel:WORD_1
	v_cvt_f32_f16_e32 v16, v2
	v_cvt_f32_f16_sdwa v19, v3 dst_sel:DWORD dst_unused:UNUSED_PAD src0_sel:WORD_1
	v_cvt_f32_f16_e32 v18, v3
	;; [unrolled: 2-line block ×4, first 2 shown]
	;;#ASMSTART
	v_pk_mul_f32 v[16:17], v[26:27], v[16:17]
	;;#ASMEND
	;;#ASMSTART
	v_pk_mul_f32 v[18:19], v[24:25], v[18:19]
	;;#ASMEND
	;; [unrolled: 3-line block ×3, first 2 shown]
	v_cvt_f16_f32_e32 v0, v8
	v_cvt_f16_f32_e32 v2, v9
	;; [unrolled: 1-line block ×8, first 2 shown]
	s_add_u32 s8, s14, s0
	s_addc_u32 s0, s15, s1
	s_and_b32 s9, s0, 0xffff
	v_pack_b32_f16 v2, v0, v2
	v_pack_b32_f16 v3, v3, v4
	;; [unrolled: 1-line block ×4, first 2 shown]
	;;#ASMSTART
	v_pk_mul_f32 v[10:11], v[10:11], v[20:21]
	;;#ASMEND
	buffer_store_dwordx4 v[2:5], v1, s[8:11], 0 offen
	v_cvt_f16_f32_e32 v0, v16
	v_cvt_f16_f32_e32 v2, v17
	;; [unrolled: 1-line block ×8, first 2 shown]
	v_pack_b32_f16 v2, v0, v2
	v_pack_b32_f16 v3, v3, v4
	;; [unrolled: 1-line block ×4, first 2 shown]
	;;#ASMSTART
	s_nop 0
	;;#ASMEND
	buffer_store_dwordx4 v[2:5], v1, s[8:11], 16 offen
	;;#ASMSTART
	s_nop 0
	;;#ASMEND
	s_endpgm
	.section	.rodata,"a",@progbits
	.p2align	6, 0x0
	.amdhsa_kernel _ZN5aiter35fused_qk_rmsnorm_group_quant_kernelIDF16_DB8_Li128ELi16ELi2ELb0ELb1ELb0ELb1ELb0ELb0EEEvPT0_PvPT_S6_S6_PKS5_S8_S8_S8_S8_ffiiiiiiiiiiiii
		.amdhsa_group_segment_fixed_size 16
		.amdhsa_private_segment_fixed_size 0
		.amdhsa_kernarg_size 400
		.amdhsa_user_sgpr_count 6
		.amdhsa_user_sgpr_private_segment_buffer 1
		.amdhsa_user_sgpr_dispatch_ptr 0
		.amdhsa_user_sgpr_queue_ptr 0
		.amdhsa_user_sgpr_kernarg_segment_ptr 1
		.amdhsa_user_sgpr_dispatch_id 0
		.amdhsa_user_sgpr_flat_scratch_init 0
		.amdhsa_user_sgpr_kernarg_preload_length 0
		.amdhsa_user_sgpr_kernarg_preload_offset 0
		.amdhsa_user_sgpr_private_segment_size 0
		.amdhsa_uses_dynamic_stack 0
		.amdhsa_system_sgpr_private_segment_wavefront_offset 0
		.amdhsa_system_sgpr_workgroup_id_x 1
		.amdhsa_system_sgpr_workgroup_id_y 1
		.amdhsa_system_sgpr_workgroup_id_z 0
		.amdhsa_system_sgpr_workgroup_info 0
		.amdhsa_system_vgpr_workitem_id 0
		.amdhsa_next_free_vgpr 35
		.amdhsa_next_free_sgpr 32
		.amdhsa_accum_offset 36
		.amdhsa_reserve_vcc 1
		.amdhsa_reserve_flat_scratch 0
		.amdhsa_float_round_mode_32 0
		.amdhsa_float_round_mode_16_64 0
		.amdhsa_float_denorm_mode_32 3
		.amdhsa_float_denorm_mode_16_64 3
		.amdhsa_dx10_clamp 1
		.amdhsa_ieee_mode 1
		.amdhsa_fp16_overflow 0
		.amdhsa_tg_split 0
		.amdhsa_exception_fp_ieee_invalid_op 0
		.amdhsa_exception_fp_denorm_src 0
		.amdhsa_exception_fp_ieee_div_zero 0
		.amdhsa_exception_fp_ieee_overflow 0
		.amdhsa_exception_fp_ieee_underflow 0
		.amdhsa_exception_fp_ieee_inexact 0
		.amdhsa_exception_int_div_zero 0
	.end_amdhsa_kernel
	.section	.text._ZN5aiter35fused_qk_rmsnorm_group_quant_kernelIDF16_DB8_Li128ELi16ELi2ELb0ELb1ELb0ELb1ELb0ELb0EEEvPT0_PvPT_S6_S6_PKS5_S8_S8_S8_S8_ffiiiiiiiiiiiii,"axG",@progbits,_ZN5aiter35fused_qk_rmsnorm_group_quant_kernelIDF16_DB8_Li128ELi16ELi2ELb0ELb1ELb0ELb1ELb0ELb0EEEvPT0_PvPT_S6_S6_PKS5_S8_S8_S8_S8_ffiiiiiiiiiiiii,comdat
.Lfunc_end709:
	.size	_ZN5aiter35fused_qk_rmsnorm_group_quant_kernelIDF16_DB8_Li128ELi16ELi2ELb0ELb1ELb0ELb1ELb0ELb0EEEvPT0_PvPT_S6_S6_PKS5_S8_S8_S8_S8_ffiiiiiiiiiiiii, .Lfunc_end709-_ZN5aiter35fused_qk_rmsnorm_group_quant_kernelIDF16_DB8_Li128ELi16ELi2ELb0ELb1ELb0ELb1ELb0ELb0EEEvPT0_PvPT_S6_S6_PKS5_S8_S8_S8_S8_ffiiiiiiiiiiiii
                                        ; -- End function
	.section	.AMDGPU.csdata,"",@progbits
; Kernel info:
; codeLenInByte = 2808
; NumSgprs: 36
; NumVgprs: 35
; NumAgprs: 0
; TotalNumVgprs: 35
; ScratchSize: 0
; MemoryBound: 0
; FloatMode: 240
; IeeeMode: 1
; LDSByteSize: 16 bytes/workgroup (compile time only)
; SGPRBlocks: 4
; VGPRBlocks: 4
; NumSGPRsForWavesPerEU: 36
; NumVGPRsForWavesPerEU: 35
; AccumOffset: 36
; Occupancy: 8
; WaveLimiterHint : 0
; COMPUTE_PGM_RSRC2:SCRATCH_EN: 0
; COMPUTE_PGM_RSRC2:USER_SGPR: 6
; COMPUTE_PGM_RSRC2:TRAP_HANDLER: 0
; COMPUTE_PGM_RSRC2:TGID_X_EN: 1
; COMPUTE_PGM_RSRC2:TGID_Y_EN: 1
; COMPUTE_PGM_RSRC2:TGID_Z_EN: 0
; COMPUTE_PGM_RSRC2:TIDIG_COMP_CNT: 0
; COMPUTE_PGM_RSRC3_GFX90A:ACCUM_OFFSET: 8
; COMPUTE_PGM_RSRC3_GFX90A:TG_SPLIT: 0
	.section	.text._ZN5aiter35fused_qk_rmsnorm_group_quant_kernelItDB8_Li128ELi16ELi2ELb0ELb1ELb0ELb1ELb0ELb0EEEvPT0_PvPT_S6_S6_PKS5_S8_S8_S8_S8_ffiiiiiiiiiiiii,"axG",@progbits,_ZN5aiter35fused_qk_rmsnorm_group_quant_kernelItDB8_Li128ELi16ELi2ELb0ELb1ELb0ELb1ELb0ELb0EEEvPT0_PvPT_S6_S6_PKS5_S8_S8_S8_S8_ffiiiiiiiiiiiii,comdat
	.protected	_ZN5aiter35fused_qk_rmsnorm_group_quant_kernelItDB8_Li128ELi16ELi2ELb0ELb1ELb0ELb1ELb0ELb0EEEvPT0_PvPT_S6_S6_PKS5_S8_S8_S8_S8_ffiiiiiiiiiiiii ; -- Begin function _ZN5aiter35fused_qk_rmsnorm_group_quant_kernelItDB8_Li128ELi16ELi2ELb0ELb1ELb0ELb1ELb0ELb0EEEvPT0_PvPT_S6_S6_PKS5_S8_S8_S8_S8_ffiiiiiiiiiiiii
	.globl	_ZN5aiter35fused_qk_rmsnorm_group_quant_kernelItDB8_Li128ELi16ELi2ELb0ELb1ELb0ELb1ELb0ELb0EEEvPT0_PvPT_S6_S6_PKS5_S8_S8_S8_S8_ffiiiiiiiiiiiii
	.p2align	8
	.type	_ZN5aiter35fused_qk_rmsnorm_group_quant_kernelItDB8_Li128ELi16ELi2ELb0ELb1ELb0ELb1ELb0ELb0EEEvPT0_PvPT_S6_S6_PKS5_S8_S8_S8_S8_ffiiiiiiiiiiiii,@function
_ZN5aiter35fused_qk_rmsnorm_group_quant_kernelItDB8_Li128ELi16ELi2ELb0ELb1ELb0ELb1ELb0ELb0EEEvPT0_PvPT_S6_S6_PKS5_S8_S8_S8_S8_ffiiiiiiiiiiiii: ; @_ZN5aiter35fused_qk_rmsnorm_group_quant_kernelItDB8_Li128ELi16ELi2ELb0ELb1ELb0ELb1ELb0ELb0EEEvPT0_PvPT_S6_S6_PKS5_S8_S8_S8_S8_ffiiiiiiiiiiiii
; %bb.0:
	s_load_dwordx4 s[12:15], s[4:5], 0x50
	s_waitcnt lgkmcnt(0)
	s_cmp_ge_i32 s6, s14
	s_cbranch_scc1 .LBB710_12
; %bb.1:
	s_load_dwordx2 s[24:25], s[4:5], 0x30
	s_load_dwordx2 s[8:9], s[4:5], 0x48
	s_load_dwordx4 s[16:19], s[4:5], 0x60
	s_cmp_lg_u32 s7, 0
	s_cselect_b64 s[10:11], -1, 0
	s_cmp_eq_u32 s7, 0
	s_cselect_b64 vcc, -1, 0
	s_and_b64 s[0:1], vcc, exec
	s_waitcnt lgkmcnt(0)
	s_cselect_b32 s7, s15, s16
	s_add_i32 s0, s7, 1
	s_lshr_b32 s1, s0, 31
	s_add_i32 s0, s0, s1
	s_lshl_b32 s0, s0, 1
	v_lshlrev_b32_e32 v1, 4, v0
	s_and_b32 s22, s0, -4
	v_cmp_gt_i32_e64 s[2:3], s7, v1
	v_mov_b32_e32 v18, 0
	v_mov_b32_e32 v6, 0
	v_mov_b32_e32 v7, 0
	v_mov_b32_e32 v8, 0
	v_mov_b32_e32 v9, 0
	v_mov_b32_e32 v2, 0
	v_mov_b32_e32 v3, 0
	v_mov_b32_e32 v4, 0
	v_mov_b32_e32 v5, 0
	v_mov_b32_e32 v14, 0
	v_mov_b32_e32 v15, 0
	v_mov_b32_e32 v16, 0
	v_mov_b32_e32 v17, 0
	v_mov_b32_e32 v10, 0
	v_mov_b32_e32 v11, 0
	v_mov_b32_e32 v12, 0
	v_mov_b32_e32 v13, 0
	s_and_saveexec_b64 s[0:1], s[2:3]
	s_cbranch_execz .LBB710_3
; %bb.2:
	s_load_dwordx2 s[14:15], s[4:5], 0x28
	s_load_dwordx2 s[20:21], s[4:5], 0x40
	s_and_b64 s[26:27], vcc, exec
	s_cselect_b32 s17, s17, s18
	s_mov_b32 s30, s22
	s_waitcnt lgkmcnt(0)
	s_cselect_b32 s19, s15, s25
	s_cselect_b32 s23, s14, s24
	s_mul_hi_i32 s15, s17, s6
	s_mul_i32 s14, s17, s6
	s_lshl_b64 s[14:15], s[14:15], 1
	s_add_u32 s28, s23, s14
	s_addc_u32 s17, s19, s15
	s_and_b64 s[14:15], vcc, exec
	s_mov_b32 s23, 0x20000
	s_cselect_b32 s20, s20, s8
	s_cselect_b32 s14, s21, s9
	s_and_b32 s29, s17, 0xffff
	s_mov_b32 s31, s23
	v_lshlrev_b32_e32 v19, 5, v0
	s_and_b32 s21, s14, 0xffff
	buffer_load_dwordx4 v[14:17], v19, s[28:31], 0 offen
	buffer_load_dwordx4 v[10:13], v19, s[28:31], 16 offen
	;; [unrolled: 1-line block ×4, first 2 shown]
.LBB710_3:
	s_or_b64 exec, exec, s[0:1]
	v_mov_b32_e32 v19, 0
	v_mov_b32_e32 v20, 0
	;; [unrolled: 1-line block ×15, first 2 shown]
	s_and_saveexec_b64 s[0:1], s[2:3]
	s_cbranch_execz .LBB710_5
; %bb.4:
	s_waitcnt vmcnt(3)
	v_cvt_f32_u32_sdwa v18, v14 dst_sel:DWORD dst_unused:UNUSED_PAD src0_sel:WORD_0
	v_cvt_f32_u32_sdwa v19, v14 dst_sel:DWORD dst_unused:UNUSED_PAD src0_sel:WORD_1
	v_cvt_f32_u32_sdwa v20, v15 dst_sel:DWORD dst_unused:UNUSED_PAD src0_sel:WORD_0
	v_cvt_f32_u32_sdwa v21, v15 dst_sel:DWORD dst_unused:UNUSED_PAD src0_sel:WORD_1
	;; [unrolled: 2-line block ×4, first 2 shown]
	s_waitcnt vmcnt(2)
	v_cvt_f32_u32_sdwa v26, v10 dst_sel:DWORD dst_unused:UNUSED_PAD src0_sel:WORD_0
	v_cvt_f32_u32_sdwa v27, v10 dst_sel:DWORD dst_unused:UNUSED_PAD src0_sel:WORD_1
	v_cvt_f32_u32_sdwa v28, v11 dst_sel:DWORD dst_unused:UNUSED_PAD src0_sel:WORD_0
	v_cvt_f32_u32_sdwa v29, v11 dst_sel:DWORD dst_unused:UNUSED_PAD src0_sel:WORD_1
	;; [unrolled: 2-line block ×4, first 2 shown]
.LBB710_5:
	s_or_b64 exec, exec, s[0:1]
	s_waitcnt vmcnt(2)
	v_mul_f32_e32 v10, v19, v19
	v_fmac_f32_e32 v10, v18, v18
	v_fmac_f32_e32 v10, v20, v20
	v_fmac_f32_e32 v10, v21, v21
	v_fmac_f32_e32 v10, v22, v22
	v_fmac_f32_e32 v10, v23, v23
	v_fmac_f32_e32 v10, v24, v24
	v_fmac_f32_e32 v10, v25, v25
	v_fmac_f32_e32 v10, v26, v26
	v_fmac_f32_e32 v10, v27, v27
	v_fmac_f32_e32 v10, v28, v28
	v_fmac_f32_e32 v10, v29, v29
	v_fmac_f32_e32 v10, v30, v30
	v_fmac_f32_e32 v10, v31, v31
	v_fmac_f32_e32 v10, v32, v32
	v_fmac_f32_e32 v10, v33, v33
	v_and_b32_e32 v12, 63, v0
	v_cmp_eq_u32_e64 s[0:1], 63, v12
	v_mov_b32_dpp v11, v10 quad_perm:[1,0,3,2] row_mask:0xf bank_mask:0xf
	v_add_f32_e32 v10, v10, v11
	s_nop 1
	v_mov_b32_dpp v11, v10 quad_perm:[2,3,0,1] row_mask:0xf bank_mask:0xf
	v_add_f32_e32 v10, v10, v11
	s_nop 1
	v_mov_b32_dpp v11, v10 row_half_mirror row_mask:0xf bank_mask:0xf
	v_add_f32_e32 v10, v10, v11
	s_nop 1
	v_mov_b32_dpp v11, v10 row_mirror row_mask:0xf bank_mask:0xf
	v_add_f32_e32 v10, v10, v11
	s_nop 1
	v_mov_b32_dpp v11, v10 row_bcast:15 row_mask:0xf bank_mask:0xf
	v_add_f32_e32 v10, v10, v11
	s_nop 1
	v_mov_b32_dpp v11, v10 row_bcast:31 row_mask:0xf bank_mask:0xf
	s_and_saveexec_b64 s[14:15], s[0:1]
	s_cbranch_execz .LBB710_7
; %bb.6:
	v_add_f32_e32 v10, v10, v11
	v_lshrrev_b32_e32 v11, 4, v0
	v_and_b32_e32 v11, 60, v11
	ds_write_b32 v11, v10 offset:8
.LBB710_7:
	s_or_b64 exec, exec, s[14:15]
	v_and_b32_e32 v10, 1, v0
	v_lshlrev_b32_e32 v34, 2, v10
	s_waitcnt lgkmcnt(0)
	s_barrier
	ds_read_b32 v10, v34 offset:8
	s_load_dwordx2 s[14:15], s[4:5], 0x18
	s_waitcnt lgkmcnt(0)
	v_mov_b32_dpp v11, v10 quad_perm:[1,0,3,2] row_mask:0xf bank_mask:0xf
	s_and_saveexec_b64 s[20:21], s[2:3]
	s_cbranch_execz .LBB710_9
; %bb.8:
	v_cvt_f32_u32_e32 v12, s7
	v_add_f32_e32 v10, v10, v11
	v_mov_b32_e32 v14, s13
	v_mov_b32_e32 v15, s12
	v_div_scale_f32 v11, s[26:27], v12, v12, v10
	v_rcp_f32_e32 v13, v11
	v_cndmask_b32_e32 v14, v14, v15, vcc
	s_mov_b32 s7, 0x800000
	v_fma_f32 v15, -v11, v13, 1.0
	v_fmac_f32_e32 v13, v15, v13
	v_div_scale_f32 v15, vcc, v10, v12, v10
	v_mul_f32_e32 v16, v15, v13
	v_fma_f32 v17, -v11, v16, v15
	v_fmac_f32_e32 v16, v17, v13
	v_fma_f32 v11, -v11, v16, v15
	v_div_fmas_f32 v11, v11, v13, v16
	v_div_fixup_f32 v10, v11, v12, v10
	v_add_f32_e32 v10, v14, v10
	v_mul_f32_e32 v11, 0x4b800000, v10
	v_cmp_gt_f32_e32 vcc, s7, v10
	v_cndmask_b32_e32 v10, v10, v11, vcc
	v_rsq_f32_e32 v10, v10
	v_mul_f32_e32 v11, 0x45800000, v10
	v_cndmask_b32_e32 v10, v10, v11, vcc
	v_mov_b32_e32 v11, v10
	;;#ASMSTART
	v_pk_mul_f32 v[12:13], v[18:19], v[10:11]
	;;#ASMEND
	;;#ASMSTART
	v_pk_mul_f32 v[14:15], v[20:21], v[10:11]
	;;#ASMEND
	;; [unrolled: 3-line block ×8, first 2 shown]
	s_waitcnt vmcnt(1)
	v_cvt_f32_u32_sdwa v19, v6 dst_sel:DWORD dst_unused:UNUSED_PAD src0_sel:WORD_1
	v_cvt_f32_u32_sdwa v18, v6 dst_sel:DWORD dst_unused:UNUSED_PAD src0_sel:WORD_0
	v_cvt_f32_u32_sdwa v21, v7 dst_sel:DWORD dst_unused:UNUSED_PAD src0_sel:WORD_1
	v_cvt_f32_u32_sdwa v20, v7 dst_sel:DWORD dst_unused:UNUSED_PAD src0_sel:WORD_0
	;; [unrolled: 2-line block ×4, first 2 shown]
	;;#ASMSTART
	v_pk_mul_f32 v[18:19], v[12:13], v[18:19]
	;;#ASMEND
	;;#ASMSTART
	v_pk_mul_f32 v[20:21], v[14:15], v[20:21]
	;;#ASMEND
	;; [unrolled: 3-line block ×4, first 2 shown]
	s_waitcnt vmcnt(0)
	v_cvt_f32_u32_sdwa v7, v2 dst_sel:DWORD dst_unused:UNUSED_PAD src0_sel:WORD_1
	v_cvt_f32_u32_sdwa v6, v2 dst_sel:DWORD dst_unused:UNUSED_PAD src0_sel:WORD_0
	v_cvt_f32_u32_sdwa v9, v3 dst_sel:DWORD dst_unused:UNUSED_PAD src0_sel:WORD_1
	v_cvt_f32_u32_sdwa v8, v3 dst_sel:DWORD dst_unused:UNUSED_PAD src0_sel:WORD_0
	;; [unrolled: 2-line block ×4, first 2 shown]
	;;#ASMSTART
	v_pk_mul_f32 v[26:27], v[26:27], v[6:7]
	;;#ASMEND
	;;#ASMSTART
	v_pk_mul_f32 v[28:29], v[28:29], v[8:9]
	;;#ASMEND
	;; [unrolled: 3-line block ×4, first 2 shown]
.LBB710_9:
	s_or_b64 exec, exec, s[20:21]
	s_load_dwordx2 s[26:27], s[4:5], 0x7c
	s_mov_b64 s[20:21], -1
	s_and_b64 vcc, exec, s[10:11]
	s_cbranch_vccnz .LBB710_13
; %bb.10:
	s_andn2_b64 vcc, exec, s[20:21]
	s_cbranch_vccz .LBB710_16
.LBB710_11:
	s_cmp_lt_i32 s16, 1
	s_cbranch_scc0 .LBB710_19
.LBB710_12:
	s_endpgm
.LBB710_13:
	s_and_saveexec_b64 s[10:11], s[2:3]
	s_cbranch_execz .LBB710_15
; %bb.14:
	s_waitcnt lgkmcnt(0)
	s_mul_hi_i32 s21, s27, s6
	s_mul_i32 s20, s27, s6
	s_lshl_b64 s[20:21], s[20:21], 1
	s_add_u32 s20, s14, s20
	s_addc_u32 s7, s15, s21
	s_and_b32 s21, s7, 0xffff
	s_mov_b32 s7, 0x7060302
	s_mov_b32 s23, 0x20000
	s_waitcnt vmcnt(0)
	v_perm_b32 v5, v25, v24, s7
	v_perm_b32 v4, v23, v22, s7
	;; [unrolled: 1-line block ×4, first 2 shown]
	v_lshlrev_b32_e32 v6, 5, v0
	buffer_store_dwordx4 v[2:5], v6, s[20:23], 0 offen
	;;#ASMSTART
	s_nop 0
	;;#ASMEND
	s_nop 0
	v_perm_b32 v5, v33, v32, s7
	v_perm_b32 v4, v31, v30, s7
	v_perm_b32 v3, v29, v28, s7
	v_perm_b32 v2, v27, v26, s7
	buffer_store_dwordx4 v[2:5], v6, s[20:23], 16 offen
	;;#ASMSTART
	s_nop 0
	;;#ASMEND
.LBB710_15:
	s_or_b64 exec, exec, s[10:11]
	s_cbranch_execnz .LBB710_11
.LBB710_16:
	s_and_saveexec_b64 s[10:11], s[2:3]
	s_cbranch_execz .LBB710_18
; %bb.17:
	s_load_dwordx2 s[2:3], s[4:5], 0x10
	s_waitcnt lgkmcnt(0)
	s_mul_hi_i32 s21, s26, s6
	s_mul_i32 s20, s26, s6
	s_lshl_b64 s[20:21], s[20:21], 1
	s_mov_b32 s23, 0x20000
	s_add_u32 s20, s2, s20
	s_addc_u32 s2, s3, s21
	s_and_b32 s21, s2, 0xffff
	s_mov_b32 s2, 0x7060302
	s_waitcnt vmcnt(0)
	v_perm_b32 v5, v25, v24, s2
	v_perm_b32 v4, v23, v22, s2
	;; [unrolled: 1-line block ×4, first 2 shown]
	v_lshlrev_b32_e32 v6, 5, v0
	buffer_store_dwordx4 v[2:5], v6, s[20:23], 0 offen
	;;#ASMSTART
	s_nop 0
	;;#ASMEND
	s_nop 0
	v_perm_b32 v5, v33, v32, s2
	v_perm_b32 v4, v31, v30, s2
	;; [unrolled: 1-line block ×4, first 2 shown]
	buffer_store_dwordx4 v[2:5], v6, s[20:23], 16 offen
	;;#ASMSTART
	s_nop 0
	;;#ASMEND
.LBB710_18:
	s_or_b64 exec, exec, s[10:11]
	s_cmp_lt_i32 s16, 1
	s_cbranch_scc1 .LBB710_12
.LBB710_19:
	s_load_dword s2, s[4:5], 0x94
	s_waitcnt lgkmcnt(0)
	s_cmp_lg_u32 s2, 1
	s_cbranch_scc1 .LBB710_12
; %bb.20:
	s_lshl_b32 s2, s16, 1
	s_add_i32 s2, s2, 2
	v_cmp_gt_u32_e32 vcc, s16, v1
	s_and_b32 s10, s2, -4
	v_mov_b32_e32 v18, 0
	v_lshlrev_b32_e32 v1, 5, v0
	v_mov_b32_e32 v14, 0
	v_mov_b32_e32 v15, 0
	v_mov_b32_e32 v16, 0
	v_mov_b32_e32 v17, 0
	v_mov_b32_e32 v10, 0
	v_mov_b32_e32 v11, 0
	v_mov_b32_e32 v12, 0
	v_mov_b32_e32 v13, 0
	s_waitcnt vmcnt(1)
	v_mov_b32_e32 v6, 0
	v_mov_b32_e32 v7, 0
	;; [unrolled: 1-line block ×4, first 2 shown]
	s_waitcnt vmcnt(0)
	v_mov_b32_e32 v2, 0
	v_mov_b32_e32 v3, 0
	;; [unrolled: 1-line block ×4, first 2 shown]
	s_barrier
	s_and_saveexec_b64 s[2:3], vcc
	s_cbranch_execz .LBB710_22
; %bb.21:
	s_mul_hi_i32 s5, s18, s6
	s_mul_i32 s4, s18, s6
	s_and_b32 s9, s9, 0xffff
	s_lshl_b64 s[4:5], s[4:5], 1
	s_add_u32 s20, s24, s4
	s_mov_b32 s11, 0x20000
	s_addc_u32 s4, s25, s5
	s_and_b32 s21, s4, 0xffff
	s_mov_b32 s22, s10
	s_mov_b32 s23, s11
	buffer_load_dwordx4 v[14:17], v1, s[20:23], 0 offen
	buffer_load_dwordx4 v[10:13], v1, s[20:23], 16 offen
	;; [unrolled: 1-line block ×4, first 2 shown]
.LBB710_22:
	s_or_b64 exec, exec, s[2:3]
	v_mov_b32_e32 v19, 0
	v_mov_b32_e32 v32, 0
	v_mov_b32_e32 v33, 0
	v_mov_b32_e32 v30, 0
	v_mov_b32_e32 v31, 0
	v_mov_b32_e32 v28, 0
	v_mov_b32_e32 v29, 0
	v_mov_b32_e32 v26, 0
	v_mov_b32_e32 v27, 0
	v_mov_b32_e32 v24, 0
	v_mov_b32_e32 v25, 0
	v_mov_b32_e32 v22, 0
	v_mov_b32_e32 v23, 0
	v_mov_b32_e32 v20, 0
	v_mov_b32_e32 v21, 0
	s_and_saveexec_b64 s[2:3], vcc
	s_cbranch_execz .LBB710_24
; %bb.23:
	s_waitcnt vmcnt(3)
	v_cvt_f32_u32_sdwa v18, v14 dst_sel:DWORD dst_unused:UNUSED_PAD src0_sel:WORD_0
	v_cvt_f32_u32_sdwa v19, v14 dst_sel:DWORD dst_unused:UNUSED_PAD src0_sel:WORD_1
	v_cvt_f32_u32_sdwa v32, v15 dst_sel:DWORD dst_unused:UNUSED_PAD src0_sel:WORD_0
	v_cvt_f32_u32_sdwa v33, v15 dst_sel:DWORD dst_unused:UNUSED_PAD src0_sel:WORD_1
	;; [unrolled: 2-line block ×4, first 2 shown]
	s_waitcnt vmcnt(2)
	v_cvt_f32_u32_sdwa v26, v10 dst_sel:DWORD dst_unused:UNUSED_PAD src0_sel:WORD_0
	v_cvt_f32_u32_sdwa v27, v10 dst_sel:DWORD dst_unused:UNUSED_PAD src0_sel:WORD_1
	v_cvt_f32_u32_sdwa v24, v11 dst_sel:DWORD dst_unused:UNUSED_PAD src0_sel:WORD_0
	v_cvt_f32_u32_sdwa v25, v11 dst_sel:DWORD dst_unused:UNUSED_PAD src0_sel:WORD_1
	;; [unrolled: 2-line block ×4, first 2 shown]
.LBB710_24:
	s_or_b64 exec, exec, s[2:3]
	s_waitcnt vmcnt(2)
	v_mul_f32_e32 v10, v19, v19
	v_fmac_f32_e32 v10, v18, v18
	v_fmac_f32_e32 v10, v32, v32
	;; [unrolled: 1-line block ×15, first 2 shown]
	s_nop 1
	v_mov_b32_dpp v11, v10 quad_perm:[1,0,3,2] row_mask:0xf bank_mask:0xf
	v_add_f32_e32 v10, v10, v11
	s_nop 1
	v_mov_b32_dpp v11, v10 quad_perm:[2,3,0,1] row_mask:0xf bank_mask:0xf
	v_add_f32_e32 v10, v10, v11
	s_nop 1
	v_mov_b32_dpp v11, v10 row_half_mirror row_mask:0xf bank_mask:0xf
	v_add_f32_e32 v10, v10, v11
	s_nop 1
	v_mov_b32_dpp v11, v10 row_mirror row_mask:0xf bank_mask:0xf
	v_add_f32_e32 v10, v10, v11
	s_nop 1
	v_mov_b32_dpp v11, v10 row_bcast:15 row_mask:0xf bank_mask:0xf
	v_add_f32_e32 v10, v10, v11
	s_nop 1
	v_mov_b32_dpp v11, v10 row_bcast:31 row_mask:0xf bank_mask:0xf
	s_and_saveexec_b64 s[2:3], s[0:1]
	s_cbranch_execz .LBB710_26
; %bb.25:
	v_lshrrev_b32_e32 v0, 4, v0
	v_add_f32_e32 v10, v10, v11
	v_and_b32_e32 v0, 60, v0
	ds_write_b32 v0, v10
.LBB710_26:
	s_or_b64 exec, exec, s[2:3]
	s_waitcnt lgkmcnt(0)
	s_barrier
	ds_read_b32 v0, v34
	s_waitcnt lgkmcnt(0)
	s_nop 0
	v_mov_b32_dpp v10, v0 quad_perm:[1,0,3,2] row_mask:0xf bank_mask:0xf
	s_and_saveexec_b64 s[0:1], vcc
	s_cbranch_execz .LBB710_12
; %bb.27:
	v_cvt_f32_u32_e32 v11, s16
	v_add_f32_e32 v0, v0, v10
	s_mov_b32 s11, 0x20000
	v_div_scale_f32 v10, s[0:1], v11, v11, v0
	v_rcp_f32_e32 v12, v10
	v_div_scale_f32 v13, vcc, v0, v11, v0
	s_mov_b32 s0, 0x800000
	v_fma_f32 v14, -v10, v12, 1.0
	v_fmac_f32_e32 v12, v14, v12
	v_mul_f32_e32 v14, v13, v12
	v_fma_f32 v15, -v10, v14, v13
	v_fmac_f32_e32 v14, v15, v12
	v_fma_f32 v10, -v10, v14, v13
	v_div_fmas_f32 v10, v10, v12, v14
	v_div_fixup_f32 v0, v10, v11, v0
	v_add_f32_e32 v0, s13, v0
	v_mul_f32_e32 v10, 0x4b800000, v0
	v_cmp_gt_f32_e32 vcc, s0, v0
	v_cndmask_b32_e32 v0, v0, v10, vcc
	v_rsq_f32_e32 v0, v0
	s_mul_hi_i32 s1, s27, s6
	s_mul_i32 s0, s27, s6
	s_lshl_b64 s[0:1], s[0:1], 1
	v_mul_f32_e32 v10, 0x45800000, v0
	v_cndmask_b32_e32 v10, v0, v10, vcc
	v_mov_b32_e32 v11, v10
	s_add_u32 s8, s14, s0
	;;#ASMSTART
	v_pk_mul_f32 v[12:13], v[18:19], v[10:11]
	;;#ASMEND
	;;#ASMSTART
	v_pk_mul_f32 v[14:15], v[32:33], v[10:11]
	;;#ASMEND
	;; [unrolled: 3-line block ×8, first 2 shown]
	s_waitcnt vmcnt(1)
	v_cvt_f32_u32_sdwa v21, v6 dst_sel:DWORD dst_unused:UNUSED_PAD src0_sel:WORD_1
	v_cvt_f32_u32_sdwa v20, v6 dst_sel:DWORD dst_unused:UNUSED_PAD src0_sel:WORD_0
	v_cvt_f32_u32_sdwa v29, v7 dst_sel:DWORD dst_unused:UNUSED_PAD src0_sel:WORD_1
	v_cvt_f32_u32_sdwa v28, v7 dst_sel:DWORD dst_unused:UNUSED_PAD src0_sel:WORD_0
	;; [unrolled: 2-line block ×3, first 2 shown]
	s_addc_u32 s0, s15, s1
	v_cvt_f32_u32_sdwa v31, v9 dst_sel:DWORD dst_unused:UNUSED_PAD src0_sel:WORD_1
	v_cvt_f32_u32_sdwa v30, v9 dst_sel:DWORD dst_unused:UNUSED_PAD src0_sel:WORD_0
	;;#ASMSTART
	v_pk_mul_f32 v[8:9], v[12:13], v[20:21]
	;;#ASMEND
	;;#ASMSTART
	v_pk_mul_f32 v[12:13], v[14:15], v[28:29]
	;;#ASMEND
	;; [unrolled: 3-line block ×4, first 2 shown]
	s_waitcnt vmcnt(0)
	v_cvt_f32_u32_sdwa v17, v2 dst_sel:DWORD dst_unused:UNUSED_PAD src0_sel:WORD_1
	v_cvt_f32_u32_sdwa v16, v2 dst_sel:DWORD dst_unused:UNUSED_PAD src0_sel:WORD_0
	v_cvt_f32_u32_sdwa v19, v3 dst_sel:DWORD dst_unused:UNUSED_PAD src0_sel:WORD_1
	v_cvt_f32_u32_sdwa v18, v3 dst_sel:DWORD dst_unused:UNUSED_PAD src0_sel:WORD_0
	;; [unrolled: 2-line block ×3, first 2 shown]
	s_and_b32 s9, s0, 0xffff
	s_mov_b32 s0, 0x7060302
	v_cvt_f32_u32_sdwa v21, v5 dst_sel:DWORD dst_unused:UNUSED_PAD src0_sel:WORD_1
	v_cvt_f32_u32_sdwa v20, v5 dst_sel:DWORD dst_unused:UNUSED_PAD src0_sel:WORD_0
	;;#ASMSTART
	v_pk_mul_f32 v[16:17], v[26:27], v[16:17]
	;;#ASMEND
	;;#ASMSTART
	v_pk_mul_f32 v[18:19], v[24:25], v[18:19]
	;;#ASMEND
	;; [unrolled: 3-line block ×3, first 2 shown]
	v_perm_b32 v2, v9, v8, s0
	v_perm_b32 v3, v13, v12, s0
	;; [unrolled: 1-line block ×4, first 2 shown]
	;;#ASMSTART
	v_pk_mul_f32 v[10:11], v[10:11], v[20:21]
	;;#ASMEND
	buffer_store_dwordx4 v[2:5], v1, s[8:11], 0 offen
	;;#ASMSTART
	s_nop 0
	;;#ASMEND
	s_nop 0
	v_perm_b32 v2, v17, v16, s0
	v_perm_b32 v3, v19, v18, s0
	;; [unrolled: 1-line block ×4, first 2 shown]
	buffer_store_dwordx4 v[2:5], v1, s[8:11], 16 offen
	;;#ASMSTART
	s_nop 0
	;;#ASMEND
	s_endpgm
	.section	.rodata,"a",@progbits
	.p2align	6, 0x0
	.amdhsa_kernel _ZN5aiter35fused_qk_rmsnorm_group_quant_kernelItDB8_Li128ELi16ELi2ELb0ELb1ELb0ELb1ELb0ELb0EEEvPT0_PvPT_S6_S6_PKS5_S8_S8_S8_S8_ffiiiiiiiiiiiii
		.amdhsa_group_segment_fixed_size 16
		.amdhsa_private_segment_fixed_size 0
		.amdhsa_kernarg_size 400
		.amdhsa_user_sgpr_count 6
		.amdhsa_user_sgpr_private_segment_buffer 1
		.amdhsa_user_sgpr_dispatch_ptr 0
		.amdhsa_user_sgpr_queue_ptr 0
		.amdhsa_user_sgpr_kernarg_segment_ptr 1
		.amdhsa_user_sgpr_dispatch_id 0
		.amdhsa_user_sgpr_flat_scratch_init 0
		.amdhsa_user_sgpr_kernarg_preload_length 0
		.amdhsa_user_sgpr_kernarg_preload_offset 0
		.amdhsa_user_sgpr_private_segment_size 0
		.amdhsa_uses_dynamic_stack 0
		.amdhsa_system_sgpr_private_segment_wavefront_offset 0
		.amdhsa_system_sgpr_workgroup_id_x 1
		.amdhsa_system_sgpr_workgroup_id_y 1
		.amdhsa_system_sgpr_workgroup_id_z 0
		.amdhsa_system_sgpr_workgroup_info 0
		.amdhsa_system_vgpr_workitem_id 0
		.amdhsa_next_free_vgpr 35
		.amdhsa_next_free_sgpr 32
		.amdhsa_accum_offset 36
		.amdhsa_reserve_vcc 1
		.amdhsa_reserve_flat_scratch 0
		.amdhsa_float_round_mode_32 0
		.amdhsa_float_round_mode_16_64 0
		.amdhsa_float_denorm_mode_32 3
		.amdhsa_float_denorm_mode_16_64 3
		.amdhsa_dx10_clamp 1
		.amdhsa_ieee_mode 1
		.amdhsa_fp16_overflow 0
		.amdhsa_tg_split 0
		.amdhsa_exception_fp_ieee_invalid_op 0
		.amdhsa_exception_fp_denorm_src 0
		.amdhsa_exception_fp_ieee_div_zero 0
		.amdhsa_exception_fp_ieee_overflow 0
		.amdhsa_exception_fp_ieee_underflow 0
		.amdhsa_exception_fp_ieee_inexact 0
		.amdhsa_exception_int_div_zero 0
	.end_amdhsa_kernel
	.section	.text._ZN5aiter35fused_qk_rmsnorm_group_quant_kernelItDB8_Li128ELi16ELi2ELb0ELb1ELb0ELb1ELb0ELb0EEEvPT0_PvPT_S6_S6_PKS5_S8_S8_S8_S8_ffiiiiiiiiiiiii,"axG",@progbits,_ZN5aiter35fused_qk_rmsnorm_group_quant_kernelItDB8_Li128ELi16ELi2ELb0ELb1ELb0ELb1ELb0ELb0EEEvPT0_PvPT_S6_S6_PKS5_S8_S8_S8_S8_ffiiiiiiiiiiiii,comdat
.Lfunc_end710:
	.size	_ZN5aiter35fused_qk_rmsnorm_group_quant_kernelItDB8_Li128ELi16ELi2ELb0ELb1ELb0ELb1ELb0ELb0EEEvPT0_PvPT_S6_S6_PKS5_S8_S8_S8_S8_ffiiiiiiiiiiiii, .Lfunc_end710-_ZN5aiter35fused_qk_rmsnorm_group_quant_kernelItDB8_Li128ELi16ELi2ELb0ELb1ELb0ELb1ELb0ELb0EEEvPT0_PvPT_S6_S6_PKS5_S8_S8_S8_S8_ffiiiiiiiiiiiii
                                        ; -- End function
	.section	.AMDGPU.csdata,"",@progbits
; Kernel info:
; codeLenInByte = 2780
; NumSgprs: 36
; NumVgprs: 35
; NumAgprs: 0
; TotalNumVgprs: 35
; ScratchSize: 0
; MemoryBound: 0
; FloatMode: 240
; IeeeMode: 1
; LDSByteSize: 16 bytes/workgroup (compile time only)
; SGPRBlocks: 4
; VGPRBlocks: 4
; NumSGPRsForWavesPerEU: 36
; NumVGPRsForWavesPerEU: 35
; AccumOffset: 36
; Occupancy: 8
; WaveLimiterHint : 0
; COMPUTE_PGM_RSRC2:SCRATCH_EN: 0
; COMPUTE_PGM_RSRC2:USER_SGPR: 6
; COMPUTE_PGM_RSRC2:TRAP_HANDLER: 0
; COMPUTE_PGM_RSRC2:TGID_X_EN: 1
; COMPUTE_PGM_RSRC2:TGID_Y_EN: 1
; COMPUTE_PGM_RSRC2:TGID_Z_EN: 0
; COMPUTE_PGM_RSRC2:TIDIG_COMP_CNT: 0
; COMPUTE_PGM_RSRC3_GFX90A:ACCUM_OFFSET: 8
; COMPUTE_PGM_RSRC3_GFX90A:TG_SPLIT: 0
	.section	.text._ZN5aiter35fused_qk_rmsnorm_group_quant_kernelIDF16_N4opus5fp4_tELi128ELi16ELi2ELb0ELb1ELb0ELb1ELb0ELb0EEEvPT0_PvPT_S7_S7_PKS6_S9_S9_S9_S9_ffiiiiiiiiiiiii,"axG",@progbits,_ZN5aiter35fused_qk_rmsnorm_group_quant_kernelIDF16_N4opus5fp4_tELi128ELi16ELi2ELb0ELb1ELb0ELb1ELb0ELb0EEEvPT0_PvPT_S7_S7_PKS6_S9_S9_S9_S9_ffiiiiiiiiiiiii,comdat
	.protected	_ZN5aiter35fused_qk_rmsnorm_group_quant_kernelIDF16_N4opus5fp4_tELi128ELi16ELi2ELb0ELb1ELb0ELb1ELb0ELb0EEEvPT0_PvPT_S7_S7_PKS6_S9_S9_S9_S9_ffiiiiiiiiiiiii ; -- Begin function _ZN5aiter35fused_qk_rmsnorm_group_quant_kernelIDF16_N4opus5fp4_tELi128ELi16ELi2ELb0ELb1ELb0ELb1ELb0ELb0EEEvPT0_PvPT_S7_S7_PKS6_S9_S9_S9_S9_ffiiiiiiiiiiiii
	.globl	_ZN5aiter35fused_qk_rmsnorm_group_quant_kernelIDF16_N4opus5fp4_tELi128ELi16ELi2ELb0ELb1ELb0ELb1ELb0ELb0EEEvPT0_PvPT_S7_S7_PKS6_S9_S9_S9_S9_ffiiiiiiiiiiiii
	.p2align	8
	.type	_ZN5aiter35fused_qk_rmsnorm_group_quant_kernelIDF16_N4opus5fp4_tELi128ELi16ELi2ELb0ELb1ELb0ELb1ELb0ELb0EEEvPT0_PvPT_S7_S7_PKS6_S9_S9_S9_S9_ffiiiiiiiiiiiii,@function
_ZN5aiter35fused_qk_rmsnorm_group_quant_kernelIDF16_N4opus5fp4_tELi128ELi16ELi2ELb0ELb1ELb0ELb1ELb0ELb0EEEvPT0_PvPT_S7_S7_PKS6_S9_S9_S9_S9_ffiiiiiiiiiiiii: ; @_ZN5aiter35fused_qk_rmsnorm_group_quant_kernelIDF16_N4opus5fp4_tELi128ELi16ELi2ELb0ELb1ELb0ELb1ELb0ELb0EEEvPT0_PvPT_S7_S7_PKS6_S9_S9_S9_S9_ffiiiiiiiiiiiii
; %bb.0:
	s_load_dwordx4 s[12:15], s[4:5], 0x50
	s_waitcnt lgkmcnt(0)
	s_cmp_ge_i32 s6, s14
	s_cbranch_scc1 .LBB711_12
; %bb.1:
	s_load_dwordx2 s[24:25], s[4:5], 0x30
	s_load_dwordx2 s[8:9], s[4:5], 0x48
	s_load_dwordx4 s[16:19], s[4:5], 0x60
	s_cmp_lg_u32 s7, 0
	s_cselect_b64 s[10:11], -1, 0
	s_cmp_eq_u32 s7, 0
	s_cselect_b64 vcc, -1, 0
	s_and_b64 s[0:1], vcc, exec
	s_waitcnt lgkmcnt(0)
	s_cselect_b32 s7, s15, s16
	s_add_i32 s0, s7, 1
	s_lshr_b32 s1, s0, 31
	s_add_i32 s0, s0, s1
	s_lshl_b32 s0, s0, 1
	v_lshlrev_b32_e32 v1, 4, v0
	s_and_b32 s22, s0, -4
	v_cmp_gt_i32_e64 s[2:3], s7, v1
	v_mov_b32_e32 v18, 0
	v_mov_b32_e32 v6, 0
	;; [unrolled: 1-line block ×17, first 2 shown]
	s_and_saveexec_b64 s[0:1], s[2:3]
	s_cbranch_execz .LBB711_3
; %bb.2:
	s_load_dwordx2 s[14:15], s[4:5], 0x28
	s_load_dwordx2 s[20:21], s[4:5], 0x40
	s_and_b64 s[26:27], vcc, exec
	s_cselect_b32 s17, s17, s18
	s_mov_b32 s30, s22
	s_waitcnt lgkmcnt(0)
	s_cselect_b32 s19, s15, s25
	s_cselect_b32 s23, s14, s24
	s_mul_hi_i32 s15, s17, s6
	s_mul_i32 s14, s17, s6
	s_lshl_b64 s[14:15], s[14:15], 1
	s_add_u32 s28, s23, s14
	s_addc_u32 s17, s19, s15
	s_and_b64 s[14:15], vcc, exec
	s_mov_b32 s23, 0x20000
	s_cselect_b32 s20, s20, s8
	s_cselect_b32 s14, s21, s9
	s_and_b32 s29, s17, 0xffff
	s_mov_b32 s31, s23
	v_lshlrev_b32_e32 v19, 5, v0
	s_and_b32 s21, s14, 0xffff
	buffer_load_dwordx4 v[14:17], v19, s[28:31], 0 offen
	buffer_load_dwordx4 v[10:13], v19, s[28:31], 16 offen
	;; [unrolled: 1-line block ×4, first 2 shown]
.LBB711_3:
	s_or_b64 exec, exec, s[0:1]
	v_mov_b32_e32 v19, 0
	v_mov_b32_e32 v20, 0
	;; [unrolled: 1-line block ×15, first 2 shown]
	s_and_saveexec_b64 s[0:1], s[2:3]
	s_cbranch_execz .LBB711_5
; %bb.4:
	s_waitcnt vmcnt(3)
	v_cvt_f32_f16_sdwa v19, v14 dst_sel:DWORD dst_unused:UNUSED_PAD src0_sel:WORD_1
	v_cvt_f32_f16_e32 v18, v14
	v_cvt_f32_f16_sdwa v21, v15 dst_sel:DWORD dst_unused:UNUSED_PAD src0_sel:WORD_1
	v_cvt_f32_f16_e32 v20, v15
	;; [unrolled: 2-line block ×4, first 2 shown]
	s_waitcnt vmcnt(2)
	v_cvt_f32_f16_sdwa v25, v10 dst_sel:DWORD dst_unused:UNUSED_PAD src0_sel:WORD_1
	v_cvt_f32_f16_e32 v24, v10
	v_cvt_f32_f16_sdwa v29, v11 dst_sel:DWORD dst_unused:UNUSED_PAD src0_sel:WORD_1
	v_cvt_f32_f16_e32 v28, v11
	v_cvt_f32_f16_sdwa v31, v12 dst_sel:DWORD dst_unused:UNUSED_PAD src0_sel:WORD_1
	v_cvt_f32_f16_e32 v30, v12
	v_cvt_f32_f16_sdwa v33, v13 dst_sel:DWORD dst_unused:UNUSED_PAD src0_sel:WORD_1
	v_cvt_f32_f16_e32 v32, v13
.LBB711_5:
	s_or_b64 exec, exec, s[0:1]
	s_waitcnt vmcnt(2)
	v_mul_f32_e32 v10, v19, v19
	v_fmac_f32_e32 v10, v18, v18
	v_fmac_f32_e32 v10, v20, v20
	;; [unrolled: 1-line block ×15, first 2 shown]
	v_and_b32_e32 v12, 63, v0
	v_cmp_eq_u32_e64 s[0:1], 63, v12
	v_mov_b32_dpp v11, v10 quad_perm:[1,0,3,2] row_mask:0xf bank_mask:0xf
	v_add_f32_e32 v10, v10, v11
	s_nop 1
	v_mov_b32_dpp v11, v10 quad_perm:[2,3,0,1] row_mask:0xf bank_mask:0xf
	v_add_f32_e32 v10, v10, v11
	s_nop 1
	v_mov_b32_dpp v11, v10 row_half_mirror row_mask:0xf bank_mask:0xf
	v_add_f32_e32 v10, v10, v11
	s_nop 1
	v_mov_b32_dpp v11, v10 row_mirror row_mask:0xf bank_mask:0xf
	v_add_f32_e32 v10, v10, v11
	s_nop 1
	v_mov_b32_dpp v11, v10 row_bcast:15 row_mask:0xf bank_mask:0xf
	v_add_f32_e32 v10, v10, v11
	s_nop 1
	v_mov_b32_dpp v11, v10 row_bcast:31 row_mask:0xf bank_mask:0xf
	s_and_saveexec_b64 s[14:15], s[0:1]
	s_cbranch_execz .LBB711_7
; %bb.6:
	v_add_f32_e32 v10, v10, v11
	v_lshrrev_b32_e32 v11, 4, v0
	v_and_b32_e32 v11, 60, v11
	ds_write_b32 v11, v10 offset:8
.LBB711_7:
	s_or_b64 exec, exec, s[14:15]
	v_and_b32_e32 v10, 1, v0
	v_lshlrev_b32_e32 v34, 2, v10
	s_waitcnt lgkmcnt(0)
	s_barrier
	ds_read_b32 v10, v34 offset:8
	s_load_dwordx2 s[14:15], s[4:5], 0x18
	s_waitcnt lgkmcnt(0)
	v_mov_b32_dpp v11, v10 quad_perm:[1,0,3,2] row_mask:0xf bank_mask:0xf
	s_and_saveexec_b64 s[20:21], s[2:3]
	s_cbranch_execz .LBB711_9
; %bb.8:
	v_cvt_f32_u32_e32 v12, s7
	v_add_f32_e32 v10, v10, v11
	v_mov_b32_e32 v14, s13
	v_mov_b32_e32 v15, s12
	v_div_scale_f32 v11, s[26:27], v12, v12, v10
	v_rcp_f32_e32 v13, v11
	v_cndmask_b32_e32 v14, v14, v15, vcc
	s_mov_b32 s7, 0x800000
	v_fma_f32 v15, -v11, v13, 1.0
	v_fmac_f32_e32 v13, v15, v13
	v_div_scale_f32 v15, vcc, v10, v12, v10
	v_mul_f32_e32 v16, v15, v13
	v_fma_f32 v17, -v11, v16, v15
	v_fmac_f32_e32 v16, v17, v13
	v_fma_f32 v11, -v11, v16, v15
	v_div_fmas_f32 v11, v11, v13, v16
	v_div_fixup_f32 v10, v11, v12, v10
	v_add_f32_e32 v10, v14, v10
	v_mul_f32_e32 v11, 0x4b800000, v10
	v_cmp_gt_f32_e32 vcc, s7, v10
	v_cndmask_b32_e32 v10, v10, v11, vcc
	v_rsq_f32_e32 v10, v10
	v_mul_f32_e32 v11, 0x45800000, v10
	v_cndmask_b32_e32 v10, v10, v11, vcc
	v_mov_b32_e32 v11, v10
	;;#ASMSTART
	v_pk_mul_f32 v[12:13], v[18:19], v[10:11]
	;;#ASMEND
	;;#ASMSTART
	v_pk_mul_f32 v[14:15], v[20:21], v[10:11]
	;;#ASMEND
	;; [unrolled: 3-line block ×8, first 2 shown]
	s_waitcnt vmcnt(1)
	v_cvt_f32_f16_sdwa v19, v6 dst_sel:DWORD dst_unused:UNUSED_PAD src0_sel:WORD_1
	v_cvt_f32_f16_e32 v18, v6
	v_cvt_f32_f16_sdwa v21, v7 dst_sel:DWORD dst_unused:UNUSED_PAD src0_sel:WORD_1
	v_cvt_f32_f16_e32 v20, v7
	;; [unrolled: 2-line block ×4, first 2 shown]
	;;#ASMSTART
	v_pk_mul_f32 v[18:19], v[12:13], v[18:19]
	;;#ASMEND
	;;#ASMSTART
	v_pk_mul_f32 v[20:21], v[14:15], v[20:21]
	;;#ASMEND
	;; [unrolled: 3-line block ×4, first 2 shown]
	s_waitcnt vmcnt(0)
	v_cvt_f32_f16_sdwa v7, v2 dst_sel:DWORD dst_unused:UNUSED_PAD src0_sel:WORD_1
	v_cvt_f32_f16_e32 v6, v2
	v_cvt_f32_f16_sdwa v9, v3 dst_sel:DWORD dst_unused:UNUSED_PAD src0_sel:WORD_1
	v_cvt_f32_f16_e32 v8, v3
	;; [unrolled: 2-line block ×4, first 2 shown]
	;;#ASMSTART
	v_pk_mul_f32 v[24:25], v[24:25], v[6:7]
	;;#ASMEND
	;;#ASMSTART
	v_pk_mul_f32 v[28:29], v[28:29], v[8:9]
	;;#ASMEND
	;; [unrolled: 3-line block ×4, first 2 shown]
.LBB711_9:
	s_or_b64 exec, exec, s[20:21]
	s_load_dwordx2 s[26:27], s[4:5], 0x7c
	s_mov_b64 s[20:21], -1
	s_and_b64 vcc, exec, s[10:11]
	s_cbranch_vccnz .LBB711_13
; %bb.10:
	s_andn2_b64 vcc, exec, s[20:21]
	s_cbranch_vccz .LBB711_16
.LBB711_11:
	s_cmp_lt_i32 s16, 1
	s_cbranch_scc0 .LBB711_19
.LBB711_12:
	s_endpgm
.LBB711_13:
	s_and_saveexec_b64 s[10:11], s[2:3]
	s_cbranch_execz .LBB711_15
; %bb.14:
	s_waitcnt lgkmcnt(0)
	s_mul_hi_i32 s21, s27, s6
	s_mul_i32 s20, s27, s6
	s_waitcnt vmcnt(0)
	v_cvt_f16_f32_e32 v2, v18
	v_cvt_f16_f32_e32 v3, v20
	;; [unrolled: 1-line block ×8, first 2 shown]
	s_lshl_b64 s[20:21], s[20:21], 1
	s_add_u32 s20, s14, s20
	s_addc_u32 s7, s15, s21
	s_and_b32 s21, s7, 0xffff
	s_mov_b32 s23, 0x20000
	v_pack_b32_f16 v5, v5, v6
	v_pack_b32_f16 v4, v4, v7
	;; [unrolled: 1-line block ×4, first 2 shown]
	v_lshlrev_b32_e32 v6, 5, v0
	buffer_store_dwordx4 v[2:5], v6, s[20:23], 0 offen
	v_cvt_f16_f32_e32 v7, v33
	v_cvt_f16_f32_e32 v2, v24
	;; [unrolled: 1-line block ×8, first 2 shown]
	v_pack_b32_f16 v5, v5, v7
	v_pack_b32_f16 v4, v4, v8
	;; [unrolled: 1-line block ×4, first 2 shown]
	;;#ASMSTART
	s_nop 0
	;;#ASMEND
	buffer_store_dwordx4 v[2:5], v6, s[20:23], 16 offen
	;;#ASMSTART
	s_nop 0
	;;#ASMEND
.LBB711_15:
	s_or_b64 exec, exec, s[10:11]
	s_cbranch_execnz .LBB711_11
.LBB711_16:
	s_and_saveexec_b64 s[10:11], s[2:3]
	s_cbranch_execz .LBB711_18
; %bb.17:
	s_load_dwordx2 s[2:3], s[4:5], 0x10
	s_waitcnt lgkmcnt(0)
	s_mul_hi_i32 s21, s26, s6
	s_mul_i32 s20, s26, s6
	s_waitcnt vmcnt(0)
	v_cvt_f16_f32_e32 v2, v18
	v_cvt_f16_f32_e32 v3, v20
	;; [unrolled: 1-line block ×8, first 2 shown]
	s_lshl_b64 s[20:21], s[20:21], 1
	s_add_u32 s20, s2, s20
	s_addc_u32 s2, s3, s21
	s_mov_b32 s23, 0x20000
	s_and_b32 s21, s2, 0xffff
	v_pack_b32_f16 v5, v5, v6
	v_pack_b32_f16 v4, v4, v7
	;; [unrolled: 1-line block ×4, first 2 shown]
	v_lshlrev_b32_e32 v6, 5, v0
	buffer_store_dwordx4 v[2:5], v6, s[20:23], 0 offen
	v_cvt_f16_f32_e32 v7, v33
	v_cvt_f16_f32_e32 v2, v24
	;; [unrolled: 1-line block ×8, first 2 shown]
	v_pack_b32_f16 v5, v5, v7
	v_pack_b32_f16 v4, v4, v8
	;; [unrolled: 1-line block ×4, first 2 shown]
	;;#ASMSTART
	s_nop 0
	;;#ASMEND
	buffer_store_dwordx4 v[2:5], v6, s[20:23], 16 offen
	;;#ASMSTART
	s_nop 0
	;;#ASMEND
.LBB711_18:
	s_or_b64 exec, exec, s[10:11]
	s_cmp_lt_i32 s16, 1
	s_cbranch_scc1 .LBB711_12
.LBB711_19:
	s_load_dword s2, s[4:5], 0x94
	s_waitcnt lgkmcnt(0)
	s_cmp_lg_u32 s2, 1
	s_cbranch_scc1 .LBB711_12
; %bb.20:
	s_lshl_b32 s2, s16, 1
	s_add_i32 s2, s2, 2
	v_cmp_gt_u32_e32 vcc, s16, v1
	s_and_b32 s10, s2, -4
	v_mov_b32_e32 v18, 0
	v_lshlrev_b32_e32 v1, 5, v0
	v_mov_b32_e32 v14, 0
	v_mov_b32_e32 v15, 0
	;; [unrolled: 1-line block ×8, first 2 shown]
	s_waitcnt vmcnt(1)
	v_mov_b32_e32 v6, 0
	v_mov_b32_e32 v7, 0
	;; [unrolled: 1-line block ×4, first 2 shown]
	s_waitcnt vmcnt(0)
	v_mov_b32_e32 v2, 0
	v_mov_b32_e32 v3, 0
	;; [unrolled: 1-line block ×4, first 2 shown]
	s_barrier
	s_and_saveexec_b64 s[2:3], vcc
	s_cbranch_execz .LBB711_22
; %bb.21:
	s_mul_hi_i32 s5, s18, s6
	s_mul_i32 s4, s18, s6
	s_and_b32 s9, s9, 0xffff
	s_lshl_b64 s[4:5], s[4:5], 1
	s_add_u32 s20, s24, s4
	s_mov_b32 s11, 0x20000
	s_addc_u32 s4, s25, s5
	s_and_b32 s21, s4, 0xffff
	s_mov_b32 s22, s10
	s_mov_b32 s23, s11
	buffer_load_dwordx4 v[14:17], v1, s[20:23], 0 offen
	buffer_load_dwordx4 v[10:13], v1, s[20:23], 16 offen
	;; [unrolled: 1-line block ×4, first 2 shown]
.LBB711_22:
	s_or_b64 exec, exec, s[2:3]
	v_mov_b32_e32 v19, 0
	v_mov_b32_e32 v32, 0
	;; [unrolled: 1-line block ×15, first 2 shown]
	s_and_saveexec_b64 s[2:3], vcc
	s_cbranch_execz .LBB711_24
; %bb.23:
	s_waitcnt vmcnt(3)
	v_cvt_f32_f16_sdwa v19, v14 dst_sel:DWORD dst_unused:UNUSED_PAD src0_sel:WORD_1
	v_cvt_f32_f16_e32 v18, v14
	v_cvt_f32_f16_sdwa v33, v15 dst_sel:DWORD dst_unused:UNUSED_PAD src0_sel:WORD_1
	v_cvt_f32_f16_e32 v32, v15
	;; [unrolled: 2-line block ×4, first 2 shown]
	s_waitcnt vmcnt(2)
	v_cvt_f32_f16_sdwa v27, v10 dst_sel:DWORD dst_unused:UNUSED_PAD src0_sel:WORD_1
	v_cvt_f32_f16_e32 v26, v10
	v_cvt_f32_f16_sdwa v25, v11 dst_sel:DWORD dst_unused:UNUSED_PAD src0_sel:WORD_1
	v_cvt_f32_f16_e32 v24, v11
	;; [unrolled: 2-line block ×4, first 2 shown]
.LBB711_24:
	s_or_b64 exec, exec, s[2:3]
	s_waitcnt vmcnt(2)
	v_mul_f32_e32 v10, v19, v19
	v_fmac_f32_e32 v10, v18, v18
	v_fmac_f32_e32 v10, v32, v32
	;; [unrolled: 1-line block ×15, first 2 shown]
	s_nop 1
	v_mov_b32_dpp v11, v10 quad_perm:[1,0,3,2] row_mask:0xf bank_mask:0xf
	v_add_f32_e32 v10, v10, v11
	s_nop 1
	v_mov_b32_dpp v11, v10 quad_perm:[2,3,0,1] row_mask:0xf bank_mask:0xf
	v_add_f32_e32 v10, v10, v11
	s_nop 1
	v_mov_b32_dpp v11, v10 row_half_mirror row_mask:0xf bank_mask:0xf
	v_add_f32_e32 v10, v10, v11
	s_nop 1
	v_mov_b32_dpp v11, v10 row_mirror row_mask:0xf bank_mask:0xf
	v_add_f32_e32 v10, v10, v11
	s_nop 1
	v_mov_b32_dpp v11, v10 row_bcast:15 row_mask:0xf bank_mask:0xf
	v_add_f32_e32 v10, v10, v11
	s_nop 1
	v_mov_b32_dpp v11, v10 row_bcast:31 row_mask:0xf bank_mask:0xf
	s_and_saveexec_b64 s[2:3], s[0:1]
	s_cbranch_execz .LBB711_26
; %bb.25:
	v_lshrrev_b32_e32 v0, 4, v0
	v_add_f32_e32 v10, v10, v11
	v_and_b32_e32 v0, 60, v0
	ds_write_b32 v0, v10
.LBB711_26:
	s_or_b64 exec, exec, s[2:3]
	s_waitcnt lgkmcnt(0)
	s_barrier
	ds_read_b32 v0, v34
	s_waitcnt lgkmcnt(0)
	s_nop 0
	v_mov_b32_dpp v10, v0 quad_perm:[1,0,3,2] row_mask:0xf bank_mask:0xf
	s_and_saveexec_b64 s[0:1], vcc
	s_cbranch_execz .LBB711_12
; %bb.27:
	v_cvt_f32_u32_e32 v11, s16
	v_add_f32_e32 v0, v0, v10
	s_mov_b32 s11, 0x20000
	v_div_scale_f32 v10, s[0:1], v11, v11, v0
	v_rcp_f32_e32 v12, v10
	v_div_scale_f32 v13, vcc, v0, v11, v0
	s_mov_b32 s0, 0x800000
	v_fma_f32 v14, -v10, v12, 1.0
	v_fmac_f32_e32 v12, v14, v12
	v_mul_f32_e32 v14, v13, v12
	v_fma_f32 v15, -v10, v14, v13
	v_fmac_f32_e32 v14, v15, v12
	v_fma_f32 v10, -v10, v14, v13
	v_div_fmas_f32 v10, v10, v12, v14
	v_div_fixup_f32 v0, v10, v11, v0
	v_add_f32_e32 v0, s13, v0
	v_mul_f32_e32 v10, 0x4b800000, v0
	v_cmp_gt_f32_e32 vcc, s0, v0
	v_cndmask_b32_e32 v0, v0, v10, vcc
	v_rsq_f32_e32 v0, v0
	s_mul_hi_i32 s1, s27, s6
	s_mul_i32 s0, s27, s6
	s_lshl_b64 s[0:1], s[0:1], 1
	v_mul_f32_e32 v10, 0x45800000, v0
	v_cndmask_b32_e32 v10, v0, v10, vcc
	v_mov_b32_e32 v11, v10
	;;#ASMSTART
	v_pk_mul_f32 v[12:13], v[18:19], v[10:11]
	;;#ASMEND
	;;#ASMSTART
	v_pk_mul_f32 v[14:15], v[32:33], v[10:11]
	;;#ASMEND
	;; [unrolled: 3-line block ×8, first 2 shown]
	s_waitcnt vmcnt(1)
	v_cvt_f32_f16_sdwa v21, v6 dst_sel:DWORD dst_unused:UNUSED_PAD src0_sel:WORD_1
	v_cvt_f32_f16_e32 v20, v6
	v_cvt_f32_f16_sdwa v29, v7 dst_sel:DWORD dst_unused:UNUSED_PAD src0_sel:WORD_1
	v_cvt_f32_f16_e32 v28, v7
	;; [unrolled: 2-line block ×4, first 2 shown]
	;;#ASMSTART
	v_pk_mul_f32 v[8:9], v[12:13], v[20:21]
	;;#ASMEND
	;;#ASMSTART
	v_pk_mul_f32 v[12:13], v[14:15], v[28:29]
	;;#ASMEND
	;; [unrolled: 3-line block ×4, first 2 shown]
	s_waitcnt vmcnt(0)
	v_cvt_f32_f16_sdwa v17, v2 dst_sel:DWORD dst_unused:UNUSED_PAD src0_sel:WORD_1
	v_cvt_f32_f16_e32 v16, v2
	v_cvt_f32_f16_sdwa v19, v3 dst_sel:DWORD dst_unused:UNUSED_PAD src0_sel:WORD_1
	v_cvt_f32_f16_e32 v18, v3
	;; [unrolled: 2-line block ×4, first 2 shown]
	;;#ASMSTART
	v_pk_mul_f32 v[16:17], v[26:27], v[16:17]
	;;#ASMEND
	;;#ASMSTART
	v_pk_mul_f32 v[18:19], v[24:25], v[18:19]
	;;#ASMEND
	;;#ASMSTART
	v_pk_mul_f32 v[22:23], v[22:23], v[2:3]
	;;#ASMEND
	v_cvt_f16_f32_e32 v0, v8
	v_cvt_f16_f32_e32 v2, v9
	;; [unrolled: 1-line block ×8, first 2 shown]
	s_add_u32 s8, s14, s0
	s_addc_u32 s0, s15, s1
	s_and_b32 s9, s0, 0xffff
	v_pack_b32_f16 v2, v0, v2
	v_pack_b32_f16 v3, v3, v4
	v_pack_b32_f16 v4, v5, v6
	v_pack_b32_f16 v5, v7, v8
	;;#ASMSTART
	v_pk_mul_f32 v[10:11], v[10:11], v[20:21]
	;;#ASMEND
	buffer_store_dwordx4 v[2:5], v1, s[8:11], 0 offen
	v_cvt_f16_f32_e32 v0, v16
	v_cvt_f16_f32_e32 v2, v17
	;; [unrolled: 1-line block ×8, first 2 shown]
	v_pack_b32_f16 v2, v0, v2
	v_pack_b32_f16 v3, v3, v4
	;; [unrolled: 1-line block ×4, first 2 shown]
	;;#ASMSTART
	s_nop 0
	;;#ASMEND
	buffer_store_dwordx4 v[2:5], v1, s[8:11], 16 offen
	;;#ASMSTART
	s_nop 0
	;;#ASMEND
	s_endpgm
	.section	.rodata,"a",@progbits
	.p2align	6, 0x0
	.amdhsa_kernel _ZN5aiter35fused_qk_rmsnorm_group_quant_kernelIDF16_N4opus5fp4_tELi128ELi16ELi2ELb0ELb1ELb0ELb1ELb0ELb0EEEvPT0_PvPT_S7_S7_PKS6_S9_S9_S9_S9_ffiiiiiiiiiiiii
		.amdhsa_group_segment_fixed_size 16
		.amdhsa_private_segment_fixed_size 0
		.amdhsa_kernarg_size 400
		.amdhsa_user_sgpr_count 6
		.amdhsa_user_sgpr_private_segment_buffer 1
		.amdhsa_user_sgpr_dispatch_ptr 0
		.amdhsa_user_sgpr_queue_ptr 0
		.amdhsa_user_sgpr_kernarg_segment_ptr 1
		.amdhsa_user_sgpr_dispatch_id 0
		.amdhsa_user_sgpr_flat_scratch_init 0
		.amdhsa_user_sgpr_kernarg_preload_length 0
		.amdhsa_user_sgpr_kernarg_preload_offset 0
		.amdhsa_user_sgpr_private_segment_size 0
		.amdhsa_uses_dynamic_stack 0
		.amdhsa_system_sgpr_private_segment_wavefront_offset 0
		.amdhsa_system_sgpr_workgroup_id_x 1
		.amdhsa_system_sgpr_workgroup_id_y 1
		.amdhsa_system_sgpr_workgroup_id_z 0
		.amdhsa_system_sgpr_workgroup_info 0
		.amdhsa_system_vgpr_workitem_id 0
		.amdhsa_next_free_vgpr 35
		.amdhsa_next_free_sgpr 32
		.amdhsa_accum_offset 36
		.amdhsa_reserve_vcc 1
		.amdhsa_reserve_flat_scratch 0
		.amdhsa_float_round_mode_32 0
		.amdhsa_float_round_mode_16_64 0
		.amdhsa_float_denorm_mode_32 3
		.amdhsa_float_denorm_mode_16_64 3
		.amdhsa_dx10_clamp 1
		.amdhsa_ieee_mode 1
		.amdhsa_fp16_overflow 0
		.amdhsa_tg_split 0
		.amdhsa_exception_fp_ieee_invalid_op 0
		.amdhsa_exception_fp_denorm_src 0
		.amdhsa_exception_fp_ieee_div_zero 0
		.amdhsa_exception_fp_ieee_overflow 0
		.amdhsa_exception_fp_ieee_underflow 0
		.amdhsa_exception_fp_ieee_inexact 0
		.amdhsa_exception_int_div_zero 0
	.end_amdhsa_kernel
	.section	.text._ZN5aiter35fused_qk_rmsnorm_group_quant_kernelIDF16_N4opus5fp4_tELi128ELi16ELi2ELb0ELb1ELb0ELb1ELb0ELb0EEEvPT0_PvPT_S7_S7_PKS6_S9_S9_S9_S9_ffiiiiiiiiiiiii,"axG",@progbits,_ZN5aiter35fused_qk_rmsnorm_group_quant_kernelIDF16_N4opus5fp4_tELi128ELi16ELi2ELb0ELb1ELb0ELb1ELb0ELb0EEEvPT0_PvPT_S7_S7_PKS6_S9_S9_S9_S9_ffiiiiiiiiiiiii,comdat
.Lfunc_end711:
	.size	_ZN5aiter35fused_qk_rmsnorm_group_quant_kernelIDF16_N4opus5fp4_tELi128ELi16ELi2ELb0ELb1ELb0ELb1ELb0ELb0EEEvPT0_PvPT_S7_S7_PKS6_S9_S9_S9_S9_ffiiiiiiiiiiiii, .Lfunc_end711-_ZN5aiter35fused_qk_rmsnorm_group_quant_kernelIDF16_N4opus5fp4_tELi128ELi16ELi2ELb0ELb1ELb0ELb1ELb0ELb0EEEvPT0_PvPT_S7_S7_PKS6_S9_S9_S9_S9_ffiiiiiiiiiiiii
                                        ; -- End function
	.section	.AMDGPU.csdata,"",@progbits
; Kernel info:
; codeLenInByte = 2808
; NumSgprs: 36
; NumVgprs: 35
; NumAgprs: 0
; TotalNumVgprs: 35
; ScratchSize: 0
; MemoryBound: 0
; FloatMode: 240
; IeeeMode: 1
; LDSByteSize: 16 bytes/workgroup (compile time only)
; SGPRBlocks: 4
; VGPRBlocks: 4
; NumSGPRsForWavesPerEU: 36
; NumVGPRsForWavesPerEU: 35
; AccumOffset: 36
; Occupancy: 8
; WaveLimiterHint : 0
; COMPUTE_PGM_RSRC2:SCRATCH_EN: 0
; COMPUTE_PGM_RSRC2:USER_SGPR: 6
; COMPUTE_PGM_RSRC2:TRAP_HANDLER: 0
; COMPUTE_PGM_RSRC2:TGID_X_EN: 1
; COMPUTE_PGM_RSRC2:TGID_Y_EN: 1
; COMPUTE_PGM_RSRC2:TGID_Z_EN: 0
; COMPUTE_PGM_RSRC2:TIDIG_COMP_CNT: 0
; COMPUTE_PGM_RSRC3_GFX90A:ACCUM_OFFSET: 8
; COMPUTE_PGM_RSRC3_GFX90A:TG_SPLIT: 0
	.section	.text._ZN5aiter35fused_qk_rmsnorm_group_quant_kernelItN4opus5fp4_tELi128ELi16ELi2ELb0ELb1ELb0ELb1ELb0ELb0EEEvPT0_PvPT_S7_S7_PKS6_S9_S9_S9_S9_ffiiiiiiiiiiiii,"axG",@progbits,_ZN5aiter35fused_qk_rmsnorm_group_quant_kernelItN4opus5fp4_tELi128ELi16ELi2ELb0ELb1ELb0ELb1ELb0ELb0EEEvPT0_PvPT_S7_S7_PKS6_S9_S9_S9_S9_ffiiiiiiiiiiiii,comdat
	.protected	_ZN5aiter35fused_qk_rmsnorm_group_quant_kernelItN4opus5fp4_tELi128ELi16ELi2ELb0ELb1ELb0ELb1ELb0ELb0EEEvPT0_PvPT_S7_S7_PKS6_S9_S9_S9_S9_ffiiiiiiiiiiiii ; -- Begin function _ZN5aiter35fused_qk_rmsnorm_group_quant_kernelItN4opus5fp4_tELi128ELi16ELi2ELb0ELb1ELb0ELb1ELb0ELb0EEEvPT0_PvPT_S7_S7_PKS6_S9_S9_S9_S9_ffiiiiiiiiiiiii
	.globl	_ZN5aiter35fused_qk_rmsnorm_group_quant_kernelItN4opus5fp4_tELi128ELi16ELi2ELb0ELb1ELb0ELb1ELb0ELb0EEEvPT0_PvPT_S7_S7_PKS6_S9_S9_S9_S9_ffiiiiiiiiiiiii
	.p2align	8
	.type	_ZN5aiter35fused_qk_rmsnorm_group_quant_kernelItN4opus5fp4_tELi128ELi16ELi2ELb0ELb1ELb0ELb1ELb0ELb0EEEvPT0_PvPT_S7_S7_PKS6_S9_S9_S9_S9_ffiiiiiiiiiiiii,@function
_ZN5aiter35fused_qk_rmsnorm_group_quant_kernelItN4opus5fp4_tELi128ELi16ELi2ELb0ELb1ELb0ELb1ELb0ELb0EEEvPT0_PvPT_S7_S7_PKS6_S9_S9_S9_S9_ffiiiiiiiiiiiii: ; @_ZN5aiter35fused_qk_rmsnorm_group_quant_kernelItN4opus5fp4_tELi128ELi16ELi2ELb0ELb1ELb0ELb1ELb0ELb0EEEvPT0_PvPT_S7_S7_PKS6_S9_S9_S9_S9_ffiiiiiiiiiiiii
; %bb.0:
	s_load_dwordx4 s[12:15], s[4:5], 0x50
	s_waitcnt lgkmcnt(0)
	s_cmp_ge_i32 s6, s14
	s_cbranch_scc1 .LBB712_12
; %bb.1:
	s_load_dwordx2 s[24:25], s[4:5], 0x30
	s_load_dwordx2 s[8:9], s[4:5], 0x48
	s_load_dwordx4 s[16:19], s[4:5], 0x60
	s_cmp_lg_u32 s7, 0
	s_cselect_b64 s[10:11], -1, 0
	s_cmp_eq_u32 s7, 0
	s_cselect_b64 vcc, -1, 0
	s_and_b64 s[0:1], vcc, exec
	s_waitcnt lgkmcnt(0)
	s_cselect_b32 s7, s15, s16
	s_add_i32 s0, s7, 1
	s_lshr_b32 s1, s0, 31
	s_add_i32 s0, s0, s1
	s_lshl_b32 s0, s0, 1
	v_lshlrev_b32_e32 v1, 4, v0
	s_and_b32 s22, s0, -4
	v_cmp_gt_i32_e64 s[2:3], s7, v1
	v_mov_b32_e32 v18, 0
	v_mov_b32_e32 v6, 0
	;; [unrolled: 1-line block ×17, first 2 shown]
	s_and_saveexec_b64 s[0:1], s[2:3]
	s_cbranch_execz .LBB712_3
; %bb.2:
	s_load_dwordx2 s[14:15], s[4:5], 0x28
	s_load_dwordx2 s[20:21], s[4:5], 0x40
	s_and_b64 s[26:27], vcc, exec
	s_cselect_b32 s17, s17, s18
	s_mov_b32 s30, s22
	s_waitcnt lgkmcnt(0)
	s_cselect_b32 s19, s15, s25
	s_cselect_b32 s23, s14, s24
	s_mul_hi_i32 s15, s17, s6
	s_mul_i32 s14, s17, s6
	s_lshl_b64 s[14:15], s[14:15], 1
	s_add_u32 s28, s23, s14
	s_addc_u32 s17, s19, s15
	s_and_b64 s[14:15], vcc, exec
	s_mov_b32 s23, 0x20000
	s_cselect_b32 s20, s20, s8
	s_cselect_b32 s14, s21, s9
	s_and_b32 s29, s17, 0xffff
	s_mov_b32 s31, s23
	v_lshlrev_b32_e32 v19, 5, v0
	s_and_b32 s21, s14, 0xffff
	buffer_load_dwordx4 v[14:17], v19, s[28:31], 0 offen
	buffer_load_dwordx4 v[10:13], v19, s[28:31], 16 offen
	;; [unrolled: 1-line block ×4, first 2 shown]
.LBB712_3:
	s_or_b64 exec, exec, s[0:1]
	v_mov_b32_e32 v19, 0
	v_mov_b32_e32 v20, 0
	;; [unrolled: 1-line block ×15, first 2 shown]
	s_and_saveexec_b64 s[0:1], s[2:3]
	s_cbranch_execz .LBB712_5
; %bb.4:
	s_waitcnt vmcnt(3)
	v_cvt_f32_u32_sdwa v18, v14 dst_sel:DWORD dst_unused:UNUSED_PAD src0_sel:WORD_0
	v_cvt_f32_u32_sdwa v19, v14 dst_sel:DWORD dst_unused:UNUSED_PAD src0_sel:WORD_1
	v_cvt_f32_u32_sdwa v20, v15 dst_sel:DWORD dst_unused:UNUSED_PAD src0_sel:WORD_0
	v_cvt_f32_u32_sdwa v21, v15 dst_sel:DWORD dst_unused:UNUSED_PAD src0_sel:WORD_1
	;; [unrolled: 2-line block ×4, first 2 shown]
	s_waitcnt vmcnt(2)
	v_cvt_f32_u32_sdwa v26, v10 dst_sel:DWORD dst_unused:UNUSED_PAD src0_sel:WORD_0
	v_cvt_f32_u32_sdwa v27, v10 dst_sel:DWORD dst_unused:UNUSED_PAD src0_sel:WORD_1
	v_cvt_f32_u32_sdwa v28, v11 dst_sel:DWORD dst_unused:UNUSED_PAD src0_sel:WORD_0
	v_cvt_f32_u32_sdwa v29, v11 dst_sel:DWORD dst_unused:UNUSED_PAD src0_sel:WORD_1
	;; [unrolled: 2-line block ×4, first 2 shown]
.LBB712_5:
	s_or_b64 exec, exec, s[0:1]
	s_waitcnt vmcnt(2)
	v_mul_f32_e32 v10, v19, v19
	v_fmac_f32_e32 v10, v18, v18
	v_fmac_f32_e32 v10, v20, v20
	v_fmac_f32_e32 v10, v21, v21
	v_fmac_f32_e32 v10, v22, v22
	v_fmac_f32_e32 v10, v23, v23
	v_fmac_f32_e32 v10, v24, v24
	v_fmac_f32_e32 v10, v25, v25
	v_fmac_f32_e32 v10, v26, v26
	v_fmac_f32_e32 v10, v27, v27
	v_fmac_f32_e32 v10, v28, v28
	v_fmac_f32_e32 v10, v29, v29
	v_fmac_f32_e32 v10, v30, v30
	v_fmac_f32_e32 v10, v31, v31
	v_fmac_f32_e32 v10, v32, v32
	v_fmac_f32_e32 v10, v33, v33
	v_and_b32_e32 v12, 63, v0
	v_cmp_eq_u32_e64 s[0:1], 63, v12
	v_mov_b32_dpp v11, v10 quad_perm:[1,0,3,2] row_mask:0xf bank_mask:0xf
	v_add_f32_e32 v10, v10, v11
	s_nop 1
	v_mov_b32_dpp v11, v10 quad_perm:[2,3,0,1] row_mask:0xf bank_mask:0xf
	v_add_f32_e32 v10, v10, v11
	s_nop 1
	v_mov_b32_dpp v11, v10 row_half_mirror row_mask:0xf bank_mask:0xf
	v_add_f32_e32 v10, v10, v11
	s_nop 1
	v_mov_b32_dpp v11, v10 row_mirror row_mask:0xf bank_mask:0xf
	v_add_f32_e32 v10, v10, v11
	s_nop 1
	v_mov_b32_dpp v11, v10 row_bcast:15 row_mask:0xf bank_mask:0xf
	v_add_f32_e32 v10, v10, v11
	s_nop 1
	v_mov_b32_dpp v11, v10 row_bcast:31 row_mask:0xf bank_mask:0xf
	s_and_saveexec_b64 s[14:15], s[0:1]
	s_cbranch_execz .LBB712_7
; %bb.6:
	v_add_f32_e32 v10, v10, v11
	v_lshrrev_b32_e32 v11, 4, v0
	v_and_b32_e32 v11, 60, v11
	ds_write_b32 v11, v10 offset:8
.LBB712_7:
	s_or_b64 exec, exec, s[14:15]
	v_and_b32_e32 v10, 1, v0
	v_lshlrev_b32_e32 v34, 2, v10
	s_waitcnt lgkmcnt(0)
	s_barrier
	ds_read_b32 v10, v34 offset:8
	s_load_dwordx2 s[14:15], s[4:5], 0x18
	s_waitcnt lgkmcnt(0)
	v_mov_b32_dpp v11, v10 quad_perm:[1,0,3,2] row_mask:0xf bank_mask:0xf
	s_and_saveexec_b64 s[20:21], s[2:3]
	s_cbranch_execz .LBB712_9
; %bb.8:
	v_cvt_f32_u32_e32 v12, s7
	v_add_f32_e32 v10, v10, v11
	v_mov_b32_e32 v14, s13
	v_mov_b32_e32 v15, s12
	v_div_scale_f32 v11, s[26:27], v12, v12, v10
	v_rcp_f32_e32 v13, v11
	v_cndmask_b32_e32 v14, v14, v15, vcc
	s_mov_b32 s7, 0x800000
	v_fma_f32 v15, -v11, v13, 1.0
	v_fmac_f32_e32 v13, v15, v13
	v_div_scale_f32 v15, vcc, v10, v12, v10
	v_mul_f32_e32 v16, v15, v13
	v_fma_f32 v17, -v11, v16, v15
	v_fmac_f32_e32 v16, v17, v13
	v_fma_f32 v11, -v11, v16, v15
	v_div_fmas_f32 v11, v11, v13, v16
	v_div_fixup_f32 v10, v11, v12, v10
	v_add_f32_e32 v10, v14, v10
	v_mul_f32_e32 v11, 0x4b800000, v10
	v_cmp_gt_f32_e32 vcc, s7, v10
	v_cndmask_b32_e32 v10, v10, v11, vcc
	v_rsq_f32_e32 v10, v10
	v_mul_f32_e32 v11, 0x45800000, v10
	v_cndmask_b32_e32 v10, v10, v11, vcc
	v_mov_b32_e32 v11, v10
	;;#ASMSTART
	v_pk_mul_f32 v[12:13], v[18:19], v[10:11]
	;;#ASMEND
	;;#ASMSTART
	v_pk_mul_f32 v[14:15], v[20:21], v[10:11]
	;;#ASMEND
	;; [unrolled: 3-line block ×8, first 2 shown]
	s_waitcnt vmcnt(1)
	v_cvt_f32_u32_sdwa v19, v6 dst_sel:DWORD dst_unused:UNUSED_PAD src0_sel:WORD_1
	v_cvt_f32_u32_sdwa v18, v6 dst_sel:DWORD dst_unused:UNUSED_PAD src0_sel:WORD_0
	v_cvt_f32_u32_sdwa v21, v7 dst_sel:DWORD dst_unused:UNUSED_PAD src0_sel:WORD_1
	v_cvt_f32_u32_sdwa v20, v7 dst_sel:DWORD dst_unused:UNUSED_PAD src0_sel:WORD_0
	;; [unrolled: 2-line block ×4, first 2 shown]
	;;#ASMSTART
	v_pk_mul_f32 v[18:19], v[12:13], v[18:19]
	;;#ASMEND
	;;#ASMSTART
	v_pk_mul_f32 v[20:21], v[14:15], v[20:21]
	;;#ASMEND
	;;#ASMSTART
	v_pk_mul_f32 v[22:23], v[16:17], v[6:7]
	;;#ASMEND
	;;#ASMSTART
	v_pk_mul_f32 v[24:25], v[24:25], v[32:33]
	;;#ASMEND
	s_waitcnt vmcnt(0)
	v_cvt_f32_u32_sdwa v7, v2 dst_sel:DWORD dst_unused:UNUSED_PAD src0_sel:WORD_1
	v_cvt_f32_u32_sdwa v6, v2 dst_sel:DWORD dst_unused:UNUSED_PAD src0_sel:WORD_0
	v_cvt_f32_u32_sdwa v9, v3 dst_sel:DWORD dst_unused:UNUSED_PAD src0_sel:WORD_1
	v_cvt_f32_u32_sdwa v8, v3 dst_sel:DWORD dst_unused:UNUSED_PAD src0_sel:WORD_0
	;; [unrolled: 2-line block ×4, first 2 shown]
	;;#ASMSTART
	v_pk_mul_f32 v[26:27], v[26:27], v[6:7]
	;;#ASMEND
	;;#ASMSTART
	v_pk_mul_f32 v[28:29], v[28:29], v[8:9]
	;;#ASMEND
	;; [unrolled: 3-line block ×4, first 2 shown]
.LBB712_9:
	s_or_b64 exec, exec, s[20:21]
	s_load_dwordx2 s[26:27], s[4:5], 0x7c
	s_mov_b64 s[20:21], -1
	s_and_b64 vcc, exec, s[10:11]
	s_cbranch_vccnz .LBB712_13
; %bb.10:
	s_andn2_b64 vcc, exec, s[20:21]
	s_cbranch_vccz .LBB712_16
.LBB712_11:
	s_cmp_lt_i32 s16, 1
	s_cbranch_scc0 .LBB712_19
.LBB712_12:
	s_endpgm
.LBB712_13:
	s_and_saveexec_b64 s[10:11], s[2:3]
	s_cbranch_execz .LBB712_15
; %bb.14:
	s_waitcnt lgkmcnt(0)
	s_mul_hi_i32 s21, s27, s6
	s_mul_i32 s20, s27, s6
	s_lshl_b64 s[20:21], s[20:21], 1
	s_add_u32 s20, s14, s20
	s_addc_u32 s7, s15, s21
	s_and_b32 s21, s7, 0xffff
	s_mov_b32 s7, 0x7060302
	s_mov_b32 s23, 0x20000
	s_waitcnt vmcnt(0)
	v_perm_b32 v5, v25, v24, s7
	v_perm_b32 v4, v23, v22, s7
	;; [unrolled: 1-line block ×4, first 2 shown]
	v_lshlrev_b32_e32 v6, 5, v0
	buffer_store_dwordx4 v[2:5], v6, s[20:23], 0 offen
	;;#ASMSTART
	s_nop 0
	;;#ASMEND
	s_nop 0
	v_perm_b32 v5, v33, v32, s7
	v_perm_b32 v4, v31, v30, s7
	;; [unrolled: 1-line block ×4, first 2 shown]
	buffer_store_dwordx4 v[2:5], v6, s[20:23], 16 offen
	;;#ASMSTART
	s_nop 0
	;;#ASMEND
.LBB712_15:
	s_or_b64 exec, exec, s[10:11]
	s_cbranch_execnz .LBB712_11
.LBB712_16:
	s_and_saveexec_b64 s[10:11], s[2:3]
	s_cbranch_execz .LBB712_18
; %bb.17:
	s_load_dwordx2 s[2:3], s[4:5], 0x10
	s_waitcnt lgkmcnt(0)
	s_mul_hi_i32 s21, s26, s6
	s_mul_i32 s20, s26, s6
	s_lshl_b64 s[20:21], s[20:21], 1
	s_mov_b32 s23, 0x20000
	s_add_u32 s20, s2, s20
	s_addc_u32 s2, s3, s21
	s_and_b32 s21, s2, 0xffff
	s_mov_b32 s2, 0x7060302
	s_waitcnt vmcnt(0)
	v_perm_b32 v5, v25, v24, s2
	v_perm_b32 v4, v23, v22, s2
	;; [unrolled: 1-line block ×4, first 2 shown]
	v_lshlrev_b32_e32 v6, 5, v0
	buffer_store_dwordx4 v[2:5], v6, s[20:23], 0 offen
	;;#ASMSTART
	s_nop 0
	;;#ASMEND
	s_nop 0
	v_perm_b32 v5, v33, v32, s2
	v_perm_b32 v4, v31, v30, s2
	v_perm_b32 v3, v29, v28, s2
	v_perm_b32 v2, v27, v26, s2
	buffer_store_dwordx4 v[2:5], v6, s[20:23], 16 offen
	;;#ASMSTART
	s_nop 0
	;;#ASMEND
.LBB712_18:
	s_or_b64 exec, exec, s[10:11]
	s_cmp_lt_i32 s16, 1
	s_cbranch_scc1 .LBB712_12
.LBB712_19:
	s_load_dword s2, s[4:5], 0x94
	s_waitcnt lgkmcnt(0)
	s_cmp_lg_u32 s2, 1
	s_cbranch_scc1 .LBB712_12
; %bb.20:
	s_lshl_b32 s2, s16, 1
	s_add_i32 s2, s2, 2
	v_cmp_gt_u32_e32 vcc, s16, v1
	s_and_b32 s10, s2, -4
	v_mov_b32_e32 v18, 0
	v_lshlrev_b32_e32 v1, 5, v0
	v_mov_b32_e32 v14, 0
	v_mov_b32_e32 v15, 0
	;; [unrolled: 1-line block ×8, first 2 shown]
	s_waitcnt vmcnt(1)
	v_mov_b32_e32 v6, 0
	v_mov_b32_e32 v7, 0
	v_mov_b32_e32 v8, 0
	v_mov_b32_e32 v9, 0
	s_waitcnt vmcnt(0)
	v_mov_b32_e32 v2, 0
	v_mov_b32_e32 v3, 0
	;; [unrolled: 1-line block ×4, first 2 shown]
	s_barrier
	s_and_saveexec_b64 s[2:3], vcc
	s_cbranch_execz .LBB712_22
; %bb.21:
	s_mul_hi_i32 s5, s18, s6
	s_mul_i32 s4, s18, s6
	s_and_b32 s9, s9, 0xffff
	s_lshl_b64 s[4:5], s[4:5], 1
	s_add_u32 s20, s24, s4
	s_mov_b32 s11, 0x20000
	s_addc_u32 s4, s25, s5
	s_and_b32 s21, s4, 0xffff
	s_mov_b32 s22, s10
	s_mov_b32 s23, s11
	buffer_load_dwordx4 v[14:17], v1, s[20:23], 0 offen
	buffer_load_dwordx4 v[10:13], v1, s[20:23], 16 offen
	;; [unrolled: 1-line block ×4, first 2 shown]
.LBB712_22:
	s_or_b64 exec, exec, s[2:3]
	v_mov_b32_e32 v19, 0
	v_mov_b32_e32 v32, 0
	;; [unrolled: 1-line block ×15, first 2 shown]
	s_and_saveexec_b64 s[2:3], vcc
	s_cbranch_execz .LBB712_24
; %bb.23:
	s_waitcnt vmcnt(3)
	v_cvt_f32_u32_sdwa v18, v14 dst_sel:DWORD dst_unused:UNUSED_PAD src0_sel:WORD_0
	v_cvt_f32_u32_sdwa v19, v14 dst_sel:DWORD dst_unused:UNUSED_PAD src0_sel:WORD_1
	v_cvt_f32_u32_sdwa v32, v15 dst_sel:DWORD dst_unused:UNUSED_PAD src0_sel:WORD_0
	v_cvt_f32_u32_sdwa v33, v15 dst_sel:DWORD dst_unused:UNUSED_PAD src0_sel:WORD_1
	;; [unrolled: 2-line block ×4, first 2 shown]
	s_waitcnt vmcnt(2)
	v_cvt_f32_u32_sdwa v26, v10 dst_sel:DWORD dst_unused:UNUSED_PAD src0_sel:WORD_0
	v_cvt_f32_u32_sdwa v27, v10 dst_sel:DWORD dst_unused:UNUSED_PAD src0_sel:WORD_1
	v_cvt_f32_u32_sdwa v24, v11 dst_sel:DWORD dst_unused:UNUSED_PAD src0_sel:WORD_0
	v_cvt_f32_u32_sdwa v25, v11 dst_sel:DWORD dst_unused:UNUSED_PAD src0_sel:WORD_1
	;; [unrolled: 2-line block ×4, first 2 shown]
.LBB712_24:
	s_or_b64 exec, exec, s[2:3]
	s_waitcnt vmcnt(2)
	v_mul_f32_e32 v10, v19, v19
	v_fmac_f32_e32 v10, v18, v18
	v_fmac_f32_e32 v10, v32, v32
	;; [unrolled: 1-line block ×15, first 2 shown]
	s_nop 1
	v_mov_b32_dpp v11, v10 quad_perm:[1,0,3,2] row_mask:0xf bank_mask:0xf
	v_add_f32_e32 v10, v10, v11
	s_nop 1
	v_mov_b32_dpp v11, v10 quad_perm:[2,3,0,1] row_mask:0xf bank_mask:0xf
	v_add_f32_e32 v10, v10, v11
	s_nop 1
	v_mov_b32_dpp v11, v10 row_half_mirror row_mask:0xf bank_mask:0xf
	v_add_f32_e32 v10, v10, v11
	s_nop 1
	v_mov_b32_dpp v11, v10 row_mirror row_mask:0xf bank_mask:0xf
	v_add_f32_e32 v10, v10, v11
	s_nop 1
	v_mov_b32_dpp v11, v10 row_bcast:15 row_mask:0xf bank_mask:0xf
	v_add_f32_e32 v10, v10, v11
	s_nop 1
	v_mov_b32_dpp v11, v10 row_bcast:31 row_mask:0xf bank_mask:0xf
	s_and_saveexec_b64 s[2:3], s[0:1]
	s_cbranch_execz .LBB712_26
; %bb.25:
	v_lshrrev_b32_e32 v0, 4, v0
	v_add_f32_e32 v10, v10, v11
	v_and_b32_e32 v0, 60, v0
	ds_write_b32 v0, v10
.LBB712_26:
	s_or_b64 exec, exec, s[2:3]
	s_waitcnt lgkmcnt(0)
	s_barrier
	ds_read_b32 v0, v34
	s_waitcnt lgkmcnt(0)
	s_nop 0
	v_mov_b32_dpp v10, v0 quad_perm:[1,0,3,2] row_mask:0xf bank_mask:0xf
	s_and_saveexec_b64 s[0:1], vcc
	s_cbranch_execz .LBB712_12
; %bb.27:
	v_cvt_f32_u32_e32 v11, s16
	v_add_f32_e32 v0, v0, v10
	s_mov_b32 s11, 0x20000
	v_div_scale_f32 v10, s[0:1], v11, v11, v0
	v_rcp_f32_e32 v12, v10
	v_div_scale_f32 v13, vcc, v0, v11, v0
	s_mov_b32 s0, 0x800000
	v_fma_f32 v14, -v10, v12, 1.0
	v_fmac_f32_e32 v12, v14, v12
	v_mul_f32_e32 v14, v13, v12
	v_fma_f32 v15, -v10, v14, v13
	v_fmac_f32_e32 v14, v15, v12
	v_fma_f32 v10, -v10, v14, v13
	v_div_fmas_f32 v10, v10, v12, v14
	v_div_fixup_f32 v0, v10, v11, v0
	v_add_f32_e32 v0, s13, v0
	v_mul_f32_e32 v10, 0x4b800000, v0
	v_cmp_gt_f32_e32 vcc, s0, v0
	v_cndmask_b32_e32 v0, v0, v10, vcc
	v_rsq_f32_e32 v0, v0
	s_mul_hi_i32 s1, s27, s6
	s_mul_i32 s0, s27, s6
	s_lshl_b64 s[0:1], s[0:1], 1
	v_mul_f32_e32 v10, 0x45800000, v0
	v_cndmask_b32_e32 v10, v0, v10, vcc
	v_mov_b32_e32 v11, v10
	s_add_u32 s8, s14, s0
	;;#ASMSTART
	v_pk_mul_f32 v[12:13], v[18:19], v[10:11]
	;;#ASMEND
	;;#ASMSTART
	v_pk_mul_f32 v[14:15], v[32:33], v[10:11]
	;;#ASMEND
	;; [unrolled: 3-line block ×8, first 2 shown]
	s_waitcnt vmcnt(1)
	v_cvt_f32_u32_sdwa v21, v6 dst_sel:DWORD dst_unused:UNUSED_PAD src0_sel:WORD_1
	v_cvt_f32_u32_sdwa v20, v6 dst_sel:DWORD dst_unused:UNUSED_PAD src0_sel:WORD_0
	v_cvt_f32_u32_sdwa v29, v7 dst_sel:DWORD dst_unused:UNUSED_PAD src0_sel:WORD_1
	v_cvt_f32_u32_sdwa v28, v7 dst_sel:DWORD dst_unused:UNUSED_PAD src0_sel:WORD_0
	;; [unrolled: 2-line block ×3, first 2 shown]
	s_addc_u32 s0, s15, s1
	v_cvt_f32_u32_sdwa v31, v9 dst_sel:DWORD dst_unused:UNUSED_PAD src0_sel:WORD_1
	v_cvt_f32_u32_sdwa v30, v9 dst_sel:DWORD dst_unused:UNUSED_PAD src0_sel:WORD_0
	;;#ASMSTART
	v_pk_mul_f32 v[8:9], v[12:13], v[20:21]
	;;#ASMEND
	;;#ASMSTART
	v_pk_mul_f32 v[12:13], v[14:15], v[28:29]
	;;#ASMEND
	;; [unrolled: 3-line block ×4, first 2 shown]
	s_waitcnt vmcnt(0)
	v_cvt_f32_u32_sdwa v17, v2 dst_sel:DWORD dst_unused:UNUSED_PAD src0_sel:WORD_1
	v_cvt_f32_u32_sdwa v16, v2 dst_sel:DWORD dst_unused:UNUSED_PAD src0_sel:WORD_0
	v_cvt_f32_u32_sdwa v19, v3 dst_sel:DWORD dst_unused:UNUSED_PAD src0_sel:WORD_1
	v_cvt_f32_u32_sdwa v18, v3 dst_sel:DWORD dst_unused:UNUSED_PAD src0_sel:WORD_0
	;; [unrolled: 2-line block ×3, first 2 shown]
	s_and_b32 s9, s0, 0xffff
	s_mov_b32 s0, 0x7060302
	v_cvt_f32_u32_sdwa v21, v5 dst_sel:DWORD dst_unused:UNUSED_PAD src0_sel:WORD_1
	v_cvt_f32_u32_sdwa v20, v5 dst_sel:DWORD dst_unused:UNUSED_PAD src0_sel:WORD_0
	;;#ASMSTART
	v_pk_mul_f32 v[16:17], v[26:27], v[16:17]
	;;#ASMEND
	;;#ASMSTART
	v_pk_mul_f32 v[18:19], v[24:25], v[18:19]
	;;#ASMEND
	;; [unrolled: 3-line block ×3, first 2 shown]
	v_perm_b32 v2, v9, v8, s0
	v_perm_b32 v3, v13, v12, s0
	;; [unrolled: 1-line block ×4, first 2 shown]
	;;#ASMSTART
	v_pk_mul_f32 v[10:11], v[10:11], v[20:21]
	;;#ASMEND
	buffer_store_dwordx4 v[2:5], v1, s[8:11], 0 offen
	;;#ASMSTART
	s_nop 0
	;;#ASMEND
	s_nop 0
	v_perm_b32 v2, v17, v16, s0
	v_perm_b32 v3, v19, v18, s0
	;; [unrolled: 1-line block ×4, first 2 shown]
	buffer_store_dwordx4 v[2:5], v1, s[8:11], 16 offen
	;;#ASMSTART
	s_nop 0
	;;#ASMEND
	s_endpgm
	.section	.rodata,"a",@progbits
	.p2align	6, 0x0
	.amdhsa_kernel _ZN5aiter35fused_qk_rmsnorm_group_quant_kernelItN4opus5fp4_tELi128ELi16ELi2ELb0ELb1ELb0ELb1ELb0ELb0EEEvPT0_PvPT_S7_S7_PKS6_S9_S9_S9_S9_ffiiiiiiiiiiiii
		.amdhsa_group_segment_fixed_size 16
		.amdhsa_private_segment_fixed_size 0
		.amdhsa_kernarg_size 400
		.amdhsa_user_sgpr_count 6
		.amdhsa_user_sgpr_private_segment_buffer 1
		.amdhsa_user_sgpr_dispatch_ptr 0
		.amdhsa_user_sgpr_queue_ptr 0
		.amdhsa_user_sgpr_kernarg_segment_ptr 1
		.amdhsa_user_sgpr_dispatch_id 0
		.amdhsa_user_sgpr_flat_scratch_init 0
		.amdhsa_user_sgpr_kernarg_preload_length 0
		.amdhsa_user_sgpr_kernarg_preload_offset 0
		.amdhsa_user_sgpr_private_segment_size 0
		.amdhsa_uses_dynamic_stack 0
		.amdhsa_system_sgpr_private_segment_wavefront_offset 0
		.amdhsa_system_sgpr_workgroup_id_x 1
		.amdhsa_system_sgpr_workgroup_id_y 1
		.amdhsa_system_sgpr_workgroup_id_z 0
		.amdhsa_system_sgpr_workgroup_info 0
		.amdhsa_system_vgpr_workitem_id 0
		.amdhsa_next_free_vgpr 35
		.amdhsa_next_free_sgpr 32
		.amdhsa_accum_offset 36
		.amdhsa_reserve_vcc 1
		.amdhsa_reserve_flat_scratch 0
		.amdhsa_float_round_mode_32 0
		.amdhsa_float_round_mode_16_64 0
		.amdhsa_float_denorm_mode_32 3
		.amdhsa_float_denorm_mode_16_64 3
		.amdhsa_dx10_clamp 1
		.amdhsa_ieee_mode 1
		.amdhsa_fp16_overflow 0
		.amdhsa_tg_split 0
		.amdhsa_exception_fp_ieee_invalid_op 0
		.amdhsa_exception_fp_denorm_src 0
		.amdhsa_exception_fp_ieee_div_zero 0
		.amdhsa_exception_fp_ieee_overflow 0
		.amdhsa_exception_fp_ieee_underflow 0
		.amdhsa_exception_fp_ieee_inexact 0
		.amdhsa_exception_int_div_zero 0
	.end_amdhsa_kernel
	.section	.text._ZN5aiter35fused_qk_rmsnorm_group_quant_kernelItN4opus5fp4_tELi128ELi16ELi2ELb0ELb1ELb0ELb1ELb0ELb0EEEvPT0_PvPT_S7_S7_PKS6_S9_S9_S9_S9_ffiiiiiiiiiiiii,"axG",@progbits,_ZN5aiter35fused_qk_rmsnorm_group_quant_kernelItN4opus5fp4_tELi128ELi16ELi2ELb0ELb1ELb0ELb1ELb0ELb0EEEvPT0_PvPT_S7_S7_PKS6_S9_S9_S9_S9_ffiiiiiiiiiiiii,comdat
.Lfunc_end712:
	.size	_ZN5aiter35fused_qk_rmsnorm_group_quant_kernelItN4opus5fp4_tELi128ELi16ELi2ELb0ELb1ELb0ELb1ELb0ELb0EEEvPT0_PvPT_S7_S7_PKS6_S9_S9_S9_S9_ffiiiiiiiiiiiii, .Lfunc_end712-_ZN5aiter35fused_qk_rmsnorm_group_quant_kernelItN4opus5fp4_tELi128ELi16ELi2ELb0ELb1ELb0ELb1ELb0ELb0EEEvPT0_PvPT_S7_S7_PKS6_S9_S9_S9_S9_ffiiiiiiiiiiiii
                                        ; -- End function
	.section	.AMDGPU.csdata,"",@progbits
; Kernel info:
; codeLenInByte = 2780
; NumSgprs: 36
; NumVgprs: 35
; NumAgprs: 0
; TotalNumVgprs: 35
; ScratchSize: 0
; MemoryBound: 0
; FloatMode: 240
; IeeeMode: 1
; LDSByteSize: 16 bytes/workgroup (compile time only)
; SGPRBlocks: 4
; VGPRBlocks: 4
; NumSGPRsForWavesPerEU: 36
; NumVGPRsForWavesPerEU: 35
; AccumOffset: 36
; Occupancy: 8
; WaveLimiterHint : 0
; COMPUTE_PGM_RSRC2:SCRATCH_EN: 0
; COMPUTE_PGM_RSRC2:USER_SGPR: 6
; COMPUTE_PGM_RSRC2:TRAP_HANDLER: 0
; COMPUTE_PGM_RSRC2:TGID_X_EN: 1
; COMPUTE_PGM_RSRC2:TGID_Y_EN: 1
; COMPUTE_PGM_RSRC2:TGID_Z_EN: 0
; COMPUTE_PGM_RSRC2:TIDIG_COMP_CNT: 0
; COMPUTE_PGM_RSRC3_GFX90A:ACCUM_OFFSET: 8
; COMPUTE_PGM_RSRC3_GFX90A:TG_SPLIT: 0
	.section	.text._ZN5aiter35fused_qk_rmsnorm_group_quant_kernelIDF16_DB8_Li128ELi16ELi2ELb1ELb1ELb1ELb0ELb0ELb0EEEvPT0_PvPT_S6_S6_PKS5_S8_S8_S8_S8_ffiiiiiiiiiiiii,"axG",@progbits,_ZN5aiter35fused_qk_rmsnorm_group_quant_kernelIDF16_DB8_Li128ELi16ELi2ELb1ELb1ELb1ELb0ELb0ELb0EEEvPT0_PvPT_S6_S6_PKS5_S8_S8_S8_S8_ffiiiiiiiiiiiii,comdat
	.protected	_ZN5aiter35fused_qk_rmsnorm_group_quant_kernelIDF16_DB8_Li128ELi16ELi2ELb1ELb1ELb1ELb0ELb0ELb0EEEvPT0_PvPT_S6_S6_PKS5_S8_S8_S8_S8_ffiiiiiiiiiiiii ; -- Begin function _ZN5aiter35fused_qk_rmsnorm_group_quant_kernelIDF16_DB8_Li128ELi16ELi2ELb1ELb1ELb1ELb0ELb0ELb0EEEvPT0_PvPT_S6_S6_PKS5_S8_S8_S8_S8_ffiiiiiiiiiiiii
	.globl	_ZN5aiter35fused_qk_rmsnorm_group_quant_kernelIDF16_DB8_Li128ELi16ELi2ELb1ELb1ELb1ELb0ELb0ELb0EEEvPT0_PvPT_S6_S6_PKS5_S8_S8_S8_S8_ffiiiiiiiiiiiii
	.p2align	8
	.type	_ZN5aiter35fused_qk_rmsnorm_group_quant_kernelIDF16_DB8_Li128ELi16ELi2ELb1ELb1ELb1ELb0ELb0ELb0EEEvPT0_PvPT_S6_S6_PKS5_S8_S8_S8_S8_ffiiiiiiiiiiiii,@function
_ZN5aiter35fused_qk_rmsnorm_group_quant_kernelIDF16_DB8_Li128ELi16ELi2ELb1ELb1ELb1ELb0ELb0ELb0EEEvPT0_PvPT_S6_S6_PKS5_S8_S8_S8_S8_ffiiiiiiiiiiiii: ; @_ZN5aiter35fused_qk_rmsnorm_group_quant_kernelIDF16_DB8_Li128ELi16ELi2ELb1ELb1ELb1ELb0ELb0ELb0EEEvPT0_PvPT_S6_S6_PKS5_S8_S8_S8_S8_ffiiiiiiiiiiiii
; %bb.0:
	s_load_dwordx8 s[20:27], s[4:5], 0x50
	s_waitcnt lgkmcnt(0)
	s_cmp_ge_i32 s6, s22
	s_cbranch_scc1 .LBB713_17
; %bb.1:
	s_cmp_lg_u32 s7, 0
	s_cselect_b64 s[10:11], -1, 0
	s_cmp_eq_u32 s7, 0
	s_cselect_b64 s[8:9], -1, 0
	s_and_b64 s[0:1], s[8:9], exec
	s_load_dwordx2 s[28:29], s[4:5], 0x48
	s_load_dwordx2 s[34:35], s[4:5], 0x30
	s_load_dwordx8 s[12:19], s[4:5], 0x70
	s_cselect_b32 s7, s23, s24
	s_add_i32 s0, s7, 1
	s_lshr_b32 s1, s0, 31
	s_add_i32 s0, s0, s1
	s_lshl_b32 s0, s0, 1
	v_lshlrev_b32_e32 v1, 4, v0
	s_and_b32 s38, s0, -4
	v_cmp_gt_i32_e64 s[0:1], s7, v1
	v_mov_b32_e32 v76, 0
	v_mov_b32_e32 v77, 0
	;; [unrolled: 1-line block ×16, first 2 shown]
	s_and_saveexec_b64 s[2:3], s[0:1]
	s_cbranch_execz .LBB713_3
; %bb.2:
	s_waitcnt lgkmcnt(0)
	s_load_dwordx2 s[18:19], s[4:5], 0x28
	s_load_dwordx2 s[30:31], s[4:5], 0x40
	s_and_b64 s[36:37], s[8:9], exec
	s_cselect_b32 s22, s25, s26
	s_mov_b32 s39, 0x20000
	s_waitcnt lgkmcnt(0)
	s_cselect_b32 s25, s19, s35
	s_cselect_b32 s33, s18, s34
	s_mul_hi_i32 s19, s22, s6
	s_mul_i32 s18, s22, s6
	s_lshl_b64 s[18:19], s[18:19], 1
	s_add_u32 s40, s33, s18
	s_addc_u32 s22, s25, s19
	s_and_b64 s[18:19], s[8:9], exec
	s_cselect_b32 s36, s30, s28
	s_cselect_b32 s18, s31, s29
	s_and_b32 s41, s22, 0xffff
	s_mov_b32 s42, s38
	s_mov_b32 s43, s39
	v_lshlrev_b32_e32 v2, 5, v0
	s_and_b32 s37, s18, 0xffff
	buffer_load_dwordx4 v[80:83], v2, s[40:43], 0 offen
	buffer_load_dwordx4 v[84:87], v2, s[40:43], 16 offen
	;; [unrolled: 1-line block ×4, first 2 shown]
.LBB713_3:
	s_or_b64 exec, exec, s[2:3]
	s_and_b64 vcc, exec, s[10:11]
	s_cbranch_vccz .LBB713_7
; %bb.4:
	v_mov_b32_e32 v89, 0
	v_mov_b32_e32 v88, 0
	;; [unrolled: 1-line block ×16, first 2 shown]
	s_and_saveexec_b64 s[2:3], s[0:1]
	s_cbranch_execz .LBB713_6
; %bb.5:
	s_waitcnt vmcnt(3)
	v_cvt_f32_f16_sdwa v49, v80 dst_sel:DWORD dst_unused:UNUSED_PAD src0_sel:WORD_1
	v_cvt_f32_f16_e32 v48, v80
	v_cvt_f32_f16_sdwa v35, v81 dst_sel:DWORD dst_unused:UNUSED_PAD src0_sel:WORD_1
	v_cvt_f32_f16_e32 v34, v81
	;; [unrolled: 2-line block ×4, first 2 shown]
	s_waitcnt vmcnt(2)
	v_cvt_f32_f16_sdwa v65, v84 dst_sel:DWORD dst_unused:UNUSED_PAD src0_sel:WORD_1
	v_cvt_f32_f16_e32 v64, v84
	v_cvt_f32_f16_sdwa v19, v85 dst_sel:DWORD dst_unused:UNUSED_PAD src0_sel:WORD_1
	v_cvt_f32_f16_e32 v18, v85
	;; [unrolled: 2-line block ×4, first 2 shown]
.LBB713_6:
	s_or_b64 exec, exec, s[2:3]
	s_cbranch_execz .LBB713_8
	s_branch .LBB713_11
.LBB713_7:
                                        ; implicit-def: $vgpr32_vgpr33_vgpr34_vgpr35_vgpr36_vgpr37_vgpr38_vgpr39_vgpr40_vgpr41_vgpr42_vgpr43_vgpr44_vgpr45_vgpr46_vgpr47
                                        ; implicit-def: $vgpr48_vgpr49_vgpr50_vgpr51_vgpr52_vgpr53_vgpr54_vgpr55_vgpr56_vgpr57_vgpr58_vgpr59_vgpr60_vgpr61_vgpr62_vgpr63
                                        ; implicit-def: $vgpr18_vgpr19_vgpr20_vgpr21_vgpr22_vgpr23_vgpr24_vgpr25_vgpr26_vgpr27_vgpr28_vgpr29_vgpr30_vgpr31_vgpr32_vgpr33
                                        ; implicit-def: $vgpr50_vgpr51_vgpr52_vgpr53_vgpr54_vgpr55_vgpr56_vgpr57_vgpr58_vgpr59_vgpr60_vgpr61_vgpr62_vgpr63_vgpr64_vgpr65
                                        ; implicit-def: $vgpr89
                                        ; implicit-def: $vgpr8_vgpr9_vgpr10_vgpr11_vgpr12_vgpr13_vgpr14_vgpr15_vgpr16_vgpr17_vgpr18_vgpr19_vgpr20_vgpr21_vgpr22_vgpr23
                                        ; implicit-def: $vgpr56_vgpr57_vgpr58_vgpr59_vgpr60_vgpr61_vgpr62_vgpr63_vgpr64_vgpr65_vgpr66_vgpr67_vgpr68_vgpr69_vgpr70_vgpr71
                                        ; implicit-def: $vgpr2_vgpr3_vgpr4_vgpr5_vgpr6_vgpr7_vgpr8_vgpr9_vgpr10_vgpr11_vgpr12_vgpr13_vgpr14_vgpr15_vgpr16_vgpr17
.LBB713_8:
	v_mov_b32_e32 v89, 0
	v_mov_b32_e32 v88, 0
	;; [unrolled: 1-line block ×16, first 2 shown]
	s_and_saveexec_b64 s[2:3], s[0:1]
	s_cbranch_execz .LBB713_10
; %bb.9:
	s_waitcnt lgkmcnt(0)
	s_load_dwordx2 s[18:19], s[4:5], 0x38
	s_mul_hi_i32 s31, s27, s6
	s_mul_i32 s30, s27, s6
	s_lshl_b64 s[30:31], s[30:31], 1
	s_mov_b32 s39, 0x20000
	s_waitcnt lgkmcnt(0)
	s_add_u32 s36, s18, s30
	s_addc_u32 s18, s19, s31
	s_and_b32 s37, s18, 0xffff
	v_lshlrev_b32_e32 v38, 5, v0
	buffer_load_dwordx4 v[6:9], v38, s[36:39], 16 offen
	buffer_load_dwordx4 v[10:13], v38, s[36:39], 0 offen
	s_waitcnt vmcnt(5)
	v_cvt_f32_f16_sdwa v23, v82 dst_sel:DWORD dst_unused:UNUSED_PAD src0_sel:WORD_1
	v_cvt_f32_f16_e32 v22, v82
	v_cvt_f32_f16_sdwa v25, v83 dst_sel:DWORD dst_unused:UNUSED_PAD src0_sel:WORD_1
	v_cvt_f32_f16_e32 v24, v83
	;; [unrolled: 2-line block ×4, first 2 shown]
	s_load_dwordx2 s[18:19], s[4:5], 0x20
	s_waitcnt vmcnt(4)
	v_cvt_f32_f16_sdwa v3, v84 dst_sel:DWORD dst_unused:UNUSED_PAD src0_sel:WORD_1
	v_cvt_f32_f16_e32 v2, v84
	v_cvt_f32_f16_sdwa v5, v85 dst_sel:DWORD dst_unused:UNUSED_PAD src0_sel:WORD_1
	v_cvt_f32_f16_e32 v4, v85
	;; [unrolled: 2-line block ×4, first 2 shown]
	s_mul_hi_i32 s31, s17, s6
	s_mul_i32 s30, s17, s6
	s_lshl_b64 s[30:31], s[30:31], 1
	s_waitcnt lgkmcnt(0)
	s_add_u32 s36, s18, s30
	s_addc_u32 s17, s19, s31
	s_and_b32 s37, s17, 0xffff
	s_waitcnt vmcnt(1)
	v_cvt_f32_f16_e32 v26, v6
	v_cvt_f32_f16_sdwa v27, v6 dst_sel:DWORD dst_unused:UNUSED_PAD src0_sel:WORD_1
	v_cvt_f32_f16_e32 v28, v7
	v_cvt_f32_f16_sdwa v29, v7 dst_sel:DWORD dst_unused:UNUSED_PAD src0_sel:WORD_1
	;; [unrolled: 2-line block ×4, first 2 shown]
	s_waitcnt vmcnt(0)
	v_cvt_f32_f16_e32 v6, v12
	v_cvt_f32_f16_sdwa v7, v12 dst_sel:DWORD dst_unused:UNUSED_PAD src0_sel:WORD_1
	v_cvt_f32_f16_e32 v8, v13
	v_cvt_f32_f16_sdwa v9, v13 dst_sel:DWORD dst_unused:UNUSED_PAD src0_sel:WORD_1
	;; [unrolled: 2-line block ×4, first 2 shown]
	v_pk_add_f32 v[54:55], v[22:23], v[6:7]
	v_pk_add_f32 v[24:25], v[24:25], v[8:9]
	v_cvt_f16_f32_e32 v6, v55
	v_cvt_f16_f32_e32 v7, v25
	v_cvt_f16_f32_e32 v8, v24
	v_cvt_f16_f32_e32 v12, v54
	v_pk_add_f32 v[34:35], v[20:21], v[10:11]
	v_pk_add_f32 v[48:49], v[18:19], v[36:37]
	v_pack_b32_f16 v9, v8, v7
	v_pack_b32_f16 v8, v12, v6
	v_cvt_f16_f32_e32 v6, v35
	v_cvt_f16_f32_e32 v7, v34
	;; [unrolled: 1-line block ×3, first 2 shown]
	v_pk_add_f32 v[88:89], v[16:17], v[32:33]
	v_pk_add_f32 v[14:15], v[14:15], v[30:31]
	v_pack_b32_f16 v7, v7, v6
	v_cvt_f16_f32_e32 v6, v49
	v_pk_add_f32 v[18:19], v[4:5], v[28:29]
	v_pk_add_f32 v[64:65], v[2:3], v[26:27]
	v_cvt_f16_f32_e32 v4, v18
	v_pack_b32_f16 v6, v10, v6
	buffer_store_dwordx4 v[6:9], v38, s[36:39], 0 offen
	v_cvt_f16_f32_e32 v5, v19
	v_cvt_f16_f32_e32 v6, v14
	;; [unrolled: 1-line block ×7, first 2 shown]
	v_pack_b32_f16 v7, v7, v8
	v_pack_b32_f16 v6, v6, v9
	v_pack_b32_f16 v5, v4, v5
	v_pack_b32_f16 v4, v2, v3
	;;#ASMSTART
	s_nop 0
	;;#ASMEND
	buffer_store_dwordx4 v[4:7], v38, s[36:39], 16 offen
	;;#ASMSTART
	s_nop 0
	;;#ASMEND
.LBB713_10:
	s_or_b64 exec, exec, s[2:3]
.LBB713_11:
	v_mul_f32_e32 v2, v49, v49
	v_fmac_f32_e32 v2, v48, v48
	v_fmac_f32_e32 v2, v34, v34
	;; [unrolled: 1-line block ×15, first 2 shown]
	s_nop 1
	v_mov_b32_dpp v3, v2 quad_perm:[1,0,3,2] row_mask:0xf bank_mask:0xf
	v_add_f32_e32 v2, v2, v3
	s_nop 1
	v_mov_b32_dpp v3, v2 quad_perm:[2,3,0,1] row_mask:0xf bank_mask:0xf
	v_add_f32_e32 v2, v2, v3
	s_nop 1
	v_mov_b32_dpp v3, v2 row_half_mirror row_mask:0xf bank_mask:0xf
	v_add_f32_e32 v2, v2, v3
	s_nop 1
	v_mov_b32_dpp v3, v2 row_mirror row_mask:0xf bank_mask:0xf
	v_add_f32_e32 v2, v2, v3
	s_nop 1
	v_mov_b32_dpp v3, v2 row_bcast:15 row_mask:0xf bank_mask:0xf
	v_add_f32_e32 v2, v2, v3
	v_and_b32_e32 v3, 63, v0
	v_cmp_eq_u32_e64 s[2:3], 63, v3
	s_nop 0
	v_mov_b32_dpp v3, v2 row_bcast:31 row_mask:0xf bank_mask:0xf
	s_waitcnt lgkmcnt(0)
	s_and_saveexec_b64 s[18:19], s[2:3]
	s_cbranch_execz .LBB713_13
; %bb.12:
	v_add_f32_e32 v2, v2, v3
	v_lshrrev_b32_e32 v3, 4, v0
	v_and_b32_e32 v3, 60, v3
	ds_write_b32 v3, v2 offset:8
.LBB713_13:
	s_or_b64 exec, exec, s[18:19]
	v_and_b32_e32 v2, 1, v0
	v_lshlrev_b32_e32 v36, 2, v2
	s_waitcnt lgkmcnt(0)
	s_barrier
	ds_read_b32 v3, v36 offset:8
	s_load_dwordx2 s[18:19], s[4:5], 0x18
	s_waitcnt lgkmcnt(0)
	v_mov_b32_dpp v4, v3 quad_perm:[1,0,3,2] row_mask:0xf bank_mask:0xf
	s_and_saveexec_b64 s[30:31], s[0:1]
	s_cbranch_execnz .LBB713_18
; %bb.14:
	s_or_b64 exec, exec, s[30:31]
	s_mov_b64 s[8:9], -1
	s_and_b64 vcc, exec, s[10:11]
	s_cbranch_vccnz .LBB713_19
.LBB713_15:
	s_andn2_b64 vcc, exec, s[8:9]
	s_cbranch_vccz .LBB713_22
.LBB713_16:
	s_cmp_lt_i32 s24, 1
	s_cbranch_scc0 .LBB713_31
.LBB713_17:
	s_endpgm
.LBB713_18:
	v_add_f32_e32 v3, v3, v4
	v_cvt_f32_u32_e32 v4, s7
	s_mov_b32 s7, 0x800000
	s_waitcnt vmcnt(1)
	v_cvt_f32_f16_sdwa v21, v76 dst_sel:DWORD dst_unused:UNUSED_PAD src0_sel:WORD_1
	v_cvt_f32_f16_e32 v20, v76
	v_div_scale_f32 v5, s[36:37], v4, v4, v3
	v_rcp_f32_e32 v6, v5
	v_pk_add_f32 v[20:21], v[20:21], 1.0 op_sel_hi:[1,0]
	v_cvt_f32_f16_sdwa v23, v79 dst_sel:DWORD dst_unused:UNUSED_PAD src0_sel:WORD_1
	v_cvt_f32_f16_e32 v22, v79
	v_fma_f32 v7, -v5, v6, 1.0
	v_fmac_f32_e32 v6, v7, v6
	v_div_scale_f32 v7, vcc, v3, v4, v3
	v_mul_f32_e32 v8, v7, v6
	v_fma_f32 v9, -v5, v8, v7
	v_fmac_f32_e32 v8, v9, v6
	v_fma_f32 v5, -v5, v8, v7
	v_div_fmas_f32 v5, v5, v6, v8
	v_div_fixup_f32 v3, v5, v4, v3
	v_mov_b32_e32 v4, s21
	v_mov_b32_e32 v5, s20
	v_cndmask_b32_e64 v4, v4, v5, s[8:9]
	v_add_f32_e32 v3, v4, v3
	v_mul_f32_e32 v4, 0x4b800000, v3
	v_cmp_gt_f32_e32 vcc, s7, v3
	v_cndmask_b32_e32 v3, v3, v4, vcc
	v_rsq_f32_e32 v3, v3
	s_waitcnt vmcnt(0)
	v_cvt_f32_f16_sdwa v27, v75 dst_sel:DWORD dst_unused:UNUSED_PAD src0_sel:WORD_1
	v_cvt_f32_f16_e32 v26, v75
	v_mul_f32_e32 v4, 0x45800000, v3
	v_cndmask_b32_e32 v4, v3, v4, vcc
	v_mov_b32_e32 v5, v4
	;;#ASMSTART
	v_pk_mul_f32 v[6:7], v[48:49], v[4:5]
	;;#ASMEND
	;;#ASMSTART
	v_pk_mul_f32 v[8:9], v[34:35], v[4:5]
	;;#ASMEND
	;; [unrolled: 3-line block ×9, first 2 shown]
	v_cvt_f32_f16_sdwa v7, v77 dst_sel:DWORD dst_unused:UNUSED_PAD src0_sel:WORD_1
	v_cvt_f32_f16_e32 v6, v77
	v_cvt_f32_f16_sdwa v21, v78 dst_sel:DWORD dst_unused:UNUSED_PAD src0_sel:WORD_1
	v_cvt_f32_f16_e32 v20, v78
	v_cvt_f32_f16_sdwa v25, v74 dst_sel:DWORD dst_unused:UNUSED_PAD src0_sel:WORD_1
	v_pk_add_f32 v[6:7], v[6:7], 1.0 op_sel_hi:[1,0]
	;;#ASMSTART
	v_pk_mul_f32 v[34:35], v[8:9], v[6:7]
	;;#ASMEND
	v_pk_add_f32 v[6:7], v[20:21], 1.0 op_sel_hi:[1,0]
	v_pk_add_f32 v[8:9], v[22:23], 1.0 op_sel_hi:[1,0]
	v_cvt_f32_f16_sdwa v21, v72 dst_sel:DWORD dst_unused:UNUSED_PAD src0_sel:WORD_1
	v_cvt_f32_f16_e32 v20, v72
	v_cvt_f32_f16_sdwa v23, v73 dst_sel:DWORD dst_unused:UNUSED_PAD src0_sel:WORD_1
	v_cvt_f32_f16_e32 v22, v73
	v_cvt_f32_f16_e32 v24, v74
	v_pk_add_f32 v[20:21], v[20:21], 1.0 op_sel_hi:[1,0]
	v_pk_add_f32 v[26:27], v[26:27], 1.0 op_sel_hi:[1,0]
	;; [unrolled: 1-line block ×4, first 2 shown]
	;;#ASMSTART
	v_pk_mul_f32 v[54:55], v[10:11], v[6:7]
	;;#ASMEND
	;;#ASMSTART
	v_pk_mul_f32 v[24:25], v[12:13], v[8:9]
	;;#ASMEND
	;; [unrolled: 3-line block ×6, first 2 shown]
	s_or_b64 exec, exec, s[30:31]
	s_mov_b64 s[8:9], -1
	s_and_b64 vcc, exec, s[10:11]
	s_cbranch_vccz .LBB713_15
.LBB713_19:
	s_and_saveexec_b64 s[8:9], s[0:1]
	s_cbranch_execz .LBB713_21
; %bb.20:
	v_cvt_f16_f32_e32 v3, v54
	v_cvt_f16_f32_e32 v4, v24
	;; [unrolled: 1-line block ×4, first 2 shown]
	s_mul_hi_i32 s11, s16, s6
	s_mul_i32 s10, s16, s6
	v_pack_b32_f16 v7, v4, v5
	v_pack_b32_f16 v6, v3, v6
	v_cvt_f16_f32_e32 v3, v34
	v_cvt_f16_f32_e32 v4, v35
	s_lshl_b64 s[10:11], s[10:11], 1
	s_add_u32 s36, s18, s10
	s_addc_u32 s7, s19, s11
	v_pack_b32_f16 v5, v3, v4
	v_cvt_f16_f32_e32 v3, v48
	v_cvt_f16_f32_e32 v4, v49
	s_and_b32 s37, s7, 0xffff
	s_mov_b32 s39, 0x20000
	v_cvt_f16_f32_e32 v8, v15
	v_pack_b32_f16 v4, v3, v4
	v_lshlrev_b32_e32 v3, 5, v0
	buffer_store_dwordx4 v[4:7], v3, s[36:39], 0 offen
	;;#ASMSTART
	s_nop 0
	;;#ASMEND
	s_nop 0
	v_cvt_f16_f32_e32 v4, v14
	v_cvt_f16_f32_e32 v5, v88
	;; [unrolled: 1-line block ×3, first 2 shown]
	v_pack_b32_f16 v7, v5, v6
	v_pack_b32_f16 v6, v4, v8
	v_cvt_f16_f32_e32 v4, v18
	v_cvt_f16_f32_e32 v5, v19
	;; [unrolled: 1-line block ×3, first 2 shown]
	v_pack_b32_f16 v5, v4, v5
	v_cvt_f16_f32_e32 v4, v64
	v_pack_b32_f16 v4, v4, v8
	buffer_store_dwordx4 v[4:7], v3, s[36:39], 16 offen
	;;#ASMSTART
	s_nop 0
	;;#ASMEND
.LBB713_21:
	s_or_b64 exec, exec, s[8:9]
	s_cbranch_execnz .LBB713_16
.LBB713_22:
	v_mov_b32_e32 v3, 0
	s_and_saveexec_b64 s[8:9], s[0:1]
	s_cbranch_execz .LBB713_24
; %bb.23:
	v_cvt_f16_f32_e32 v3, v54
	v_cvt_f16_f32_e32 v4, v24
	;; [unrolled: 1-line block ×4, first 2 shown]
	s_load_dwordx2 s[10:11], s[4:5], 0x10
	s_mul_hi_i32 s31, s15, s6
	v_pack_b32_f16 v7, v4, v5
	v_pack_b32_f16 v6, v3, v6
	v_cvt_f16_f32_e32 v3, v34
	v_cvt_f16_f32_e32 v4, v35
	s_mul_i32 s30, s15, s6
	s_lshl_b64 s[30:31], s[30:31], 1
	s_waitcnt lgkmcnt(0)
	s_add_u32 s36, s10, s30
	v_pack_b32_f16 v5, v3, v4
	v_cvt_f16_f32_e32 v3, v48
	v_cvt_f16_f32_e32 v4, v49
	s_addc_u32 s7, s11, s31
	s_and_b32 s37, s7, 0xffff
	s_mov_b32 s39, 0x20000
	v_pack_b32_f16 v4, v3, v4
	v_lshlrev_b32_e32 v3, 5, v0
	buffer_store_dwordx4 v[4:7], v3, s[36:39], 0 offen
	v_cvt_f16_f32_e32 v8, v15
	v_cvt_f16_f32_e32 v4, v14
	;; [unrolled: 1-line block ×4, first 2 shown]
	;;#ASMSTART
	s_nop 0
	;;#ASMEND
	v_pack_b32_f16 v7, v5, v6
	v_pack_b32_f16 v6, v4, v8
	v_cvt_f16_f32_e32 v4, v18
	v_cvt_f16_f32_e32 v5, v19
	;; [unrolled: 1-line block ×3, first 2 shown]
	v_pack_b32_f16 v5, v4, v5
	v_cvt_f16_f32_e32 v4, v64
	v_pack_b32_f16 v4, v4, v8
	buffer_store_dwordx4 v[4:7], v3, s[36:39], 16 offen
	v_mov_b32_e32 v3, 0x2edbe6ff
	;;#ASMSTART
	s_nop 0
	;;#ASMEND
.LBB713_24:
	s_or_b64 exec, exec, s[8:9]
	s_and_saveexec_b64 s[8:9], s[0:1]
	s_cbranch_execz .LBB713_26
; %bb.25:
	v_and_b32_e32 v4, 0x7fffffff, v48
	v_and_b32_e32 v5, 0x7fffffff, v49
	;;#ASMSTART
	v_max3_f32 v3, v3, v4, v5

	;;#ASMEND
	v_and_b32_e32 v4, 0x7fffffff, v34
	v_and_b32_e32 v5, 0x7fffffff, v35
	;;#ASMSTART
	v_max3_f32 v3, v3, v4, v5

	;;#ASMEND
	;; [unrolled: 6-line block ×8, first 2 shown]
.LBB713_26:
	s_or_b64 exec, exec, s[8:9]
	v_cmp_eq_u32_e32 vcc, 0, v2
	v_cmp_gt_i32_e64 s[8:9], s23, v1
	;;#ASMSTART
	v_max_f32 v4, v3, v3 quad_perm:[1,0,3,2] row_mask:0xf bank_mask:0xf bound_ctrl:1
	;;#ASMEND
	v_mul_f32_e32 v3, 0x3b124925, v4
	s_and_b64 s[10:11], vcc, s[8:9]
	s_and_saveexec_b64 s[8:9], s[10:11]
	s_cbranch_execz .LBB713_28
; %bb.27:
	s_load_dwordx2 s[10:11], s[4:5], 0x8
	v_lshrrev_b32_e32 v2, 1, v0
	s_mul_hi_i32 s31, s13, s6
	s_mul_i32 s30, s13, s6
	v_mad_i64_i32 v[4:5], s[14:15], s14, v2, 0
	s_lshl_b64 s[14:15], s[30:31], 2
	s_waitcnt lgkmcnt(0)
	s_add_u32 s7, s10, s14
	s_addc_u32 s10, s11, s15
	v_lshlrev_b64 v[4:5], 2, v[4:5]
	v_mov_b32_e32 v2, s10
	v_add_co_u32_e32 v4, vcc, s7, v4
	v_addc_co_u32_e32 v5, vcc, v2, v5, vcc
	global_store_dword v[4:5], v3, off
.LBB713_28:
	s_or_b64 exec, exec, s[8:9]
	;;#ASMSTART
	v_rcp_f32 v2, v3
	;;#ASMEND
	s_and_saveexec_b64 s[14:15], s[0:1]
	s_cbranch_execz .LBB713_30
; %bb.29:
	v_mov_b32_e32 v3, v2
	;;#ASMSTART
	v_pk_mul_f32 v[4:5], v[48:49], v[2:3]
	;;#ASMEND
	v_mov_b32_e32 v10, 0xc3e00000
	v_mov_b32_e32 v11, 0x43e00000
	;;#ASMSTART
	v_med3_f32 v4, v4, v10, v11
v_med3_f32 v5, v5, v10, v11
v_cvt_pk_fp8_f32 v6, v4, v5
	;;#ASMEND
	;;#ASMSTART
	v_pk_mul_f32 v[4:5], v[34:35], v[2:3]
	;;#ASMEND
	;;#ASMSTART
	v_med3_f32 v4, v4, v10, v11
v_med3_f32 v5, v5, v10, v11
v_cvt_pk_fp8_f32 v7, v4, v5
	;;#ASMEND
	;;#ASMSTART
	v_pk_mul_f32 v[4:5], v[54:55], v[2:3]
	;;#ASMEND
	;; [unrolled: 8-line block ×3, first 2 shown]
	;;#ASMSTART
	v_med3_f32 v4, v4, v10, v11
v_med3_f32 v5, v5, v10, v11
v_cvt_pk_fp8_f32 v9, v4, v5
	;;#ASMEND
	s_mov_b32 s0, 0x5040100
	v_perm_b32 v4, v7, v6, s0
	s_mov_b32 s0, 0x1060504
	v_perm_b32 v4, v4, v7, s0
	s_load_dwordx2 s[0:1], s[4:5], 0x0
	s_mov_b32 s7, 0x1000504
	;;#ASMSTART
	v_pk_mul_f32 v[6:7], v[64:65], v[2:3]
	;;#ASMEND
	v_perm_b32 v5, v8, v9, s7
	s_mul_i32 s8, s12, s6
	;;#ASMSTART
	v_med3_f32 v6, v6, v10, v11
v_med3_f32 v7, v7, v10, v11
v_cvt_pk_fp8_f32 v8, v6, v7
	;;#ASMEND
	s_mul_hi_i32 s9, s12, s6
	s_waitcnt lgkmcnt(0)
	s_add_u32 s8, s0, s8
	;;#ASMSTART
	v_pk_mul_f32 v[6:7], v[18:19], v[2:3]
	;;#ASMEND
	s_addc_u32 s0, s1, s9
	s_add_i32 s1, s23, 3
	;;#ASMSTART
	v_med3_f32 v6, v6, v10, v11
v_med3_f32 v7, v7, v10, v11
v_cvt_pk_fp8_f32 v9, v6, v7
	;;#ASMEND
	s_ashr_i32 s9, s1, 31
	v_perm_b32 v6, v8, v9, s7
	;;#ASMSTART
	v_pk_mul_f32 v[8:9], v[14:15], v[2:3]
	;;#ASMEND
	v_mov_b32_e32 v7, v9
	s_lshr_b32 s9, s9, 30
	;;#ASMSTART
	v_med3_f32 v8, v8, v10, v11
v_med3_f32 v7, v7, v10, v11
v_cvt_pk_fp8_f32 v9, v8, v7
	;;#ASMEND
	;;#ASMSTART
	v_pk_mul_f32 v[2:3], v[88:89], v[2:3]
	;;#ASMEND
	s_add_i32 s1, s1, s9
	;;#ASMSTART
	v_med3_f32 v2, v2, v10, v11
v_med3_f32 v3, v3, v10, v11
v_cvt_pk_fp8_f32 v7, v2, v3
	;;#ASMEND
	s_and_b32 s10, s1, -4
	s_and_b32 s9, s0, 0xffff
	s_mov_b32 s11, 0x20000
	v_perm_b32 v7, v9, v7, s7
	buffer_store_dwordx4 v[4:7], v1, s[8:11], 0 offen
	;;#ASMSTART
	s_nop 0
	;;#ASMEND
.LBB713_30:
	s_or_b64 exec, exec, s[14:15]
	s_cmp_lt_i32 s24, 1
	s_cbranch_scc1 .LBB713_17
.LBB713_31:
	s_load_dword s0, s[4:5], 0x94
	s_waitcnt lgkmcnt(0)
	s_cmp_lg_u32 s0, 1
	s_cbranch_scc1 .LBB713_17
; %bb.32:
	s_lshl_b32 s0, s24, 1
	s_add_i32 s0, s0, 2
	v_cmp_gt_u32_e32 vcc, s24, v1
	s_and_b32 s30, s0, -4
	v_mov_b32_e32 v18, 0
	v_lshlrev_b32_e32 v1, 5, v0
	v_mov_b32_e32 v14, 0
	v_mov_b32_e32 v15, 0
	;; [unrolled: 1-line block ×16, first 2 shown]
	s_barrier
	s_and_saveexec_b64 s[0:1], vcc
	s_cbranch_execz .LBB713_34
; %bb.33:
	s_mul_hi_i32 s5, s26, s6
	s_mul_i32 s4, s26, s6
	s_and_b32 s29, s29, 0xffff
	s_lshl_b64 s[4:5], s[4:5], 1
	s_add_u32 s8, s34, s4
	s_mov_b32 s31, 0x20000
	s_addc_u32 s4, s35, s5
	s_and_b32 s9, s4, 0xffff
	s_mov_b32 s10, s30
	s_mov_b32 s11, s31
	buffer_load_dwordx4 v[14:17], v1, s[8:11], 0 offen
	buffer_load_dwordx4 v[10:13], v1, s[8:11], 16 offen
	;; [unrolled: 1-line block ×4, first 2 shown]
.LBB713_34:
	s_or_b64 exec, exec, s[0:1]
	v_mov_b32_e32 v19, 0
	v_mov_b32_e32 v32, 0
	;; [unrolled: 1-line block ×15, first 2 shown]
	s_and_saveexec_b64 s[0:1], vcc
	s_cbranch_execz .LBB713_36
; %bb.35:
	s_waitcnt vmcnt(3)
	v_cvt_f32_f16_sdwa v19, v14 dst_sel:DWORD dst_unused:UNUSED_PAD src0_sel:WORD_1
	v_cvt_f32_f16_e32 v18, v14
	v_cvt_f32_f16_sdwa v33, v15 dst_sel:DWORD dst_unused:UNUSED_PAD src0_sel:WORD_1
	v_cvt_f32_f16_e32 v32, v15
	;; [unrolled: 2-line block ×4, first 2 shown]
	s_waitcnt vmcnt(2)
	v_cvt_f32_f16_sdwa v27, v10 dst_sel:DWORD dst_unused:UNUSED_PAD src0_sel:WORD_1
	v_cvt_f32_f16_e32 v26, v10
	v_cvt_f32_f16_sdwa v25, v11 dst_sel:DWORD dst_unused:UNUSED_PAD src0_sel:WORD_1
	v_cvt_f32_f16_e32 v24, v11
	;; [unrolled: 2-line block ×4, first 2 shown]
.LBB713_36:
	s_or_b64 exec, exec, s[0:1]
	s_waitcnt vmcnt(2)
	v_mul_f32_e32 v10, v19, v19
	v_fmac_f32_e32 v10, v18, v18
	v_fmac_f32_e32 v10, v32, v32
	;; [unrolled: 1-line block ×15, first 2 shown]
	s_nop 1
	v_mov_b32_dpp v11, v10 quad_perm:[1,0,3,2] row_mask:0xf bank_mask:0xf
	v_add_f32_e32 v10, v10, v11
	s_nop 1
	v_mov_b32_dpp v11, v10 quad_perm:[2,3,0,1] row_mask:0xf bank_mask:0xf
	v_add_f32_e32 v10, v10, v11
	s_nop 1
	v_mov_b32_dpp v11, v10 row_half_mirror row_mask:0xf bank_mask:0xf
	v_add_f32_e32 v10, v10, v11
	s_nop 1
	v_mov_b32_dpp v11, v10 row_mirror row_mask:0xf bank_mask:0xf
	v_add_f32_e32 v10, v10, v11
	s_nop 1
	v_mov_b32_dpp v11, v10 row_bcast:15 row_mask:0xf bank_mask:0xf
	v_add_f32_e32 v10, v10, v11
	s_nop 1
	v_mov_b32_dpp v11, v10 row_bcast:31 row_mask:0xf bank_mask:0xf
	s_and_saveexec_b64 s[0:1], s[2:3]
	s_cbranch_execz .LBB713_38
; %bb.37:
	v_lshrrev_b32_e32 v0, 4, v0
	v_add_f32_e32 v10, v10, v11
	v_and_b32_e32 v0, 60, v0
	ds_write_b32 v0, v10
.LBB713_38:
	s_or_b64 exec, exec, s[0:1]
	s_waitcnt lgkmcnt(0)
	s_barrier
	ds_read_b32 v0, v36
	s_waitcnt lgkmcnt(0)
	s_nop 0
	v_mov_b32_dpp v10, v0 quad_perm:[1,0,3,2] row_mask:0xf bank_mask:0xf
	s_and_saveexec_b64 s[0:1], vcc
	s_cbranch_execz .LBB713_17
; %bb.39:
	v_cvt_f32_u32_e32 v11, s24
	v_add_f32_e32 v0, v0, v10
	s_mov_b32 s31, 0x20000
	v_div_scale_f32 v10, s[0:1], v11, v11, v0
	v_rcp_f32_e32 v12, v10
	v_div_scale_f32 v13, vcc, v0, v11, v0
	s_mov_b32 s0, 0x800000
	v_fma_f32 v14, -v10, v12, 1.0
	v_fmac_f32_e32 v12, v14, v12
	v_mul_f32_e32 v14, v13, v12
	v_fma_f32 v15, -v10, v14, v13
	v_fmac_f32_e32 v14, v15, v12
	v_fma_f32 v10, -v10, v14, v13
	v_div_fmas_f32 v10, v10, v12, v14
	v_div_fixup_f32 v0, v10, v11, v0
	v_add_f32_e32 v0, s21, v0
	v_mul_f32_e32 v10, 0x4b800000, v0
	v_cmp_gt_f32_e32 vcc, s0, v0
	v_cndmask_b32_e32 v0, v0, v10, vcc
	v_rsq_f32_e32 v0, v0
	s_mul_hi_i32 s1, s16, s6
	s_mul_i32 s0, s16, s6
	s_lshl_b64 s[0:1], s[0:1], 1
	v_mul_f32_e32 v10, 0x45800000, v0
	v_cndmask_b32_e32 v10, v0, v10, vcc
	v_mov_b32_e32 v11, v10
	;;#ASMSTART
	v_pk_mul_f32 v[12:13], v[18:19], v[10:11]
	;;#ASMEND
	;;#ASMSTART
	v_pk_mul_f32 v[14:15], v[32:33], v[10:11]
	;;#ASMEND
	;; [unrolled: 3-line block ×4, first 2 shown]
	s_waitcnt vmcnt(1)
	v_cvt_f32_f16_sdwa v29, v6 dst_sel:DWORD dst_unused:UNUSED_PAD src0_sel:WORD_1
	v_cvt_f32_f16_e32 v28, v6
	v_cvt_f32_f16_sdwa v31, v7 dst_sel:DWORD dst_unused:UNUSED_PAD src0_sel:WORD_1
	v_cvt_f32_f16_e32 v30, v7
	;;#ASMSTART
	v_pk_mul_f32 v[26:27], v[26:27], v[10:11]
	;;#ASMEND
	;;#ASMSTART
	v_pk_mul_f32 v[24:25], v[24:25], v[10:11]
	;;#ASMEND
	;;#ASMSTART
	v_pk_mul_f32 v[22:23], v[22:23], v[10:11]
	;;#ASMEND
	;;#ASMSTART
	v_pk_mul_f32 v[6:7], v[20:21], v[10:11]
	;;#ASMEND
	v_cvt_f32_f16_sdwa v21, v8 dst_sel:DWORD dst_unused:UNUSED_PAD src0_sel:WORD_1
	v_cvt_f32_f16_e32 v20, v8
	v_pk_add_f32 v[10:11], v[28:29], 1.0 op_sel_hi:[1,0]
	;;#ASMSTART
	v_pk_mul_f32 v[10:11], v[12:13], v[10:11]
	;;#ASMEND
	v_pk_add_f32 v[12:13], v[30:31], 1.0 op_sel_hi:[1,0]
	v_cvt_f32_f16_sdwa v29, v9 dst_sel:DWORD dst_unused:UNUSED_PAD src0_sel:WORD_1
	v_cvt_f32_f16_e32 v28, v9
	;;#ASMSTART
	v_pk_mul_f32 v[8:9], v[14:15], v[12:13]
	;;#ASMEND
	v_pk_add_f32 v[12:13], v[20:21], 1.0 op_sel_hi:[1,0]
	;;#ASMSTART
	v_pk_mul_f32 v[12:13], v[16:17], v[12:13]
	;;#ASMEND
	s_waitcnt vmcnt(0)
	v_cvt_f32_f16_sdwa v17, v2 dst_sel:DWORD dst_unused:UNUSED_PAD src0_sel:WORD_1
	v_cvt_f32_f16_e32 v16, v2
	v_cvt_f32_f16_sdwa v21, v3 dst_sel:DWORD dst_unused:UNUSED_PAD src0_sel:WORD_1
	v_cvt_f32_f16_e32 v20, v3
	v_pk_add_f32 v[14:15], v[28:29], 1.0 op_sel_hi:[1,0]
	;;#ASMSTART
	v_pk_mul_f32 v[2:3], v[18:19], v[14:15]
	;;#ASMEND
	v_cvt_f32_f16_sdwa v19, v4 dst_sel:DWORD dst_unused:UNUSED_PAD src0_sel:WORD_1
	v_cvt_f32_f16_e32 v18, v4
	v_pk_add_f32 v[14:15], v[16:17], 1.0 op_sel_hi:[1,0]
	v_pk_add_f32 v[16:17], v[20:21], 1.0 op_sel_hi:[1,0]
	v_cvt_f32_f16_sdwa v21, v5 dst_sel:DWORD dst_unused:UNUSED_PAD src0_sel:WORD_1
	v_cvt_f32_f16_e32 v20, v5
	v_pk_add_f32 v[4:5], v[18:19], 1.0 op_sel_hi:[1,0]
	;;#ASMSTART
	v_pk_mul_f32 v[14:15], v[26:27], v[14:15]
	;;#ASMEND
	;;#ASMSTART
	v_pk_mul_f32 v[16:17], v[24:25], v[16:17]
	;;#ASMEND
	;; [unrolled: 3-line block ×3, first 2 shown]
	v_pk_add_f32 v[4:5], v[20:21], 1.0 op_sel_hi:[1,0]
	;;#ASMSTART
	v_pk_mul_f32 v[6:7], v[6:7], v[4:5]
	;;#ASMEND
	v_cvt_f16_f32_e32 v0, v10
	v_cvt_f16_f32_e32 v4, v11
	;; [unrolled: 1-line block ×8, first 2 shown]
	s_add_u32 s28, s18, s0
	s_addc_u32 s0, s19, s1
	s_and_b32 s29, s0, 0xffff
	v_pack_b32_f16 v2, v0, v4
	v_pack_b32_f16 v3, v5, v8
	;; [unrolled: 1-line block ×4, first 2 shown]
	buffer_store_dwordx4 v[2:5], v1, s[28:31], 0 offen
	v_cvt_f16_f32_e32 v0, v14
	v_cvt_f16_f32_e32 v2, v15
	;; [unrolled: 1-line block ×8, first 2 shown]
	v_pack_b32_f16 v2, v0, v2
	v_pack_b32_f16 v3, v3, v4
	;; [unrolled: 1-line block ×4, first 2 shown]
	;;#ASMSTART
	s_nop 0
	;;#ASMEND
	buffer_store_dwordx4 v[2:5], v1, s[28:31], 16 offen
	;;#ASMSTART
	s_nop 0
	;;#ASMEND
	s_endpgm
	.section	.rodata,"a",@progbits
	.p2align	6, 0x0
	.amdhsa_kernel _ZN5aiter35fused_qk_rmsnorm_group_quant_kernelIDF16_DB8_Li128ELi16ELi2ELb1ELb1ELb1ELb0ELb0ELb0EEEvPT0_PvPT_S6_S6_PKS5_S8_S8_S8_S8_ffiiiiiiiiiiiii
		.amdhsa_group_segment_fixed_size 16
		.amdhsa_private_segment_fixed_size 0
		.amdhsa_kernarg_size 400
		.amdhsa_user_sgpr_count 6
		.amdhsa_user_sgpr_private_segment_buffer 1
		.amdhsa_user_sgpr_dispatch_ptr 0
		.amdhsa_user_sgpr_queue_ptr 0
		.amdhsa_user_sgpr_kernarg_segment_ptr 1
		.amdhsa_user_sgpr_dispatch_id 0
		.amdhsa_user_sgpr_flat_scratch_init 0
		.amdhsa_user_sgpr_kernarg_preload_length 0
		.amdhsa_user_sgpr_kernarg_preload_offset 0
		.amdhsa_user_sgpr_private_segment_size 0
		.amdhsa_uses_dynamic_stack 0
		.amdhsa_system_sgpr_private_segment_wavefront_offset 0
		.amdhsa_system_sgpr_workgroup_id_x 1
		.amdhsa_system_sgpr_workgroup_id_y 1
		.amdhsa_system_sgpr_workgroup_id_z 0
		.amdhsa_system_sgpr_workgroup_info 0
		.amdhsa_system_vgpr_workitem_id 0
		.amdhsa_next_free_vgpr 90
		.amdhsa_next_free_sgpr 44
		.amdhsa_accum_offset 92
		.amdhsa_reserve_vcc 1
		.amdhsa_reserve_flat_scratch 0
		.amdhsa_float_round_mode_32 0
		.amdhsa_float_round_mode_16_64 0
		.amdhsa_float_denorm_mode_32 3
		.amdhsa_float_denorm_mode_16_64 3
		.amdhsa_dx10_clamp 1
		.amdhsa_ieee_mode 1
		.amdhsa_fp16_overflow 0
		.amdhsa_tg_split 0
		.amdhsa_exception_fp_ieee_invalid_op 0
		.amdhsa_exception_fp_denorm_src 0
		.amdhsa_exception_fp_ieee_div_zero 0
		.amdhsa_exception_fp_ieee_overflow 0
		.amdhsa_exception_fp_ieee_underflow 0
		.amdhsa_exception_fp_ieee_inexact 0
		.amdhsa_exception_int_div_zero 0
	.end_amdhsa_kernel
	.section	.text._ZN5aiter35fused_qk_rmsnorm_group_quant_kernelIDF16_DB8_Li128ELi16ELi2ELb1ELb1ELb1ELb0ELb0ELb0EEEvPT0_PvPT_S6_S6_PKS5_S8_S8_S8_S8_ffiiiiiiiiiiiii,"axG",@progbits,_ZN5aiter35fused_qk_rmsnorm_group_quant_kernelIDF16_DB8_Li128ELi16ELi2ELb1ELb1ELb1ELb0ELb0ELb0EEEvPT0_PvPT_S6_S6_PKS5_S8_S8_S8_S8_ffiiiiiiiiiiiii,comdat
.Lfunc_end713:
	.size	_ZN5aiter35fused_qk_rmsnorm_group_quant_kernelIDF16_DB8_Li128ELi16ELi2ELb1ELb1ELb1ELb0ELb0ELb0EEEvPT0_PvPT_S6_S6_PKS5_S8_S8_S8_S8_ffiiiiiiiiiiiii, .Lfunc_end713-_ZN5aiter35fused_qk_rmsnorm_group_quant_kernelIDF16_DB8_Li128ELi16ELi2ELb1ELb1ELb1ELb0ELb0ELb0EEEvPT0_PvPT_S6_S6_PKS5_S8_S8_S8_S8_ffiiiiiiiiiiiii
                                        ; -- End function
	.section	.AMDGPU.csdata,"",@progbits
; Kernel info:
; codeLenInByte = 4348
; NumSgprs: 48
; NumVgprs: 90
; NumAgprs: 0
; TotalNumVgprs: 90
; ScratchSize: 0
; MemoryBound: 0
; FloatMode: 240
; IeeeMode: 1
; LDSByteSize: 16 bytes/workgroup (compile time only)
; SGPRBlocks: 5
; VGPRBlocks: 11
; NumSGPRsForWavesPerEU: 48
; NumVGPRsForWavesPerEU: 90
; AccumOffset: 92
; Occupancy: 5
; WaveLimiterHint : 0
; COMPUTE_PGM_RSRC2:SCRATCH_EN: 0
; COMPUTE_PGM_RSRC2:USER_SGPR: 6
; COMPUTE_PGM_RSRC2:TRAP_HANDLER: 0
; COMPUTE_PGM_RSRC2:TGID_X_EN: 1
; COMPUTE_PGM_RSRC2:TGID_Y_EN: 1
; COMPUTE_PGM_RSRC2:TGID_Z_EN: 0
; COMPUTE_PGM_RSRC2:TIDIG_COMP_CNT: 0
; COMPUTE_PGM_RSRC3_GFX90A:ACCUM_OFFSET: 22
; COMPUTE_PGM_RSRC3_GFX90A:TG_SPLIT: 0
	.section	.text._ZN5aiter35fused_qk_rmsnorm_group_quant_kernelItDB8_Li128ELi16ELi2ELb1ELb1ELb1ELb0ELb0ELb0EEEvPT0_PvPT_S6_S6_PKS5_S8_S8_S8_S8_ffiiiiiiiiiiiii,"axG",@progbits,_ZN5aiter35fused_qk_rmsnorm_group_quant_kernelItDB8_Li128ELi16ELi2ELb1ELb1ELb1ELb0ELb0ELb0EEEvPT0_PvPT_S6_S6_PKS5_S8_S8_S8_S8_ffiiiiiiiiiiiii,comdat
	.protected	_ZN5aiter35fused_qk_rmsnorm_group_quant_kernelItDB8_Li128ELi16ELi2ELb1ELb1ELb1ELb0ELb0ELb0EEEvPT0_PvPT_S6_S6_PKS5_S8_S8_S8_S8_ffiiiiiiiiiiiii ; -- Begin function _ZN5aiter35fused_qk_rmsnorm_group_quant_kernelItDB8_Li128ELi16ELi2ELb1ELb1ELb1ELb0ELb0ELb0EEEvPT0_PvPT_S6_S6_PKS5_S8_S8_S8_S8_ffiiiiiiiiiiiii
	.globl	_ZN5aiter35fused_qk_rmsnorm_group_quant_kernelItDB8_Li128ELi16ELi2ELb1ELb1ELb1ELb0ELb0ELb0EEEvPT0_PvPT_S6_S6_PKS5_S8_S8_S8_S8_ffiiiiiiiiiiiii
	.p2align	8
	.type	_ZN5aiter35fused_qk_rmsnorm_group_quant_kernelItDB8_Li128ELi16ELi2ELb1ELb1ELb1ELb0ELb0ELb0EEEvPT0_PvPT_S6_S6_PKS5_S8_S8_S8_S8_ffiiiiiiiiiiiii,@function
_ZN5aiter35fused_qk_rmsnorm_group_quant_kernelItDB8_Li128ELi16ELi2ELb1ELb1ELb1ELb0ELb0ELb0EEEvPT0_PvPT_S6_S6_PKS5_S8_S8_S8_S8_ffiiiiiiiiiiiii: ; @_ZN5aiter35fused_qk_rmsnorm_group_quant_kernelItDB8_Li128ELi16ELi2ELb1ELb1ELb1ELb0ELb0ELb0EEEvPT0_PvPT_S6_S6_PKS5_S8_S8_S8_S8_ffiiiiiiiiiiiii
; %bb.0:
	s_load_dwordx8 s[20:27], s[4:5], 0x50
	s_waitcnt lgkmcnt(0)
	s_cmp_ge_i32 s6, s22
	s_cbranch_scc1 .LBB714_17
; %bb.1:
	s_cmp_lg_u32 s7, 0
	s_cselect_b64 s[10:11], -1, 0
	s_cmp_eq_u32 s7, 0
	s_cselect_b64 s[8:9], -1, 0
	s_and_b64 s[0:1], s[8:9], exec
	s_load_dwordx2 s[28:29], s[4:5], 0x48
	s_load_dwordx2 s[34:35], s[4:5], 0x30
	s_load_dwordx8 s[12:19], s[4:5], 0x70
	s_cselect_b32 s7, s23, s24
	s_add_i32 s0, s7, 1
	s_lshr_b32 s1, s0, 31
	s_add_i32 s0, s0, s1
	s_lshl_b32 s0, s0, 1
	v_lshlrev_b32_e32 v1, 4, v0
	s_and_b32 s38, s0, -4
	v_cmp_gt_i32_e64 s[0:1], s7, v1
	v_mov_b32_e32 v74, 0
	v_mov_b32_e32 v75, 0
	v_mov_b32_e32 v76, 0
	v_mov_b32_e32 v77, 0
	v_mov_b32_e32 v70, 0
	v_mov_b32_e32 v71, 0
	v_mov_b32_e32 v72, 0
	v_mov_b32_e32 v73, 0
	v_mov_b32_e32 v78, 0
	v_mov_b32_e32 v79, 0
	v_mov_b32_e32 v80, 0
	v_mov_b32_e32 v81, 0
	v_mov_b32_e32 v82, 0
	v_mov_b32_e32 v83, 0
	v_mov_b32_e32 v84, 0
	v_mov_b32_e32 v85, 0
	s_and_saveexec_b64 s[2:3], s[0:1]
	s_cbranch_execz .LBB714_3
; %bb.2:
	s_waitcnt lgkmcnt(0)
	s_load_dwordx2 s[18:19], s[4:5], 0x28
	s_load_dwordx2 s[30:31], s[4:5], 0x40
	s_and_b64 s[36:37], s[8:9], exec
	s_cselect_b32 s22, s25, s26
	s_mov_b32 s39, 0x20000
	s_waitcnt lgkmcnt(0)
	s_cselect_b32 s25, s19, s35
	s_cselect_b32 s33, s18, s34
	s_mul_hi_i32 s19, s22, s6
	s_mul_i32 s18, s22, s6
	s_lshl_b64 s[18:19], s[18:19], 1
	s_add_u32 s40, s33, s18
	s_addc_u32 s22, s25, s19
	s_and_b64 s[18:19], s[8:9], exec
	s_cselect_b32 s36, s30, s28
	s_cselect_b32 s18, s31, s29
	s_and_b32 s41, s22, 0xffff
	s_mov_b32 s42, s38
	s_mov_b32 s43, s39
	v_lshlrev_b32_e32 v2, 5, v0
	s_and_b32 s37, s18, 0xffff
	buffer_load_dwordx4 v[78:81], v2, s[40:43], 0 offen
	buffer_load_dwordx4 v[82:85], v2, s[40:43], 16 offen
	;; [unrolled: 1-line block ×4, first 2 shown]
.LBB714_3:
	s_or_b64 exec, exec, s[2:3]
	s_and_b64 vcc, exec, s[10:11]
	s_cbranch_vccz .LBB714_7
; %bb.4:
	v_mov_b32_e32 v87, 0
	v_mov_b32_e32 v86, 0
	;; [unrolled: 1-line block ×16, first 2 shown]
	s_and_saveexec_b64 s[2:3], s[0:1]
	s_cbranch_execz .LBB714_6
; %bb.5:
	s_waitcnt vmcnt(3)
	v_cvt_f32_u32_sdwa v52, v78 dst_sel:DWORD dst_unused:UNUSED_PAD src0_sel:WORD_0
	v_cvt_f32_u32_sdwa v53, v78 dst_sel:DWORD dst_unused:UNUSED_PAD src0_sel:WORD_1
	v_cvt_f32_u32_sdwa v34, v79 dst_sel:DWORD dst_unused:UNUSED_PAD src0_sel:WORD_0
	v_cvt_f32_u32_sdwa v35, v79 dst_sel:DWORD dst_unused:UNUSED_PAD src0_sel:WORD_1
	;; [unrolled: 2-line block ×4, first 2 shown]
	s_waitcnt vmcnt(2)
	v_cvt_f32_u32_sdwa v44, v82 dst_sel:DWORD dst_unused:UNUSED_PAD src0_sel:WORD_0
	v_cvt_f32_u32_sdwa v45, v82 dst_sel:DWORD dst_unused:UNUSED_PAD src0_sel:WORD_1
	v_cvt_f32_u32_sdwa v18, v83 dst_sel:DWORD dst_unused:UNUSED_PAD src0_sel:WORD_0
	v_cvt_f32_u32_sdwa v19, v83 dst_sel:DWORD dst_unused:UNUSED_PAD src0_sel:WORD_1
	;; [unrolled: 2-line block ×4, first 2 shown]
.LBB714_6:
	s_or_b64 exec, exec, s[2:3]
	s_cbranch_execz .LBB714_8
	s_branch .LBB714_11
.LBB714_7:
                                        ; implicit-def: $vgpr32_vgpr33_vgpr34_vgpr35_vgpr36_vgpr37_vgpr38_vgpr39_vgpr40_vgpr41_vgpr42_vgpr43_vgpr44_vgpr45_vgpr46_vgpr47
                                        ; implicit-def: $vgpr18_vgpr19_vgpr20_vgpr21_vgpr22_vgpr23_vgpr24_vgpr25_vgpr26_vgpr27_vgpr28_vgpr29_vgpr30_vgpr31_vgpr32_vgpr33
                                        ; implicit-def: $vgpr52_vgpr53_vgpr54_vgpr55_vgpr56_vgpr57_vgpr58_vgpr59_vgpr60_vgpr61_vgpr62_vgpr63_vgpr64_vgpr65_vgpr66_vgpr67
                                        ; implicit-def: $vgpr87
                                        ; implicit-def: $vgpr54_vgpr55_vgpr56_vgpr57_vgpr58_vgpr59_vgpr60_vgpr61_vgpr62_vgpr63_vgpr64_vgpr65_vgpr66_vgpr67_vgpr68_vgpr69
                                        ; implicit-def: $vgpr8_vgpr9_vgpr10_vgpr11_vgpr12_vgpr13_vgpr14_vgpr15_vgpr16_vgpr17_vgpr18_vgpr19_vgpr20_vgpr21_vgpr22_vgpr23
                                        ; implicit-def: $vgpr36_vgpr37_vgpr38_vgpr39_vgpr40_vgpr41_vgpr42_vgpr43_vgpr44_vgpr45_vgpr46_vgpr47_vgpr48_vgpr49_vgpr50_vgpr51
                                        ; implicit-def: $vgpr2_vgpr3_vgpr4_vgpr5_vgpr6_vgpr7_vgpr8_vgpr9_vgpr10_vgpr11_vgpr12_vgpr13_vgpr14_vgpr15_vgpr16_vgpr17
.LBB714_8:
	v_mov_b32_e32 v87, 0
	v_mov_b32_e32 v86, 0
	;; [unrolled: 1-line block ×16, first 2 shown]
	s_and_saveexec_b64 s[2:3], s[0:1]
	s_cbranch_execz .LBB714_10
; %bb.9:
	s_waitcnt lgkmcnt(0)
	s_load_dwordx2 s[18:19], s[4:5], 0x38
	s_mul_hi_i32 s31, s27, s6
	s_mul_i32 s30, s27, s6
	s_lshl_b64 s[30:31], s[30:31], 1
	s_mov_b32 s39, 0x20000
	s_waitcnt lgkmcnt(0)
	s_add_u32 s36, s18, s30
	s_addc_u32 s18, s19, s31
	s_and_b32 s37, s18, 0xffff
	v_lshlrev_b32_e32 v38, 5, v0
	buffer_load_dwordx4 v[4:7], v38, s[36:39], 16 offen
	buffer_load_dwordx4 v[8:11], v38, s[36:39], 0 offen
	s_load_dwordx2 s[18:19], s[4:5], 0x20
	s_waitcnt vmcnt(5)
	v_cvt_f32_u32_sdwa v19, v78 dst_sel:DWORD dst_unused:UNUSED_PAD src0_sel:WORD_1
	v_cvt_f32_u32_sdwa v18, v78 dst_sel:DWORD dst_unused:UNUSED_PAD src0_sel:WORD_0
	v_cvt_f32_u32_sdwa v21, v79 dst_sel:DWORD dst_unused:UNUSED_PAD src0_sel:WORD_1
	v_cvt_f32_u32_sdwa v20, v79 dst_sel:DWORD dst_unused:UNUSED_PAD src0_sel:WORD_0
	;; [unrolled: 2-line block ×4, first 2 shown]
	s_waitcnt vmcnt(4)
	v_cvt_f32_u32_sdwa v3, v82 dst_sel:DWORD dst_unused:UNUSED_PAD src0_sel:WORD_1
	v_cvt_f32_u32_sdwa v2, v82 dst_sel:DWORD dst_unused:UNUSED_PAD src0_sel:WORD_0
	v_cvt_f32_u32_sdwa v13, v83 dst_sel:DWORD dst_unused:UNUSED_PAD src0_sel:WORD_1
	v_cvt_f32_u32_sdwa v12, v83 dst_sel:DWORD dst_unused:UNUSED_PAD src0_sel:WORD_0
	;; [unrolled: 2-line block ×3, first 2 shown]
	v_cvt_f32_u32_sdwa v16, v85 dst_sel:DWORD dst_unused:UNUSED_PAD src0_sel:WORD_0
	v_cvt_f32_u32_sdwa v17, v85 dst_sel:DWORD dst_unused:UNUSED_PAD src0_sel:WORD_1
	s_mul_hi_i32 s31, s17, s6
	s_mul_i32 s30, s17, s6
	s_lshl_b64 s[30:31], s[30:31], 1
	s_waitcnt lgkmcnt(0)
	s_add_u32 s36, s18, s30
	s_mov_b32 s17, 0x7060302
	s_addc_u32 s18, s19, s31
	s_and_b32 s37, s18, 0xffff
	s_waitcnt vmcnt(1)
	v_cvt_f32_u32_sdwa v27, v4 dst_sel:DWORD dst_unused:UNUSED_PAD src0_sel:WORD_1
	v_cvt_f32_u32_sdwa v26, v4 dst_sel:DWORD dst_unused:UNUSED_PAD src0_sel:WORD_0
	v_cvt_f32_u32_sdwa v29, v5 dst_sel:DWORD dst_unused:UNUSED_PAD src0_sel:WORD_1
	v_cvt_f32_u32_sdwa v28, v5 dst_sel:DWORD dst_unused:UNUSED_PAD src0_sel:WORD_0
	;; [unrolled: 2-line block ×3, first 2 shown]
	v_cvt_f32_u32_sdwa v32, v7 dst_sel:DWORD dst_unused:UNUSED_PAD src0_sel:WORD_0
	v_cvt_f32_u32_sdwa v33, v7 dst_sel:DWORD dst_unused:UNUSED_PAD src0_sel:WORD_1
	s_waitcnt vmcnt(0)
	v_cvt_f32_u32_sdwa v37, v8 dst_sel:DWORD dst_unused:UNUSED_PAD src0_sel:WORD_1
	v_cvt_f32_u32_sdwa v36, v8 dst_sel:DWORD dst_unused:UNUSED_PAD src0_sel:WORD_0
	v_cvt_f32_u32_sdwa v5, v10 dst_sel:DWORD dst_unused:UNUSED_PAD src0_sel:WORD_1
	v_cvt_f32_u32_sdwa v4, v10 dst_sel:DWORD dst_unused:UNUSED_PAD src0_sel:WORD_0
	;; [unrolled: 2-line block ×4, first 2 shown]
	v_pk_add_f32 v[58:59], v[22:23], v[4:5]
	v_pk_add_f32 v[24:25], v[24:25], v[6:7]
	;; [unrolled: 1-line block ×4, first 2 shown]
	v_perm_b32 v7, v25, v24, s17
	v_perm_b32 v6, v59, v58, s17
	;; [unrolled: 1-line block ×4, first 2 shown]
	v_pk_add_f32 v[86:87], v[16:17], v[32:33]
	v_pk_add_f32 v[14:15], v[14:15], v[30:31]
	;; [unrolled: 1-line block ×4, first 2 shown]
	buffer_store_dwordx4 v[4:7], v38, s[36:39], 0 offen
	;;#ASMSTART
	s_nop 0
	;;#ASMEND
	s_nop 0
	v_perm_b32 v7, v87, v86, s17
	v_perm_b32 v6, v15, v14, s17
	;; [unrolled: 1-line block ×4, first 2 shown]
	buffer_store_dwordx4 v[4:7], v38, s[36:39], 16 offen
	;;#ASMSTART
	s_nop 0
	;;#ASMEND
.LBB714_10:
	s_or_b64 exec, exec, s[2:3]
.LBB714_11:
	v_mul_f32_e32 v2, v53, v53
	v_fmac_f32_e32 v2, v52, v52
	v_fmac_f32_e32 v2, v34, v34
	;; [unrolled: 1-line block ×15, first 2 shown]
	s_nop 1
	v_mov_b32_dpp v3, v2 quad_perm:[1,0,3,2] row_mask:0xf bank_mask:0xf
	v_add_f32_e32 v2, v2, v3
	s_nop 1
	v_mov_b32_dpp v3, v2 quad_perm:[2,3,0,1] row_mask:0xf bank_mask:0xf
	v_add_f32_e32 v2, v2, v3
	s_nop 1
	v_mov_b32_dpp v3, v2 row_half_mirror row_mask:0xf bank_mask:0xf
	v_add_f32_e32 v2, v2, v3
	s_nop 1
	v_mov_b32_dpp v3, v2 row_mirror row_mask:0xf bank_mask:0xf
	v_add_f32_e32 v2, v2, v3
	s_nop 1
	v_mov_b32_dpp v3, v2 row_bcast:15 row_mask:0xf bank_mask:0xf
	v_add_f32_e32 v2, v2, v3
	v_and_b32_e32 v3, 63, v0
	v_cmp_eq_u32_e64 s[2:3], 63, v3
	s_nop 0
	v_mov_b32_dpp v3, v2 row_bcast:31 row_mask:0xf bank_mask:0xf
	s_waitcnt lgkmcnt(0)
	s_and_saveexec_b64 s[18:19], s[2:3]
	s_cbranch_execz .LBB714_13
; %bb.12:
	v_add_f32_e32 v2, v2, v3
	v_lshrrev_b32_e32 v3, 4, v0
	v_and_b32_e32 v3, 60, v3
	ds_write_b32 v3, v2 offset:8
.LBB714_13:
	s_or_b64 exec, exec, s[18:19]
	v_and_b32_e32 v2, 1, v0
	v_lshlrev_b32_e32 v36, 2, v2
	s_waitcnt lgkmcnt(0)
	s_barrier
	ds_read_b32 v3, v36 offset:8
	s_load_dwordx2 s[18:19], s[4:5], 0x18
	s_waitcnt lgkmcnt(0)
	v_mov_b32_dpp v4, v3 quad_perm:[1,0,3,2] row_mask:0xf bank_mask:0xf
	s_and_saveexec_b64 s[30:31], s[0:1]
	s_cbranch_execnz .LBB714_18
; %bb.14:
	s_or_b64 exec, exec, s[30:31]
	s_mov_b64 s[8:9], -1
	s_and_b64 vcc, exec, s[10:11]
	s_cbranch_vccnz .LBB714_19
.LBB714_15:
	s_andn2_b64 vcc, exec, s[8:9]
	s_cbranch_vccz .LBB714_22
.LBB714_16:
	s_cmp_lt_i32 s24, 1
	s_cbranch_scc0 .LBB714_31
.LBB714_17:
	s_endpgm
.LBB714_18:
	v_add_f32_e32 v3, v3, v4
	v_cvt_f32_u32_e32 v4, s7
	s_mov_b32 s7, 0x800000
	s_waitcnt vmcnt(1)
	v_cvt_f32_u32_sdwa v21, v74 dst_sel:DWORD dst_unused:UNUSED_PAD src0_sel:WORD_1
	v_cvt_f32_u32_sdwa v20, v74 dst_sel:DWORD dst_unused:UNUSED_PAD src0_sel:WORD_0
	v_div_scale_f32 v5, s[36:37], v4, v4, v3
	v_rcp_f32_e32 v6, v5
	v_pk_add_f32 v[20:21], v[20:21], 1.0 op_sel_hi:[1,0]
	v_cvt_f32_u32_sdwa v23, v77 dst_sel:DWORD dst_unused:UNUSED_PAD src0_sel:WORD_1
	v_cvt_f32_u32_sdwa v22, v77 dst_sel:DWORD dst_unused:UNUSED_PAD src0_sel:WORD_0
	v_fma_f32 v7, -v5, v6, 1.0
	v_fmac_f32_e32 v6, v7, v6
	v_div_scale_f32 v7, vcc, v3, v4, v3
	v_mul_f32_e32 v8, v7, v6
	v_fma_f32 v9, -v5, v8, v7
	v_fmac_f32_e32 v8, v9, v6
	v_fma_f32 v5, -v5, v8, v7
	v_div_fmas_f32 v5, v5, v6, v8
	v_div_fixup_f32 v3, v5, v4, v3
	v_mov_b32_e32 v4, s21
	v_mov_b32_e32 v5, s20
	v_cndmask_b32_e64 v4, v4, v5, s[8:9]
	v_add_f32_e32 v3, v4, v3
	v_mul_f32_e32 v4, 0x4b800000, v3
	v_cmp_gt_f32_e32 vcc, s7, v3
	v_cndmask_b32_e32 v3, v3, v4, vcc
	v_rsq_f32_e32 v3, v3
	s_waitcnt vmcnt(0)
	v_cvt_f32_u32_sdwa v27, v73 dst_sel:DWORD dst_unused:UNUSED_PAD src0_sel:WORD_1
	v_cvt_f32_u32_sdwa v26, v73 dst_sel:DWORD dst_unused:UNUSED_PAD src0_sel:WORD_0
	v_mul_f32_e32 v4, 0x45800000, v3
	v_cndmask_b32_e32 v4, v3, v4, vcc
	v_mov_b32_e32 v5, v4
	;;#ASMSTART
	v_pk_mul_f32 v[6:7], v[52:53], v[4:5]
	;;#ASMEND
	;;#ASMSTART
	v_pk_mul_f32 v[8:9], v[34:35], v[4:5]
	;;#ASMEND
	;; [unrolled: 3-line block ×9, first 2 shown]
	v_cvt_f32_u32_sdwa v7, v75 dst_sel:DWORD dst_unused:UNUSED_PAD src0_sel:WORD_1
	v_cvt_f32_u32_sdwa v6, v75 dst_sel:DWORD dst_unused:UNUSED_PAD src0_sel:WORD_0
	v_cvt_f32_u32_sdwa v21, v76 dst_sel:DWORD dst_unused:UNUSED_PAD src0_sel:WORD_1
	v_cvt_f32_u32_sdwa v20, v76 dst_sel:DWORD dst_unused:UNUSED_PAD src0_sel:WORD_0
	v_cvt_f32_u32_sdwa v25, v72 dst_sel:DWORD dst_unused:UNUSED_PAD src0_sel:WORD_1
	v_pk_add_f32 v[6:7], v[6:7], 1.0 op_sel_hi:[1,0]
	;;#ASMSTART
	v_pk_mul_f32 v[34:35], v[8:9], v[6:7]
	;;#ASMEND
	v_pk_add_f32 v[6:7], v[20:21], 1.0 op_sel_hi:[1,0]
	v_pk_add_f32 v[8:9], v[22:23], 1.0 op_sel_hi:[1,0]
	v_cvt_f32_u32_sdwa v21, v70 dst_sel:DWORD dst_unused:UNUSED_PAD src0_sel:WORD_1
	v_cvt_f32_u32_sdwa v20, v70 dst_sel:DWORD dst_unused:UNUSED_PAD src0_sel:WORD_0
	v_cvt_f32_u32_sdwa v23, v71 dst_sel:DWORD dst_unused:UNUSED_PAD src0_sel:WORD_1
	v_cvt_f32_u32_sdwa v22, v71 dst_sel:DWORD dst_unused:UNUSED_PAD src0_sel:WORD_0
	v_cvt_f32_u32_sdwa v24, v72 dst_sel:DWORD dst_unused:UNUSED_PAD src0_sel:WORD_0
	v_pk_add_f32 v[20:21], v[20:21], 1.0 op_sel_hi:[1,0]
	v_pk_add_f32 v[26:27], v[26:27], 1.0 op_sel_hi:[1,0]
	;; [unrolled: 1-line block ×4, first 2 shown]
	;;#ASMSTART
	v_pk_mul_f32 v[58:59], v[10:11], v[6:7]
	;;#ASMEND
	;;#ASMSTART
	v_pk_mul_f32 v[24:25], v[12:13], v[8:9]
	;;#ASMEND
	;; [unrolled: 3-line block ×6, first 2 shown]
	s_or_b64 exec, exec, s[30:31]
	s_mov_b64 s[8:9], -1
	s_and_b64 vcc, exec, s[10:11]
	s_cbranch_vccz .LBB714_15
.LBB714_19:
	s_and_saveexec_b64 s[8:9], s[0:1]
	s_cbranch_execz .LBB714_21
; %bb.20:
	s_mul_hi_i32 s11, s16, s6
	s_mul_i32 s10, s16, s6
	s_lshl_b64 s[10:11], s[10:11], 1
	s_add_u32 s36, s18, s10
	s_addc_u32 s7, s19, s11
	s_and_b32 s37, s7, 0xffff
	s_mov_b32 s7, 0x7060302
	s_mov_b32 s39, 0x20000
	v_perm_b32 v7, v25, v24, s7
	v_perm_b32 v6, v59, v58, s7
	;; [unrolled: 1-line block ×4, first 2 shown]
	v_lshlrev_b32_e32 v3, 5, v0
	buffer_store_dwordx4 v[4:7], v3, s[36:39], 0 offen
	;;#ASMSTART
	s_nop 0
	;;#ASMEND
	s_nop 0
	v_perm_b32 v7, v87, v86, s7
	v_perm_b32 v6, v15, v14, s7
	;; [unrolled: 1-line block ×4, first 2 shown]
	buffer_store_dwordx4 v[4:7], v3, s[36:39], 16 offen
	;;#ASMSTART
	s_nop 0
	;;#ASMEND
.LBB714_21:
	s_or_b64 exec, exec, s[8:9]
	s_cbranch_execnz .LBB714_16
.LBB714_22:
	v_mov_b32_e32 v3, 0
	s_and_saveexec_b64 s[8:9], s[0:1]
	s_cbranch_execz .LBB714_24
; %bb.23:
	s_load_dwordx2 s[10:11], s[4:5], 0x10
	s_mul_hi_i32 s31, s15, s6
	s_mul_i32 s30, s15, s6
	s_lshl_b64 s[30:31], s[30:31], 1
	s_mov_b32 s39, 0x20000
	s_waitcnt lgkmcnt(0)
	s_add_u32 s36, s10, s30
	s_addc_u32 s7, s11, s31
	s_and_b32 s37, s7, 0xffff
	s_mov_b32 s7, 0x7060302
	v_perm_b32 v7, v25, v24, s7
	v_perm_b32 v6, v59, v58, s7
	;; [unrolled: 1-line block ×4, first 2 shown]
	v_lshlrev_b32_e32 v3, 5, v0
	buffer_store_dwordx4 v[4:7], v3, s[36:39], 0 offen
	;;#ASMSTART
	s_nop 0
	;;#ASMEND
	s_nop 0
	v_perm_b32 v7, v87, v86, s7
	v_perm_b32 v6, v15, v14, s7
	v_perm_b32 v5, v19, v18, s7
	v_perm_b32 v4, v45, v44, s7
	buffer_store_dwordx4 v[4:7], v3, s[36:39], 16 offen
	v_mov_b32_e32 v3, 0x2edbe6ff
	;;#ASMSTART
	s_nop 0
	;;#ASMEND
.LBB714_24:
	s_or_b64 exec, exec, s[8:9]
	s_and_saveexec_b64 s[8:9], s[0:1]
	s_cbranch_execz .LBB714_26
; %bb.25:
	v_and_b32_e32 v4, 0x7fffffff, v52
	v_and_b32_e32 v5, 0x7fffffff, v53
	;;#ASMSTART
	v_max3_f32 v3, v3, v4, v5

	;;#ASMEND
	v_and_b32_e32 v4, 0x7fffffff, v34
	v_and_b32_e32 v5, 0x7fffffff, v35
	;;#ASMSTART
	v_max3_f32 v3, v3, v4, v5

	;;#ASMEND
	;; [unrolled: 6-line block ×8, first 2 shown]
.LBB714_26:
	s_or_b64 exec, exec, s[8:9]
	v_cmp_eq_u32_e32 vcc, 0, v2
	v_cmp_gt_i32_e64 s[8:9], s23, v1
	;;#ASMSTART
	v_max_f32 v4, v3, v3 quad_perm:[1,0,3,2] row_mask:0xf bank_mask:0xf bound_ctrl:1
	;;#ASMEND
	v_mul_f32_e32 v3, 0x3b124925, v4
	s_and_b64 s[10:11], vcc, s[8:9]
	s_and_saveexec_b64 s[8:9], s[10:11]
	s_cbranch_execz .LBB714_28
; %bb.27:
	s_load_dwordx2 s[10:11], s[4:5], 0x8
	v_lshrrev_b32_e32 v2, 1, v0
	s_mul_hi_i32 s31, s13, s6
	s_mul_i32 s30, s13, s6
	v_mad_i64_i32 v[4:5], s[14:15], s14, v2, 0
	s_lshl_b64 s[14:15], s[30:31], 2
	s_waitcnt lgkmcnt(0)
	s_add_u32 s7, s10, s14
	s_addc_u32 s10, s11, s15
	v_lshlrev_b64 v[4:5], 2, v[4:5]
	v_mov_b32_e32 v2, s10
	v_add_co_u32_e32 v4, vcc, s7, v4
	v_addc_co_u32_e32 v5, vcc, v2, v5, vcc
	global_store_dword v[4:5], v3, off
.LBB714_28:
	s_or_b64 exec, exec, s[8:9]
	;;#ASMSTART
	v_rcp_f32 v2, v3
	;;#ASMEND
	s_and_saveexec_b64 s[14:15], s[0:1]
	s_cbranch_execz .LBB714_30
; %bb.29:
	v_mov_b32_e32 v3, v2
	;;#ASMSTART
	v_pk_mul_f32 v[4:5], v[52:53], v[2:3]
	;;#ASMEND
	v_mov_b32_e32 v10, 0xc3e00000
	v_mov_b32_e32 v11, 0x43e00000
	;;#ASMSTART
	v_med3_f32 v4, v4, v10, v11
v_med3_f32 v5, v5, v10, v11
v_cvt_pk_fp8_f32 v6, v4, v5
	;;#ASMEND
	;;#ASMSTART
	v_pk_mul_f32 v[4:5], v[34:35], v[2:3]
	;;#ASMEND
	;;#ASMSTART
	v_med3_f32 v4, v4, v10, v11
v_med3_f32 v5, v5, v10, v11
v_cvt_pk_fp8_f32 v7, v4, v5
	;;#ASMEND
	;;#ASMSTART
	v_pk_mul_f32 v[4:5], v[58:59], v[2:3]
	;;#ASMEND
	;; [unrolled: 8-line block ×3, first 2 shown]
	;;#ASMSTART
	v_med3_f32 v4, v4, v10, v11
v_med3_f32 v5, v5, v10, v11
v_cvt_pk_fp8_f32 v9, v4, v5
	;;#ASMEND
	s_mov_b32 s0, 0x5040100
	v_perm_b32 v4, v7, v6, s0
	s_mov_b32 s0, 0x1060504
	v_perm_b32 v4, v4, v7, s0
	s_load_dwordx2 s[0:1], s[4:5], 0x0
	s_mov_b32 s7, 0x1000504
	;;#ASMSTART
	v_pk_mul_f32 v[6:7], v[44:45], v[2:3]
	;;#ASMEND
	v_perm_b32 v5, v8, v9, s7
	s_mul_i32 s8, s12, s6
	;;#ASMSTART
	v_med3_f32 v6, v6, v10, v11
v_med3_f32 v7, v7, v10, v11
v_cvt_pk_fp8_f32 v8, v6, v7
	;;#ASMEND
	s_mul_hi_i32 s9, s12, s6
	s_waitcnt lgkmcnt(0)
	s_add_u32 s8, s0, s8
	;;#ASMSTART
	v_pk_mul_f32 v[6:7], v[18:19], v[2:3]
	;;#ASMEND
	s_addc_u32 s0, s1, s9
	s_add_i32 s1, s23, 3
	;;#ASMSTART
	v_med3_f32 v6, v6, v10, v11
v_med3_f32 v7, v7, v10, v11
v_cvt_pk_fp8_f32 v9, v6, v7
	;;#ASMEND
	s_ashr_i32 s9, s1, 31
	v_perm_b32 v6, v8, v9, s7
	;;#ASMSTART
	v_pk_mul_f32 v[8:9], v[14:15], v[2:3]
	;;#ASMEND
	v_mov_b32_e32 v7, v8
	s_lshr_b32 s9, s9, 30
	;;#ASMSTART
	v_med3_f32 v7, v7, v10, v11
v_med3_f32 v9, v9, v10, v11
v_cvt_pk_fp8_f32 v8, v7, v9
	;;#ASMEND
	;;#ASMSTART
	v_pk_mul_f32 v[2:3], v[86:87], v[2:3]
	;;#ASMEND
	s_add_i32 s1, s1, s9
	;;#ASMSTART
	v_med3_f32 v2, v2, v10, v11
v_med3_f32 v3, v3, v10, v11
v_cvt_pk_fp8_f32 v7, v2, v3
	;;#ASMEND
	s_and_b32 s10, s1, -4
	s_and_b32 s9, s0, 0xffff
	s_mov_b32 s11, 0x20000
	v_perm_b32 v7, v8, v7, s7
	buffer_store_dwordx4 v[4:7], v1, s[8:11], 0 offen
	;;#ASMSTART
	s_nop 0
	;;#ASMEND
.LBB714_30:
	s_or_b64 exec, exec, s[14:15]
	s_cmp_lt_i32 s24, 1
	s_cbranch_scc1 .LBB714_17
.LBB714_31:
	s_load_dword s0, s[4:5], 0x94
	s_waitcnt lgkmcnt(0)
	s_cmp_lg_u32 s0, 1
	s_cbranch_scc1 .LBB714_17
; %bb.32:
	s_lshl_b32 s0, s24, 1
	s_add_i32 s0, s0, 2
	v_cmp_gt_u32_e32 vcc, s24, v1
	s_and_b32 s30, s0, -4
	v_mov_b32_e32 v18, 0
	v_lshlrev_b32_e32 v1, 5, v0
	v_mov_b32_e32 v14, 0
	v_mov_b32_e32 v15, 0
	;; [unrolled: 1-line block ×16, first 2 shown]
	s_barrier
	s_and_saveexec_b64 s[0:1], vcc
	s_cbranch_execz .LBB714_34
; %bb.33:
	s_mul_hi_i32 s5, s26, s6
	s_mul_i32 s4, s26, s6
	s_and_b32 s29, s29, 0xffff
	s_lshl_b64 s[4:5], s[4:5], 1
	s_add_u32 s8, s34, s4
	s_mov_b32 s31, 0x20000
	s_addc_u32 s4, s35, s5
	s_and_b32 s9, s4, 0xffff
	s_mov_b32 s10, s30
	s_mov_b32 s11, s31
	buffer_load_dwordx4 v[14:17], v1, s[8:11], 0 offen
	buffer_load_dwordx4 v[10:13], v1, s[8:11], 16 offen
	;; [unrolled: 1-line block ×4, first 2 shown]
.LBB714_34:
	s_or_b64 exec, exec, s[0:1]
	v_mov_b32_e32 v19, 0
	v_mov_b32_e32 v32, 0
	;; [unrolled: 1-line block ×15, first 2 shown]
	s_and_saveexec_b64 s[0:1], vcc
	s_cbranch_execz .LBB714_36
; %bb.35:
	s_waitcnt vmcnt(3)
	v_cvt_f32_u32_sdwa v18, v14 dst_sel:DWORD dst_unused:UNUSED_PAD src0_sel:WORD_0
	v_cvt_f32_u32_sdwa v19, v14 dst_sel:DWORD dst_unused:UNUSED_PAD src0_sel:WORD_1
	v_cvt_f32_u32_sdwa v32, v15 dst_sel:DWORD dst_unused:UNUSED_PAD src0_sel:WORD_0
	v_cvt_f32_u32_sdwa v33, v15 dst_sel:DWORD dst_unused:UNUSED_PAD src0_sel:WORD_1
	;; [unrolled: 2-line block ×4, first 2 shown]
	s_waitcnt vmcnt(2)
	v_cvt_f32_u32_sdwa v26, v10 dst_sel:DWORD dst_unused:UNUSED_PAD src0_sel:WORD_0
	v_cvt_f32_u32_sdwa v27, v10 dst_sel:DWORD dst_unused:UNUSED_PAD src0_sel:WORD_1
	v_cvt_f32_u32_sdwa v24, v11 dst_sel:DWORD dst_unused:UNUSED_PAD src0_sel:WORD_0
	v_cvt_f32_u32_sdwa v25, v11 dst_sel:DWORD dst_unused:UNUSED_PAD src0_sel:WORD_1
	;; [unrolled: 2-line block ×4, first 2 shown]
.LBB714_36:
	s_or_b64 exec, exec, s[0:1]
	s_waitcnt vmcnt(2)
	v_mul_f32_e32 v10, v19, v19
	v_fmac_f32_e32 v10, v18, v18
	v_fmac_f32_e32 v10, v32, v32
	;; [unrolled: 1-line block ×15, first 2 shown]
	s_nop 1
	v_mov_b32_dpp v11, v10 quad_perm:[1,0,3,2] row_mask:0xf bank_mask:0xf
	v_add_f32_e32 v10, v10, v11
	s_nop 1
	v_mov_b32_dpp v11, v10 quad_perm:[2,3,0,1] row_mask:0xf bank_mask:0xf
	v_add_f32_e32 v10, v10, v11
	s_nop 1
	v_mov_b32_dpp v11, v10 row_half_mirror row_mask:0xf bank_mask:0xf
	v_add_f32_e32 v10, v10, v11
	s_nop 1
	v_mov_b32_dpp v11, v10 row_mirror row_mask:0xf bank_mask:0xf
	v_add_f32_e32 v10, v10, v11
	s_nop 1
	v_mov_b32_dpp v11, v10 row_bcast:15 row_mask:0xf bank_mask:0xf
	v_add_f32_e32 v10, v10, v11
	s_nop 1
	v_mov_b32_dpp v11, v10 row_bcast:31 row_mask:0xf bank_mask:0xf
	s_and_saveexec_b64 s[0:1], s[2:3]
	s_cbranch_execz .LBB714_38
; %bb.37:
	v_lshrrev_b32_e32 v0, 4, v0
	v_add_f32_e32 v10, v10, v11
	v_and_b32_e32 v0, 60, v0
	ds_write_b32 v0, v10
.LBB714_38:
	s_or_b64 exec, exec, s[0:1]
	s_waitcnt lgkmcnt(0)
	s_barrier
	ds_read_b32 v0, v36
	s_waitcnt lgkmcnt(0)
	s_nop 0
	v_mov_b32_dpp v10, v0 quad_perm:[1,0,3,2] row_mask:0xf bank_mask:0xf
	s_and_saveexec_b64 s[0:1], vcc
	s_cbranch_execz .LBB714_17
; %bb.39:
	v_cvt_f32_u32_e32 v11, s24
	v_add_f32_e32 v0, v0, v10
	s_mov_b32 s31, 0x20000
	v_div_scale_f32 v10, s[0:1], v11, v11, v0
	v_rcp_f32_e32 v12, v10
	v_div_scale_f32 v13, vcc, v0, v11, v0
	s_mov_b32 s0, 0x800000
	v_fma_f32 v14, -v10, v12, 1.0
	v_fmac_f32_e32 v12, v14, v12
	v_mul_f32_e32 v14, v13, v12
	v_fma_f32 v15, -v10, v14, v13
	v_fmac_f32_e32 v14, v15, v12
	v_fma_f32 v10, -v10, v14, v13
	v_div_fmas_f32 v10, v10, v12, v14
	v_div_fixup_f32 v0, v10, v11, v0
	v_add_f32_e32 v0, s21, v0
	v_mul_f32_e32 v10, 0x4b800000, v0
	v_cmp_gt_f32_e32 vcc, s0, v0
	v_cndmask_b32_e32 v0, v0, v10, vcc
	v_rsq_f32_e32 v0, v0
	s_mul_hi_i32 s1, s16, s6
	s_mul_i32 s0, s16, s6
	s_lshl_b64 s[0:1], s[0:1], 1
	v_mul_f32_e32 v10, 0x45800000, v0
	v_cndmask_b32_e32 v10, v0, v10, vcc
	v_mov_b32_e32 v11, v10
	;;#ASMSTART
	v_pk_mul_f32 v[12:13], v[18:19], v[10:11]
	;;#ASMEND
	;;#ASMSTART
	v_pk_mul_f32 v[14:15], v[32:33], v[10:11]
	;;#ASMEND
	;; [unrolled: 3-line block ×4, first 2 shown]
	s_waitcnt vmcnt(1)
	v_cvt_f32_u32_sdwa v29, v6 dst_sel:DWORD dst_unused:UNUSED_PAD src0_sel:WORD_1
	v_cvt_f32_u32_sdwa v28, v6 dst_sel:DWORD dst_unused:UNUSED_PAD src0_sel:WORD_0
	v_cvt_f32_u32_sdwa v31, v7 dst_sel:DWORD dst_unused:UNUSED_PAD src0_sel:WORD_1
	v_cvt_f32_u32_sdwa v30, v7 dst_sel:DWORD dst_unused:UNUSED_PAD src0_sel:WORD_0
	;;#ASMSTART
	v_pk_mul_f32 v[26:27], v[26:27], v[10:11]
	;;#ASMEND
	;;#ASMSTART
	v_pk_mul_f32 v[24:25], v[24:25], v[10:11]
	;;#ASMEND
	;; [unrolled: 3-line block ×4, first 2 shown]
	v_cvt_f32_u32_sdwa v21, v8 dst_sel:DWORD dst_unused:UNUSED_PAD src0_sel:WORD_1
	v_cvt_f32_u32_sdwa v20, v8 dst_sel:DWORD dst_unused:UNUSED_PAD src0_sel:WORD_0
	v_pk_add_f32 v[10:11], v[28:29], 1.0 op_sel_hi:[1,0]
	;;#ASMSTART
	v_pk_mul_f32 v[10:11], v[12:13], v[10:11]
	;;#ASMEND
	v_pk_add_f32 v[12:13], v[30:31], 1.0 op_sel_hi:[1,0]
	v_cvt_f32_u32_sdwa v29, v9 dst_sel:DWORD dst_unused:UNUSED_PAD src0_sel:WORD_1
	v_cvt_f32_u32_sdwa v28, v9 dst_sel:DWORD dst_unused:UNUSED_PAD src0_sel:WORD_0
	;;#ASMSTART
	v_pk_mul_f32 v[8:9], v[14:15], v[12:13]
	;;#ASMEND
	v_pk_add_f32 v[12:13], v[20:21], 1.0 op_sel_hi:[1,0]
	;;#ASMSTART
	v_pk_mul_f32 v[12:13], v[16:17], v[12:13]
	;;#ASMEND
	s_waitcnt vmcnt(0)
	v_cvt_f32_u32_sdwa v17, v2 dst_sel:DWORD dst_unused:UNUSED_PAD src0_sel:WORD_1
	v_cvt_f32_u32_sdwa v16, v2 dst_sel:DWORD dst_unused:UNUSED_PAD src0_sel:WORD_0
	v_cvt_f32_u32_sdwa v21, v3 dst_sel:DWORD dst_unused:UNUSED_PAD src0_sel:WORD_1
	v_cvt_f32_u32_sdwa v20, v3 dst_sel:DWORD dst_unused:UNUSED_PAD src0_sel:WORD_0
	v_pk_add_f32 v[14:15], v[28:29], 1.0 op_sel_hi:[1,0]
	;;#ASMSTART
	v_pk_mul_f32 v[14:15], v[18:19], v[14:15]
	;;#ASMEND
	v_pk_add_f32 v[2:3], v[16:17], 1.0 op_sel_hi:[1,0]
	v_cvt_f32_u32_sdwa v19, v4 dst_sel:DWORD dst_unused:UNUSED_PAD src0_sel:WORD_1
	v_cvt_f32_u32_sdwa v18, v4 dst_sel:DWORD dst_unused:UNUSED_PAD src0_sel:WORD_0
	;;#ASMSTART
	v_pk_mul_f32 v[16:17], v[26:27], v[2:3]
	;;#ASMEND
	v_pk_add_f32 v[2:3], v[20:21], 1.0 op_sel_hi:[1,0]
	v_cvt_f32_u32_sdwa v21, v5 dst_sel:DWORD dst_unused:UNUSED_PAD src0_sel:WORD_1
	v_cvt_f32_u32_sdwa v20, v5 dst_sel:DWORD dst_unused:UNUSED_PAD src0_sel:WORD_0
	s_add_u32 s28, s18, s0
	;;#ASMSTART
	v_pk_mul_f32 v[24:25], v[24:25], v[2:3]
	;;#ASMEND
	v_pk_add_f32 v[2:3], v[18:19], 1.0 op_sel_hi:[1,0]
	s_addc_u32 s0, s19, s1
	;;#ASMSTART
	v_pk_mul_f32 v[18:19], v[22:23], v[2:3]
	;;#ASMEND
	v_pk_add_f32 v[2:3], v[20:21], 1.0 op_sel_hi:[1,0]
	s_and_b32 s29, s0, 0xffff
	s_mov_b32 s0, 0x7060302
	;;#ASMSTART
	v_pk_mul_f32 v[6:7], v[6:7], v[2:3]
	;;#ASMEND
	v_perm_b32 v2, v11, v10, s0
	v_perm_b32 v3, v9, v8, s0
	;; [unrolled: 1-line block ×4, first 2 shown]
	buffer_store_dwordx4 v[2:5], v1, s[28:31], 0 offen
	;;#ASMSTART
	s_nop 0
	;;#ASMEND
	s_nop 0
	v_perm_b32 v2, v17, v16, s0
	v_perm_b32 v3, v25, v24, s0
	;; [unrolled: 1-line block ×4, first 2 shown]
	buffer_store_dwordx4 v[2:5], v1, s[28:31], 16 offen
	;;#ASMSTART
	s_nop 0
	;;#ASMEND
	s_endpgm
	.section	.rodata,"a",@progbits
	.p2align	6, 0x0
	.amdhsa_kernel _ZN5aiter35fused_qk_rmsnorm_group_quant_kernelItDB8_Li128ELi16ELi2ELb1ELb1ELb1ELb0ELb0ELb0EEEvPT0_PvPT_S6_S6_PKS5_S8_S8_S8_S8_ffiiiiiiiiiiiii
		.amdhsa_group_segment_fixed_size 16
		.amdhsa_private_segment_fixed_size 0
		.amdhsa_kernarg_size 400
		.amdhsa_user_sgpr_count 6
		.amdhsa_user_sgpr_private_segment_buffer 1
		.amdhsa_user_sgpr_dispatch_ptr 0
		.amdhsa_user_sgpr_queue_ptr 0
		.amdhsa_user_sgpr_kernarg_segment_ptr 1
		.amdhsa_user_sgpr_dispatch_id 0
		.amdhsa_user_sgpr_flat_scratch_init 0
		.amdhsa_user_sgpr_kernarg_preload_length 0
		.amdhsa_user_sgpr_kernarg_preload_offset 0
		.amdhsa_user_sgpr_private_segment_size 0
		.amdhsa_uses_dynamic_stack 0
		.amdhsa_system_sgpr_private_segment_wavefront_offset 0
		.amdhsa_system_sgpr_workgroup_id_x 1
		.amdhsa_system_sgpr_workgroup_id_y 1
		.amdhsa_system_sgpr_workgroup_id_z 0
		.amdhsa_system_sgpr_workgroup_info 0
		.amdhsa_system_vgpr_workitem_id 0
		.amdhsa_next_free_vgpr 88
		.amdhsa_next_free_sgpr 44
		.amdhsa_accum_offset 88
		.amdhsa_reserve_vcc 1
		.amdhsa_reserve_flat_scratch 0
		.amdhsa_float_round_mode_32 0
		.amdhsa_float_round_mode_16_64 0
		.amdhsa_float_denorm_mode_32 3
		.amdhsa_float_denorm_mode_16_64 3
		.amdhsa_dx10_clamp 1
		.amdhsa_ieee_mode 1
		.amdhsa_fp16_overflow 0
		.amdhsa_tg_split 0
		.amdhsa_exception_fp_ieee_invalid_op 0
		.amdhsa_exception_fp_denorm_src 0
		.amdhsa_exception_fp_ieee_div_zero 0
		.amdhsa_exception_fp_ieee_overflow 0
		.amdhsa_exception_fp_ieee_underflow 0
		.amdhsa_exception_fp_ieee_inexact 0
		.amdhsa_exception_int_div_zero 0
	.end_amdhsa_kernel
	.section	.text._ZN5aiter35fused_qk_rmsnorm_group_quant_kernelItDB8_Li128ELi16ELi2ELb1ELb1ELb1ELb0ELb0ELb0EEEvPT0_PvPT_S6_S6_PKS5_S8_S8_S8_S8_ffiiiiiiiiiiiii,"axG",@progbits,_ZN5aiter35fused_qk_rmsnorm_group_quant_kernelItDB8_Li128ELi16ELi2ELb1ELb1ELb1ELb0ELb0ELb0EEEvPT0_PvPT_S6_S6_PKS5_S8_S8_S8_S8_ffiiiiiiiiiiiii,comdat
.Lfunc_end714:
	.size	_ZN5aiter35fused_qk_rmsnorm_group_quant_kernelItDB8_Li128ELi16ELi2ELb1ELb1ELb1ELb0ELb0ELb0EEEvPT0_PvPT_S6_S6_PKS5_S8_S8_S8_S8_ffiiiiiiiiiiiii, .Lfunc_end714-_ZN5aiter35fused_qk_rmsnorm_group_quant_kernelItDB8_Li128ELi16ELi2ELb1ELb1ELb1ELb0ELb0ELb0EEEvPT0_PvPT_S6_S6_PKS5_S8_S8_S8_S8_ffiiiiiiiiiiiii
                                        ; -- End function
	.section	.AMDGPU.csdata,"",@progbits
; Kernel info:
; codeLenInByte = 4328
; NumSgprs: 48
; NumVgprs: 88
; NumAgprs: 0
; TotalNumVgprs: 88
; ScratchSize: 0
; MemoryBound: 0
; FloatMode: 240
; IeeeMode: 1
; LDSByteSize: 16 bytes/workgroup (compile time only)
; SGPRBlocks: 5
; VGPRBlocks: 10
; NumSGPRsForWavesPerEU: 48
; NumVGPRsForWavesPerEU: 88
; AccumOffset: 88
; Occupancy: 5
; WaveLimiterHint : 0
; COMPUTE_PGM_RSRC2:SCRATCH_EN: 0
; COMPUTE_PGM_RSRC2:USER_SGPR: 6
; COMPUTE_PGM_RSRC2:TRAP_HANDLER: 0
; COMPUTE_PGM_RSRC2:TGID_X_EN: 1
; COMPUTE_PGM_RSRC2:TGID_Y_EN: 1
; COMPUTE_PGM_RSRC2:TGID_Z_EN: 0
; COMPUTE_PGM_RSRC2:TIDIG_COMP_CNT: 0
; COMPUTE_PGM_RSRC3_GFX90A:ACCUM_OFFSET: 21
; COMPUTE_PGM_RSRC3_GFX90A:TG_SPLIT: 0
	.section	.text._ZN5aiter35fused_qk_rmsnorm_group_quant_kernelIDF16_N4opus5fp4_tELi128ELi16ELi2ELb1ELb1ELb1ELb0ELb0ELb0EEEvPT0_PvPT_S7_S7_PKS6_S9_S9_S9_S9_ffiiiiiiiiiiiii,"axG",@progbits,_ZN5aiter35fused_qk_rmsnorm_group_quant_kernelIDF16_N4opus5fp4_tELi128ELi16ELi2ELb1ELb1ELb1ELb0ELb0ELb0EEEvPT0_PvPT_S7_S7_PKS6_S9_S9_S9_S9_ffiiiiiiiiiiiii,comdat
	.protected	_ZN5aiter35fused_qk_rmsnorm_group_quant_kernelIDF16_N4opus5fp4_tELi128ELi16ELi2ELb1ELb1ELb1ELb0ELb0ELb0EEEvPT0_PvPT_S7_S7_PKS6_S9_S9_S9_S9_ffiiiiiiiiiiiii ; -- Begin function _ZN5aiter35fused_qk_rmsnorm_group_quant_kernelIDF16_N4opus5fp4_tELi128ELi16ELi2ELb1ELb1ELb1ELb0ELb0ELb0EEEvPT0_PvPT_S7_S7_PKS6_S9_S9_S9_S9_ffiiiiiiiiiiiii
	.globl	_ZN5aiter35fused_qk_rmsnorm_group_quant_kernelIDF16_N4opus5fp4_tELi128ELi16ELi2ELb1ELb1ELb1ELb0ELb0ELb0EEEvPT0_PvPT_S7_S7_PKS6_S9_S9_S9_S9_ffiiiiiiiiiiiii
	.p2align	8
	.type	_ZN5aiter35fused_qk_rmsnorm_group_quant_kernelIDF16_N4opus5fp4_tELi128ELi16ELi2ELb1ELb1ELb1ELb0ELb0ELb0EEEvPT0_PvPT_S7_S7_PKS6_S9_S9_S9_S9_ffiiiiiiiiiiiii,@function
_ZN5aiter35fused_qk_rmsnorm_group_quant_kernelIDF16_N4opus5fp4_tELi128ELi16ELi2ELb1ELb1ELb1ELb0ELb0ELb0EEEvPT0_PvPT_S7_S7_PKS6_S9_S9_S9_S9_ffiiiiiiiiiiiii: ; @_ZN5aiter35fused_qk_rmsnorm_group_quant_kernelIDF16_N4opus5fp4_tELi128ELi16ELi2ELb1ELb1ELb1ELb0ELb0ELb0EEEvPT0_PvPT_S7_S7_PKS6_S9_S9_S9_S9_ffiiiiiiiiiiiii
; %bb.0:
	s_load_dwordx8 s[20:27], s[4:5], 0x50
	s_waitcnt lgkmcnt(0)
	s_cmp_ge_i32 s6, s22
	s_cbranch_scc1 .LBB715_17
; %bb.1:
	s_cmp_lg_u32 s7, 0
	s_cselect_b64 s[30:31], -1, 0
	s_cmp_eq_u32 s7, 0
	s_cselect_b64 s[8:9], -1, 0
	s_and_b64 s[0:1], s[8:9], exec
	s_load_dwordx2 s[28:29], s[4:5], 0x48
	s_load_dwordx2 s[10:11], s[4:5], 0x30
	s_load_dwordx8 s[12:19], s[4:5], 0x70
	s_cselect_b32 s7, s23, s24
	s_add_i32 s0, s7, 1
	s_lshr_b32 s1, s0, 31
	s_add_i32 s0, s0, s1
	s_lshl_b32 s0, s0, 1
	v_lshlrev_b32_e32 v1, 4, v0
	s_and_b32 s38, s0, -4
	v_cmp_gt_i32_e64 s[0:1], s7, v1
	v_mov_b32_e32 v6, 0
	v_mov_b32_e32 v7, 0
	;; [unrolled: 1-line block ×16, first 2 shown]
	s_and_saveexec_b64 s[2:3], s[0:1]
	s_cbranch_execz .LBB715_3
; %bb.2:
	s_waitcnt lgkmcnt(0)
	s_load_dwordx2 s[18:19], s[4:5], 0x28
	s_load_dwordx2 s[34:35], s[4:5], 0x40
	s_and_b64 s[36:37], s[8:9], exec
	s_cselect_b32 s22, s25, s26
	s_mov_b32 s39, 0x20000
	s_waitcnt lgkmcnt(0)
	s_cselect_b32 s25, s19, s11
	s_cselect_b32 s33, s18, s10
	s_mul_hi_i32 s19, s22, s6
	s_mul_i32 s18, s22, s6
	s_lshl_b64 s[18:19], s[18:19], 1
	s_add_u32 s40, s33, s18
	s_addc_u32 s22, s25, s19
	s_and_b64 s[18:19], s[8:9], exec
	s_cselect_b32 s36, s34, s28
	s_cselect_b32 s18, s35, s29
	s_and_b32 s41, s22, 0xffff
	s_mov_b32 s42, s38
	s_mov_b32 s43, s39
	v_lshlrev_b32_e32 v18, 5, v0
	s_and_b32 s37, s18, 0xffff
	buffer_load_dwordx4 v[10:13], v18, s[40:43], 0 offen
	buffer_load_dwordx4 v[14:17], v18, s[40:43], 16 offen
	;; [unrolled: 1-line block ×4, first 2 shown]
.LBB715_3:
	s_or_b64 exec, exec, s[2:3]
	s_and_b64 vcc, exec, s[30:31]
	s_cbranch_vccz .LBB715_7
; %bb.4:
	v_mov_b32_e32 v19, 0
	v_mov_b32_e32 v18, 0
	;; [unrolled: 1-line block ×16, first 2 shown]
	s_and_saveexec_b64 s[2:3], s[0:1]
	s_cbranch_execz .LBB715_6
; %bb.5:
	s_waitcnt vmcnt(3)
	v_cvt_f32_f16_sdwa v29, v10 dst_sel:DWORD dst_unused:UNUSED_PAD src0_sel:WORD_1
	v_cvt_f32_f16_e32 v28, v10
	v_cvt_f32_f16_sdwa v33, v11 dst_sel:DWORD dst_unused:UNUSED_PAD src0_sel:WORD_1
	v_cvt_f32_f16_e32 v32, v11
	v_cvt_f32_f16_sdwa v27, v12 dst_sel:DWORD dst_unused:UNUSED_PAD src0_sel:WORD_1
	v_cvt_f32_f16_e32 v26, v12
	v_cvt_f32_f16_sdwa v31, v13 dst_sel:DWORD dst_unused:UNUSED_PAD src0_sel:WORD_1
	v_cvt_f32_f16_e32 v30, v13
	s_waitcnt vmcnt(2)
	v_cvt_f32_f16_sdwa v23, v14 dst_sel:DWORD dst_unused:UNUSED_PAD src0_sel:WORD_1
	v_cvt_f32_f16_e32 v22, v14
	v_cvt_f32_f16_sdwa v25, v15 dst_sel:DWORD dst_unused:UNUSED_PAD src0_sel:WORD_1
	v_cvt_f32_f16_e32 v24, v15
	;; [unrolled: 2-line block ×4, first 2 shown]
.LBB715_6:
	s_or_b64 exec, exec, s[2:3]
	s_cbranch_execz .LBB715_8
	s_branch .LBB715_11
.LBB715_7:
                                        ; implicit-def: $vgpr19
                                        ; implicit-def: $vgpr21
                                        ; implicit-def: $vgpr25
                                        ; implicit-def: $vgpr23
                                        ; implicit-def: $vgpr31
                                        ; implicit-def: $vgpr27
                                        ; implicit-def: $vgpr33
                                        ; implicit-def: $vgpr29
.LBB715_8:
	v_mov_b32_e32 v19, 0
	v_mov_b32_e32 v18, 0
	;; [unrolled: 1-line block ×16, first 2 shown]
	s_and_saveexec_b64 s[2:3], s[0:1]
	s_cbranch_execz .LBB715_10
; %bb.9:
	s_waitcnt lgkmcnt(0)
	s_load_dwordx2 s[18:19], s[4:5], 0x38
	s_mul_hi_i32 s35, s27, s6
	s_mul_i32 s34, s27, s6
	s_lshl_b64 s[34:35], s[34:35], 1
	s_mov_b32 s39, 0x20000
	s_waitcnt lgkmcnt(0)
	s_add_u32 s36, s18, s34
	s_addc_u32 s18, s19, s35
	s_and_b32 s37, s18, 0xffff
	v_lshlrev_b32_e32 v48, 5, v0
	buffer_load_dwordx4 v[18:21], v48, s[36:39], 16 offen
	buffer_load_dwordx4 v[22:25], v48, s[36:39], 0 offen
	s_waitcnt vmcnt(4)
	v_cvt_f32_f16_sdwa v27, v14 dst_sel:DWORD dst_unused:UNUSED_PAD src0_sel:WORD_1
	v_cvt_f32_f16_e32 v26, v14
	v_cvt_f32_f16_sdwa v29, v15 dst_sel:DWORD dst_unused:UNUSED_PAD src0_sel:WORD_1
	v_cvt_f32_f16_e32 v28, v15
	;; [unrolled: 2-line block ×8, first 2 shown]
	s_load_dwordx2 s[18:19], s[4:5], 0x20
	s_mul_hi_i32 s35, s17, s6
	s_mul_i32 s34, s17, s6
	s_lshl_b64 s[34:35], s[34:35], 1
	s_waitcnt lgkmcnt(0)
	s_add_u32 s36, s18, s34
	s_addc_u32 s17, s19, s35
	s_and_b32 s37, s17, 0xffff
	s_waitcnt vmcnt(1)
	v_cvt_f32_f16_e32 v12, v18
	v_cvt_f32_f16_sdwa v13, v18 dst_sel:DWORD dst_unused:UNUSED_PAD src0_sel:WORD_1
	v_cvt_f32_f16_e32 v18, v19
	v_cvt_f32_f16_sdwa v19, v19 dst_sel:DWORD dst_unused:UNUSED_PAD src0_sel:WORD_1
	;; [unrolled: 2-line block ×4, first 2 shown]
	s_waitcnt vmcnt(0)
	v_cvt_f32_f16_e32 v40, v22
	v_cvt_f32_f16_sdwa v41, v22 dst_sel:DWORD dst_unused:UNUSED_PAD src0_sel:WORD_1
	v_cvt_f32_f16_e32 v42, v23
	v_cvt_f32_f16_sdwa v43, v23 dst_sel:DWORD dst_unused:UNUSED_PAD src0_sel:WORD_1
	;; [unrolled: 2-line block ×4, first 2 shown]
	v_pk_add_f32 v[22:23], v[26:27], v[12:13]
	v_pk_add_f32 v[24:25], v[28:29], v[18:19]
	;; [unrolled: 1-line block ×8, first 2 shown]
	v_cvt_f16_f32_e32 v10, v29
	v_cvt_f16_f32_e32 v14, v28
	;; [unrolled: 1-line block ×16, first 2 shown]
	v_pack_b32_f16 v13, v17, v13
	v_pack_b32_f16 v12, v16, v12
	;; [unrolled: 1-line block ×8, first 2 shown]
	buffer_store_dwordx4 v[10:13], v48, s[36:39], 0 offen
	;;#ASMSTART
	s_nop 0
	;;#ASMEND
	buffer_store_dwordx4 v[14:17], v48, s[36:39], 16 offen
	;;#ASMSTART
	s_nop 0
	;;#ASMEND
.LBB715_10:
	s_or_b64 exec, exec, s[2:3]
.LBB715_11:
	s_waitcnt vmcnt(3)
	v_mul_f32_e32 v10, v29, v29
	v_fmac_f32_e32 v10, v28, v28
	v_fmac_f32_e32 v10, v32, v32
	;; [unrolled: 1-line block ×15, first 2 shown]
	v_and_b32_e32 v12, 63, v0
	v_cmp_eq_u32_e64 s[2:3], 63, v12
	v_mov_b32_dpp v11, v10 quad_perm:[1,0,3,2] row_mask:0xf bank_mask:0xf
	v_add_f32_e32 v10, v10, v11
	s_nop 1
	v_mov_b32_dpp v11, v10 quad_perm:[2,3,0,1] row_mask:0xf bank_mask:0xf
	v_add_f32_e32 v10, v10, v11
	s_nop 1
	v_mov_b32_dpp v11, v10 row_half_mirror row_mask:0xf bank_mask:0xf
	v_add_f32_e32 v10, v10, v11
	s_nop 1
	v_mov_b32_dpp v11, v10 row_mirror row_mask:0xf bank_mask:0xf
	v_add_f32_e32 v10, v10, v11
	s_nop 1
	v_mov_b32_dpp v11, v10 row_bcast:15 row_mask:0xf bank_mask:0xf
	v_add_f32_e32 v10, v10, v11
	s_nop 1
	v_mov_b32_dpp v11, v10 row_bcast:31 row_mask:0xf bank_mask:0xf
	s_waitcnt lgkmcnt(0)
	s_and_saveexec_b64 s[18:19], s[2:3]
	s_cbranch_execz .LBB715_13
; %bb.12:
	v_add_f32_e32 v10, v10, v11
	v_lshrrev_b32_e32 v11, 4, v0
	v_and_b32_e32 v11, 60, v11
	ds_write_b32 v11, v10 offset:8
.LBB715_13:
	s_or_b64 exec, exec, s[18:19]
	v_and_b32_e32 v10, 1, v0
	v_lshlrev_b32_e32 v34, 2, v10
	s_waitcnt lgkmcnt(0)
	s_barrier
	ds_read_b32 v11, v34 offset:8
	s_load_dwordx2 s[18:19], s[4:5], 0x18
	s_waitcnt lgkmcnt(0)
	v_mov_b32_dpp v12, v11 quad_perm:[1,0,3,2] row_mask:0xf bank_mask:0xf
	s_and_saveexec_b64 s[34:35], s[0:1]
	s_cbranch_execnz .LBB715_18
; %bb.14:
	s_or_b64 exec, exec, s[34:35]
	s_mov_b64 s[8:9], -1
	s_and_b64 vcc, exec, s[30:31]
	s_cbranch_vccnz .LBB715_19
.LBB715_15:
	s_andn2_b64 vcc, exec, s[8:9]
	s_cbranch_vccz .LBB715_22
.LBB715_16:
	s_cmp_lt_i32 s24, 1
	s_cbranch_scc0 .LBB715_31
.LBB715_17:
	s_endpgm
.LBB715_18:
	v_cvt_f32_u32_e32 v13, s7
	v_add_f32_e32 v11, v11, v12
	s_waitcnt vmcnt(2)
	v_mov_b32_e32 v15, s21
	v_mov_b32_e32 v16, s20
	v_div_scale_f32 v12, s[36:37], v13, v13, v11
	v_rcp_f32_e32 v14, v12
	v_cndmask_b32_e64 v15, v15, v16, s[8:9]
	s_mov_b32 s7, 0x800000
	v_fma_f32 v16, -v12, v14, 1.0
	v_fmac_f32_e32 v14, v16, v14
	v_div_scale_f32 v16, vcc, v11, v13, v11
	v_mul_f32_e32 v17, v16, v14
	v_fma_f32 v35, -v12, v17, v16
	v_fmac_f32_e32 v17, v35, v14
	v_fma_f32 v12, -v12, v17, v16
	v_div_fmas_f32 v12, v12, v14, v17
	v_div_fixup_f32 v11, v12, v13, v11
	v_add_f32_e32 v11, v15, v11
	v_mul_f32_e32 v12, 0x4b800000, v11
	v_cmp_gt_f32_e32 vcc, s7, v11
	v_cndmask_b32_e32 v11, v11, v12, vcc
	v_rsq_f32_e32 v11, v11
	v_mul_f32_e32 v12, 0x45800000, v11
	v_cndmask_b32_e32 v12, v11, v12, vcc
	v_mov_b32_e32 v13, v12
	;;#ASMSTART
	v_pk_mul_f32 v[14:15], v[28:29], v[12:13]
	;;#ASMEND
	s_waitcnt vmcnt(1)
	v_cvt_f32_f16_sdwa v29, v6 dst_sel:DWORD dst_unused:UNUSED_PAD src0_sel:WORD_1
	v_cvt_f32_f16_e32 v28, v6
	;;#ASMSTART
	v_pk_mul_f32 v[16:17], v[32:33], v[12:13]
	;;#ASMEND
	v_cvt_f32_f16_sdwa v33, v7 dst_sel:DWORD dst_unused:UNUSED_PAD src0_sel:WORD_1
	v_cvt_f32_f16_e32 v32, v7
	;;#ASMSTART
	v_pk_mul_f32 v[26:27], v[26:27], v[12:13]
	;;#ASMEND
	;;#ASMSTART
	v_pk_mul_f32 v[30:31], v[30:31], v[12:13]
	;;#ASMEND
	;; [unrolled: 3-line block ×6, first 2 shown]
	v_pk_add_f32 v[12:13], v[28:29], 1.0 op_sel_hi:[1,0]
	;;#ASMSTART
	v_pk_mul_f32 v[28:29], v[14:15], v[12:13]
	;;#ASMEND
	v_cvt_f32_f16_sdwa v15, v8 dst_sel:DWORD dst_unused:UNUSED_PAD src0_sel:WORD_1
	v_cvt_f32_f16_e32 v14, v8
	v_cvt_f32_f16_sdwa v19, v9 dst_sel:DWORD dst_unused:UNUSED_PAD src0_sel:WORD_1
	v_cvt_f32_f16_e32 v18, v9
	v_pk_add_f32 v[12:13], v[32:33], 1.0 op_sel_hi:[1,0]
	;;#ASMSTART
	v_pk_mul_f32 v[32:33], v[16:17], v[12:13]
	;;#ASMEND
	s_waitcnt vmcnt(0)
	v_cvt_f32_f16_sdwa v13, v2 dst_sel:DWORD dst_unused:UNUSED_PAD src0_sel:WORD_1
	v_cvt_f32_f16_e32 v12, v2
	v_pk_add_f32 v[8:9], v[14:15], 1.0 op_sel_hi:[1,0]
	;;#ASMSTART
	v_pk_mul_f32 v[26:27], v[26:27], v[8:9]
	;;#ASMEND
	v_pk_add_f32 v[8:9], v[18:19], 1.0 op_sel_hi:[1,0]
	v_cvt_f32_f16_sdwa v15, v3 dst_sel:DWORD dst_unused:UNUSED_PAD src0_sel:WORD_1
	v_cvt_f32_f16_e32 v14, v3
	;;#ASMSTART
	v_pk_mul_f32 v[30:31], v[30:31], v[8:9]
	;;#ASMEND
	v_cvt_f32_f16_sdwa v9, v4 dst_sel:DWORD dst_unused:UNUSED_PAD src0_sel:WORD_1
	v_cvt_f32_f16_e32 v8, v4
	v_pk_add_f32 v[2:3], v[12:13], 1.0 op_sel_hi:[1,0]
	v_cvt_f32_f16_sdwa v13, v5 dst_sel:DWORD dst_unused:UNUSED_PAD src0_sel:WORD_1
	v_cvt_f32_f16_e32 v12, v5
	;;#ASMSTART
	v_pk_mul_f32 v[22:23], v[22:23], v[2:3]
	;;#ASMEND
	v_pk_add_f32 v[2:3], v[14:15], 1.0 op_sel_hi:[1,0]
	;;#ASMSTART
	v_pk_mul_f32 v[24:25], v[24:25], v[2:3]
	;;#ASMEND
	v_pk_add_f32 v[2:3], v[8:9], 1.0 op_sel_hi:[1,0]
	;; [unrolled: 4-line block ×3, first 2 shown]
	;;#ASMSTART
	v_pk_mul_f32 v[18:19], v[6:7], v[2:3]
	;;#ASMEND
	s_or_b64 exec, exec, s[34:35]
	s_mov_b64 s[8:9], -1
	s_and_b64 vcc, exec, s[30:31]
	s_cbranch_vccz .LBB715_15
.LBB715_19:
	s_and_saveexec_b64 s[8:9], s[0:1]
	s_cbranch_execz .LBB715_21
; %bb.20:
	s_mul_hi_i32 s31, s16, s6
	s_mul_i32 s30, s16, s6
	s_waitcnt vmcnt(0)
	v_cvt_f16_f32_e32 v2, v28
	v_cvt_f16_f32_e32 v3, v32
	;; [unrolled: 1-line block ×8, first 2 shown]
	s_lshl_b64 s[30:31], s[30:31], 1
	s_add_u32 s36, s18, s30
	s_addc_u32 s7, s19, s31
	s_and_b32 s37, s7, 0xffff
	s_mov_b32 s39, 0x20000
	v_pack_b32_f16 v5, v5, v6
	v_pack_b32_f16 v4, v4, v7
	v_pack_b32_f16 v3, v3, v8
	v_pack_b32_f16 v2, v2, v9
	v_lshlrev_b32_e32 v6, 5, v0
	buffer_store_dwordx4 v[2:5], v6, s[36:39], 0 offen
	v_cvt_f16_f32_e32 v7, v19
	v_cvt_f16_f32_e32 v2, v22
	;; [unrolled: 1-line block ×8, first 2 shown]
	v_pack_b32_f16 v5, v5, v7
	v_pack_b32_f16 v4, v4, v8
	;; [unrolled: 1-line block ×4, first 2 shown]
	;;#ASMSTART
	s_nop 0
	;;#ASMEND
	buffer_store_dwordx4 v[2:5], v6, s[36:39], 16 offen
	;;#ASMSTART
	s_nop 0
	;;#ASMEND
.LBB715_21:
	s_or_b64 exec, exec, s[8:9]
	s_cbranch_execnz .LBB715_16
.LBB715_22:
	s_waitcnt vmcnt(0)
	v_mov_b32_e32 v2, 0
	s_and_saveexec_b64 s[8:9], s[0:1]
	s_cbranch_execz .LBB715_24
; %bb.23:
	s_load_dwordx2 s[30:31], s[4:5], 0x10
	s_mul_hi_i32 s35, s15, s6
	s_mul_i32 s34, s15, s6
	v_cvt_f16_f32_e32 v2, v28
	v_cvt_f16_f32_e32 v3, v32
	v_cvt_f16_f32_e32 v4, v26
	v_cvt_f16_f32_e32 v5, v30
	v_cvt_f16_f32_e32 v6, v31
	v_cvt_f16_f32_e32 v7, v27
	v_cvt_f16_f32_e32 v8, v33
	v_cvt_f16_f32_e32 v9, v29
	s_lshl_b64 s[34:35], s[34:35], 1
	s_waitcnt lgkmcnt(0)
	s_add_u32 s36, s30, s34
	s_addc_u32 s7, s31, s35
	s_mov_b32 s39, 0x20000
	s_and_b32 s37, s7, 0xffff
	v_pack_b32_f16 v5, v5, v6
	v_pack_b32_f16 v4, v4, v7
	;; [unrolled: 1-line block ×4, first 2 shown]
	v_lshlrev_b32_e32 v6, 5, v0
	buffer_store_dwordx4 v[2:5], v6, s[36:39], 0 offen
	v_cvt_f16_f32_e32 v7, v19
	v_cvt_f16_f32_e32 v2, v22
	;; [unrolled: 1-line block ×8, first 2 shown]
	v_pack_b32_f16 v5, v5, v7
	v_pack_b32_f16 v4, v4, v8
	;; [unrolled: 1-line block ×4, first 2 shown]
	;;#ASMSTART
	s_nop 0
	;;#ASMEND
	buffer_store_dwordx4 v[2:5], v6, s[36:39], 16 offen
	;;#ASMSTART
	s_nop 0
	;;#ASMEND
	s_nop 0
	v_mov_b32_e32 v2, 0x2edbe6ff
.LBB715_24:
	s_or_b64 exec, exec, s[8:9]
	s_and_saveexec_b64 s[8:9], s[0:1]
	s_cbranch_execz .LBB715_26
; %bb.25:
	v_and_b32_e32 v3, 0x7fffffff, v28
	v_and_b32_e32 v4, 0x7fffffff, v29
	;;#ASMSTART
	v_max3_f32 v2, v2, v3, v4

	;;#ASMEND
	v_and_b32_e32 v3, 0x7fffffff, v32
	v_and_b32_e32 v4, 0x7fffffff, v33
	;;#ASMSTART
	v_max3_f32 v2, v2, v3, v4

	;;#ASMEND
	;; [unrolled: 6-line block ×8, first 2 shown]
.LBB715_26:
	s_or_b64 exec, exec, s[8:9]
	v_cmp_eq_u32_e32 vcc, 0, v10
	v_cmp_gt_i32_e64 s[8:9], s23, v1
	s_and_b64 s[30:31], vcc, s[8:9]
	;;#ASMSTART
	v_max_f32 v3, v2, v2 quad_perm:[1,0,3,2] row_mask:0xf bank_mask:0xf bound_ctrl:1
	;;#ASMEND
	s_and_saveexec_b64 s[8:9], s[30:31]
	s_cbranch_execz .LBB715_28
; %bb.27:
	s_load_dwordx2 s[30:31], s[4:5], 0x8
	v_mul_f32_e32 v2, 0x3e2aaaab, v3
	v_lshrrev_b32_e32 v3, 23, v2
	v_and_b32_e32 v4, 0x7f800000, v2
	v_and_b32_e32 v2, 0x7fffff, v2
	v_cmp_ne_u32_e32 vcc, 0, v2
	s_mul_hi_i32 s15, s13, s6
	s_mul_i32 s13, s13, s6
	s_mov_b32 s7, 0x7f800000
	v_addc_co_u32_e32 v2, vcc, 0, v3, vcc
	s_waitcnt lgkmcnt(0)
	s_add_u32 s30, s30, s13
	v_cmp_ne_u32_e32 vcc, s7, v4
	s_addc_u32 s31, s31, s15
	v_lshrrev_b32_e32 v5, 1, v0
	v_cndmask_b32_e32 v4, -1, v2, vcc
	v_pk_mov_b32 v[2:3], s[30:31], s[30:31] op_sel:[0,1]
	v_mad_i64_i32 v[2:3], s[14:15], s14, v5, v[2:3]
	global_store_byte v[2:3], v4, off
.LBB715_28:
	s_or_b64 exec, exec, s[8:9]
	s_and_saveexec_b64 s[8:9], s[0:1]
	s_cbranch_execz .LBB715_30
; %bb.29:
	s_load_dwordx2 s[0:1], s[4:5], 0x0
	s_mul_hi_i32 s7, s12, s6
	s_mul_i32 s12, s12, s6
	v_mov_b32_e32 v2, 0
	v_lshlrev_b32_e32 v4, 3, v0
	s_waitcnt lgkmcnt(0)
	s_add_u32 s12, s0, s12
	s_addc_u32 s0, s1, s7
	s_lshr_b32 s1, s23, 31
	s_add_i32 s1, s23, s1
	s_ashr_i32 s1, s1, 1
	s_add_i32 s1, s1, 3
	s_ashr_i32 s7, s1, 31
	s_lshr_b32 s7, s7, 30
	s_add_i32 s1, s1, s7
	s_and_b32 s14, s1, -4
	s_and_b32 s13, s0, 0xffff
	s_mov_b32 s15, 0x20000
	v_mov_b32_e32 v3, v2
	buffer_store_dwordx2 v[2:3], v4, s[12:15], 0 offen
	;;#ASMSTART
	s_nop 0
	;;#ASMEND
.LBB715_30:
	s_or_b64 exec, exec, s[8:9]
	s_cmp_lt_i32 s24, 1
	s_cbranch_scc1 .LBB715_17
.LBB715_31:
	s_load_dword s0, s[4:5], 0x94
	s_waitcnt lgkmcnt(0)
	s_cmp_lg_u32 s0, 1
	s_cbranch_scc1 .LBB715_17
; %bb.32:
	s_lshl_b32 s0, s24, 1
	s_add_i32 s0, s0, 2
	v_cmp_gt_u32_e32 vcc, s24, v1
	s_and_b32 s30, s0, -4
	v_mov_b32_e32 v18, 0
	v_lshlrev_b32_e32 v1, 5, v0
	s_waitcnt vmcnt(2)
	v_mov_b32_e32 v14, 0
	v_mov_b32_e32 v15, 0
	;; [unrolled: 1-line block ×8, first 2 shown]
	s_waitcnt vmcnt(1)
	v_mov_b32_e32 v6, 0
	v_mov_b32_e32 v7, 0
	;; [unrolled: 1-line block ×4, first 2 shown]
	s_waitcnt vmcnt(0)
	v_mov_b32_e32 v2, 0
	v_mov_b32_e32 v3, 0
	v_mov_b32_e32 v4, 0
	v_mov_b32_e32 v5, 0
	s_barrier
	s_and_saveexec_b64 s[0:1], vcc
	s_cbranch_execz .LBB715_34
; %bb.33:
	s_mul_hi_i32 s5, s26, s6
	s_mul_i32 s4, s26, s6
	s_and_b32 s29, s29, 0xffff
	s_lshl_b64 s[4:5], s[4:5], 1
	s_add_u32 s8, s10, s4
	s_mov_b32 s31, 0x20000
	s_addc_u32 s4, s11, s5
	s_and_b32 s9, s4, 0xffff
	s_mov_b32 s10, s30
	s_mov_b32 s11, s31
	buffer_load_dwordx4 v[14:17], v1, s[8:11], 0 offen
	buffer_load_dwordx4 v[10:13], v1, s[8:11], 16 offen
	;; [unrolled: 1-line block ×4, first 2 shown]
.LBB715_34:
	s_or_b64 exec, exec, s[0:1]
	v_mov_b32_e32 v19, 0
	v_mov_b32_e32 v32, 0
	;; [unrolled: 1-line block ×15, first 2 shown]
	s_and_saveexec_b64 s[0:1], vcc
	s_cbranch_execz .LBB715_36
; %bb.35:
	s_waitcnt vmcnt(3)
	v_cvt_f32_f16_sdwa v19, v14 dst_sel:DWORD dst_unused:UNUSED_PAD src0_sel:WORD_1
	v_cvt_f32_f16_e32 v18, v14
	v_cvt_f32_f16_sdwa v33, v15 dst_sel:DWORD dst_unused:UNUSED_PAD src0_sel:WORD_1
	v_cvt_f32_f16_e32 v32, v15
	;; [unrolled: 2-line block ×4, first 2 shown]
	s_waitcnt vmcnt(2)
	v_cvt_f32_f16_sdwa v27, v10 dst_sel:DWORD dst_unused:UNUSED_PAD src0_sel:WORD_1
	v_cvt_f32_f16_e32 v26, v10
	v_cvt_f32_f16_sdwa v25, v11 dst_sel:DWORD dst_unused:UNUSED_PAD src0_sel:WORD_1
	v_cvt_f32_f16_e32 v24, v11
	v_cvt_f32_f16_sdwa v23, v12 dst_sel:DWORD dst_unused:UNUSED_PAD src0_sel:WORD_1
	v_cvt_f32_f16_e32 v22, v12
	v_cvt_f32_f16_sdwa v21, v13 dst_sel:DWORD dst_unused:UNUSED_PAD src0_sel:WORD_1
	v_cvt_f32_f16_e32 v20, v13
.LBB715_36:
	s_or_b64 exec, exec, s[0:1]
	s_waitcnt vmcnt(2)
	v_mul_f32_e32 v10, v19, v19
	v_fmac_f32_e32 v10, v18, v18
	v_fmac_f32_e32 v10, v32, v32
	;; [unrolled: 1-line block ×15, first 2 shown]
	s_nop 1
	v_mov_b32_dpp v11, v10 quad_perm:[1,0,3,2] row_mask:0xf bank_mask:0xf
	v_add_f32_e32 v10, v10, v11
	s_nop 1
	v_mov_b32_dpp v11, v10 quad_perm:[2,3,0,1] row_mask:0xf bank_mask:0xf
	v_add_f32_e32 v10, v10, v11
	s_nop 1
	v_mov_b32_dpp v11, v10 row_half_mirror row_mask:0xf bank_mask:0xf
	v_add_f32_e32 v10, v10, v11
	s_nop 1
	v_mov_b32_dpp v11, v10 row_mirror row_mask:0xf bank_mask:0xf
	v_add_f32_e32 v10, v10, v11
	s_nop 1
	v_mov_b32_dpp v11, v10 row_bcast:15 row_mask:0xf bank_mask:0xf
	v_add_f32_e32 v10, v10, v11
	s_nop 1
	v_mov_b32_dpp v11, v10 row_bcast:31 row_mask:0xf bank_mask:0xf
	s_and_saveexec_b64 s[0:1], s[2:3]
	s_cbranch_execz .LBB715_38
; %bb.37:
	v_lshrrev_b32_e32 v0, 4, v0
	v_add_f32_e32 v10, v10, v11
	v_and_b32_e32 v0, 60, v0
	ds_write_b32 v0, v10
.LBB715_38:
	s_or_b64 exec, exec, s[0:1]
	s_waitcnt lgkmcnt(0)
	s_barrier
	ds_read_b32 v0, v34
	s_waitcnt lgkmcnt(0)
	s_nop 0
	v_mov_b32_dpp v10, v0 quad_perm:[1,0,3,2] row_mask:0xf bank_mask:0xf
	s_and_saveexec_b64 s[0:1], vcc
	s_cbranch_execz .LBB715_17
; %bb.39:
	v_cvt_f32_u32_e32 v11, s24
	v_add_f32_e32 v0, v0, v10
	s_mov_b32 s31, 0x20000
	v_div_scale_f32 v10, s[0:1], v11, v11, v0
	v_rcp_f32_e32 v12, v10
	v_div_scale_f32 v13, vcc, v0, v11, v0
	s_mov_b32 s0, 0x800000
	v_fma_f32 v14, -v10, v12, 1.0
	v_fmac_f32_e32 v12, v14, v12
	v_mul_f32_e32 v14, v13, v12
	v_fma_f32 v15, -v10, v14, v13
	v_fmac_f32_e32 v14, v15, v12
	v_fma_f32 v10, -v10, v14, v13
	v_div_fmas_f32 v10, v10, v12, v14
	v_div_fixup_f32 v0, v10, v11, v0
	v_add_f32_e32 v0, s21, v0
	v_mul_f32_e32 v10, 0x4b800000, v0
	v_cmp_gt_f32_e32 vcc, s0, v0
	v_cndmask_b32_e32 v0, v0, v10, vcc
	v_rsq_f32_e32 v0, v0
	s_mul_hi_i32 s1, s16, s6
	s_mul_i32 s0, s16, s6
	s_lshl_b64 s[0:1], s[0:1], 1
	v_mul_f32_e32 v10, 0x45800000, v0
	v_cndmask_b32_e32 v10, v0, v10, vcc
	v_mov_b32_e32 v11, v10
	;;#ASMSTART
	v_pk_mul_f32 v[12:13], v[18:19], v[10:11]
	;;#ASMEND
	;;#ASMSTART
	v_pk_mul_f32 v[14:15], v[32:33], v[10:11]
	;;#ASMEND
	;; [unrolled: 3-line block ×4, first 2 shown]
	s_waitcnt vmcnt(1)
	v_cvt_f32_f16_sdwa v29, v6 dst_sel:DWORD dst_unused:UNUSED_PAD src0_sel:WORD_1
	v_cvt_f32_f16_e32 v28, v6
	v_cvt_f32_f16_sdwa v31, v7 dst_sel:DWORD dst_unused:UNUSED_PAD src0_sel:WORD_1
	v_cvt_f32_f16_e32 v30, v7
	;;#ASMSTART
	v_pk_mul_f32 v[26:27], v[26:27], v[10:11]
	;;#ASMEND
	;;#ASMSTART
	v_pk_mul_f32 v[24:25], v[24:25], v[10:11]
	;;#ASMEND
	;; [unrolled: 3-line block ×4, first 2 shown]
	v_cvt_f32_f16_sdwa v21, v8 dst_sel:DWORD dst_unused:UNUSED_PAD src0_sel:WORD_1
	v_cvt_f32_f16_e32 v20, v8
	v_pk_add_f32 v[10:11], v[28:29], 1.0 op_sel_hi:[1,0]
	;;#ASMSTART
	v_pk_mul_f32 v[10:11], v[12:13], v[10:11]
	;;#ASMEND
	v_pk_add_f32 v[12:13], v[30:31], 1.0 op_sel_hi:[1,0]
	v_cvt_f32_f16_sdwa v29, v9 dst_sel:DWORD dst_unused:UNUSED_PAD src0_sel:WORD_1
	v_cvt_f32_f16_e32 v28, v9
	;;#ASMSTART
	v_pk_mul_f32 v[8:9], v[14:15], v[12:13]
	;;#ASMEND
	v_pk_add_f32 v[12:13], v[20:21], 1.0 op_sel_hi:[1,0]
	;;#ASMSTART
	v_pk_mul_f32 v[12:13], v[16:17], v[12:13]
	;;#ASMEND
	s_waitcnt vmcnt(0)
	v_cvt_f32_f16_sdwa v17, v2 dst_sel:DWORD dst_unused:UNUSED_PAD src0_sel:WORD_1
	v_cvt_f32_f16_e32 v16, v2
	v_cvt_f32_f16_sdwa v21, v3 dst_sel:DWORD dst_unused:UNUSED_PAD src0_sel:WORD_1
	v_cvt_f32_f16_e32 v20, v3
	v_pk_add_f32 v[14:15], v[28:29], 1.0 op_sel_hi:[1,0]
	;;#ASMSTART
	v_pk_mul_f32 v[2:3], v[18:19], v[14:15]
	;;#ASMEND
	v_cvt_f32_f16_sdwa v19, v4 dst_sel:DWORD dst_unused:UNUSED_PAD src0_sel:WORD_1
	v_cvt_f32_f16_e32 v18, v4
	v_pk_add_f32 v[14:15], v[16:17], 1.0 op_sel_hi:[1,0]
	v_pk_add_f32 v[16:17], v[20:21], 1.0 op_sel_hi:[1,0]
	v_cvt_f32_f16_sdwa v21, v5 dst_sel:DWORD dst_unused:UNUSED_PAD src0_sel:WORD_1
	v_cvt_f32_f16_e32 v20, v5
	v_pk_add_f32 v[4:5], v[18:19], 1.0 op_sel_hi:[1,0]
	;;#ASMSTART
	v_pk_mul_f32 v[14:15], v[26:27], v[14:15]
	;;#ASMEND
	;;#ASMSTART
	v_pk_mul_f32 v[16:17], v[24:25], v[16:17]
	;;#ASMEND
	;; [unrolled: 3-line block ×3, first 2 shown]
	v_pk_add_f32 v[4:5], v[20:21], 1.0 op_sel_hi:[1,0]
	;;#ASMSTART
	v_pk_mul_f32 v[6:7], v[6:7], v[4:5]
	;;#ASMEND
	v_cvt_f16_f32_e32 v0, v10
	v_cvt_f16_f32_e32 v4, v11
	;; [unrolled: 1-line block ×8, first 2 shown]
	s_add_u32 s28, s18, s0
	s_addc_u32 s0, s19, s1
	s_and_b32 s29, s0, 0xffff
	v_pack_b32_f16 v2, v0, v4
	v_pack_b32_f16 v3, v5, v8
	;; [unrolled: 1-line block ×4, first 2 shown]
	buffer_store_dwordx4 v[2:5], v1, s[28:31], 0 offen
	v_cvt_f16_f32_e32 v0, v14
	v_cvt_f16_f32_e32 v2, v15
	;; [unrolled: 1-line block ×8, first 2 shown]
	v_pack_b32_f16 v2, v0, v2
	v_pack_b32_f16 v3, v3, v4
	;; [unrolled: 1-line block ×4, first 2 shown]
	;;#ASMSTART
	s_nop 0
	;;#ASMEND
	buffer_store_dwordx4 v[2:5], v1, s[28:31], 16 offen
	;;#ASMSTART
	s_nop 0
	;;#ASMEND
	s_endpgm
	.section	.rodata,"a",@progbits
	.p2align	6, 0x0
	.amdhsa_kernel _ZN5aiter35fused_qk_rmsnorm_group_quant_kernelIDF16_N4opus5fp4_tELi128ELi16ELi2ELb1ELb1ELb1ELb0ELb0ELb0EEEvPT0_PvPT_S7_S7_PKS6_S9_S9_S9_S9_ffiiiiiiiiiiiii
		.amdhsa_group_segment_fixed_size 16
		.amdhsa_private_segment_fixed_size 0
		.amdhsa_kernarg_size 400
		.amdhsa_user_sgpr_count 6
		.amdhsa_user_sgpr_private_segment_buffer 1
		.amdhsa_user_sgpr_dispatch_ptr 0
		.amdhsa_user_sgpr_queue_ptr 0
		.amdhsa_user_sgpr_kernarg_segment_ptr 1
		.amdhsa_user_sgpr_dispatch_id 0
		.amdhsa_user_sgpr_flat_scratch_init 0
		.amdhsa_user_sgpr_kernarg_preload_length 0
		.amdhsa_user_sgpr_kernarg_preload_offset 0
		.amdhsa_user_sgpr_private_segment_size 0
		.amdhsa_uses_dynamic_stack 0
		.amdhsa_system_sgpr_private_segment_wavefront_offset 0
		.amdhsa_system_sgpr_workgroup_id_x 1
		.amdhsa_system_sgpr_workgroup_id_y 1
		.amdhsa_system_sgpr_workgroup_id_z 0
		.amdhsa_system_sgpr_workgroup_info 0
		.amdhsa_system_vgpr_workitem_id 0
		.amdhsa_next_free_vgpr 49
		.amdhsa_next_free_sgpr 44
		.amdhsa_accum_offset 52
		.amdhsa_reserve_vcc 1
		.amdhsa_reserve_flat_scratch 0
		.amdhsa_float_round_mode_32 0
		.amdhsa_float_round_mode_16_64 0
		.amdhsa_float_denorm_mode_32 3
		.amdhsa_float_denorm_mode_16_64 3
		.amdhsa_dx10_clamp 1
		.amdhsa_ieee_mode 1
		.amdhsa_fp16_overflow 0
		.amdhsa_tg_split 0
		.amdhsa_exception_fp_ieee_invalid_op 0
		.amdhsa_exception_fp_denorm_src 0
		.amdhsa_exception_fp_ieee_div_zero 0
		.amdhsa_exception_fp_ieee_overflow 0
		.amdhsa_exception_fp_ieee_underflow 0
		.amdhsa_exception_fp_ieee_inexact 0
		.amdhsa_exception_int_div_zero 0
	.end_amdhsa_kernel
	.section	.text._ZN5aiter35fused_qk_rmsnorm_group_quant_kernelIDF16_N4opus5fp4_tELi128ELi16ELi2ELb1ELb1ELb1ELb0ELb0ELb0EEEvPT0_PvPT_S7_S7_PKS6_S9_S9_S9_S9_ffiiiiiiiiiiiii,"axG",@progbits,_ZN5aiter35fused_qk_rmsnorm_group_quant_kernelIDF16_N4opus5fp4_tELi128ELi16ELi2ELb1ELb1ELb1ELb0ELb0ELb0EEEvPT0_PvPT_S7_S7_PKS6_S9_S9_S9_S9_ffiiiiiiiiiiiii,comdat
.Lfunc_end715:
	.size	_ZN5aiter35fused_qk_rmsnorm_group_quant_kernelIDF16_N4opus5fp4_tELi128ELi16ELi2ELb1ELb1ELb1ELb0ELb0ELb0EEEvPT0_PvPT_S7_S7_PKS6_S9_S9_S9_S9_ffiiiiiiiiiiiii, .Lfunc_end715-_ZN5aiter35fused_qk_rmsnorm_group_quant_kernelIDF16_N4opus5fp4_tELi128ELi16ELi2ELb1ELb1ELb1ELb0ELb0ELb0EEEvPT0_PvPT_S7_S7_PKS6_S9_S9_S9_S9_ffiiiiiiiiiiiii
                                        ; -- End function
	.section	.AMDGPU.csdata,"",@progbits
; Kernel info:
; codeLenInByte = 4068
; NumSgprs: 48
; NumVgprs: 49
; NumAgprs: 0
; TotalNumVgprs: 49
; ScratchSize: 0
; MemoryBound: 0
; FloatMode: 240
; IeeeMode: 1
; LDSByteSize: 16 bytes/workgroup (compile time only)
; SGPRBlocks: 5
; VGPRBlocks: 6
; NumSGPRsForWavesPerEU: 48
; NumVGPRsForWavesPerEU: 49
; AccumOffset: 52
; Occupancy: 8
; WaveLimiterHint : 0
; COMPUTE_PGM_RSRC2:SCRATCH_EN: 0
; COMPUTE_PGM_RSRC2:USER_SGPR: 6
; COMPUTE_PGM_RSRC2:TRAP_HANDLER: 0
; COMPUTE_PGM_RSRC2:TGID_X_EN: 1
; COMPUTE_PGM_RSRC2:TGID_Y_EN: 1
; COMPUTE_PGM_RSRC2:TGID_Z_EN: 0
; COMPUTE_PGM_RSRC2:TIDIG_COMP_CNT: 0
; COMPUTE_PGM_RSRC3_GFX90A:ACCUM_OFFSET: 12
; COMPUTE_PGM_RSRC3_GFX90A:TG_SPLIT: 0
	.section	.text._ZN5aiter35fused_qk_rmsnorm_group_quant_kernelItN4opus5fp4_tELi128ELi16ELi2ELb1ELb1ELb1ELb0ELb0ELb0EEEvPT0_PvPT_S7_S7_PKS6_S9_S9_S9_S9_ffiiiiiiiiiiiii,"axG",@progbits,_ZN5aiter35fused_qk_rmsnorm_group_quant_kernelItN4opus5fp4_tELi128ELi16ELi2ELb1ELb1ELb1ELb0ELb0ELb0EEEvPT0_PvPT_S7_S7_PKS6_S9_S9_S9_S9_ffiiiiiiiiiiiii,comdat
	.protected	_ZN5aiter35fused_qk_rmsnorm_group_quant_kernelItN4opus5fp4_tELi128ELi16ELi2ELb1ELb1ELb1ELb0ELb0ELb0EEEvPT0_PvPT_S7_S7_PKS6_S9_S9_S9_S9_ffiiiiiiiiiiiii ; -- Begin function _ZN5aiter35fused_qk_rmsnorm_group_quant_kernelItN4opus5fp4_tELi128ELi16ELi2ELb1ELb1ELb1ELb0ELb0ELb0EEEvPT0_PvPT_S7_S7_PKS6_S9_S9_S9_S9_ffiiiiiiiiiiiii
	.globl	_ZN5aiter35fused_qk_rmsnorm_group_quant_kernelItN4opus5fp4_tELi128ELi16ELi2ELb1ELb1ELb1ELb0ELb0ELb0EEEvPT0_PvPT_S7_S7_PKS6_S9_S9_S9_S9_ffiiiiiiiiiiiii
	.p2align	8
	.type	_ZN5aiter35fused_qk_rmsnorm_group_quant_kernelItN4opus5fp4_tELi128ELi16ELi2ELb1ELb1ELb1ELb0ELb0ELb0EEEvPT0_PvPT_S7_S7_PKS6_S9_S9_S9_S9_ffiiiiiiiiiiiii,@function
_ZN5aiter35fused_qk_rmsnorm_group_quant_kernelItN4opus5fp4_tELi128ELi16ELi2ELb1ELb1ELb1ELb0ELb0ELb0EEEvPT0_PvPT_S7_S7_PKS6_S9_S9_S9_S9_ffiiiiiiiiiiiii: ; @_ZN5aiter35fused_qk_rmsnorm_group_quant_kernelItN4opus5fp4_tELi128ELi16ELi2ELb1ELb1ELb1ELb0ELb0ELb0EEEvPT0_PvPT_S7_S7_PKS6_S9_S9_S9_S9_ffiiiiiiiiiiiii
; %bb.0:
	s_load_dwordx8 s[20:27], s[4:5], 0x50
	s_waitcnt lgkmcnt(0)
	s_cmp_ge_i32 s6, s22
	s_cbranch_scc1 .LBB716_17
; %bb.1:
	s_load_dwordx2 s[28:29], s[4:5], 0x48
	s_load_dwordx2 s[10:11], s[4:5], 0x30
	s_load_dwordx8 s[12:19], s[4:5], 0x70
	s_cmp_lg_u32 s7, 0
	s_waitcnt lgkmcnt(0)
	s_cselect_b64 s[18:19], -1, 0
	s_cmp_eq_u32 s7, 0
	s_cselect_b64 s[8:9], -1, 0
	s_and_b64 s[0:1], s[8:9], exec
	s_cselect_b32 s7, s23, s24
	s_add_i32 s0, s7, 1
	s_lshr_b32 s1, s0, 31
	s_add_i32 s0, s0, s1
	s_lshl_b32 s0, s0, 1
	v_lshlrev_b32_e32 v1, 4, v0
	s_and_b32 s38, s0, -4
	v_cmp_gt_i32_e64 s[0:1], s7, v1
	v_mov_b32_e32 v62, 0
	v_mov_b32_e32 v63, 0
	;; [unrolled: 1-line block ×16, first 2 shown]
	s_and_saveexec_b64 s[2:3], s[0:1]
	s_cbranch_execz .LBB716_3
; %bb.2:
	s_load_dwordx2 s[30:31], s[4:5], 0x28
	s_load_dwordx2 s[34:35], s[4:5], 0x40
	s_and_b64 s[36:37], s[8:9], exec
	s_cselect_b32 s22, s25, s26
	s_mov_b32 s39, 0x20000
	s_waitcnt lgkmcnt(0)
	s_cselect_b32 s25, s31, s11
	s_cselect_b32 s33, s30, s10
	s_mul_hi_i32 s31, s22, s6
	s_mul_i32 s30, s22, s6
	s_lshl_b64 s[30:31], s[30:31], 1
	s_add_u32 s40, s33, s30
	s_addc_u32 s22, s25, s31
	s_and_b64 s[30:31], s[8:9], exec
	s_cselect_b32 s36, s34, s28
	s_cselect_b32 s25, s35, s29
	s_and_b32 s41, s22, 0xffff
	s_mov_b32 s42, s38
	s_mov_b32 s43, s39
	v_lshlrev_b32_e32 v2, 5, v0
	s_and_b32 s37, s25, 0xffff
	buffer_load_dwordx4 v[66:69], v2, s[40:43], 0 offen
	buffer_load_dwordx4 v[70:73], v2, s[40:43], 16 offen
	;; [unrolled: 1-line block ×4, first 2 shown]
.LBB716_3:
	s_or_b64 exec, exec, s[2:3]
	s_and_b64 vcc, exec, s[18:19]
	s_cbranch_vccz .LBB716_7
; %bb.4:
	v_mov_b32_e32 v75, 0
	v_mov_b32_e32 v74, 0
	;; [unrolled: 1-line block ×16, first 2 shown]
	s_and_saveexec_b64 s[2:3], s[0:1]
	s_cbranch_execz .LBB716_6
; %bb.5:
	s_waitcnt vmcnt(3)
	v_cvt_f32_u32_sdwa v2, v66 dst_sel:DWORD dst_unused:UNUSED_PAD src0_sel:WORD_0
	v_cvt_f32_u32_sdwa v3, v66 dst_sel:DWORD dst_unused:UNUSED_PAD src0_sel:WORD_1
	v_cvt_f32_u32_sdwa v6, v67 dst_sel:DWORD dst_unused:UNUSED_PAD src0_sel:WORD_0
	v_cvt_f32_u32_sdwa v7, v67 dst_sel:DWORD dst_unused:UNUSED_PAD src0_sel:WORD_1
	;; [unrolled: 2-line block ×4, first 2 shown]
	s_waitcnt vmcnt(2)
	v_cvt_f32_u32_sdwa v50, v70 dst_sel:DWORD dst_unused:UNUSED_PAD src0_sel:WORD_0
	v_cvt_f32_u32_sdwa v51, v70 dst_sel:DWORD dst_unused:UNUSED_PAD src0_sel:WORD_1
	v_cvt_f32_u32_sdwa v24, v71 dst_sel:DWORD dst_unused:UNUSED_PAD src0_sel:WORD_0
	v_cvt_f32_u32_sdwa v25, v71 dst_sel:DWORD dst_unused:UNUSED_PAD src0_sel:WORD_1
	;; [unrolled: 2-line block ×4, first 2 shown]
.LBB716_6:
	s_or_b64 exec, exec, s[2:3]
	s_cbranch_execz .LBB716_8
	s_branch .LBB716_11
.LBB716_7:
                                        ; implicit-def: $vgpr2_vgpr3_vgpr4_vgpr5_vgpr6_vgpr7_vgpr8_vgpr9_vgpr10_vgpr11_vgpr12_vgpr13_vgpr14_vgpr15_vgpr16_vgpr17
                                        ; implicit-def: $vgpr36_vgpr37_vgpr38_vgpr39_vgpr40_vgpr41_vgpr42_vgpr43_vgpr44_vgpr45_vgpr46_vgpr47_vgpr48_vgpr49_vgpr50_vgpr51
                                        ; implicit-def: $vgpr4_vgpr5_vgpr6_vgpr7_vgpr8_vgpr9_vgpr10_vgpr11_vgpr12_vgpr13_vgpr14_vgpr15_vgpr16_vgpr17_vgpr18_vgpr19
                                        ; implicit-def: $vgpr24_vgpr25_vgpr26_vgpr27_vgpr28_vgpr29_vgpr30_vgpr31_vgpr32_vgpr33_vgpr34_vgpr35_vgpr36_vgpr37_vgpr38_vgpr39
                                        ; implicit-def: $vgpr75
                                        ; implicit-def: $vgpr42_vgpr43_vgpr44_vgpr45_vgpr46_vgpr47_vgpr48_vgpr49_vgpr50_vgpr51_vgpr52_vgpr53_vgpr54_vgpr55_vgpr56_vgpr57
                                        ; implicit-def: $vgpr14_vgpr15_vgpr16_vgpr17_vgpr18_vgpr19_vgpr20_vgpr21_vgpr22_vgpr23_vgpr24_vgpr25_vgpr26_vgpr27_vgpr28_vgpr29
                                        ; implicit-def: $vgpr8_vgpr9_vgpr10_vgpr11_vgpr12_vgpr13_vgpr14_vgpr15_vgpr16_vgpr17_vgpr18_vgpr19_vgpr20_vgpr21_vgpr22_vgpr23
.LBB716_8:
	v_mov_b32_e32 v75, 0
	v_mov_b32_e32 v74, 0
	;; [unrolled: 1-line block ×16, first 2 shown]
	s_and_saveexec_b64 s[2:3], s[0:1]
	s_cbranch_execz .LBB716_10
; %bb.9:
	s_load_dwordx2 s[30:31], s[4:5], 0x38
	s_mul_hi_i32 s35, s27, s6
	s_mul_i32 s34, s27, s6
	s_lshl_b64 s[34:35], s[34:35], 1
	s_mov_b32 s39, 0x20000
	s_waitcnt lgkmcnt(0)
	s_add_u32 s36, s30, s34
	s_addc_u32 s22, s31, s35
	s_and_b32 s37, s22, 0xffff
	v_lshlrev_b32_e32 v38, 5, v0
	buffer_load_dwordx4 v[6:9], v38, s[36:39], 16 offen
	buffer_load_dwordx4 v[10:13], v38, s[36:39], 0 offen
	s_load_dwordx2 s[30:31], s[4:5], 0x20
	s_waitcnt vmcnt(5)
	v_cvt_f32_u32_sdwa v3, v66 dst_sel:DWORD dst_unused:UNUSED_PAD src0_sel:WORD_1
	v_cvt_f32_u32_sdwa v2, v66 dst_sel:DWORD dst_unused:UNUSED_PAD src0_sel:WORD_0
	v_cvt_f32_u32_sdwa v21, v67 dst_sel:DWORD dst_unused:UNUSED_PAD src0_sel:WORD_1
	v_cvt_f32_u32_sdwa v20, v67 dst_sel:DWORD dst_unused:UNUSED_PAD src0_sel:WORD_0
	;; [unrolled: 2-line block ×4, first 2 shown]
	s_waitcnt vmcnt(4)
	v_cvt_f32_u32_sdwa v5, v70 dst_sel:DWORD dst_unused:UNUSED_PAD src0_sel:WORD_1
	v_cvt_f32_u32_sdwa v4, v70 dst_sel:DWORD dst_unused:UNUSED_PAD src0_sel:WORD_0
	v_cvt_f32_u32_sdwa v15, v71 dst_sel:DWORD dst_unused:UNUSED_PAD src0_sel:WORD_1
	v_cvt_f32_u32_sdwa v14, v71 dst_sel:DWORD dst_unused:UNUSED_PAD src0_sel:WORD_0
	;; [unrolled: 2-line block ×3, first 2 shown]
	v_cvt_f32_u32_sdwa v18, v73 dst_sel:DWORD dst_unused:UNUSED_PAD src0_sel:WORD_0
	v_cvt_f32_u32_sdwa v19, v73 dst_sel:DWORD dst_unused:UNUSED_PAD src0_sel:WORD_1
	s_mul_hi_i32 s35, s17, s6
	s_mul_i32 s34, s17, s6
	s_lshl_b64 s[34:35], s[34:35], 1
	s_waitcnt lgkmcnt(0)
	s_add_u32 s36, s30, s34
	s_mov_b32 s17, 0x7060302
	s_addc_u32 s22, s31, s35
	s_and_b32 s37, s22, 0xffff
	s_waitcnt vmcnt(1)
	v_cvt_f32_u32_sdwa v27, v6 dst_sel:DWORD dst_unused:UNUSED_PAD src0_sel:WORD_1
	v_cvt_f32_u32_sdwa v26, v6 dst_sel:DWORD dst_unused:UNUSED_PAD src0_sel:WORD_0
	v_cvt_f32_u32_sdwa v29, v7 dst_sel:DWORD dst_unused:UNUSED_PAD src0_sel:WORD_1
	v_cvt_f32_u32_sdwa v28, v7 dst_sel:DWORD dst_unused:UNUSED_PAD src0_sel:WORD_0
	v_cvt_f32_u32_sdwa v33, v8 dst_sel:DWORD dst_unused:UNUSED_PAD src0_sel:WORD_1
	v_cvt_f32_u32_sdwa v32, v8 dst_sel:DWORD dst_unused:UNUSED_PAD src0_sel:WORD_0
	v_cvt_f32_u32_sdwa v34, v9 dst_sel:DWORD dst_unused:UNUSED_PAD src0_sel:WORD_0
	v_cvt_f32_u32_sdwa v35, v9 dst_sel:DWORD dst_unused:UNUSED_PAD src0_sel:WORD_1
	s_waitcnt vmcnt(0)
	v_cvt_f32_u32_sdwa v37, v10 dst_sel:DWORD dst_unused:UNUSED_PAD src0_sel:WORD_1
	v_cvt_f32_u32_sdwa v36, v10 dst_sel:DWORD dst_unused:UNUSED_PAD src0_sel:WORD_0
	v_cvt_f32_u32_sdwa v7, v12 dst_sel:DWORD dst_unused:UNUSED_PAD src0_sel:WORD_1
	v_cvt_f32_u32_sdwa v6, v12 dst_sel:DWORD dst_unused:UNUSED_PAD src0_sel:WORD_0
	;; [unrolled: 2-line block ×4, first 2 shown]
	v_pk_add_f32 v[40:41], v[22:23], v[6:7]
	v_pk_add_f32 v[30:31], v[24:25], v[8:9]
	;; [unrolled: 1-line block ×4, first 2 shown]
	v_perm_b32 v11, v31, v30, s17
	v_perm_b32 v10, v41, v40, s17
	;; [unrolled: 1-line block ×4, first 2 shown]
	v_pk_add_f32 v[74:75], v[18:19], v[34:35]
	v_pk_add_f32 v[20:21], v[16:17], v[32:33]
	;; [unrolled: 1-line block ×4, first 2 shown]
	buffer_store_dwordx4 v[8:11], v38, s[36:39], 0 offen
	;;#ASMSTART
	s_nop 0
	;;#ASMEND
	s_nop 0
	v_perm_b32 v11, v75, v74, s17
	v_perm_b32 v10, v21, v20, s17
	;; [unrolled: 1-line block ×4, first 2 shown]
	buffer_store_dwordx4 v[8:11], v38, s[36:39], 16 offen
	;;#ASMSTART
	s_nop 0
	;;#ASMEND
.LBB716_10:
	s_or_b64 exec, exec, s[2:3]
.LBB716_11:
	v_mul_f32_e32 v4, v3, v3
	v_fmac_f32_e32 v4, v2, v2
	v_fmac_f32_e32 v4, v6, v6
	;; [unrolled: 1-line block ×15, first 2 shown]
	s_nop 1
	v_mov_b32_dpp v5, v4 quad_perm:[1,0,3,2] row_mask:0xf bank_mask:0xf
	v_add_f32_e32 v4, v4, v5
	s_nop 1
	v_mov_b32_dpp v5, v4 quad_perm:[2,3,0,1] row_mask:0xf bank_mask:0xf
	v_add_f32_e32 v4, v4, v5
	s_nop 1
	v_mov_b32_dpp v5, v4 row_half_mirror row_mask:0xf bank_mask:0xf
	v_add_f32_e32 v4, v4, v5
	s_nop 1
	v_mov_b32_dpp v5, v4 row_mirror row_mask:0xf bank_mask:0xf
	v_add_f32_e32 v4, v4, v5
	s_nop 1
	v_mov_b32_dpp v5, v4 row_bcast:15 row_mask:0xf bank_mask:0xf
	v_add_f32_e32 v4, v4, v5
	v_and_b32_e32 v5, 63, v0
	v_cmp_eq_u32_e64 s[2:3], 63, v5
	s_nop 0
	v_mov_b32_dpp v5, v4 row_bcast:31 row_mask:0xf bank_mask:0xf
	s_and_saveexec_b64 s[30:31], s[2:3]
	s_cbranch_execz .LBB716_13
; %bb.12:
	v_add_f32_e32 v4, v4, v5
	v_lshrrev_b32_e32 v5, 4, v0
	v_and_b32_e32 v5, 60, v5
	ds_write_b32 v5, v4 offset:8
.LBB716_13:
	s_or_b64 exec, exec, s[30:31]
	v_and_b32_e32 v4, 1, v0
	v_lshlrev_b32_e32 v34, 2, v4
	s_waitcnt lgkmcnt(0)
	s_barrier
	ds_read_b32 v5, v34 offset:8
	s_load_dwordx2 s[34:35], s[4:5], 0x18
	s_waitcnt lgkmcnt(0)
	v_mov_b32_dpp v8, v5 quad_perm:[1,0,3,2] row_mask:0xf bank_mask:0xf
	s_and_saveexec_b64 s[30:31], s[0:1]
	s_cbranch_execnz .LBB716_18
; %bb.14:
	s_or_b64 exec, exec, s[30:31]
	s_mov_b64 s[8:9], -1
	s_and_b64 vcc, exec, s[18:19]
	s_cbranch_vccnz .LBB716_19
.LBB716_15:
	s_andn2_b64 vcc, exec, s[8:9]
	s_cbranch_vccz .LBB716_22
.LBB716_16:
	s_cmp_lt_i32 s24, 1
	s_cbranch_scc0 .LBB716_31
.LBB716_17:
	s_endpgm
.LBB716_18:
	v_add_f32_e32 v5, v5, v8
	v_cvt_f32_u32_e32 v8, s7
	s_mov_b32 s7, 0x800000
	s_waitcnt vmcnt(1)
	v_cvt_f32_u32_sdwa v17, v62 dst_sel:DWORD dst_unused:UNUSED_PAD src0_sel:WORD_1
	v_cvt_f32_u32_sdwa v16, v62 dst_sel:DWORD dst_unused:UNUSED_PAD src0_sel:WORD_0
	v_div_scale_f32 v9, s[36:37], v8, v8, v5
	v_rcp_f32_e32 v10, v9
	v_pk_add_f32 v[16:17], v[16:17], 1.0 op_sel_hi:[1,0]
	v_cvt_f32_u32_sdwa v23, v64 dst_sel:DWORD dst_unused:UNUSED_PAD src0_sel:WORD_1
	v_cvt_f32_u32_sdwa v22, v64 dst_sel:DWORD dst_unused:UNUSED_PAD src0_sel:WORD_0
	v_fma_f32 v11, -v9, v10, 1.0
	v_fmac_f32_e32 v10, v11, v10
	v_div_scale_f32 v11, vcc, v5, v8, v5
	v_mul_f32_e32 v12, v11, v10
	v_fma_f32 v13, -v9, v12, v11
	v_fmac_f32_e32 v12, v13, v10
	v_fma_f32 v9, -v9, v12, v11
	v_div_fmas_f32 v9, v9, v10, v12
	v_div_fixup_f32 v5, v9, v8, v5
	v_mov_b32_e32 v8, s21
	v_mov_b32_e32 v9, s20
	v_cndmask_b32_e64 v8, v8, v9, s[8:9]
	v_add_f32_e32 v5, v8, v5
	v_mul_f32_e32 v8, 0x4b800000, v5
	v_cmp_gt_f32_e32 vcc, s7, v5
	v_cndmask_b32_e32 v5, v5, v8, vcc
	v_rsq_f32_e32 v5, v5
	s_waitcnt vmcnt(0)
	v_cvt_f32_u32_sdwa v27, v59 dst_sel:DWORD dst_unused:UNUSED_PAD src0_sel:WORD_1
	v_cvt_f32_u32_sdwa v26, v59 dst_sel:DWORD dst_unused:UNUSED_PAD src0_sel:WORD_0
	v_cvt_f32_u32_sdwa v29, v60 dst_sel:DWORD dst_unused:UNUSED_PAD src0_sel:WORD_1
	v_mul_f32_e32 v8, 0x45800000, v5
	v_cndmask_b32_e32 v8, v5, v8, vcc
	v_mov_b32_e32 v9, v8
	;;#ASMSTART
	v_pk_mul_f32 v[2:3], v[2:3], v[8:9]
	;;#ASMEND
	;;#ASMSTART
	v_pk_mul_f32 v[6:7], v[6:7], v[8:9]
	;;#ASMEND
	;; [unrolled: 3-line block ×9, first 2 shown]
	v_cvt_f32_u32_sdwa v17, v63 dst_sel:DWORD dst_unused:UNUSED_PAD src0_sel:WORD_1
	v_cvt_f32_u32_sdwa v16, v63 dst_sel:DWORD dst_unused:UNUSED_PAD src0_sel:WORD_0
	v_cvt_f32_u32_sdwa v25, v65 dst_sel:DWORD dst_unused:UNUSED_PAD src0_sel:WORD_1
	v_cvt_f32_u32_sdwa v24, v65 dst_sel:DWORD dst_unused:UNUSED_PAD src0_sel:WORD_0
	v_cvt_f32_u32_sdwa v28, v60 dst_sel:DWORD dst_unused:UNUSED_PAD src0_sel:WORD_0
	v_pk_add_f32 v[16:17], v[16:17], 1.0 op_sel_hi:[1,0]
	;;#ASMSTART
	v_pk_mul_f32 v[6:7], v[6:7], v[16:17]
	;;#ASMEND
	v_pk_add_f32 v[16:17], v[22:23], 1.0 op_sel_hi:[1,0]
	v_pk_add_f32 v[22:23], v[24:25], 1.0 op_sel_hi:[1,0]
	v_cvt_f32_u32_sdwa v25, v58 dst_sel:DWORD dst_unused:UNUSED_PAD src0_sel:WORD_1
	v_cvt_f32_u32_sdwa v24, v58 dst_sel:DWORD dst_unused:UNUSED_PAD src0_sel:WORD_0
	v_cvt_f32_u32_sdwa v31, v61 dst_sel:DWORD dst_unused:UNUSED_PAD src0_sel:WORD_1
	v_cvt_f32_u32_sdwa v30, v61 dst_sel:DWORD dst_unused:UNUSED_PAD src0_sel:WORD_0
	v_pk_add_f32 v[26:27], v[26:27], 1.0 op_sel_hi:[1,0]
	v_pk_add_f32 v[24:25], v[24:25], 1.0 op_sel_hi:[1,0]
	;; [unrolled: 1-line block ×4, first 2 shown]
	;;#ASMSTART
	v_pk_mul_f32 v[40:41], v[10:11], v[16:17]
	;;#ASMEND
	;;#ASMSTART
	v_pk_mul_f32 v[30:31], v[12:13], v[22:23]
	;;#ASMEND
	;; [unrolled: 3-line block ×6, first 2 shown]
	s_or_b64 exec, exec, s[30:31]
	s_mov_b64 s[8:9], -1
	s_and_b64 vcc, exec, s[18:19]
	s_cbranch_vccz .LBB716_15
.LBB716_19:
	s_and_saveexec_b64 s[8:9], s[0:1]
	s_cbranch_execz .LBB716_21
; %bb.20:
	s_mul_hi_i32 s19, s16, s6
	s_mul_i32 s18, s16, s6
	s_lshl_b64 s[18:19], s[18:19], 1
	s_add_u32 s36, s34, s18
	s_addc_u32 s7, s35, s19
	s_and_b32 s37, s7, 0xffff
	s_mov_b32 s7, 0x7060302
	s_mov_b32 s39, 0x20000
	v_perm_b32 v11, v31, v30, s7
	v_perm_b32 v10, v41, v40, s7
	;; [unrolled: 1-line block ×4, first 2 shown]
	v_lshlrev_b32_e32 v5, 5, v0
	buffer_store_dwordx4 v[8:11], v5, s[36:39], 0 offen
	;;#ASMSTART
	s_nop 0
	;;#ASMEND
	s_nop 0
	v_perm_b32 v11, v75, v74, s7
	v_perm_b32 v10, v21, v20, s7
	;; [unrolled: 1-line block ×4, first 2 shown]
	buffer_store_dwordx4 v[8:11], v5, s[36:39], 16 offen
	;;#ASMSTART
	s_nop 0
	;;#ASMEND
.LBB716_21:
	s_or_b64 exec, exec, s[8:9]
	s_cbranch_execnz .LBB716_16
.LBB716_22:
	v_mov_b32_e32 v5, 0
	s_and_saveexec_b64 s[8:9], s[0:1]
	s_cbranch_execz .LBB716_24
; %bb.23:
	s_load_dwordx2 s[18:19], s[4:5], 0x10
	s_mul_hi_i32 s31, s15, s6
	s_mul_i32 s30, s15, s6
	s_lshl_b64 s[30:31], s[30:31], 1
	s_mov_b32 s39, 0x20000
	s_waitcnt lgkmcnt(0)
	s_add_u32 s36, s18, s30
	s_addc_u32 s7, s19, s31
	s_and_b32 s37, s7, 0xffff
	s_mov_b32 s7, 0x7060302
	v_perm_b32 v11, v31, v30, s7
	v_perm_b32 v10, v41, v40, s7
	;; [unrolled: 1-line block ×4, first 2 shown]
	v_lshlrev_b32_e32 v5, 5, v0
	buffer_store_dwordx4 v[8:11], v5, s[36:39], 0 offen
	;;#ASMSTART
	s_nop 0
	;;#ASMEND
	s_nop 0
	v_perm_b32 v11, v75, v74, s7
	v_perm_b32 v10, v21, v20, s7
	;; [unrolled: 1-line block ×4, first 2 shown]
	buffer_store_dwordx4 v[8:11], v5, s[36:39], 16 offen
	v_mov_b32_e32 v5, 0x2edbe6ff
	;;#ASMSTART
	s_nop 0
	;;#ASMEND
.LBB716_24:
	s_or_b64 exec, exec, s[8:9]
	s_and_saveexec_b64 s[8:9], s[0:1]
	s_cbranch_execz .LBB716_26
; %bb.25:
	v_and_b32_e32 v2, 0x7fffffff, v2
	v_and_b32_e32 v3, 0x7fffffff, v3
	;;#ASMSTART
	v_max3_f32 v2, v5, v2, v3

	;;#ASMEND
	v_and_b32_e32 v6, 0x7fffffff, v6
	v_and_b32_e32 v7, 0x7fffffff, v7
	;;#ASMSTART
	v_max3_f32 v2, v2, v6, v7

	;;#ASMEND
	;; [unrolled: 6-line block ×8, first 2 shown]
.LBB716_26:
	s_or_b64 exec, exec, s[8:9]
	v_cmp_eq_u32_e32 vcc, 0, v4
	v_cmp_gt_i32_e64 s[8:9], s23, v1
	s_and_b64 s[18:19], vcc, s[8:9]
	;;#ASMSTART
	v_max_f32 v2, v5, v5 quad_perm:[1,0,3,2] row_mask:0xf bank_mask:0xf bound_ctrl:1
	;;#ASMEND
	s_and_saveexec_b64 s[8:9], s[18:19]
	s_cbranch_execz .LBB716_28
; %bb.27:
	s_load_dwordx2 s[18:19], s[4:5], 0x8
	v_mul_f32_e32 v2, 0x3e2aaaab, v2
	v_lshrrev_b32_e32 v3, 23, v2
	v_and_b32_e32 v4, 0x7f800000, v2
	v_and_b32_e32 v2, 0x7fffff, v2
	v_cmp_ne_u32_e32 vcc, 0, v2
	s_mul_hi_i32 s15, s13, s6
	s_mul_i32 s13, s13, s6
	s_mov_b32 s7, 0x7f800000
	v_addc_co_u32_e32 v2, vcc, 0, v3, vcc
	s_waitcnt lgkmcnt(0)
	s_add_u32 s18, s18, s13
	v_cmp_ne_u32_e32 vcc, s7, v4
	s_addc_u32 s19, s19, s15
	v_lshrrev_b32_e32 v5, 1, v0
	v_cndmask_b32_e32 v4, -1, v2, vcc
	v_pk_mov_b32 v[2:3], s[18:19], s[18:19] op_sel:[0,1]
	v_mad_i64_i32 v[2:3], s[14:15], s14, v5, v[2:3]
	global_store_byte v[2:3], v4, off
.LBB716_28:
	s_or_b64 exec, exec, s[8:9]
	s_and_saveexec_b64 s[8:9], s[0:1]
	s_cbranch_execz .LBB716_30
; %bb.29:
	s_load_dwordx2 s[0:1], s[4:5], 0x0
	s_mul_hi_i32 s7, s12, s6
	s_mul_i32 s12, s12, s6
	v_mov_b32_e32 v2, 0
	v_lshlrev_b32_e32 v4, 3, v0
	s_waitcnt lgkmcnt(0)
	s_add_u32 s12, s0, s12
	s_addc_u32 s0, s1, s7
	s_lshr_b32 s1, s23, 31
	s_add_i32 s1, s23, s1
	s_ashr_i32 s1, s1, 1
	s_add_i32 s1, s1, 3
	s_ashr_i32 s7, s1, 31
	s_lshr_b32 s7, s7, 30
	s_add_i32 s1, s1, s7
	s_and_b32 s14, s1, -4
	s_and_b32 s13, s0, 0xffff
	s_mov_b32 s15, 0x20000
	v_mov_b32_e32 v3, v2
	buffer_store_dwordx2 v[2:3], v4, s[12:15], 0 offen
	;;#ASMSTART
	s_nop 0
	;;#ASMEND
.LBB716_30:
	s_or_b64 exec, exec, s[8:9]
	s_cmp_lt_i32 s24, 1
	s_cbranch_scc1 .LBB716_17
.LBB716_31:
	s_load_dword s0, s[4:5], 0x94
	s_waitcnt lgkmcnt(0)
	s_cmp_lg_u32 s0, 1
	s_cbranch_scc1 .LBB716_17
; %bb.32:
	s_lshl_b32 s0, s24, 1
	s_add_i32 s0, s0, 2
	v_cmp_gt_u32_e32 vcc, s24, v1
	s_and_b32 s30, s0, -4
	v_mov_b32_e32 v18, 0
	v_lshlrev_b32_e32 v1, 5, v0
	v_mov_b32_e32 v14, 0
	v_mov_b32_e32 v15, 0
	;; [unrolled: 1-line block ×16, first 2 shown]
	s_barrier
	s_and_saveexec_b64 s[0:1], vcc
	s_cbranch_execz .LBB716_34
; %bb.33:
	s_mul_hi_i32 s5, s26, s6
	s_mul_i32 s4, s26, s6
	s_and_b32 s29, s29, 0xffff
	s_lshl_b64 s[4:5], s[4:5], 1
	s_add_u32 s8, s10, s4
	s_mov_b32 s31, 0x20000
	s_addc_u32 s4, s11, s5
	s_and_b32 s9, s4, 0xffff
	s_mov_b32 s10, s30
	s_mov_b32 s11, s31
	buffer_load_dwordx4 v[14:17], v1, s[8:11], 0 offen
	buffer_load_dwordx4 v[10:13], v1, s[8:11], 16 offen
	;; [unrolled: 1-line block ×4, first 2 shown]
.LBB716_34:
	s_or_b64 exec, exec, s[0:1]
	v_mov_b32_e32 v19, 0
	v_mov_b32_e32 v32, 0
	v_mov_b32_e32 v33, 0
	v_mov_b32_e32 v30, 0
	v_mov_b32_e32 v31, 0
	v_mov_b32_e32 v28, 0
	v_mov_b32_e32 v29, 0
	v_mov_b32_e32 v26, 0
	v_mov_b32_e32 v27, 0
	v_mov_b32_e32 v24, 0
	v_mov_b32_e32 v25, 0
	v_mov_b32_e32 v22, 0
	v_mov_b32_e32 v23, 0
	v_mov_b32_e32 v20, 0
	v_mov_b32_e32 v21, 0
	s_and_saveexec_b64 s[0:1], vcc
	s_cbranch_execz .LBB716_36
; %bb.35:
	s_waitcnt vmcnt(3)
	v_cvt_f32_u32_sdwa v18, v14 dst_sel:DWORD dst_unused:UNUSED_PAD src0_sel:WORD_0
	v_cvt_f32_u32_sdwa v19, v14 dst_sel:DWORD dst_unused:UNUSED_PAD src0_sel:WORD_1
	v_cvt_f32_u32_sdwa v32, v15 dst_sel:DWORD dst_unused:UNUSED_PAD src0_sel:WORD_0
	v_cvt_f32_u32_sdwa v33, v15 dst_sel:DWORD dst_unused:UNUSED_PAD src0_sel:WORD_1
	;; [unrolled: 2-line block ×4, first 2 shown]
	s_waitcnt vmcnt(2)
	v_cvt_f32_u32_sdwa v26, v10 dst_sel:DWORD dst_unused:UNUSED_PAD src0_sel:WORD_0
	v_cvt_f32_u32_sdwa v27, v10 dst_sel:DWORD dst_unused:UNUSED_PAD src0_sel:WORD_1
	v_cvt_f32_u32_sdwa v24, v11 dst_sel:DWORD dst_unused:UNUSED_PAD src0_sel:WORD_0
	v_cvt_f32_u32_sdwa v25, v11 dst_sel:DWORD dst_unused:UNUSED_PAD src0_sel:WORD_1
	;; [unrolled: 2-line block ×4, first 2 shown]
.LBB716_36:
	s_or_b64 exec, exec, s[0:1]
	s_waitcnt vmcnt(2)
	v_mul_f32_e32 v10, v19, v19
	v_fmac_f32_e32 v10, v18, v18
	v_fmac_f32_e32 v10, v32, v32
	;; [unrolled: 1-line block ×15, first 2 shown]
	s_nop 1
	v_mov_b32_dpp v11, v10 quad_perm:[1,0,3,2] row_mask:0xf bank_mask:0xf
	v_add_f32_e32 v10, v10, v11
	s_nop 1
	v_mov_b32_dpp v11, v10 quad_perm:[2,3,0,1] row_mask:0xf bank_mask:0xf
	v_add_f32_e32 v10, v10, v11
	s_nop 1
	v_mov_b32_dpp v11, v10 row_half_mirror row_mask:0xf bank_mask:0xf
	v_add_f32_e32 v10, v10, v11
	s_nop 1
	v_mov_b32_dpp v11, v10 row_mirror row_mask:0xf bank_mask:0xf
	v_add_f32_e32 v10, v10, v11
	s_nop 1
	v_mov_b32_dpp v11, v10 row_bcast:15 row_mask:0xf bank_mask:0xf
	v_add_f32_e32 v10, v10, v11
	s_nop 1
	v_mov_b32_dpp v11, v10 row_bcast:31 row_mask:0xf bank_mask:0xf
	s_and_saveexec_b64 s[0:1], s[2:3]
	s_cbranch_execz .LBB716_38
; %bb.37:
	v_lshrrev_b32_e32 v0, 4, v0
	v_add_f32_e32 v10, v10, v11
	v_and_b32_e32 v0, 60, v0
	ds_write_b32 v0, v10
.LBB716_38:
	s_or_b64 exec, exec, s[0:1]
	s_waitcnt lgkmcnt(0)
	s_barrier
	ds_read_b32 v0, v34
	s_waitcnt lgkmcnt(0)
	s_nop 0
	v_mov_b32_dpp v10, v0 quad_perm:[1,0,3,2] row_mask:0xf bank_mask:0xf
	s_and_saveexec_b64 s[0:1], vcc
	s_cbranch_execz .LBB716_17
; %bb.39:
	v_cvt_f32_u32_e32 v11, s24
	v_add_f32_e32 v0, v0, v10
	s_mov_b32 s31, 0x20000
	v_div_scale_f32 v10, s[0:1], v11, v11, v0
	v_rcp_f32_e32 v12, v10
	v_div_scale_f32 v13, vcc, v0, v11, v0
	s_mov_b32 s0, 0x800000
	v_fma_f32 v14, -v10, v12, 1.0
	v_fmac_f32_e32 v12, v14, v12
	v_mul_f32_e32 v14, v13, v12
	v_fma_f32 v15, -v10, v14, v13
	v_fmac_f32_e32 v14, v15, v12
	v_fma_f32 v10, -v10, v14, v13
	v_div_fmas_f32 v10, v10, v12, v14
	v_div_fixup_f32 v0, v10, v11, v0
	v_add_f32_e32 v0, s21, v0
	v_mul_f32_e32 v10, 0x4b800000, v0
	v_cmp_gt_f32_e32 vcc, s0, v0
	v_cndmask_b32_e32 v0, v0, v10, vcc
	v_rsq_f32_e32 v0, v0
	s_mul_hi_i32 s1, s16, s6
	s_mul_i32 s0, s16, s6
	s_lshl_b64 s[0:1], s[0:1], 1
	v_mul_f32_e32 v10, 0x45800000, v0
	v_cndmask_b32_e32 v10, v0, v10, vcc
	v_mov_b32_e32 v11, v10
	;;#ASMSTART
	v_pk_mul_f32 v[12:13], v[18:19], v[10:11]
	;;#ASMEND
	;;#ASMSTART
	v_pk_mul_f32 v[14:15], v[32:33], v[10:11]
	;;#ASMEND
	;; [unrolled: 3-line block ×4, first 2 shown]
	s_waitcnt vmcnt(1)
	v_cvt_f32_u32_sdwa v29, v6 dst_sel:DWORD dst_unused:UNUSED_PAD src0_sel:WORD_1
	v_cvt_f32_u32_sdwa v28, v6 dst_sel:DWORD dst_unused:UNUSED_PAD src0_sel:WORD_0
	v_cvt_f32_u32_sdwa v31, v7 dst_sel:DWORD dst_unused:UNUSED_PAD src0_sel:WORD_1
	v_cvt_f32_u32_sdwa v30, v7 dst_sel:DWORD dst_unused:UNUSED_PAD src0_sel:WORD_0
	;;#ASMSTART
	v_pk_mul_f32 v[26:27], v[26:27], v[10:11]
	;;#ASMEND
	;;#ASMSTART
	v_pk_mul_f32 v[24:25], v[24:25], v[10:11]
	;;#ASMEND
	;; [unrolled: 3-line block ×4, first 2 shown]
	v_cvt_f32_u32_sdwa v21, v8 dst_sel:DWORD dst_unused:UNUSED_PAD src0_sel:WORD_1
	v_cvt_f32_u32_sdwa v20, v8 dst_sel:DWORD dst_unused:UNUSED_PAD src0_sel:WORD_0
	v_pk_add_f32 v[10:11], v[28:29], 1.0 op_sel_hi:[1,0]
	;;#ASMSTART
	v_pk_mul_f32 v[10:11], v[12:13], v[10:11]
	;;#ASMEND
	v_pk_add_f32 v[12:13], v[30:31], 1.0 op_sel_hi:[1,0]
	v_cvt_f32_u32_sdwa v29, v9 dst_sel:DWORD dst_unused:UNUSED_PAD src0_sel:WORD_1
	v_cvt_f32_u32_sdwa v28, v9 dst_sel:DWORD dst_unused:UNUSED_PAD src0_sel:WORD_0
	;;#ASMSTART
	v_pk_mul_f32 v[8:9], v[14:15], v[12:13]
	;;#ASMEND
	v_pk_add_f32 v[12:13], v[20:21], 1.0 op_sel_hi:[1,0]
	;;#ASMSTART
	v_pk_mul_f32 v[12:13], v[16:17], v[12:13]
	;;#ASMEND
	s_waitcnt vmcnt(0)
	v_cvt_f32_u32_sdwa v17, v2 dst_sel:DWORD dst_unused:UNUSED_PAD src0_sel:WORD_1
	v_cvt_f32_u32_sdwa v16, v2 dst_sel:DWORD dst_unused:UNUSED_PAD src0_sel:WORD_0
	v_cvt_f32_u32_sdwa v21, v3 dst_sel:DWORD dst_unused:UNUSED_PAD src0_sel:WORD_1
	v_cvt_f32_u32_sdwa v20, v3 dst_sel:DWORD dst_unused:UNUSED_PAD src0_sel:WORD_0
	v_pk_add_f32 v[14:15], v[28:29], 1.0 op_sel_hi:[1,0]
	;;#ASMSTART
	v_pk_mul_f32 v[14:15], v[18:19], v[14:15]
	;;#ASMEND
	v_pk_add_f32 v[2:3], v[16:17], 1.0 op_sel_hi:[1,0]
	v_cvt_f32_u32_sdwa v19, v4 dst_sel:DWORD dst_unused:UNUSED_PAD src0_sel:WORD_1
	v_cvt_f32_u32_sdwa v18, v4 dst_sel:DWORD dst_unused:UNUSED_PAD src0_sel:WORD_0
	;;#ASMSTART
	v_pk_mul_f32 v[16:17], v[26:27], v[2:3]
	;;#ASMEND
	v_pk_add_f32 v[2:3], v[20:21], 1.0 op_sel_hi:[1,0]
	v_cvt_f32_u32_sdwa v21, v5 dst_sel:DWORD dst_unused:UNUSED_PAD src0_sel:WORD_1
	v_cvt_f32_u32_sdwa v20, v5 dst_sel:DWORD dst_unused:UNUSED_PAD src0_sel:WORD_0
	s_add_u32 s28, s34, s0
	;;#ASMSTART
	v_pk_mul_f32 v[24:25], v[24:25], v[2:3]
	;;#ASMEND
	v_pk_add_f32 v[2:3], v[18:19], 1.0 op_sel_hi:[1,0]
	s_addc_u32 s0, s35, s1
	;;#ASMSTART
	v_pk_mul_f32 v[18:19], v[22:23], v[2:3]
	;;#ASMEND
	v_pk_add_f32 v[2:3], v[20:21], 1.0 op_sel_hi:[1,0]
	s_and_b32 s29, s0, 0xffff
	s_mov_b32 s0, 0x7060302
	;;#ASMSTART
	v_pk_mul_f32 v[6:7], v[6:7], v[2:3]
	;;#ASMEND
	v_perm_b32 v2, v11, v10, s0
	v_perm_b32 v3, v9, v8, s0
	;; [unrolled: 1-line block ×4, first 2 shown]
	buffer_store_dwordx4 v[2:5], v1, s[28:31], 0 offen
	;;#ASMSTART
	s_nop 0
	;;#ASMEND
	s_nop 0
	v_perm_b32 v2, v17, v16, s0
	v_perm_b32 v3, v25, v24, s0
	;; [unrolled: 1-line block ×4, first 2 shown]
	buffer_store_dwordx4 v[2:5], v1, s[28:31], 16 offen
	;;#ASMSTART
	s_nop 0
	;;#ASMEND
	s_endpgm
	.section	.rodata,"a",@progbits
	.p2align	6, 0x0
	.amdhsa_kernel _ZN5aiter35fused_qk_rmsnorm_group_quant_kernelItN4opus5fp4_tELi128ELi16ELi2ELb1ELb1ELb1ELb0ELb0ELb0EEEvPT0_PvPT_S7_S7_PKS6_S9_S9_S9_S9_ffiiiiiiiiiiiii
		.amdhsa_group_segment_fixed_size 16
		.amdhsa_private_segment_fixed_size 0
		.amdhsa_kernarg_size 400
		.amdhsa_user_sgpr_count 6
		.amdhsa_user_sgpr_private_segment_buffer 1
		.amdhsa_user_sgpr_dispatch_ptr 0
		.amdhsa_user_sgpr_queue_ptr 0
		.amdhsa_user_sgpr_kernarg_segment_ptr 1
		.amdhsa_user_sgpr_dispatch_id 0
		.amdhsa_user_sgpr_flat_scratch_init 0
		.amdhsa_user_sgpr_kernarg_preload_length 0
		.amdhsa_user_sgpr_kernarg_preload_offset 0
		.amdhsa_user_sgpr_private_segment_size 0
		.amdhsa_uses_dynamic_stack 0
		.amdhsa_system_sgpr_private_segment_wavefront_offset 0
		.amdhsa_system_sgpr_workgroup_id_x 1
		.amdhsa_system_sgpr_workgroup_id_y 1
		.amdhsa_system_sgpr_workgroup_id_z 0
		.amdhsa_system_sgpr_workgroup_info 0
		.amdhsa_system_vgpr_workitem_id 0
		.amdhsa_next_free_vgpr 76
		.amdhsa_next_free_sgpr 44
		.amdhsa_accum_offset 76
		.amdhsa_reserve_vcc 1
		.amdhsa_reserve_flat_scratch 0
		.amdhsa_float_round_mode_32 0
		.amdhsa_float_round_mode_16_64 0
		.amdhsa_float_denorm_mode_32 3
		.amdhsa_float_denorm_mode_16_64 3
		.amdhsa_dx10_clamp 1
		.amdhsa_ieee_mode 1
		.amdhsa_fp16_overflow 0
		.amdhsa_tg_split 0
		.amdhsa_exception_fp_ieee_invalid_op 0
		.amdhsa_exception_fp_denorm_src 0
		.amdhsa_exception_fp_ieee_div_zero 0
		.amdhsa_exception_fp_ieee_overflow 0
		.amdhsa_exception_fp_ieee_underflow 0
		.amdhsa_exception_fp_ieee_inexact 0
		.amdhsa_exception_int_div_zero 0
	.end_amdhsa_kernel
	.section	.text._ZN5aiter35fused_qk_rmsnorm_group_quant_kernelItN4opus5fp4_tELi128ELi16ELi2ELb1ELb1ELb1ELb0ELb0ELb0EEEvPT0_PvPT_S7_S7_PKS6_S9_S9_S9_S9_ffiiiiiiiiiiiii,"axG",@progbits,_ZN5aiter35fused_qk_rmsnorm_group_quant_kernelItN4opus5fp4_tELi128ELi16ELi2ELb1ELb1ELb1ELb0ELb0ELb0EEEvPT0_PvPT_S7_S7_PKS6_S9_S9_S9_S9_ffiiiiiiiiiiiii,comdat
.Lfunc_end716:
	.size	_ZN5aiter35fused_qk_rmsnorm_group_quant_kernelItN4opus5fp4_tELi128ELi16ELi2ELb1ELb1ELb1ELb0ELb0ELb0EEEvPT0_PvPT_S7_S7_PKS6_S9_S9_S9_S9_ffiiiiiiiiiiiii, .Lfunc_end716-_ZN5aiter35fused_qk_rmsnorm_group_quant_kernelItN4opus5fp4_tELi128ELi16ELi2ELb1ELb1ELb1ELb0ELb0ELb0EEEvPT0_PvPT_S7_S7_PKS6_S9_S9_S9_S9_ffiiiiiiiiiiiii
                                        ; -- End function
	.section	.AMDGPU.csdata,"",@progbits
; Kernel info:
; codeLenInByte = 4020
; NumSgprs: 48
; NumVgprs: 76
; NumAgprs: 0
; TotalNumVgprs: 76
; ScratchSize: 0
; MemoryBound: 0
; FloatMode: 240
; IeeeMode: 1
; LDSByteSize: 16 bytes/workgroup (compile time only)
; SGPRBlocks: 5
; VGPRBlocks: 9
; NumSGPRsForWavesPerEU: 48
; NumVGPRsForWavesPerEU: 76
; AccumOffset: 76
; Occupancy: 6
; WaveLimiterHint : 0
; COMPUTE_PGM_RSRC2:SCRATCH_EN: 0
; COMPUTE_PGM_RSRC2:USER_SGPR: 6
; COMPUTE_PGM_RSRC2:TRAP_HANDLER: 0
; COMPUTE_PGM_RSRC2:TGID_X_EN: 1
; COMPUTE_PGM_RSRC2:TGID_Y_EN: 1
; COMPUTE_PGM_RSRC2:TGID_Z_EN: 0
; COMPUTE_PGM_RSRC2:TIDIG_COMP_CNT: 0
; COMPUTE_PGM_RSRC3_GFX90A:ACCUM_OFFSET: 18
; COMPUTE_PGM_RSRC3_GFX90A:TG_SPLIT: 0
	.section	.text._ZN5aiter35fused_qk_rmsnorm_group_quant_kernelIDF16_DB8_Li128ELi16ELi2ELb1ELb1ELb0ELb0ELb0ELb0EEEvPT0_PvPT_S6_S6_PKS5_S8_S8_S8_S8_ffiiiiiiiiiiiii,"axG",@progbits,_ZN5aiter35fused_qk_rmsnorm_group_quant_kernelIDF16_DB8_Li128ELi16ELi2ELb1ELb1ELb0ELb0ELb0ELb0EEEvPT0_PvPT_S6_S6_PKS5_S8_S8_S8_S8_ffiiiiiiiiiiiii,comdat
	.protected	_ZN5aiter35fused_qk_rmsnorm_group_quant_kernelIDF16_DB8_Li128ELi16ELi2ELb1ELb1ELb0ELb0ELb0ELb0EEEvPT0_PvPT_S6_S6_PKS5_S8_S8_S8_S8_ffiiiiiiiiiiiii ; -- Begin function _ZN5aiter35fused_qk_rmsnorm_group_quant_kernelIDF16_DB8_Li128ELi16ELi2ELb1ELb1ELb0ELb0ELb0ELb0EEEvPT0_PvPT_S6_S6_PKS5_S8_S8_S8_S8_ffiiiiiiiiiiiii
	.globl	_ZN5aiter35fused_qk_rmsnorm_group_quant_kernelIDF16_DB8_Li128ELi16ELi2ELb1ELb1ELb0ELb0ELb0ELb0EEEvPT0_PvPT_S6_S6_PKS5_S8_S8_S8_S8_ffiiiiiiiiiiiii
	.p2align	8
	.type	_ZN5aiter35fused_qk_rmsnorm_group_quant_kernelIDF16_DB8_Li128ELi16ELi2ELb1ELb1ELb0ELb0ELb0ELb0EEEvPT0_PvPT_S6_S6_PKS5_S8_S8_S8_S8_ffiiiiiiiiiiiii,@function
_ZN5aiter35fused_qk_rmsnorm_group_quant_kernelIDF16_DB8_Li128ELi16ELi2ELb1ELb1ELb0ELb0ELb0ELb0EEEvPT0_PvPT_S6_S6_PKS5_S8_S8_S8_S8_ffiiiiiiiiiiiii: ; @_ZN5aiter35fused_qk_rmsnorm_group_quant_kernelIDF16_DB8_Li128ELi16ELi2ELb1ELb1ELb0ELb0ELb0ELb0EEEvPT0_PvPT_S6_S6_PKS5_S8_S8_S8_S8_ffiiiiiiiiiiiii
; %bb.0:
	s_load_dwordx8 s[20:27], s[4:5], 0x50
	s_waitcnt lgkmcnt(0)
	s_cmp_ge_i32 s6, s22
	s_cbranch_scc1 .LBB717_17
; %bb.1:
	s_cmp_lg_u32 s7, 0
	s_cselect_b64 s[10:11], -1, 0
	s_cmp_eq_u32 s7, 0
	s_cselect_b64 s[8:9], -1, 0
	s_and_b64 s[0:1], s[8:9], exec
	s_load_dwordx2 s[28:29], s[4:5], 0x48
	s_load_dwordx2 s[34:35], s[4:5], 0x30
	s_load_dwordx8 s[12:19], s[4:5], 0x70
	s_cselect_b32 s7, s23, s24
	s_add_i32 s0, s7, 1
	s_lshr_b32 s1, s0, 31
	s_add_i32 s0, s0, s1
	s_lshl_b32 s0, s0, 1
	v_lshlrev_b32_e32 v1, 4, v0
	s_and_b32 s38, s0, -4
	v_cmp_gt_i32_e64 s[0:1], s7, v1
	v_mov_b32_e32 v80, 0
	v_mov_b32_e32 v81, 0
	;; [unrolled: 1-line block ×16, first 2 shown]
	s_and_saveexec_b64 s[2:3], s[0:1]
	s_cbranch_execz .LBB717_3
; %bb.2:
	s_waitcnt lgkmcnt(0)
	s_load_dwordx2 s[18:19], s[4:5], 0x28
	s_load_dwordx2 s[30:31], s[4:5], 0x40
	s_and_b64 s[36:37], s[8:9], exec
	s_cselect_b32 s22, s25, s26
	s_mov_b32 s39, 0x20000
	s_waitcnt lgkmcnt(0)
	s_cselect_b32 s25, s19, s35
	s_cselect_b32 s33, s18, s34
	s_mul_hi_i32 s19, s22, s6
	s_mul_i32 s18, s22, s6
	s_lshl_b64 s[18:19], s[18:19], 1
	s_add_u32 s40, s33, s18
	s_addc_u32 s22, s25, s19
	s_and_b64 s[18:19], s[8:9], exec
	s_cselect_b32 s36, s30, s28
	s_cselect_b32 s18, s31, s29
	s_and_b32 s41, s22, 0xffff
	s_mov_b32 s42, s38
	s_mov_b32 s43, s39
	v_lshlrev_b32_e32 v2, 5, v0
	s_and_b32 s37, s18, 0xffff
	buffer_load_dwordx4 v[84:87], v2, s[40:43], 0 offen
	buffer_load_dwordx4 v[88:91], v2, s[40:43], 16 offen
	;; [unrolled: 1-line block ×4, first 2 shown]
.LBB717_3:
	s_or_b64 exec, exec, s[2:3]
	s_and_b64 vcc, exec, s[10:11]
	s_cbranch_vccz .LBB717_7
; %bb.4:
	v_mov_b32_e32 v93, 0
	v_mov_b32_e32 v92, 0
	;; [unrolled: 1-line block ×16, first 2 shown]
	s_and_saveexec_b64 s[2:3], s[0:1]
	s_cbranch_execz .LBB717_6
; %bb.5:
	s_waitcnt vmcnt(3)
	v_cvt_f32_f16_sdwa v59, v84 dst_sel:DWORD dst_unused:UNUSED_PAD src0_sel:WORD_1
	v_cvt_f32_f16_e32 v58, v84
	v_cvt_f32_f16_sdwa v29, v85 dst_sel:DWORD dst_unused:UNUSED_PAD src0_sel:WORD_1
	v_cvt_f32_f16_e32 v28, v85
	;; [unrolled: 2-line block ×4, first 2 shown]
	s_waitcnt vmcnt(2)
	v_cvt_f32_f16_sdwa v69, v88 dst_sel:DWORD dst_unused:UNUSED_PAD src0_sel:WORD_1
	v_cvt_f32_f16_e32 v68, v88
	v_cvt_f32_f16_sdwa v41, v89 dst_sel:DWORD dst_unused:UNUSED_PAD src0_sel:WORD_1
	v_cvt_f32_f16_e32 v40, v89
	;; [unrolled: 2-line block ×4, first 2 shown]
.LBB717_6:
	s_or_b64 exec, exec, s[2:3]
	s_cbranch_execz .LBB717_8
	s_branch .LBB717_11
.LBB717_7:
                                        ; implicit-def: $vgpr26_vgpr27_vgpr28_vgpr29_vgpr30_vgpr31_vgpr32_vgpr33_vgpr34_vgpr35_vgpr36_vgpr37_vgpr38_vgpr39_vgpr40_vgpr41
                                        ; implicit-def: $vgpr58_vgpr59_vgpr60_vgpr61_vgpr62_vgpr63_vgpr64_vgpr65_vgpr66_vgpr67_vgpr68_vgpr69_vgpr70_vgpr71_vgpr72_vgpr73
                                        ; implicit-def: $vgpr42_vgpr43_vgpr44_vgpr45_vgpr46_vgpr47_vgpr48_vgpr49_vgpr50_vgpr51_vgpr52_vgpr53_vgpr54_vgpr55_vgpr56_vgpr57
                                        ; implicit-def: $vgpr12_vgpr13_vgpr14_vgpr15_vgpr16_vgpr17_vgpr18_vgpr19_vgpr20_vgpr21_vgpr22_vgpr23_vgpr24_vgpr25_vgpr26_vgpr27
                                        ; implicit-def: $vgpr93
                                        ; implicit-def: $vgpr60_vgpr61_vgpr62_vgpr63_vgpr64_vgpr65_vgpr66_vgpr67_vgpr68_vgpr69_vgpr70_vgpr71_vgpr72_vgpr73_vgpr74_vgpr75
                                        ; implicit-def: $vgpr30_vgpr31_vgpr32_vgpr33_vgpr34_vgpr35_vgpr36_vgpr37_vgpr38_vgpr39_vgpr40_vgpr41_vgpr42_vgpr43_vgpr44_vgpr45
                                        ; implicit-def: $vgpr2_vgpr3_vgpr4_vgpr5_vgpr6_vgpr7_vgpr8_vgpr9_vgpr10_vgpr11_vgpr12_vgpr13_vgpr14_vgpr15_vgpr16_vgpr17
.LBB717_8:
	v_mov_b32_e32 v93, 0
	v_mov_b32_e32 v92, 0
	;; [unrolled: 1-line block ×16, first 2 shown]
	s_and_saveexec_b64 s[2:3], s[0:1]
	s_cbranch_execz .LBB717_10
; %bb.9:
	s_waitcnt lgkmcnt(0)
	s_load_dwordx2 s[18:19], s[4:5], 0x38
	s_mul_hi_i32 s31, s27, s6
	s_mul_i32 s30, s27, s6
	s_lshl_b64 s[30:31], s[30:31], 1
	s_mov_b32 s39, 0x20000
	s_waitcnt lgkmcnt(0)
	s_add_u32 s36, s18, s30
	s_addc_u32 s18, s19, s31
	s_and_b32 s37, s18, 0xffff
	v_lshlrev_b32_e32 v38, 5, v0
	buffer_load_dwordx4 v[6:9], v38, s[36:39], 16 offen
	buffer_load_dwordx4 v[10:13], v38, s[36:39], 0 offen
	s_waitcnt vmcnt(5)
	v_cvt_f32_f16_sdwa v19, v86 dst_sel:DWORD dst_unused:UNUSED_PAD src0_sel:WORD_1
	v_cvt_f32_f16_e32 v18, v86
	v_cvt_f32_f16_sdwa v25, v87 dst_sel:DWORD dst_unused:UNUSED_PAD src0_sel:WORD_1
	v_cvt_f32_f16_e32 v24, v87
	;; [unrolled: 2-line block ×4, first 2 shown]
	s_load_dwordx2 s[18:19], s[4:5], 0x20
	s_waitcnt vmcnt(4)
	v_cvt_f32_f16_sdwa v3, v88 dst_sel:DWORD dst_unused:UNUSED_PAD src0_sel:WORD_1
	v_cvt_f32_f16_e32 v2, v88
	v_cvt_f32_f16_sdwa v5, v89 dst_sel:DWORD dst_unused:UNUSED_PAD src0_sel:WORD_1
	v_cvt_f32_f16_e32 v4, v89
	;; [unrolled: 2-line block ×4, first 2 shown]
	s_mul_hi_i32 s31, s17, s6
	s_mul_i32 s30, s17, s6
	s_lshl_b64 s[30:31], s[30:31], 1
	s_waitcnt lgkmcnt(0)
	s_add_u32 s36, s18, s30
	s_addc_u32 s17, s19, s31
	s_and_b32 s37, s17, 0xffff
	s_waitcnt vmcnt(1)
	v_cvt_f32_f16_e32 v26, v6
	v_cvt_f32_f16_sdwa v27, v6 dst_sel:DWORD dst_unused:UNUSED_PAD src0_sel:WORD_1
	v_cvt_f32_f16_e32 v30, v7
	v_cvt_f32_f16_sdwa v31, v7 dst_sel:DWORD dst_unused:UNUSED_PAD src0_sel:WORD_1
	;; [unrolled: 2-line block ×4, first 2 shown]
	s_waitcnt vmcnt(0)
	v_cvt_f32_f16_e32 v6, v12
	v_cvt_f32_f16_sdwa v7, v12 dst_sel:DWORD dst_unused:UNUSED_PAD src0_sel:WORD_1
	v_cvt_f32_f16_e32 v8, v13
	v_cvt_f32_f16_sdwa v9, v13 dst_sel:DWORD dst_unused:UNUSED_PAD src0_sel:WORD_1
	;; [unrolled: 2-line block ×4, first 2 shown]
	v_pk_add_f32 v[46:47], v[18:19], v[6:7]
	v_pk_add_f32 v[18:19], v[24:25], v[8:9]
	v_cvt_f16_f32_e32 v6, v47
	v_cvt_f16_f32_e32 v7, v19
	;; [unrolled: 1-line block ×4, first 2 shown]
	v_pk_add_f32 v[28:29], v[22:23], v[10:11]
	v_pk_add_f32 v[58:59], v[20:21], v[36:37]
	v_pack_b32_f16 v9, v8, v7
	v_pack_b32_f16 v8, v12, v6
	v_cvt_f16_f32_e32 v6, v29
	v_cvt_f16_f32_e32 v7, v28
	;; [unrolled: 1-line block ×3, first 2 shown]
	v_pk_add_f32 v[92:93], v[16:17], v[34:35]
	v_pk_add_f32 v[14:15], v[14:15], v[32:33]
	v_pack_b32_f16 v7, v7, v6
	v_cvt_f16_f32_e32 v6, v59
	v_pk_add_f32 v[40:41], v[4:5], v[30:31]
	v_pk_add_f32 v[68:69], v[2:3], v[26:27]
	v_cvt_f16_f32_e32 v4, v40
	v_pack_b32_f16 v6, v10, v6
	buffer_store_dwordx4 v[6:9], v38, s[36:39], 0 offen
	v_cvt_f16_f32_e32 v5, v41
	v_cvt_f16_f32_e32 v6, v14
	;; [unrolled: 1-line block ×7, first 2 shown]
	v_pack_b32_f16 v7, v7, v8
	v_pack_b32_f16 v6, v6, v9
	;; [unrolled: 1-line block ×4, first 2 shown]
	;;#ASMSTART
	s_nop 0
	;;#ASMEND
	buffer_store_dwordx4 v[4:7], v38, s[36:39], 16 offen
	;;#ASMSTART
	s_nop 0
	;;#ASMEND
.LBB717_10:
	s_or_b64 exec, exec, s[2:3]
.LBB717_11:
	v_mul_f32_e32 v2, v59, v59
	v_fmac_f32_e32 v2, v58, v58
	v_fmac_f32_e32 v2, v28, v28
	;; [unrolled: 1-line block ×15, first 2 shown]
	s_nop 1
	v_mov_b32_dpp v3, v2 quad_perm:[1,0,3,2] row_mask:0xf bank_mask:0xf
	v_add_f32_e32 v2, v2, v3
	s_nop 1
	v_mov_b32_dpp v3, v2 quad_perm:[2,3,0,1] row_mask:0xf bank_mask:0xf
	v_add_f32_e32 v2, v2, v3
	s_nop 1
	v_mov_b32_dpp v3, v2 row_half_mirror row_mask:0xf bank_mask:0xf
	v_add_f32_e32 v2, v2, v3
	s_nop 1
	v_mov_b32_dpp v3, v2 row_mirror row_mask:0xf bank_mask:0xf
	v_add_f32_e32 v2, v2, v3
	s_nop 1
	v_mov_b32_dpp v3, v2 row_bcast:15 row_mask:0xf bank_mask:0xf
	v_add_f32_e32 v2, v2, v3
	v_and_b32_e32 v3, 63, v0
	v_cmp_eq_u32_e64 s[2:3], 63, v3
	s_nop 0
	v_mov_b32_dpp v3, v2 row_bcast:31 row_mask:0xf bank_mask:0xf
	s_waitcnt lgkmcnt(0)
	s_and_saveexec_b64 s[18:19], s[2:3]
	s_cbranch_execz .LBB717_13
; %bb.12:
	v_add_f32_e32 v2, v2, v3
	v_lshrrev_b32_e32 v3, 4, v0
	v_and_b32_e32 v3, 60, v3
	ds_write_b32 v3, v2 offset:8
.LBB717_13:
	s_or_b64 exec, exec, s[18:19]
	v_and_b32_e32 v2, 1, v0
	v_lshlrev_b32_e32 v34, 2, v2
	s_waitcnt lgkmcnt(0)
	s_barrier
	ds_read_b32 v3, v34 offset:8
	s_load_dwordx2 s[18:19], s[4:5], 0x18
	s_waitcnt lgkmcnt(0)
	v_mov_b32_dpp v4, v3 quad_perm:[1,0,3,2] row_mask:0xf bank_mask:0xf
	s_and_saveexec_b64 s[30:31], s[0:1]
	s_cbranch_execnz .LBB717_18
; %bb.14:
	s_or_b64 exec, exec, s[30:31]
	s_mov_b64 s[8:9], -1
	s_and_b64 vcc, exec, s[10:11]
	s_cbranch_vccnz .LBB717_19
.LBB717_15:
	s_andn2_b64 vcc, exec, s[8:9]
	s_cbranch_vccz .LBB717_22
.LBB717_16:
	s_cmp_lt_i32 s24, 1
	s_cbranch_scc0 .LBB717_31
.LBB717_17:
	s_endpgm
.LBB717_18:
	v_add_f32_e32 v3, v3, v4
	v_cvt_f32_u32_e32 v4, s7
	s_mov_b32 s7, 0x800000
	s_waitcnt vmcnt(1)
	v_cvt_f32_f16_sdwa v23, v81 dst_sel:DWORD dst_unused:UNUSED_PAD src0_sel:WORD_1
	v_cvt_f32_f16_e32 v22, v81
	v_div_scale_f32 v5, s[36:37], v4, v4, v3
	v_rcp_f32_e32 v6, v5
	s_waitcnt vmcnt(0)
	v_cvt_f32_f16_sdwa v25, v77 dst_sel:DWORD dst_unused:UNUSED_PAD src0_sel:WORD_1
	v_cvt_f32_f16_e32 v24, v77
	v_cvt_f32_f16_sdwa v27, v78 dst_sel:DWORD dst_unused:UNUSED_PAD src0_sel:WORD_1
	v_fma_f32 v7, -v5, v6, 1.0
	v_fmac_f32_e32 v6, v7, v6
	v_div_scale_f32 v7, vcc, v3, v4, v3
	v_mul_f32_e32 v8, v7, v6
	v_fma_f32 v9, -v5, v8, v7
	v_fmac_f32_e32 v8, v9, v6
	v_fma_f32 v5, -v5, v8, v7
	v_div_fmas_f32 v5, v5, v6, v8
	v_div_fixup_f32 v3, v5, v4, v3
	v_mov_b32_e32 v4, s21
	v_mov_b32_e32 v5, s20
	v_cndmask_b32_e64 v4, v4, v5, s[8:9]
	v_add_f32_e32 v3, v4, v3
	v_mul_f32_e32 v4, 0x4b800000, v3
	v_cmp_gt_f32_e32 vcc, s7, v3
	v_cndmask_b32_e32 v3, v3, v4, vcc
	v_rsq_f32_e32 v3, v3
	v_cvt_f32_f16_e32 v26, v78
	v_cvt_f32_f16_sdwa v31, v79 dst_sel:DWORD dst_unused:UNUSED_PAD src0_sel:WORD_1
	v_cvt_f32_f16_e32 v30, v79
	v_mul_f32_e32 v4, 0x45800000, v3
	v_cndmask_b32_e32 v4, v3, v4, vcc
	v_mov_b32_e32 v5, v4
	;;#ASMSTART
	v_pk_mul_f32 v[6:7], v[58:59], v[4:5]
	;;#ASMEND
	;;#ASMSTART
	v_pk_mul_f32 v[8:9], v[28:29], v[4:5]
	;;#ASMEND
	;; [unrolled: 3-line block ×6, first 2 shown]
	v_cvt_f32_f16_sdwa v19, v80 dst_sel:DWORD dst_unused:UNUSED_PAD src0_sel:WORD_1
	v_cvt_f32_f16_e32 v18, v80
	;;#ASMSTART
	v_pk_mul_f32 v[14:15], v[14:15], v[4:5]
	;;#ASMEND
	;;#ASMSTART
	v_pk_mul_f32 v[4:5], v[92:93], v[4:5]
	;;#ASMEND
	;; [unrolled: 3-line block ×4, first 2 shown]
	v_cvt_f32_f16_sdwa v7, v82 dst_sel:DWORD dst_unused:UNUSED_PAD src0_sel:WORD_1
	v_cvt_f32_f16_e32 v6, v82
	v_cvt_f32_f16_sdwa v9, v83 dst_sel:DWORD dst_unused:UNUSED_PAD src0_sel:WORD_1
	v_cvt_f32_f16_e32 v8, v83
	;; [unrolled: 2-line block ×3, first 2 shown]
	;;#ASMSTART
	v_pk_mul_f32 v[46:47], v[10:11], v[6:7]
	;;#ASMEND
	;;#ASMSTART
	v_pk_mul_f32 v[18:19], v[12:13], v[8:9]
	;;#ASMEND
	;; [unrolled: 3-line block ×6, first 2 shown]
	s_or_b64 exec, exec, s[30:31]
	s_mov_b64 s[8:9], -1
	s_and_b64 vcc, exec, s[10:11]
	s_cbranch_vccz .LBB717_15
.LBB717_19:
	s_and_saveexec_b64 s[8:9], s[0:1]
	s_cbranch_execz .LBB717_21
; %bb.20:
	v_cvt_f16_f32_e32 v3, v46
	v_cvt_f16_f32_e32 v4, v18
	v_cvt_f16_f32_e32 v5, v19
	v_cvt_f16_f32_e32 v6, v47
	s_mul_hi_i32 s11, s16, s6
	s_mul_i32 s10, s16, s6
	v_pack_b32_f16 v7, v4, v5
	v_pack_b32_f16 v6, v3, v6
	v_cvt_f16_f32_e32 v3, v28
	v_cvt_f16_f32_e32 v4, v29
	s_lshl_b64 s[10:11], s[10:11], 1
	s_add_u32 s36, s18, s10
	s_addc_u32 s7, s19, s11
	v_pack_b32_f16 v5, v3, v4
	v_cvt_f16_f32_e32 v3, v58
	v_cvt_f16_f32_e32 v4, v59
	s_and_b32 s37, s7, 0xffff
	s_mov_b32 s39, 0x20000
	v_cvt_f16_f32_e32 v8, v15
	v_pack_b32_f16 v4, v3, v4
	v_lshlrev_b32_e32 v3, 5, v0
	buffer_store_dwordx4 v[4:7], v3, s[36:39], 0 offen
	;;#ASMSTART
	s_nop 0
	;;#ASMEND
	s_nop 0
	v_cvt_f16_f32_e32 v4, v14
	v_cvt_f16_f32_e32 v5, v92
	;; [unrolled: 1-line block ×3, first 2 shown]
	v_pack_b32_f16 v7, v5, v6
	v_pack_b32_f16 v6, v4, v8
	v_cvt_f16_f32_e32 v4, v40
	v_cvt_f16_f32_e32 v5, v41
	v_cvt_f16_f32_e32 v8, v69
	v_pack_b32_f16 v5, v4, v5
	v_cvt_f16_f32_e32 v4, v68
	v_pack_b32_f16 v4, v4, v8
	buffer_store_dwordx4 v[4:7], v3, s[36:39], 16 offen
	;;#ASMSTART
	s_nop 0
	;;#ASMEND
.LBB717_21:
	s_or_b64 exec, exec, s[8:9]
	s_cbranch_execnz .LBB717_16
.LBB717_22:
	v_mov_b32_e32 v3, 0
	s_and_saveexec_b64 s[8:9], s[0:1]
	s_cbranch_execz .LBB717_24
; %bb.23:
	v_cvt_f16_f32_e32 v3, v46
	v_cvt_f16_f32_e32 v4, v18
	v_cvt_f16_f32_e32 v5, v19
	v_cvt_f16_f32_e32 v6, v47
	s_load_dwordx2 s[10:11], s[4:5], 0x10
	s_mul_hi_i32 s31, s15, s6
	v_pack_b32_f16 v7, v4, v5
	v_pack_b32_f16 v6, v3, v6
	v_cvt_f16_f32_e32 v3, v28
	v_cvt_f16_f32_e32 v4, v29
	s_mul_i32 s30, s15, s6
	s_lshl_b64 s[30:31], s[30:31], 1
	s_waitcnt lgkmcnt(0)
	s_add_u32 s36, s10, s30
	v_pack_b32_f16 v5, v3, v4
	v_cvt_f16_f32_e32 v3, v58
	v_cvt_f16_f32_e32 v4, v59
	s_addc_u32 s7, s11, s31
	s_and_b32 s37, s7, 0xffff
	s_mov_b32 s39, 0x20000
	v_pack_b32_f16 v4, v3, v4
	v_lshlrev_b32_e32 v3, 5, v0
	buffer_store_dwordx4 v[4:7], v3, s[36:39], 0 offen
	v_cvt_f16_f32_e32 v8, v15
	v_cvt_f16_f32_e32 v4, v14
	;; [unrolled: 1-line block ×4, first 2 shown]
	;;#ASMSTART
	s_nop 0
	;;#ASMEND
	v_pack_b32_f16 v7, v5, v6
	v_pack_b32_f16 v6, v4, v8
	v_cvt_f16_f32_e32 v4, v40
	v_cvt_f16_f32_e32 v5, v41
	;; [unrolled: 1-line block ×3, first 2 shown]
	v_pack_b32_f16 v5, v4, v5
	v_cvt_f16_f32_e32 v4, v68
	v_pack_b32_f16 v4, v4, v8
	buffer_store_dwordx4 v[4:7], v3, s[36:39], 16 offen
	v_mov_b32_e32 v3, 0x2edbe6ff
	;;#ASMSTART
	s_nop 0
	;;#ASMEND
.LBB717_24:
	s_or_b64 exec, exec, s[8:9]
	s_and_saveexec_b64 s[8:9], s[0:1]
	s_cbranch_execz .LBB717_26
; %bb.25:
	v_and_b32_e32 v4, 0x7fffffff, v58
	v_and_b32_e32 v5, 0x7fffffff, v59
	;;#ASMSTART
	v_max3_f32 v3, v3, v4, v5

	;;#ASMEND
	v_and_b32_e32 v4, 0x7fffffff, v28
	v_and_b32_e32 v5, 0x7fffffff, v29
	;;#ASMSTART
	v_max3_f32 v3, v3, v4, v5

	;;#ASMEND
	;; [unrolled: 6-line block ×8, first 2 shown]
.LBB717_26:
	s_or_b64 exec, exec, s[8:9]
	v_cmp_eq_u32_e32 vcc, 0, v2
	v_cmp_gt_i32_e64 s[8:9], s23, v1
	;;#ASMSTART
	v_max_f32 v4, v3, v3 quad_perm:[1,0,3,2] row_mask:0xf bank_mask:0xf bound_ctrl:1
	;;#ASMEND
	v_mul_f32_e32 v3, 0x3b124925, v4
	s_and_b64 s[10:11], vcc, s[8:9]
	s_and_saveexec_b64 s[8:9], s[10:11]
	s_cbranch_execz .LBB717_28
; %bb.27:
	s_load_dwordx2 s[10:11], s[4:5], 0x8
	v_lshrrev_b32_e32 v2, 1, v0
	s_mul_hi_i32 s31, s13, s6
	s_mul_i32 s30, s13, s6
	v_mad_i64_i32 v[4:5], s[14:15], s14, v2, 0
	s_lshl_b64 s[14:15], s[30:31], 2
	s_waitcnt lgkmcnt(0)
	s_add_u32 s7, s10, s14
	s_addc_u32 s10, s11, s15
	v_lshlrev_b64 v[4:5], 2, v[4:5]
	v_mov_b32_e32 v2, s10
	v_add_co_u32_e32 v4, vcc, s7, v4
	v_addc_co_u32_e32 v5, vcc, v2, v5, vcc
	global_store_dword v[4:5], v3, off
.LBB717_28:
	s_or_b64 exec, exec, s[8:9]
	;;#ASMSTART
	v_rcp_f32 v2, v3
	;;#ASMEND
	s_and_saveexec_b64 s[14:15], s[0:1]
	s_cbranch_execz .LBB717_30
; %bb.29:
	v_mov_b32_e32 v3, v2
	;;#ASMSTART
	v_pk_mul_f32 v[4:5], v[58:59], v[2:3]
	;;#ASMEND
	v_mov_b32_e32 v10, 0xc3e00000
	v_mov_b32_e32 v11, 0x43e00000
	;;#ASMSTART
	v_med3_f32 v4, v4, v10, v11
v_med3_f32 v5, v5, v10, v11
v_cvt_pk_fp8_f32 v6, v4, v5
	;;#ASMEND
	;;#ASMSTART
	v_pk_mul_f32 v[4:5], v[28:29], v[2:3]
	;;#ASMEND
	;;#ASMSTART
	v_med3_f32 v4, v4, v10, v11
v_med3_f32 v5, v5, v10, v11
v_cvt_pk_fp8_f32 v7, v4, v5
	;;#ASMEND
	;;#ASMSTART
	v_pk_mul_f32 v[4:5], v[46:47], v[2:3]
	;;#ASMEND
	;; [unrolled: 8-line block ×3, first 2 shown]
	;;#ASMSTART
	v_med3_f32 v4, v4, v10, v11
v_med3_f32 v5, v5, v10, v11
v_cvt_pk_fp8_f32 v9, v4, v5
	;;#ASMEND
	s_mov_b32 s0, 0x5040100
	v_perm_b32 v4, v7, v6, s0
	s_mov_b32 s0, 0x1060504
	v_perm_b32 v4, v4, v7, s0
	s_load_dwordx2 s[0:1], s[4:5], 0x0
	s_mov_b32 s7, 0x1000504
	;;#ASMSTART
	v_pk_mul_f32 v[6:7], v[68:69], v[2:3]
	;;#ASMEND
	v_perm_b32 v5, v8, v9, s7
	s_mul_i32 s8, s12, s6
	;;#ASMSTART
	v_med3_f32 v6, v6, v10, v11
v_med3_f32 v7, v7, v10, v11
v_cvt_pk_fp8_f32 v8, v6, v7
	;;#ASMEND
	s_mul_hi_i32 s9, s12, s6
	s_waitcnt lgkmcnt(0)
	s_add_u32 s8, s0, s8
	;;#ASMSTART
	v_pk_mul_f32 v[6:7], v[40:41], v[2:3]
	;;#ASMEND
	s_addc_u32 s0, s1, s9
	s_add_i32 s1, s23, 3
	;;#ASMSTART
	v_med3_f32 v6, v6, v10, v11
v_med3_f32 v7, v7, v10, v11
v_cvt_pk_fp8_f32 v9, v6, v7
	;;#ASMEND
	s_ashr_i32 s9, s1, 31
	v_perm_b32 v6, v8, v9, s7
	;;#ASMSTART
	v_pk_mul_f32 v[8:9], v[14:15], v[2:3]
	;;#ASMEND
	v_mov_b32_e32 v7, v9
	s_lshr_b32 s9, s9, 30
	;;#ASMSTART
	v_med3_f32 v8, v8, v10, v11
v_med3_f32 v7, v7, v10, v11
v_cvt_pk_fp8_f32 v9, v8, v7
	;;#ASMEND
	;;#ASMSTART
	v_pk_mul_f32 v[2:3], v[92:93], v[2:3]
	;;#ASMEND
	s_add_i32 s1, s1, s9
	;;#ASMSTART
	v_med3_f32 v2, v2, v10, v11
v_med3_f32 v3, v3, v10, v11
v_cvt_pk_fp8_f32 v7, v2, v3
	;;#ASMEND
	s_and_b32 s10, s1, -4
	s_and_b32 s9, s0, 0xffff
	s_mov_b32 s11, 0x20000
	v_perm_b32 v7, v9, v7, s7
	buffer_store_dwordx4 v[4:7], v1, s[8:11], 0 offen
	;;#ASMSTART
	s_nop 0
	;;#ASMEND
.LBB717_30:
	s_or_b64 exec, exec, s[14:15]
	s_cmp_lt_i32 s24, 1
	s_cbranch_scc1 .LBB717_17
.LBB717_31:
	s_load_dword s0, s[4:5], 0x94
	s_waitcnt lgkmcnt(0)
	s_cmp_lg_u32 s0, 1
	s_cbranch_scc1 .LBB717_17
; %bb.32:
	s_lshl_b32 s0, s24, 1
	s_add_i32 s0, s0, 2
	v_cmp_gt_u32_e32 vcc, s24, v1
	s_and_b32 s30, s0, -4
	v_mov_b32_e32 v18, 0
	v_lshlrev_b32_e32 v1, 5, v0
	v_mov_b32_e32 v14, 0
	v_mov_b32_e32 v15, 0
	;; [unrolled: 1-line block ×16, first 2 shown]
	s_barrier
	s_and_saveexec_b64 s[0:1], vcc
	s_cbranch_execz .LBB717_34
; %bb.33:
	s_mul_hi_i32 s5, s26, s6
	s_mul_i32 s4, s26, s6
	s_and_b32 s29, s29, 0xffff
	s_lshl_b64 s[4:5], s[4:5], 1
	s_add_u32 s8, s34, s4
	s_mov_b32 s31, 0x20000
	s_addc_u32 s4, s35, s5
	s_and_b32 s9, s4, 0xffff
	s_mov_b32 s10, s30
	s_mov_b32 s11, s31
	buffer_load_dwordx4 v[14:17], v1, s[8:11], 0 offen
	buffer_load_dwordx4 v[10:13], v1, s[8:11], 16 offen
	;; [unrolled: 1-line block ×4, first 2 shown]
.LBB717_34:
	s_or_b64 exec, exec, s[0:1]
	v_mov_b32_e32 v19, 0
	v_mov_b32_e32 v32, 0
	;; [unrolled: 1-line block ×15, first 2 shown]
	s_and_saveexec_b64 s[0:1], vcc
	s_cbranch_execz .LBB717_36
; %bb.35:
	s_waitcnt vmcnt(3)
	v_cvt_f32_f16_sdwa v19, v14 dst_sel:DWORD dst_unused:UNUSED_PAD src0_sel:WORD_1
	v_cvt_f32_f16_e32 v18, v14
	v_cvt_f32_f16_sdwa v33, v15 dst_sel:DWORD dst_unused:UNUSED_PAD src0_sel:WORD_1
	v_cvt_f32_f16_e32 v32, v15
	;; [unrolled: 2-line block ×4, first 2 shown]
	s_waitcnt vmcnt(2)
	v_cvt_f32_f16_sdwa v27, v10 dst_sel:DWORD dst_unused:UNUSED_PAD src0_sel:WORD_1
	v_cvt_f32_f16_e32 v26, v10
	v_cvt_f32_f16_sdwa v25, v11 dst_sel:DWORD dst_unused:UNUSED_PAD src0_sel:WORD_1
	v_cvt_f32_f16_e32 v24, v11
	;; [unrolled: 2-line block ×4, first 2 shown]
.LBB717_36:
	s_or_b64 exec, exec, s[0:1]
	s_waitcnt vmcnt(2)
	v_mul_f32_e32 v10, v19, v19
	v_fmac_f32_e32 v10, v18, v18
	v_fmac_f32_e32 v10, v32, v32
	;; [unrolled: 1-line block ×15, first 2 shown]
	s_nop 1
	v_mov_b32_dpp v11, v10 quad_perm:[1,0,3,2] row_mask:0xf bank_mask:0xf
	v_add_f32_e32 v10, v10, v11
	s_nop 1
	v_mov_b32_dpp v11, v10 quad_perm:[2,3,0,1] row_mask:0xf bank_mask:0xf
	v_add_f32_e32 v10, v10, v11
	s_nop 1
	v_mov_b32_dpp v11, v10 row_half_mirror row_mask:0xf bank_mask:0xf
	v_add_f32_e32 v10, v10, v11
	s_nop 1
	v_mov_b32_dpp v11, v10 row_mirror row_mask:0xf bank_mask:0xf
	v_add_f32_e32 v10, v10, v11
	s_nop 1
	v_mov_b32_dpp v11, v10 row_bcast:15 row_mask:0xf bank_mask:0xf
	v_add_f32_e32 v10, v10, v11
	s_nop 1
	v_mov_b32_dpp v11, v10 row_bcast:31 row_mask:0xf bank_mask:0xf
	s_and_saveexec_b64 s[0:1], s[2:3]
	s_cbranch_execz .LBB717_38
; %bb.37:
	v_lshrrev_b32_e32 v0, 4, v0
	v_add_f32_e32 v10, v10, v11
	v_and_b32_e32 v0, 60, v0
	ds_write_b32 v0, v10
.LBB717_38:
	s_or_b64 exec, exec, s[0:1]
	s_waitcnt lgkmcnt(0)
	s_barrier
	ds_read_b32 v0, v34
	s_waitcnt lgkmcnt(0)
	s_nop 0
	v_mov_b32_dpp v10, v0 quad_perm:[1,0,3,2] row_mask:0xf bank_mask:0xf
	s_and_saveexec_b64 s[0:1], vcc
	s_cbranch_execz .LBB717_17
; %bb.39:
	v_cvt_f32_u32_e32 v11, s24
	v_add_f32_e32 v0, v0, v10
	s_mov_b32 s31, 0x20000
	v_div_scale_f32 v10, s[0:1], v11, v11, v0
	v_rcp_f32_e32 v12, v10
	v_div_scale_f32 v13, vcc, v0, v11, v0
	s_mov_b32 s0, 0x800000
	v_fma_f32 v14, -v10, v12, 1.0
	v_fmac_f32_e32 v12, v14, v12
	v_mul_f32_e32 v14, v13, v12
	v_fma_f32 v15, -v10, v14, v13
	v_fmac_f32_e32 v14, v15, v12
	v_fma_f32 v10, -v10, v14, v13
	v_div_fmas_f32 v10, v10, v12, v14
	v_div_fixup_f32 v0, v10, v11, v0
	v_add_f32_e32 v0, s21, v0
	v_mul_f32_e32 v10, 0x4b800000, v0
	v_cmp_gt_f32_e32 vcc, s0, v0
	v_cndmask_b32_e32 v0, v0, v10, vcc
	v_rsq_f32_e32 v0, v0
	s_mul_hi_i32 s1, s16, s6
	s_mul_i32 s0, s16, s6
	s_lshl_b64 s[0:1], s[0:1], 1
	v_mul_f32_e32 v10, 0x45800000, v0
	v_cndmask_b32_e32 v10, v0, v10, vcc
	v_mov_b32_e32 v11, v10
	;;#ASMSTART
	v_pk_mul_f32 v[12:13], v[18:19], v[10:11]
	;;#ASMEND
	;;#ASMSTART
	v_pk_mul_f32 v[14:15], v[32:33], v[10:11]
	;;#ASMEND
	;; [unrolled: 3-line block ×8, first 2 shown]
	s_waitcnt vmcnt(1)
	v_cvt_f32_f16_sdwa v21, v6 dst_sel:DWORD dst_unused:UNUSED_PAD src0_sel:WORD_1
	v_cvt_f32_f16_e32 v20, v6
	v_cvt_f32_f16_sdwa v29, v7 dst_sel:DWORD dst_unused:UNUSED_PAD src0_sel:WORD_1
	v_cvt_f32_f16_e32 v28, v7
	;; [unrolled: 2-line block ×4, first 2 shown]
	;;#ASMSTART
	v_pk_mul_f32 v[8:9], v[12:13], v[20:21]
	;;#ASMEND
	;;#ASMSTART
	v_pk_mul_f32 v[12:13], v[14:15], v[28:29]
	;;#ASMEND
	;; [unrolled: 3-line block ×4, first 2 shown]
	s_waitcnt vmcnt(0)
	v_cvt_f32_f16_sdwa v17, v2 dst_sel:DWORD dst_unused:UNUSED_PAD src0_sel:WORD_1
	v_cvt_f32_f16_e32 v16, v2
	v_cvt_f32_f16_sdwa v19, v3 dst_sel:DWORD dst_unused:UNUSED_PAD src0_sel:WORD_1
	v_cvt_f32_f16_e32 v18, v3
	;; [unrolled: 2-line block ×4, first 2 shown]
	;;#ASMSTART
	v_pk_mul_f32 v[16:17], v[26:27], v[16:17]
	;;#ASMEND
	;;#ASMSTART
	v_pk_mul_f32 v[18:19], v[24:25], v[18:19]
	;;#ASMEND
	;; [unrolled: 3-line block ×3, first 2 shown]
	v_cvt_f16_f32_e32 v0, v8
	v_cvt_f16_f32_e32 v2, v9
	;; [unrolled: 1-line block ×8, first 2 shown]
	s_add_u32 s28, s18, s0
	s_addc_u32 s0, s19, s1
	s_and_b32 s29, s0, 0xffff
	v_pack_b32_f16 v2, v0, v2
	v_pack_b32_f16 v3, v3, v4
	;; [unrolled: 1-line block ×4, first 2 shown]
	;;#ASMSTART
	v_pk_mul_f32 v[10:11], v[10:11], v[20:21]
	;;#ASMEND
	buffer_store_dwordx4 v[2:5], v1, s[28:31], 0 offen
	v_cvt_f16_f32_e32 v0, v16
	v_cvt_f16_f32_e32 v2, v17
	;; [unrolled: 1-line block ×8, first 2 shown]
	v_pack_b32_f16 v2, v0, v2
	v_pack_b32_f16 v3, v3, v4
	;; [unrolled: 1-line block ×4, first 2 shown]
	;;#ASMSTART
	s_nop 0
	;;#ASMEND
	buffer_store_dwordx4 v[2:5], v1, s[28:31], 16 offen
	;;#ASMSTART
	s_nop 0
	;;#ASMEND
	s_endpgm
	.section	.rodata,"a",@progbits
	.p2align	6, 0x0
	.amdhsa_kernel _ZN5aiter35fused_qk_rmsnorm_group_quant_kernelIDF16_DB8_Li128ELi16ELi2ELb1ELb1ELb0ELb0ELb0ELb0EEEvPT0_PvPT_S6_S6_PKS5_S8_S8_S8_S8_ffiiiiiiiiiiiii
		.amdhsa_group_segment_fixed_size 16
		.amdhsa_private_segment_fixed_size 0
		.amdhsa_kernarg_size 400
		.amdhsa_user_sgpr_count 6
		.amdhsa_user_sgpr_private_segment_buffer 1
		.amdhsa_user_sgpr_dispatch_ptr 0
		.amdhsa_user_sgpr_queue_ptr 0
		.amdhsa_user_sgpr_kernarg_segment_ptr 1
		.amdhsa_user_sgpr_dispatch_id 0
		.amdhsa_user_sgpr_flat_scratch_init 0
		.amdhsa_user_sgpr_kernarg_preload_length 0
		.amdhsa_user_sgpr_kernarg_preload_offset 0
		.amdhsa_user_sgpr_private_segment_size 0
		.amdhsa_uses_dynamic_stack 0
		.amdhsa_system_sgpr_private_segment_wavefront_offset 0
		.amdhsa_system_sgpr_workgroup_id_x 1
		.amdhsa_system_sgpr_workgroup_id_y 1
		.amdhsa_system_sgpr_workgroup_id_z 0
		.amdhsa_system_sgpr_workgroup_info 0
		.amdhsa_system_vgpr_workitem_id 0
		.amdhsa_next_free_vgpr 94
		.amdhsa_next_free_sgpr 44
		.amdhsa_accum_offset 96
		.amdhsa_reserve_vcc 1
		.amdhsa_reserve_flat_scratch 0
		.amdhsa_float_round_mode_32 0
		.amdhsa_float_round_mode_16_64 0
		.amdhsa_float_denorm_mode_32 3
		.amdhsa_float_denorm_mode_16_64 3
		.amdhsa_dx10_clamp 1
		.amdhsa_ieee_mode 1
		.amdhsa_fp16_overflow 0
		.amdhsa_tg_split 0
		.amdhsa_exception_fp_ieee_invalid_op 0
		.amdhsa_exception_fp_denorm_src 0
		.amdhsa_exception_fp_ieee_div_zero 0
		.amdhsa_exception_fp_ieee_overflow 0
		.amdhsa_exception_fp_ieee_underflow 0
		.amdhsa_exception_fp_ieee_inexact 0
		.amdhsa_exception_int_div_zero 0
	.end_amdhsa_kernel
	.section	.text._ZN5aiter35fused_qk_rmsnorm_group_quant_kernelIDF16_DB8_Li128ELi16ELi2ELb1ELb1ELb0ELb0ELb0ELb0EEEvPT0_PvPT_S6_S6_PKS5_S8_S8_S8_S8_ffiiiiiiiiiiiii,"axG",@progbits,_ZN5aiter35fused_qk_rmsnorm_group_quant_kernelIDF16_DB8_Li128ELi16ELi2ELb1ELb1ELb0ELb0ELb0ELb0EEEvPT0_PvPT_S6_S6_PKS5_S8_S8_S8_S8_ffiiiiiiiiiiiii,comdat
.Lfunc_end717:
	.size	_ZN5aiter35fused_qk_rmsnorm_group_quant_kernelIDF16_DB8_Li128ELi16ELi2ELb1ELb1ELb0ELb0ELb0ELb0EEEvPT0_PvPT_S6_S6_PKS5_S8_S8_S8_S8_ffiiiiiiiiiiiii, .Lfunc_end717-_ZN5aiter35fused_qk_rmsnorm_group_quant_kernelIDF16_DB8_Li128ELi16ELi2ELb1ELb1ELb0ELb0ELb0ELb0EEEvPT0_PvPT_S6_S6_PKS5_S8_S8_S8_S8_ffiiiiiiiiiiiii
                                        ; -- End function
	.section	.AMDGPU.csdata,"",@progbits
; Kernel info:
; codeLenInByte = 4220
; NumSgprs: 48
; NumVgprs: 94
; NumAgprs: 0
; TotalNumVgprs: 94
; ScratchSize: 0
; MemoryBound: 0
; FloatMode: 240
; IeeeMode: 1
; LDSByteSize: 16 bytes/workgroup (compile time only)
; SGPRBlocks: 5
; VGPRBlocks: 11
; NumSGPRsForWavesPerEU: 48
; NumVGPRsForWavesPerEU: 94
; AccumOffset: 96
; Occupancy: 5
; WaveLimiterHint : 0
; COMPUTE_PGM_RSRC2:SCRATCH_EN: 0
; COMPUTE_PGM_RSRC2:USER_SGPR: 6
; COMPUTE_PGM_RSRC2:TRAP_HANDLER: 0
; COMPUTE_PGM_RSRC2:TGID_X_EN: 1
; COMPUTE_PGM_RSRC2:TGID_Y_EN: 1
; COMPUTE_PGM_RSRC2:TGID_Z_EN: 0
; COMPUTE_PGM_RSRC2:TIDIG_COMP_CNT: 0
; COMPUTE_PGM_RSRC3_GFX90A:ACCUM_OFFSET: 23
; COMPUTE_PGM_RSRC3_GFX90A:TG_SPLIT: 0
	.section	.text._ZN5aiter35fused_qk_rmsnorm_group_quant_kernelItDB8_Li128ELi16ELi2ELb1ELb1ELb0ELb0ELb0ELb0EEEvPT0_PvPT_S6_S6_PKS5_S8_S8_S8_S8_ffiiiiiiiiiiiii,"axG",@progbits,_ZN5aiter35fused_qk_rmsnorm_group_quant_kernelItDB8_Li128ELi16ELi2ELb1ELb1ELb0ELb0ELb0ELb0EEEvPT0_PvPT_S6_S6_PKS5_S8_S8_S8_S8_ffiiiiiiiiiiiii,comdat
	.protected	_ZN5aiter35fused_qk_rmsnorm_group_quant_kernelItDB8_Li128ELi16ELi2ELb1ELb1ELb0ELb0ELb0ELb0EEEvPT0_PvPT_S6_S6_PKS5_S8_S8_S8_S8_ffiiiiiiiiiiiii ; -- Begin function _ZN5aiter35fused_qk_rmsnorm_group_quant_kernelItDB8_Li128ELi16ELi2ELb1ELb1ELb0ELb0ELb0ELb0EEEvPT0_PvPT_S6_S6_PKS5_S8_S8_S8_S8_ffiiiiiiiiiiiii
	.globl	_ZN5aiter35fused_qk_rmsnorm_group_quant_kernelItDB8_Li128ELi16ELi2ELb1ELb1ELb0ELb0ELb0ELb0EEEvPT0_PvPT_S6_S6_PKS5_S8_S8_S8_S8_ffiiiiiiiiiiiii
	.p2align	8
	.type	_ZN5aiter35fused_qk_rmsnorm_group_quant_kernelItDB8_Li128ELi16ELi2ELb1ELb1ELb0ELb0ELb0ELb0EEEvPT0_PvPT_S6_S6_PKS5_S8_S8_S8_S8_ffiiiiiiiiiiiii,@function
_ZN5aiter35fused_qk_rmsnorm_group_quant_kernelItDB8_Li128ELi16ELi2ELb1ELb1ELb0ELb0ELb0ELb0EEEvPT0_PvPT_S6_S6_PKS5_S8_S8_S8_S8_ffiiiiiiiiiiiii: ; @_ZN5aiter35fused_qk_rmsnorm_group_quant_kernelItDB8_Li128ELi16ELi2ELb1ELb1ELb0ELb0ELb0ELb0EEEvPT0_PvPT_S6_S6_PKS5_S8_S8_S8_S8_ffiiiiiiiiiiiii
; %bb.0:
	s_load_dwordx8 s[20:27], s[4:5], 0x50
	s_waitcnt lgkmcnt(0)
	s_cmp_ge_i32 s6, s22
	s_cbranch_scc1 .LBB718_17
; %bb.1:
	s_cmp_lg_u32 s7, 0
	s_cselect_b64 s[10:11], -1, 0
	s_cmp_eq_u32 s7, 0
	s_cselect_b64 s[8:9], -1, 0
	s_and_b64 s[0:1], s[8:9], exec
	s_load_dwordx2 s[28:29], s[4:5], 0x48
	s_load_dwordx2 s[34:35], s[4:5], 0x30
	s_load_dwordx8 s[12:19], s[4:5], 0x70
	s_cselect_b32 s7, s23, s24
	s_add_i32 s0, s7, 1
	s_lshr_b32 s1, s0, 31
	s_add_i32 s0, s0, s1
	s_lshl_b32 s0, s0, 1
	v_lshlrev_b32_e32 v1, 4, v0
	s_and_b32 s38, s0, -4
	v_cmp_gt_i32_e64 s[0:1], s7, v1
	v_mov_b32_e32 v82, 0
	v_mov_b32_e32 v83, 0
	;; [unrolled: 1-line block ×16, first 2 shown]
	s_and_saveexec_b64 s[2:3], s[0:1]
	s_cbranch_execz .LBB718_3
; %bb.2:
	s_waitcnt lgkmcnt(0)
	s_load_dwordx2 s[18:19], s[4:5], 0x28
	s_load_dwordx2 s[30:31], s[4:5], 0x40
	s_and_b64 s[36:37], s[8:9], exec
	s_cselect_b32 s22, s25, s26
	s_mov_b32 s39, 0x20000
	s_waitcnt lgkmcnt(0)
	s_cselect_b32 s25, s19, s35
	s_cselect_b32 s33, s18, s34
	s_mul_hi_i32 s19, s22, s6
	s_mul_i32 s18, s22, s6
	s_lshl_b64 s[18:19], s[18:19], 1
	s_add_u32 s40, s33, s18
	s_addc_u32 s22, s25, s19
	s_and_b64 s[18:19], s[8:9], exec
	s_cselect_b32 s36, s30, s28
	s_cselect_b32 s18, s31, s29
	s_and_b32 s41, s22, 0xffff
	s_mov_b32 s42, s38
	s_mov_b32 s43, s39
	v_lshlrev_b32_e32 v2, 5, v0
	s_and_b32 s37, s18, 0xffff
	buffer_load_dwordx4 v[86:89], v2, s[40:43], 0 offen
	buffer_load_dwordx4 v[90:93], v2, s[40:43], 16 offen
	buffer_load_dwordx4 v[82:85], v2, s[36:39], 0 offen
	buffer_load_dwordx4 v[78:81], v2, s[36:39], 16 offen
.LBB718_3:
	s_or_b64 exec, exec, s[2:3]
	s_and_b64 vcc, exec, s[10:11]
	s_cbranch_vccz .LBB718_7
; %bb.4:
	v_mov_b32_e32 v95, 0
	v_mov_b32_e32 v94, 0
	;; [unrolled: 1-line block ×16, first 2 shown]
	s_and_saveexec_b64 s[2:3], s[0:1]
	s_cbranch_execz .LBB718_6
; %bb.5:
	s_waitcnt vmcnt(3)
	v_cvt_f32_u32_sdwa v62, v86 dst_sel:DWORD dst_unused:UNUSED_PAD src0_sel:WORD_0
	v_cvt_f32_u32_sdwa v63, v86 dst_sel:DWORD dst_unused:UNUSED_PAD src0_sel:WORD_1
	v_cvt_f32_u32_sdwa v24, v87 dst_sel:DWORD dst_unused:UNUSED_PAD src0_sel:WORD_0
	v_cvt_f32_u32_sdwa v25, v87 dst_sel:DWORD dst_unused:UNUSED_PAD src0_sel:WORD_1
	;; [unrolled: 2-line block ×4, first 2 shown]
	s_waitcnt vmcnt(2)
	v_cvt_f32_u32_sdwa v42, v90 dst_sel:DWORD dst_unused:UNUSED_PAD src0_sel:WORD_0
	v_cvt_f32_u32_sdwa v43, v90 dst_sel:DWORD dst_unused:UNUSED_PAD src0_sel:WORD_1
	v_cvt_f32_u32_sdwa v18, v91 dst_sel:DWORD dst_unused:UNUSED_PAD src0_sel:WORD_0
	v_cvt_f32_u32_sdwa v19, v91 dst_sel:DWORD dst_unused:UNUSED_PAD src0_sel:WORD_1
	;; [unrolled: 2-line block ×4, first 2 shown]
.LBB718_6:
	s_or_b64 exec, exec, s[2:3]
	s_cbranch_execz .LBB718_8
	s_branch .LBB718_11
.LBB718_7:
                                        ; implicit-def: $vgpr22_vgpr23_vgpr24_vgpr25_vgpr26_vgpr27_vgpr28_vgpr29_vgpr30_vgpr31_vgpr32_vgpr33_vgpr34_vgpr35_vgpr36_vgpr37
                                        ; implicit-def: $vgpr46_vgpr47_vgpr48_vgpr49_vgpr50_vgpr51_vgpr52_vgpr53_vgpr54_vgpr55_vgpr56_vgpr57_vgpr58_vgpr59_vgpr60_vgpr61
                                        ; implicit-def: $vgpr26_vgpr27_vgpr28_vgpr29_vgpr30_vgpr31_vgpr32_vgpr33_vgpr34_vgpr35_vgpr36_vgpr37_vgpr38_vgpr39_vgpr40_vgpr41
                                        ; implicit-def: $vgpr8_vgpr9_vgpr10_vgpr11_vgpr12_vgpr13_vgpr14_vgpr15_vgpr16_vgpr17_vgpr18_vgpr19_vgpr20_vgpr21_vgpr22_vgpr23
                                        ; implicit-def: $vgpr95
                                        ; implicit-def: $vgpr62_vgpr63_vgpr64_vgpr65_vgpr66_vgpr67_vgpr68_vgpr69_vgpr70_vgpr71_vgpr72_vgpr73_vgpr74_vgpr75_vgpr76_vgpr77
                                        ; implicit-def: $vgpr34_vgpr35_vgpr36_vgpr37_vgpr38_vgpr39_vgpr40_vgpr41_vgpr42_vgpr43_vgpr44_vgpr45_vgpr46_vgpr47_vgpr48_vgpr49
                                        ; implicit-def: $vgpr2_vgpr3_vgpr4_vgpr5_vgpr6_vgpr7_vgpr8_vgpr9_vgpr10_vgpr11_vgpr12_vgpr13_vgpr14_vgpr15_vgpr16_vgpr17
.LBB718_8:
	v_mov_b32_e32 v95, 0
	v_mov_b32_e32 v94, 0
	;; [unrolled: 1-line block ×16, first 2 shown]
	s_and_saveexec_b64 s[2:3], s[0:1]
	s_cbranch_execz .LBB718_10
; %bb.9:
	s_waitcnt lgkmcnt(0)
	s_load_dwordx2 s[18:19], s[4:5], 0x38
	s_mul_hi_i32 s31, s27, s6
	s_mul_i32 s30, s27, s6
	s_lshl_b64 s[30:31], s[30:31], 1
	s_mov_b32 s39, 0x20000
	s_waitcnt lgkmcnt(0)
	s_add_u32 s36, s18, s30
	s_addc_u32 s18, s19, s31
	s_and_b32 s37, s18, 0xffff
	v_lshlrev_b32_e32 v38, 5, v0
	buffer_load_dwordx4 v[4:7], v38, s[36:39], 16 offen
	buffer_load_dwordx4 v[8:11], v38, s[36:39], 0 offen
	s_load_dwordx2 s[18:19], s[4:5], 0x20
	s_waitcnt vmcnt(5)
	v_cvt_f32_u32_sdwa v19, v86 dst_sel:DWORD dst_unused:UNUSED_PAD src0_sel:WORD_1
	v_cvt_f32_u32_sdwa v18, v86 dst_sel:DWORD dst_unused:UNUSED_PAD src0_sel:WORD_0
	v_cvt_f32_u32_sdwa v21, v87 dst_sel:DWORD dst_unused:UNUSED_PAD src0_sel:WORD_1
	v_cvt_f32_u32_sdwa v20, v87 dst_sel:DWORD dst_unused:UNUSED_PAD src0_sel:WORD_0
	;; [unrolled: 2-line block ×4, first 2 shown]
	s_waitcnt vmcnt(4)
	v_cvt_f32_u32_sdwa v3, v90 dst_sel:DWORD dst_unused:UNUSED_PAD src0_sel:WORD_1
	v_cvt_f32_u32_sdwa v2, v90 dst_sel:DWORD dst_unused:UNUSED_PAD src0_sel:WORD_0
	v_cvt_f32_u32_sdwa v13, v91 dst_sel:DWORD dst_unused:UNUSED_PAD src0_sel:WORD_1
	v_cvt_f32_u32_sdwa v12, v91 dst_sel:DWORD dst_unused:UNUSED_PAD src0_sel:WORD_0
	;; [unrolled: 2-line block ×3, first 2 shown]
	v_cvt_f32_u32_sdwa v16, v93 dst_sel:DWORD dst_unused:UNUSED_PAD src0_sel:WORD_0
	v_cvt_f32_u32_sdwa v17, v93 dst_sel:DWORD dst_unused:UNUSED_PAD src0_sel:WORD_1
	s_mul_hi_i32 s31, s17, s6
	s_mul_i32 s30, s17, s6
	s_lshl_b64 s[30:31], s[30:31], 1
	s_waitcnt lgkmcnt(0)
	s_add_u32 s36, s18, s30
	s_mov_b32 s17, 0x7060302
	s_addc_u32 s18, s19, s31
	s_and_b32 s37, s18, 0xffff
	s_waitcnt vmcnt(1)
	v_cvt_f32_u32_sdwa v27, v4 dst_sel:DWORD dst_unused:UNUSED_PAD src0_sel:WORD_1
	v_cvt_f32_u32_sdwa v26, v4 dst_sel:DWORD dst_unused:UNUSED_PAD src0_sel:WORD_0
	v_cvt_f32_u32_sdwa v29, v5 dst_sel:DWORD dst_unused:UNUSED_PAD src0_sel:WORD_1
	v_cvt_f32_u32_sdwa v28, v5 dst_sel:DWORD dst_unused:UNUSED_PAD src0_sel:WORD_0
	;; [unrolled: 2-line block ×3, first 2 shown]
	v_cvt_f32_u32_sdwa v34, v7 dst_sel:DWORD dst_unused:UNUSED_PAD src0_sel:WORD_0
	v_cvt_f32_u32_sdwa v35, v7 dst_sel:DWORD dst_unused:UNUSED_PAD src0_sel:WORD_1
	s_waitcnt vmcnt(0)
	v_cvt_f32_u32_sdwa v37, v8 dst_sel:DWORD dst_unused:UNUSED_PAD src0_sel:WORD_1
	v_cvt_f32_u32_sdwa v36, v8 dst_sel:DWORD dst_unused:UNUSED_PAD src0_sel:WORD_0
	v_cvt_f32_u32_sdwa v5, v10 dst_sel:DWORD dst_unused:UNUSED_PAD src0_sel:WORD_1
	v_cvt_f32_u32_sdwa v4, v10 dst_sel:DWORD dst_unused:UNUSED_PAD src0_sel:WORD_0
	;; [unrolled: 2-line block ×4, first 2 shown]
	v_pk_add_f32 v[50:51], v[22:23], v[4:5]
	v_pk_add_f32 v[32:33], v[24:25], v[6:7]
	v_pk_add_f32 v[62:63], v[18:19], v[36:37]
	v_pk_add_f32 v[24:25], v[20:21], v[10:11]
	v_perm_b32 v7, v33, v32, s17
	v_perm_b32 v6, v51, v50, s17
	;; [unrolled: 1-line block ×4, first 2 shown]
	v_pk_add_f32 v[94:95], v[16:17], v[34:35]
	v_pk_add_f32 v[14:15], v[14:15], v[30:31]
	;; [unrolled: 1-line block ×4, first 2 shown]
	buffer_store_dwordx4 v[4:7], v38, s[36:39], 0 offen
	;;#ASMSTART
	s_nop 0
	;;#ASMEND
	s_nop 0
	v_perm_b32 v7, v95, v94, s17
	v_perm_b32 v6, v15, v14, s17
	;; [unrolled: 1-line block ×4, first 2 shown]
	buffer_store_dwordx4 v[4:7], v38, s[36:39], 16 offen
	;;#ASMSTART
	s_nop 0
	;;#ASMEND
.LBB718_10:
	s_or_b64 exec, exec, s[2:3]
.LBB718_11:
	v_mul_f32_e32 v2, v63, v63
	v_fmac_f32_e32 v2, v62, v62
	v_fmac_f32_e32 v2, v24, v24
	;; [unrolled: 1-line block ×15, first 2 shown]
	s_nop 1
	v_mov_b32_dpp v3, v2 quad_perm:[1,0,3,2] row_mask:0xf bank_mask:0xf
	v_add_f32_e32 v2, v2, v3
	s_nop 1
	v_mov_b32_dpp v3, v2 quad_perm:[2,3,0,1] row_mask:0xf bank_mask:0xf
	v_add_f32_e32 v2, v2, v3
	s_nop 1
	v_mov_b32_dpp v3, v2 row_half_mirror row_mask:0xf bank_mask:0xf
	v_add_f32_e32 v2, v2, v3
	s_nop 1
	v_mov_b32_dpp v3, v2 row_mirror row_mask:0xf bank_mask:0xf
	v_add_f32_e32 v2, v2, v3
	s_nop 1
	v_mov_b32_dpp v3, v2 row_bcast:15 row_mask:0xf bank_mask:0xf
	v_add_f32_e32 v2, v2, v3
	v_and_b32_e32 v3, 63, v0
	v_cmp_eq_u32_e64 s[2:3], 63, v3
	s_nop 0
	v_mov_b32_dpp v3, v2 row_bcast:31 row_mask:0xf bank_mask:0xf
	s_waitcnt lgkmcnt(0)
	s_and_saveexec_b64 s[18:19], s[2:3]
	s_cbranch_execz .LBB718_13
; %bb.12:
	v_add_f32_e32 v2, v2, v3
	v_lshrrev_b32_e32 v3, 4, v0
	v_and_b32_e32 v3, 60, v3
	ds_write_b32 v3, v2 offset:8
.LBB718_13:
	s_or_b64 exec, exec, s[18:19]
	v_and_b32_e32 v2, 1, v0
	v_lshlrev_b32_e32 v34, 2, v2
	s_waitcnt lgkmcnt(0)
	s_barrier
	ds_read_b32 v3, v34 offset:8
	s_load_dwordx2 s[18:19], s[4:5], 0x18
	s_waitcnt lgkmcnt(0)
	v_mov_b32_dpp v4, v3 quad_perm:[1,0,3,2] row_mask:0xf bank_mask:0xf
	s_and_saveexec_b64 s[30:31], s[0:1]
	s_cbranch_execnz .LBB718_18
; %bb.14:
	s_or_b64 exec, exec, s[30:31]
	s_mov_b64 s[8:9], -1
	s_and_b64 vcc, exec, s[10:11]
	s_cbranch_vccnz .LBB718_19
.LBB718_15:
	s_andn2_b64 vcc, exec, s[8:9]
	s_cbranch_vccz .LBB718_22
.LBB718_16:
	s_cmp_lt_i32 s24, 1
	s_cbranch_scc0 .LBB718_31
.LBB718_17:
	s_endpgm
.LBB718_18:
	v_add_f32_e32 v3, v3, v4
	v_cvt_f32_u32_e32 v4, s7
	s_mov_b32 s7, 0x800000
	s_waitcnt vmcnt(1)
	v_cvt_f32_u32_sdwa v21, v82 dst_sel:DWORD dst_unused:UNUSED_PAD src0_sel:WORD_1
	v_cvt_f32_u32_sdwa v20, v82 dst_sel:DWORD dst_unused:UNUSED_PAD src0_sel:WORD_0
	v_div_scale_f32 v5, s[36:37], v4, v4, v3
	v_rcp_f32_e32 v6, v5
	v_cvt_f32_u32_sdwa v23, v83 dst_sel:DWORD dst_unused:UNUSED_PAD src0_sel:WORD_1
	v_cvt_f32_u32_sdwa v22, v83 dst_sel:DWORD dst_unused:UNUSED_PAD src0_sel:WORD_0
	s_waitcnt vmcnt(0)
	v_cvt_f32_u32_sdwa v27, v80 dst_sel:DWORD dst_unused:UNUSED_PAD src0_sel:WORD_1
	v_fma_f32 v7, -v5, v6, 1.0
	v_fmac_f32_e32 v6, v7, v6
	v_div_scale_f32 v7, vcc, v3, v4, v3
	v_mul_f32_e32 v8, v7, v6
	v_fma_f32 v9, -v5, v8, v7
	v_fmac_f32_e32 v8, v9, v6
	v_fma_f32 v5, -v5, v8, v7
	v_div_fmas_f32 v5, v5, v6, v8
	v_div_fixup_f32 v3, v5, v4, v3
	v_mov_b32_e32 v4, s21
	v_mov_b32_e32 v5, s20
	v_cndmask_b32_e64 v4, v4, v5, s[8:9]
	v_add_f32_e32 v3, v4, v3
	v_mul_f32_e32 v4, 0x4b800000, v3
	v_cmp_gt_f32_e32 vcc, s7, v3
	v_cndmask_b32_e32 v3, v3, v4, vcc
	v_rsq_f32_e32 v3, v3
	v_cvt_f32_u32_sdwa v26, v80 dst_sel:DWORD dst_unused:UNUSED_PAD src0_sel:WORD_0
	v_cvt_f32_u32_sdwa v29, v81 dst_sel:DWORD dst_unused:UNUSED_PAD src0_sel:WORD_1
	v_cvt_f32_u32_sdwa v28, v81 dst_sel:DWORD dst_unused:UNUSED_PAD src0_sel:WORD_0
	v_mul_f32_e32 v4, 0x45800000, v3
	v_cndmask_b32_e32 v4, v3, v4, vcc
	v_mov_b32_e32 v5, v4
	;;#ASMSTART
	v_pk_mul_f32 v[6:7], v[62:63], v[4:5]
	;;#ASMEND
	;;#ASMSTART
	v_pk_mul_f32 v[8:9], v[24:25], v[4:5]
	;;#ASMEND
	;;#ASMSTART
	v_pk_mul_f32 v[10:11], v[50:51], v[4:5]
	;;#ASMEND
	;;#ASMSTART
	v_pk_mul_f32 v[12:13], v[32:33], v[4:5]
	;;#ASMEND
	;;#ASMSTART
	v_pk_mul_f32 v[16:17], v[42:43], v[4:5]
	;;#ASMEND
	;;#ASMSTART
	v_pk_mul_f32 v[18:19], v[18:19], v[4:5]
	;;#ASMEND
	;;#ASMSTART
	v_pk_mul_f32 v[14:15], v[14:15], v[4:5]
	;;#ASMEND
	;;#ASMSTART
	v_pk_mul_f32 v[4:5], v[94:95], v[4:5]
	;;#ASMEND
	;;#ASMSTART
	v_pk_mul_f32 v[62:63], v[6:7], v[20:21]
	;;#ASMEND
	;;#ASMSTART
	v_pk_mul_f32 v[24:25], v[8:9], v[22:23]
	;;#ASMEND
	v_cvt_f32_u32_sdwa v7, v84 dst_sel:DWORD dst_unused:UNUSED_PAD src0_sel:WORD_1
	v_cvt_f32_u32_sdwa v6, v84 dst_sel:DWORD dst_unused:UNUSED_PAD src0_sel:WORD_0
	v_cvt_f32_u32_sdwa v9, v85 dst_sel:DWORD dst_unused:UNUSED_PAD src0_sel:WORD_1
	v_cvt_f32_u32_sdwa v8, v85 dst_sel:DWORD dst_unused:UNUSED_PAD src0_sel:WORD_0
	;; [unrolled: 2-line block ×4, first 2 shown]
	;;#ASMSTART
	v_pk_mul_f32 v[50:51], v[10:11], v[6:7]
	;;#ASMEND
	;;#ASMSTART
	v_pk_mul_f32 v[32:33], v[12:13], v[8:9]
	;;#ASMEND
	;; [unrolled: 3-line block ×6, first 2 shown]
	s_or_b64 exec, exec, s[30:31]
	s_mov_b64 s[8:9], -1
	s_and_b64 vcc, exec, s[10:11]
	s_cbranch_vccz .LBB718_15
.LBB718_19:
	s_and_saveexec_b64 s[8:9], s[0:1]
	s_cbranch_execz .LBB718_21
; %bb.20:
	s_mul_hi_i32 s11, s16, s6
	s_mul_i32 s10, s16, s6
	s_lshl_b64 s[10:11], s[10:11], 1
	s_add_u32 s36, s18, s10
	s_addc_u32 s7, s19, s11
	s_and_b32 s37, s7, 0xffff
	s_mov_b32 s7, 0x7060302
	s_mov_b32 s39, 0x20000
	v_perm_b32 v7, v33, v32, s7
	v_perm_b32 v6, v51, v50, s7
	;; [unrolled: 1-line block ×4, first 2 shown]
	v_lshlrev_b32_e32 v3, 5, v0
	buffer_store_dwordx4 v[4:7], v3, s[36:39], 0 offen
	;;#ASMSTART
	s_nop 0
	;;#ASMEND
	s_nop 0
	v_perm_b32 v7, v95, v94, s7
	v_perm_b32 v6, v15, v14, s7
	;; [unrolled: 1-line block ×4, first 2 shown]
	buffer_store_dwordx4 v[4:7], v3, s[36:39], 16 offen
	;;#ASMSTART
	s_nop 0
	;;#ASMEND
.LBB718_21:
	s_or_b64 exec, exec, s[8:9]
	s_cbranch_execnz .LBB718_16
.LBB718_22:
	v_mov_b32_e32 v3, 0
	s_and_saveexec_b64 s[8:9], s[0:1]
	s_cbranch_execz .LBB718_24
; %bb.23:
	s_load_dwordx2 s[10:11], s[4:5], 0x10
	s_mul_hi_i32 s31, s15, s6
	s_mul_i32 s30, s15, s6
	s_lshl_b64 s[30:31], s[30:31], 1
	s_mov_b32 s39, 0x20000
	s_waitcnt lgkmcnt(0)
	s_add_u32 s36, s10, s30
	s_addc_u32 s7, s11, s31
	s_and_b32 s37, s7, 0xffff
	s_mov_b32 s7, 0x7060302
	v_perm_b32 v7, v33, v32, s7
	v_perm_b32 v6, v51, v50, s7
	v_perm_b32 v5, v25, v24, s7
	v_perm_b32 v4, v63, v62, s7
	v_lshlrev_b32_e32 v3, 5, v0
	buffer_store_dwordx4 v[4:7], v3, s[36:39], 0 offen
	;;#ASMSTART
	s_nop 0
	;;#ASMEND
	s_nop 0
	v_perm_b32 v7, v95, v94, s7
	v_perm_b32 v6, v15, v14, s7
	;; [unrolled: 1-line block ×4, first 2 shown]
	buffer_store_dwordx4 v[4:7], v3, s[36:39], 16 offen
	v_mov_b32_e32 v3, 0x2edbe6ff
	;;#ASMSTART
	s_nop 0
	;;#ASMEND
.LBB718_24:
	s_or_b64 exec, exec, s[8:9]
	s_and_saveexec_b64 s[8:9], s[0:1]
	s_cbranch_execz .LBB718_26
; %bb.25:
	v_and_b32_e32 v4, 0x7fffffff, v62
	v_and_b32_e32 v5, 0x7fffffff, v63
	;;#ASMSTART
	v_max3_f32 v3, v3, v4, v5

	;;#ASMEND
	v_and_b32_e32 v4, 0x7fffffff, v24
	v_and_b32_e32 v5, 0x7fffffff, v25
	;;#ASMSTART
	v_max3_f32 v3, v3, v4, v5

	;;#ASMEND
	v_and_b32_e32 v4, 0x7fffffff, v50
	v_and_b32_e32 v5, 0x7fffffff, v51
	;;#ASMSTART
	v_max3_f32 v3, v3, v4, v5

	;;#ASMEND
	v_and_b32_e32 v4, 0x7fffffff, v32
	v_and_b32_e32 v5, 0x7fffffff, v33
	;;#ASMSTART
	v_max3_f32 v3, v3, v4, v5

	;;#ASMEND
	v_and_b32_e32 v4, 0x7fffffff, v42
	v_and_b32_e32 v5, 0x7fffffff, v43
	;;#ASMSTART
	v_max3_f32 v3, v3, v4, v5

	;;#ASMEND
	v_and_b32_e32 v4, 0x7fffffff, v18
	v_and_b32_e32 v5, 0x7fffffff, v19
	;;#ASMSTART
	v_max3_f32 v3, v3, v4, v5

	;;#ASMEND
	v_and_b32_e32 v4, 0x7fffffff, v14
	v_and_b32_e32 v5, 0x7fffffff, v15
	;;#ASMSTART
	v_max3_f32 v3, v3, v4, v5

	;;#ASMEND
	v_and_b32_e32 v4, 0x7fffffff, v94
	v_and_b32_e32 v5, 0x7fffffff, v95
	;;#ASMSTART
	v_max3_f32 v3, v3, v4, v5

	;;#ASMEND
.LBB718_26:
	s_or_b64 exec, exec, s[8:9]
	v_cmp_eq_u32_e32 vcc, 0, v2
	v_cmp_gt_i32_e64 s[8:9], s23, v1
	;;#ASMSTART
	v_max_f32 v4, v3, v3 quad_perm:[1,0,3,2] row_mask:0xf bank_mask:0xf bound_ctrl:1
	;;#ASMEND
	v_mul_f32_e32 v3, 0x3b124925, v4
	s_and_b64 s[10:11], vcc, s[8:9]
	s_and_saveexec_b64 s[8:9], s[10:11]
	s_cbranch_execz .LBB718_28
; %bb.27:
	s_load_dwordx2 s[10:11], s[4:5], 0x8
	v_lshrrev_b32_e32 v2, 1, v0
	s_mul_hi_i32 s31, s13, s6
	s_mul_i32 s30, s13, s6
	v_mad_i64_i32 v[4:5], s[14:15], s14, v2, 0
	s_lshl_b64 s[14:15], s[30:31], 2
	s_waitcnt lgkmcnt(0)
	s_add_u32 s7, s10, s14
	s_addc_u32 s10, s11, s15
	v_lshlrev_b64 v[4:5], 2, v[4:5]
	v_mov_b32_e32 v2, s10
	v_add_co_u32_e32 v4, vcc, s7, v4
	v_addc_co_u32_e32 v5, vcc, v2, v5, vcc
	global_store_dword v[4:5], v3, off
.LBB718_28:
	s_or_b64 exec, exec, s[8:9]
	;;#ASMSTART
	v_rcp_f32 v2, v3
	;;#ASMEND
	s_and_saveexec_b64 s[14:15], s[0:1]
	s_cbranch_execz .LBB718_30
; %bb.29:
	v_mov_b32_e32 v3, v2
	;;#ASMSTART
	v_pk_mul_f32 v[4:5], v[62:63], v[2:3]
	;;#ASMEND
	v_mov_b32_e32 v10, 0xc3e00000
	v_mov_b32_e32 v11, 0x43e00000
	;;#ASMSTART
	v_med3_f32 v4, v4, v10, v11
v_med3_f32 v5, v5, v10, v11
v_cvt_pk_fp8_f32 v6, v4, v5
	;;#ASMEND
	;;#ASMSTART
	v_pk_mul_f32 v[4:5], v[24:25], v[2:3]
	;;#ASMEND
	;;#ASMSTART
	v_med3_f32 v4, v4, v10, v11
v_med3_f32 v5, v5, v10, v11
v_cvt_pk_fp8_f32 v7, v4, v5
	;;#ASMEND
	;;#ASMSTART
	v_pk_mul_f32 v[4:5], v[50:51], v[2:3]
	;;#ASMEND
	;; [unrolled: 8-line block ×3, first 2 shown]
	;;#ASMSTART
	v_med3_f32 v4, v4, v10, v11
v_med3_f32 v5, v5, v10, v11
v_cvt_pk_fp8_f32 v9, v4, v5
	;;#ASMEND
	s_mov_b32 s0, 0x5040100
	v_perm_b32 v4, v7, v6, s0
	s_mov_b32 s0, 0x1060504
	v_perm_b32 v4, v4, v7, s0
	s_load_dwordx2 s[0:1], s[4:5], 0x0
	s_mov_b32 s7, 0x1000504
	;;#ASMSTART
	v_pk_mul_f32 v[6:7], v[42:43], v[2:3]
	;;#ASMEND
	v_perm_b32 v5, v8, v9, s7
	s_mul_i32 s8, s12, s6
	;;#ASMSTART
	v_med3_f32 v6, v6, v10, v11
v_med3_f32 v7, v7, v10, v11
v_cvt_pk_fp8_f32 v8, v6, v7
	;;#ASMEND
	s_mul_hi_i32 s9, s12, s6
	s_waitcnt lgkmcnt(0)
	s_add_u32 s8, s0, s8
	;;#ASMSTART
	v_pk_mul_f32 v[6:7], v[18:19], v[2:3]
	;;#ASMEND
	s_addc_u32 s0, s1, s9
	s_add_i32 s1, s23, 3
	;;#ASMSTART
	v_med3_f32 v6, v6, v10, v11
v_med3_f32 v7, v7, v10, v11
v_cvt_pk_fp8_f32 v9, v6, v7
	;;#ASMEND
	s_ashr_i32 s9, s1, 31
	v_perm_b32 v6, v8, v9, s7
	;;#ASMSTART
	v_pk_mul_f32 v[8:9], v[14:15], v[2:3]
	;;#ASMEND
	v_mov_b32_e32 v7, v8
	s_lshr_b32 s9, s9, 30
	;;#ASMSTART
	v_med3_f32 v7, v7, v10, v11
v_med3_f32 v9, v9, v10, v11
v_cvt_pk_fp8_f32 v8, v7, v9
	;;#ASMEND
	;;#ASMSTART
	v_pk_mul_f32 v[2:3], v[94:95], v[2:3]
	;;#ASMEND
	s_add_i32 s1, s1, s9
	;;#ASMSTART
	v_med3_f32 v2, v2, v10, v11
v_med3_f32 v3, v3, v10, v11
v_cvt_pk_fp8_f32 v7, v2, v3
	;;#ASMEND
	s_and_b32 s10, s1, -4
	s_and_b32 s9, s0, 0xffff
	s_mov_b32 s11, 0x20000
	v_perm_b32 v7, v8, v7, s7
	buffer_store_dwordx4 v[4:7], v1, s[8:11], 0 offen
	;;#ASMSTART
	s_nop 0
	;;#ASMEND
.LBB718_30:
	s_or_b64 exec, exec, s[14:15]
	s_cmp_lt_i32 s24, 1
	s_cbranch_scc1 .LBB718_17
.LBB718_31:
	s_load_dword s0, s[4:5], 0x94
	s_waitcnt lgkmcnt(0)
	s_cmp_lg_u32 s0, 1
	s_cbranch_scc1 .LBB718_17
; %bb.32:
	s_lshl_b32 s0, s24, 1
	s_add_i32 s0, s0, 2
	v_cmp_gt_u32_e32 vcc, s24, v1
	s_and_b32 s30, s0, -4
	v_mov_b32_e32 v18, 0
	v_lshlrev_b32_e32 v1, 5, v0
	v_mov_b32_e32 v14, 0
	v_mov_b32_e32 v15, 0
	;; [unrolled: 1-line block ×16, first 2 shown]
	s_barrier
	s_and_saveexec_b64 s[0:1], vcc
	s_cbranch_execz .LBB718_34
; %bb.33:
	s_mul_hi_i32 s5, s26, s6
	s_mul_i32 s4, s26, s6
	s_and_b32 s29, s29, 0xffff
	s_lshl_b64 s[4:5], s[4:5], 1
	s_add_u32 s8, s34, s4
	s_mov_b32 s31, 0x20000
	s_addc_u32 s4, s35, s5
	s_and_b32 s9, s4, 0xffff
	s_mov_b32 s10, s30
	s_mov_b32 s11, s31
	buffer_load_dwordx4 v[14:17], v1, s[8:11], 0 offen
	buffer_load_dwordx4 v[10:13], v1, s[8:11], 16 offen
	;; [unrolled: 1-line block ×4, first 2 shown]
.LBB718_34:
	s_or_b64 exec, exec, s[0:1]
	v_mov_b32_e32 v19, 0
	v_mov_b32_e32 v32, 0
	;; [unrolled: 1-line block ×15, first 2 shown]
	s_and_saveexec_b64 s[0:1], vcc
	s_cbranch_execz .LBB718_36
; %bb.35:
	s_waitcnt vmcnt(3)
	v_cvt_f32_u32_sdwa v18, v14 dst_sel:DWORD dst_unused:UNUSED_PAD src0_sel:WORD_0
	v_cvt_f32_u32_sdwa v19, v14 dst_sel:DWORD dst_unused:UNUSED_PAD src0_sel:WORD_1
	v_cvt_f32_u32_sdwa v32, v15 dst_sel:DWORD dst_unused:UNUSED_PAD src0_sel:WORD_0
	v_cvt_f32_u32_sdwa v33, v15 dst_sel:DWORD dst_unused:UNUSED_PAD src0_sel:WORD_1
	;; [unrolled: 2-line block ×4, first 2 shown]
	s_waitcnt vmcnt(2)
	v_cvt_f32_u32_sdwa v26, v10 dst_sel:DWORD dst_unused:UNUSED_PAD src0_sel:WORD_0
	v_cvt_f32_u32_sdwa v27, v10 dst_sel:DWORD dst_unused:UNUSED_PAD src0_sel:WORD_1
	v_cvt_f32_u32_sdwa v24, v11 dst_sel:DWORD dst_unused:UNUSED_PAD src0_sel:WORD_0
	v_cvt_f32_u32_sdwa v25, v11 dst_sel:DWORD dst_unused:UNUSED_PAD src0_sel:WORD_1
	;; [unrolled: 2-line block ×4, first 2 shown]
.LBB718_36:
	s_or_b64 exec, exec, s[0:1]
	s_waitcnt vmcnt(2)
	v_mul_f32_e32 v10, v19, v19
	v_fmac_f32_e32 v10, v18, v18
	v_fmac_f32_e32 v10, v32, v32
	v_fmac_f32_e32 v10, v33, v33
	v_fmac_f32_e32 v10, v30, v30
	v_fmac_f32_e32 v10, v31, v31
	v_fmac_f32_e32 v10, v28, v28
	v_fmac_f32_e32 v10, v29, v29
	v_fmac_f32_e32 v10, v26, v26
	v_fmac_f32_e32 v10, v27, v27
	v_fmac_f32_e32 v10, v24, v24
	v_fmac_f32_e32 v10, v25, v25
	v_fmac_f32_e32 v10, v22, v22
	v_fmac_f32_e32 v10, v23, v23
	v_fmac_f32_e32 v10, v20, v20
	v_fmac_f32_e32 v10, v21, v21
	s_nop 1
	v_mov_b32_dpp v11, v10 quad_perm:[1,0,3,2] row_mask:0xf bank_mask:0xf
	v_add_f32_e32 v10, v10, v11
	s_nop 1
	v_mov_b32_dpp v11, v10 quad_perm:[2,3,0,1] row_mask:0xf bank_mask:0xf
	v_add_f32_e32 v10, v10, v11
	s_nop 1
	v_mov_b32_dpp v11, v10 row_half_mirror row_mask:0xf bank_mask:0xf
	v_add_f32_e32 v10, v10, v11
	s_nop 1
	v_mov_b32_dpp v11, v10 row_mirror row_mask:0xf bank_mask:0xf
	v_add_f32_e32 v10, v10, v11
	s_nop 1
	v_mov_b32_dpp v11, v10 row_bcast:15 row_mask:0xf bank_mask:0xf
	v_add_f32_e32 v10, v10, v11
	s_nop 1
	v_mov_b32_dpp v11, v10 row_bcast:31 row_mask:0xf bank_mask:0xf
	s_and_saveexec_b64 s[0:1], s[2:3]
	s_cbranch_execz .LBB718_38
; %bb.37:
	v_lshrrev_b32_e32 v0, 4, v0
	v_add_f32_e32 v10, v10, v11
	v_and_b32_e32 v0, 60, v0
	ds_write_b32 v0, v10
.LBB718_38:
	s_or_b64 exec, exec, s[0:1]
	s_waitcnt lgkmcnt(0)
	s_barrier
	ds_read_b32 v0, v34
	s_waitcnt lgkmcnt(0)
	s_nop 0
	v_mov_b32_dpp v10, v0 quad_perm:[1,0,3,2] row_mask:0xf bank_mask:0xf
	s_and_saveexec_b64 s[0:1], vcc
	s_cbranch_execz .LBB718_17
; %bb.39:
	v_cvt_f32_u32_e32 v11, s24
	v_add_f32_e32 v0, v0, v10
	s_mov_b32 s31, 0x20000
	v_div_scale_f32 v10, s[0:1], v11, v11, v0
	v_rcp_f32_e32 v12, v10
	v_div_scale_f32 v13, vcc, v0, v11, v0
	s_mov_b32 s0, 0x800000
	v_fma_f32 v14, -v10, v12, 1.0
	v_fmac_f32_e32 v12, v14, v12
	v_mul_f32_e32 v14, v13, v12
	v_fma_f32 v15, -v10, v14, v13
	v_fmac_f32_e32 v14, v15, v12
	v_fma_f32 v10, -v10, v14, v13
	v_div_fmas_f32 v10, v10, v12, v14
	v_div_fixup_f32 v0, v10, v11, v0
	v_add_f32_e32 v0, s21, v0
	v_mul_f32_e32 v10, 0x4b800000, v0
	v_cmp_gt_f32_e32 vcc, s0, v0
	v_cndmask_b32_e32 v0, v0, v10, vcc
	v_rsq_f32_e32 v0, v0
	s_mul_hi_i32 s1, s16, s6
	s_mul_i32 s0, s16, s6
	s_lshl_b64 s[0:1], s[0:1], 1
	v_mul_f32_e32 v10, 0x45800000, v0
	v_cndmask_b32_e32 v10, v0, v10, vcc
	v_mov_b32_e32 v11, v10
	s_add_u32 s28, s18, s0
	;;#ASMSTART
	v_pk_mul_f32 v[12:13], v[18:19], v[10:11]
	;;#ASMEND
	;;#ASMSTART
	v_pk_mul_f32 v[14:15], v[32:33], v[10:11]
	;;#ASMEND
	;; [unrolled: 3-line block ×8, first 2 shown]
	s_waitcnt vmcnt(1)
	v_cvt_f32_u32_sdwa v21, v6 dst_sel:DWORD dst_unused:UNUSED_PAD src0_sel:WORD_1
	v_cvt_f32_u32_sdwa v20, v6 dst_sel:DWORD dst_unused:UNUSED_PAD src0_sel:WORD_0
	v_cvt_f32_u32_sdwa v29, v7 dst_sel:DWORD dst_unused:UNUSED_PAD src0_sel:WORD_1
	v_cvt_f32_u32_sdwa v28, v7 dst_sel:DWORD dst_unused:UNUSED_PAD src0_sel:WORD_0
	;; [unrolled: 2-line block ×3, first 2 shown]
	s_addc_u32 s0, s19, s1
	v_cvt_f32_u32_sdwa v31, v9 dst_sel:DWORD dst_unused:UNUSED_PAD src0_sel:WORD_1
	v_cvt_f32_u32_sdwa v30, v9 dst_sel:DWORD dst_unused:UNUSED_PAD src0_sel:WORD_0
	;;#ASMSTART
	v_pk_mul_f32 v[8:9], v[12:13], v[20:21]
	;;#ASMEND
	;;#ASMSTART
	v_pk_mul_f32 v[12:13], v[14:15], v[28:29]
	;;#ASMEND
	;; [unrolled: 3-line block ×4, first 2 shown]
	s_waitcnt vmcnt(0)
	v_cvt_f32_u32_sdwa v17, v2 dst_sel:DWORD dst_unused:UNUSED_PAD src0_sel:WORD_1
	v_cvt_f32_u32_sdwa v16, v2 dst_sel:DWORD dst_unused:UNUSED_PAD src0_sel:WORD_0
	v_cvt_f32_u32_sdwa v19, v3 dst_sel:DWORD dst_unused:UNUSED_PAD src0_sel:WORD_1
	v_cvt_f32_u32_sdwa v18, v3 dst_sel:DWORD dst_unused:UNUSED_PAD src0_sel:WORD_0
	;; [unrolled: 2-line block ×3, first 2 shown]
	s_and_b32 s29, s0, 0xffff
	s_mov_b32 s0, 0x7060302
	v_cvt_f32_u32_sdwa v21, v5 dst_sel:DWORD dst_unused:UNUSED_PAD src0_sel:WORD_1
	v_cvt_f32_u32_sdwa v20, v5 dst_sel:DWORD dst_unused:UNUSED_PAD src0_sel:WORD_0
	;;#ASMSTART
	v_pk_mul_f32 v[16:17], v[26:27], v[16:17]
	;;#ASMEND
	;;#ASMSTART
	v_pk_mul_f32 v[18:19], v[24:25], v[18:19]
	;;#ASMEND
	;;#ASMSTART
	v_pk_mul_f32 v[22:23], v[22:23], v[2:3]
	;;#ASMEND
	v_perm_b32 v2, v9, v8, s0
	v_perm_b32 v3, v13, v12, s0
	;; [unrolled: 1-line block ×4, first 2 shown]
	;;#ASMSTART
	v_pk_mul_f32 v[10:11], v[10:11], v[20:21]
	;;#ASMEND
	buffer_store_dwordx4 v[2:5], v1, s[28:31], 0 offen
	;;#ASMSTART
	s_nop 0
	;;#ASMEND
	s_nop 0
	v_perm_b32 v2, v17, v16, s0
	v_perm_b32 v3, v19, v18, s0
	;; [unrolled: 1-line block ×4, first 2 shown]
	buffer_store_dwordx4 v[2:5], v1, s[28:31], 16 offen
	;;#ASMSTART
	s_nop 0
	;;#ASMEND
	s_endpgm
	.section	.rodata,"a",@progbits
	.p2align	6, 0x0
	.amdhsa_kernel _ZN5aiter35fused_qk_rmsnorm_group_quant_kernelItDB8_Li128ELi16ELi2ELb1ELb1ELb0ELb0ELb0ELb0EEEvPT0_PvPT_S6_S6_PKS5_S8_S8_S8_S8_ffiiiiiiiiiiiii
		.amdhsa_group_segment_fixed_size 16
		.amdhsa_private_segment_fixed_size 0
		.amdhsa_kernarg_size 400
		.amdhsa_user_sgpr_count 6
		.amdhsa_user_sgpr_private_segment_buffer 1
		.amdhsa_user_sgpr_dispatch_ptr 0
		.amdhsa_user_sgpr_queue_ptr 0
		.amdhsa_user_sgpr_kernarg_segment_ptr 1
		.amdhsa_user_sgpr_dispatch_id 0
		.amdhsa_user_sgpr_flat_scratch_init 0
		.amdhsa_user_sgpr_kernarg_preload_length 0
		.amdhsa_user_sgpr_kernarg_preload_offset 0
		.amdhsa_user_sgpr_private_segment_size 0
		.amdhsa_uses_dynamic_stack 0
		.amdhsa_system_sgpr_private_segment_wavefront_offset 0
		.amdhsa_system_sgpr_workgroup_id_x 1
		.amdhsa_system_sgpr_workgroup_id_y 1
		.amdhsa_system_sgpr_workgroup_id_z 0
		.amdhsa_system_sgpr_workgroup_info 0
		.amdhsa_system_vgpr_workitem_id 0
		.amdhsa_next_free_vgpr 96
		.amdhsa_next_free_sgpr 44
		.amdhsa_accum_offset 96
		.amdhsa_reserve_vcc 1
		.amdhsa_reserve_flat_scratch 0
		.amdhsa_float_round_mode_32 0
		.amdhsa_float_round_mode_16_64 0
		.amdhsa_float_denorm_mode_32 3
		.amdhsa_float_denorm_mode_16_64 3
		.amdhsa_dx10_clamp 1
		.amdhsa_ieee_mode 1
		.amdhsa_fp16_overflow 0
		.amdhsa_tg_split 0
		.amdhsa_exception_fp_ieee_invalid_op 0
		.amdhsa_exception_fp_denorm_src 0
		.amdhsa_exception_fp_ieee_div_zero 0
		.amdhsa_exception_fp_ieee_overflow 0
		.amdhsa_exception_fp_ieee_underflow 0
		.amdhsa_exception_fp_ieee_inexact 0
		.amdhsa_exception_int_div_zero 0
	.end_amdhsa_kernel
	.section	.text._ZN5aiter35fused_qk_rmsnorm_group_quant_kernelItDB8_Li128ELi16ELi2ELb1ELb1ELb0ELb0ELb0ELb0EEEvPT0_PvPT_S6_S6_PKS5_S8_S8_S8_S8_ffiiiiiiiiiiiii,"axG",@progbits,_ZN5aiter35fused_qk_rmsnorm_group_quant_kernelItDB8_Li128ELi16ELi2ELb1ELb1ELb0ELb0ELb0ELb0EEEvPT0_PvPT_S6_S6_PKS5_S8_S8_S8_S8_ffiiiiiiiiiiiii,comdat
.Lfunc_end718:
	.size	_ZN5aiter35fused_qk_rmsnorm_group_quant_kernelItDB8_Li128ELi16ELi2ELb1ELb1ELb0ELb0ELb0ELb0EEEvPT0_PvPT_S6_S6_PKS5_S8_S8_S8_S8_ffiiiiiiiiiiiii, .Lfunc_end718-_ZN5aiter35fused_qk_rmsnorm_group_quant_kernelItDB8_Li128ELi16ELi2ELb1ELb1ELb0ELb0ELb0ELb0EEEvPT0_PvPT_S6_S6_PKS5_S8_S8_S8_S8_ffiiiiiiiiiiiii
                                        ; -- End function
	.section	.AMDGPU.csdata,"",@progbits
; Kernel info:
; codeLenInByte = 4200
; NumSgprs: 48
; NumVgprs: 96
; NumAgprs: 0
; TotalNumVgprs: 96
; ScratchSize: 0
; MemoryBound: 0
; FloatMode: 240
; IeeeMode: 1
; LDSByteSize: 16 bytes/workgroup (compile time only)
; SGPRBlocks: 5
; VGPRBlocks: 11
; NumSGPRsForWavesPerEU: 48
; NumVGPRsForWavesPerEU: 96
; AccumOffset: 96
; Occupancy: 5
; WaveLimiterHint : 0
; COMPUTE_PGM_RSRC2:SCRATCH_EN: 0
; COMPUTE_PGM_RSRC2:USER_SGPR: 6
; COMPUTE_PGM_RSRC2:TRAP_HANDLER: 0
; COMPUTE_PGM_RSRC2:TGID_X_EN: 1
; COMPUTE_PGM_RSRC2:TGID_Y_EN: 1
; COMPUTE_PGM_RSRC2:TGID_Z_EN: 0
; COMPUTE_PGM_RSRC2:TIDIG_COMP_CNT: 0
; COMPUTE_PGM_RSRC3_GFX90A:ACCUM_OFFSET: 23
; COMPUTE_PGM_RSRC3_GFX90A:TG_SPLIT: 0
	.section	.text._ZN5aiter35fused_qk_rmsnorm_group_quant_kernelIDF16_N4opus5fp4_tELi128ELi16ELi2ELb1ELb1ELb0ELb0ELb0ELb0EEEvPT0_PvPT_S7_S7_PKS6_S9_S9_S9_S9_ffiiiiiiiiiiiii,"axG",@progbits,_ZN5aiter35fused_qk_rmsnorm_group_quant_kernelIDF16_N4opus5fp4_tELi128ELi16ELi2ELb1ELb1ELb0ELb0ELb0ELb0EEEvPT0_PvPT_S7_S7_PKS6_S9_S9_S9_S9_ffiiiiiiiiiiiii,comdat
	.protected	_ZN5aiter35fused_qk_rmsnorm_group_quant_kernelIDF16_N4opus5fp4_tELi128ELi16ELi2ELb1ELb1ELb0ELb0ELb0ELb0EEEvPT0_PvPT_S7_S7_PKS6_S9_S9_S9_S9_ffiiiiiiiiiiiii ; -- Begin function _ZN5aiter35fused_qk_rmsnorm_group_quant_kernelIDF16_N4opus5fp4_tELi128ELi16ELi2ELb1ELb1ELb0ELb0ELb0ELb0EEEvPT0_PvPT_S7_S7_PKS6_S9_S9_S9_S9_ffiiiiiiiiiiiii
	.globl	_ZN5aiter35fused_qk_rmsnorm_group_quant_kernelIDF16_N4opus5fp4_tELi128ELi16ELi2ELb1ELb1ELb0ELb0ELb0ELb0EEEvPT0_PvPT_S7_S7_PKS6_S9_S9_S9_S9_ffiiiiiiiiiiiii
	.p2align	8
	.type	_ZN5aiter35fused_qk_rmsnorm_group_quant_kernelIDF16_N4opus5fp4_tELi128ELi16ELi2ELb1ELb1ELb0ELb0ELb0ELb0EEEvPT0_PvPT_S7_S7_PKS6_S9_S9_S9_S9_ffiiiiiiiiiiiii,@function
_ZN5aiter35fused_qk_rmsnorm_group_quant_kernelIDF16_N4opus5fp4_tELi128ELi16ELi2ELb1ELb1ELb0ELb0ELb0ELb0EEEvPT0_PvPT_S7_S7_PKS6_S9_S9_S9_S9_ffiiiiiiiiiiiii: ; @_ZN5aiter35fused_qk_rmsnorm_group_quant_kernelIDF16_N4opus5fp4_tELi128ELi16ELi2ELb1ELb1ELb0ELb0ELb0ELb0EEEvPT0_PvPT_S7_S7_PKS6_S9_S9_S9_S9_ffiiiiiiiiiiiii
; %bb.0:
	s_load_dwordx8 s[20:27], s[4:5], 0x50
	s_waitcnt lgkmcnt(0)
	s_cmp_ge_i32 s6, s22
	s_cbranch_scc1 .LBB719_17
; %bb.1:
	s_cmp_lg_u32 s7, 0
	s_cselect_b64 s[30:31], -1, 0
	s_cmp_eq_u32 s7, 0
	s_cselect_b64 s[8:9], -1, 0
	s_and_b64 s[0:1], s[8:9], exec
	s_load_dwordx2 s[28:29], s[4:5], 0x48
	s_load_dwordx2 s[10:11], s[4:5], 0x30
	s_load_dwordx8 s[12:19], s[4:5], 0x70
	s_cselect_b32 s7, s23, s24
	s_add_i32 s0, s7, 1
	s_lshr_b32 s1, s0, 31
	s_add_i32 s0, s0, s1
	s_lshl_b32 s0, s0, 1
	v_lshlrev_b32_e32 v1, 4, v0
	s_and_b32 s38, s0, -4
	v_cmp_gt_i32_e64 s[0:1], s7, v1
	v_mov_b32_e32 v6, 0
	v_mov_b32_e32 v7, 0
	;; [unrolled: 1-line block ×16, first 2 shown]
	s_and_saveexec_b64 s[2:3], s[0:1]
	s_cbranch_execz .LBB719_3
; %bb.2:
	s_waitcnt lgkmcnt(0)
	s_load_dwordx2 s[18:19], s[4:5], 0x28
	s_load_dwordx2 s[34:35], s[4:5], 0x40
	s_and_b64 s[36:37], s[8:9], exec
	s_cselect_b32 s22, s25, s26
	s_mov_b32 s39, 0x20000
	s_waitcnt lgkmcnt(0)
	s_cselect_b32 s25, s19, s11
	s_cselect_b32 s33, s18, s10
	s_mul_hi_i32 s19, s22, s6
	s_mul_i32 s18, s22, s6
	s_lshl_b64 s[18:19], s[18:19], 1
	s_add_u32 s40, s33, s18
	s_addc_u32 s22, s25, s19
	s_and_b64 s[18:19], s[8:9], exec
	s_cselect_b32 s36, s34, s28
	s_cselect_b32 s18, s35, s29
	s_and_b32 s41, s22, 0xffff
	s_mov_b32 s42, s38
	s_mov_b32 s43, s39
	v_lshlrev_b32_e32 v18, 5, v0
	s_and_b32 s37, s18, 0xffff
	buffer_load_dwordx4 v[10:13], v18, s[40:43], 0 offen
	buffer_load_dwordx4 v[14:17], v18, s[40:43], 16 offen
	;; [unrolled: 1-line block ×4, first 2 shown]
.LBB719_3:
	s_or_b64 exec, exec, s[2:3]
	s_and_b64 vcc, exec, s[30:31]
	s_cbranch_vccz .LBB719_7
; %bb.4:
	v_mov_b32_e32 v19, 0
	v_mov_b32_e32 v18, 0
	;; [unrolled: 1-line block ×16, first 2 shown]
	s_and_saveexec_b64 s[2:3], s[0:1]
	s_cbranch_execz .LBB719_6
; %bb.5:
	s_waitcnt vmcnt(3)
	v_cvt_f32_f16_sdwa v33, v10 dst_sel:DWORD dst_unused:UNUSED_PAD src0_sel:WORD_1
	v_cvt_f32_f16_e32 v32, v10
	v_cvt_f32_f16_sdwa v31, v11 dst_sel:DWORD dst_unused:UNUSED_PAD src0_sel:WORD_1
	v_cvt_f32_f16_e32 v30, v11
	;; [unrolled: 2-line block ×4, first 2 shown]
	s_waitcnt vmcnt(2)
	v_cvt_f32_f16_sdwa v27, v14 dst_sel:DWORD dst_unused:UNUSED_PAD src0_sel:WORD_1
	v_cvt_f32_f16_e32 v26, v14
	v_cvt_f32_f16_sdwa v23, v15 dst_sel:DWORD dst_unused:UNUSED_PAD src0_sel:WORD_1
	v_cvt_f32_f16_e32 v22, v15
	;; [unrolled: 2-line block ×4, first 2 shown]
.LBB719_6:
	s_or_b64 exec, exec, s[2:3]
	s_cbranch_execz .LBB719_8
	s_branch .LBB719_11
.LBB719_7:
                                        ; implicit-def: $vgpr19
                                        ; implicit-def: $vgpr21
                                        ; implicit-def: $vgpr23
                                        ; implicit-def: $vgpr27
                                        ; implicit-def: $vgpr25
                                        ; implicit-def: $vgpr29
                                        ; implicit-def: $vgpr31
                                        ; implicit-def: $vgpr33
.LBB719_8:
	v_mov_b32_e32 v19, 0
	v_mov_b32_e32 v18, 0
	;; [unrolled: 1-line block ×16, first 2 shown]
	s_and_saveexec_b64 s[2:3], s[0:1]
	s_cbranch_execz .LBB719_10
; %bb.9:
	s_waitcnt lgkmcnt(0)
	s_load_dwordx2 s[18:19], s[4:5], 0x38
	s_mul_hi_i32 s35, s27, s6
	s_mul_i32 s34, s27, s6
	s_lshl_b64 s[34:35], s[34:35], 1
	s_mov_b32 s39, 0x20000
	s_waitcnt lgkmcnt(0)
	s_add_u32 s36, s18, s34
	s_addc_u32 s18, s19, s35
	s_and_b32 s37, s18, 0xffff
	v_lshlrev_b32_e32 v46, 5, v0
	buffer_load_dwordx4 v[18:21], v46, s[36:39], 16 offen
	buffer_load_dwordx4 v[22:25], v46, s[36:39], 0 offen
	s_waitcnt vmcnt(4)
	v_cvt_f32_f16_sdwa v27, v14 dst_sel:DWORD dst_unused:UNUSED_PAD src0_sel:WORD_1
	v_cvt_f32_f16_e32 v26, v14
	v_cvt_f32_f16_sdwa v29, v15 dst_sel:DWORD dst_unused:UNUSED_PAD src0_sel:WORD_1
	v_cvt_f32_f16_e32 v28, v15
	;; [unrolled: 2-line block ×8, first 2 shown]
	s_load_dwordx2 s[18:19], s[4:5], 0x20
	s_mul_hi_i32 s35, s17, s6
	s_mul_i32 s34, s17, s6
	s_lshl_b64 s[34:35], s[34:35], 1
	s_waitcnt lgkmcnt(0)
	s_add_u32 s36, s18, s34
	s_addc_u32 s17, s19, s35
	s_and_b32 s37, s17, 0xffff
	s_waitcnt vmcnt(1)
	v_cvt_f32_f16_e32 v12, v18
	v_cvt_f32_f16_sdwa v13, v18 dst_sel:DWORD dst_unused:UNUSED_PAD src0_sel:WORD_1
	v_cvt_f32_f16_e32 v18, v19
	v_cvt_f32_f16_sdwa v19, v19 dst_sel:DWORD dst_unused:UNUSED_PAD src0_sel:WORD_1
	;; [unrolled: 2-line block ×4, first 2 shown]
	s_waitcnt vmcnt(0)
	v_cvt_f32_f16_e32 v40, v22
	v_cvt_f32_f16_sdwa v41, v22 dst_sel:DWORD dst_unused:UNUSED_PAD src0_sel:WORD_1
	v_cvt_f32_f16_e32 v42, v23
	v_cvt_f32_f16_sdwa v43, v23 dst_sel:DWORD dst_unused:UNUSED_PAD src0_sel:WORD_1
	;; [unrolled: 2-line block ×4, first 2 shown]
	v_pk_add_f32 v[26:27], v[26:27], v[12:13]
	v_pk_add_f32 v[22:23], v[28:29], v[18:19]
	;; [unrolled: 1-line block ×8, first 2 shown]
	v_cvt_f16_f32_e32 v10, v33
	v_cvt_f16_f32_e32 v14, v32
	;; [unrolled: 1-line block ×16, first 2 shown]
	v_pack_b32_f16 v13, v17, v13
	v_pack_b32_f16 v12, v16, v12
	;; [unrolled: 1-line block ×8, first 2 shown]
	buffer_store_dwordx4 v[10:13], v46, s[36:39], 0 offen
	;;#ASMSTART
	s_nop 0
	;;#ASMEND
	buffer_store_dwordx4 v[14:17], v46, s[36:39], 16 offen
	;;#ASMSTART
	s_nop 0
	;;#ASMEND
.LBB719_10:
	s_or_b64 exec, exec, s[2:3]
.LBB719_11:
	s_waitcnt vmcnt(3)
	v_mul_f32_e32 v10, v33, v33
	v_fmac_f32_e32 v10, v32, v32
	v_fmac_f32_e32 v10, v30, v30
	;; [unrolled: 1-line block ×15, first 2 shown]
	v_and_b32_e32 v12, 63, v0
	v_cmp_eq_u32_e64 s[2:3], 63, v12
	v_mov_b32_dpp v11, v10 quad_perm:[1,0,3,2] row_mask:0xf bank_mask:0xf
	v_add_f32_e32 v10, v10, v11
	s_nop 1
	v_mov_b32_dpp v11, v10 quad_perm:[2,3,0,1] row_mask:0xf bank_mask:0xf
	v_add_f32_e32 v10, v10, v11
	s_nop 1
	v_mov_b32_dpp v11, v10 row_half_mirror row_mask:0xf bank_mask:0xf
	v_add_f32_e32 v10, v10, v11
	s_nop 1
	v_mov_b32_dpp v11, v10 row_mirror row_mask:0xf bank_mask:0xf
	v_add_f32_e32 v10, v10, v11
	s_nop 1
	v_mov_b32_dpp v11, v10 row_bcast:15 row_mask:0xf bank_mask:0xf
	v_add_f32_e32 v10, v10, v11
	s_nop 1
	v_mov_b32_dpp v11, v10 row_bcast:31 row_mask:0xf bank_mask:0xf
	s_waitcnt lgkmcnt(0)
	s_and_saveexec_b64 s[18:19], s[2:3]
	s_cbranch_execz .LBB719_13
; %bb.12:
	v_add_f32_e32 v10, v10, v11
	v_lshrrev_b32_e32 v11, 4, v0
	v_and_b32_e32 v11, 60, v11
	ds_write_b32 v11, v10 offset:8
.LBB719_13:
	s_or_b64 exec, exec, s[18:19]
	v_and_b32_e32 v10, 1, v0
	v_lshlrev_b32_e32 v34, 2, v10
	s_waitcnt lgkmcnt(0)
	s_barrier
	ds_read_b32 v11, v34 offset:8
	s_load_dwordx2 s[18:19], s[4:5], 0x18
	s_waitcnt lgkmcnt(0)
	v_mov_b32_dpp v12, v11 quad_perm:[1,0,3,2] row_mask:0xf bank_mask:0xf
	s_and_saveexec_b64 s[34:35], s[0:1]
	s_cbranch_execnz .LBB719_18
; %bb.14:
	s_or_b64 exec, exec, s[34:35]
	s_mov_b64 s[8:9], -1
	s_and_b64 vcc, exec, s[30:31]
	s_cbranch_vccnz .LBB719_19
.LBB719_15:
	s_andn2_b64 vcc, exec, s[8:9]
	s_cbranch_vccz .LBB719_22
.LBB719_16:
	s_cmp_lt_i32 s24, 1
	s_cbranch_scc0 .LBB719_31
.LBB719_17:
	s_endpgm
.LBB719_18:
	v_cvt_f32_u32_e32 v13, s7
	v_add_f32_e32 v11, v11, v12
	s_waitcnt vmcnt(2)
	v_mov_b32_e32 v15, s21
	v_mov_b32_e32 v16, s20
	v_div_scale_f32 v12, s[36:37], v13, v13, v11
	v_rcp_f32_e32 v14, v12
	v_cndmask_b32_e64 v15, v15, v16, s[8:9]
	s_mov_b32 s7, 0x800000
	s_waitcnt vmcnt(1)
	v_cvt_f32_f16_sdwa v37, v9 dst_sel:DWORD dst_unused:UNUSED_PAD src0_sel:WORD_1
	v_fma_f32 v16, -v12, v14, 1.0
	v_fmac_f32_e32 v14, v16, v14
	v_div_scale_f32 v16, vcc, v11, v13, v11
	v_mul_f32_e32 v17, v16, v14
	v_fma_f32 v35, -v12, v17, v16
	v_fmac_f32_e32 v17, v35, v14
	v_fma_f32 v12, -v12, v17, v16
	v_div_fmas_f32 v12, v12, v14, v17
	v_div_fixup_f32 v11, v12, v13, v11
	v_add_f32_e32 v11, v15, v11
	v_mul_f32_e32 v12, 0x4b800000, v11
	v_cmp_gt_f32_e32 vcc, s7, v11
	v_cndmask_b32_e32 v11, v11, v12, vcc
	v_rsq_f32_e32 v11, v11
	v_cvt_f32_f16_e32 v36, v9
	s_waitcnt vmcnt(0)
	v_cvt_f32_f16_sdwa v9, v3 dst_sel:DWORD dst_unused:UNUSED_PAD src0_sel:WORD_1
	v_mul_f32_e32 v12, 0x45800000, v11
	v_cndmask_b32_e32 v12, v11, v12, vcc
	v_mov_b32_e32 v13, v12
	;;#ASMSTART
	v_pk_mul_f32 v[14:15], v[32:33], v[12:13]
	;;#ASMEND
	;;#ASMSTART
	v_pk_mul_f32 v[16:17], v[30:31], v[12:13]
	;;#ASMEND
	;; [unrolled: 3-line block ×8, first 2 shown]
	v_cvt_f32_f16_sdwa v19, v6 dst_sel:DWORD dst_unused:UNUSED_PAD src0_sel:WORD_1
	v_cvt_f32_f16_e32 v18, v6
	v_cvt_f32_f16_sdwa v31, v7 dst_sel:DWORD dst_unused:UNUSED_PAD src0_sel:WORD_1
	v_cvt_f32_f16_e32 v30, v7
	;; [unrolled: 2-line block ×3, first 2 shown]
	;;#ASMSTART
	v_pk_mul_f32 v[32:33], v[14:15], v[18:19]
	;;#ASMEND
	;;#ASMSTART
	v_pk_mul_f32 v[30:31], v[16:17], v[30:31]
	;;#ASMEND
	;;#ASMSTART
	v_pk_mul_f32 v[28:29], v[28:29], v[6:7]
	;;#ASMEND
	;;#ASMSTART
	v_pk_mul_f32 v[24:25], v[24:25], v[36:37]
	;;#ASMEND
	v_cvt_f32_f16_sdwa v7, v2 dst_sel:DWORD dst_unused:UNUSED_PAD src0_sel:WORD_1
	v_cvt_f32_f16_e32 v6, v2
	v_cvt_f32_f16_e32 v8, v3
	v_cvt_f32_f16_sdwa v3, v4 dst_sel:DWORD dst_unused:UNUSED_PAD src0_sel:WORD_1
	v_cvt_f32_f16_e32 v2, v4
	v_cvt_f32_f16_sdwa v15, v5 dst_sel:DWORD dst_unused:UNUSED_PAD src0_sel:WORD_1
	v_cvt_f32_f16_e32 v14, v5
	;;#ASMSTART
	v_pk_mul_f32 v[26:27], v[26:27], v[6:7]
	;;#ASMEND
	;;#ASMSTART
	v_pk_mul_f32 v[22:23], v[22:23], v[8:9]
	;;#ASMEND
	;; [unrolled: 3-line block ×4, first 2 shown]
	s_or_b64 exec, exec, s[34:35]
	s_mov_b64 s[8:9], -1
	s_and_b64 vcc, exec, s[30:31]
	s_cbranch_vccz .LBB719_15
.LBB719_19:
	s_and_saveexec_b64 s[8:9], s[0:1]
	s_cbranch_execz .LBB719_21
; %bb.20:
	s_mul_hi_i32 s31, s16, s6
	s_mul_i32 s30, s16, s6
	s_waitcnt vmcnt(0)
	v_cvt_f16_f32_e32 v2, v32
	v_cvt_f16_f32_e32 v3, v30
	;; [unrolled: 1-line block ×8, first 2 shown]
	s_lshl_b64 s[30:31], s[30:31], 1
	s_add_u32 s36, s18, s30
	s_addc_u32 s7, s19, s31
	s_and_b32 s37, s7, 0xffff
	s_mov_b32 s39, 0x20000
	v_pack_b32_f16 v5, v5, v6
	v_pack_b32_f16 v4, v4, v7
	;; [unrolled: 1-line block ×4, first 2 shown]
	v_lshlrev_b32_e32 v6, 5, v0
	buffer_store_dwordx4 v[2:5], v6, s[36:39], 0 offen
	v_cvt_f16_f32_e32 v7, v19
	v_cvt_f16_f32_e32 v2, v26
	;; [unrolled: 1-line block ×8, first 2 shown]
	v_pack_b32_f16 v5, v5, v7
	v_pack_b32_f16 v4, v4, v8
	;; [unrolled: 1-line block ×4, first 2 shown]
	;;#ASMSTART
	s_nop 0
	;;#ASMEND
	buffer_store_dwordx4 v[2:5], v6, s[36:39], 16 offen
	;;#ASMSTART
	s_nop 0
	;;#ASMEND
.LBB719_21:
	s_or_b64 exec, exec, s[8:9]
	s_cbranch_execnz .LBB719_16
.LBB719_22:
	s_waitcnt vmcnt(0)
	v_mov_b32_e32 v2, 0
	s_and_saveexec_b64 s[8:9], s[0:1]
	s_cbranch_execz .LBB719_24
; %bb.23:
	s_load_dwordx2 s[30:31], s[4:5], 0x10
	s_mul_hi_i32 s35, s15, s6
	s_mul_i32 s34, s15, s6
	v_cvt_f16_f32_e32 v2, v32
	v_cvt_f16_f32_e32 v3, v30
	;; [unrolled: 1-line block ×8, first 2 shown]
	s_lshl_b64 s[34:35], s[34:35], 1
	s_waitcnt lgkmcnt(0)
	s_add_u32 s36, s30, s34
	s_addc_u32 s7, s31, s35
	s_mov_b32 s39, 0x20000
	s_and_b32 s37, s7, 0xffff
	v_pack_b32_f16 v5, v5, v6
	v_pack_b32_f16 v4, v4, v7
	;; [unrolled: 1-line block ×4, first 2 shown]
	v_lshlrev_b32_e32 v6, 5, v0
	buffer_store_dwordx4 v[2:5], v6, s[36:39], 0 offen
	v_cvt_f16_f32_e32 v7, v19
	v_cvt_f16_f32_e32 v2, v26
	;; [unrolled: 1-line block ×8, first 2 shown]
	v_pack_b32_f16 v5, v5, v7
	v_pack_b32_f16 v4, v4, v8
	;; [unrolled: 1-line block ×4, first 2 shown]
	;;#ASMSTART
	s_nop 0
	;;#ASMEND
	buffer_store_dwordx4 v[2:5], v6, s[36:39], 16 offen
	;;#ASMSTART
	s_nop 0
	;;#ASMEND
	s_nop 0
	v_mov_b32_e32 v2, 0x2edbe6ff
.LBB719_24:
	s_or_b64 exec, exec, s[8:9]
	s_and_saveexec_b64 s[8:9], s[0:1]
	s_cbranch_execz .LBB719_26
; %bb.25:
	v_and_b32_e32 v3, 0x7fffffff, v32
	v_and_b32_e32 v4, 0x7fffffff, v33
	;;#ASMSTART
	v_max3_f32 v2, v2, v3, v4

	;;#ASMEND
	v_and_b32_e32 v3, 0x7fffffff, v30
	v_and_b32_e32 v4, 0x7fffffff, v31
	;;#ASMSTART
	v_max3_f32 v2, v2, v3, v4

	;;#ASMEND
	;; [unrolled: 6-line block ×8, first 2 shown]
.LBB719_26:
	s_or_b64 exec, exec, s[8:9]
	v_cmp_eq_u32_e32 vcc, 0, v10
	v_cmp_gt_i32_e64 s[8:9], s23, v1
	s_and_b64 s[30:31], vcc, s[8:9]
	;;#ASMSTART
	v_max_f32 v3, v2, v2 quad_perm:[1,0,3,2] row_mask:0xf bank_mask:0xf bound_ctrl:1
	;;#ASMEND
	s_and_saveexec_b64 s[8:9], s[30:31]
	s_cbranch_execz .LBB719_28
; %bb.27:
	s_load_dwordx2 s[30:31], s[4:5], 0x8
	v_mul_f32_e32 v2, 0x3e2aaaab, v3
	v_lshrrev_b32_e32 v3, 23, v2
	v_and_b32_e32 v4, 0x7f800000, v2
	v_and_b32_e32 v2, 0x7fffff, v2
	v_cmp_ne_u32_e32 vcc, 0, v2
	s_mul_hi_i32 s15, s13, s6
	s_mul_i32 s13, s13, s6
	s_mov_b32 s7, 0x7f800000
	v_addc_co_u32_e32 v2, vcc, 0, v3, vcc
	s_waitcnt lgkmcnt(0)
	s_add_u32 s30, s30, s13
	v_cmp_ne_u32_e32 vcc, s7, v4
	s_addc_u32 s31, s31, s15
	v_lshrrev_b32_e32 v5, 1, v0
	v_cndmask_b32_e32 v4, -1, v2, vcc
	v_pk_mov_b32 v[2:3], s[30:31], s[30:31] op_sel:[0,1]
	v_mad_i64_i32 v[2:3], s[14:15], s14, v5, v[2:3]
	global_store_byte v[2:3], v4, off
.LBB719_28:
	s_or_b64 exec, exec, s[8:9]
	s_and_saveexec_b64 s[8:9], s[0:1]
	s_cbranch_execz .LBB719_30
; %bb.29:
	s_load_dwordx2 s[0:1], s[4:5], 0x0
	s_mul_hi_i32 s7, s12, s6
	s_mul_i32 s12, s12, s6
	v_mov_b32_e32 v2, 0
	v_lshlrev_b32_e32 v4, 3, v0
	s_waitcnt lgkmcnt(0)
	s_add_u32 s12, s0, s12
	s_addc_u32 s0, s1, s7
	s_lshr_b32 s1, s23, 31
	s_add_i32 s1, s23, s1
	s_ashr_i32 s1, s1, 1
	s_add_i32 s1, s1, 3
	s_ashr_i32 s7, s1, 31
	s_lshr_b32 s7, s7, 30
	s_add_i32 s1, s1, s7
	s_and_b32 s14, s1, -4
	s_and_b32 s13, s0, 0xffff
	s_mov_b32 s15, 0x20000
	v_mov_b32_e32 v3, v2
	buffer_store_dwordx2 v[2:3], v4, s[12:15], 0 offen
	;;#ASMSTART
	s_nop 0
	;;#ASMEND
.LBB719_30:
	s_or_b64 exec, exec, s[8:9]
	s_cmp_lt_i32 s24, 1
	s_cbranch_scc1 .LBB719_17
.LBB719_31:
	s_load_dword s0, s[4:5], 0x94
	s_waitcnt lgkmcnt(0)
	s_cmp_lg_u32 s0, 1
	s_cbranch_scc1 .LBB719_17
; %bb.32:
	s_lshl_b32 s0, s24, 1
	s_add_i32 s0, s0, 2
	v_cmp_gt_u32_e32 vcc, s24, v1
	s_and_b32 s30, s0, -4
	v_mov_b32_e32 v18, 0
	v_lshlrev_b32_e32 v1, 5, v0
	s_waitcnt vmcnt(2)
	v_mov_b32_e32 v14, 0
	v_mov_b32_e32 v15, 0
	;; [unrolled: 1-line block ×8, first 2 shown]
	s_waitcnt vmcnt(1)
	v_mov_b32_e32 v6, 0
	v_mov_b32_e32 v7, 0
	;; [unrolled: 1-line block ×4, first 2 shown]
	s_waitcnt vmcnt(0)
	v_mov_b32_e32 v2, 0
	v_mov_b32_e32 v3, 0
	;; [unrolled: 1-line block ×4, first 2 shown]
	s_barrier
	s_and_saveexec_b64 s[0:1], vcc
	s_cbranch_execz .LBB719_34
; %bb.33:
	s_mul_hi_i32 s5, s26, s6
	s_mul_i32 s4, s26, s6
	s_and_b32 s29, s29, 0xffff
	s_lshl_b64 s[4:5], s[4:5], 1
	s_add_u32 s8, s10, s4
	s_mov_b32 s31, 0x20000
	s_addc_u32 s4, s11, s5
	s_and_b32 s9, s4, 0xffff
	s_mov_b32 s10, s30
	s_mov_b32 s11, s31
	buffer_load_dwordx4 v[14:17], v1, s[8:11], 0 offen
	buffer_load_dwordx4 v[10:13], v1, s[8:11], 16 offen
	;; [unrolled: 1-line block ×4, first 2 shown]
.LBB719_34:
	s_or_b64 exec, exec, s[0:1]
	v_mov_b32_e32 v19, 0
	v_mov_b32_e32 v32, 0
	;; [unrolled: 1-line block ×15, first 2 shown]
	s_and_saveexec_b64 s[0:1], vcc
	s_cbranch_execz .LBB719_36
; %bb.35:
	s_waitcnt vmcnt(3)
	v_cvt_f32_f16_sdwa v19, v14 dst_sel:DWORD dst_unused:UNUSED_PAD src0_sel:WORD_1
	v_cvt_f32_f16_e32 v18, v14
	v_cvt_f32_f16_sdwa v33, v15 dst_sel:DWORD dst_unused:UNUSED_PAD src0_sel:WORD_1
	v_cvt_f32_f16_e32 v32, v15
	;; [unrolled: 2-line block ×4, first 2 shown]
	s_waitcnt vmcnt(2)
	v_cvt_f32_f16_sdwa v27, v10 dst_sel:DWORD dst_unused:UNUSED_PAD src0_sel:WORD_1
	v_cvt_f32_f16_e32 v26, v10
	v_cvt_f32_f16_sdwa v25, v11 dst_sel:DWORD dst_unused:UNUSED_PAD src0_sel:WORD_1
	v_cvt_f32_f16_e32 v24, v11
	;; [unrolled: 2-line block ×4, first 2 shown]
.LBB719_36:
	s_or_b64 exec, exec, s[0:1]
	s_waitcnt vmcnt(2)
	v_mul_f32_e32 v10, v19, v19
	v_fmac_f32_e32 v10, v18, v18
	v_fmac_f32_e32 v10, v32, v32
	;; [unrolled: 1-line block ×15, first 2 shown]
	s_nop 1
	v_mov_b32_dpp v11, v10 quad_perm:[1,0,3,2] row_mask:0xf bank_mask:0xf
	v_add_f32_e32 v10, v10, v11
	s_nop 1
	v_mov_b32_dpp v11, v10 quad_perm:[2,3,0,1] row_mask:0xf bank_mask:0xf
	v_add_f32_e32 v10, v10, v11
	s_nop 1
	v_mov_b32_dpp v11, v10 row_half_mirror row_mask:0xf bank_mask:0xf
	v_add_f32_e32 v10, v10, v11
	s_nop 1
	v_mov_b32_dpp v11, v10 row_mirror row_mask:0xf bank_mask:0xf
	v_add_f32_e32 v10, v10, v11
	s_nop 1
	v_mov_b32_dpp v11, v10 row_bcast:15 row_mask:0xf bank_mask:0xf
	v_add_f32_e32 v10, v10, v11
	s_nop 1
	v_mov_b32_dpp v11, v10 row_bcast:31 row_mask:0xf bank_mask:0xf
	s_and_saveexec_b64 s[0:1], s[2:3]
	s_cbranch_execz .LBB719_38
; %bb.37:
	v_lshrrev_b32_e32 v0, 4, v0
	v_add_f32_e32 v10, v10, v11
	v_and_b32_e32 v0, 60, v0
	ds_write_b32 v0, v10
.LBB719_38:
	s_or_b64 exec, exec, s[0:1]
	s_waitcnt lgkmcnt(0)
	s_barrier
	ds_read_b32 v0, v34
	s_waitcnt lgkmcnt(0)
	s_nop 0
	v_mov_b32_dpp v10, v0 quad_perm:[1,0,3,2] row_mask:0xf bank_mask:0xf
	s_and_saveexec_b64 s[0:1], vcc
	s_cbranch_execz .LBB719_17
; %bb.39:
	v_cvt_f32_u32_e32 v11, s24
	v_add_f32_e32 v0, v0, v10
	s_mov_b32 s31, 0x20000
	v_div_scale_f32 v10, s[0:1], v11, v11, v0
	v_rcp_f32_e32 v12, v10
	v_div_scale_f32 v13, vcc, v0, v11, v0
	s_mov_b32 s0, 0x800000
	v_fma_f32 v14, -v10, v12, 1.0
	v_fmac_f32_e32 v12, v14, v12
	v_mul_f32_e32 v14, v13, v12
	v_fma_f32 v15, -v10, v14, v13
	v_fmac_f32_e32 v14, v15, v12
	v_fma_f32 v10, -v10, v14, v13
	v_div_fmas_f32 v10, v10, v12, v14
	v_div_fixup_f32 v0, v10, v11, v0
	v_add_f32_e32 v0, s21, v0
	v_mul_f32_e32 v10, 0x4b800000, v0
	v_cmp_gt_f32_e32 vcc, s0, v0
	v_cndmask_b32_e32 v0, v0, v10, vcc
	v_rsq_f32_e32 v0, v0
	s_mul_hi_i32 s1, s16, s6
	s_mul_i32 s0, s16, s6
	s_lshl_b64 s[0:1], s[0:1], 1
	v_mul_f32_e32 v10, 0x45800000, v0
	v_cndmask_b32_e32 v10, v0, v10, vcc
	v_mov_b32_e32 v11, v10
	;;#ASMSTART
	v_pk_mul_f32 v[12:13], v[18:19], v[10:11]
	;;#ASMEND
	;;#ASMSTART
	v_pk_mul_f32 v[14:15], v[32:33], v[10:11]
	;;#ASMEND
	;; [unrolled: 3-line block ×8, first 2 shown]
	s_waitcnt vmcnt(1)
	v_cvt_f32_f16_sdwa v21, v6 dst_sel:DWORD dst_unused:UNUSED_PAD src0_sel:WORD_1
	v_cvt_f32_f16_e32 v20, v6
	v_cvt_f32_f16_sdwa v29, v7 dst_sel:DWORD dst_unused:UNUSED_PAD src0_sel:WORD_1
	v_cvt_f32_f16_e32 v28, v7
	;; [unrolled: 2-line block ×4, first 2 shown]
	;;#ASMSTART
	v_pk_mul_f32 v[8:9], v[12:13], v[20:21]
	;;#ASMEND
	;;#ASMSTART
	v_pk_mul_f32 v[12:13], v[14:15], v[28:29]
	;;#ASMEND
	;; [unrolled: 3-line block ×4, first 2 shown]
	s_waitcnt vmcnt(0)
	v_cvt_f32_f16_sdwa v17, v2 dst_sel:DWORD dst_unused:UNUSED_PAD src0_sel:WORD_1
	v_cvt_f32_f16_e32 v16, v2
	v_cvt_f32_f16_sdwa v19, v3 dst_sel:DWORD dst_unused:UNUSED_PAD src0_sel:WORD_1
	v_cvt_f32_f16_e32 v18, v3
	;; [unrolled: 2-line block ×4, first 2 shown]
	;;#ASMSTART
	v_pk_mul_f32 v[16:17], v[26:27], v[16:17]
	;;#ASMEND
	;;#ASMSTART
	v_pk_mul_f32 v[18:19], v[24:25], v[18:19]
	;;#ASMEND
	;; [unrolled: 3-line block ×3, first 2 shown]
	v_cvt_f16_f32_e32 v0, v8
	v_cvt_f16_f32_e32 v2, v9
	;; [unrolled: 1-line block ×8, first 2 shown]
	s_add_u32 s28, s18, s0
	s_addc_u32 s0, s19, s1
	s_and_b32 s29, s0, 0xffff
	v_pack_b32_f16 v2, v0, v2
	v_pack_b32_f16 v3, v3, v4
	;; [unrolled: 1-line block ×4, first 2 shown]
	;;#ASMSTART
	v_pk_mul_f32 v[10:11], v[10:11], v[20:21]
	;;#ASMEND
	buffer_store_dwordx4 v[2:5], v1, s[28:31], 0 offen
	v_cvt_f16_f32_e32 v0, v16
	v_cvt_f16_f32_e32 v2, v17
	;; [unrolled: 1-line block ×8, first 2 shown]
	v_pack_b32_f16 v2, v0, v2
	v_pack_b32_f16 v3, v3, v4
	;; [unrolled: 1-line block ×4, first 2 shown]
	;;#ASMSTART
	s_nop 0
	;;#ASMEND
	buffer_store_dwordx4 v[2:5], v1, s[28:31], 16 offen
	;;#ASMSTART
	s_nop 0
	;;#ASMEND
	s_endpgm
	.section	.rodata,"a",@progbits
	.p2align	6, 0x0
	.amdhsa_kernel _ZN5aiter35fused_qk_rmsnorm_group_quant_kernelIDF16_N4opus5fp4_tELi128ELi16ELi2ELb1ELb1ELb0ELb0ELb0ELb0EEEvPT0_PvPT_S7_S7_PKS6_S9_S9_S9_S9_ffiiiiiiiiiiiii
		.amdhsa_group_segment_fixed_size 16
		.amdhsa_private_segment_fixed_size 0
		.amdhsa_kernarg_size 400
		.amdhsa_user_sgpr_count 6
		.amdhsa_user_sgpr_private_segment_buffer 1
		.amdhsa_user_sgpr_dispatch_ptr 0
		.amdhsa_user_sgpr_queue_ptr 0
		.amdhsa_user_sgpr_kernarg_segment_ptr 1
		.amdhsa_user_sgpr_dispatch_id 0
		.amdhsa_user_sgpr_flat_scratch_init 0
		.amdhsa_user_sgpr_kernarg_preload_length 0
		.amdhsa_user_sgpr_kernarg_preload_offset 0
		.amdhsa_user_sgpr_private_segment_size 0
		.amdhsa_uses_dynamic_stack 0
		.amdhsa_system_sgpr_private_segment_wavefront_offset 0
		.amdhsa_system_sgpr_workgroup_id_x 1
		.amdhsa_system_sgpr_workgroup_id_y 1
		.amdhsa_system_sgpr_workgroup_id_z 0
		.amdhsa_system_sgpr_workgroup_info 0
		.amdhsa_system_vgpr_workitem_id 0
		.amdhsa_next_free_vgpr 47
		.amdhsa_next_free_sgpr 44
		.amdhsa_accum_offset 48
		.amdhsa_reserve_vcc 1
		.amdhsa_reserve_flat_scratch 0
		.amdhsa_float_round_mode_32 0
		.amdhsa_float_round_mode_16_64 0
		.amdhsa_float_denorm_mode_32 3
		.amdhsa_float_denorm_mode_16_64 3
		.amdhsa_dx10_clamp 1
		.amdhsa_ieee_mode 1
		.amdhsa_fp16_overflow 0
		.amdhsa_tg_split 0
		.amdhsa_exception_fp_ieee_invalid_op 0
		.amdhsa_exception_fp_denorm_src 0
		.amdhsa_exception_fp_ieee_div_zero 0
		.amdhsa_exception_fp_ieee_overflow 0
		.amdhsa_exception_fp_ieee_underflow 0
		.amdhsa_exception_fp_ieee_inexact 0
		.amdhsa_exception_int_div_zero 0
	.end_amdhsa_kernel
	.section	.text._ZN5aiter35fused_qk_rmsnorm_group_quant_kernelIDF16_N4opus5fp4_tELi128ELi16ELi2ELb1ELb1ELb0ELb0ELb0ELb0EEEvPT0_PvPT_S7_S7_PKS6_S9_S9_S9_S9_ffiiiiiiiiiiiii,"axG",@progbits,_ZN5aiter35fused_qk_rmsnorm_group_quant_kernelIDF16_N4opus5fp4_tELi128ELi16ELi2ELb1ELb1ELb0ELb0ELb0ELb0EEEvPT0_PvPT_S7_S7_PKS6_S9_S9_S9_S9_ffiiiiiiiiiiiii,comdat
.Lfunc_end719:
	.size	_ZN5aiter35fused_qk_rmsnorm_group_quant_kernelIDF16_N4opus5fp4_tELi128ELi16ELi2ELb1ELb1ELb0ELb0ELb0ELb0EEEvPT0_PvPT_S7_S7_PKS6_S9_S9_S9_S9_ffiiiiiiiiiiiii, .Lfunc_end719-_ZN5aiter35fused_qk_rmsnorm_group_quant_kernelIDF16_N4opus5fp4_tELi128ELi16ELi2ELb1ELb1ELb0ELb0ELb0ELb0EEEvPT0_PvPT_S7_S7_PKS6_S9_S9_S9_S9_ffiiiiiiiiiiiii
                                        ; -- End function
	.section	.AMDGPU.csdata,"",@progbits
; Kernel info:
; codeLenInByte = 3940
; NumSgprs: 48
; NumVgprs: 47
; NumAgprs: 0
; TotalNumVgprs: 47
; ScratchSize: 0
; MemoryBound: 0
; FloatMode: 240
; IeeeMode: 1
; LDSByteSize: 16 bytes/workgroup (compile time only)
; SGPRBlocks: 5
; VGPRBlocks: 5
; NumSGPRsForWavesPerEU: 48
; NumVGPRsForWavesPerEU: 47
; AccumOffset: 48
; Occupancy: 8
; WaveLimiterHint : 0
; COMPUTE_PGM_RSRC2:SCRATCH_EN: 0
; COMPUTE_PGM_RSRC2:USER_SGPR: 6
; COMPUTE_PGM_RSRC2:TRAP_HANDLER: 0
; COMPUTE_PGM_RSRC2:TGID_X_EN: 1
; COMPUTE_PGM_RSRC2:TGID_Y_EN: 1
; COMPUTE_PGM_RSRC2:TGID_Z_EN: 0
; COMPUTE_PGM_RSRC2:TIDIG_COMP_CNT: 0
; COMPUTE_PGM_RSRC3_GFX90A:ACCUM_OFFSET: 11
; COMPUTE_PGM_RSRC3_GFX90A:TG_SPLIT: 0
	.section	.text._ZN5aiter35fused_qk_rmsnorm_group_quant_kernelItN4opus5fp4_tELi128ELi16ELi2ELb1ELb1ELb0ELb0ELb0ELb0EEEvPT0_PvPT_S7_S7_PKS6_S9_S9_S9_S9_ffiiiiiiiiiiiii,"axG",@progbits,_ZN5aiter35fused_qk_rmsnorm_group_quant_kernelItN4opus5fp4_tELi128ELi16ELi2ELb1ELb1ELb0ELb0ELb0ELb0EEEvPT0_PvPT_S7_S7_PKS6_S9_S9_S9_S9_ffiiiiiiiiiiiii,comdat
	.protected	_ZN5aiter35fused_qk_rmsnorm_group_quant_kernelItN4opus5fp4_tELi128ELi16ELi2ELb1ELb1ELb0ELb0ELb0ELb0EEEvPT0_PvPT_S7_S7_PKS6_S9_S9_S9_S9_ffiiiiiiiiiiiii ; -- Begin function _ZN5aiter35fused_qk_rmsnorm_group_quant_kernelItN4opus5fp4_tELi128ELi16ELi2ELb1ELb1ELb0ELb0ELb0ELb0EEEvPT0_PvPT_S7_S7_PKS6_S9_S9_S9_S9_ffiiiiiiiiiiiii
	.globl	_ZN5aiter35fused_qk_rmsnorm_group_quant_kernelItN4opus5fp4_tELi128ELi16ELi2ELb1ELb1ELb0ELb0ELb0ELb0EEEvPT0_PvPT_S7_S7_PKS6_S9_S9_S9_S9_ffiiiiiiiiiiiii
	.p2align	8
	.type	_ZN5aiter35fused_qk_rmsnorm_group_quant_kernelItN4opus5fp4_tELi128ELi16ELi2ELb1ELb1ELb0ELb0ELb0ELb0EEEvPT0_PvPT_S7_S7_PKS6_S9_S9_S9_S9_ffiiiiiiiiiiiii,@function
_ZN5aiter35fused_qk_rmsnorm_group_quant_kernelItN4opus5fp4_tELi128ELi16ELi2ELb1ELb1ELb0ELb0ELb0ELb0EEEvPT0_PvPT_S7_S7_PKS6_S9_S9_S9_S9_ffiiiiiiiiiiiii: ; @_ZN5aiter35fused_qk_rmsnorm_group_quant_kernelItN4opus5fp4_tELi128ELi16ELi2ELb1ELb1ELb0ELb0ELb0ELb0EEEvPT0_PvPT_S7_S7_PKS6_S9_S9_S9_S9_ffiiiiiiiiiiiii
; %bb.0:
	s_load_dwordx8 s[20:27], s[4:5], 0x50
	s_waitcnt lgkmcnt(0)
	s_cmp_ge_i32 s6, s22
	s_cbranch_scc1 .LBB720_17
; %bb.1:
	s_load_dwordx2 s[28:29], s[4:5], 0x48
	s_load_dwordx2 s[10:11], s[4:5], 0x30
	s_load_dwordx8 s[12:19], s[4:5], 0x70
	s_cmp_lg_u32 s7, 0
	s_waitcnt lgkmcnt(0)
	s_cselect_b64 s[18:19], -1, 0
	s_cmp_eq_u32 s7, 0
	s_cselect_b64 s[8:9], -1, 0
	s_and_b64 s[0:1], s[8:9], exec
	s_cselect_b32 s7, s23, s24
	s_add_i32 s0, s7, 1
	s_lshr_b32 s1, s0, 31
	s_add_i32 s0, s0, s1
	s_lshl_b32 s0, s0, 1
	v_lshlrev_b32_e32 v1, 4, v0
	s_and_b32 s38, s0, -4
	v_cmp_gt_i32_e64 s[0:1], s7, v1
	v_mov_b32_e32 v80, 0
	v_mov_b32_e32 v81, 0
	;; [unrolled: 1-line block ×16, first 2 shown]
	s_and_saveexec_b64 s[2:3], s[0:1]
	s_cbranch_execz .LBB720_3
; %bb.2:
	s_load_dwordx2 s[30:31], s[4:5], 0x28
	s_load_dwordx2 s[34:35], s[4:5], 0x40
	s_and_b64 s[36:37], s[8:9], exec
	s_cselect_b32 s22, s25, s26
	s_mov_b32 s39, 0x20000
	s_waitcnt lgkmcnt(0)
	s_cselect_b32 s25, s31, s11
	s_cselect_b32 s33, s30, s10
	s_mul_hi_i32 s31, s22, s6
	s_mul_i32 s30, s22, s6
	s_lshl_b64 s[30:31], s[30:31], 1
	s_add_u32 s40, s33, s30
	s_addc_u32 s22, s25, s31
	s_and_b64 s[30:31], s[8:9], exec
	s_cselect_b32 s36, s34, s28
	s_cselect_b32 s25, s35, s29
	s_and_b32 s41, s22, 0xffff
	s_mov_b32 s42, s38
	s_mov_b32 s43, s39
	v_lshlrev_b32_e32 v2, 5, v0
	s_and_b32 s37, s25, 0xffff
	buffer_load_dwordx4 v[84:87], v2, s[40:43], 0 offen
	buffer_load_dwordx4 v[88:91], v2, s[40:43], 16 offen
	;; [unrolled: 1-line block ×4, first 2 shown]
.LBB720_3:
	s_or_b64 exec, exec, s[2:3]
	s_and_b64 vcc, exec, s[18:19]
	s_cbranch_vccz .LBB720_7
; %bb.4:
	v_mov_b32_e32 v93, 0
	v_mov_b32_e32 v92, 0
	;; [unrolled: 1-line block ×16, first 2 shown]
	s_and_saveexec_b64 s[2:3], s[0:1]
	s_cbranch_execz .LBB720_6
; %bb.5:
	s_waitcnt vmcnt(3)
	v_cvt_f32_u32_sdwa v32, v84 dst_sel:DWORD dst_unused:UNUSED_PAD src0_sel:WORD_0
	v_cvt_f32_u32_sdwa v33, v84 dst_sel:DWORD dst_unused:UNUSED_PAD src0_sel:WORD_1
	v_cvt_f32_u32_sdwa v18, v85 dst_sel:DWORD dst_unused:UNUSED_PAD src0_sel:WORD_0
	v_cvt_f32_u32_sdwa v19, v85 dst_sel:DWORD dst_unused:UNUSED_PAD src0_sel:WORD_1
	;; [unrolled: 2-line block ×4, first 2 shown]
	s_waitcnt vmcnt(2)
	v_cvt_f32_u32_sdwa v68, v88 dst_sel:DWORD dst_unused:UNUSED_PAD src0_sel:WORD_0
	v_cvt_f32_u32_sdwa v69, v88 dst_sel:DWORD dst_unused:UNUSED_PAD src0_sel:WORD_1
	v_cvt_f32_u32_sdwa v62, v89 dst_sel:DWORD dst_unused:UNUSED_PAD src0_sel:WORD_0
	v_cvt_f32_u32_sdwa v63, v89 dst_sel:DWORD dst_unused:UNUSED_PAD src0_sel:WORD_1
	;; [unrolled: 2-line block ×4, first 2 shown]
.LBB720_6:
	s_or_b64 exec, exec, s[2:3]
	s_cbranch_execz .LBB720_8
	s_branch .LBB720_11
.LBB720_7:
                                        ; implicit-def: $vgpr32_vgpr33_vgpr34_vgpr35_vgpr36_vgpr37_vgpr38_vgpr39_vgpr40_vgpr41_vgpr42_vgpr43_vgpr44_vgpr45_vgpr46_vgpr47
                                        ; implicit-def: $vgpr46_vgpr47_vgpr48_vgpr49_vgpr50_vgpr51_vgpr52_vgpr53_vgpr54_vgpr55_vgpr56_vgpr57_vgpr58_vgpr59_vgpr60_vgpr61
                                        ; implicit-def: $vgpr16_vgpr17_vgpr18_vgpr19_vgpr20_vgpr21_vgpr22_vgpr23_vgpr24_vgpr25_vgpr26_vgpr27_vgpr28_vgpr29_vgpr30_vgpr31
                                        ; implicit-def: $vgpr93
                                        ; implicit-def: $vgpr2_vgpr3_vgpr4_vgpr5_vgpr6_vgpr7_vgpr8_vgpr9_vgpr10_vgpr11_vgpr12_vgpr13_vgpr14_vgpr15_vgpr16_vgpr17
                                        ; implicit-def: $vgpr60_vgpr61_vgpr62_vgpr63_vgpr64_vgpr65_vgpr66_vgpr67_vgpr68_vgpr69_vgpr70_vgpr71_vgpr72_vgpr73_vgpr74_vgpr75
                                        ; implicit-def: $vgpr34_vgpr35_vgpr36_vgpr37_vgpr38_vgpr39_vgpr40_vgpr41_vgpr42_vgpr43_vgpr44_vgpr45_vgpr46_vgpr47_vgpr48_vgpr49
                                        ; implicit-def: $vgpr52_vgpr53_vgpr54_vgpr55_vgpr56_vgpr57_vgpr58_vgpr59_vgpr60_vgpr61_vgpr62_vgpr63_vgpr64_vgpr65_vgpr66_vgpr67
.LBB720_8:
	v_mov_b32_e32 v93, 0
	v_mov_b32_e32 v92, 0
	;; [unrolled: 1-line block ×16, first 2 shown]
	s_and_saveexec_b64 s[2:3], s[0:1]
	s_cbranch_execz .LBB720_10
; %bb.9:
	s_load_dwordx2 s[30:31], s[4:5], 0x38
	s_mul_hi_i32 s35, s27, s6
	s_mul_i32 s34, s27, s6
	s_lshl_b64 s[34:35], s[34:35], 1
	s_mov_b32 s39, 0x20000
	s_waitcnt lgkmcnt(0)
	s_add_u32 s36, s30, s34
	s_addc_u32 s22, s31, s35
	s_and_b32 s37, s22, 0xffff
	v_lshlrev_b32_e32 v36, 5, v0
	buffer_load_dwordx4 v[4:7], v36, s[36:39], 16 offen
	buffer_load_dwordx4 v[8:11], v36, s[36:39], 0 offen
	s_load_dwordx2 s[30:31], s[4:5], 0x20
	s_waitcnt vmcnt(5)
	v_cvt_f32_u32_sdwa v21, v84 dst_sel:DWORD dst_unused:UNUSED_PAD src0_sel:WORD_1
	v_cvt_f32_u32_sdwa v20, v84 dst_sel:DWORD dst_unused:UNUSED_PAD src0_sel:WORD_0
	v_cvt_f32_u32_sdwa v19, v85 dst_sel:DWORD dst_unused:UNUSED_PAD src0_sel:WORD_1
	v_cvt_f32_u32_sdwa v18, v85 dst_sel:DWORD dst_unused:UNUSED_PAD src0_sel:WORD_0
	;; [unrolled: 2-line block ×4, first 2 shown]
	s_waitcnt vmcnt(4)
	v_cvt_f32_u32_sdwa v3, v88 dst_sel:DWORD dst_unused:UNUSED_PAD src0_sel:WORD_1
	v_cvt_f32_u32_sdwa v2, v88 dst_sel:DWORD dst_unused:UNUSED_PAD src0_sel:WORD_0
	v_cvt_f32_u32_sdwa v13, v89 dst_sel:DWORD dst_unused:UNUSED_PAD src0_sel:WORD_1
	v_cvt_f32_u32_sdwa v12, v89 dst_sel:DWORD dst_unused:UNUSED_PAD src0_sel:WORD_0
	;; [unrolled: 2-line block ×3, first 2 shown]
	v_cvt_f32_u32_sdwa v16, v91 dst_sel:DWORD dst_unused:UNUSED_PAD src0_sel:WORD_0
	v_cvt_f32_u32_sdwa v17, v91 dst_sel:DWORD dst_unused:UNUSED_PAD src0_sel:WORD_1
	s_mul_hi_i32 s35, s17, s6
	s_mul_i32 s34, s17, s6
	s_lshl_b64 s[34:35], s[34:35], 1
	s_waitcnt lgkmcnt(0)
	s_add_u32 s36, s30, s34
	s_mov_b32 s17, 0x7060302
	s_addc_u32 s22, s31, s35
	s_and_b32 s37, s22, 0xffff
	s_waitcnt vmcnt(1)
	v_cvt_f32_u32_sdwa v27, v4 dst_sel:DWORD dst_unused:UNUSED_PAD src0_sel:WORD_1
	v_cvt_f32_u32_sdwa v26, v4 dst_sel:DWORD dst_unused:UNUSED_PAD src0_sel:WORD_0
	v_cvt_f32_u32_sdwa v29, v5 dst_sel:DWORD dst_unused:UNUSED_PAD src0_sel:WORD_1
	v_cvt_f32_u32_sdwa v28, v5 dst_sel:DWORD dst_unused:UNUSED_PAD src0_sel:WORD_0
	;; [unrolled: 2-line block ×3, first 2 shown]
	v_cvt_f32_u32_sdwa v34, v7 dst_sel:DWORD dst_unused:UNUSED_PAD src0_sel:WORD_0
	v_cvt_f32_u32_sdwa v35, v7 dst_sel:DWORD dst_unused:UNUSED_PAD src0_sel:WORD_1
	s_waitcnt vmcnt(0)
	v_cvt_f32_u32_sdwa v33, v8 dst_sel:DWORD dst_unused:UNUSED_PAD src0_sel:WORD_1
	v_cvt_f32_u32_sdwa v32, v8 dst_sel:DWORD dst_unused:UNUSED_PAD src0_sel:WORD_0
	v_cvt_f32_u32_sdwa v5, v10 dst_sel:DWORD dst_unused:UNUSED_PAD src0_sel:WORD_1
	v_cvt_f32_u32_sdwa v4, v10 dst_sel:DWORD dst_unused:UNUSED_PAD src0_sel:WORD_0
	;; [unrolled: 2-line block ×4, first 2 shown]
	v_pk_add_f32 v[50:51], v[22:23], v[4:5]
	v_pk_add_f32 v[40:41], v[24:25], v[6:7]
	;; [unrolled: 1-line block ×4, first 2 shown]
	v_perm_b32 v7, v41, v40, s17
	v_perm_b32 v6, v51, v50, s17
	;; [unrolled: 1-line block ×4, first 2 shown]
	v_pk_add_f32 v[92:93], v[16:17], v[34:35]
	v_pk_add_f32 v[14:15], v[14:15], v[30:31]
	;; [unrolled: 1-line block ×4, first 2 shown]
	buffer_store_dwordx4 v[4:7], v36, s[36:39], 0 offen
	;;#ASMSTART
	s_nop 0
	;;#ASMEND
	s_nop 0
	v_perm_b32 v7, v93, v92, s17
	v_perm_b32 v6, v15, v14, s17
	;; [unrolled: 1-line block ×4, first 2 shown]
	buffer_store_dwordx4 v[4:7], v36, s[36:39], 16 offen
	;;#ASMSTART
	s_nop 0
	;;#ASMEND
.LBB720_10:
	s_or_b64 exec, exec, s[2:3]
.LBB720_11:
	v_mul_f32_e32 v2, v33, v33
	v_fmac_f32_e32 v2, v32, v32
	v_fmac_f32_e32 v2, v18, v18
	v_fmac_f32_e32 v2, v19, v19
	v_fmac_f32_e32 v2, v50, v50
	v_fmac_f32_e32 v2, v51, v51
	v_fmac_f32_e32 v2, v40, v40
	v_fmac_f32_e32 v2, v41, v41
	v_fmac_f32_e32 v2, v68, v68
	v_fmac_f32_e32 v2, v69, v69
	v_fmac_f32_e32 v2, v62, v62
	v_fmac_f32_e32 v2, v63, v63
	v_fmac_f32_e32 v2, v14, v14
	v_fmac_f32_e32 v2, v15, v15
	v_fmac_f32_e32 v2, v92, v92
	v_fmac_f32_e32 v2, v93, v93
	s_nop 1
	v_mov_b32_dpp v3, v2 quad_perm:[1,0,3,2] row_mask:0xf bank_mask:0xf
	v_add_f32_e32 v2, v2, v3
	s_nop 1
	v_mov_b32_dpp v3, v2 quad_perm:[2,3,0,1] row_mask:0xf bank_mask:0xf
	v_add_f32_e32 v2, v2, v3
	s_nop 1
	v_mov_b32_dpp v3, v2 row_half_mirror row_mask:0xf bank_mask:0xf
	v_add_f32_e32 v2, v2, v3
	s_nop 1
	v_mov_b32_dpp v3, v2 row_mirror row_mask:0xf bank_mask:0xf
	v_add_f32_e32 v2, v2, v3
	s_nop 1
	v_mov_b32_dpp v3, v2 row_bcast:15 row_mask:0xf bank_mask:0xf
	v_add_f32_e32 v2, v2, v3
	v_and_b32_e32 v3, 63, v0
	v_cmp_eq_u32_e64 s[2:3], 63, v3
	s_nop 0
	v_mov_b32_dpp v3, v2 row_bcast:31 row_mask:0xf bank_mask:0xf
	s_and_saveexec_b64 s[30:31], s[2:3]
	s_cbranch_execz .LBB720_13
; %bb.12:
	v_add_f32_e32 v2, v2, v3
	v_lshrrev_b32_e32 v3, 4, v0
	v_and_b32_e32 v3, 60, v3
	ds_write_b32 v3, v2 offset:8
.LBB720_13:
	s_or_b64 exec, exec, s[30:31]
	v_and_b32_e32 v2, 1, v0
	v_lshlrev_b32_e32 v34, 2, v2
	s_waitcnt lgkmcnt(0)
	s_barrier
	ds_read_b32 v3, v34 offset:8
	s_load_dwordx2 s[34:35], s[4:5], 0x18
	s_waitcnt lgkmcnt(0)
	v_mov_b32_dpp v4, v3 quad_perm:[1,0,3,2] row_mask:0xf bank_mask:0xf
	s_and_saveexec_b64 s[30:31], s[0:1]
	s_cbranch_execnz .LBB720_18
; %bb.14:
	s_or_b64 exec, exec, s[30:31]
	s_mov_b64 s[8:9], -1
	s_and_b64 vcc, exec, s[18:19]
	s_cbranch_vccnz .LBB720_19
.LBB720_15:
	s_andn2_b64 vcc, exec, s[8:9]
	s_cbranch_vccz .LBB720_22
.LBB720_16:
	s_cmp_lt_i32 s24, 1
	s_cbranch_scc0 .LBB720_31
.LBB720_17:
	s_endpgm
.LBB720_18:
	v_add_f32_e32 v3, v3, v4
	v_cvt_f32_u32_e32 v4, s7
	s_mov_b32 s7, 0x800000
	s_waitcnt vmcnt(1)
	v_cvt_f32_u32_sdwa v23, v81 dst_sel:DWORD dst_unused:UNUSED_PAD src0_sel:WORD_1
	v_cvt_f32_u32_sdwa v22, v81 dst_sel:DWORD dst_unused:UNUSED_PAD src0_sel:WORD_0
	v_div_scale_f32 v5, s[36:37], v4, v4, v3
	v_rcp_f32_e32 v6, v5
	s_waitcnt vmcnt(0)
	v_cvt_f32_u32_sdwa v25, v77 dst_sel:DWORD dst_unused:UNUSED_PAD src0_sel:WORD_1
	v_cvt_f32_u32_sdwa v24, v77 dst_sel:DWORD dst_unused:UNUSED_PAD src0_sel:WORD_0
	v_cvt_f32_u32_sdwa v27, v78 dst_sel:DWORD dst_unused:UNUSED_PAD src0_sel:WORD_1
	v_fma_f32 v7, -v5, v6, 1.0
	v_fmac_f32_e32 v6, v7, v6
	v_div_scale_f32 v7, vcc, v3, v4, v3
	v_mul_f32_e32 v8, v7, v6
	v_fma_f32 v9, -v5, v8, v7
	v_fmac_f32_e32 v8, v9, v6
	v_fma_f32 v5, -v5, v8, v7
	v_div_fmas_f32 v5, v5, v6, v8
	v_div_fixup_f32 v3, v5, v4, v3
	v_mov_b32_e32 v4, s21
	v_mov_b32_e32 v5, s20
	v_cndmask_b32_e64 v4, v4, v5, s[8:9]
	v_add_f32_e32 v3, v4, v3
	v_mul_f32_e32 v4, 0x4b800000, v3
	v_cmp_gt_f32_e32 vcc, s7, v3
	v_cndmask_b32_e32 v3, v3, v4, vcc
	v_rsq_f32_e32 v3, v3
	v_cvt_f32_u32_sdwa v26, v78 dst_sel:DWORD dst_unused:UNUSED_PAD src0_sel:WORD_0
	v_cvt_f32_u32_sdwa v29, v79 dst_sel:DWORD dst_unused:UNUSED_PAD src0_sel:WORD_1
	v_cvt_f32_u32_sdwa v28, v79 dst_sel:DWORD dst_unused:UNUSED_PAD src0_sel:WORD_0
	v_mul_f32_e32 v4, 0x45800000, v3
	v_cndmask_b32_e32 v4, v3, v4, vcc
	v_mov_b32_e32 v5, v4
	;;#ASMSTART
	v_pk_mul_f32 v[6:7], v[32:33], v[4:5]
	;;#ASMEND
	;;#ASMSTART
	v_pk_mul_f32 v[8:9], v[18:19], v[4:5]
	;;#ASMEND
	;; [unrolled: 3-line block ×6, first 2 shown]
	v_cvt_f32_u32_sdwa v19, v80 dst_sel:DWORD dst_unused:UNUSED_PAD src0_sel:WORD_1
	v_cvt_f32_u32_sdwa v18, v80 dst_sel:DWORD dst_unused:UNUSED_PAD src0_sel:WORD_0
	;;#ASMSTART
	v_pk_mul_f32 v[14:15], v[14:15], v[4:5]
	;;#ASMEND
	;;#ASMSTART
	v_pk_mul_f32 v[4:5], v[92:93], v[4:5]
	;;#ASMEND
	;; [unrolled: 3-line block ×4, first 2 shown]
	v_cvt_f32_u32_sdwa v7, v82 dst_sel:DWORD dst_unused:UNUSED_PAD src0_sel:WORD_1
	v_cvt_f32_u32_sdwa v6, v82 dst_sel:DWORD dst_unused:UNUSED_PAD src0_sel:WORD_0
	v_cvt_f32_u32_sdwa v9, v83 dst_sel:DWORD dst_unused:UNUSED_PAD src0_sel:WORD_1
	v_cvt_f32_u32_sdwa v8, v83 dst_sel:DWORD dst_unused:UNUSED_PAD src0_sel:WORD_0
	v_cvt_f32_u32_sdwa v23, v76 dst_sel:DWORD dst_unused:UNUSED_PAD src0_sel:WORD_1
	v_cvt_f32_u32_sdwa v22, v76 dst_sel:DWORD dst_unused:UNUSED_PAD src0_sel:WORD_0
	;;#ASMSTART
	v_pk_mul_f32 v[50:51], v[10:11], v[6:7]
	;;#ASMEND
	;;#ASMSTART
	v_pk_mul_f32 v[40:41], v[12:13], v[8:9]
	;;#ASMEND
	;; [unrolled: 3-line block ×6, first 2 shown]
	s_or_b64 exec, exec, s[30:31]
	s_mov_b64 s[8:9], -1
	s_and_b64 vcc, exec, s[18:19]
	s_cbranch_vccz .LBB720_15
.LBB720_19:
	s_and_saveexec_b64 s[8:9], s[0:1]
	s_cbranch_execz .LBB720_21
; %bb.20:
	s_mul_hi_i32 s19, s16, s6
	s_mul_i32 s18, s16, s6
	s_lshl_b64 s[18:19], s[18:19], 1
	s_add_u32 s36, s34, s18
	s_addc_u32 s7, s35, s19
	s_and_b32 s37, s7, 0xffff
	s_mov_b32 s7, 0x7060302
	s_mov_b32 s39, 0x20000
	v_perm_b32 v7, v41, v40, s7
	v_perm_b32 v6, v51, v50, s7
	;; [unrolled: 1-line block ×4, first 2 shown]
	v_lshlrev_b32_e32 v3, 5, v0
	buffer_store_dwordx4 v[4:7], v3, s[36:39], 0 offen
	;;#ASMSTART
	s_nop 0
	;;#ASMEND
	s_nop 0
	v_perm_b32 v7, v93, v92, s7
	v_perm_b32 v6, v15, v14, s7
	;; [unrolled: 1-line block ×4, first 2 shown]
	buffer_store_dwordx4 v[4:7], v3, s[36:39], 16 offen
	;;#ASMSTART
	s_nop 0
	;;#ASMEND
.LBB720_21:
	s_or_b64 exec, exec, s[8:9]
	s_cbranch_execnz .LBB720_16
.LBB720_22:
	v_mov_b32_e32 v3, 0
	s_and_saveexec_b64 s[8:9], s[0:1]
	s_cbranch_execz .LBB720_24
; %bb.23:
	s_load_dwordx2 s[18:19], s[4:5], 0x10
	s_mul_hi_i32 s31, s15, s6
	s_mul_i32 s30, s15, s6
	s_lshl_b64 s[30:31], s[30:31], 1
	s_mov_b32 s39, 0x20000
	s_waitcnt lgkmcnt(0)
	s_add_u32 s36, s18, s30
	s_addc_u32 s7, s19, s31
	s_and_b32 s37, s7, 0xffff
	s_mov_b32 s7, 0x7060302
	v_perm_b32 v7, v41, v40, s7
	v_perm_b32 v6, v51, v50, s7
	v_perm_b32 v5, v19, v18, s7
	v_perm_b32 v4, v33, v32, s7
	v_lshlrev_b32_e32 v3, 5, v0
	buffer_store_dwordx4 v[4:7], v3, s[36:39], 0 offen
	;;#ASMSTART
	s_nop 0
	;;#ASMEND
	s_nop 0
	v_perm_b32 v7, v93, v92, s7
	v_perm_b32 v6, v15, v14, s7
	;; [unrolled: 1-line block ×4, first 2 shown]
	buffer_store_dwordx4 v[4:7], v3, s[36:39], 16 offen
	v_mov_b32_e32 v3, 0x2edbe6ff
	;;#ASMSTART
	s_nop 0
	;;#ASMEND
.LBB720_24:
	s_or_b64 exec, exec, s[8:9]
	s_and_saveexec_b64 s[8:9], s[0:1]
	s_cbranch_execz .LBB720_26
; %bb.25:
	v_and_b32_e32 v4, 0x7fffffff, v32
	v_and_b32_e32 v5, 0x7fffffff, v33
	;;#ASMSTART
	v_max3_f32 v3, v3, v4, v5

	;;#ASMEND
	v_and_b32_e32 v6, 0x7fffffff, v18
	v_and_b32_e32 v7, 0x7fffffff, v19
	;;#ASMSTART
	v_max3_f32 v3, v3, v6, v7

	;;#ASMEND
	;; [unrolled: 6-line block ×8, first 2 shown]
.LBB720_26:
	s_or_b64 exec, exec, s[8:9]
	v_cmp_eq_u32_e32 vcc, 0, v2
	v_cmp_gt_i32_e64 s[8:9], s23, v1
	s_and_b64 s[18:19], vcc, s[8:9]
	;;#ASMSTART
	v_max_f32 v4, v3, v3 quad_perm:[1,0,3,2] row_mask:0xf bank_mask:0xf bound_ctrl:1
	;;#ASMEND
	s_and_saveexec_b64 s[8:9], s[18:19]
	s_cbranch_execz .LBB720_28
; %bb.27:
	s_load_dwordx2 s[18:19], s[4:5], 0x8
	v_mul_f32_e32 v2, 0x3e2aaaab, v4
	v_lshrrev_b32_e32 v3, 23, v2
	v_and_b32_e32 v4, 0x7f800000, v2
	v_and_b32_e32 v2, 0x7fffff, v2
	v_cmp_ne_u32_e32 vcc, 0, v2
	s_mul_hi_i32 s15, s13, s6
	s_mul_i32 s13, s13, s6
	s_mov_b32 s7, 0x7f800000
	v_addc_co_u32_e32 v2, vcc, 0, v3, vcc
	s_waitcnt lgkmcnt(0)
	s_add_u32 s18, s18, s13
	v_cmp_ne_u32_e32 vcc, s7, v4
	s_addc_u32 s19, s19, s15
	v_lshrrev_b32_e32 v5, 1, v0
	v_cndmask_b32_e32 v4, -1, v2, vcc
	v_pk_mov_b32 v[2:3], s[18:19], s[18:19] op_sel:[0,1]
	v_mad_i64_i32 v[2:3], s[14:15], s14, v5, v[2:3]
	global_store_byte v[2:3], v4, off
.LBB720_28:
	s_or_b64 exec, exec, s[8:9]
	s_and_saveexec_b64 s[8:9], s[0:1]
	s_cbranch_execz .LBB720_30
; %bb.29:
	s_load_dwordx2 s[0:1], s[4:5], 0x0
	s_mul_hi_i32 s7, s12, s6
	s_mul_i32 s12, s12, s6
	v_mov_b32_e32 v2, 0
	v_lshlrev_b32_e32 v4, 3, v0
	s_waitcnt lgkmcnt(0)
	s_add_u32 s12, s0, s12
	s_addc_u32 s0, s1, s7
	s_lshr_b32 s1, s23, 31
	s_add_i32 s1, s23, s1
	s_ashr_i32 s1, s1, 1
	s_add_i32 s1, s1, 3
	s_ashr_i32 s7, s1, 31
	s_lshr_b32 s7, s7, 30
	s_add_i32 s1, s1, s7
	s_and_b32 s14, s1, -4
	s_and_b32 s13, s0, 0xffff
	s_mov_b32 s15, 0x20000
	v_mov_b32_e32 v3, v2
	buffer_store_dwordx2 v[2:3], v4, s[12:15], 0 offen
	;;#ASMSTART
	s_nop 0
	;;#ASMEND
.LBB720_30:
	s_or_b64 exec, exec, s[8:9]
	s_cmp_lt_i32 s24, 1
	s_cbranch_scc1 .LBB720_17
.LBB720_31:
	s_load_dword s0, s[4:5], 0x94
	s_waitcnt lgkmcnt(0)
	s_cmp_lg_u32 s0, 1
	s_cbranch_scc1 .LBB720_17
; %bb.32:
	s_lshl_b32 s0, s24, 1
	s_add_i32 s0, s0, 2
	v_cmp_gt_u32_e32 vcc, s24, v1
	s_and_b32 s30, s0, -4
	v_mov_b32_e32 v18, 0
	v_lshlrev_b32_e32 v1, 5, v0
	v_mov_b32_e32 v14, 0
	v_mov_b32_e32 v15, 0
	v_mov_b32_e32 v16, 0
	v_mov_b32_e32 v17, 0
	v_mov_b32_e32 v10, 0
	v_mov_b32_e32 v11, 0
	v_mov_b32_e32 v12, 0
	v_mov_b32_e32 v13, 0
	v_mov_b32_e32 v6, 0
	v_mov_b32_e32 v7, 0
	v_mov_b32_e32 v8, 0
	v_mov_b32_e32 v9, 0
	v_mov_b32_e32 v2, 0
	v_mov_b32_e32 v3, 0
	v_mov_b32_e32 v4, 0
	v_mov_b32_e32 v5, 0
	s_barrier
	s_and_saveexec_b64 s[0:1], vcc
	s_cbranch_execz .LBB720_34
; %bb.33:
	s_mul_hi_i32 s5, s26, s6
	s_mul_i32 s4, s26, s6
	s_and_b32 s29, s29, 0xffff
	s_lshl_b64 s[4:5], s[4:5], 1
	s_add_u32 s8, s10, s4
	s_mov_b32 s31, 0x20000
	s_addc_u32 s4, s11, s5
	s_and_b32 s9, s4, 0xffff
	s_mov_b32 s10, s30
	s_mov_b32 s11, s31
	buffer_load_dwordx4 v[14:17], v1, s[8:11], 0 offen
	buffer_load_dwordx4 v[10:13], v1, s[8:11], 16 offen
	;; [unrolled: 1-line block ×4, first 2 shown]
.LBB720_34:
	s_or_b64 exec, exec, s[0:1]
	v_mov_b32_e32 v19, 0
	v_mov_b32_e32 v32, 0
	;; [unrolled: 1-line block ×15, first 2 shown]
	s_and_saveexec_b64 s[0:1], vcc
	s_cbranch_execz .LBB720_36
; %bb.35:
	s_waitcnt vmcnt(3)
	v_cvt_f32_u32_sdwa v18, v14 dst_sel:DWORD dst_unused:UNUSED_PAD src0_sel:WORD_0
	v_cvt_f32_u32_sdwa v19, v14 dst_sel:DWORD dst_unused:UNUSED_PAD src0_sel:WORD_1
	v_cvt_f32_u32_sdwa v32, v15 dst_sel:DWORD dst_unused:UNUSED_PAD src0_sel:WORD_0
	v_cvt_f32_u32_sdwa v33, v15 dst_sel:DWORD dst_unused:UNUSED_PAD src0_sel:WORD_1
	;; [unrolled: 2-line block ×4, first 2 shown]
	s_waitcnt vmcnt(2)
	v_cvt_f32_u32_sdwa v26, v10 dst_sel:DWORD dst_unused:UNUSED_PAD src0_sel:WORD_0
	v_cvt_f32_u32_sdwa v27, v10 dst_sel:DWORD dst_unused:UNUSED_PAD src0_sel:WORD_1
	v_cvt_f32_u32_sdwa v24, v11 dst_sel:DWORD dst_unused:UNUSED_PAD src0_sel:WORD_0
	v_cvt_f32_u32_sdwa v25, v11 dst_sel:DWORD dst_unused:UNUSED_PAD src0_sel:WORD_1
	;; [unrolled: 2-line block ×4, first 2 shown]
.LBB720_36:
	s_or_b64 exec, exec, s[0:1]
	s_waitcnt vmcnt(2)
	v_mul_f32_e32 v10, v19, v19
	v_fmac_f32_e32 v10, v18, v18
	v_fmac_f32_e32 v10, v32, v32
	;; [unrolled: 1-line block ×15, first 2 shown]
	s_nop 1
	v_mov_b32_dpp v11, v10 quad_perm:[1,0,3,2] row_mask:0xf bank_mask:0xf
	v_add_f32_e32 v10, v10, v11
	s_nop 1
	v_mov_b32_dpp v11, v10 quad_perm:[2,3,0,1] row_mask:0xf bank_mask:0xf
	v_add_f32_e32 v10, v10, v11
	s_nop 1
	v_mov_b32_dpp v11, v10 row_half_mirror row_mask:0xf bank_mask:0xf
	v_add_f32_e32 v10, v10, v11
	s_nop 1
	v_mov_b32_dpp v11, v10 row_mirror row_mask:0xf bank_mask:0xf
	v_add_f32_e32 v10, v10, v11
	s_nop 1
	v_mov_b32_dpp v11, v10 row_bcast:15 row_mask:0xf bank_mask:0xf
	v_add_f32_e32 v10, v10, v11
	s_nop 1
	v_mov_b32_dpp v11, v10 row_bcast:31 row_mask:0xf bank_mask:0xf
	s_and_saveexec_b64 s[0:1], s[2:3]
	s_cbranch_execz .LBB720_38
; %bb.37:
	v_lshrrev_b32_e32 v0, 4, v0
	v_add_f32_e32 v10, v10, v11
	v_and_b32_e32 v0, 60, v0
	ds_write_b32 v0, v10
.LBB720_38:
	s_or_b64 exec, exec, s[0:1]
	s_waitcnt lgkmcnt(0)
	s_barrier
	ds_read_b32 v0, v34
	s_waitcnt lgkmcnt(0)
	s_nop 0
	v_mov_b32_dpp v10, v0 quad_perm:[1,0,3,2] row_mask:0xf bank_mask:0xf
	s_and_saveexec_b64 s[0:1], vcc
	s_cbranch_execz .LBB720_17
; %bb.39:
	v_cvt_f32_u32_e32 v11, s24
	v_add_f32_e32 v0, v0, v10
	s_mov_b32 s31, 0x20000
	v_div_scale_f32 v10, s[0:1], v11, v11, v0
	v_rcp_f32_e32 v12, v10
	v_div_scale_f32 v13, vcc, v0, v11, v0
	s_mov_b32 s0, 0x800000
	v_fma_f32 v14, -v10, v12, 1.0
	v_fmac_f32_e32 v12, v14, v12
	v_mul_f32_e32 v14, v13, v12
	v_fma_f32 v15, -v10, v14, v13
	v_fmac_f32_e32 v14, v15, v12
	v_fma_f32 v10, -v10, v14, v13
	v_div_fmas_f32 v10, v10, v12, v14
	v_div_fixup_f32 v0, v10, v11, v0
	v_add_f32_e32 v0, s21, v0
	v_mul_f32_e32 v10, 0x4b800000, v0
	v_cmp_gt_f32_e32 vcc, s0, v0
	v_cndmask_b32_e32 v0, v0, v10, vcc
	v_rsq_f32_e32 v0, v0
	s_mul_hi_i32 s1, s16, s6
	s_mul_i32 s0, s16, s6
	s_lshl_b64 s[0:1], s[0:1], 1
	v_mul_f32_e32 v10, 0x45800000, v0
	v_cndmask_b32_e32 v10, v0, v10, vcc
	v_mov_b32_e32 v11, v10
	s_add_u32 s28, s34, s0
	;;#ASMSTART
	v_pk_mul_f32 v[12:13], v[18:19], v[10:11]
	;;#ASMEND
	;;#ASMSTART
	v_pk_mul_f32 v[14:15], v[32:33], v[10:11]
	;;#ASMEND
	;; [unrolled: 3-line block ×8, first 2 shown]
	s_waitcnt vmcnt(1)
	v_cvt_f32_u32_sdwa v21, v6 dst_sel:DWORD dst_unused:UNUSED_PAD src0_sel:WORD_1
	v_cvt_f32_u32_sdwa v20, v6 dst_sel:DWORD dst_unused:UNUSED_PAD src0_sel:WORD_0
	v_cvt_f32_u32_sdwa v29, v7 dst_sel:DWORD dst_unused:UNUSED_PAD src0_sel:WORD_1
	v_cvt_f32_u32_sdwa v28, v7 dst_sel:DWORD dst_unused:UNUSED_PAD src0_sel:WORD_0
	;; [unrolled: 2-line block ×3, first 2 shown]
	s_addc_u32 s0, s35, s1
	v_cvt_f32_u32_sdwa v31, v9 dst_sel:DWORD dst_unused:UNUSED_PAD src0_sel:WORD_1
	v_cvt_f32_u32_sdwa v30, v9 dst_sel:DWORD dst_unused:UNUSED_PAD src0_sel:WORD_0
	;;#ASMSTART
	v_pk_mul_f32 v[8:9], v[12:13], v[20:21]
	;;#ASMEND
	;;#ASMSTART
	v_pk_mul_f32 v[12:13], v[14:15], v[28:29]
	;;#ASMEND
	;; [unrolled: 3-line block ×4, first 2 shown]
	s_waitcnt vmcnt(0)
	v_cvt_f32_u32_sdwa v17, v2 dst_sel:DWORD dst_unused:UNUSED_PAD src0_sel:WORD_1
	v_cvt_f32_u32_sdwa v16, v2 dst_sel:DWORD dst_unused:UNUSED_PAD src0_sel:WORD_0
	v_cvt_f32_u32_sdwa v19, v3 dst_sel:DWORD dst_unused:UNUSED_PAD src0_sel:WORD_1
	v_cvt_f32_u32_sdwa v18, v3 dst_sel:DWORD dst_unused:UNUSED_PAD src0_sel:WORD_0
	;; [unrolled: 2-line block ×3, first 2 shown]
	s_and_b32 s29, s0, 0xffff
	s_mov_b32 s0, 0x7060302
	v_cvt_f32_u32_sdwa v21, v5 dst_sel:DWORD dst_unused:UNUSED_PAD src0_sel:WORD_1
	v_cvt_f32_u32_sdwa v20, v5 dst_sel:DWORD dst_unused:UNUSED_PAD src0_sel:WORD_0
	;;#ASMSTART
	v_pk_mul_f32 v[16:17], v[26:27], v[16:17]
	;;#ASMEND
	;;#ASMSTART
	v_pk_mul_f32 v[18:19], v[24:25], v[18:19]
	;;#ASMEND
	;; [unrolled: 3-line block ×3, first 2 shown]
	v_perm_b32 v2, v9, v8, s0
	v_perm_b32 v3, v13, v12, s0
	;; [unrolled: 1-line block ×4, first 2 shown]
	;;#ASMSTART
	v_pk_mul_f32 v[10:11], v[10:11], v[20:21]
	;;#ASMEND
	buffer_store_dwordx4 v[2:5], v1, s[28:31], 0 offen
	;;#ASMSTART
	s_nop 0
	;;#ASMEND
	s_nop 0
	v_perm_b32 v2, v17, v16, s0
	v_perm_b32 v3, v19, v18, s0
	;; [unrolled: 1-line block ×4, first 2 shown]
	buffer_store_dwordx4 v[2:5], v1, s[28:31], 16 offen
	;;#ASMSTART
	s_nop 0
	;;#ASMEND
	s_endpgm
	.section	.rodata,"a",@progbits
	.p2align	6, 0x0
	.amdhsa_kernel _ZN5aiter35fused_qk_rmsnorm_group_quant_kernelItN4opus5fp4_tELi128ELi16ELi2ELb1ELb1ELb0ELb0ELb0ELb0EEEvPT0_PvPT_S7_S7_PKS6_S9_S9_S9_S9_ffiiiiiiiiiiiii
		.amdhsa_group_segment_fixed_size 16
		.amdhsa_private_segment_fixed_size 0
		.amdhsa_kernarg_size 400
		.amdhsa_user_sgpr_count 6
		.amdhsa_user_sgpr_private_segment_buffer 1
		.amdhsa_user_sgpr_dispatch_ptr 0
		.amdhsa_user_sgpr_queue_ptr 0
		.amdhsa_user_sgpr_kernarg_segment_ptr 1
		.amdhsa_user_sgpr_dispatch_id 0
		.amdhsa_user_sgpr_flat_scratch_init 0
		.amdhsa_user_sgpr_kernarg_preload_length 0
		.amdhsa_user_sgpr_kernarg_preload_offset 0
		.amdhsa_user_sgpr_private_segment_size 0
		.amdhsa_uses_dynamic_stack 0
		.amdhsa_system_sgpr_private_segment_wavefront_offset 0
		.amdhsa_system_sgpr_workgroup_id_x 1
		.amdhsa_system_sgpr_workgroup_id_y 1
		.amdhsa_system_sgpr_workgroup_id_z 0
		.amdhsa_system_sgpr_workgroup_info 0
		.amdhsa_system_vgpr_workitem_id 0
		.amdhsa_next_free_vgpr 94
		.amdhsa_next_free_sgpr 44
		.amdhsa_accum_offset 96
		.amdhsa_reserve_vcc 1
		.amdhsa_reserve_flat_scratch 0
		.amdhsa_float_round_mode_32 0
		.amdhsa_float_round_mode_16_64 0
		.amdhsa_float_denorm_mode_32 3
		.amdhsa_float_denorm_mode_16_64 3
		.amdhsa_dx10_clamp 1
		.amdhsa_ieee_mode 1
		.amdhsa_fp16_overflow 0
		.amdhsa_tg_split 0
		.amdhsa_exception_fp_ieee_invalid_op 0
		.amdhsa_exception_fp_denorm_src 0
		.amdhsa_exception_fp_ieee_div_zero 0
		.amdhsa_exception_fp_ieee_overflow 0
		.amdhsa_exception_fp_ieee_underflow 0
		.amdhsa_exception_fp_ieee_inexact 0
		.amdhsa_exception_int_div_zero 0
	.end_amdhsa_kernel
	.section	.text._ZN5aiter35fused_qk_rmsnorm_group_quant_kernelItN4opus5fp4_tELi128ELi16ELi2ELb1ELb1ELb0ELb0ELb0ELb0EEEvPT0_PvPT_S7_S7_PKS6_S9_S9_S9_S9_ffiiiiiiiiiiiii,"axG",@progbits,_ZN5aiter35fused_qk_rmsnorm_group_quant_kernelItN4opus5fp4_tELi128ELi16ELi2ELb1ELb1ELb0ELb0ELb0ELb0EEEvPT0_PvPT_S7_S7_PKS6_S9_S9_S9_S9_ffiiiiiiiiiiiii,comdat
.Lfunc_end720:
	.size	_ZN5aiter35fused_qk_rmsnorm_group_quant_kernelItN4opus5fp4_tELi128ELi16ELi2ELb1ELb1ELb0ELb0ELb0ELb0EEEvPT0_PvPT_S7_S7_PKS6_S9_S9_S9_S9_ffiiiiiiiiiiiii, .Lfunc_end720-_ZN5aiter35fused_qk_rmsnorm_group_quant_kernelItN4opus5fp4_tELi128ELi16ELi2ELb1ELb1ELb0ELb0ELb0ELb0EEEvPT0_PvPT_S7_S7_PKS6_S9_S9_S9_S9_ffiiiiiiiiiiiii
                                        ; -- End function
	.section	.AMDGPU.csdata,"",@progbits
; Kernel info:
; codeLenInByte = 3892
; NumSgprs: 48
; NumVgprs: 94
; NumAgprs: 0
; TotalNumVgprs: 94
; ScratchSize: 0
; MemoryBound: 0
; FloatMode: 240
; IeeeMode: 1
; LDSByteSize: 16 bytes/workgroup (compile time only)
; SGPRBlocks: 5
; VGPRBlocks: 11
; NumSGPRsForWavesPerEU: 48
; NumVGPRsForWavesPerEU: 94
; AccumOffset: 96
; Occupancy: 5
; WaveLimiterHint : 0
; COMPUTE_PGM_RSRC2:SCRATCH_EN: 0
; COMPUTE_PGM_RSRC2:USER_SGPR: 6
; COMPUTE_PGM_RSRC2:TRAP_HANDLER: 0
; COMPUTE_PGM_RSRC2:TGID_X_EN: 1
; COMPUTE_PGM_RSRC2:TGID_Y_EN: 1
; COMPUTE_PGM_RSRC2:TGID_Z_EN: 0
; COMPUTE_PGM_RSRC2:TIDIG_COMP_CNT: 0
; COMPUTE_PGM_RSRC3_GFX90A:ACCUM_OFFSET: 23
; COMPUTE_PGM_RSRC3_GFX90A:TG_SPLIT: 0
	.section	.text._ZN5aiter35fused_qk_rmsnorm_group_quant_kernelIDF16_DB8_Li128ELi16ELi2ELb1ELb0ELb1ELb0ELb0ELb0EEEvPT0_PvPT_S6_S6_PKS5_S8_S8_S8_S8_ffiiiiiiiiiiiii,"axG",@progbits,_ZN5aiter35fused_qk_rmsnorm_group_quant_kernelIDF16_DB8_Li128ELi16ELi2ELb1ELb0ELb1ELb0ELb0ELb0EEEvPT0_PvPT_S6_S6_PKS5_S8_S8_S8_S8_ffiiiiiiiiiiiii,comdat
	.protected	_ZN5aiter35fused_qk_rmsnorm_group_quant_kernelIDF16_DB8_Li128ELi16ELi2ELb1ELb0ELb1ELb0ELb0ELb0EEEvPT0_PvPT_S6_S6_PKS5_S8_S8_S8_S8_ffiiiiiiiiiiiii ; -- Begin function _ZN5aiter35fused_qk_rmsnorm_group_quant_kernelIDF16_DB8_Li128ELi16ELi2ELb1ELb0ELb1ELb0ELb0ELb0EEEvPT0_PvPT_S6_S6_PKS5_S8_S8_S8_S8_ffiiiiiiiiiiiii
	.globl	_ZN5aiter35fused_qk_rmsnorm_group_quant_kernelIDF16_DB8_Li128ELi16ELi2ELb1ELb0ELb1ELb0ELb0ELb0EEEvPT0_PvPT_S6_S6_PKS5_S8_S8_S8_S8_ffiiiiiiiiiiiii
	.p2align	8
	.type	_ZN5aiter35fused_qk_rmsnorm_group_quant_kernelIDF16_DB8_Li128ELi16ELi2ELb1ELb0ELb1ELb0ELb0ELb0EEEvPT0_PvPT_S6_S6_PKS5_S8_S8_S8_S8_ffiiiiiiiiiiiii,@function
_ZN5aiter35fused_qk_rmsnorm_group_quant_kernelIDF16_DB8_Li128ELi16ELi2ELb1ELb0ELb1ELb0ELb0ELb0EEEvPT0_PvPT_S6_S6_PKS5_S8_S8_S8_S8_ffiiiiiiiiiiiii: ; @_ZN5aiter35fused_qk_rmsnorm_group_quant_kernelIDF16_DB8_Li128ELi16ELi2ELb1ELb0ELb1ELb0ELb0ELb0EEEvPT0_PvPT_S6_S6_PKS5_S8_S8_S8_S8_ffiiiiiiiiiiiii
; %bb.0:
	s_load_dwordx8 s[12:19], s[4:5], 0x50
	s_waitcnt lgkmcnt(0)
	s_cmp_ge_i32 s6, s14
	s_cbranch_scc1 .LBB721_17
; %bb.1:
	s_cmp_lg_u32 s7, 0
	s_cselect_b64 s[10:11], -1, 0
	s_cmp_eq_u32 s7, 0
	s_cselect_b64 s[8:9], -1, 0
	s_and_b64 s[0:1], s[8:9], exec
	s_load_dwordx2 s[20:21], s[4:5], 0x48
	s_load_dwordx2 s[36:37], s[4:5], 0x30
	s_load_dwordx4 s[24:27], s[4:5], 0x70
	s_cselect_b32 s7, s15, s16
	s_add_i32 s0, s7, 1
	s_lshr_b32 s1, s0, 31
	s_add_i32 s0, s0, s1
	s_lshl_b32 s0, s0, 1
	v_lshlrev_b32_e32 v1, 4, v0
	s_and_b32 s30, s0, -4
	v_cmp_gt_i32_e64 s[0:1], s7, v1
	v_mov_b32_e32 v76, 0
	v_mov_b32_e32 v77, 0
	;; [unrolled: 1-line block ×16, first 2 shown]
	s_and_saveexec_b64 s[2:3], s[0:1]
	s_cbranch_execz .LBB721_3
; %bb.2:
	s_load_dwordx2 s[22:23], s[4:5], 0x28
	s_load_dwordx2 s[28:29], s[4:5], 0x40
	s_and_b64 s[34:35], s[8:9], exec
	s_cselect_b32 s14, s17, s18
	s_mov_b32 s31, 0x20000
	s_waitcnt lgkmcnt(0)
	s_cselect_b32 s17, s23, s37
	s_cselect_b32 s27, s22, s36
	s_mul_hi_i32 s23, s14, s6
	s_mul_i32 s22, s14, s6
	s_lshl_b64 s[22:23], s[22:23], 1
	s_add_u32 s40, s27, s22
	s_addc_u32 s14, s17, s23
	s_and_b64 s[22:23], s[8:9], exec
	s_cselect_b32 s28, s28, s20
	s_cselect_b32 s17, s29, s21
	s_and_b32 s41, s14, 0xffff
	s_mov_b32 s42, s30
	s_mov_b32 s43, s31
	v_lshlrev_b32_e32 v2, 5, v0
	s_and_b32 s29, s17, 0xffff
	buffer_load_dwordx4 v[80:83], v2, s[40:43], 0 offen
	buffer_load_dwordx4 v[84:87], v2, s[40:43], 16 offen
	;; [unrolled: 1-line block ×4, first 2 shown]
.LBB721_3:
	s_or_b64 exec, exec, s[2:3]
	s_load_dwordx2 s[34:35], s[4:5], 0x80
	s_and_b64 vcc, exec, s[10:11]
	s_cbranch_vccz .LBB721_7
; %bb.4:
	v_mov_b32_e32 v89, 0
	v_mov_b32_e32 v88, 0
	;; [unrolled: 1-line block ×16, first 2 shown]
	s_and_saveexec_b64 s[2:3], s[0:1]
	s_cbranch_execz .LBB721_6
; %bb.5:
	s_waitcnt vmcnt(3)
	v_cvt_f32_f16_sdwa v49, v80 dst_sel:DWORD dst_unused:UNUSED_PAD src0_sel:WORD_1
	v_cvt_f32_f16_e32 v48, v80
	v_cvt_f32_f16_sdwa v35, v81 dst_sel:DWORD dst_unused:UNUSED_PAD src0_sel:WORD_1
	v_cvt_f32_f16_e32 v34, v81
	;; [unrolled: 2-line block ×4, first 2 shown]
	s_waitcnt vmcnt(2)
	v_cvt_f32_f16_sdwa v65, v84 dst_sel:DWORD dst_unused:UNUSED_PAD src0_sel:WORD_1
	v_cvt_f32_f16_e32 v64, v84
	v_cvt_f32_f16_sdwa v19, v85 dst_sel:DWORD dst_unused:UNUSED_PAD src0_sel:WORD_1
	v_cvt_f32_f16_e32 v18, v85
	;; [unrolled: 2-line block ×4, first 2 shown]
.LBB721_6:
	s_or_b64 exec, exec, s[2:3]
	s_cbranch_execz .LBB721_8
	s_branch .LBB721_11
.LBB721_7:
                                        ; implicit-def: $vgpr32_vgpr33_vgpr34_vgpr35_vgpr36_vgpr37_vgpr38_vgpr39_vgpr40_vgpr41_vgpr42_vgpr43_vgpr44_vgpr45_vgpr46_vgpr47
                                        ; implicit-def: $vgpr48_vgpr49_vgpr50_vgpr51_vgpr52_vgpr53_vgpr54_vgpr55_vgpr56_vgpr57_vgpr58_vgpr59_vgpr60_vgpr61_vgpr62_vgpr63
                                        ; implicit-def: $vgpr18_vgpr19_vgpr20_vgpr21_vgpr22_vgpr23_vgpr24_vgpr25_vgpr26_vgpr27_vgpr28_vgpr29_vgpr30_vgpr31_vgpr32_vgpr33
                                        ; implicit-def: $vgpr50_vgpr51_vgpr52_vgpr53_vgpr54_vgpr55_vgpr56_vgpr57_vgpr58_vgpr59_vgpr60_vgpr61_vgpr62_vgpr63_vgpr64_vgpr65
                                        ; implicit-def: $vgpr89
                                        ; implicit-def: $vgpr8_vgpr9_vgpr10_vgpr11_vgpr12_vgpr13_vgpr14_vgpr15_vgpr16_vgpr17_vgpr18_vgpr19_vgpr20_vgpr21_vgpr22_vgpr23
                                        ; implicit-def: $vgpr56_vgpr57_vgpr58_vgpr59_vgpr60_vgpr61_vgpr62_vgpr63_vgpr64_vgpr65_vgpr66_vgpr67_vgpr68_vgpr69_vgpr70_vgpr71
                                        ; implicit-def: $vgpr2_vgpr3_vgpr4_vgpr5_vgpr6_vgpr7_vgpr8_vgpr9_vgpr10_vgpr11_vgpr12_vgpr13_vgpr14_vgpr15_vgpr16_vgpr17
.LBB721_8:
	v_mov_b32_e32 v89, 0
	v_mov_b32_e32 v88, 0
	;; [unrolled: 1-line block ×16, first 2 shown]
	s_and_saveexec_b64 s[2:3], s[0:1]
	s_cbranch_execz .LBB721_10
; %bb.9:
	s_load_dwordx2 s[22:23], s[4:5], 0x38
	s_mul_hi_i32 s29, s19, s6
	s_mul_i32 s28, s19, s6
	s_lshl_b64 s[28:29], s[28:29], 1
	s_mov_b32 s31, 0x20000
	s_waitcnt lgkmcnt(0)
	s_add_u32 s28, s22, s28
	s_addc_u32 s14, s23, s29
	s_and_b32 s29, s14, 0xffff
	v_lshlrev_b32_e32 v38, 5, v0
	buffer_load_dwordx4 v[6:9], v38, s[28:31], 16 offen
	buffer_load_dwordx4 v[10:13], v38, s[28:31], 0 offen
	s_waitcnt vmcnt(5)
	v_cvt_f32_f16_sdwa v23, v82 dst_sel:DWORD dst_unused:UNUSED_PAD src0_sel:WORD_1
	v_cvt_f32_f16_e32 v22, v82
	v_cvt_f32_f16_sdwa v25, v83 dst_sel:DWORD dst_unused:UNUSED_PAD src0_sel:WORD_1
	v_cvt_f32_f16_e32 v24, v83
	;; [unrolled: 2-line block ×4, first 2 shown]
	s_load_dwordx2 s[22:23], s[4:5], 0x20
	s_waitcnt vmcnt(4)
	v_cvt_f32_f16_sdwa v3, v84 dst_sel:DWORD dst_unused:UNUSED_PAD src0_sel:WORD_1
	v_cvt_f32_f16_e32 v2, v84
	v_cvt_f32_f16_sdwa v5, v85 dst_sel:DWORD dst_unused:UNUSED_PAD src0_sel:WORD_1
	v_cvt_f32_f16_e32 v4, v85
	;; [unrolled: 2-line block ×4, first 2 shown]
	s_mul_hi_i32 s29, s35, s6
	s_mul_i32 s28, s35, s6
	s_lshl_b64 s[28:29], s[28:29], 1
	s_waitcnt lgkmcnt(0)
	s_add_u32 s28, s22, s28
	s_addc_u32 s14, s23, s29
	s_and_b32 s29, s14, 0xffff
	s_waitcnt vmcnt(1)
	v_cvt_f32_f16_e32 v26, v6
	v_cvt_f32_f16_sdwa v27, v6 dst_sel:DWORD dst_unused:UNUSED_PAD src0_sel:WORD_1
	v_cvt_f32_f16_e32 v28, v7
	v_cvt_f32_f16_sdwa v29, v7 dst_sel:DWORD dst_unused:UNUSED_PAD src0_sel:WORD_1
	;; [unrolled: 2-line block ×4, first 2 shown]
	s_waitcnt vmcnt(0)
	v_cvt_f32_f16_e32 v6, v12
	v_cvt_f32_f16_sdwa v7, v12 dst_sel:DWORD dst_unused:UNUSED_PAD src0_sel:WORD_1
	v_cvt_f32_f16_e32 v8, v13
	v_cvt_f32_f16_sdwa v9, v13 dst_sel:DWORD dst_unused:UNUSED_PAD src0_sel:WORD_1
	;; [unrolled: 2-line block ×4, first 2 shown]
	v_pk_add_f32 v[54:55], v[22:23], v[6:7]
	v_pk_add_f32 v[24:25], v[24:25], v[8:9]
	v_cvt_f16_f32_e32 v6, v55
	v_cvt_f16_f32_e32 v7, v25
	;; [unrolled: 1-line block ×4, first 2 shown]
	v_pk_add_f32 v[34:35], v[20:21], v[10:11]
	v_pk_add_f32 v[48:49], v[18:19], v[36:37]
	v_pack_b32_f16 v9, v8, v7
	v_pack_b32_f16 v8, v12, v6
	v_cvt_f16_f32_e32 v6, v35
	v_cvt_f16_f32_e32 v7, v34
	;; [unrolled: 1-line block ×3, first 2 shown]
	v_pk_add_f32 v[88:89], v[16:17], v[32:33]
	v_pk_add_f32 v[14:15], v[14:15], v[30:31]
	v_pack_b32_f16 v7, v7, v6
	v_cvt_f16_f32_e32 v6, v49
	v_pk_add_f32 v[18:19], v[4:5], v[28:29]
	v_pk_add_f32 v[64:65], v[2:3], v[26:27]
	v_cvt_f16_f32_e32 v4, v18
	v_pack_b32_f16 v6, v10, v6
	buffer_store_dwordx4 v[6:9], v38, s[28:31], 0 offen
	v_cvt_f16_f32_e32 v5, v19
	v_cvt_f16_f32_e32 v6, v14
	;; [unrolled: 1-line block ×7, first 2 shown]
	v_pack_b32_f16 v7, v7, v8
	v_pack_b32_f16 v6, v6, v9
	;; [unrolled: 1-line block ×4, first 2 shown]
	;;#ASMSTART
	s_nop 0
	;;#ASMEND
	buffer_store_dwordx4 v[4:7], v38, s[28:31], 16 offen
	;;#ASMSTART
	s_nop 0
	;;#ASMEND
.LBB721_10:
	s_or_b64 exec, exec, s[2:3]
.LBB721_11:
	v_mul_f32_e32 v2, v49, v49
	v_fmac_f32_e32 v2, v48, v48
	v_fmac_f32_e32 v2, v34, v34
	;; [unrolled: 1-line block ×15, first 2 shown]
	s_nop 1
	v_mov_b32_dpp v3, v2 quad_perm:[1,0,3,2] row_mask:0xf bank_mask:0xf
	v_add_f32_e32 v2, v2, v3
	s_nop 1
	v_mov_b32_dpp v3, v2 quad_perm:[2,3,0,1] row_mask:0xf bank_mask:0xf
	v_add_f32_e32 v2, v2, v3
	s_nop 1
	v_mov_b32_dpp v3, v2 row_half_mirror row_mask:0xf bank_mask:0xf
	v_add_f32_e32 v2, v2, v3
	s_nop 1
	v_mov_b32_dpp v3, v2 row_mirror row_mask:0xf bank_mask:0xf
	v_add_f32_e32 v2, v2, v3
	s_nop 1
	v_mov_b32_dpp v3, v2 row_bcast:15 row_mask:0xf bank_mask:0xf
	v_add_f32_e32 v2, v2, v3
	v_and_b32_e32 v3, 63, v0
	v_cmp_eq_u32_e64 s[2:3], 63, v3
	s_nop 0
	v_mov_b32_dpp v3, v2 row_bcast:31 row_mask:0xf bank_mask:0xf
	s_and_saveexec_b64 s[22:23], s[2:3]
	s_cbranch_execz .LBB721_13
; %bb.12:
	v_add_f32_e32 v2, v2, v3
	v_lshrrev_b32_e32 v3, 4, v0
	v_and_b32_e32 v3, 60, v3
	ds_write_b32 v3, v2 offset:8
.LBB721_13:
	s_or_b64 exec, exec, s[22:23]
	v_and_b32_e32 v2, 1, v0
	v_lshlrev_b32_e32 v36, 2, v2
	s_waitcnt lgkmcnt(0)
	s_barrier
	ds_read_b32 v3, v36 offset:8
	s_load_dwordx2 s[38:39], s[4:5], 0x18
	s_waitcnt lgkmcnt(0)
	v_mov_b32_dpp v4, v3 quad_perm:[1,0,3,2] row_mask:0xf bank_mask:0xf
	s_and_saveexec_b64 s[22:23], s[0:1]
	s_cbranch_execnz .LBB721_18
; %bb.14:
	s_or_b64 exec, exec, s[22:23]
	s_mov_b64 s[8:9], -1
	s_and_b64 vcc, exec, s[10:11]
	s_cbranch_vccnz .LBB721_19
.LBB721_15:
	s_andn2_b64 vcc, exec, s[8:9]
	s_cbranch_vccz .LBB721_22
.LBB721_16:
	s_cmp_lt_i32 s16, 1
	s_cbranch_scc0 .LBB721_29
.LBB721_17:
	s_endpgm
.LBB721_18:
	v_add_f32_e32 v3, v3, v4
	v_cvt_f32_u32_e32 v4, s7
	s_mov_b32 s7, 0x800000
	s_waitcnt vmcnt(1)
	v_cvt_f32_f16_sdwa v21, v76 dst_sel:DWORD dst_unused:UNUSED_PAD src0_sel:WORD_1
	v_cvt_f32_f16_e32 v20, v76
	v_div_scale_f32 v5, s[28:29], v4, v4, v3
	v_rcp_f32_e32 v6, v5
	v_pk_add_f32 v[20:21], v[20:21], 1.0 op_sel_hi:[1,0]
	v_cvt_f32_f16_sdwa v23, v79 dst_sel:DWORD dst_unused:UNUSED_PAD src0_sel:WORD_1
	v_cvt_f32_f16_e32 v22, v79
	v_fma_f32 v7, -v5, v6, 1.0
	v_fmac_f32_e32 v6, v7, v6
	v_div_scale_f32 v7, vcc, v3, v4, v3
	v_mul_f32_e32 v8, v7, v6
	v_fma_f32 v9, -v5, v8, v7
	v_fmac_f32_e32 v8, v9, v6
	v_fma_f32 v5, -v5, v8, v7
	v_div_fmas_f32 v5, v5, v6, v8
	v_div_fixup_f32 v3, v5, v4, v3
	v_mov_b32_e32 v4, s13
	v_mov_b32_e32 v5, s12
	v_cndmask_b32_e64 v4, v4, v5, s[8:9]
	v_add_f32_e32 v3, v4, v3
	v_mul_f32_e32 v4, 0x4b800000, v3
	v_cmp_gt_f32_e32 vcc, s7, v3
	v_cndmask_b32_e32 v3, v3, v4, vcc
	v_rsq_f32_e32 v3, v3
	s_waitcnt vmcnt(0)
	v_cvt_f32_f16_sdwa v27, v75 dst_sel:DWORD dst_unused:UNUSED_PAD src0_sel:WORD_1
	v_cvt_f32_f16_e32 v26, v75
	v_mul_f32_e32 v4, 0x45800000, v3
	v_cndmask_b32_e32 v4, v3, v4, vcc
	v_mov_b32_e32 v5, v4
	;;#ASMSTART
	v_pk_mul_f32 v[6:7], v[48:49], v[4:5]
	;;#ASMEND
	;;#ASMSTART
	v_pk_mul_f32 v[8:9], v[34:35], v[4:5]
	;;#ASMEND
	;; [unrolled: 3-line block ×9, first 2 shown]
	v_cvt_f32_f16_sdwa v7, v77 dst_sel:DWORD dst_unused:UNUSED_PAD src0_sel:WORD_1
	v_cvt_f32_f16_e32 v6, v77
	v_cvt_f32_f16_sdwa v21, v78 dst_sel:DWORD dst_unused:UNUSED_PAD src0_sel:WORD_1
	v_cvt_f32_f16_e32 v20, v78
	v_cvt_f32_f16_sdwa v25, v74 dst_sel:DWORD dst_unused:UNUSED_PAD src0_sel:WORD_1
	v_pk_add_f32 v[6:7], v[6:7], 1.0 op_sel_hi:[1,0]
	;;#ASMSTART
	v_pk_mul_f32 v[34:35], v[8:9], v[6:7]
	;;#ASMEND
	v_pk_add_f32 v[6:7], v[20:21], 1.0 op_sel_hi:[1,0]
	v_pk_add_f32 v[8:9], v[22:23], 1.0 op_sel_hi:[1,0]
	v_cvt_f32_f16_sdwa v21, v72 dst_sel:DWORD dst_unused:UNUSED_PAD src0_sel:WORD_1
	v_cvt_f32_f16_e32 v20, v72
	v_cvt_f32_f16_sdwa v23, v73 dst_sel:DWORD dst_unused:UNUSED_PAD src0_sel:WORD_1
	v_cvt_f32_f16_e32 v22, v73
	v_cvt_f32_f16_e32 v24, v74
	v_pk_add_f32 v[20:21], v[20:21], 1.0 op_sel_hi:[1,0]
	v_pk_add_f32 v[26:27], v[26:27], 1.0 op_sel_hi:[1,0]
	;; [unrolled: 1-line block ×4, first 2 shown]
	;;#ASMSTART
	v_pk_mul_f32 v[54:55], v[10:11], v[6:7]
	;;#ASMEND
	;;#ASMSTART
	v_pk_mul_f32 v[24:25], v[12:13], v[8:9]
	;;#ASMEND
	;;#ASMSTART
	v_pk_mul_f32 v[64:65], v[16:17], v[20:21]
	;;#ASMEND
	;;#ASMSTART
	v_pk_mul_f32 v[18:19], v[18:19], v[22:23]
	;;#ASMEND
	;;#ASMSTART
	v_pk_mul_f32 v[14:15], v[14:15], v[28:29]
	;;#ASMEND
	;;#ASMSTART
	v_pk_mul_f32 v[88:89], v[4:5], v[26:27]
	;;#ASMEND
	s_or_b64 exec, exec, s[22:23]
	s_mov_b64 s[8:9], -1
	s_and_b64 vcc, exec, s[10:11]
	s_cbranch_vccz .LBB721_15
.LBB721_19:
	s_and_saveexec_b64 s[8:9], s[0:1]
	s_cbranch_execz .LBB721_21
; %bb.20:
	v_cvt_f16_f32_e32 v3, v54
	v_cvt_f16_f32_e32 v4, v24
	;; [unrolled: 1-line block ×4, first 2 shown]
	s_mul_hi_i32 s11, s34, s6
	s_mul_i32 s10, s34, s6
	v_pack_b32_f16 v7, v4, v5
	v_pack_b32_f16 v6, v3, v6
	v_cvt_f16_f32_e32 v3, v34
	v_cvt_f16_f32_e32 v4, v35
	s_lshl_b64 s[10:11], s[10:11], 1
	s_add_u32 s28, s38, s10
	s_addc_u32 s7, s39, s11
	v_pack_b32_f16 v5, v3, v4
	v_cvt_f16_f32_e32 v3, v48
	v_cvt_f16_f32_e32 v4, v49
	s_and_b32 s29, s7, 0xffff
	s_mov_b32 s31, 0x20000
	v_cvt_f16_f32_e32 v8, v15
	v_pack_b32_f16 v4, v3, v4
	v_lshlrev_b32_e32 v3, 5, v0
	buffer_store_dwordx4 v[4:7], v3, s[28:31], 0 offen
	;;#ASMSTART
	s_nop 0
	;;#ASMEND
	s_nop 0
	v_cvt_f16_f32_e32 v4, v14
	v_cvt_f16_f32_e32 v5, v88
	;; [unrolled: 1-line block ×3, first 2 shown]
	v_pack_b32_f16 v7, v5, v6
	v_pack_b32_f16 v6, v4, v8
	v_cvt_f16_f32_e32 v4, v18
	v_cvt_f16_f32_e32 v5, v19
	;; [unrolled: 1-line block ×3, first 2 shown]
	v_pack_b32_f16 v5, v4, v5
	v_cvt_f16_f32_e32 v4, v64
	v_pack_b32_f16 v4, v4, v8
	buffer_store_dwordx4 v[4:7], v3, s[28:31], 16 offen
	;;#ASMSTART
	s_nop 0
	;;#ASMEND
.LBB721_21:
	s_or_b64 exec, exec, s[8:9]
	s_cbranch_execnz .LBB721_16
.LBB721_22:
	v_mov_b32_e32 v3, 0
	s_and_saveexec_b64 s[8:9], s[0:1]
	s_cbranch_execz .LBB721_24
; %bb.23:
	v_and_b32_e32 v3, 0x7fffffff, v48
	v_and_b32_e32 v4, 0x7fffffff, v49
	v_mov_b32_e32 v5, 0x2edbe6ff
	;;#ASMSTART
	v_max3_f32 v3, v5, v3, v4

	;;#ASMEND
	v_and_b32_e32 v4, 0x7fffffff, v34
	v_and_b32_e32 v5, 0x7fffffff, v35
	;;#ASMSTART
	v_max3_f32 v3, v3, v4, v5

	;;#ASMEND
	v_and_b32_e32 v4, 0x7fffffff, v54
	v_and_b32_e32 v5, 0x7fffffff, v55
	;; [unrolled: 6-line block ×7, first 2 shown]
	;;#ASMSTART
	v_max3_f32 v3, v3, v4, v5

	;;#ASMEND
.LBB721_24:
	s_or_b64 exec, exec, s[8:9]
	v_cmp_eq_u32_e32 vcc, 0, v2
	v_cmp_gt_i32_e64 s[8:9], s15, v1
	;;#ASMSTART
	v_max_f32 v4, v3, v3 quad_perm:[1,0,3,2] row_mask:0xf bank_mask:0xf bound_ctrl:1
	;;#ASMEND
	v_mul_f32_e32 v3, 0x3b124925, v4
	s_and_b64 s[10:11], vcc, s[8:9]
	s_and_saveexec_b64 s[8:9], s[10:11]
	s_cbranch_execz .LBB721_26
; %bb.25:
	s_load_dwordx2 s[10:11], s[4:5], 0x8
	s_mul_hi_i32 s23, s25, s6
	s_mul_i32 s22, s25, s6
	v_lshrrev_b32_e32 v2, 1, v0
	s_lshl_b64 s[22:23], s[22:23], 2
	v_mad_i64_i32 v[4:5], s[26:27], s26, v2, 0
	s_waitcnt lgkmcnt(0)
	s_add_u32 s7, s10, s22
	s_addc_u32 s10, s11, s23
	v_lshlrev_b64 v[4:5], 2, v[4:5]
	v_mov_b32_e32 v2, s10
	v_add_co_u32_e32 v4, vcc, s7, v4
	v_addc_co_u32_e32 v5, vcc, v2, v5, vcc
	global_store_dword v[4:5], v3, off
.LBB721_26:
	s_or_b64 exec, exec, s[8:9]
	;;#ASMSTART
	v_rcp_f32 v2, v3
	;;#ASMEND
	s_and_saveexec_b64 s[22:23], s[0:1]
	s_cbranch_execz .LBB721_28
; %bb.27:
	v_mov_b32_e32 v3, v2
	;;#ASMSTART
	v_pk_mul_f32 v[4:5], v[48:49], v[2:3]
	;;#ASMEND
	v_mov_b32_e32 v10, 0xc3e00000
	v_mov_b32_e32 v11, 0x43e00000
	;;#ASMSTART
	v_med3_f32 v4, v4, v10, v11
v_med3_f32 v5, v5, v10, v11
v_cvt_pk_fp8_f32 v6, v4, v5
	;;#ASMEND
	;;#ASMSTART
	v_pk_mul_f32 v[4:5], v[34:35], v[2:3]
	;;#ASMEND
	;;#ASMSTART
	v_med3_f32 v4, v4, v10, v11
v_med3_f32 v5, v5, v10, v11
v_cvt_pk_fp8_f32 v7, v4, v5
	;;#ASMEND
	;;#ASMSTART
	v_pk_mul_f32 v[4:5], v[54:55], v[2:3]
	;;#ASMEND
	;;#ASMSTART
	v_med3_f32 v4, v4, v10, v11
v_med3_f32 v5, v5, v10, v11
v_cvt_pk_fp8_f32 v8, v4, v5
	;;#ASMEND
	;;#ASMSTART
	v_pk_mul_f32 v[4:5], v[24:25], v[2:3]
	;;#ASMEND
	;;#ASMSTART
	v_med3_f32 v4, v4, v10, v11
v_med3_f32 v5, v5, v10, v11
v_cvt_pk_fp8_f32 v9, v4, v5
	;;#ASMEND
	s_mov_b32 s0, 0x5040100
	v_perm_b32 v4, v7, v6, s0
	s_mov_b32 s0, 0x1060504
	v_perm_b32 v4, v4, v7, s0
	s_load_dwordx2 s[0:1], s[4:5], 0x0
	s_mov_b32 s7, 0x1000504
	;;#ASMSTART
	v_pk_mul_f32 v[6:7], v[64:65], v[2:3]
	;;#ASMEND
	v_perm_b32 v5, v8, v9, s7
	s_mul_i32 s8, s24, s6
	;;#ASMSTART
	v_med3_f32 v6, v6, v10, v11
v_med3_f32 v7, v7, v10, v11
v_cvt_pk_fp8_f32 v8, v6, v7
	;;#ASMEND
	s_mul_hi_i32 s9, s24, s6
	s_waitcnt lgkmcnt(0)
	s_add_u32 s8, s0, s8
	;;#ASMSTART
	v_pk_mul_f32 v[6:7], v[18:19], v[2:3]
	;;#ASMEND
	s_addc_u32 s0, s1, s9
	s_add_i32 s1, s15, 3
	;;#ASMSTART
	v_med3_f32 v6, v6, v10, v11
v_med3_f32 v7, v7, v10, v11
v_cvt_pk_fp8_f32 v9, v6, v7
	;;#ASMEND
	s_ashr_i32 s9, s1, 31
	v_perm_b32 v6, v8, v9, s7
	;;#ASMSTART
	v_pk_mul_f32 v[8:9], v[14:15], v[2:3]
	;;#ASMEND
	v_mov_b32_e32 v7, v9
	s_lshr_b32 s9, s9, 30
	;;#ASMSTART
	v_med3_f32 v8, v8, v10, v11
v_med3_f32 v7, v7, v10, v11
v_cvt_pk_fp8_f32 v9, v8, v7
	;;#ASMEND
	;;#ASMSTART
	v_pk_mul_f32 v[2:3], v[88:89], v[2:3]
	;;#ASMEND
	s_add_i32 s1, s1, s9
	;;#ASMSTART
	v_med3_f32 v2, v2, v10, v11
v_med3_f32 v3, v3, v10, v11
v_cvt_pk_fp8_f32 v7, v2, v3
	;;#ASMEND
	s_and_b32 s10, s1, -4
	s_and_b32 s9, s0, 0xffff
	s_mov_b32 s11, 0x20000
	v_perm_b32 v7, v9, v7, s7
	buffer_store_dwordx4 v[4:7], v1, s[8:11], 0 offen
	;;#ASMSTART
	s_nop 0
	;;#ASMEND
.LBB721_28:
	s_or_b64 exec, exec, s[22:23]
	s_cmp_lt_i32 s16, 1
	s_cbranch_scc1 .LBB721_17
.LBB721_29:
	s_load_dword s0, s[4:5], 0x94
	s_waitcnt lgkmcnt(0)
	s_cmp_lg_u32 s0, 1
	s_cbranch_scc1 .LBB721_17
; %bb.30:
	s_lshl_b32 s0, s16, 1
	s_add_i32 s0, s0, 2
	v_cmp_gt_u32_e32 vcc, s16, v1
	s_and_b32 s22, s0, -4
	v_mov_b32_e32 v18, 0
	v_lshlrev_b32_e32 v1, 5, v0
	v_mov_b32_e32 v14, 0
	v_mov_b32_e32 v15, 0
	;; [unrolled: 1-line block ×16, first 2 shown]
	s_barrier
	s_and_saveexec_b64 s[0:1], vcc
	s_cbranch_execz .LBB721_32
; %bb.31:
	s_mul_hi_i32 s5, s18, s6
	s_mul_i32 s4, s18, s6
	s_and_b32 s21, s21, 0xffff
	s_lshl_b64 s[4:5], s[4:5], 1
	s_add_u32 s8, s36, s4
	s_mov_b32 s23, 0x20000
	s_addc_u32 s4, s37, s5
	s_and_b32 s9, s4, 0xffff
	s_mov_b32 s10, s22
	s_mov_b32 s11, s23
	buffer_load_dwordx4 v[14:17], v1, s[8:11], 0 offen
	buffer_load_dwordx4 v[10:13], v1, s[8:11], 16 offen
	;; [unrolled: 1-line block ×4, first 2 shown]
.LBB721_32:
	s_or_b64 exec, exec, s[0:1]
	v_mov_b32_e32 v19, 0
	v_mov_b32_e32 v32, 0
	;; [unrolled: 1-line block ×15, first 2 shown]
	s_and_saveexec_b64 s[0:1], vcc
	s_cbranch_execz .LBB721_34
; %bb.33:
	s_waitcnt vmcnt(3)
	v_cvt_f32_f16_sdwa v19, v14 dst_sel:DWORD dst_unused:UNUSED_PAD src0_sel:WORD_1
	v_cvt_f32_f16_e32 v18, v14
	v_cvt_f32_f16_sdwa v33, v15 dst_sel:DWORD dst_unused:UNUSED_PAD src0_sel:WORD_1
	v_cvt_f32_f16_e32 v32, v15
	;; [unrolled: 2-line block ×4, first 2 shown]
	s_waitcnt vmcnt(2)
	v_cvt_f32_f16_sdwa v27, v10 dst_sel:DWORD dst_unused:UNUSED_PAD src0_sel:WORD_1
	v_cvt_f32_f16_e32 v26, v10
	v_cvt_f32_f16_sdwa v25, v11 dst_sel:DWORD dst_unused:UNUSED_PAD src0_sel:WORD_1
	v_cvt_f32_f16_e32 v24, v11
	;; [unrolled: 2-line block ×4, first 2 shown]
.LBB721_34:
	s_or_b64 exec, exec, s[0:1]
	s_waitcnt vmcnt(2)
	v_mul_f32_e32 v10, v19, v19
	v_fmac_f32_e32 v10, v18, v18
	v_fmac_f32_e32 v10, v32, v32
	;; [unrolled: 1-line block ×15, first 2 shown]
	s_nop 1
	v_mov_b32_dpp v11, v10 quad_perm:[1,0,3,2] row_mask:0xf bank_mask:0xf
	v_add_f32_e32 v10, v10, v11
	s_nop 1
	v_mov_b32_dpp v11, v10 quad_perm:[2,3,0,1] row_mask:0xf bank_mask:0xf
	v_add_f32_e32 v10, v10, v11
	s_nop 1
	v_mov_b32_dpp v11, v10 row_half_mirror row_mask:0xf bank_mask:0xf
	v_add_f32_e32 v10, v10, v11
	s_nop 1
	v_mov_b32_dpp v11, v10 row_mirror row_mask:0xf bank_mask:0xf
	v_add_f32_e32 v10, v10, v11
	s_nop 1
	v_mov_b32_dpp v11, v10 row_bcast:15 row_mask:0xf bank_mask:0xf
	v_add_f32_e32 v10, v10, v11
	s_nop 1
	v_mov_b32_dpp v11, v10 row_bcast:31 row_mask:0xf bank_mask:0xf
	s_and_saveexec_b64 s[0:1], s[2:3]
	s_cbranch_execz .LBB721_36
; %bb.35:
	v_lshrrev_b32_e32 v0, 4, v0
	v_add_f32_e32 v10, v10, v11
	v_and_b32_e32 v0, 60, v0
	ds_write_b32 v0, v10
.LBB721_36:
	s_or_b64 exec, exec, s[0:1]
	s_waitcnt lgkmcnt(0)
	s_barrier
	ds_read_b32 v0, v36
	s_waitcnt lgkmcnt(0)
	s_nop 0
	v_mov_b32_dpp v10, v0 quad_perm:[1,0,3,2] row_mask:0xf bank_mask:0xf
	s_and_saveexec_b64 s[0:1], vcc
	s_cbranch_execz .LBB721_17
; %bb.37:
	v_cvt_f32_u32_e32 v11, s16
	v_add_f32_e32 v0, v0, v10
	s_mov_b32 s23, 0x20000
	v_div_scale_f32 v10, s[0:1], v11, v11, v0
	v_rcp_f32_e32 v12, v10
	v_div_scale_f32 v13, vcc, v0, v11, v0
	s_mov_b32 s0, 0x800000
	v_fma_f32 v14, -v10, v12, 1.0
	v_fmac_f32_e32 v12, v14, v12
	v_mul_f32_e32 v14, v13, v12
	v_fma_f32 v15, -v10, v14, v13
	v_fmac_f32_e32 v14, v15, v12
	v_fma_f32 v10, -v10, v14, v13
	v_div_fmas_f32 v10, v10, v12, v14
	v_div_fixup_f32 v0, v10, v11, v0
	v_add_f32_e32 v0, s13, v0
	v_mul_f32_e32 v10, 0x4b800000, v0
	v_cmp_gt_f32_e32 vcc, s0, v0
	v_cndmask_b32_e32 v0, v0, v10, vcc
	v_rsq_f32_e32 v0, v0
	s_mul_hi_i32 s1, s34, s6
	s_mul_i32 s0, s34, s6
	s_lshl_b64 s[0:1], s[0:1], 1
	v_mul_f32_e32 v10, 0x45800000, v0
	v_cndmask_b32_e32 v10, v0, v10, vcc
	v_mov_b32_e32 v11, v10
	;;#ASMSTART
	v_pk_mul_f32 v[12:13], v[18:19], v[10:11]
	;;#ASMEND
	;;#ASMSTART
	v_pk_mul_f32 v[14:15], v[32:33], v[10:11]
	;;#ASMEND
	;; [unrolled: 3-line block ×4, first 2 shown]
	s_waitcnt vmcnt(1)
	v_cvt_f32_f16_sdwa v29, v6 dst_sel:DWORD dst_unused:UNUSED_PAD src0_sel:WORD_1
	v_cvt_f32_f16_e32 v28, v6
	v_cvt_f32_f16_sdwa v31, v7 dst_sel:DWORD dst_unused:UNUSED_PAD src0_sel:WORD_1
	v_cvt_f32_f16_e32 v30, v7
	;;#ASMSTART
	v_pk_mul_f32 v[26:27], v[26:27], v[10:11]
	;;#ASMEND
	;;#ASMSTART
	v_pk_mul_f32 v[24:25], v[24:25], v[10:11]
	;;#ASMEND
	;;#ASMSTART
	v_pk_mul_f32 v[22:23], v[22:23], v[10:11]
	;;#ASMEND
	;;#ASMSTART
	v_pk_mul_f32 v[6:7], v[20:21], v[10:11]
	;;#ASMEND
	v_cvt_f32_f16_sdwa v21, v8 dst_sel:DWORD dst_unused:UNUSED_PAD src0_sel:WORD_1
	v_cvt_f32_f16_e32 v20, v8
	v_pk_add_f32 v[10:11], v[28:29], 1.0 op_sel_hi:[1,0]
	;;#ASMSTART
	v_pk_mul_f32 v[10:11], v[12:13], v[10:11]
	;;#ASMEND
	v_pk_add_f32 v[12:13], v[30:31], 1.0 op_sel_hi:[1,0]
	v_cvt_f32_f16_sdwa v29, v9 dst_sel:DWORD dst_unused:UNUSED_PAD src0_sel:WORD_1
	v_cvt_f32_f16_e32 v28, v9
	;;#ASMSTART
	v_pk_mul_f32 v[8:9], v[14:15], v[12:13]
	;;#ASMEND
	v_pk_add_f32 v[12:13], v[20:21], 1.0 op_sel_hi:[1,0]
	;;#ASMSTART
	v_pk_mul_f32 v[12:13], v[16:17], v[12:13]
	;;#ASMEND
	s_waitcnt vmcnt(0)
	v_cvt_f32_f16_sdwa v17, v2 dst_sel:DWORD dst_unused:UNUSED_PAD src0_sel:WORD_1
	v_cvt_f32_f16_e32 v16, v2
	v_cvt_f32_f16_sdwa v21, v3 dst_sel:DWORD dst_unused:UNUSED_PAD src0_sel:WORD_1
	v_cvt_f32_f16_e32 v20, v3
	v_pk_add_f32 v[14:15], v[28:29], 1.0 op_sel_hi:[1,0]
	;;#ASMSTART
	v_pk_mul_f32 v[2:3], v[18:19], v[14:15]
	;;#ASMEND
	v_cvt_f32_f16_sdwa v19, v4 dst_sel:DWORD dst_unused:UNUSED_PAD src0_sel:WORD_1
	v_cvt_f32_f16_e32 v18, v4
	v_pk_add_f32 v[14:15], v[16:17], 1.0 op_sel_hi:[1,0]
	v_pk_add_f32 v[16:17], v[20:21], 1.0 op_sel_hi:[1,0]
	v_cvt_f32_f16_sdwa v21, v5 dst_sel:DWORD dst_unused:UNUSED_PAD src0_sel:WORD_1
	v_cvt_f32_f16_e32 v20, v5
	v_pk_add_f32 v[4:5], v[18:19], 1.0 op_sel_hi:[1,0]
	;;#ASMSTART
	v_pk_mul_f32 v[14:15], v[26:27], v[14:15]
	;;#ASMEND
	;;#ASMSTART
	v_pk_mul_f32 v[16:17], v[24:25], v[16:17]
	;;#ASMEND
	;; [unrolled: 3-line block ×3, first 2 shown]
	v_pk_add_f32 v[4:5], v[20:21], 1.0 op_sel_hi:[1,0]
	;;#ASMSTART
	v_pk_mul_f32 v[6:7], v[6:7], v[4:5]
	;;#ASMEND
	v_cvt_f16_f32_e32 v0, v10
	v_cvt_f16_f32_e32 v4, v11
	;; [unrolled: 1-line block ×8, first 2 shown]
	s_add_u32 s20, s38, s0
	s_addc_u32 s0, s39, s1
	s_and_b32 s21, s0, 0xffff
	v_pack_b32_f16 v2, v0, v4
	v_pack_b32_f16 v3, v5, v8
	;; [unrolled: 1-line block ×4, first 2 shown]
	buffer_store_dwordx4 v[2:5], v1, s[20:23], 0 offen
	v_cvt_f16_f32_e32 v0, v14
	v_cvt_f16_f32_e32 v2, v15
	;; [unrolled: 1-line block ×8, first 2 shown]
	v_pack_b32_f16 v2, v0, v2
	v_pack_b32_f16 v3, v3, v4
	v_pack_b32_f16 v4, v5, v8
	v_pack_b32_f16 v5, v6, v7
	;;#ASMSTART
	s_nop 0
	;;#ASMEND
	buffer_store_dwordx4 v[2:5], v1, s[20:23], 16 offen
	;;#ASMSTART
	s_nop 0
	;;#ASMEND
	s_endpgm
	.section	.rodata,"a",@progbits
	.p2align	6, 0x0
	.amdhsa_kernel _ZN5aiter35fused_qk_rmsnorm_group_quant_kernelIDF16_DB8_Li128ELi16ELi2ELb1ELb0ELb1ELb0ELb0ELb0EEEvPT0_PvPT_S6_S6_PKS5_S8_S8_S8_S8_ffiiiiiiiiiiiii
		.amdhsa_group_segment_fixed_size 16
		.amdhsa_private_segment_fixed_size 0
		.amdhsa_kernarg_size 400
		.amdhsa_user_sgpr_count 6
		.amdhsa_user_sgpr_private_segment_buffer 1
		.amdhsa_user_sgpr_dispatch_ptr 0
		.amdhsa_user_sgpr_queue_ptr 0
		.amdhsa_user_sgpr_kernarg_segment_ptr 1
		.amdhsa_user_sgpr_dispatch_id 0
		.amdhsa_user_sgpr_flat_scratch_init 0
		.amdhsa_user_sgpr_kernarg_preload_length 0
		.amdhsa_user_sgpr_kernarg_preload_offset 0
		.amdhsa_user_sgpr_private_segment_size 0
		.amdhsa_uses_dynamic_stack 0
		.amdhsa_system_sgpr_private_segment_wavefront_offset 0
		.amdhsa_system_sgpr_workgroup_id_x 1
		.amdhsa_system_sgpr_workgroup_id_y 1
		.amdhsa_system_sgpr_workgroup_id_z 0
		.amdhsa_system_sgpr_workgroup_info 0
		.amdhsa_system_vgpr_workitem_id 0
		.amdhsa_next_free_vgpr 90
		.amdhsa_next_free_sgpr 44
		.amdhsa_accum_offset 92
		.amdhsa_reserve_vcc 1
		.amdhsa_reserve_flat_scratch 0
		.amdhsa_float_round_mode_32 0
		.amdhsa_float_round_mode_16_64 0
		.amdhsa_float_denorm_mode_32 3
		.amdhsa_float_denorm_mode_16_64 3
		.amdhsa_dx10_clamp 1
		.amdhsa_ieee_mode 1
		.amdhsa_fp16_overflow 0
		.amdhsa_tg_split 0
		.amdhsa_exception_fp_ieee_invalid_op 0
		.amdhsa_exception_fp_denorm_src 0
		.amdhsa_exception_fp_ieee_div_zero 0
		.amdhsa_exception_fp_ieee_overflow 0
		.amdhsa_exception_fp_ieee_underflow 0
		.amdhsa_exception_fp_ieee_inexact 0
		.amdhsa_exception_int_div_zero 0
	.end_amdhsa_kernel
	.section	.text._ZN5aiter35fused_qk_rmsnorm_group_quant_kernelIDF16_DB8_Li128ELi16ELi2ELb1ELb0ELb1ELb0ELb0ELb0EEEvPT0_PvPT_S6_S6_PKS5_S8_S8_S8_S8_ffiiiiiiiiiiiii,"axG",@progbits,_ZN5aiter35fused_qk_rmsnorm_group_quant_kernelIDF16_DB8_Li128ELi16ELi2ELb1ELb0ELb1ELb0ELb0ELb0EEEvPT0_PvPT_S6_S6_PKS5_S8_S8_S8_S8_ffiiiiiiiiiiiii,comdat
.Lfunc_end721:
	.size	_ZN5aiter35fused_qk_rmsnorm_group_quant_kernelIDF16_DB8_Li128ELi16ELi2ELb1ELb0ELb1ELb0ELb0ELb0EEEvPT0_PvPT_S6_S6_PKS5_S8_S8_S8_S8_ffiiiiiiiiiiiii, .Lfunc_end721-_ZN5aiter35fused_qk_rmsnorm_group_quant_kernelIDF16_DB8_Li128ELi16ELi2ELb1ELb0ELb1ELb0ELb0ELb0EEEvPT0_PvPT_S6_S6_PKS5_S8_S8_S8_S8_ffiiiiiiiiiiiii
                                        ; -- End function
	.section	.AMDGPU.csdata,"",@progbits
; Kernel info:
; codeLenInByte = 4120
; NumSgprs: 48
; NumVgprs: 90
; NumAgprs: 0
; TotalNumVgprs: 90
; ScratchSize: 0
; MemoryBound: 0
; FloatMode: 240
; IeeeMode: 1
; LDSByteSize: 16 bytes/workgroup (compile time only)
; SGPRBlocks: 5
; VGPRBlocks: 11
; NumSGPRsForWavesPerEU: 48
; NumVGPRsForWavesPerEU: 90
; AccumOffset: 92
; Occupancy: 5
; WaveLimiterHint : 0
; COMPUTE_PGM_RSRC2:SCRATCH_EN: 0
; COMPUTE_PGM_RSRC2:USER_SGPR: 6
; COMPUTE_PGM_RSRC2:TRAP_HANDLER: 0
; COMPUTE_PGM_RSRC2:TGID_X_EN: 1
; COMPUTE_PGM_RSRC2:TGID_Y_EN: 1
; COMPUTE_PGM_RSRC2:TGID_Z_EN: 0
; COMPUTE_PGM_RSRC2:TIDIG_COMP_CNT: 0
; COMPUTE_PGM_RSRC3_GFX90A:ACCUM_OFFSET: 22
; COMPUTE_PGM_RSRC3_GFX90A:TG_SPLIT: 0
	.section	.text._ZN5aiter35fused_qk_rmsnorm_group_quant_kernelItDB8_Li128ELi16ELi2ELb1ELb0ELb1ELb0ELb0ELb0EEEvPT0_PvPT_S6_S6_PKS5_S8_S8_S8_S8_ffiiiiiiiiiiiii,"axG",@progbits,_ZN5aiter35fused_qk_rmsnorm_group_quant_kernelItDB8_Li128ELi16ELi2ELb1ELb0ELb1ELb0ELb0ELb0EEEvPT0_PvPT_S6_S6_PKS5_S8_S8_S8_S8_ffiiiiiiiiiiiii,comdat
	.protected	_ZN5aiter35fused_qk_rmsnorm_group_quant_kernelItDB8_Li128ELi16ELi2ELb1ELb0ELb1ELb0ELb0ELb0EEEvPT0_PvPT_S6_S6_PKS5_S8_S8_S8_S8_ffiiiiiiiiiiiii ; -- Begin function _ZN5aiter35fused_qk_rmsnorm_group_quant_kernelItDB8_Li128ELi16ELi2ELb1ELb0ELb1ELb0ELb0ELb0EEEvPT0_PvPT_S6_S6_PKS5_S8_S8_S8_S8_ffiiiiiiiiiiiii
	.globl	_ZN5aiter35fused_qk_rmsnorm_group_quant_kernelItDB8_Li128ELi16ELi2ELb1ELb0ELb1ELb0ELb0ELb0EEEvPT0_PvPT_S6_S6_PKS5_S8_S8_S8_S8_ffiiiiiiiiiiiii
	.p2align	8
	.type	_ZN5aiter35fused_qk_rmsnorm_group_quant_kernelItDB8_Li128ELi16ELi2ELb1ELb0ELb1ELb0ELb0ELb0EEEvPT0_PvPT_S6_S6_PKS5_S8_S8_S8_S8_ffiiiiiiiiiiiii,@function
_ZN5aiter35fused_qk_rmsnorm_group_quant_kernelItDB8_Li128ELi16ELi2ELb1ELb0ELb1ELb0ELb0ELb0EEEvPT0_PvPT_S6_S6_PKS5_S8_S8_S8_S8_ffiiiiiiiiiiiii: ; @_ZN5aiter35fused_qk_rmsnorm_group_quant_kernelItDB8_Li128ELi16ELi2ELb1ELb0ELb1ELb0ELb0ELb0EEEvPT0_PvPT_S6_S6_PKS5_S8_S8_S8_S8_ffiiiiiiiiiiiii
; %bb.0:
	s_load_dwordx8 s[12:19], s[4:5], 0x50
	s_waitcnt lgkmcnt(0)
	s_cmp_ge_i32 s6, s14
	s_cbranch_scc1 .LBB722_17
; %bb.1:
	s_cmp_lg_u32 s7, 0
	s_cselect_b64 s[10:11], -1, 0
	s_cmp_eq_u32 s7, 0
	s_cselect_b64 s[8:9], -1, 0
	s_and_b64 s[0:1], s[8:9], exec
	s_load_dwordx2 s[20:21], s[4:5], 0x48
	s_load_dwordx2 s[36:37], s[4:5], 0x30
	s_load_dwordx4 s[24:27], s[4:5], 0x70
	s_cselect_b32 s7, s15, s16
	s_add_i32 s0, s7, 1
	s_lshr_b32 s1, s0, 31
	s_add_i32 s0, s0, s1
	s_lshl_b32 s0, s0, 1
	v_lshlrev_b32_e32 v1, 4, v0
	s_and_b32 s30, s0, -4
	v_cmp_gt_i32_e64 s[0:1], s7, v1
	v_mov_b32_e32 v74, 0
	v_mov_b32_e32 v75, 0
	v_mov_b32_e32 v76, 0
	v_mov_b32_e32 v77, 0
	v_mov_b32_e32 v70, 0
	v_mov_b32_e32 v71, 0
	v_mov_b32_e32 v72, 0
	v_mov_b32_e32 v73, 0
	v_mov_b32_e32 v78, 0
	v_mov_b32_e32 v79, 0
	v_mov_b32_e32 v80, 0
	v_mov_b32_e32 v81, 0
	v_mov_b32_e32 v82, 0
	v_mov_b32_e32 v83, 0
	v_mov_b32_e32 v84, 0
	v_mov_b32_e32 v85, 0
	s_and_saveexec_b64 s[2:3], s[0:1]
	s_cbranch_execz .LBB722_3
; %bb.2:
	s_load_dwordx2 s[22:23], s[4:5], 0x28
	s_load_dwordx2 s[28:29], s[4:5], 0x40
	s_and_b64 s[34:35], s[8:9], exec
	s_cselect_b32 s14, s17, s18
	s_mov_b32 s31, 0x20000
	s_waitcnt lgkmcnt(0)
	s_cselect_b32 s17, s23, s37
	s_cselect_b32 s27, s22, s36
	s_mul_hi_i32 s23, s14, s6
	s_mul_i32 s22, s14, s6
	s_lshl_b64 s[22:23], s[22:23], 1
	s_add_u32 s40, s27, s22
	s_addc_u32 s14, s17, s23
	s_and_b64 s[22:23], s[8:9], exec
	s_cselect_b32 s28, s28, s20
	s_cselect_b32 s17, s29, s21
	s_and_b32 s41, s14, 0xffff
	s_mov_b32 s42, s30
	s_mov_b32 s43, s31
	v_lshlrev_b32_e32 v2, 5, v0
	s_and_b32 s29, s17, 0xffff
	buffer_load_dwordx4 v[78:81], v2, s[40:43], 0 offen
	buffer_load_dwordx4 v[82:85], v2, s[40:43], 16 offen
	;; [unrolled: 1-line block ×4, first 2 shown]
.LBB722_3:
	s_or_b64 exec, exec, s[2:3]
	s_load_dwordx2 s[34:35], s[4:5], 0x80
	s_and_b64 vcc, exec, s[10:11]
	s_cbranch_vccz .LBB722_7
; %bb.4:
	v_mov_b32_e32 v87, 0
	v_mov_b32_e32 v86, 0
	;; [unrolled: 1-line block ×16, first 2 shown]
	s_and_saveexec_b64 s[2:3], s[0:1]
	s_cbranch_execz .LBB722_6
; %bb.5:
	s_waitcnt vmcnt(3)
	v_cvt_f32_u32_sdwa v52, v78 dst_sel:DWORD dst_unused:UNUSED_PAD src0_sel:WORD_0
	v_cvt_f32_u32_sdwa v53, v78 dst_sel:DWORD dst_unused:UNUSED_PAD src0_sel:WORD_1
	v_cvt_f32_u32_sdwa v34, v79 dst_sel:DWORD dst_unused:UNUSED_PAD src0_sel:WORD_0
	v_cvt_f32_u32_sdwa v35, v79 dst_sel:DWORD dst_unused:UNUSED_PAD src0_sel:WORD_1
	;; [unrolled: 2-line block ×4, first 2 shown]
	s_waitcnt vmcnt(2)
	v_cvt_f32_u32_sdwa v44, v82 dst_sel:DWORD dst_unused:UNUSED_PAD src0_sel:WORD_0
	v_cvt_f32_u32_sdwa v45, v82 dst_sel:DWORD dst_unused:UNUSED_PAD src0_sel:WORD_1
	v_cvt_f32_u32_sdwa v18, v83 dst_sel:DWORD dst_unused:UNUSED_PAD src0_sel:WORD_0
	v_cvt_f32_u32_sdwa v19, v83 dst_sel:DWORD dst_unused:UNUSED_PAD src0_sel:WORD_1
	;; [unrolled: 2-line block ×4, first 2 shown]
.LBB722_6:
	s_or_b64 exec, exec, s[2:3]
	s_cbranch_execz .LBB722_8
	s_branch .LBB722_11
.LBB722_7:
                                        ; implicit-def: $vgpr32_vgpr33_vgpr34_vgpr35_vgpr36_vgpr37_vgpr38_vgpr39_vgpr40_vgpr41_vgpr42_vgpr43_vgpr44_vgpr45_vgpr46_vgpr47
                                        ; implicit-def: $vgpr18_vgpr19_vgpr20_vgpr21_vgpr22_vgpr23_vgpr24_vgpr25_vgpr26_vgpr27_vgpr28_vgpr29_vgpr30_vgpr31_vgpr32_vgpr33
                                        ; implicit-def: $vgpr52_vgpr53_vgpr54_vgpr55_vgpr56_vgpr57_vgpr58_vgpr59_vgpr60_vgpr61_vgpr62_vgpr63_vgpr64_vgpr65_vgpr66_vgpr67
                                        ; implicit-def: $vgpr87
                                        ; implicit-def: $vgpr54_vgpr55_vgpr56_vgpr57_vgpr58_vgpr59_vgpr60_vgpr61_vgpr62_vgpr63_vgpr64_vgpr65_vgpr66_vgpr67_vgpr68_vgpr69
                                        ; implicit-def: $vgpr8_vgpr9_vgpr10_vgpr11_vgpr12_vgpr13_vgpr14_vgpr15_vgpr16_vgpr17_vgpr18_vgpr19_vgpr20_vgpr21_vgpr22_vgpr23
                                        ; implicit-def: $vgpr36_vgpr37_vgpr38_vgpr39_vgpr40_vgpr41_vgpr42_vgpr43_vgpr44_vgpr45_vgpr46_vgpr47_vgpr48_vgpr49_vgpr50_vgpr51
                                        ; implicit-def: $vgpr2_vgpr3_vgpr4_vgpr5_vgpr6_vgpr7_vgpr8_vgpr9_vgpr10_vgpr11_vgpr12_vgpr13_vgpr14_vgpr15_vgpr16_vgpr17
.LBB722_8:
	v_mov_b32_e32 v87, 0
	v_mov_b32_e32 v86, 0
	;; [unrolled: 1-line block ×16, first 2 shown]
	s_and_saveexec_b64 s[2:3], s[0:1]
	s_cbranch_execz .LBB722_10
; %bb.9:
	s_load_dwordx2 s[22:23], s[4:5], 0x38
	s_mul_hi_i32 s29, s19, s6
	s_mul_i32 s28, s19, s6
	s_lshl_b64 s[28:29], s[28:29], 1
	s_mov_b32 s31, 0x20000
	s_waitcnt lgkmcnt(0)
	s_add_u32 s28, s22, s28
	s_addc_u32 s14, s23, s29
	s_and_b32 s29, s14, 0xffff
	v_lshlrev_b32_e32 v38, 5, v0
	buffer_load_dwordx4 v[4:7], v38, s[28:31], 16 offen
	buffer_load_dwordx4 v[8:11], v38, s[28:31], 0 offen
	s_load_dwordx2 s[22:23], s[4:5], 0x20
	s_waitcnt vmcnt(5)
	v_cvt_f32_u32_sdwa v19, v78 dst_sel:DWORD dst_unused:UNUSED_PAD src0_sel:WORD_1
	v_cvt_f32_u32_sdwa v18, v78 dst_sel:DWORD dst_unused:UNUSED_PAD src0_sel:WORD_0
	v_cvt_f32_u32_sdwa v21, v79 dst_sel:DWORD dst_unused:UNUSED_PAD src0_sel:WORD_1
	v_cvt_f32_u32_sdwa v20, v79 dst_sel:DWORD dst_unused:UNUSED_PAD src0_sel:WORD_0
	;; [unrolled: 2-line block ×4, first 2 shown]
	s_waitcnt vmcnt(4)
	v_cvt_f32_u32_sdwa v3, v82 dst_sel:DWORD dst_unused:UNUSED_PAD src0_sel:WORD_1
	v_cvt_f32_u32_sdwa v2, v82 dst_sel:DWORD dst_unused:UNUSED_PAD src0_sel:WORD_0
	v_cvt_f32_u32_sdwa v13, v83 dst_sel:DWORD dst_unused:UNUSED_PAD src0_sel:WORD_1
	v_cvt_f32_u32_sdwa v12, v83 dst_sel:DWORD dst_unused:UNUSED_PAD src0_sel:WORD_0
	;; [unrolled: 2-line block ×3, first 2 shown]
	v_cvt_f32_u32_sdwa v16, v85 dst_sel:DWORD dst_unused:UNUSED_PAD src0_sel:WORD_0
	v_cvt_f32_u32_sdwa v17, v85 dst_sel:DWORD dst_unused:UNUSED_PAD src0_sel:WORD_1
	s_mul_hi_i32 s29, s35, s6
	s_mul_i32 s28, s35, s6
	s_lshl_b64 s[28:29], s[28:29], 1
	s_waitcnt lgkmcnt(0)
	s_add_u32 s28, s22, s28
	s_mov_b32 s14, 0x7060302
	s_addc_u32 s17, s23, s29
	s_and_b32 s29, s17, 0xffff
	s_waitcnt vmcnt(1)
	v_cvt_f32_u32_sdwa v27, v4 dst_sel:DWORD dst_unused:UNUSED_PAD src0_sel:WORD_1
	v_cvt_f32_u32_sdwa v26, v4 dst_sel:DWORD dst_unused:UNUSED_PAD src0_sel:WORD_0
	v_cvt_f32_u32_sdwa v29, v5 dst_sel:DWORD dst_unused:UNUSED_PAD src0_sel:WORD_1
	v_cvt_f32_u32_sdwa v28, v5 dst_sel:DWORD dst_unused:UNUSED_PAD src0_sel:WORD_0
	;; [unrolled: 2-line block ×3, first 2 shown]
	v_cvt_f32_u32_sdwa v32, v7 dst_sel:DWORD dst_unused:UNUSED_PAD src0_sel:WORD_0
	v_cvt_f32_u32_sdwa v33, v7 dst_sel:DWORD dst_unused:UNUSED_PAD src0_sel:WORD_1
	s_waitcnt vmcnt(0)
	v_cvt_f32_u32_sdwa v37, v8 dst_sel:DWORD dst_unused:UNUSED_PAD src0_sel:WORD_1
	v_cvt_f32_u32_sdwa v36, v8 dst_sel:DWORD dst_unused:UNUSED_PAD src0_sel:WORD_0
	v_cvt_f32_u32_sdwa v5, v10 dst_sel:DWORD dst_unused:UNUSED_PAD src0_sel:WORD_1
	v_cvt_f32_u32_sdwa v4, v10 dst_sel:DWORD dst_unused:UNUSED_PAD src0_sel:WORD_0
	;; [unrolled: 2-line block ×4, first 2 shown]
	v_pk_add_f32 v[58:59], v[22:23], v[4:5]
	v_pk_add_f32 v[24:25], v[24:25], v[6:7]
	;; [unrolled: 1-line block ×4, first 2 shown]
	v_perm_b32 v7, v25, v24, s14
	v_perm_b32 v6, v59, v58, s14
	;; [unrolled: 1-line block ×4, first 2 shown]
	v_pk_add_f32 v[86:87], v[16:17], v[32:33]
	v_pk_add_f32 v[14:15], v[14:15], v[30:31]
	;; [unrolled: 1-line block ×4, first 2 shown]
	buffer_store_dwordx4 v[4:7], v38, s[28:31], 0 offen
	;;#ASMSTART
	s_nop 0
	;;#ASMEND
	s_nop 0
	v_perm_b32 v7, v87, v86, s14
	v_perm_b32 v6, v15, v14, s14
	;; [unrolled: 1-line block ×4, first 2 shown]
	buffer_store_dwordx4 v[4:7], v38, s[28:31], 16 offen
	;;#ASMSTART
	s_nop 0
	;;#ASMEND
.LBB722_10:
	s_or_b64 exec, exec, s[2:3]
.LBB722_11:
	v_mul_f32_e32 v2, v53, v53
	v_fmac_f32_e32 v2, v52, v52
	v_fmac_f32_e32 v2, v34, v34
	;; [unrolled: 1-line block ×15, first 2 shown]
	s_nop 1
	v_mov_b32_dpp v3, v2 quad_perm:[1,0,3,2] row_mask:0xf bank_mask:0xf
	v_add_f32_e32 v2, v2, v3
	s_nop 1
	v_mov_b32_dpp v3, v2 quad_perm:[2,3,0,1] row_mask:0xf bank_mask:0xf
	v_add_f32_e32 v2, v2, v3
	s_nop 1
	v_mov_b32_dpp v3, v2 row_half_mirror row_mask:0xf bank_mask:0xf
	v_add_f32_e32 v2, v2, v3
	s_nop 1
	v_mov_b32_dpp v3, v2 row_mirror row_mask:0xf bank_mask:0xf
	v_add_f32_e32 v2, v2, v3
	s_nop 1
	v_mov_b32_dpp v3, v2 row_bcast:15 row_mask:0xf bank_mask:0xf
	v_add_f32_e32 v2, v2, v3
	v_and_b32_e32 v3, 63, v0
	v_cmp_eq_u32_e64 s[2:3], 63, v3
	s_nop 0
	v_mov_b32_dpp v3, v2 row_bcast:31 row_mask:0xf bank_mask:0xf
	s_and_saveexec_b64 s[22:23], s[2:3]
	s_cbranch_execz .LBB722_13
; %bb.12:
	v_add_f32_e32 v2, v2, v3
	v_lshrrev_b32_e32 v3, 4, v0
	v_and_b32_e32 v3, 60, v3
	ds_write_b32 v3, v2 offset:8
.LBB722_13:
	s_or_b64 exec, exec, s[22:23]
	v_and_b32_e32 v2, 1, v0
	v_lshlrev_b32_e32 v36, 2, v2
	s_waitcnt lgkmcnt(0)
	s_barrier
	ds_read_b32 v3, v36 offset:8
	s_load_dwordx2 s[38:39], s[4:5], 0x18
	s_waitcnt lgkmcnt(0)
	v_mov_b32_dpp v4, v3 quad_perm:[1,0,3,2] row_mask:0xf bank_mask:0xf
	s_and_saveexec_b64 s[22:23], s[0:1]
	s_cbranch_execnz .LBB722_18
; %bb.14:
	s_or_b64 exec, exec, s[22:23]
	s_mov_b64 s[8:9], -1
	s_and_b64 vcc, exec, s[10:11]
	s_cbranch_vccnz .LBB722_19
.LBB722_15:
	s_andn2_b64 vcc, exec, s[8:9]
	s_cbranch_vccz .LBB722_22
.LBB722_16:
	s_cmp_lt_i32 s16, 1
	s_cbranch_scc0 .LBB722_29
.LBB722_17:
	s_endpgm
.LBB722_18:
	v_add_f32_e32 v3, v3, v4
	v_cvt_f32_u32_e32 v4, s7
	s_mov_b32 s7, 0x800000
	s_waitcnt vmcnt(1)
	v_cvt_f32_u32_sdwa v21, v74 dst_sel:DWORD dst_unused:UNUSED_PAD src0_sel:WORD_1
	v_cvt_f32_u32_sdwa v20, v74 dst_sel:DWORD dst_unused:UNUSED_PAD src0_sel:WORD_0
	v_div_scale_f32 v5, s[28:29], v4, v4, v3
	v_rcp_f32_e32 v6, v5
	v_pk_add_f32 v[20:21], v[20:21], 1.0 op_sel_hi:[1,0]
	v_cvt_f32_u32_sdwa v23, v77 dst_sel:DWORD dst_unused:UNUSED_PAD src0_sel:WORD_1
	v_cvt_f32_u32_sdwa v22, v77 dst_sel:DWORD dst_unused:UNUSED_PAD src0_sel:WORD_0
	v_fma_f32 v7, -v5, v6, 1.0
	v_fmac_f32_e32 v6, v7, v6
	v_div_scale_f32 v7, vcc, v3, v4, v3
	v_mul_f32_e32 v8, v7, v6
	v_fma_f32 v9, -v5, v8, v7
	v_fmac_f32_e32 v8, v9, v6
	v_fma_f32 v5, -v5, v8, v7
	v_div_fmas_f32 v5, v5, v6, v8
	v_div_fixup_f32 v3, v5, v4, v3
	v_mov_b32_e32 v4, s13
	v_mov_b32_e32 v5, s12
	v_cndmask_b32_e64 v4, v4, v5, s[8:9]
	v_add_f32_e32 v3, v4, v3
	v_mul_f32_e32 v4, 0x4b800000, v3
	v_cmp_gt_f32_e32 vcc, s7, v3
	v_cndmask_b32_e32 v3, v3, v4, vcc
	v_rsq_f32_e32 v3, v3
	s_waitcnt vmcnt(0)
	v_cvt_f32_u32_sdwa v27, v73 dst_sel:DWORD dst_unused:UNUSED_PAD src0_sel:WORD_1
	v_cvt_f32_u32_sdwa v26, v73 dst_sel:DWORD dst_unused:UNUSED_PAD src0_sel:WORD_0
	v_mul_f32_e32 v4, 0x45800000, v3
	v_cndmask_b32_e32 v4, v3, v4, vcc
	v_mov_b32_e32 v5, v4
	;;#ASMSTART
	v_pk_mul_f32 v[6:7], v[52:53], v[4:5]
	;;#ASMEND
	;;#ASMSTART
	v_pk_mul_f32 v[8:9], v[34:35], v[4:5]
	;;#ASMEND
	;; [unrolled: 3-line block ×9, first 2 shown]
	v_cvt_f32_u32_sdwa v7, v75 dst_sel:DWORD dst_unused:UNUSED_PAD src0_sel:WORD_1
	v_cvt_f32_u32_sdwa v6, v75 dst_sel:DWORD dst_unused:UNUSED_PAD src0_sel:WORD_0
	v_cvt_f32_u32_sdwa v21, v76 dst_sel:DWORD dst_unused:UNUSED_PAD src0_sel:WORD_1
	v_cvt_f32_u32_sdwa v20, v76 dst_sel:DWORD dst_unused:UNUSED_PAD src0_sel:WORD_0
	v_cvt_f32_u32_sdwa v25, v72 dst_sel:DWORD dst_unused:UNUSED_PAD src0_sel:WORD_1
	v_pk_add_f32 v[6:7], v[6:7], 1.0 op_sel_hi:[1,0]
	;;#ASMSTART
	v_pk_mul_f32 v[34:35], v[8:9], v[6:7]
	;;#ASMEND
	v_pk_add_f32 v[6:7], v[20:21], 1.0 op_sel_hi:[1,0]
	v_pk_add_f32 v[8:9], v[22:23], 1.0 op_sel_hi:[1,0]
	v_cvt_f32_u32_sdwa v21, v70 dst_sel:DWORD dst_unused:UNUSED_PAD src0_sel:WORD_1
	v_cvt_f32_u32_sdwa v20, v70 dst_sel:DWORD dst_unused:UNUSED_PAD src0_sel:WORD_0
	v_cvt_f32_u32_sdwa v23, v71 dst_sel:DWORD dst_unused:UNUSED_PAD src0_sel:WORD_1
	v_cvt_f32_u32_sdwa v22, v71 dst_sel:DWORD dst_unused:UNUSED_PAD src0_sel:WORD_0
	v_cvt_f32_u32_sdwa v24, v72 dst_sel:DWORD dst_unused:UNUSED_PAD src0_sel:WORD_0
	v_pk_add_f32 v[20:21], v[20:21], 1.0 op_sel_hi:[1,0]
	v_pk_add_f32 v[26:27], v[26:27], 1.0 op_sel_hi:[1,0]
	;; [unrolled: 1-line block ×4, first 2 shown]
	;;#ASMSTART
	v_pk_mul_f32 v[58:59], v[10:11], v[6:7]
	;;#ASMEND
	;;#ASMSTART
	v_pk_mul_f32 v[24:25], v[12:13], v[8:9]
	;;#ASMEND
	;;#ASMSTART
	v_pk_mul_f32 v[44:45], v[16:17], v[20:21]
	;;#ASMEND
	;;#ASMSTART
	v_pk_mul_f32 v[18:19], v[18:19], v[22:23]
	;;#ASMEND
	;;#ASMSTART
	v_pk_mul_f32 v[14:15], v[14:15], v[28:29]
	;;#ASMEND
	;;#ASMSTART
	v_pk_mul_f32 v[86:87], v[4:5], v[26:27]
	;;#ASMEND
	s_or_b64 exec, exec, s[22:23]
	s_mov_b64 s[8:9], -1
	s_and_b64 vcc, exec, s[10:11]
	s_cbranch_vccz .LBB722_15
.LBB722_19:
	s_and_saveexec_b64 s[8:9], s[0:1]
	s_cbranch_execz .LBB722_21
; %bb.20:
	s_mul_hi_i32 s11, s34, s6
	s_mul_i32 s10, s34, s6
	s_lshl_b64 s[10:11], s[10:11], 1
	s_add_u32 s28, s38, s10
	s_addc_u32 s7, s39, s11
	s_and_b32 s29, s7, 0xffff
	s_mov_b32 s7, 0x7060302
	s_mov_b32 s31, 0x20000
	v_perm_b32 v7, v25, v24, s7
	v_perm_b32 v6, v59, v58, s7
	v_perm_b32 v5, v35, v34, s7
	v_perm_b32 v4, v53, v52, s7
	v_lshlrev_b32_e32 v3, 5, v0
	buffer_store_dwordx4 v[4:7], v3, s[28:31], 0 offen
	;;#ASMSTART
	s_nop 0
	;;#ASMEND
	s_nop 0
	v_perm_b32 v7, v87, v86, s7
	v_perm_b32 v6, v15, v14, s7
	;; [unrolled: 1-line block ×4, first 2 shown]
	buffer_store_dwordx4 v[4:7], v3, s[28:31], 16 offen
	;;#ASMSTART
	s_nop 0
	;;#ASMEND
.LBB722_21:
	s_or_b64 exec, exec, s[8:9]
	s_cbranch_execnz .LBB722_16
.LBB722_22:
	v_mov_b32_e32 v3, 0
	s_and_saveexec_b64 s[8:9], s[0:1]
	s_cbranch_execz .LBB722_24
; %bb.23:
	v_and_b32_e32 v3, 0x7fffffff, v52
	v_and_b32_e32 v4, 0x7fffffff, v53
	v_mov_b32_e32 v5, 0x2edbe6ff
	;;#ASMSTART
	v_max3_f32 v3, v5, v3, v4

	;;#ASMEND
	v_and_b32_e32 v4, 0x7fffffff, v34
	v_and_b32_e32 v5, 0x7fffffff, v35
	;;#ASMSTART
	v_max3_f32 v3, v3, v4, v5

	;;#ASMEND
	v_and_b32_e32 v4, 0x7fffffff, v58
	v_and_b32_e32 v5, 0x7fffffff, v59
	;; [unrolled: 6-line block ×7, first 2 shown]
	;;#ASMSTART
	v_max3_f32 v3, v3, v4, v5

	;;#ASMEND
.LBB722_24:
	s_or_b64 exec, exec, s[8:9]
	v_cmp_eq_u32_e32 vcc, 0, v2
	v_cmp_gt_i32_e64 s[8:9], s15, v1
	;;#ASMSTART
	v_max_f32 v4, v3, v3 quad_perm:[1,0,3,2] row_mask:0xf bank_mask:0xf bound_ctrl:1
	;;#ASMEND
	v_mul_f32_e32 v3, 0x3b124925, v4
	s_and_b64 s[10:11], vcc, s[8:9]
	s_and_saveexec_b64 s[8:9], s[10:11]
	s_cbranch_execz .LBB722_26
; %bb.25:
	s_load_dwordx2 s[10:11], s[4:5], 0x8
	s_mul_hi_i32 s23, s25, s6
	s_mul_i32 s22, s25, s6
	v_lshrrev_b32_e32 v2, 1, v0
	s_lshl_b64 s[22:23], s[22:23], 2
	v_mad_i64_i32 v[4:5], s[26:27], s26, v2, 0
	s_waitcnt lgkmcnt(0)
	s_add_u32 s7, s10, s22
	s_addc_u32 s10, s11, s23
	v_lshlrev_b64 v[4:5], 2, v[4:5]
	v_mov_b32_e32 v2, s10
	v_add_co_u32_e32 v4, vcc, s7, v4
	v_addc_co_u32_e32 v5, vcc, v2, v5, vcc
	global_store_dword v[4:5], v3, off
.LBB722_26:
	s_or_b64 exec, exec, s[8:9]
	;;#ASMSTART
	v_rcp_f32 v2, v3
	;;#ASMEND
	s_and_saveexec_b64 s[22:23], s[0:1]
	s_cbranch_execz .LBB722_28
; %bb.27:
	v_mov_b32_e32 v3, v2
	;;#ASMSTART
	v_pk_mul_f32 v[4:5], v[52:53], v[2:3]
	;;#ASMEND
	v_mov_b32_e32 v10, 0xc3e00000
	v_mov_b32_e32 v11, 0x43e00000
	;;#ASMSTART
	v_med3_f32 v4, v4, v10, v11
v_med3_f32 v5, v5, v10, v11
v_cvt_pk_fp8_f32 v6, v4, v5
	;;#ASMEND
	;;#ASMSTART
	v_pk_mul_f32 v[4:5], v[34:35], v[2:3]
	;;#ASMEND
	;;#ASMSTART
	v_med3_f32 v4, v4, v10, v11
v_med3_f32 v5, v5, v10, v11
v_cvt_pk_fp8_f32 v7, v4, v5
	;;#ASMEND
	;;#ASMSTART
	v_pk_mul_f32 v[4:5], v[58:59], v[2:3]
	;;#ASMEND
	;; [unrolled: 8-line block ×3, first 2 shown]
	;;#ASMSTART
	v_med3_f32 v4, v4, v10, v11
v_med3_f32 v5, v5, v10, v11
v_cvt_pk_fp8_f32 v9, v4, v5
	;;#ASMEND
	s_mov_b32 s0, 0x5040100
	v_perm_b32 v4, v7, v6, s0
	s_mov_b32 s0, 0x1060504
	v_perm_b32 v4, v4, v7, s0
	s_load_dwordx2 s[0:1], s[4:5], 0x0
	s_mov_b32 s7, 0x1000504
	;;#ASMSTART
	v_pk_mul_f32 v[6:7], v[44:45], v[2:3]
	;;#ASMEND
	v_perm_b32 v5, v8, v9, s7
	s_mul_i32 s8, s24, s6
	;;#ASMSTART
	v_med3_f32 v6, v6, v10, v11
v_med3_f32 v7, v7, v10, v11
v_cvt_pk_fp8_f32 v8, v6, v7
	;;#ASMEND
	s_mul_hi_i32 s9, s24, s6
	s_waitcnt lgkmcnt(0)
	s_add_u32 s8, s0, s8
	;;#ASMSTART
	v_pk_mul_f32 v[6:7], v[18:19], v[2:3]
	;;#ASMEND
	s_addc_u32 s0, s1, s9
	s_add_i32 s1, s15, 3
	;;#ASMSTART
	v_med3_f32 v6, v6, v10, v11
v_med3_f32 v7, v7, v10, v11
v_cvt_pk_fp8_f32 v9, v6, v7
	;;#ASMEND
	s_ashr_i32 s9, s1, 31
	v_perm_b32 v6, v8, v9, s7
	;;#ASMSTART
	v_pk_mul_f32 v[8:9], v[14:15], v[2:3]
	;;#ASMEND
	v_mov_b32_e32 v7, v9
	s_lshr_b32 s9, s9, 30
	;;#ASMSTART
	v_med3_f32 v8, v8, v10, v11
v_med3_f32 v7, v7, v10, v11
v_cvt_pk_fp8_f32 v9, v8, v7
	;;#ASMEND
	;;#ASMSTART
	v_pk_mul_f32 v[2:3], v[86:87], v[2:3]
	;;#ASMEND
	s_add_i32 s1, s1, s9
	;;#ASMSTART
	v_med3_f32 v2, v2, v10, v11
v_med3_f32 v3, v3, v10, v11
v_cvt_pk_fp8_f32 v7, v2, v3
	;;#ASMEND
	s_and_b32 s10, s1, -4
	s_and_b32 s9, s0, 0xffff
	s_mov_b32 s11, 0x20000
	v_perm_b32 v7, v9, v7, s7
	buffer_store_dwordx4 v[4:7], v1, s[8:11], 0 offen
	;;#ASMSTART
	s_nop 0
	;;#ASMEND
.LBB722_28:
	s_or_b64 exec, exec, s[22:23]
	s_cmp_lt_i32 s16, 1
	s_cbranch_scc1 .LBB722_17
.LBB722_29:
	s_load_dword s0, s[4:5], 0x94
	s_waitcnt lgkmcnt(0)
	s_cmp_lg_u32 s0, 1
	s_cbranch_scc1 .LBB722_17
; %bb.30:
	s_lshl_b32 s0, s16, 1
	s_add_i32 s0, s0, 2
	v_cmp_gt_u32_e32 vcc, s16, v1
	s_and_b32 s22, s0, -4
	v_mov_b32_e32 v18, 0
	v_lshlrev_b32_e32 v1, 5, v0
	v_mov_b32_e32 v14, 0
	v_mov_b32_e32 v15, 0
	;; [unrolled: 1-line block ×16, first 2 shown]
	s_barrier
	s_and_saveexec_b64 s[0:1], vcc
	s_cbranch_execz .LBB722_32
; %bb.31:
	s_mul_hi_i32 s5, s18, s6
	s_mul_i32 s4, s18, s6
	s_and_b32 s21, s21, 0xffff
	s_lshl_b64 s[4:5], s[4:5], 1
	s_add_u32 s8, s36, s4
	s_mov_b32 s23, 0x20000
	s_addc_u32 s4, s37, s5
	s_and_b32 s9, s4, 0xffff
	s_mov_b32 s10, s22
	s_mov_b32 s11, s23
	buffer_load_dwordx4 v[14:17], v1, s[8:11], 0 offen
	buffer_load_dwordx4 v[10:13], v1, s[8:11], 16 offen
	;; [unrolled: 1-line block ×4, first 2 shown]
.LBB722_32:
	s_or_b64 exec, exec, s[0:1]
	v_mov_b32_e32 v19, 0
	v_mov_b32_e32 v32, 0
	;; [unrolled: 1-line block ×15, first 2 shown]
	s_and_saveexec_b64 s[0:1], vcc
	s_cbranch_execz .LBB722_34
; %bb.33:
	s_waitcnt vmcnt(3)
	v_cvt_f32_u32_sdwa v18, v14 dst_sel:DWORD dst_unused:UNUSED_PAD src0_sel:WORD_0
	v_cvt_f32_u32_sdwa v19, v14 dst_sel:DWORD dst_unused:UNUSED_PAD src0_sel:WORD_1
	v_cvt_f32_u32_sdwa v32, v15 dst_sel:DWORD dst_unused:UNUSED_PAD src0_sel:WORD_0
	v_cvt_f32_u32_sdwa v33, v15 dst_sel:DWORD dst_unused:UNUSED_PAD src0_sel:WORD_1
	;; [unrolled: 2-line block ×4, first 2 shown]
	s_waitcnt vmcnt(2)
	v_cvt_f32_u32_sdwa v26, v10 dst_sel:DWORD dst_unused:UNUSED_PAD src0_sel:WORD_0
	v_cvt_f32_u32_sdwa v27, v10 dst_sel:DWORD dst_unused:UNUSED_PAD src0_sel:WORD_1
	v_cvt_f32_u32_sdwa v24, v11 dst_sel:DWORD dst_unused:UNUSED_PAD src0_sel:WORD_0
	v_cvt_f32_u32_sdwa v25, v11 dst_sel:DWORD dst_unused:UNUSED_PAD src0_sel:WORD_1
	;; [unrolled: 2-line block ×4, first 2 shown]
.LBB722_34:
	s_or_b64 exec, exec, s[0:1]
	s_waitcnt vmcnt(2)
	v_mul_f32_e32 v10, v19, v19
	v_fmac_f32_e32 v10, v18, v18
	v_fmac_f32_e32 v10, v32, v32
	;; [unrolled: 1-line block ×15, first 2 shown]
	s_nop 1
	v_mov_b32_dpp v11, v10 quad_perm:[1,0,3,2] row_mask:0xf bank_mask:0xf
	v_add_f32_e32 v10, v10, v11
	s_nop 1
	v_mov_b32_dpp v11, v10 quad_perm:[2,3,0,1] row_mask:0xf bank_mask:0xf
	v_add_f32_e32 v10, v10, v11
	s_nop 1
	v_mov_b32_dpp v11, v10 row_half_mirror row_mask:0xf bank_mask:0xf
	v_add_f32_e32 v10, v10, v11
	s_nop 1
	v_mov_b32_dpp v11, v10 row_mirror row_mask:0xf bank_mask:0xf
	v_add_f32_e32 v10, v10, v11
	s_nop 1
	v_mov_b32_dpp v11, v10 row_bcast:15 row_mask:0xf bank_mask:0xf
	v_add_f32_e32 v10, v10, v11
	s_nop 1
	v_mov_b32_dpp v11, v10 row_bcast:31 row_mask:0xf bank_mask:0xf
	s_and_saveexec_b64 s[0:1], s[2:3]
	s_cbranch_execz .LBB722_36
; %bb.35:
	v_lshrrev_b32_e32 v0, 4, v0
	v_add_f32_e32 v10, v10, v11
	v_and_b32_e32 v0, 60, v0
	ds_write_b32 v0, v10
.LBB722_36:
	s_or_b64 exec, exec, s[0:1]
	s_waitcnt lgkmcnt(0)
	s_barrier
	ds_read_b32 v0, v36
	s_waitcnt lgkmcnt(0)
	s_nop 0
	v_mov_b32_dpp v10, v0 quad_perm:[1,0,3,2] row_mask:0xf bank_mask:0xf
	s_and_saveexec_b64 s[0:1], vcc
	s_cbranch_execz .LBB722_17
; %bb.37:
	v_cvt_f32_u32_e32 v11, s16
	v_add_f32_e32 v0, v0, v10
	s_mov_b32 s23, 0x20000
	v_div_scale_f32 v10, s[0:1], v11, v11, v0
	v_rcp_f32_e32 v12, v10
	v_div_scale_f32 v13, vcc, v0, v11, v0
	s_mov_b32 s0, 0x800000
	v_fma_f32 v14, -v10, v12, 1.0
	v_fmac_f32_e32 v12, v14, v12
	v_mul_f32_e32 v14, v13, v12
	v_fma_f32 v15, -v10, v14, v13
	v_fmac_f32_e32 v14, v15, v12
	v_fma_f32 v10, -v10, v14, v13
	v_div_fmas_f32 v10, v10, v12, v14
	v_div_fixup_f32 v0, v10, v11, v0
	v_add_f32_e32 v0, s13, v0
	v_mul_f32_e32 v10, 0x4b800000, v0
	v_cmp_gt_f32_e32 vcc, s0, v0
	v_cndmask_b32_e32 v0, v0, v10, vcc
	v_rsq_f32_e32 v0, v0
	s_mul_hi_i32 s1, s34, s6
	s_mul_i32 s0, s34, s6
	s_lshl_b64 s[0:1], s[0:1], 1
	v_mul_f32_e32 v10, 0x45800000, v0
	v_cndmask_b32_e32 v10, v0, v10, vcc
	v_mov_b32_e32 v11, v10
	;;#ASMSTART
	v_pk_mul_f32 v[12:13], v[18:19], v[10:11]
	;;#ASMEND
	;;#ASMSTART
	v_pk_mul_f32 v[14:15], v[32:33], v[10:11]
	;;#ASMEND
	;; [unrolled: 3-line block ×4, first 2 shown]
	s_waitcnt vmcnt(1)
	v_cvt_f32_u32_sdwa v29, v6 dst_sel:DWORD dst_unused:UNUSED_PAD src0_sel:WORD_1
	v_cvt_f32_u32_sdwa v28, v6 dst_sel:DWORD dst_unused:UNUSED_PAD src0_sel:WORD_0
	v_cvt_f32_u32_sdwa v31, v7 dst_sel:DWORD dst_unused:UNUSED_PAD src0_sel:WORD_1
	v_cvt_f32_u32_sdwa v30, v7 dst_sel:DWORD dst_unused:UNUSED_PAD src0_sel:WORD_0
	;;#ASMSTART
	v_pk_mul_f32 v[26:27], v[26:27], v[10:11]
	;;#ASMEND
	;;#ASMSTART
	v_pk_mul_f32 v[24:25], v[24:25], v[10:11]
	;;#ASMEND
	;; [unrolled: 3-line block ×4, first 2 shown]
	v_cvt_f32_u32_sdwa v21, v8 dst_sel:DWORD dst_unused:UNUSED_PAD src0_sel:WORD_1
	v_cvt_f32_u32_sdwa v20, v8 dst_sel:DWORD dst_unused:UNUSED_PAD src0_sel:WORD_0
	v_pk_add_f32 v[10:11], v[28:29], 1.0 op_sel_hi:[1,0]
	;;#ASMSTART
	v_pk_mul_f32 v[10:11], v[12:13], v[10:11]
	;;#ASMEND
	v_pk_add_f32 v[12:13], v[30:31], 1.0 op_sel_hi:[1,0]
	v_cvt_f32_u32_sdwa v29, v9 dst_sel:DWORD dst_unused:UNUSED_PAD src0_sel:WORD_1
	v_cvt_f32_u32_sdwa v28, v9 dst_sel:DWORD dst_unused:UNUSED_PAD src0_sel:WORD_0
	;;#ASMSTART
	v_pk_mul_f32 v[8:9], v[14:15], v[12:13]
	;;#ASMEND
	v_pk_add_f32 v[12:13], v[20:21], 1.0 op_sel_hi:[1,0]
	;;#ASMSTART
	v_pk_mul_f32 v[12:13], v[16:17], v[12:13]
	;;#ASMEND
	s_waitcnt vmcnt(0)
	v_cvt_f32_u32_sdwa v17, v2 dst_sel:DWORD dst_unused:UNUSED_PAD src0_sel:WORD_1
	v_cvt_f32_u32_sdwa v16, v2 dst_sel:DWORD dst_unused:UNUSED_PAD src0_sel:WORD_0
	v_cvt_f32_u32_sdwa v21, v3 dst_sel:DWORD dst_unused:UNUSED_PAD src0_sel:WORD_1
	v_cvt_f32_u32_sdwa v20, v3 dst_sel:DWORD dst_unused:UNUSED_PAD src0_sel:WORD_0
	v_pk_add_f32 v[14:15], v[28:29], 1.0 op_sel_hi:[1,0]
	;;#ASMSTART
	v_pk_mul_f32 v[14:15], v[18:19], v[14:15]
	;;#ASMEND
	v_pk_add_f32 v[2:3], v[16:17], 1.0 op_sel_hi:[1,0]
	v_cvt_f32_u32_sdwa v19, v4 dst_sel:DWORD dst_unused:UNUSED_PAD src0_sel:WORD_1
	v_cvt_f32_u32_sdwa v18, v4 dst_sel:DWORD dst_unused:UNUSED_PAD src0_sel:WORD_0
	;;#ASMSTART
	v_pk_mul_f32 v[16:17], v[26:27], v[2:3]
	;;#ASMEND
	v_pk_add_f32 v[2:3], v[20:21], 1.0 op_sel_hi:[1,0]
	v_cvt_f32_u32_sdwa v21, v5 dst_sel:DWORD dst_unused:UNUSED_PAD src0_sel:WORD_1
	v_cvt_f32_u32_sdwa v20, v5 dst_sel:DWORD dst_unused:UNUSED_PAD src0_sel:WORD_0
	s_add_u32 s20, s38, s0
	;;#ASMSTART
	v_pk_mul_f32 v[24:25], v[24:25], v[2:3]
	;;#ASMEND
	v_pk_add_f32 v[2:3], v[18:19], 1.0 op_sel_hi:[1,0]
	s_addc_u32 s0, s39, s1
	;;#ASMSTART
	v_pk_mul_f32 v[18:19], v[22:23], v[2:3]
	;;#ASMEND
	v_pk_add_f32 v[2:3], v[20:21], 1.0 op_sel_hi:[1,0]
	s_and_b32 s21, s0, 0xffff
	s_mov_b32 s0, 0x7060302
	;;#ASMSTART
	v_pk_mul_f32 v[6:7], v[6:7], v[2:3]
	;;#ASMEND
	v_perm_b32 v2, v11, v10, s0
	v_perm_b32 v3, v9, v8, s0
	;; [unrolled: 1-line block ×4, first 2 shown]
	buffer_store_dwordx4 v[2:5], v1, s[20:23], 0 offen
	;;#ASMSTART
	s_nop 0
	;;#ASMEND
	s_nop 0
	v_perm_b32 v2, v17, v16, s0
	v_perm_b32 v3, v25, v24, s0
	;; [unrolled: 1-line block ×4, first 2 shown]
	buffer_store_dwordx4 v[2:5], v1, s[20:23], 16 offen
	;;#ASMSTART
	s_nop 0
	;;#ASMEND
	s_endpgm
	.section	.rodata,"a",@progbits
	.p2align	6, 0x0
	.amdhsa_kernel _ZN5aiter35fused_qk_rmsnorm_group_quant_kernelItDB8_Li128ELi16ELi2ELb1ELb0ELb1ELb0ELb0ELb0EEEvPT0_PvPT_S6_S6_PKS5_S8_S8_S8_S8_ffiiiiiiiiiiiii
		.amdhsa_group_segment_fixed_size 16
		.amdhsa_private_segment_fixed_size 0
		.amdhsa_kernarg_size 400
		.amdhsa_user_sgpr_count 6
		.amdhsa_user_sgpr_private_segment_buffer 1
		.amdhsa_user_sgpr_dispatch_ptr 0
		.amdhsa_user_sgpr_queue_ptr 0
		.amdhsa_user_sgpr_kernarg_segment_ptr 1
		.amdhsa_user_sgpr_dispatch_id 0
		.amdhsa_user_sgpr_flat_scratch_init 0
		.amdhsa_user_sgpr_kernarg_preload_length 0
		.amdhsa_user_sgpr_kernarg_preload_offset 0
		.amdhsa_user_sgpr_private_segment_size 0
		.amdhsa_uses_dynamic_stack 0
		.amdhsa_system_sgpr_private_segment_wavefront_offset 0
		.amdhsa_system_sgpr_workgroup_id_x 1
		.amdhsa_system_sgpr_workgroup_id_y 1
		.amdhsa_system_sgpr_workgroup_id_z 0
		.amdhsa_system_sgpr_workgroup_info 0
		.amdhsa_system_vgpr_workitem_id 0
		.amdhsa_next_free_vgpr 88
		.amdhsa_next_free_sgpr 44
		.amdhsa_accum_offset 88
		.amdhsa_reserve_vcc 1
		.amdhsa_reserve_flat_scratch 0
		.amdhsa_float_round_mode_32 0
		.amdhsa_float_round_mode_16_64 0
		.amdhsa_float_denorm_mode_32 3
		.amdhsa_float_denorm_mode_16_64 3
		.amdhsa_dx10_clamp 1
		.amdhsa_ieee_mode 1
		.amdhsa_fp16_overflow 0
		.amdhsa_tg_split 0
		.amdhsa_exception_fp_ieee_invalid_op 0
		.amdhsa_exception_fp_denorm_src 0
		.amdhsa_exception_fp_ieee_div_zero 0
		.amdhsa_exception_fp_ieee_overflow 0
		.amdhsa_exception_fp_ieee_underflow 0
		.amdhsa_exception_fp_ieee_inexact 0
		.amdhsa_exception_int_div_zero 0
	.end_amdhsa_kernel
	.section	.text._ZN5aiter35fused_qk_rmsnorm_group_quant_kernelItDB8_Li128ELi16ELi2ELb1ELb0ELb1ELb0ELb0ELb0EEEvPT0_PvPT_S6_S6_PKS5_S8_S8_S8_S8_ffiiiiiiiiiiiii,"axG",@progbits,_ZN5aiter35fused_qk_rmsnorm_group_quant_kernelItDB8_Li128ELi16ELi2ELb1ELb0ELb1ELb0ELb0ELb0EEEvPT0_PvPT_S6_S6_PKS5_S8_S8_S8_S8_ffiiiiiiiiiiiii,comdat
.Lfunc_end722:
	.size	_ZN5aiter35fused_qk_rmsnorm_group_quant_kernelItDB8_Li128ELi16ELi2ELb1ELb0ELb1ELb0ELb0ELb0EEEvPT0_PvPT_S6_S6_PKS5_S8_S8_S8_S8_ffiiiiiiiiiiiii, .Lfunc_end722-_ZN5aiter35fused_qk_rmsnorm_group_quant_kernelItDB8_Li128ELi16ELi2ELb1ELb0ELb1ELb0ELb0ELb0EEEvPT0_PvPT_S6_S6_PKS5_S8_S8_S8_S8_ffiiiiiiiiiiiii
                                        ; -- End function
	.section	.AMDGPU.csdata,"",@progbits
; Kernel info:
; codeLenInByte = 4152
; NumSgprs: 48
; NumVgprs: 88
; NumAgprs: 0
; TotalNumVgprs: 88
; ScratchSize: 0
; MemoryBound: 0
; FloatMode: 240
; IeeeMode: 1
; LDSByteSize: 16 bytes/workgroup (compile time only)
; SGPRBlocks: 5
; VGPRBlocks: 10
; NumSGPRsForWavesPerEU: 48
; NumVGPRsForWavesPerEU: 88
; AccumOffset: 88
; Occupancy: 5
; WaveLimiterHint : 0
; COMPUTE_PGM_RSRC2:SCRATCH_EN: 0
; COMPUTE_PGM_RSRC2:USER_SGPR: 6
; COMPUTE_PGM_RSRC2:TRAP_HANDLER: 0
; COMPUTE_PGM_RSRC2:TGID_X_EN: 1
; COMPUTE_PGM_RSRC2:TGID_Y_EN: 1
; COMPUTE_PGM_RSRC2:TGID_Z_EN: 0
; COMPUTE_PGM_RSRC2:TIDIG_COMP_CNT: 0
; COMPUTE_PGM_RSRC3_GFX90A:ACCUM_OFFSET: 21
; COMPUTE_PGM_RSRC3_GFX90A:TG_SPLIT: 0
	.section	.text._ZN5aiter35fused_qk_rmsnorm_group_quant_kernelIDF16_N4opus5fp4_tELi128ELi16ELi2ELb1ELb0ELb1ELb0ELb0ELb0EEEvPT0_PvPT_S7_S7_PKS6_S9_S9_S9_S9_ffiiiiiiiiiiiii,"axG",@progbits,_ZN5aiter35fused_qk_rmsnorm_group_quant_kernelIDF16_N4opus5fp4_tELi128ELi16ELi2ELb1ELb0ELb1ELb0ELb0ELb0EEEvPT0_PvPT_S7_S7_PKS6_S9_S9_S9_S9_ffiiiiiiiiiiiii,comdat
	.protected	_ZN5aiter35fused_qk_rmsnorm_group_quant_kernelIDF16_N4opus5fp4_tELi128ELi16ELi2ELb1ELb0ELb1ELb0ELb0ELb0EEEvPT0_PvPT_S7_S7_PKS6_S9_S9_S9_S9_ffiiiiiiiiiiiii ; -- Begin function _ZN5aiter35fused_qk_rmsnorm_group_quant_kernelIDF16_N4opus5fp4_tELi128ELi16ELi2ELb1ELb0ELb1ELb0ELb0ELb0EEEvPT0_PvPT_S7_S7_PKS6_S9_S9_S9_S9_ffiiiiiiiiiiiii
	.globl	_ZN5aiter35fused_qk_rmsnorm_group_quant_kernelIDF16_N4opus5fp4_tELi128ELi16ELi2ELb1ELb0ELb1ELb0ELb0ELb0EEEvPT0_PvPT_S7_S7_PKS6_S9_S9_S9_S9_ffiiiiiiiiiiiii
	.p2align	8
	.type	_ZN5aiter35fused_qk_rmsnorm_group_quant_kernelIDF16_N4opus5fp4_tELi128ELi16ELi2ELb1ELb0ELb1ELb0ELb0ELb0EEEvPT0_PvPT_S7_S7_PKS6_S9_S9_S9_S9_ffiiiiiiiiiiiii,@function
_ZN5aiter35fused_qk_rmsnorm_group_quant_kernelIDF16_N4opus5fp4_tELi128ELi16ELi2ELb1ELb0ELb1ELb0ELb0ELb0EEEvPT0_PvPT_S7_S7_PKS6_S9_S9_S9_S9_ffiiiiiiiiiiiii: ; @_ZN5aiter35fused_qk_rmsnorm_group_quant_kernelIDF16_N4opus5fp4_tELi128ELi16ELi2ELb1ELb0ELb1ELb0ELb0ELb0EEEvPT0_PvPT_S7_S7_PKS6_S9_S9_S9_S9_ffiiiiiiiiiiiii
; %bb.0:
	s_load_dwordx8 s[12:19], s[4:5], 0x50
	s_waitcnt lgkmcnt(0)
	s_cmp_ge_i32 s6, s14
	s_cbranch_scc1 .LBB723_17
; %bb.1:
	s_cmp_lg_u32 s7, 0
	s_cselect_b64 s[22:23], -1, 0
	s_cmp_eq_u32 s7, 0
	s_cselect_b64 s[2:3], -1, 0
	s_and_b64 s[0:1], s[2:3], exec
	s_load_dwordx2 s[20:21], s[4:5], 0x48
	s_load_dwordx2 s[34:35], s[4:5], 0x30
	s_load_dwordx4 s[24:27], s[4:5], 0x70
	s_cselect_b32 s7, s15, s16
	s_add_i32 s0, s7, 1
	s_lshr_b32 s1, s0, 31
	s_add_i32 s0, s0, s1
	s_lshl_b32 s0, s0, 1
	v_lshlrev_b32_e32 v1, 4, v0
	s_and_b32 s30, s0, -4
	v_cmp_gt_i32_e64 s[0:1], s7, v1
	v_mov_b32_e32 v6, 0
	v_mov_b32_e32 v7, 0
	;; [unrolled: 1-line block ×16, first 2 shown]
	s_and_saveexec_b64 s[8:9], s[0:1]
	s_cbranch_execz .LBB723_3
; %bb.2:
	s_load_dwordx2 s[10:11], s[4:5], 0x28
	s_load_dwordx2 s[28:29], s[4:5], 0x40
	s_and_b64 s[36:37], s[2:3], exec
	s_cselect_b32 s14, s17, s18
	s_mov_b32 s31, 0x20000
	s_waitcnt lgkmcnt(0)
	s_cselect_b32 s17, s11, s35
	s_cselect_b32 s27, s10, s34
	s_mul_hi_i32 s11, s14, s6
	s_mul_i32 s10, s14, s6
	s_lshl_b64 s[10:11], s[10:11], 1
	s_add_u32 s36, s27, s10
	s_addc_u32 s14, s17, s11
	s_and_b64 s[10:11], s[2:3], exec
	s_cselect_b32 s28, s28, s20
	s_cselect_b32 s10, s29, s21
	s_and_b32 s37, s14, 0xffff
	s_mov_b32 s38, s30
	s_mov_b32 s39, s31
	v_lshlrev_b32_e32 v18, 5, v0
	s_and_b32 s29, s10, 0xffff
	buffer_load_dwordx4 v[10:13], v18, s[36:39], 0 offen
	buffer_load_dwordx4 v[14:17], v18, s[36:39], 16 offen
	;; [unrolled: 1-line block ×4, first 2 shown]
.LBB723_3:
	s_or_b64 exec, exec, s[8:9]
	s_load_dwordx2 s[10:11], s[4:5], 0x80
	s_and_b64 vcc, exec, s[22:23]
	s_cbranch_vccz .LBB723_7
; %bb.4:
	v_mov_b32_e32 v19, 0
	v_mov_b32_e32 v18, 0
	;; [unrolled: 1-line block ×16, first 2 shown]
	s_and_saveexec_b64 s[8:9], s[0:1]
	s_cbranch_execz .LBB723_6
; %bb.5:
	s_waitcnt vmcnt(3)
	v_cvt_f32_f16_sdwa v29, v10 dst_sel:DWORD dst_unused:UNUSED_PAD src0_sel:WORD_1
	v_cvt_f32_f16_e32 v28, v10
	v_cvt_f32_f16_sdwa v33, v11 dst_sel:DWORD dst_unused:UNUSED_PAD src0_sel:WORD_1
	v_cvt_f32_f16_e32 v32, v11
	;; [unrolled: 2-line block ×4, first 2 shown]
	s_waitcnt vmcnt(2)
	v_cvt_f32_f16_sdwa v23, v14 dst_sel:DWORD dst_unused:UNUSED_PAD src0_sel:WORD_1
	v_cvt_f32_f16_e32 v22, v14
	v_cvt_f32_f16_sdwa v25, v15 dst_sel:DWORD dst_unused:UNUSED_PAD src0_sel:WORD_1
	v_cvt_f32_f16_e32 v24, v15
	;; [unrolled: 2-line block ×4, first 2 shown]
.LBB723_6:
	s_or_b64 exec, exec, s[8:9]
	s_cbranch_execz .LBB723_8
	s_branch .LBB723_11
.LBB723_7:
                                        ; implicit-def: $vgpr19
                                        ; implicit-def: $vgpr21
                                        ; implicit-def: $vgpr25
                                        ; implicit-def: $vgpr23
                                        ; implicit-def: $vgpr31
                                        ; implicit-def: $vgpr27
                                        ; implicit-def: $vgpr33
                                        ; implicit-def: $vgpr29
.LBB723_8:
	v_mov_b32_e32 v19, 0
	v_mov_b32_e32 v18, 0
	;; [unrolled: 1-line block ×16, first 2 shown]
	s_and_saveexec_b64 s[8:9], s[0:1]
	s_cbranch_execz .LBB723_10
; %bb.9:
	s_load_dwordx2 s[28:29], s[4:5], 0x38
	s_mul_hi_i32 s37, s19, s6
	s_mul_i32 s36, s19, s6
	s_lshl_b64 s[36:37], s[36:37], 1
	s_mov_b32 s31, 0x20000
	s_waitcnt lgkmcnt(0)
	s_add_u32 s28, s28, s36
	s_addc_u32 s14, s29, s37
	s_and_b32 s29, s14, 0xffff
	v_lshlrev_b32_e32 v48, 5, v0
	buffer_load_dwordx4 v[18:21], v48, s[28:31], 16 offen
	buffer_load_dwordx4 v[22:25], v48, s[28:31], 0 offen
	s_waitcnt vmcnt(4)
	v_cvt_f32_f16_sdwa v27, v14 dst_sel:DWORD dst_unused:UNUSED_PAD src0_sel:WORD_1
	v_cvt_f32_f16_e32 v26, v14
	v_cvt_f32_f16_sdwa v29, v15 dst_sel:DWORD dst_unused:UNUSED_PAD src0_sel:WORD_1
	v_cvt_f32_f16_e32 v28, v15
	;; [unrolled: 2-line block ×8, first 2 shown]
	s_load_dwordx2 s[28:29], s[4:5], 0x20
	s_mul_hi_i32 s37, s11, s6
	s_mul_i32 s36, s11, s6
	s_lshl_b64 s[36:37], s[36:37], 1
	s_waitcnt lgkmcnt(0)
	s_add_u32 s28, s28, s36
	s_addc_u32 s11, s29, s37
	s_and_b32 s29, s11, 0xffff
	s_waitcnt vmcnt(1)
	v_cvt_f32_f16_e32 v12, v18
	v_cvt_f32_f16_sdwa v13, v18 dst_sel:DWORD dst_unused:UNUSED_PAD src0_sel:WORD_1
	v_cvt_f32_f16_e32 v18, v19
	v_cvt_f32_f16_sdwa v19, v19 dst_sel:DWORD dst_unused:UNUSED_PAD src0_sel:WORD_1
	;; [unrolled: 2-line block ×4, first 2 shown]
	s_waitcnt vmcnt(0)
	v_cvt_f32_f16_e32 v40, v22
	v_cvt_f32_f16_sdwa v41, v22 dst_sel:DWORD dst_unused:UNUSED_PAD src0_sel:WORD_1
	v_cvt_f32_f16_e32 v42, v23
	v_cvt_f32_f16_sdwa v43, v23 dst_sel:DWORD dst_unused:UNUSED_PAD src0_sel:WORD_1
	;; [unrolled: 2-line block ×4, first 2 shown]
	v_pk_add_f32 v[22:23], v[26:27], v[12:13]
	v_pk_add_f32 v[24:25], v[28:29], v[18:19]
	;; [unrolled: 1-line block ×8, first 2 shown]
	v_cvt_f16_f32_e32 v10, v29
	v_cvt_f16_f32_e32 v14, v28
	;; [unrolled: 1-line block ×16, first 2 shown]
	v_pack_b32_f16 v13, v17, v13
	v_pack_b32_f16 v12, v16, v12
	;; [unrolled: 1-line block ×8, first 2 shown]
	buffer_store_dwordx4 v[10:13], v48, s[28:31], 0 offen
	;;#ASMSTART
	s_nop 0
	;;#ASMEND
	buffer_store_dwordx4 v[14:17], v48, s[28:31], 16 offen
	;;#ASMSTART
	s_nop 0
	;;#ASMEND
.LBB723_10:
	s_or_b64 exec, exec, s[8:9]
.LBB723_11:
	s_waitcnt vmcnt(3)
	v_mul_f32_e32 v10, v29, v29
	v_fmac_f32_e32 v10, v28, v28
	v_fmac_f32_e32 v10, v32, v32
	;; [unrolled: 1-line block ×15, first 2 shown]
	v_and_b32_e32 v12, 63, v0
	v_cmp_eq_u32_e64 s[8:9], 63, v12
	v_mov_b32_dpp v11, v10 quad_perm:[1,0,3,2] row_mask:0xf bank_mask:0xf
	v_add_f32_e32 v10, v10, v11
	s_nop 1
	v_mov_b32_dpp v11, v10 quad_perm:[2,3,0,1] row_mask:0xf bank_mask:0xf
	v_add_f32_e32 v10, v10, v11
	s_nop 1
	v_mov_b32_dpp v11, v10 row_half_mirror row_mask:0xf bank_mask:0xf
	v_add_f32_e32 v10, v10, v11
	s_nop 1
	v_mov_b32_dpp v11, v10 row_mirror row_mask:0xf bank_mask:0xf
	v_add_f32_e32 v10, v10, v11
	s_nop 1
	v_mov_b32_dpp v11, v10 row_bcast:15 row_mask:0xf bank_mask:0xf
	v_add_f32_e32 v10, v10, v11
	s_nop 1
	v_mov_b32_dpp v11, v10 row_bcast:31 row_mask:0xf bank_mask:0xf
	s_and_saveexec_b64 s[28:29], s[8:9]
	s_cbranch_execz .LBB723_13
; %bb.12:
	v_add_f32_e32 v10, v10, v11
	v_lshrrev_b32_e32 v11, 4, v0
	v_and_b32_e32 v11, 60, v11
	ds_write_b32 v11, v10 offset:8
.LBB723_13:
	s_or_b64 exec, exec, s[28:29]
	v_and_b32_e32 v10, 1, v0
	v_lshlrev_b32_e32 v34, 2, v10
	s_waitcnt lgkmcnt(0)
	s_barrier
	ds_read_b32 v11, v34 offset:8
	s_load_dwordx2 s[36:37], s[4:5], 0x18
	s_waitcnt lgkmcnt(0)
	v_mov_b32_dpp v12, v11 quad_perm:[1,0,3,2] row_mask:0xf bank_mask:0xf
	s_and_saveexec_b64 s[28:29], s[0:1]
	s_cbranch_execnz .LBB723_18
; %bb.14:
	s_or_b64 exec, exec, s[28:29]
	s_mov_b64 s[2:3], -1
	s_and_b64 vcc, exec, s[22:23]
	s_cbranch_vccnz .LBB723_19
.LBB723_15:
	s_andn2_b64 vcc, exec, s[2:3]
	s_cbranch_vccz .LBB723_22
.LBB723_16:
	s_cmp_lt_i32 s16, 1
	s_cbranch_scc0 .LBB723_29
.LBB723_17:
	s_endpgm
.LBB723_18:
	v_cvt_f32_u32_e32 v13, s7
	v_add_f32_e32 v11, v11, v12
	s_waitcnt vmcnt(2)
	v_mov_b32_e32 v15, s13
	v_mov_b32_e32 v16, s12
	v_div_scale_f32 v12, s[38:39], v13, v13, v11
	v_rcp_f32_e32 v14, v12
	v_cndmask_b32_e64 v15, v15, v16, s[2:3]
	s_mov_b32 s2, 0x800000
	v_fma_f32 v16, -v12, v14, 1.0
	v_fmac_f32_e32 v14, v16, v14
	v_div_scale_f32 v16, vcc, v11, v13, v11
	v_mul_f32_e32 v17, v16, v14
	v_fma_f32 v35, -v12, v17, v16
	v_fmac_f32_e32 v17, v35, v14
	v_fma_f32 v12, -v12, v17, v16
	v_div_fmas_f32 v12, v12, v14, v17
	v_div_fixup_f32 v11, v12, v13, v11
	v_add_f32_e32 v11, v15, v11
	v_mul_f32_e32 v12, 0x4b800000, v11
	v_cmp_gt_f32_e32 vcc, s2, v11
	v_cndmask_b32_e32 v11, v11, v12, vcc
	v_rsq_f32_e32 v11, v11
	v_mul_f32_e32 v12, 0x45800000, v11
	v_cndmask_b32_e32 v12, v11, v12, vcc
	v_mov_b32_e32 v13, v12
	;;#ASMSTART
	v_pk_mul_f32 v[14:15], v[28:29], v[12:13]
	;;#ASMEND
	s_waitcnt vmcnt(1)
	v_cvt_f32_f16_sdwa v29, v6 dst_sel:DWORD dst_unused:UNUSED_PAD src0_sel:WORD_1
	v_cvt_f32_f16_e32 v28, v6
	;;#ASMSTART
	v_pk_mul_f32 v[16:17], v[32:33], v[12:13]
	;;#ASMEND
	v_cvt_f32_f16_sdwa v33, v7 dst_sel:DWORD dst_unused:UNUSED_PAD src0_sel:WORD_1
	v_cvt_f32_f16_e32 v32, v7
	;;#ASMSTART
	v_pk_mul_f32 v[26:27], v[26:27], v[12:13]
	;;#ASMEND
	;;#ASMSTART
	v_pk_mul_f32 v[30:31], v[30:31], v[12:13]
	;;#ASMEND
	;; [unrolled: 3-line block ×6, first 2 shown]
	v_pk_add_f32 v[12:13], v[28:29], 1.0 op_sel_hi:[1,0]
	;;#ASMSTART
	v_pk_mul_f32 v[28:29], v[14:15], v[12:13]
	;;#ASMEND
	v_cvt_f32_f16_sdwa v15, v8 dst_sel:DWORD dst_unused:UNUSED_PAD src0_sel:WORD_1
	v_cvt_f32_f16_e32 v14, v8
	v_cvt_f32_f16_sdwa v19, v9 dst_sel:DWORD dst_unused:UNUSED_PAD src0_sel:WORD_1
	v_cvt_f32_f16_e32 v18, v9
	v_pk_add_f32 v[12:13], v[32:33], 1.0 op_sel_hi:[1,0]
	;;#ASMSTART
	v_pk_mul_f32 v[32:33], v[16:17], v[12:13]
	;;#ASMEND
	s_waitcnt vmcnt(0)
	v_cvt_f32_f16_sdwa v13, v2 dst_sel:DWORD dst_unused:UNUSED_PAD src0_sel:WORD_1
	v_cvt_f32_f16_e32 v12, v2
	v_pk_add_f32 v[8:9], v[14:15], 1.0 op_sel_hi:[1,0]
	;;#ASMSTART
	v_pk_mul_f32 v[26:27], v[26:27], v[8:9]
	;;#ASMEND
	v_pk_add_f32 v[8:9], v[18:19], 1.0 op_sel_hi:[1,0]
	v_cvt_f32_f16_sdwa v15, v3 dst_sel:DWORD dst_unused:UNUSED_PAD src0_sel:WORD_1
	v_cvt_f32_f16_e32 v14, v3
	;;#ASMSTART
	v_pk_mul_f32 v[30:31], v[30:31], v[8:9]
	;;#ASMEND
	v_cvt_f32_f16_sdwa v9, v4 dst_sel:DWORD dst_unused:UNUSED_PAD src0_sel:WORD_1
	v_cvt_f32_f16_e32 v8, v4
	v_pk_add_f32 v[2:3], v[12:13], 1.0 op_sel_hi:[1,0]
	v_cvt_f32_f16_sdwa v13, v5 dst_sel:DWORD dst_unused:UNUSED_PAD src0_sel:WORD_1
	v_cvt_f32_f16_e32 v12, v5
	;;#ASMSTART
	v_pk_mul_f32 v[22:23], v[22:23], v[2:3]
	;;#ASMEND
	v_pk_add_f32 v[2:3], v[14:15], 1.0 op_sel_hi:[1,0]
	;;#ASMSTART
	v_pk_mul_f32 v[24:25], v[24:25], v[2:3]
	;;#ASMEND
	v_pk_add_f32 v[2:3], v[8:9], 1.0 op_sel_hi:[1,0]
	;; [unrolled: 4-line block ×3, first 2 shown]
	;;#ASMSTART
	v_pk_mul_f32 v[18:19], v[6:7], v[2:3]
	;;#ASMEND
	s_or_b64 exec, exec, s[28:29]
	s_mov_b64 s[2:3], -1
	s_and_b64 vcc, exec, s[22:23]
	s_cbranch_vccz .LBB723_15
.LBB723_19:
	s_and_saveexec_b64 s[2:3], s[0:1]
	s_cbranch_execz .LBB723_21
; %bb.20:
	s_mul_hi_i32 s23, s10, s6
	s_mul_i32 s22, s10, s6
	s_waitcnt vmcnt(0)
	v_cvt_f16_f32_e32 v2, v28
	v_cvt_f16_f32_e32 v3, v32
	;; [unrolled: 1-line block ×8, first 2 shown]
	s_lshl_b64 s[22:23], s[22:23], 1
	s_add_u32 s28, s36, s22
	s_addc_u32 s7, s37, s23
	s_and_b32 s29, s7, 0xffff
	s_mov_b32 s31, 0x20000
	v_pack_b32_f16 v5, v5, v6
	v_pack_b32_f16 v4, v4, v7
	;; [unrolled: 1-line block ×4, first 2 shown]
	v_lshlrev_b32_e32 v6, 5, v0
	buffer_store_dwordx4 v[2:5], v6, s[28:31], 0 offen
	v_cvt_f16_f32_e32 v7, v19
	v_cvt_f16_f32_e32 v2, v22
	;; [unrolled: 1-line block ×8, first 2 shown]
	v_pack_b32_f16 v5, v5, v7
	v_pack_b32_f16 v4, v4, v8
	;; [unrolled: 1-line block ×4, first 2 shown]
	;;#ASMSTART
	s_nop 0
	;;#ASMEND
	buffer_store_dwordx4 v[2:5], v6, s[28:31], 16 offen
	;;#ASMSTART
	s_nop 0
	;;#ASMEND
.LBB723_21:
	s_or_b64 exec, exec, s[2:3]
	s_cbranch_execnz .LBB723_16
.LBB723_22:
	s_waitcnt vmcnt(0)
	v_mov_b32_e32 v2, 0
	s_and_saveexec_b64 s[2:3], s[0:1]
	s_cbranch_execz .LBB723_24
; %bb.23:
	v_and_b32_e32 v2, 0x7fffffff, v28
	v_and_b32_e32 v3, 0x7fffffff, v29
	v_mov_b32_e32 v4, 0x2edbe6ff
	;;#ASMSTART
	v_max3_f32 v2, v4, v2, v3

	;;#ASMEND
	v_and_b32_e32 v3, 0x7fffffff, v32
	v_and_b32_e32 v4, 0x7fffffff, v33
	;;#ASMSTART
	v_max3_f32 v2, v2, v3, v4

	;;#ASMEND
	v_and_b32_e32 v3, 0x7fffffff, v26
	v_and_b32_e32 v4, 0x7fffffff, v27
	;; [unrolled: 6-line block ×7, first 2 shown]
	;;#ASMSTART
	v_max3_f32 v2, v2, v3, v4

	;;#ASMEND
.LBB723_24:
	s_or_b64 exec, exec, s[2:3]
	v_cmp_eq_u32_e32 vcc, 0, v10
	v_cmp_gt_i32_e64 s[2:3], s15, v1
	s_and_b64 s[22:23], vcc, s[2:3]
	;;#ASMSTART
	v_max_f32 v3, v2, v2 quad_perm:[1,0,3,2] row_mask:0xf bank_mask:0xf bound_ctrl:1
	;;#ASMEND
	s_and_saveexec_b64 s[2:3], s[22:23]
	s_cbranch_execz .LBB723_26
; %bb.25:
	s_load_dwordx2 s[22:23], s[4:5], 0x8
	v_mul_f32_e32 v2, 0x3e2aaaab, v3
	v_lshrrev_b32_e32 v3, 23, v2
	v_and_b32_e32 v4, 0x7f800000, v2
	v_and_b32_e32 v2, 0x7fffff, v2
	v_cmp_ne_u32_e32 vcc, 0, v2
	s_mul_i32 s12, s25, s6
	s_mov_b32 s7, 0x7f800000
	v_addc_co_u32_e32 v2, vcc, 0, v3, vcc
	s_mul_hi_i32 s11, s25, s6
	s_waitcnt lgkmcnt(0)
	s_add_u32 s22, s22, s12
	v_cmp_ne_u32_e32 vcc, s7, v4
	s_addc_u32 s23, s23, s11
	v_lshrrev_b32_e32 v5, 1, v0
	v_cndmask_b32_e32 v4, -1, v2, vcc
	v_pk_mov_b32 v[2:3], s[22:23], s[22:23] op_sel:[0,1]
	v_mad_i64_i32 v[2:3], s[22:23], s26, v5, v[2:3]
	global_store_byte v[2:3], v4, off
.LBB723_26:
	s_or_b64 exec, exec, s[2:3]
	s_and_saveexec_b64 s[2:3], s[0:1]
	s_cbranch_execz .LBB723_28
; %bb.27:
	s_load_dwordx2 s[0:1], s[4:5], 0x0
	s_mul_i32 s11, s24, s6
	s_mul_hi_i32 s7, s24, s6
	v_mov_b32_e32 v2, 0
	v_lshlrev_b32_e32 v4, 3, v0
	s_waitcnt lgkmcnt(0)
	s_add_u32 s24, s0, s11
	s_addc_u32 s0, s1, s7
	s_lshr_b32 s1, s15, 31
	s_add_i32 s1, s15, s1
	s_ashr_i32 s1, s1, 1
	s_add_i32 s1, s1, 3
	s_ashr_i32 s7, s1, 31
	s_lshr_b32 s7, s7, 30
	s_add_i32 s1, s1, s7
	s_and_b32 s26, s1, -4
	s_and_b32 s25, s0, 0xffff
	s_mov_b32 s27, 0x20000
	v_mov_b32_e32 v3, v2
	buffer_store_dwordx2 v[2:3], v4, s[24:27], 0 offen
	;;#ASMSTART
	s_nop 0
	;;#ASMEND
.LBB723_28:
	s_or_b64 exec, exec, s[2:3]
	s_cmp_lt_i32 s16, 1
	s_cbranch_scc1 .LBB723_17
.LBB723_29:
	s_load_dword s0, s[4:5], 0x94
	s_waitcnt lgkmcnt(0)
	s_cmp_lg_u32 s0, 1
	s_cbranch_scc1 .LBB723_17
; %bb.30:
	s_lshl_b32 s0, s16, 1
	s_add_i32 s0, s0, 2
	v_cmp_gt_u32_e32 vcc, s16, v1
	s_and_b32 s22, s0, -4
	v_mov_b32_e32 v18, 0
	v_lshlrev_b32_e32 v1, 5, v0
	s_waitcnt vmcnt(2)
	v_mov_b32_e32 v14, 0
	v_mov_b32_e32 v15, 0
	;; [unrolled: 1-line block ×8, first 2 shown]
	s_waitcnt vmcnt(1)
	v_mov_b32_e32 v6, 0
	v_mov_b32_e32 v7, 0
	;; [unrolled: 1-line block ×4, first 2 shown]
	s_waitcnt vmcnt(0)
	v_mov_b32_e32 v2, 0
	v_mov_b32_e32 v3, 0
	;; [unrolled: 1-line block ×4, first 2 shown]
	s_barrier
	s_and_saveexec_b64 s[0:1], vcc
	s_cbranch_execz .LBB723_32
; %bb.31:
	s_mul_hi_i32 s3, s18, s6
	s_mul_i32 s2, s18, s6
	s_and_b32 s21, s21, 0xffff
	s_lshl_b64 s[2:3], s[2:3], 1
	s_add_u32 s24, s34, s2
	s_mov_b32 s23, 0x20000
	s_addc_u32 s2, s35, s3
	s_and_b32 s25, s2, 0xffff
	s_mov_b32 s26, s22
	s_mov_b32 s27, s23
	buffer_load_dwordx4 v[14:17], v1, s[24:27], 0 offen
	buffer_load_dwordx4 v[10:13], v1, s[24:27], 16 offen
	;; [unrolled: 1-line block ×4, first 2 shown]
.LBB723_32:
	s_or_b64 exec, exec, s[0:1]
	v_mov_b32_e32 v19, 0
	v_mov_b32_e32 v32, 0
	v_mov_b32_e32 v33, 0
	v_mov_b32_e32 v30, 0
	v_mov_b32_e32 v31, 0
	v_mov_b32_e32 v28, 0
	v_mov_b32_e32 v29, 0
	v_mov_b32_e32 v26, 0
	v_mov_b32_e32 v27, 0
	v_mov_b32_e32 v24, 0
	v_mov_b32_e32 v25, 0
	v_mov_b32_e32 v22, 0
	v_mov_b32_e32 v23, 0
	v_mov_b32_e32 v20, 0
	v_mov_b32_e32 v21, 0
	s_and_saveexec_b64 s[0:1], vcc
	s_cbranch_execz .LBB723_34
; %bb.33:
	s_waitcnt vmcnt(3)
	v_cvt_f32_f16_sdwa v19, v14 dst_sel:DWORD dst_unused:UNUSED_PAD src0_sel:WORD_1
	v_cvt_f32_f16_e32 v18, v14
	v_cvt_f32_f16_sdwa v33, v15 dst_sel:DWORD dst_unused:UNUSED_PAD src0_sel:WORD_1
	v_cvt_f32_f16_e32 v32, v15
	v_cvt_f32_f16_sdwa v31, v16 dst_sel:DWORD dst_unused:UNUSED_PAD src0_sel:WORD_1
	v_cvt_f32_f16_e32 v30, v16
	v_cvt_f32_f16_sdwa v29, v17 dst_sel:DWORD dst_unused:UNUSED_PAD src0_sel:WORD_1
	v_cvt_f32_f16_e32 v28, v17
	s_waitcnt vmcnt(2)
	v_cvt_f32_f16_sdwa v27, v10 dst_sel:DWORD dst_unused:UNUSED_PAD src0_sel:WORD_1
	v_cvt_f32_f16_e32 v26, v10
	v_cvt_f32_f16_sdwa v25, v11 dst_sel:DWORD dst_unused:UNUSED_PAD src0_sel:WORD_1
	v_cvt_f32_f16_e32 v24, v11
	;; [unrolled: 2-line block ×4, first 2 shown]
.LBB723_34:
	s_or_b64 exec, exec, s[0:1]
	s_waitcnt vmcnt(2)
	v_mul_f32_e32 v10, v19, v19
	v_fmac_f32_e32 v10, v18, v18
	v_fmac_f32_e32 v10, v32, v32
	;; [unrolled: 1-line block ×15, first 2 shown]
	s_nop 1
	v_mov_b32_dpp v11, v10 quad_perm:[1,0,3,2] row_mask:0xf bank_mask:0xf
	v_add_f32_e32 v10, v10, v11
	s_nop 1
	v_mov_b32_dpp v11, v10 quad_perm:[2,3,0,1] row_mask:0xf bank_mask:0xf
	v_add_f32_e32 v10, v10, v11
	s_nop 1
	v_mov_b32_dpp v11, v10 row_half_mirror row_mask:0xf bank_mask:0xf
	v_add_f32_e32 v10, v10, v11
	s_nop 1
	v_mov_b32_dpp v11, v10 row_mirror row_mask:0xf bank_mask:0xf
	v_add_f32_e32 v10, v10, v11
	s_nop 1
	v_mov_b32_dpp v11, v10 row_bcast:15 row_mask:0xf bank_mask:0xf
	v_add_f32_e32 v10, v10, v11
	s_nop 1
	v_mov_b32_dpp v11, v10 row_bcast:31 row_mask:0xf bank_mask:0xf
	s_and_saveexec_b64 s[0:1], s[8:9]
	s_cbranch_execz .LBB723_36
; %bb.35:
	v_lshrrev_b32_e32 v0, 4, v0
	v_add_f32_e32 v10, v10, v11
	v_and_b32_e32 v0, 60, v0
	ds_write_b32 v0, v10
.LBB723_36:
	s_or_b64 exec, exec, s[0:1]
	s_waitcnt lgkmcnt(0)
	s_barrier
	ds_read_b32 v0, v34
	s_waitcnt lgkmcnt(0)
	s_nop 0
	v_mov_b32_dpp v10, v0 quad_perm:[1,0,3,2] row_mask:0xf bank_mask:0xf
	s_and_saveexec_b64 s[0:1], vcc
	s_cbranch_execz .LBB723_17
; %bb.37:
	v_cvt_f32_u32_e32 v11, s16
	v_add_f32_e32 v0, v0, v10
	s_mov_b32 s23, 0x20000
	v_div_scale_f32 v10, s[0:1], v11, v11, v0
	v_rcp_f32_e32 v12, v10
	v_div_scale_f32 v13, vcc, v0, v11, v0
	s_mov_b32 s0, 0x800000
	v_fma_f32 v14, -v10, v12, 1.0
	v_fmac_f32_e32 v12, v14, v12
	v_mul_f32_e32 v14, v13, v12
	v_fma_f32 v15, -v10, v14, v13
	v_fmac_f32_e32 v14, v15, v12
	v_fma_f32 v10, -v10, v14, v13
	v_div_fmas_f32 v10, v10, v12, v14
	v_div_fixup_f32 v0, v10, v11, v0
	v_add_f32_e32 v0, s13, v0
	v_mul_f32_e32 v10, 0x4b800000, v0
	v_cmp_gt_f32_e32 vcc, s0, v0
	v_cndmask_b32_e32 v0, v0, v10, vcc
	v_rsq_f32_e32 v0, v0
	s_mul_hi_i32 s1, s10, s6
	s_mul_i32 s0, s10, s6
	s_lshl_b64 s[0:1], s[0:1], 1
	v_mul_f32_e32 v10, 0x45800000, v0
	v_cndmask_b32_e32 v10, v0, v10, vcc
	v_mov_b32_e32 v11, v10
	;;#ASMSTART
	v_pk_mul_f32 v[12:13], v[18:19], v[10:11]
	;;#ASMEND
	;;#ASMSTART
	v_pk_mul_f32 v[14:15], v[32:33], v[10:11]
	;;#ASMEND
	;; [unrolled: 3-line block ×4, first 2 shown]
	s_waitcnt vmcnt(1)
	v_cvt_f32_f16_sdwa v29, v6 dst_sel:DWORD dst_unused:UNUSED_PAD src0_sel:WORD_1
	v_cvt_f32_f16_e32 v28, v6
	v_cvt_f32_f16_sdwa v31, v7 dst_sel:DWORD dst_unused:UNUSED_PAD src0_sel:WORD_1
	v_cvt_f32_f16_e32 v30, v7
	;;#ASMSTART
	v_pk_mul_f32 v[26:27], v[26:27], v[10:11]
	;;#ASMEND
	;;#ASMSTART
	v_pk_mul_f32 v[24:25], v[24:25], v[10:11]
	;;#ASMEND
	;; [unrolled: 3-line block ×4, first 2 shown]
	v_cvt_f32_f16_sdwa v21, v8 dst_sel:DWORD dst_unused:UNUSED_PAD src0_sel:WORD_1
	v_cvt_f32_f16_e32 v20, v8
	v_pk_add_f32 v[10:11], v[28:29], 1.0 op_sel_hi:[1,0]
	;;#ASMSTART
	v_pk_mul_f32 v[10:11], v[12:13], v[10:11]
	;;#ASMEND
	v_pk_add_f32 v[12:13], v[30:31], 1.0 op_sel_hi:[1,0]
	v_cvt_f32_f16_sdwa v29, v9 dst_sel:DWORD dst_unused:UNUSED_PAD src0_sel:WORD_1
	v_cvt_f32_f16_e32 v28, v9
	;;#ASMSTART
	v_pk_mul_f32 v[8:9], v[14:15], v[12:13]
	;;#ASMEND
	v_pk_add_f32 v[12:13], v[20:21], 1.0 op_sel_hi:[1,0]
	;;#ASMSTART
	v_pk_mul_f32 v[12:13], v[16:17], v[12:13]
	;;#ASMEND
	s_waitcnt vmcnt(0)
	v_cvt_f32_f16_sdwa v17, v2 dst_sel:DWORD dst_unused:UNUSED_PAD src0_sel:WORD_1
	v_cvt_f32_f16_e32 v16, v2
	v_cvt_f32_f16_sdwa v21, v3 dst_sel:DWORD dst_unused:UNUSED_PAD src0_sel:WORD_1
	v_cvt_f32_f16_e32 v20, v3
	v_pk_add_f32 v[14:15], v[28:29], 1.0 op_sel_hi:[1,0]
	;;#ASMSTART
	v_pk_mul_f32 v[2:3], v[18:19], v[14:15]
	;;#ASMEND
	v_cvt_f32_f16_sdwa v19, v4 dst_sel:DWORD dst_unused:UNUSED_PAD src0_sel:WORD_1
	v_cvt_f32_f16_e32 v18, v4
	v_pk_add_f32 v[14:15], v[16:17], 1.0 op_sel_hi:[1,0]
	v_pk_add_f32 v[16:17], v[20:21], 1.0 op_sel_hi:[1,0]
	v_cvt_f32_f16_sdwa v21, v5 dst_sel:DWORD dst_unused:UNUSED_PAD src0_sel:WORD_1
	v_cvt_f32_f16_e32 v20, v5
	v_pk_add_f32 v[4:5], v[18:19], 1.0 op_sel_hi:[1,0]
	;;#ASMSTART
	v_pk_mul_f32 v[14:15], v[26:27], v[14:15]
	;;#ASMEND
	;;#ASMSTART
	v_pk_mul_f32 v[16:17], v[24:25], v[16:17]
	;;#ASMEND
	;; [unrolled: 3-line block ×3, first 2 shown]
	v_pk_add_f32 v[4:5], v[20:21], 1.0 op_sel_hi:[1,0]
	;;#ASMSTART
	v_pk_mul_f32 v[6:7], v[6:7], v[4:5]
	;;#ASMEND
	v_cvt_f16_f32_e32 v0, v10
	v_cvt_f16_f32_e32 v4, v11
	;; [unrolled: 1-line block ×8, first 2 shown]
	s_add_u32 s20, s36, s0
	s_addc_u32 s0, s37, s1
	s_and_b32 s21, s0, 0xffff
	v_pack_b32_f16 v2, v0, v4
	v_pack_b32_f16 v3, v5, v8
	;; [unrolled: 1-line block ×4, first 2 shown]
	buffer_store_dwordx4 v[2:5], v1, s[20:23], 0 offen
	v_cvt_f16_f32_e32 v0, v14
	v_cvt_f16_f32_e32 v2, v15
	v_cvt_f16_f32_e32 v3, v16
	v_cvt_f16_f32_e32 v4, v17
	v_cvt_f16_f32_e32 v5, v18
	v_cvt_f16_f32_e32 v8, v19
	v_cvt_f16_f32_e32 v6, v6
	v_cvt_f16_f32_e32 v7, v7
	v_pack_b32_f16 v2, v0, v2
	v_pack_b32_f16 v3, v3, v4
	;; [unrolled: 1-line block ×4, first 2 shown]
	;;#ASMSTART
	s_nop 0
	;;#ASMEND
	buffer_store_dwordx4 v[2:5], v1, s[20:23], 16 offen
	;;#ASMSTART
	s_nop 0
	;;#ASMEND
	s_endpgm
	.section	.rodata,"a",@progbits
	.p2align	6, 0x0
	.amdhsa_kernel _ZN5aiter35fused_qk_rmsnorm_group_quant_kernelIDF16_N4opus5fp4_tELi128ELi16ELi2ELb1ELb0ELb1ELb0ELb0ELb0EEEvPT0_PvPT_S7_S7_PKS6_S9_S9_S9_S9_ffiiiiiiiiiiiii
		.amdhsa_group_segment_fixed_size 16
		.amdhsa_private_segment_fixed_size 0
		.amdhsa_kernarg_size 400
		.amdhsa_user_sgpr_count 6
		.amdhsa_user_sgpr_private_segment_buffer 1
		.amdhsa_user_sgpr_dispatch_ptr 0
		.amdhsa_user_sgpr_queue_ptr 0
		.amdhsa_user_sgpr_kernarg_segment_ptr 1
		.amdhsa_user_sgpr_dispatch_id 0
		.amdhsa_user_sgpr_flat_scratch_init 0
		.amdhsa_user_sgpr_kernarg_preload_length 0
		.amdhsa_user_sgpr_kernarg_preload_offset 0
		.amdhsa_user_sgpr_private_segment_size 0
		.amdhsa_uses_dynamic_stack 0
		.amdhsa_system_sgpr_private_segment_wavefront_offset 0
		.amdhsa_system_sgpr_workgroup_id_x 1
		.amdhsa_system_sgpr_workgroup_id_y 1
		.amdhsa_system_sgpr_workgroup_id_z 0
		.amdhsa_system_sgpr_workgroup_info 0
		.amdhsa_system_vgpr_workitem_id 0
		.amdhsa_next_free_vgpr 49
		.amdhsa_next_free_sgpr 40
		.amdhsa_accum_offset 52
		.amdhsa_reserve_vcc 1
		.amdhsa_reserve_flat_scratch 0
		.amdhsa_float_round_mode_32 0
		.amdhsa_float_round_mode_16_64 0
		.amdhsa_float_denorm_mode_32 3
		.amdhsa_float_denorm_mode_16_64 3
		.amdhsa_dx10_clamp 1
		.amdhsa_ieee_mode 1
		.amdhsa_fp16_overflow 0
		.amdhsa_tg_split 0
		.amdhsa_exception_fp_ieee_invalid_op 0
		.amdhsa_exception_fp_denorm_src 0
		.amdhsa_exception_fp_ieee_div_zero 0
		.amdhsa_exception_fp_ieee_overflow 0
		.amdhsa_exception_fp_ieee_underflow 0
		.amdhsa_exception_fp_ieee_inexact 0
		.amdhsa_exception_int_div_zero 0
	.end_amdhsa_kernel
	.section	.text._ZN5aiter35fused_qk_rmsnorm_group_quant_kernelIDF16_N4opus5fp4_tELi128ELi16ELi2ELb1ELb0ELb1ELb0ELb0ELb0EEEvPT0_PvPT_S7_S7_PKS6_S9_S9_S9_S9_ffiiiiiiiiiiiii,"axG",@progbits,_ZN5aiter35fused_qk_rmsnorm_group_quant_kernelIDF16_N4opus5fp4_tELi128ELi16ELi2ELb1ELb0ELb1ELb0ELb0ELb0EEEvPT0_PvPT_S7_S7_PKS6_S9_S9_S9_S9_ffiiiiiiiiiiiii,comdat
.Lfunc_end723:
	.size	_ZN5aiter35fused_qk_rmsnorm_group_quant_kernelIDF16_N4opus5fp4_tELi128ELi16ELi2ELb1ELb0ELb1ELb0ELb0ELb0EEEvPT0_PvPT_S7_S7_PKS6_S9_S9_S9_S9_ffiiiiiiiiiiiii, .Lfunc_end723-_ZN5aiter35fused_qk_rmsnorm_group_quant_kernelIDF16_N4opus5fp4_tELi128ELi16ELi2ELb1ELb0ELb1ELb0ELb0ELb0EEEvPT0_PvPT_S7_S7_PKS6_S9_S9_S9_S9_ffiiiiiiiiiiiii
                                        ; -- End function
	.section	.AMDGPU.csdata,"",@progbits
; Kernel info:
; codeLenInByte = 3836
; NumSgprs: 44
; NumVgprs: 49
; NumAgprs: 0
; TotalNumVgprs: 49
; ScratchSize: 0
; MemoryBound: 0
; FloatMode: 240
; IeeeMode: 1
; LDSByteSize: 16 bytes/workgroup (compile time only)
; SGPRBlocks: 5
; VGPRBlocks: 6
; NumSGPRsForWavesPerEU: 44
; NumVGPRsForWavesPerEU: 49
; AccumOffset: 52
; Occupancy: 8
; WaveLimiterHint : 0
; COMPUTE_PGM_RSRC2:SCRATCH_EN: 0
; COMPUTE_PGM_RSRC2:USER_SGPR: 6
; COMPUTE_PGM_RSRC2:TRAP_HANDLER: 0
; COMPUTE_PGM_RSRC2:TGID_X_EN: 1
; COMPUTE_PGM_RSRC2:TGID_Y_EN: 1
; COMPUTE_PGM_RSRC2:TGID_Z_EN: 0
; COMPUTE_PGM_RSRC2:TIDIG_COMP_CNT: 0
; COMPUTE_PGM_RSRC3_GFX90A:ACCUM_OFFSET: 12
; COMPUTE_PGM_RSRC3_GFX90A:TG_SPLIT: 0
	.section	.text._ZN5aiter35fused_qk_rmsnorm_group_quant_kernelItN4opus5fp4_tELi128ELi16ELi2ELb1ELb0ELb1ELb0ELb0ELb0EEEvPT0_PvPT_S7_S7_PKS6_S9_S9_S9_S9_ffiiiiiiiiiiiii,"axG",@progbits,_ZN5aiter35fused_qk_rmsnorm_group_quant_kernelItN4opus5fp4_tELi128ELi16ELi2ELb1ELb0ELb1ELb0ELb0ELb0EEEvPT0_PvPT_S7_S7_PKS6_S9_S9_S9_S9_ffiiiiiiiiiiiii,comdat
	.protected	_ZN5aiter35fused_qk_rmsnorm_group_quant_kernelItN4opus5fp4_tELi128ELi16ELi2ELb1ELb0ELb1ELb0ELb0ELb0EEEvPT0_PvPT_S7_S7_PKS6_S9_S9_S9_S9_ffiiiiiiiiiiiii ; -- Begin function _ZN5aiter35fused_qk_rmsnorm_group_quant_kernelItN4opus5fp4_tELi128ELi16ELi2ELb1ELb0ELb1ELb0ELb0ELb0EEEvPT0_PvPT_S7_S7_PKS6_S9_S9_S9_S9_ffiiiiiiiiiiiii
	.globl	_ZN5aiter35fused_qk_rmsnorm_group_quant_kernelItN4opus5fp4_tELi128ELi16ELi2ELb1ELb0ELb1ELb0ELb0ELb0EEEvPT0_PvPT_S7_S7_PKS6_S9_S9_S9_S9_ffiiiiiiiiiiiii
	.p2align	8
	.type	_ZN5aiter35fused_qk_rmsnorm_group_quant_kernelItN4opus5fp4_tELi128ELi16ELi2ELb1ELb0ELb1ELb0ELb0ELb0EEEvPT0_PvPT_S7_S7_PKS6_S9_S9_S9_S9_ffiiiiiiiiiiiii,@function
_ZN5aiter35fused_qk_rmsnorm_group_quant_kernelItN4opus5fp4_tELi128ELi16ELi2ELb1ELb0ELb1ELb0ELb0ELb0EEEvPT0_PvPT_S7_S7_PKS6_S9_S9_S9_S9_ffiiiiiiiiiiiii: ; @_ZN5aiter35fused_qk_rmsnorm_group_quant_kernelItN4opus5fp4_tELi128ELi16ELi2ELb1ELb0ELb1ELb0ELb0ELb0EEEvPT0_PvPT_S7_S7_PKS6_S9_S9_S9_S9_ffiiiiiiiiiiiii
; %bb.0:
	s_load_dwordx8 s[12:19], s[4:5], 0x50
	s_waitcnt lgkmcnt(0)
	s_cmp_ge_i32 s6, s14
	s_cbranch_scc1 .LBB724_17
; %bb.1:
	s_cmp_lg_u32 s7, 0
	s_cselect_b64 s[22:23], -1, 0
	s_cmp_eq_u32 s7, 0
	s_cselect_b64 s[2:3], -1, 0
	s_and_b64 s[0:1], s[2:3], exec
	s_load_dwordx2 s[20:21], s[4:5], 0x48
	s_load_dwordx2 s[34:35], s[4:5], 0x30
	s_load_dwordx4 s[24:27], s[4:5], 0x70
	s_cselect_b32 s7, s15, s16
	s_add_i32 s0, s7, 1
	s_lshr_b32 s1, s0, 31
	s_add_i32 s0, s0, s1
	s_lshl_b32 s0, s0, 1
	v_lshlrev_b32_e32 v1, 4, v0
	s_and_b32 s30, s0, -4
	v_cmp_gt_i32_e64 s[0:1], s7, v1
	v_mov_b32_e32 v62, 0
	v_mov_b32_e32 v63, 0
	;; [unrolled: 1-line block ×16, first 2 shown]
	s_and_saveexec_b64 s[8:9], s[0:1]
	s_cbranch_execz .LBB724_3
; %bb.2:
	s_load_dwordx2 s[10:11], s[4:5], 0x28
	s_load_dwordx2 s[28:29], s[4:5], 0x40
	s_and_b64 s[36:37], s[2:3], exec
	s_cselect_b32 s14, s17, s18
	s_mov_b32 s31, 0x20000
	s_waitcnt lgkmcnt(0)
	s_cselect_b32 s17, s11, s35
	s_cselect_b32 s27, s10, s34
	s_mul_hi_i32 s11, s14, s6
	s_mul_i32 s10, s14, s6
	s_lshl_b64 s[10:11], s[10:11], 1
	s_add_u32 s36, s27, s10
	s_addc_u32 s14, s17, s11
	s_and_b64 s[10:11], s[2:3], exec
	s_cselect_b32 s28, s28, s20
	s_cselect_b32 s10, s29, s21
	s_and_b32 s37, s14, 0xffff
	s_mov_b32 s38, s30
	s_mov_b32 s39, s31
	v_lshlrev_b32_e32 v2, 5, v0
	s_and_b32 s29, s10, 0xffff
	buffer_load_dwordx4 v[66:69], v2, s[36:39], 0 offen
	buffer_load_dwordx4 v[70:73], v2, s[36:39], 16 offen
	;; [unrolled: 1-line block ×4, first 2 shown]
.LBB724_3:
	s_or_b64 exec, exec, s[8:9]
	s_load_dwordx2 s[10:11], s[4:5], 0x80
	s_and_b64 vcc, exec, s[22:23]
	s_cbranch_vccz .LBB724_7
; %bb.4:
	v_mov_b32_e32 v75, 0
	v_mov_b32_e32 v74, 0
	;; [unrolled: 1-line block ×16, first 2 shown]
	s_and_saveexec_b64 s[8:9], s[0:1]
	s_cbranch_execz .LBB724_6
; %bb.5:
	s_waitcnt vmcnt(3)
	v_cvt_f32_u32_sdwa v2, v66 dst_sel:DWORD dst_unused:UNUSED_PAD src0_sel:WORD_0
	v_cvt_f32_u32_sdwa v3, v66 dst_sel:DWORD dst_unused:UNUSED_PAD src0_sel:WORD_1
	v_cvt_f32_u32_sdwa v6, v67 dst_sel:DWORD dst_unused:UNUSED_PAD src0_sel:WORD_0
	v_cvt_f32_u32_sdwa v7, v67 dst_sel:DWORD dst_unused:UNUSED_PAD src0_sel:WORD_1
	;; [unrolled: 2-line block ×4, first 2 shown]
	s_waitcnt vmcnt(2)
	v_cvt_f32_u32_sdwa v50, v70 dst_sel:DWORD dst_unused:UNUSED_PAD src0_sel:WORD_0
	v_cvt_f32_u32_sdwa v51, v70 dst_sel:DWORD dst_unused:UNUSED_PAD src0_sel:WORD_1
	v_cvt_f32_u32_sdwa v24, v71 dst_sel:DWORD dst_unused:UNUSED_PAD src0_sel:WORD_0
	v_cvt_f32_u32_sdwa v25, v71 dst_sel:DWORD dst_unused:UNUSED_PAD src0_sel:WORD_1
	v_cvt_f32_u32_sdwa v20, v72 dst_sel:DWORD dst_unused:UNUSED_PAD src0_sel:WORD_0
	v_cvt_f32_u32_sdwa v21, v72 dst_sel:DWORD dst_unused:UNUSED_PAD src0_sel:WORD_1
	v_cvt_f32_u32_sdwa v74, v73 dst_sel:DWORD dst_unused:UNUSED_PAD src0_sel:WORD_0
	v_cvt_f32_u32_sdwa v75, v73 dst_sel:DWORD dst_unused:UNUSED_PAD src0_sel:WORD_1
.LBB724_6:
	s_or_b64 exec, exec, s[8:9]
	s_cbranch_execz .LBB724_8
	s_branch .LBB724_11
.LBB724_7:
                                        ; implicit-def: $vgpr2_vgpr3_vgpr4_vgpr5_vgpr6_vgpr7_vgpr8_vgpr9_vgpr10_vgpr11_vgpr12_vgpr13_vgpr14_vgpr15_vgpr16_vgpr17
                                        ; implicit-def: $vgpr36_vgpr37_vgpr38_vgpr39_vgpr40_vgpr41_vgpr42_vgpr43_vgpr44_vgpr45_vgpr46_vgpr47_vgpr48_vgpr49_vgpr50_vgpr51
                                        ; implicit-def: $vgpr4_vgpr5_vgpr6_vgpr7_vgpr8_vgpr9_vgpr10_vgpr11_vgpr12_vgpr13_vgpr14_vgpr15_vgpr16_vgpr17_vgpr18_vgpr19
                                        ; implicit-def: $vgpr24_vgpr25_vgpr26_vgpr27_vgpr28_vgpr29_vgpr30_vgpr31_vgpr32_vgpr33_vgpr34_vgpr35_vgpr36_vgpr37_vgpr38_vgpr39
                                        ; implicit-def: $vgpr75
                                        ; implicit-def: $vgpr42_vgpr43_vgpr44_vgpr45_vgpr46_vgpr47_vgpr48_vgpr49_vgpr50_vgpr51_vgpr52_vgpr53_vgpr54_vgpr55_vgpr56_vgpr57
                                        ; implicit-def: $vgpr14_vgpr15_vgpr16_vgpr17_vgpr18_vgpr19_vgpr20_vgpr21_vgpr22_vgpr23_vgpr24_vgpr25_vgpr26_vgpr27_vgpr28_vgpr29
                                        ; implicit-def: $vgpr8_vgpr9_vgpr10_vgpr11_vgpr12_vgpr13_vgpr14_vgpr15_vgpr16_vgpr17_vgpr18_vgpr19_vgpr20_vgpr21_vgpr22_vgpr23
.LBB724_8:
	v_mov_b32_e32 v75, 0
	v_mov_b32_e32 v74, 0
	;; [unrolled: 1-line block ×16, first 2 shown]
	s_and_saveexec_b64 s[8:9], s[0:1]
	s_cbranch_execz .LBB724_10
; %bb.9:
	s_load_dwordx2 s[28:29], s[4:5], 0x38
	s_mul_hi_i32 s37, s19, s6
	s_mul_i32 s36, s19, s6
	s_lshl_b64 s[36:37], s[36:37], 1
	s_mov_b32 s31, 0x20000
	s_waitcnt lgkmcnt(0)
	s_add_u32 s28, s28, s36
	s_addc_u32 s14, s29, s37
	s_and_b32 s29, s14, 0xffff
	v_lshlrev_b32_e32 v38, 5, v0
	buffer_load_dwordx4 v[6:9], v38, s[28:31], 16 offen
	buffer_load_dwordx4 v[10:13], v38, s[28:31], 0 offen
	s_load_dwordx2 s[28:29], s[4:5], 0x20
	s_waitcnt vmcnt(5)
	v_cvt_f32_u32_sdwa v3, v66 dst_sel:DWORD dst_unused:UNUSED_PAD src0_sel:WORD_1
	v_cvt_f32_u32_sdwa v2, v66 dst_sel:DWORD dst_unused:UNUSED_PAD src0_sel:WORD_0
	v_cvt_f32_u32_sdwa v21, v67 dst_sel:DWORD dst_unused:UNUSED_PAD src0_sel:WORD_1
	v_cvt_f32_u32_sdwa v20, v67 dst_sel:DWORD dst_unused:UNUSED_PAD src0_sel:WORD_0
	;; [unrolled: 2-line block ×4, first 2 shown]
	s_waitcnt vmcnt(4)
	v_cvt_f32_u32_sdwa v5, v70 dst_sel:DWORD dst_unused:UNUSED_PAD src0_sel:WORD_1
	v_cvt_f32_u32_sdwa v4, v70 dst_sel:DWORD dst_unused:UNUSED_PAD src0_sel:WORD_0
	v_cvt_f32_u32_sdwa v15, v71 dst_sel:DWORD dst_unused:UNUSED_PAD src0_sel:WORD_1
	v_cvt_f32_u32_sdwa v14, v71 dst_sel:DWORD dst_unused:UNUSED_PAD src0_sel:WORD_0
	;; [unrolled: 2-line block ×3, first 2 shown]
	v_cvt_f32_u32_sdwa v18, v73 dst_sel:DWORD dst_unused:UNUSED_PAD src0_sel:WORD_0
	v_cvt_f32_u32_sdwa v19, v73 dst_sel:DWORD dst_unused:UNUSED_PAD src0_sel:WORD_1
	s_mul_hi_i32 s37, s11, s6
	s_mul_i32 s36, s11, s6
	s_lshl_b64 s[36:37], s[36:37], 1
	s_waitcnt lgkmcnt(0)
	s_add_u32 s28, s28, s36
	s_mov_b32 s11, 0x7060302
	s_addc_u32 s14, s29, s37
	s_and_b32 s29, s14, 0xffff
	s_waitcnt vmcnt(1)
	v_cvt_f32_u32_sdwa v27, v6 dst_sel:DWORD dst_unused:UNUSED_PAD src0_sel:WORD_1
	v_cvt_f32_u32_sdwa v26, v6 dst_sel:DWORD dst_unused:UNUSED_PAD src0_sel:WORD_0
	v_cvt_f32_u32_sdwa v29, v7 dst_sel:DWORD dst_unused:UNUSED_PAD src0_sel:WORD_1
	v_cvt_f32_u32_sdwa v28, v7 dst_sel:DWORD dst_unused:UNUSED_PAD src0_sel:WORD_0
	;; [unrolled: 2-line block ×3, first 2 shown]
	v_cvt_f32_u32_sdwa v34, v9 dst_sel:DWORD dst_unused:UNUSED_PAD src0_sel:WORD_0
	v_cvt_f32_u32_sdwa v35, v9 dst_sel:DWORD dst_unused:UNUSED_PAD src0_sel:WORD_1
	s_waitcnt vmcnt(0)
	v_cvt_f32_u32_sdwa v37, v10 dst_sel:DWORD dst_unused:UNUSED_PAD src0_sel:WORD_1
	v_cvt_f32_u32_sdwa v36, v10 dst_sel:DWORD dst_unused:UNUSED_PAD src0_sel:WORD_0
	v_cvt_f32_u32_sdwa v7, v12 dst_sel:DWORD dst_unused:UNUSED_PAD src0_sel:WORD_1
	v_cvt_f32_u32_sdwa v6, v12 dst_sel:DWORD dst_unused:UNUSED_PAD src0_sel:WORD_0
	;; [unrolled: 2-line block ×4, first 2 shown]
	v_pk_add_f32 v[40:41], v[22:23], v[6:7]
	v_pk_add_f32 v[30:31], v[24:25], v[8:9]
	;; [unrolled: 1-line block ×4, first 2 shown]
	v_perm_b32 v11, v31, v30, s11
	v_perm_b32 v10, v41, v40, s11
	;; [unrolled: 1-line block ×4, first 2 shown]
	v_pk_add_f32 v[74:75], v[18:19], v[34:35]
	v_pk_add_f32 v[20:21], v[16:17], v[32:33]
	;; [unrolled: 1-line block ×4, first 2 shown]
	buffer_store_dwordx4 v[8:11], v38, s[28:31], 0 offen
	;;#ASMSTART
	s_nop 0
	;;#ASMEND
	s_nop 0
	v_perm_b32 v11, v75, v74, s11
	v_perm_b32 v10, v21, v20, s11
	;; [unrolled: 1-line block ×4, first 2 shown]
	buffer_store_dwordx4 v[8:11], v38, s[28:31], 16 offen
	;;#ASMSTART
	s_nop 0
	;;#ASMEND
.LBB724_10:
	s_or_b64 exec, exec, s[8:9]
.LBB724_11:
	v_mul_f32_e32 v4, v3, v3
	v_fmac_f32_e32 v4, v2, v2
	v_fmac_f32_e32 v4, v6, v6
	v_fmac_f32_e32 v4, v7, v7
	v_fmac_f32_e32 v4, v40, v40
	v_fmac_f32_e32 v4, v41, v41
	v_fmac_f32_e32 v4, v30, v30
	v_fmac_f32_e32 v4, v31, v31
	v_fmac_f32_e32 v4, v50, v50
	v_fmac_f32_e32 v4, v51, v51
	v_fmac_f32_e32 v4, v24, v24
	v_fmac_f32_e32 v4, v25, v25
	v_fmac_f32_e32 v4, v20, v20
	v_fmac_f32_e32 v4, v21, v21
	v_fmac_f32_e32 v4, v74, v74
	v_fmac_f32_e32 v4, v75, v75
	s_nop 1
	v_mov_b32_dpp v5, v4 quad_perm:[1,0,3,2] row_mask:0xf bank_mask:0xf
	v_add_f32_e32 v4, v4, v5
	s_nop 1
	v_mov_b32_dpp v5, v4 quad_perm:[2,3,0,1] row_mask:0xf bank_mask:0xf
	v_add_f32_e32 v4, v4, v5
	s_nop 1
	v_mov_b32_dpp v5, v4 row_half_mirror row_mask:0xf bank_mask:0xf
	v_add_f32_e32 v4, v4, v5
	s_nop 1
	v_mov_b32_dpp v5, v4 row_mirror row_mask:0xf bank_mask:0xf
	v_add_f32_e32 v4, v4, v5
	s_nop 1
	v_mov_b32_dpp v5, v4 row_bcast:15 row_mask:0xf bank_mask:0xf
	v_add_f32_e32 v4, v4, v5
	v_and_b32_e32 v5, 63, v0
	v_cmp_eq_u32_e64 s[8:9], 63, v5
	s_nop 0
	v_mov_b32_dpp v5, v4 row_bcast:31 row_mask:0xf bank_mask:0xf
	s_and_saveexec_b64 s[28:29], s[8:9]
	s_cbranch_execz .LBB724_13
; %bb.12:
	v_add_f32_e32 v4, v4, v5
	v_lshrrev_b32_e32 v5, 4, v0
	v_and_b32_e32 v5, 60, v5
	ds_write_b32 v5, v4 offset:8
.LBB724_13:
	s_or_b64 exec, exec, s[28:29]
	v_and_b32_e32 v4, 1, v0
	v_lshlrev_b32_e32 v34, 2, v4
	s_waitcnt lgkmcnt(0)
	s_barrier
	ds_read_b32 v5, v34 offset:8
	s_load_dwordx2 s[36:37], s[4:5], 0x18
	s_waitcnt lgkmcnt(0)
	v_mov_b32_dpp v8, v5 quad_perm:[1,0,3,2] row_mask:0xf bank_mask:0xf
	s_and_saveexec_b64 s[28:29], s[0:1]
	s_cbranch_execnz .LBB724_18
; %bb.14:
	s_or_b64 exec, exec, s[28:29]
	s_mov_b64 s[2:3], -1
	s_and_b64 vcc, exec, s[22:23]
	s_cbranch_vccnz .LBB724_19
.LBB724_15:
	s_andn2_b64 vcc, exec, s[2:3]
	s_cbranch_vccz .LBB724_22
.LBB724_16:
	s_cmp_lt_i32 s16, 1
	s_cbranch_scc0 .LBB724_29
.LBB724_17:
	s_endpgm
.LBB724_18:
	v_add_f32_e32 v5, v5, v8
	v_cvt_f32_u32_e32 v8, s7
	s_waitcnt vmcnt(1)
	v_cvt_f32_u32_sdwa v17, v62 dst_sel:DWORD dst_unused:UNUSED_PAD src0_sel:WORD_1
	v_cvt_f32_u32_sdwa v16, v62 dst_sel:DWORD dst_unused:UNUSED_PAD src0_sel:WORD_0
	v_cvt_f32_u32_sdwa v23, v64 dst_sel:DWORD dst_unused:UNUSED_PAD src0_sel:WORD_1
	v_div_scale_f32 v9, s[38:39], v8, v8, v5
	v_rcp_f32_e32 v10, v9
	v_pk_add_f32 v[16:17], v[16:17], 1.0 op_sel_hi:[1,0]
	v_cvt_f32_u32_sdwa v22, v64 dst_sel:DWORD dst_unused:UNUSED_PAD src0_sel:WORD_0
	s_waitcnt vmcnt(0)
	v_cvt_f32_u32_sdwa v27, v59 dst_sel:DWORD dst_unused:UNUSED_PAD src0_sel:WORD_1
	v_fma_f32 v11, -v9, v10, 1.0
	v_fmac_f32_e32 v10, v11, v10
	v_div_scale_f32 v11, vcc, v5, v8, v5
	v_mul_f32_e32 v12, v11, v10
	v_fma_f32 v13, -v9, v12, v11
	v_fmac_f32_e32 v12, v13, v10
	v_fma_f32 v9, -v9, v12, v11
	v_div_fmas_f32 v9, v9, v10, v12
	v_div_fixup_f32 v5, v9, v8, v5
	v_mov_b32_e32 v8, s13
	v_mov_b32_e32 v9, s12
	v_cndmask_b32_e64 v8, v8, v9, s[2:3]
	v_add_f32_e32 v5, v8, v5
	s_mov_b32 s2, 0x800000
	v_mul_f32_e32 v8, 0x4b800000, v5
	v_cmp_gt_f32_e32 vcc, s2, v5
	v_cndmask_b32_e32 v5, v5, v8, vcc
	v_rsq_f32_e32 v5, v5
	v_cvt_f32_u32_sdwa v26, v59 dst_sel:DWORD dst_unused:UNUSED_PAD src0_sel:WORD_0
	v_cvt_f32_u32_sdwa v29, v60 dst_sel:DWORD dst_unused:UNUSED_PAD src0_sel:WORD_1
	v_cvt_f32_u32_sdwa v28, v60 dst_sel:DWORD dst_unused:UNUSED_PAD src0_sel:WORD_0
	v_mul_f32_e32 v8, 0x45800000, v5
	v_cndmask_b32_e32 v8, v5, v8, vcc
	v_mov_b32_e32 v9, v8
	;;#ASMSTART
	v_pk_mul_f32 v[2:3], v[2:3], v[8:9]
	;;#ASMEND
	;;#ASMSTART
	v_pk_mul_f32 v[6:7], v[6:7], v[8:9]
	;;#ASMEND
	;; [unrolled: 3-line block ×9, first 2 shown]
	v_cvt_f32_u32_sdwa v17, v63 dst_sel:DWORD dst_unused:UNUSED_PAD src0_sel:WORD_1
	v_cvt_f32_u32_sdwa v16, v63 dst_sel:DWORD dst_unused:UNUSED_PAD src0_sel:WORD_0
	v_cvt_f32_u32_sdwa v25, v65 dst_sel:DWORD dst_unused:UNUSED_PAD src0_sel:WORD_1
	v_cvt_f32_u32_sdwa v24, v65 dst_sel:DWORD dst_unused:UNUSED_PAD src0_sel:WORD_0
	v_cvt_f32_u32_sdwa v31, v61 dst_sel:DWORD dst_unused:UNUSED_PAD src0_sel:WORD_1
	v_pk_add_f32 v[16:17], v[16:17], 1.0 op_sel_hi:[1,0]
	;;#ASMSTART
	v_pk_mul_f32 v[6:7], v[6:7], v[16:17]
	;;#ASMEND
	v_pk_add_f32 v[16:17], v[22:23], 1.0 op_sel_hi:[1,0]
	v_pk_add_f32 v[22:23], v[24:25], 1.0 op_sel_hi:[1,0]
	v_cvt_f32_u32_sdwa v25, v58 dst_sel:DWORD dst_unused:UNUSED_PAD src0_sel:WORD_1
	v_cvt_f32_u32_sdwa v24, v58 dst_sel:DWORD dst_unused:UNUSED_PAD src0_sel:WORD_0
	v_cvt_f32_u32_sdwa v30, v61 dst_sel:DWORD dst_unused:UNUSED_PAD src0_sel:WORD_0
	v_pk_add_f32 v[26:27], v[26:27], 1.0 op_sel_hi:[1,0]
	v_pk_add_f32 v[28:29], v[28:29], 1.0 op_sel_hi:[1,0]
	;; [unrolled: 1-line block ×4, first 2 shown]
	;;#ASMSTART
	v_pk_mul_f32 v[40:41], v[10:11], v[16:17]
	;;#ASMEND
	;;#ASMSTART
	v_pk_mul_f32 v[30:31], v[12:13], v[22:23]
	;;#ASMEND
	;; [unrolled: 3-line block ×6, first 2 shown]
	s_or_b64 exec, exec, s[28:29]
	s_mov_b64 s[2:3], -1
	s_and_b64 vcc, exec, s[22:23]
	s_cbranch_vccz .LBB724_15
.LBB724_19:
	s_and_saveexec_b64 s[2:3], s[0:1]
	s_cbranch_execz .LBB724_21
; %bb.20:
	s_mul_hi_i32 s23, s10, s6
	s_mul_i32 s22, s10, s6
	s_lshl_b64 s[22:23], s[22:23], 1
	s_add_u32 s28, s36, s22
	s_addc_u32 s7, s37, s23
	s_and_b32 s29, s7, 0xffff
	s_mov_b32 s7, 0x7060302
	s_mov_b32 s31, 0x20000
	v_perm_b32 v11, v31, v30, s7
	v_perm_b32 v10, v41, v40, s7
	;; [unrolled: 1-line block ×4, first 2 shown]
	v_lshlrev_b32_e32 v5, 5, v0
	buffer_store_dwordx4 v[8:11], v5, s[28:31], 0 offen
	;;#ASMSTART
	s_nop 0
	;;#ASMEND
	s_nop 0
	v_perm_b32 v11, v75, v74, s7
	v_perm_b32 v10, v21, v20, s7
	;; [unrolled: 1-line block ×4, first 2 shown]
	buffer_store_dwordx4 v[8:11], v5, s[28:31], 16 offen
	;;#ASMSTART
	s_nop 0
	;;#ASMEND
.LBB724_21:
	s_or_b64 exec, exec, s[2:3]
	s_cbranch_execnz .LBB724_16
.LBB724_22:
	v_mov_b32_e32 v5, 0
	s_and_saveexec_b64 s[2:3], s[0:1]
	s_cbranch_execz .LBB724_24
; %bb.23:
	v_and_b32_e32 v2, 0x7fffffff, v2
	v_and_b32_e32 v3, 0x7fffffff, v3
	v_mov_b32_e32 v11, 0x2edbe6ff
	;;#ASMSTART
	v_max3_f32 v2, v11, v2, v3

	;;#ASMEND
	v_and_b32_e32 v5, 0x7fffffff, v6
	v_and_b32_e32 v6, 0x7fffffff, v7
	;;#ASMSTART
	v_max3_f32 v2, v2, v5, v6

	;;#ASMEND
	v_and_b32_e32 v7, 0x7fffffff, v40
	v_and_b32_e32 v8, 0x7fffffff, v41
	;; [unrolled: 6-line block ×7, first 2 shown]
	;;#ASMSTART
	v_max3_f32 v5, v2, v3, v5

	;;#ASMEND
.LBB724_24:
	s_or_b64 exec, exec, s[2:3]
	v_cmp_eq_u32_e32 vcc, 0, v4
	v_cmp_gt_i32_e64 s[2:3], s15, v1
	s_and_b64 s[22:23], vcc, s[2:3]
	;;#ASMSTART
	v_max_f32 v2, v5, v5 quad_perm:[1,0,3,2] row_mask:0xf bank_mask:0xf bound_ctrl:1
	;;#ASMEND
	s_and_saveexec_b64 s[2:3], s[22:23]
	s_cbranch_execz .LBB724_26
; %bb.25:
	s_load_dwordx2 s[22:23], s[4:5], 0x8
	v_mul_f32_e32 v2, 0x3e2aaaab, v2
	v_lshrrev_b32_e32 v3, 23, v2
	v_and_b32_e32 v4, 0x7f800000, v2
	v_and_b32_e32 v2, 0x7fffff, v2
	v_cmp_ne_u32_e32 vcc, 0, v2
	s_mul_i32 s12, s25, s6
	s_mov_b32 s7, 0x7f800000
	v_addc_co_u32_e32 v2, vcc, 0, v3, vcc
	s_mul_hi_i32 s11, s25, s6
	s_waitcnt lgkmcnt(0)
	s_add_u32 s22, s22, s12
	v_cmp_ne_u32_e32 vcc, s7, v4
	s_addc_u32 s23, s23, s11
	v_lshrrev_b32_e32 v5, 1, v0
	v_cndmask_b32_e32 v4, -1, v2, vcc
	v_pk_mov_b32 v[2:3], s[22:23], s[22:23] op_sel:[0,1]
	v_mad_i64_i32 v[2:3], s[22:23], s26, v5, v[2:3]
	global_store_byte v[2:3], v4, off
.LBB724_26:
	s_or_b64 exec, exec, s[2:3]
	s_and_saveexec_b64 s[2:3], s[0:1]
	s_cbranch_execz .LBB724_28
; %bb.27:
	s_load_dwordx2 s[0:1], s[4:5], 0x0
	s_mul_i32 s11, s24, s6
	s_mul_hi_i32 s7, s24, s6
	v_mov_b32_e32 v2, 0
	v_lshlrev_b32_e32 v4, 3, v0
	s_waitcnt lgkmcnt(0)
	s_add_u32 s24, s0, s11
	s_addc_u32 s0, s1, s7
	s_lshr_b32 s1, s15, 31
	s_add_i32 s1, s15, s1
	s_ashr_i32 s1, s1, 1
	s_add_i32 s1, s1, 3
	s_ashr_i32 s7, s1, 31
	s_lshr_b32 s7, s7, 30
	s_add_i32 s1, s1, s7
	s_and_b32 s26, s1, -4
	s_and_b32 s25, s0, 0xffff
	s_mov_b32 s27, 0x20000
	v_mov_b32_e32 v3, v2
	buffer_store_dwordx2 v[2:3], v4, s[24:27], 0 offen
	;;#ASMSTART
	s_nop 0
	;;#ASMEND
.LBB724_28:
	s_or_b64 exec, exec, s[2:3]
	s_cmp_lt_i32 s16, 1
	s_cbranch_scc1 .LBB724_17
.LBB724_29:
	s_load_dword s0, s[4:5], 0x94
	s_waitcnt lgkmcnt(0)
	s_cmp_lg_u32 s0, 1
	s_cbranch_scc1 .LBB724_17
; %bb.30:
	s_lshl_b32 s0, s16, 1
	s_add_i32 s0, s0, 2
	v_cmp_gt_u32_e32 vcc, s16, v1
	s_and_b32 s22, s0, -4
	v_mov_b32_e32 v18, 0
	v_lshlrev_b32_e32 v1, 5, v0
	v_mov_b32_e32 v14, 0
	v_mov_b32_e32 v15, 0
	;; [unrolled: 1-line block ×16, first 2 shown]
	s_barrier
	s_and_saveexec_b64 s[0:1], vcc
	s_cbranch_execz .LBB724_32
; %bb.31:
	s_mul_hi_i32 s3, s18, s6
	s_mul_i32 s2, s18, s6
	s_and_b32 s21, s21, 0xffff
	s_lshl_b64 s[2:3], s[2:3], 1
	s_add_u32 s24, s34, s2
	s_mov_b32 s23, 0x20000
	s_addc_u32 s2, s35, s3
	s_and_b32 s25, s2, 0xffff
	s_mov_b32 s26, s22
	s_mov_b32 s27, s23
	buffer_load_dwordx4 v[14:17], v1, s[24:27], 0 offen
	buffer_load_dwordx4 v[10:13], v1, s[24:27], 16 offen
	;; [unrolled: 1-line block ×4, first 2 shown]
.LBB724_32:
	s_or_b64 exec, exec, s[0:1]
	v_mov_b32_e32 v19, 0
	v_mov_b32_e32 v32, 0
	v_mov_b32_e32 v33, 0
	v_mov_b32_e32 v30, 0
	v_mov_b32_e32 v31, 0
	v_mov_b32_e32 v28, 0
	v_mov_b32_e32 v29, 0
	v_mov_b32_e32 v26, 0
	v_mov_b32_e32 v27, 0
	v_mov_b32_e32 v24, 0
	v_mov_b32_e32 v25, 0
	v_mov_b32_e32 v22, 0
	v_mov_b32_e32 v23, 0
	v_mov_b32_e32 v20, 0
	v_mov_b32_e32 v21, 0
	s_and_saveexec_b64 s[0:1], vcc
	s_cbranch_execz .LBB724_34
; %bb.33:
	s_waitcnt vmcnt(3)
	v_cvt_f32_u32_sdwa v18, v14 dst_sel:DWORD dst_unused:UNUSED_PAD src0_sel:WORD_0
	v_cvt_f32_u32_sdwa v19, v14 dst_sel:DWORD dst_unused:UNUSED_PAD src0_sel:WORD_1
	v_cvt_f32_u32_sdwa v32, v15 dst_sel:DWORD dst_unused:UNUSED_PAD src0_sel:WORD_0
	v_cvt_f32_u32_sdwa v33, v15 dst_sel:DWORD dst_unused:UNUSED_PAD src0_sel:WORD_1
	;; [unrolled: 2-line block ×4, first 2 shown]
	s_waitcnt vmcnt(2)
	v_cvt_f32_u32_sdwa v26, v10 dst_sel:DWORD dst_unused:UNUSED_PAD src0_sel:WORD_0
	v_cvt_f32_u32_sdwa v27, v10 dst_sel:DWORD dst_unused:UNUSED_PAD src0_sel:WORD_1
	v_cvt_f32_u32_sdwa v24, v11 dst_sel:DWORD dst_unused:UNUSED_PAD src0_sel:WORD_0
	v_cvt_f32_u32_sdwa v25, v11 dst_sel:DWORD dst_unused:UNUSED_PAD src0_sel:WORD_1
	;; [unrolled: 2-line block ×4, first 2 shown]
.LBB724_34:
	s_or_b64 exec, exec, s[0:1]
	s_waitcnt vmcnt(2)
	v_mul_f32_e32 v10, v19, v19
	v_fmac_f32_e32 v10, v18, v18
	v_fmac_f32_e32 v10, v32, v32
	;; [unrolled: 1-line block ×15, first 2 shown]
	s_nop 1
	v_mov_b32_dpp v11, v10 quad_perm:[1,0,3,2] row_mask:0xf bank_mask:0xf
	v_add_f32_e32 v10, v10, v11
	s_nop 1
	v_mov_b32_dpp v11, v10 quad_perm:[2,3,0,1] row_mask:0xf bank_mask:0xf
	v_add_f32_e32 v10, v10, v11
	s_nop 1
	v_mov_b32_dpp v11, v10 row_half_mirror row_mask:0xf bank_mask:0xf
	v_add_f32_e32 v10, v10, v11
	s_nop 1
	v_mov_b32_dpp v11, v10 row_mirror row_mask:0xf bank_mask:0xf
	v_add_f32_e32 v10, v10, v11
	s_nop 1
	v_mov_b32_dpp v11, v10 row_bcast:15 row_mask:0xf bank_mask:0xf
	v_add_f32_e32 v10, v10, v11
	s_nop 1
	v_mov_b32_dpp v11, v10 row_bcast:31 row_mask:0xf bank_mask:0xf
	s_and_saveexec_b64 s[0:1], s[8:9]
	s_cbranch_execz .LBB724_36
; %bb.35:
	v_lshrrev_b32_e32 v0, 4, v0
	v_add_f32_e32 v10, v10, v11
	v_and_b32_e32 v0, 60, v0
	ds_write_b32 v0, v10
.LBB724_36:
	s_or_b64 exec, exec, s[0:1]
	s_waitcnt lgkmcnt(0)
	s_barrier
	ds_read_b32 v0, v34
	s_waitcnt lgkmcnt(0)
	s_nop 0
	v_mov_b32_dpp v10, v0 quad_perm:[1,0,3,2] row_mask:0xf bank_mask:0xf
	s_and_saveexec_b64 s[0:1], vcc
	s_cbranch_execz .LBB724_17
; %bb.37:
	v_cvt_f32_u32_e32 v11, s16
	v_add_f32_e32 v0, v0, v10
	s_mov_b32 s23, 0x20000
	v_div_scale_f32 v10, s[0:1], v11, v11, v0
	v_rcp_f32_e32 v12, v10
	v_div_scale_f32 v13, vcc, v0, v11, v0
	s_mov_b32 s0, 0x800000
	v_fma_f32 v14, -v10, v12, 1.0
	v_fmac_f32_e32 v12, v14, v12
	v_mul_f32_e32 v14, v13, v12
	v_fma_f32 v15, -v10, v14, v13
	v_fmac_f32_e32 v14, v15, v12
	v_fma_f32 v10, -v10, v14, v13
	v_div_fmas_f32 v10, v10, v12, v14
	v_div_fixup_f32 v0, v10, v11, v0
	v_add_f32_e32 v0, s13, v0
	v_mul_f32_e32 v10, 0x4b800000, v0
	v_cmp_gt_f32_e32 vcc, s0, v0
	v_cndmask_b32_e32 v0, v0, v10, vcc
	v_rsq_f32_e32 v0, v0
	s_mul_hi_i32 s1, s10, s6
	s_mul_i32 s0, s10, s6
	s_lshl_b64 s[0:1], s[0:1], 1
	v_mul_f32_e32 v10, 0x45800000, v0
	v_cndmask_b32_e32 v10, v0, v10, vcc
	v_mov_b32_e32 v11, v10
	;;#ASMSTART
	v_pk_mul_f32 v[12:13], v[18:19], v[10:11]
	;;#ASMEND
	;;#ASMSTART
	v_pk_mul_f32 v[14:15], v[32:33], v[10:11]
	;;#ASMEND
	;; [unrolled: 3-line block ×4, first 2 shown]
	s_waitcnt vmcnt(1)
	v_cvt_f32_u32_sdwa v29, v6 dst_sel:DWORD dst_unused:UNUSED_PAD src0_sel:WORD_1
	v_cvt_f32_u32_sdwa v28, v6 dst_sel:DWORD dst_unused:UNUSED_PAD src0_sel:WORD_0
	v_cvt_f32_u32_sdwa v31, v7 dst_sel:DWORD dst_unused:UNUSED_PAD src0_sel:WORD_1
	v_cvt_f32_u32_sdwa v30, v7 dst_sel:DWORD dst_unused:UNUSED_PAD src0_sel:WORD_0
	;;#ASMSTART
	v_pk_mul_f32 v[26:27], v[26:27], v[10:11]
	;;#ASMEND
	;;#ASMSTART
	v_pk_mul_f32 v[24:25], v[24:25], v[10:11]
	;;#ASMEND
	;; [unrolled: 3-line block ×4, first 2 shown]
	v_cvt_f32_u32_sdwa v21, v8 dst_sel:DWORD dst_unused:UNUSED_PAD src0_sel:WORD_1
	v_cvt_f32_u32_sdwa v20, v8 dst_sel:DWORD dst_unused:UNUSED_PAD src0_sel:WORD_0
	v_pk_add_f32 v[10:11], v[28:29], 1.0 op_sel_hi:[1,0]
	;;#ASMSTART
	v_pk_mul_f32 v[10:11], v[12:13], v[10:11]
	;;#ASMEND
	v_pk_add_f32 v[12:13], v[30:31], 1.0 op_sel_hi:[1,0]
	v_cvt_f32_u32_sdwa v29, v9 dst_sel:DWORD dst_unused:UNUSED_PAD src0_sel:WORD_1
	v_cvt_f32_u32_sdwa v28, v9 dst_sel:DWORD dst_unused:UNUSED_PAD src0_sel:WORD_0
	;;#ASMSTART
	v_pk_mul_f32 v[8:9], v[14:15], v[12:13]
	;;#ASMEND
	v_pk_add_f32 v[12:13], v[20:21], 1.0 op_sel_hi:[1,0]
	;;#ASMSTART
	v_pk_mul_f32 v[12:13], v[16:17], v[12:13]
	;;#ASMEND
	s_waitcnt vmcnt(0)
	v_cvt_f32_u32_sdwa v17, v2 dst_sel:DWORD dst_unused:UNUSED_PAD src0_sel:WORD_1
	v_cvt_f32_u32_sdwa v16, v2 dst_sel:DWORD dst_unused:UNUSED_PAD src0_sel:WORD_0
	v_cvt_f32_u32_sdwa v21, v3 dst_sel:DWORD dst_unused:UNUSED_PAD src0_sel:WORD_1
	v_cvt_f32_u32_sdwa v20, v3 dst_sel:DWORD dst_unused:UNUSED_PAD src0_sel:WORD_0
	v_pk_add_f32 v[14:15], v[28:29], 1.0 op_sel_hi:[1,0]
	;;#ASMSTART
	v_pk_mul_f32 v[14:15], v[18:19], v[14:15]
	;;#ASMEND
	v_pk_add_f32 v[2:3], v[16:17], 1.0 op_sel_hi:[1,0]
	v_cvt_f32_u32_sdwa v19, v4 dst_sel:DWORD dst_unused:UNUSED_PAD src0_sel:WORD_1
	v_cvt_f32_u32_sdwa v18, v4 dst_sel:DWORD dst_unused:UNUSED_PAD src0_sel:WORD_0
	;;#ASMSTART
	v_pk_mul_f32 v[16:17], v[26:27], v[2:3]
	;;#ASMEND
	v_pk_add_f32 v[2:3], v[20:21], 1.0 op_sel_hi:[1,0]
	v_cvt_f32_u32_sdwa v21, v5 dst_sel:DWORD dst_unused:UNUSED_PAD src0_sel:WORD_1
	v_cvt_f32_u32_sdwa v20, v5 dst_sel:DWORD dst_unused:UNUSED_PAD src0_sel:WORD_0
	s_add_u32 s20, s36, s0
	;;#ASMSTART
	v_pk_mul_f32 v[24:25], v[24:25], v[2:3]
	;;#ASMEND
	v_pk_add_f32 v[2:3], v[18:19], 1.0 op_sel_hi:[1,0]
	s_addc_u32 s0, s37, s1
	;;#ASMSTART
	v_pk_mul_f32 v[18:19], v[22:23], v[2:3]
	;;#ASMEND
	v_pk_add_f32 v[2:3], v[20:21], 1.0 op_sel_hi:[1,0]
	s_and_b32 s21, s0, 0xffff
	s_mov_b32 s0, 0x7060302
	;;#ASMSTART
	v_pk_mul_f32 v[6:7], v[6:7], v[2:3]
	;;#ASMEND
	v_perm_b32 v2, v11, v10, s0
	v_perm_b32 v3, v9, v8, s0
	v_perm_b32 v4, v13, v12, s0
	v_perm_b32 v5, v15, v14, s0
	buffer_store_dwordx4 v[2:5], v1, s[20:23], 0 offen
	;;#ASMSTART
	s_nop 0
	;;#ASMEND
	s_nop 0
	v_perm_b32 v2, v17, v16, s0
	v_perm_b32 v3, v25, v24, s0
	;; [unrolled: 1-line block ×4, first 2 shown]
	buffer_store_dwordx4 v[2:5], v1, s[20:23], 16 offen
	;;#ASMSTART
	s_nop 0
	;;#ASMEND
	s_endpgm
	.section	.rodata,"a",@progbits
	.p2align	6, 0x0
	.amdhsa_kernel _ZN5aiter35fused_qk_rmsnorm_group_quant_kernelItN4opus5fp4_tELi128ELi16ELi2ELb1ELb0ELb1ELb0ELb0ELb0EEEvPT0_PvPT_S7_S7_PKS6_S9_S9_S9_S9_ffiiiiiiiiiiiii
		.amdhsa_group_segment_fixed_size 16
		.amdhsa_private_segment_fixed_size 0
		.amdhsa_kernarg_size 400
		.amdhsa_user_sgpr_count 6
		.amdhsa_user_sgpr_private_segment_buffer 1
		.amdhsa_user_sgpr_dispatch_ptr 0
		.amdhsa_user_sgpr_queue_ptr 0
		.amdhsa_user_sgpr_kernarg_segment_ptr 1
		.amdhsa_user_sgpr_dispatch_id 0
		.amdhsa_user_sgpr_flat_scratch_init 0
		.amdhsa_user_sgpr_kernarg_preload_length 0
		.amdhsa_user_sgpr_kernarg_preload_offset 0
		.amdhsa_user_sgpr_private_segment_size 0
		.amdhsa_uses_dynamic_stack 0
		.amdhsa_system_sgpr_private_segment_wavefront_offset 0
		.amdhsa_system_sgpr_workgroup_id_x 1
		.amdhsa_system_sgpr_workgroup_id_y 1
		.amdhsa_system_sgpr_workgroup_id_z 0
		.amdhsa_system_sgpr_workgroup_info 0
		.amdhsa_system_vgpr_workitem_id 0
		.amdhsa_next_free_vgpr 76
		.amdhsa_next_free_sgpr 40
		.amdhsa_accum_offset 76
		.amdhsa_reserve_vcc 1
		.amdhsa_reserve_flat_scratch 0
		.amdhsa_float_round_mode_32 0
		.amdhsa_float_round_mode_16_64 0
		.amdhsa_float_denorm_mode_32 3
		.amdhsa_float_denorm_mode_16_64 3
		.amdhsa_dx10_clamp 1
		.amdhsa_ieee_mode 1
		.amdhsa_fp16_overflow 0
		.amdhsa_tg_split 0
		.amdhsa_exception_fp_ieee_invalid_op 0
		.amdhsa_exception_fp_denorm_src 0
		.amdhsa_exception_fp_ieee_div_zero 0
		.amdhsa_exception_fp_ieee_overflow 0
		.amdhsa_exception_fp_ieee_underflow 0
		.amdhsa_exception_fp_ieee_inexact 0
		.amdhsa_exception_int_div_zero 0
	.end_amdhsa_kernel
	.section	.text._ZN5aiter35fused_qk_rmsnorm_group_quant_kernelItN4opus5fp4_tELi128ELi16ELi2ELb1ELb0ELb1ELb0ELb0ELb0EEEvPT0_PvPT_S7_S7_PKS6_S9_S9_S9_S9_ffiiiiiiiiiiiii,"axG",@progbits,_ZN5aiter35fused_qk_rmsnorm_group_quant_kernelItN4opus5fp4_tELi128ELi16ELi2ELb1ELb0ELb1ELb0ELb0ELb0EEEvPT0_PvPT_S7_S7_PKS6_S9_S9_S9_S9_ffiiiiiiiiiiiii,comdat
.Lfunc_end724:
	.size	_ZN5aiter35fused_qk_rmsnorm_group_quant_kernelItN4opus5fp4_tELi128ELi16ELi2ELb1ELb0ELb1ELb0ELb0ELb0EEEvPT0_PvPT_S7_S7_PKS6_S9_S9_S9_S9_ffiiiiiiiiiiiii, .Lfunc_end724-_ZN5aiter35fused_qk_rmsnorm_group_quant_kernelItN4opus5fp4_tELi128ELi16ELi2ELb1ELb0ELb1ELb0ELb0ELb0EEEvPT0_PvPT_S7_S7_PKS6_S9_S9_S9_S9_ffiiiiiiiiiiiii
                                        ; -- End function
	.section	.AMDGPU.csdata,"",@progbits
; Kernel info:
; codeLenInByte = 3852
; NumSgprs: 44
; NumVgprs: 76
; NumAgprs: 0
; TotalNumVgprs: 76
; ScratchSize: 0
; MemoryBound: 0
; FloatMode: 240
; IeeeMode: 1
; LDSByteSize: 16 bytes/workgroup (compile time only)
; SGPRBlocks: 5
; VGPRBlocks: 9
; NumSGPRsForWavesPerEU: 44
; NumVGPRsForWavesPerEU: 76
; AccumOffset: 76
; Occupancy: 6
; WaveLimiterHint : 0
; COMPUTE_PGM_RSRC2:SCRATCH_EN: 0
; COMPUTE_PGM_RSRC2:USER_SGPR: 6
; COMPUTE_PGM_RSRC2:TRAP_HANDLER: 0
; COMPUTE_PGM_RSRC2:TGID_X_EN: 1
; COMPUTE_PGM_RSRC2:TGID_Y_EN: 1
; COMPUTE_PGM_RSRC2:TGID_Z_EN: 0
; COMPUTE_PGM_RSRC2:TIDIG_COMP_CNT: 0
; COMPUTE_PGM_RSRC3_GFX90A:ACCUM_OFFSET: 18
; COMPUTE_PGM_RSRC3_GFX90A:TG_SPLIT: 0
	.section	.text._ZN5aiter35fused_qk_rmsnorm_group_quant_kernelIDF16_DB8_Li128ELi16ELi2ELb1ELb0ELb0ELb0ELb0ELb0EEEvPT0_PvPT_S6_S6_PKS5_S8_S8_S8_S8_ffiiiiiiiiiiiii,"axG",@progbits,_ZN5aiter35fused_qk_rmsnorm_group_quant_kernelIDF16_DB8_Li128ELi16ELi2ELb1ELb0ELb0ELb0ELb0ELb0EEEvPT0_PvPT_S6_S6_PKS5_S8_S8_S8_S8_ffiiiiiiiiiiiii,comdat
	.protected	_ZN5aiter35fused_qk_rmsnorm_group_quant_kernelIDF16_DB8_Li128ELi16ELi2ELb1ELb0ELb0ELb0ELb0ELb0EEEvPT0_PvPT_S6_S6_PKS5_S8_S8_S8_S8_ffiiiiiiiiiiiii ; -- Begin function _ZN5aiter35fused_qk_rmsnorm_group_quant_kernelIDF16_DB8_Li128ELi16ELi2ELb1ELb0ELb0ELb0ELb0ELb0EEEvPT0_PvPT_S6_S6_PKS5_S8_S8_S8_S8_ffiiiiiiiiiiiii
	.globl	_ZN5aiter35fused_qk_rmsnorm_group_quant_kernelIDF16_DB8_Li128ELi16ELi2ELb1ELb0ELb0ELb0ELb0ELb0EEEvPT0_PvPT_S6_S6_PKS5_S8_S8_S8_S8_ffiiiiiiiiiiiii
	.p2align	8
	.type	_ZN5aiter35fused_qk_rmsnorm_group_quant_kernelIDF16_DB8_Li128ELi16ELi2ELb1ELb0ELb0ELb0ELb0ELb0EEEvPT0_PvPT_S6_S6_PKS5_S8_S8_S8_S8_ffiiiiiiiiiiiii,@function
_ZN5aiter35fused_qk_rmsnorm_group_quant_kernelIDF16_DB8_Li128ELi16ELi2ELb1ELb0ELb0ELb0ELb0ELb0EEEvPT0_PvPT_S6_S6_PKS5_S8_S8_S8_S8_ffiiiiiiiiiiiii: ; @_ZN5aiter35fused_qk_rmsnorm_group_quant_kernelIDF16_DB8_Li128ELi16ELi2ELb1ELb0ELb0ELb0ELb0ELb0EEEvPT0_PvPT_S6_S6_PKS5_S8_S8_S8_S8_ffiiiiiiiiiiiii
; %bb.0:
	s_load_dwordx8 s[12:19], s[4:5], 0x50
	s_waitcnt lgkmcnt(0)
	s_cmp_ge_i32 s6, s14
	s_cbranch_scc1 .LBB725_17
; %bb.1:
	s_cmp_lg_u32 s7, 0
	s_cselect_b64 s[10:11], -1, 0
	s_cmp_eq_u32 s7, 0
	s_cselect_b64 s[8:9], -1, 0
	s_and_b64 s[0:1], s[8:9], exec
	s_load_dwordx2 s[20:21], s[4:5], 0x48
	s_load_dwordx2 s[36:37], s[4:5], 0x30
	s_load_dwordx4 s[24:27], s[4:5], 0x70
	s_cselect_b32 s7, s15, s16
	s_add_i32 s0, s7, 1
	s_lshr_b32 s1, s0, 31
	s_add_i32 s0, s0, s1
	s_lshl_b32 s0, s0, 1
	v_lshlrev_b32_e32 v1, 4, v0
	s_and_b32 s30, s0, -4
	v_cmp_gt_i32_e64 s[0:1], s7, v1
	v_mov_b32_e32 v80, 0
	v_mov_b32_e32 v81, 0
	;; [unrolled: 1-line block ×16, first 2 shown]
	s_and_saveexec_b64 s[2:3], s[0:1]
	s_cbranch_execz .LBB725_3
; %bb.2:
	s_load_dwordx2 s[22:23], s[4:5], 0x28
	s_load_dwordx2 s[28:29], s[4:5], 0x40
	s_and_b64 s[34:35], s[8:9], exec
	s_cselect_b32 s14, s17, s18
	s_mov_b32 s31, 0x20000
	s_waitcnt lgkmcnt(0)
	s_cselect_b32 s17, s23, s37
	s_cselect_b32 s27, s22, s36
	s_mul_hi_i32 s23, s14, s6
	s_mul_i32 s22, s14, s6
	s_lshl_b64 s[22:23], s[22:23], 1
	s_add_u32 s40, s27, s22
	s_addc_u32 s14, s17, s23
	s_and_b64 s[22:23], s[8:9], exec
	s_cselect_b32 s28, s28, s20
	s_cselect_b32 s17, s29, s21
	s_and_b32 s41, s14, 0xffff
	s_mov_b32 s42, s30
	s_mov_b32 s43, s31
	v_lshlrev_b32_e32 v2, 5, v0
	s_and_b32 s29, s17, 0xffff
	buffer_load_dwordx4 v[84:87], v2, s[40:43], 0 offen
	buffer_load_dwordx4 v[88:91], v2, s[40:43], 16 offen
	;; [unrolled: 1-line block ×4, first 2 shown]
.LBB725_3:
	s_or_b64 exec, exec, s[2:3]
	s_load_dwordx2 s[34:35], s[4:5], 0x80
	s_and_b64 vcc, exec, s[10:11]
	s_cbranch_vccz .LBB725_7
; %bb.4:
	v_mov_b32_e32 v93, 0
	v_mov_b32_e32 v92, 0
	;; [unrolled: 1-line block ×16, first 2 shown]
	s_and_saveexec_b64 s[2:3], s[0:1]
	s_cbranch_execz .LBB725_6
; %bb.5:
	s_waitcnt vmcnt(3)
	v_cvt_f32_f16_sdwa v59, v84 dst_sel:DWORD dst_unused:UNUSED_PAD src0_sel:WORD_1
	v_cvt_f32_f16_e32 v58, v84
	v_cvt_f32_f16_sdwa v29, v85 dst_sel:DWORD dst_unused:UNUSED_PAD src0_sel:WORD_1
	v_cvt_f32_f16_e32 v28, v85
	;; [unrolled: 2-line block ×4, first 2 shown]
	s_waitcnt vmcnt(2)
	v_cvt_f32_f16_sdwa v69, v88 dst_sel:DWORD dst_unused:UNUSED_PAD src0_sel:WORD_1
	v_cvt_f32_f16_e32 v68, v88
	v_cvt_f32_f16_sdwa v41, v89 dst_sel:DWORD dst_unused:UNUSED_PAD src0_sel:WORD_1
	v_cvt_f32_f16_e32 v40, v89
	;; [unrolled: 2-line block ×4, first 2 shown]
.LBB725_6:
	s_or_b64 exec, exec, s[2:3]
	s_cbranch_execz .LBB725_8
	s_branch .LBB725_11
.LBB725_7:
                                        ; implicit-def: $vgpr26_vgpr27_vgpr28_vgpr29_vgpr30_vgpr31_vgpr32_vgpr33_vgpr34_vgpr35_vgpr36_vgpr37_vgpr38_vgpr39_vgpr40_vgpr41
                                        ; implicit-def: $vgpr58_vgpr59_vgpr60_vgpr61_vgpr62_vgpr63_vgpr64_vgpr65_vgpr66_vgpr67_vgpr68_vgpr69_vgpr70_vgpr71_vgpr72_vgpr73
                                        ; implicit-def: $vgpr42_vgpr43_vgpr44_vgpr45_vgpr46_vgpr47_vgpr48_vgpr49_vgpr50_vgpr51_vgpr52_vgpr53_vgpr54_vgpr55_vgpr56_vgpr57
                                        ; implicit-def: $vgpr12_vgpr13_vgpr14_vgpr15_vgpr16_vgpr17_vgpr18_vgpr19_vgpr20_vgpr21_vgpr22_vgpr23_vgpr24_vgpr25_vgpr26_vgpr27
                                        ; implicit-def: $vgpr93
                                        ; implicit-def: $vgpr60_vgpr61_vgpr62_vgpr63_vgpr64_vgpr65_vgpr66_vgpr67_vgpr68_vgpr69_vgpr70_vgpr71_vgpr72_vgpr73_vgpr74_vgpr75
                                        ; implicit-def: $vgpr30_vgpr31_vgpr32_vgpr33_vgpr34_vgpr35_vgpr36_vgpr37_vgpr38_vgpr39_vgpr40_vgpr41_vgpr42_vgpr43_vgpr44_vgpr45
                                        ; implicit-def: $vgpr2_vgpr3_vgpr4_vgpr5_vgpr6_vgpr7_vgpr8_vgpr9_vgpr10_vgpr11_vgpr12_vgpr13_vgpr14_vgpr15_vgpr16_vgpr17
.LBB725_8:
	v_mov_b32_e32 v93, 0
	v_mov_b32_e32 v92, 0
	;; [unrolled: 1-line block ×16, first 2 shown]
	s_and_saveexec_b64 s[2:3], s[0:1]
	s_cbranch_execz .LBB725_10
; %bb.9:
	s_load_dwordx2 s[22:23], s[4:5], 0x38
	s_mul_hi_i32 s29, s19, s6
	s_mul_i32 s28, s19, s6
	s_lshl_b64 s[28:29], s[28:29], 1
	s_mov_b32 s31, 0x20000
	s_waitcnt lgkmcnt(0)
	s_add_u32 s28, s22, s28
	s_addc_u32 s14, s23, s29
	s_and_b32 s29, s14, 0xffff
	v_lshlrev_b32_e32 v38, 5, v0
	buffer_load_dwordx4 v[6:9], v38, s[28:31], 16 offen
	buffer_load_dwordx4 v[10:13], v38, s[28:31], 0 offen
	s_waitcnt vmcnt(5)
	v_cvt_f32_f16_sdwa v19, v86 dst_sel:DWORD dst_unused:UNUSED_PAD src0_sel:WORD_1
	v_cvt_f32_f16_e32 v18, v86
	v_cvt_f32_f16_sdwa v25, v87 dst_sel:DWORD dst_unused:UNUSED_PAD src0_sel:WORD_1
	v_cvt_f32_f16_e32 v24, v87
	;; [unrolled: 2-line block ×4, first 2 shown]
	s_load_dwordx2 s[22:23], s[4:5], 0x20
	s_waitcnt vmcnt(4)
	v_cvt_f32_f16_sdwa v3, v88 dst_sel:DWORD dst_unused:UNUSED_PAD src0_sel:WORD_1
	v_cvt_f32_f16_e32 v2, v88
	v_cvt_f32_f16_sdwa v5, v89 dst_sel:DWORD dst_unused:UNUSED_PAD src0_sel:WORD_1
	v_cvt_f32_f16_e32 v4, v89
	;; [unrolled: 2-line block ×4, first 2 shown]
	s_mul_hi_i32 s29, s35, s6
	s_mul_i32 s28, s35, s6
	s_lshl_b64 s[28:29], s[28:29], 1
	s_waitcnt lgkmcnt(0)
	s_add_u32 s28, s22, s28
	s_addc_u32 s14, s23, s29
	s_and_b32 s29, s14, 0xffff
	s_waitcnt vmcnt(1)
	v_cvt_f32_f16_e32 v26, v6
	v_cvt_f32_f16_sdwa v27, v6 dst_sel:DWORD dst_unused:UNUSED_PAD src0_sel:WORD_1
	v_cvt_f32_f16_e32 v30, v7
	v_cvt_f32_f16_sdwa v31, v7 dst_sel:DWORD dst_unused:UNUSED_PAD src0_sel:WORD_1
	;; [unrolled: 2-line block ×4, first 2 shown]
	s_waitcnt vmcnt(0)
	v_cvt_f32_f16_e32 v6, v12
	v_cvt_f32_f16_sdwa v7, v12 dst_sel:DWORD dst_unused:UNUSED_PAD src0_sel:WORD_1
	v_cvt_f32_f16_e32 v8, v13
	v_cvt_f32_f16_sdwa v9, v13 dst_sel:DWORD dst_unused:UNUSED_PAD src0_sel:WORD_1
	;; [unrolled: 2-line block ×4, first 2 shown]
	v_pk_add_f32 v[46:47], v[18:19], v[6:7]
	v_pk_add_f32 v[18:19], v[24:25], v[8:9]
	v_cvt_f16_f32_e32 v6, v47
	v_cvt_f16_f32_e32 v7, v19
	v_cvt_f16_f32_e32 v8, v18
	v_cvt_f16_f32_e32 v12, v46
	v_pk_add_f32 v[28:29], v[22:23], v[10:11]
	v_pk_add_f32 v[58:59], v[20:21], v[36:37]
	v_pack_b32_f16 v9, v8, v7
	v_pack_b32_f16 v8, v12, v6
	v_cvt_f16_f32_e32 v6, v29
	v_cvt_f16_f32_e32 v7, v28
	;; [unrolled: 1-line block ×3, first 2 shown]
	v_pk_add_f32 v[92:93], v[16:17], v[34:35]
	v_pk_add_f32 v[14:15], v[14:15], v[32:33]
	v_pack_b32_f16 v7, v7, v6
	v_cvt_f16_f32_e32 v6, v59
	v_pk_add_f32 v[40:41], v[4:5], v[30:31]
	v_pk_add_f32 v[68:69], v[2:3], v[26:27]
	v_cvt_f16_f32_e32 v4, v40
	v_pack_b32_f16 v6, v10, v6
	buffer_store_dwordx4 v[6:9], v38, s[28:31], 0 offen
	v_cvt_f16_f32_e32 v5, v41
	v_cvt_f16_f32_e32 v6, v14
	;; [unrolled: 1-line block ×7, first 2 shown]
	v_pack_b32_f16 v7, v7, v8
	v_pack_b32_f16 v6, v6, v9
	;; [unrolled: 1-line block ×4, first 2 shown]
	;;#ASMSTART
	s_nop 0
	;;#ASMEND
	buffer_store_dwordx4 v[4:7], v38, s[28:31], 16 offen
	;;#ASMSTART
	s_nop 0
	;;#ASMEND
.LBB725_10:
	s_or_b64 exec, exec, s[2:3]
.LBB725_11:
	v_mul_f32_e32 v2, v59, v59
	v_fmac_f32_e32 v2, v58, v58
	v_fmac_f32_e32 v2, v28, v28
	;; [unrolled: 1-line block ×15, first 2 shown]
	s_nop 1
	v_mov_b32_dpp v3, v2 quad_perm:[1,0,3,2] row_mask:0xf bank_mask:0xf
	v_add_f32_e32 v2, v2, v3
	s_nop 1
	v_mov_b32_dpp v3, v2 quad_perm:[2,3,0,1] row_mask:0xf bank_mask:0xf
	v_add_f32_e32 v2, v2, v3
	s_nop 1
	v_mov_b32_dpp v3, v2 row_half_mirror row_mask:0xf bank_mask:0xf
	v_add_f32_e32 v2, v2, v3
	s_nop 1
	v_mov_b32_dpp v3, v2 row_mirror row_mask:0xf bank_mask:0xf
	v_add_f32_e32 v2, v2, v3
	s_nop 1
	v_mov_b32_dpp v3, v2 row_bcast:15 row_mask:0xf bank_mask:0xf
	v_add_f32_e32 v2, v2, v3
	v_and_b32_e32 v3, 63, v0
	v_cmp_eq_u32_e64 s[2:3], 63, v3
	s_nop 0
	v_mov_b32_dpp v3, v2 row_bcast:31 row_mask:0xf bank_mask:0xf
	s_and_saveexec_b64 s[22:23], s[2:3]
	s_cbranch_execz .LBB725_13
; %bb.12:
	v_add_f32_e32 v2, v2, v3
	v_lshrrev_b32_e32 v3, 4, v0
	v_and_b32_e32 v3, 60, v3
	ds_write_b32 v3, v2 offset:8
.LBB725_13:
	s_or_b64 exec, exec, s[22:23]
	v_and_b32_e32 v2, 1, v0
	v_lshlrev_b32_e32 v34, 2, v2
	s_waitcnt lgkmcnt(0)
	s_barrier
	ds_read_b32 v3, v34 offset:8
	s_load_dwordx2 s[38:39], s[4:5], 0x18
	s_waitcnt lgkmcnt(0)
	v_mov_b32_dpp v4, v3 quad_perm:[1,0,3,2] row_mask:0xf bank_mask:0xf
	s_and_saveexec_b64 s[22:23], s[0:1]
	s_cbranch_execnz .LBB725_18
; %bb.14:
	s_or_b64 exec, exec, s[22:23]
	s_mov_b64 s[8:9], -1
	s_and_b64 vcc, exec, s[10:11]
	s_cbranch_vccnz .LBB725_19
.LBB725_15:
	s_andn2_b64 vcc, exec, s[8:9]
	s_cbranch_vccz .LBB725_22
.LBB725_16:
	s_cmp_lt_i32 s16, 1
	s_cbranch_scc0 .LBB725_29
.LBB725_17:
	s_endpgm
.LBB725_18:
	v_add_f32_e32 v3, v3, v4
	v_cvt_f32_u32_e32 v4, s7
	s_mov_b32 s7, 0x800000
	s_waitcnt vmcnt(1)
	v_cvt_f32_f16_sdwa v23, v81 dst_sel:DWORD dst_unused:UNUSED_PAD src0_sel:WORD_1
	v_cvt_f32_f16_e32 v22, v81
	v_div_scale_f32 v5, s[28:29], v4, v4, v3
	v_rcp_f32_e32 v6, v5
	s_waitcnt vmcnt(0)
	v_cvt_f32_f16_sdwa v25, v77 dst_sel:DWORD dst_unused:UNUSED_PAD src0_sel:WORD_1
	v_cvt_f32_f16_e32 v24, v77
	v_cvt_f32_f16_sdwa v27, v78 dst_sel:DWORD dst_unused:UNUSED_PAD src0_sel:WORD_1
	v_fma_f32 v7, -v5, v6, 1.0
	v_fmac_f32_e32 v6, v7, v6
	v_div_scale_f32 v7, vcc, v3, v4, v3
	v_mul_f32_e32 v8, v7, v6
	v_fma_f32 v9, -v5, v8, v7
	v_fmac_f32_e32 v8, v9, v6
	v_fma_f32 v5, -v5, v8, v7
	v_div_fmas_f32 v5, v5, v6, v8
	v_div_fixup_f32 v3, v5, v4, v3
	v_mov_b32_e32 v4, s13
	v_mov_b32_e32 v5, s12
	v_cndmask_b32_e64 v4, v4, v5, s[8:9]
	v_add_f32_e32 v3, v4, v3
	v_mul_f32_e32 v4, 0x4b800000, v3
	v_cmp_gt_f32_e32 vcc, s7, v3
	v_cndmask_b32_e32 v3, v3, v4, vcc
	v_rsq_f32_e32 v3, v3
	v_cvt_f32_f16_e32 v26, v78
	v_cvt_f32_f16_sdwa v31, v79 dst_sel:DWORD dst_unused:UNUSED_PAD src0_sel:WORD_1
	v_cvt_f32_f16_e32 v30, v79
	v_mul_f32_e32 v4, 0x45800000, v3
	v_cndmask_b32_e32 v4, v3, v4, vcc
	v_mov_b32_e32 v5, v4
	;;#ASMSTART
	v_pk_mul_f32 v[6:7], v[58:59], v[4:5]
	;;#ASMEND
	;;#ASMSTART
	v_pk_mul_f32 v[8:9], v[28:29], v[4:5]
	;;#ASMEND
	;; [unrolled: 3-line block ×6, first 2 shown]
	v_cvt_f32_f16_sdwa v19, v80 dst_sel:DWORD dst_unused:UNUSED_PAD src0_sel:WORD_1
	v_cvt_f32_f16_e32 v18, v80
	;;#ASMSTART
	v_pk_mul_f32 v[14:15], v[14:15], v[4:5]
	;;#ASMEND
	;;#ASMSTART
	v_pk_mul_f32 v[4:5], v[92:93], v[4:5]
	;;#ASMEND
	;; [unrolled: 3-line block ×4, first 2 shown]
	v_cvt_f32_f16_sdwa v7, v82 dst_sel:DWORD dst_unused:UNUSED_PAD src0_sel:WORD_1
	v_cvt_f32_f16_e32 v6, v82
	v_cvt_f32_f16_sdwa v9, v83 dst_sel:DWORD dst_unused:UNUSED_PAD src0_sel:WORD_1
	v_cvt_f32_f16_e32 v8, v83
	;; [unrolled: 2-line block ×3, first 2 shown]
	;;#ASMSTART
	v_pk_mul_f32 v[46:47], v[10:11], v[6:7]
	;;#ASMEND
	;;#ASMSTART
	v_pk_mul_f32 v[18:19], v[12:13], v[8:9]
	;;#ASMEND
	;; [unrolled: 3-line block ×6, first 2 shown]
	s_or_b64 exec, exec, s[22:23]
	s_mov_b64 s[8:9], -1
	s_and_b64 vcc, exec, s[10:11]
	s_cbranch_vccz .LBB725_15
.LBB725_19:
	s_and_saveexec_b64 s[8:9], s[0:1]
	s_cbranch_execz .LBB725_21
; %bb.20:
	v_cvt_f16_f32_e32 v3, v46
	v_cvt_f16_f32_e32 v4, v18
	;; [unrolled: 1-line block ×4, first 2 shown]
	s_mul_hi_i32 s11, s34, s6
	s_mul_i32 s10, s34, s6
	v_pack_b32_f16 v7, v4, v5
	v_pack_b32_f16 v6, v3, v6
	v_cvt_f16_f32_e32 v3, v28
	v_cvt_f16_f32_e32 v4, v29
	s_lshl_b64 s[10:11], s[10:11], 1
	s_add_u32 s28, s38, s10
	s_addc_u32 s7, s39, s11
	v_pack_b32_f16 v5, v3, v4
	v_cvt_f16_f32_e32 v3, v58
	v_cvt_f16_f32_e32 v4, v59
	s_and_b32 s29, s7, 0xffff
	s_mov_b32 s31, 0x20000
	v_cvt_f16_f32_e32 v8, v15
	v_pack_b32_f16 v4, v3, v4
	v_lshlrev_b32_e32 v3, 5, v0
	buffer_store_dwordx4 v[4:7], v3, s[28:31], 0 offen
	;;#ASMSTART
	s_nop 0
	;;#ASMEND
	s_nop 0
	v_cvt_f16_f32_e32 v4, v14
	v_cvt_f16_f32_e32 v5, v92
	;; [unrolled: 1-line block ×3, first 2 shown]
	v_pack_b32_f16 v7, v5, v6
	v_pack_b32_f16 v6, v4, v8
	v_cvt_f16_f32_e32 v4, v40
	v_cvt_f16_f32_e32 v5, v41
	;; [unrolled: 1-line block ×3, first 2 shown]
	v_pack_b32_f16 v5, v4, v5
	v_cvt_f16_f32_e32 v4, v68
	v_pack_b32_f16 v4, v4, v8
	buffer_store_dwordx4 v[4:7], v3, s[28:31], 16 offen
	;;#ASMSTART
	s_nop 0
	;;#ASMEND
.LBB725_21:
	s_or_b64 exec, exec, s[8:9]
	s_cbranch_execnz .LBB725_16
.LBB725_22:
	v_mov_b32_e32 v3, 0
	s_and_saveexec_b64 s[8:9], s[0:1]
	s_cbranch_execz .LBB725_24
; %bb.23:
	v_and_b32_e32 v3, 0x7fffffff, v58
	v_and_b32_e32 v4, 0x7fffffff, v59
	v_mov_b32_e32 v5, 0x2edbe6ff
	;;#ASMSTART
	v_max3_f32 v3, v5, v3, v4

	;;#ASMEND
	v_and_b32_e32 v4, 0x7fffffff, v28
	v_and_b32_e32 v5, 0x7fffffff, v29
	;;#ASMSTART
	v_max3_f32 v3, v3, v4, v5

	;;#ASMEND
	v_and_b32_e32 v4, 0x7fffffff, v46
	v_and_b32_e32 v5, 0x7fffffff, v47
	;; [unrolled: 6-line block ×7, first 2 shown]
	;;#ASMSTART
	v_max3_f32 v3, v3, v4, v5

	;;#ASMEND
.LBB725_24:
	s_or_b64 exec, exec, s[8:9]
	v_cmp_eq_u32_e32 vcc, 0, v2
	v_cmp_gt_i32_e64 s[8:9], s15, v1
	;;#ASMSTART
	v_max_f32 v4, v3, v3 quad_perm:[1,0,3,2] row_mask:0xf bank_mask:0xf bound_ctrl:1
	;;#ASMEND
	v_mul_f32_e32 v3, 0x3b124925, v4
	s_and_b64 s[10:11], vcc, s[8:9]
	s_and_saveexec_b64 s[8:9], s[10:11]
	s_cbranch_execz .LBB725_26
; %bb.25:
	s_load_dwordx2 s[10:11], s[4:5], 0x8
	s_mul_hi_i32 s23, s25, s6
	s_mul_i32 s22, s25, s6
	v_lshrrev_b32_e32 v2, 1, v0
	s_lshl_b64 s[22:23], s[22:23], 2
	v_mad_i64_i32 v[4:5], s[26:27], s26, v2, 0
	s_waitcnt lgkmcnt(0)
	s_add_u32 s7, s10, s22
	s_addc_u32 s10, s11, s23
	v_lshlrev_b64 v[4:5], 2, v[4:5]
	v_mov_b32_e32 v2, s10
	v_add_co_u32_e32 v4, vcc, s7, v4
	v_addc_co_u32_e32 v5, vcc, v2, v5, vcc
	global_store_dword v[4:5], v3, off
.LBB725_26:
	s_or_b64 exec, exec, s[8:9]
	;;#ASMSTART
	v_rcp_f32 v2, v3
	;;#ASMEND
	s_and_saveexec_b64 s[22:23], s[0:1]
	s_cbranch_execz .LBB725_28
; %bb.27:
	v_mov_b32_e32 v3, v2
	;;#ASMSTART
	v_pk_mul_f32 v[4:5], v[58:59], v[2:3]
	;;#ASMEND
	v_mov_b32_e32 v10, 0xc3e00000
	v_mov_b32_e32 v11, 0x43e00000
	;;#ASMSTART
	v_med3_f32 v4, v4, v10, v11
v_med3_f32 v5, v5, v10, v11
v_cvt_pk_fp8_f32 v6, v4, v5
	;;#ASMEND
	;;#ASMSTART
	v_pk_mul_f32 v[4:5], v[28:29], v[2:3]
	;;#ASMEND
	;;#ASMSTART
	v_med3_f32 v4, v4, v10, v11
v_med3_f32 v5, v5, v10, v11
v_cvt_pk_fp8_f32 v7, v4, v5
	;;#ASMEND
	;;#ASMSTART
	v_pk_mul_f32 v[4:5], v[46:47], v[2:3]
	;;#ASMEND
	;; [unrolled: 8-line block ×3, first 2 shown]
	;;#ASMSTART
	v_med3_f32 v4, v4, v10, v11
v_med3_f32 v5, v5, v10, v11
v_cvt_pk_fp8_f32 v9, v4, v5
	;;#ASMEND
	s_mov_b32 s0, 0x5040100
	v_perm_b32 v4, v7, v6, s0
	s_mov_b32 s0, 0x1060504
	v_perm_b32 v4, v4, v7, s0
	s_load_dwordx2 s[0:1], s[4:5], 0x0
	s_mov_b32 s7, 0x1000504
	;;#ASMSTART
	v_pk_mul_f32 v[6:7], v[68:69], v[2:3]
	;;#ASMEND
	v_perm_b32 v5, v8, v9, s7
	s_mul_i32 s8, s24, s6
	;;#ASMSTART
	v_med3_f32 v6, v6, v10, v11
v_med3_f32 v7, v7, v10, v11
v_cvt_pk_fp8_f32 v8, v6, v7
	;;#ASMEND
	s_mul_hi_i32 s9, s24, s6
	s_waitcnt lgkmcnt(0)
	s_add_u32 s8, s0, s8
	;;#ASMSTART
	v_pk_mul_f32 v[6:7], v[40:41], v[2:3]
	;;#ASMEND
	s_addc_u32 s0, s1, s9
	s_add_i32 s1, s15, 3
	;;#ASMSTART
	v_med3_f32 v6, v6, v10, v11
v_med3_f32 v7, v7, v10, v11
v_cvt_pk_fp8_f32 v9, v6, v7
	;;#ASMEND
	s_ashr_i32 s9, s1, 31
	v_perm_b32 v6, v8, v9, s7
	;;#ASMSTART
	v_pk_mul_f32 v[8:9], v[14:15], v[2:3]
	;;#ASMEND
	v_mov_b32_e32 v7, v9
	s_lshr_b32 s9, s9, 30
	;;#ASMSTART
	v_med3_f32 v8, v8, v10, v11
v_med3_f32 v7, v7, v10, v11
v_cvt_pk_fp8_f32 v9, v8, v7
	;;#ASMEND
	;;#ASMSTART
	v_pk_mul_f32 v[2:3], v[92:93], v[2:3]
	;;#ASMEND
	s_add_i32 s1, s1, s9
	;;#ASMSTART
	v_med3_f32 v2, v2, v10, v11
v_med3_f32 v3, v3, v10, v11
v_cvt_pk_fp8_f32 v7, v2, v3
	;;#ASMEND
	s_and_b32 s10, s1, -4
	s_and_b32 s9, s0, 0xffff
	s_mov_b32 s11, 0x20000
	v_perm_b32 v7, v9, v7, s7
	buffer_store_dwordx4 v[4:7], v1, s[8:11], 0 offen
	;;#ASMSTART
	s_nop 0
	;;#ASMEND
.LBB725_28:
	s_or_b64 exec, exec, s[22:23]
	s_cmp_lt_i32 s16, 1
	s_cbranch_scc1 .LBB725_17
.LBB725_29:
	s_load_dword s0, s[4:5], 0x94
	s_waitcnt lgkmcnt(0)
	s_cmp_lg_u32 s0, 1
	s_cbranch_scc1 .LBB725_17
; %bb.30:
	s_lshl_b32 s0, s16, 1
	s_add_i32 s0, s0, 2
	v_cmp_gt_u32_e32 vcc, s16, v1
	s_and_b32 s22, s0, -4
	v_mov_b32_e32 v18, 0
	v_lshlrev_b32_e32 v1, 5, v0
	v_mov_b32_e32 v14, 0
	v_mov_b32_e32 v15, 0
	;; [unrolled: 1-line block ×16, first 2 shown]
	s_barrier
	s_and_saveexec_b64 s[0:1], vcc
	s_cbranch_execz .LBB725_32
; %bb.31:
	s_mul_hi_i32 s5, s18, s6
	s_mul_i32 s4, s18, s6
	s_and_b32 s21, s21, 0xffff
	s_lshl_b64 s[4:5], s[4:5], 1
	s_add_u32 s8, s36, s4
	s_mov_b32 s23, 0x20000
	s_addc_u32 s4, s37, s5
	s_and_b32 s9, s4, 0xffff
	s_mov_b32 s10, s22
	s_mov_b32 s11, s23
	buffer_load_dwordx4 v[14:17], v1, s[8:11], 0 offen
	buffer_load_dwordx4 v[10:13], v1, s[8:11], 16 offen
	;; [unrolled: 1-line block ×4, first 2 shown]
.LBB725_32:
	s_or_b64 exec, exec, s[0:1]
	v_mov_b32_e32 v19, 0
	v_mov_b32_e32 v32, 0
	;; [unrolled: 1-line block ×15, first 2 shown]
	s_and_saveexec_b64 s[0:1], vcc
	s_cbranch_execz .LBB725_34
; %bb.33:
	s_waitcnt vmcnt(3)
	v_cvt_f32_f16_sdwa v19, v14 dst_sel:DWORD dst_unused:UNUSED_PAD src0_sel:WORD_1
	v_cvt_f32_f16_e32 v18, v14
	v_cvt_f32_f16_sdwa v33, v15 dst_sel:DWORD dst_unused:UNUSED_PAD src0_sel:WORD_1
	v_cvt_f32_f16_e32 v32, v15
	v_cvt_f32_f16_sdwa v31, v16 dst_sel:DWORD dst_unused:UNUSED_PAD src0_sel:WORD_1
	v_cvt_f32_f16_e32 v30, v16
	v_cvt_f32_f16_sdwa v29, v17 dst_sel:DWORD dst_unused:UNUSED_PAD src0_sel:WORD_1
	v_cvt_f32_f16_e32 v28, v17
	s_waitcnt vmcnt(2)
	v_cvt_f32_f16_sdwa v27, v10 dst_sel:DWORD dst_unused:UNUSED_PAD src0_sel:WORD_1
	v_cvt_f32_f16_e32 v26, v10
	v_cvt_f32_f16_sdwa v25, v11 dst_sel:DWORD dst_unused:UNUSED_PAD src0_sel:WORD_1
	v_cvt_f32_f16_e32 v24, v11
	;; [unrolled: 2-line block ×4, first 2 shown]
.LBB725_34:
	s_or_b64 exec, exec, s[0:1]
	s_waitcnt vmcnt(2)
	v_mul_f32_e32 v10, v19, v19
	v_fmac_f32_e32 v10, v18, v18
	v_fmac_f32_e32 v10, v32, v32
	;; [unrolled: 1-line block ×15, first 2 shown]
	s_nop 1
	v_mov_b32_dpp v11, v10 quad_perm:[1,0,3,2] row_mask:0xf bank_mask:0xf
	v_add_f32_e32 v10, v10, v11
	s_nop 1
	v_mov_b32_dpp v11, v10 quad_perm:[2,3,0,1] row_mask:0xf bank_mask:0xf
	v_add_f32_e32 v10, v10, v11
	s_nop 1
	v_mov_b32_dpp v11, v10 row_half_mirror row_mask:0xf bank_mask:0xf
	v_add_f32_e32 v10, v10, v11
	s_nop 1
	v_mov_b32_dpp v11, v10 row_mirror row_mask:0xf bank_mask:0xf
	v_add_f32_e32 v10, v10, v11
	s_nop 1
	v_mov_b32_dpp v11, v10 row_bcast:15 row_mask:0xf bank_mask:0xf
	v_add_f32_e32 v10, v10, v11
	s_nop 1
	v_mov_b32_dpp v11, v10 row_bcast:31 row_mask:0xf bank_mask:0xf
	s_and_saveexec_b64 s[0:1], s[2:3]
	s_cbranch_execz .LBB725_36
; %bb.35:
	v_lshrrev_b32_e32 v0, 4, v0
	v_add_f32_e32 v10, v10, v11
	v_and_b32_e32 v0, 60, v0
	ds_write_b32 v0, v10
.LBB725_36:
	s_or_b64 exec, exec, s[0:1]
	s_waitcnt lgkmcnt(0)
	s_barrier
	ds_read_b32 v0, v34
	s_waitcnt lgkmcnt(0)
	s_nop 0
	v_mov_b32_dpp v10, v0 quad_perm:[1,0,3,2] row_mask:0xf bank_mask:0xf
	s_and_saveexec_b64 s[0:1], vcc
	s_cbranch_execz .LBB725_17
; %bb.37:
	v_cvt_f32_u32_e32 v11, s16
	v_add_f32_e32 v0, v0, v10
	s_mov_b32 s23, 0x20000
	v_div_scale_f32 v10, s[0:1], v11, v11, v0
	v_rcp_f32_e32 v12, v10
	v_div_scale_f32 v13, vcc, v0, v11, v0
	s_mov_b32 s0, 0x800000
	v_fma_f32 v14, -v10, v12, 1.0
	v_fmac_f32_e32 v12, v14, v12
	v_mul_f32_e32 v14, v13, v12
	v_fma_f32 v15, -v10, v14, v13
	v_fmac_f32_e32 v14, v15, v12
	v_fma_f32 v10, -v10, v14, v13
	v_div_fmas_f32 v10, v10, v12, v14
	v_div_fixup_f32 v0, v10, v11, v0
	v_add_f32_e32 v0, s13, v0
	v_mul_f32_e32 v10, 0x4b800000, v0
	v_cmp_gt_f32_e32 vcc, s0, v0
	v_cndmask_b32_e32 v0, v0, v10, vcc
	v_rsq_f32_e32 v0, v0
	s_mul_hi_i32 s1, s34, s6
	s_mul_i32 s0, s34, s6
	s_lshl_b64 s[0:1], s[0:1], 1
	v_mul_f32_e32 v10, 0x45800000, v0
	v_cndmask_b32_e32 v10, v0, v10, vcc
	v_mov_b32_e32 v11, v10
	;;#ASMSTART
	v_pk_mul_f32 v[12:13], v[18:19], v[10:11]
	;;#ASMEND
	;;#ASMSTART
	v_pk_mul_f32 v[14:15], v[32:33], v[10:11]
	;;#ASMEND
	;; [unrolled: 3-line block ×8, first 2 shown]
	s_waitcnt vmcnt(1)
	v_cvt_f32_f16_sdwa v21, v6 dst_sel:DWORD dst_unused:UNUSED_PAD src0_sel:WORD_1
	v_cvt_f32_f16_e32 v20, v6
	v_cvt_f32_f16_sdwa v29, v7 dst_sel:DWORD dst_unused:UNUSED_PAD src0_sel:WORD_1
	v_cvt_f32_f16_e32 v28, v7
	;; [unrolled: 2-line block ×4, first 2 shown]
	;;#ASMSTART
	v_pk_mul_f32 v[8:9], v[12:13], v[20:21]
	;;#ASMEND
	;;#ASMSTART
	v_pk_mul_f32 v[12:13], v[14:15], v[28:29]
	;;#ASMEND
	;; [unrolled: 3-line block ×4, first 2 shown]
	s_waitcnt vmcnt(0)
	v_cvt_f32_f16_sdwa v17, v2 dst_sel:DWORD dst_unused:UNUSED_PAD src0_sel:WORD_1
	v_cvt_f32_f16_e32 v16, v2
	v_cvt_f32_f16_sdwa v19, v3 dst_sel:DWORD dst_unused:UNUSED_PAD src0_sel:WORD_1
	v_cvt_f32_f16_e32 v18, v3
	;; [unrolled: 2-line block ×4, first 2 shown]
	;;#ASMSTART
	v_pk_mul_f32 v[16:17], v[26:27], v[16:17]
	;;#ASMEND
	;;#ASMSTART
	v_pk_mul_f32 v[18:19], v[24:25], v[18:19]
	;;#ASMEND
	;; [unrolled: 3-line block ×3, first 2 shown]
	v_cvt_f16_f32_e32 v0, v8
	v_cvt_f16_f32_e32 v2, v9
	;; [unrolled: 1-line block ×8, first 2 shown]
	s_add_u32 s20, s38, s0
	s_addc_u32 s0, s39, s1
	s_and_b32 s21, s0, 0xffff
	v_pack_b32_f16 v2, v0, v2
	v_pack_b32_f16 v3, v3, v4
	;; [unrolled: 1-line block ×4, first 2 shown]
	;;#ASMSTART
	v_pk_mul_f32 v[10:11], v[10:11], v[20:21]
	;;#ASMEND
	buffer_store_dwordx4 v[2:5], v1, s[20:23], 0 offen
	v_cvt_f16_f32_e32 v0, v16
	v_cvt_f16_f32_e32 v2, v17
	;; [unrolled: 1-line block ×8, first 2 shown]
	v_pack_b32_f16 v2, v0, v2
	v_pack_b32_f16 v3, v3, v4
	;; [unrolled: 1-line block ×4, first 2 shown]
	;;#ASMSTART
	s_nop 0
	;;#ASMEND
	buffer_store_dwordx4 v[2:5], v1, s[20:23], 16 offen
	;;#ASMSTART
	s_nop 0
	;;#ASMEND
	s_endpgm
	.section	.rodata,"a",@progbits
	.p2align	6, 0x0
	.amdhsa_kernel _ZN5aiter35fused_qk_rmsnorm_group_quant_kernelIDF16_DB8_Li128ELi16ELi2ELb1ELb0ELb0ELb0ELb0ELb0EEEvPT0_PvPT_S6_S6_PKS5_S8_S8_S8_S8_ffiiiiiiiiiiiii
		.amdhsa_group_segment_fixed_size 16
		.amdhsa_private_segment_fixed_size 0
		.amdhsa_kernarg_size 400
		.amdhsa_user_sgpr_count 6
		.amdhsa_user_sgpr_private_segment_buffer 1
		.amdhsa_user_sgpr_dispatch_ptr 0
		.amdhsa_user_sgpr_queue_ptr 0
		.amdhsa_user_sgpr_kernarg_segment_ptr 1
		.amdhsa_user_sgpr_dispatch_id 0
		.amdhsa_user_sgpr_flat_scratch_init 0
		.amdhsa_user_sgpr_kernarg_preload_length 0
		.amdhsa_user_sgpr_kernarg_preload_offset 0
		.amdhsa_user_sgpr_private_segment_size 0
		.amdhsa_uses_dynamic_stack 0
		.amdhsa_system_sgpr_private_segment_wavefront_offset 0
		.amdhsa_system_sgpr_workgroup_id_x 1
		.amdhsa_system_sgpr_workgroup_id_y 1
		.amdhsa_system_sgpr_workgroup_id_z 0
		.amdhsa_system_sgpr_workgroup_info 0
		.amdhsa_system_vgpr_workitem_id 0
		.amdhsa_next_free_vgpr 94
		.amdhsa_next_free_sgpr 44
		.amdhsa_accum_offset 96
		.amdhsa_reserve_vcc 1
		.amdhsa_reserve_flat_scratch 0
		.amdhsa_float_round_mode_32 0
		.amdhsa_float_round_mode_16_64 0
		.amdhsa_float_denorm_mode_32 3
		.amdhsa_float_denorm_mode_16_64 3
		.amdhsa_dx10_clamp 1
		.amdhsa_ieee_mode 1
		.amdhsa_fp16_overflow 0
		.amdhsa_tg_split 0
		.amdhsa_exception_fp_ieee_invalid_op 0
		.amdhsa_exception_fp_denorm_src 0
		.amdhsa_exception_fp_ieee_div_zero 0
		.amdhsa_exception_fp_ieee_overflow 0
		.amdhsa_exception_fp_ieee_underflow 0
		.amdhsa_exception_fp_ieee_inexact 0
		.amdhsa_exception_int_div_zero 0
	.end_amdhsa_kernel
	.section	.text._ZN5aiter35fused_qk_rmsnorm_group_quant_kernelIDF16_DB8_Li128ELi16ELi2ELb1ELb0ELb0ELb0ELb0ELb0EEEvPT0_PvPT_S6_S6_PKS5_S8_S8_S8_S8_ffiiiiiiiiiiiii,"axG",@progbits,_ZN5aiter35fused_qk_rmsnorm_group_quant_kernelIDF16_DB8_Li128ELi16ELi2ELb1ELb0ELb0ELb0ELb0ELb0EEEvPT0_PvPT_S6_S6_PKS5_S8_S8_S8_S8_ffiiiiiiiiiiiii,comdat
.Lfunc_end725:
	.size	_ZN5aiter35fused_qk_rmsnorm_group_quant_kernelIDF16_DB8_Li128ELi16ELi2ELb1ELb0ELb0ELb0ELb0ELb0EEEvPT0_PvPT_S6_S6_PKS5_S8_S8_S8_S8_ffiiiiiiiiiiiii, .Lfunc_end725-_ZN5aiter35fused_qk_rmsnorm_group_quant_kernelIDF16_DB8_Li128ELi16ELi2ELb1ELb0ELb0ELb0ELb0ELb0EEEvPT0_PvPT_S6_S6_PKS5_S8_S8_S8_S8_ffiiiiiiiiiiiii
                                        ; -- End function
	.section	.AMDGPU.csdata,"",@progbits
; Kernel info:
; codeLenInByte = 3992
; NumSgprs: 48
; NumVgprs: 94
; NumAgprs: 0
; TotalNumVgprs: 94
; ScratchSize: 0
; MemoryBound: 0
; FloatMode: 240
; IeeeMode: 1
; LDSByteSize: 16 bytes/workgroup (compile time only)
; SGPRBlocks: 5
; VGPRBlocks: 11
; NumSGPRsForWavesPerEU: 48
; NumVGPRsForWavesPerEU: 94
; AccumOffset: 96
; Occupancy: 5
; WaveLimiterHint : 0
; COMPUTE_PGM_RSRC2:SCRATCH_EN: 0
; COMPUTE_PGM_RSRC2:USER_SGPR: 6
; COMPUTE_PGM_RSRC2:TRAP_HANDLER: 0
; COMPUTE_PGM_RSRC2:TGID_X_EN: 1
; COMPUTE_PGM_RSRC2:TGID_Y_EN: 1
; COMPUTE_PGM_RSRC2:TGID_Z_EN: 0
; COMPUTE_PGM_RSRC2:TIDIG_COMP_CNT: 0
; COMPUTE_PGM_RSRC3_GFX90A:ACCUM_OFFSET: 23
; COMPUTE_PGM_RSRC3_GFX90A:TG_SPLIT: 0
	.section	.text._ZN5aiter35fused_qk_rmsnorm_group_quant_kernelItDB8_Li128ELi16ELi2ELb1ELb0ELb0ELb0ELb0ELb0EEEvPT0_PvPT_S6_S6_PKS5_S8_S8_S8_S8_ffiiiiiiiiiiiii,"axG",@progbits,_ZN5aiter35fused_qk_rmsnorm_group_quant_kernelItDB8_Li128ELi16ELi2ELb1ELb0ELb0ELb0ELb0ELb0EEEvPT0_PvPT_S6_S6_PKS5_S8_S8_S8_S8_ffiiiiiiiiiiiii,comdat
	.protected	_ZN5aiter35fused_qk_rmsnorm_group_quant_kernelItDB8_Li128ELi16ELi2ELb1ELb0ELb0ELb0ELb0ELb0EEEvPT0_PvPT_S6_S6_PKS5_S8_S8_S8_S8_ffiiiiiiiiiiiii ; -- Begin function _ZN5aiter35fused_qk_rmsnorm_group_quant_kernelItDB8_Li128ELi16ELi2ELb1ELb0ELb0ELb0ELb0ELb0EEEvPT0_PvPT_S6_S6_PKS5_S8_S8_S8_S8_ffiiiiiiiiiiiii
	.globl	_ZN5aiter35fused_qk_rmsnorm_group_quant_kernelItDB8_Li128ELi16ELi2ELb1ELb0ELb0ELb0ELb0ELb0EEEvPT0_PvPT_S6_S6_PKS5_S8_S8_S8_S8_ffiiiiiiiiiiiii
	.p2align	8
	.type	_ZN5aiter35fused_qk_rmsnorm_group_quant_kernelItDB8_Li128ELi16ELi2ELb1ELb0ELb0ELb0ELb0ELb0EEEvPT0_PvPT_S6_S6_PKS5_S8_S8_S8_S8_ffiiiiiiiiiiiii,@function
_ZN5aiter35fused_qk_rmsnorm_group_quant_kernelItDB8_Li128ELi16ELi2ELb1ELb0ELb0ELb0ELb0ELb0EEEvPT0_PvPT_S6_S6_PKS5_S8_S8_S8_S8_ffiiiiiiiiiiiii: ; @_ZN5aiter35fused_qk_rmsnorm_group_quant_kernelItDB8_Li128ELi16ELi2ELb1ELb0ELb0ELb0ELb0ELb0EEEvPT0_PvPT_S6_S6_PKS5_S8_S8_S8_S8_ffiiiiiiiiiiiii
; %bb.0:
	s_load_dwordx8 s[12:19], s[4:5], 0x50
	s_waitcnt lgkmcnt(0)
	s_cmp_ge_i32 s6, s14
	s_cbranch_scc1 .LBB726_17
; %bb.1:
	s_cmp_lg_u32 s7, 0
	s_cselect_b64 s[10:11], -1, 0
	s_cmp_eq_u32 s7, 0
	s_cselect_b64 s[8:9], -1, 0
	s_and_b64 s[0:1], s[8:9], exec
	s_load_dwordx2 s[20:21], s[4:5], 0x48
	s_load_dwordx2 s[36:37], s[4:5], 0x30
	s_load_dwordx4 s[24:27], s[4:5], 0x70
	s_cselect_b32 s7, s15, s16
	s_add_i32 s0, s7, 1
	s_lshr_b32 s1, s0, 31
	s_add_i32 s0, s0, s1
	s_lshl_b32 s0, s0, 1
	v_lshlrev_b32_e32 v1, 4, v0
	s_and_b32 s30, s0, -4
	v_cmp_gt_i32_e64 s[0:1], s7, v1
	v_mov_b32_e32 v82, 0
	v_mov_b32_e32 v83, 0
	;; [unrolled: 1-line block ×16, first 2 shown]
	s_and_saveexec_b64 s[2:3], s[0:1]
	s_cbranch_execz .LBB726_3
; %bb.2:
	s_load_dwordx2 s[22:23], s[4:5], 0x28
	s_load_dwordx2 s[28:29], s[4:5], 0x40
	s_and_b64 s[34:35], s[8:9], exec
	s_cselect_b32 s14, s17, s18
	s_mov_b32 s31, 0x20000
	s_waitcnt lgkmcnt(0)
	s_cselect_b32 s17, s23, s37
	s_cselect_b32 s27, s22, s36
	s_mul_hi_i32 s23, s14, s6
	s_mul_i32 s22, s14, s6
	s_lshl_b64 s[22:23], s[22:23], 1
	s_add_u32 s40, s27, s22
	s_addc_u32 s14, s17, s23
	s_and_b64 s[22:23], s[8:9], exec
	s_cselect_b32 s28, s28, s20
	s_cselect_b32 s17, s29, s21
	s_and_b32 s41, s14, 0xffff
	s_mov_b32 s42, s30
	s_mov_b32 s43, s31
	v_lshlrev_b32_e32 v2, 5, v0
	s_and_b32 s29, s17, 0xffff
	buffer_load_dwordx4 v[86:89], v2, s[40:43], 0 offen
	buffer_load_dwordx4 v[90:93], v2, s[40:43], 16 offen
	;; [unrolled: 1-line block ×4, first 2 shown]
.LBB726_3:
	s_or_b64 exec, exec, s[2:3]
	s_load_dwordx2 s[34:35], s[4:5], 0x80
	s_and_b64 vcc, exec, s[10:11]
	s_cbranch_vccz .LBB726_7
; %bb.4:
	v_mov_b32_e32 v95, 0
	v_mov_b32_e32 v94, 0
	;; [unrolled: 1-line block ×16, first 2 shown]
	s_and_saveexec_b64 s[2:3], s[0:1]
	s_cbranch_execz .LBB726_6
; %bb.5:
	s_waitcnt vmcnt(3)
	v_cvt_f32_u32_sdwa v62, v86 dst_sel:DWORD dst_unused:UNUSED_PAD src0_sel:WORD_0
	v_cvt_f32_u32_sdwa v63, v86 dst_sel:DWORD dst_unused:UNUSED_PAD src0_sel:WORD_1
	v_cvt_f32_u32_sdwa v24, v87 dst_sel:DWORD dst_unused:UNUSED_PAD src0_sel:WORD_0
	v_cvt_f32_u32_sdwa v25, v87 dst_sel:DWORD dst_unused:UNUSED_PAD src0_sel:WORD_1
	;; [unrolled: 2-line block ×4, first 2 shown]
	s_waitcnt vmcnt(2)
	v_cvt_f32_u32_sdwa v42, v90 dst_sel:DWORD dst_unused:UNUSED_PAD src0_sel:WORD_0
	v_cvt_f32_u32_sdwa v43, v90 dst_sel:DWORD dst_unused:UNUSED_PAD src0_sel:WORD_1
	v_cvt_f32_u32_sdwa v18, v91 dst_sel:DWORD dst_unused:UNUSED_PAD src0_sel:WORD_0
	v_cvt_f32_u32_sdwa v19, v91 dst_sel:DWORD dst_unused:UNUSED_PAD src0_sel:WORD_1
	;; [unrolled: 2-line block ×4, first 2 shown]
.LBB726_6:
	s_or_b64 exec, exec, s[2:3]
	s_cbranch_execz .LBB726_8
	s_branch .LBB726_11
.LBB726_7:
                                        ; implicit-def: $vgpr22_vgpr23_vgpr24_vgpr25_vgpr26_vgpr27_vgpr28_vgpr29_vgpr30_vgpr31_vgpr32_vgpr33_vgpr34_vgpr35_vgpr36_vgpr37
                                        ; implicit-def: $vgpr46_vgpr47_vgpr48_vgpr49_vgpr50_vgpr51_vgpr52_vgpr53_vgpr54_vgpr55_vgpr56_vgpr57_vgpr58_vgpr59_vgpr60_vgpr61
                                        ; implicit-def: $vgpr26_vgpr27_vgpr28_vgpr29_vgpr30_vgpr31_vgpr32_vgpr33_vgpr34_vgpr35_vgpr36_vgpr37_vgpr38_vgpr39_vgpr40_vgpr41
                                        ; implicit-def: $vgpr8_vgpr9_vgpr10_vgpr11_vgpr12_vgpr13_vgpr14_vgpr15_vgpr16_vgpr17_vgpr18_vgpr19_vgpr20_vgpr21_vgpr22_vgpr23
                                        ; implicit-def: $vgpr95
                                        ; implicit-def: $vgpr62_vgpr63_vgpr64_vgpr65_vgpr66_vgpr67_vgpr68_vgpr69_vgpr70_vgpr71_vgpr72_vgpr73_vgpr74_vgpr75_vgpr76_vgpr77
                                        ; implicit-def: $vgpr34_vgpr35_vgpr36_vgpr37_vgpr38_vgpr39_vgpr40_vgpr41_vgpr42_vgpr43_vgpr44_vgpr45_vgpr46_vgpr47_vgpr48_vgpr49
                                        ; implicit-def: $vgpr2_vgpr3_vgpr4_vgpr5_vgpr6_vgpr7_vgpr8_vgpr9_vgpr10_vgpr11_vgpr12_vgpr13_vgpr14_vgpr15_vgpr16_vgpr17
.LBB726_8:
	v_mov_b32_e32 v95, 0
	v_mov_b32_e32 v94, 0
	;; [unrolled: 1-line block ×16, first 2 shown]
	s_and_saveexec_b64 s[2:3], s[0:1]
	s_cbranch_execz .LBB726_10
; %bb.9:
	s_load_dwordx2 s[22:23], s[4:5], 0x38
	s_mul_hi_i32 s29, s19, s6
	s_mul_i32 s28, s19, s6
	s_lshl_b64 s[28:29], s[28:29], 1
	s_mov_b32 s31, 0x20000
	s_waitcnt lgkmcnt(0)
	s_add_u32 s28, s22, s28
	s_addc_u32 s14, s23, s29
	s_and_b32 s29, s14, 0xffff
	v_lshlrev_b32_e32 v38, 5, v0
	buffer_load_dwordx4 v[4:7], v38, s[28:31], 16 offen
	buffer_load_dwordx4 v[8:11], v38, s[28:31], 0 offen
	s_load_dwordx2 s[22:23], s[4:5], 0x20
	s_waitcnt vmcnt(5)
	v_cvt_f32_u32_sdwa v19, v86 dst_sel:DWORD dst_unused:UNUSED_PAD src0_sel:WORD_1
	v_cvt_f32_u32_sdwa v18, v86 dst_sel:DWORD dst_unused:UNUSED_PAD src0_sel:WORD_0
	v_cvt_f32_u32_sdwa v21, v87 dst_sel:DWORD dst_unused:UNUSED_PAD src0_sel:WORD_1
	v_cvt_f32_u32_sdwa v20, v87 dst_sel:DWORD dst_unused:UNUSED_PAD src0_sel:WORD_0
	;; [unrolled: 2-line block ×4, first 2 shown]
	s_waitcnt vmcnt(4)
	v_cvt_f32_u32_sdwa v3, v90 dst_sel:DWORD dst_unused:UNUSED_PAD src0_sel:WORD_1
	v_cvt_f32_u32_sdwa v2, v90 dst_sel:DWORD dst_unused:UNUSED_PAD src0_sel:WORD_0
	v_cvt_f32_u32_sdwa v13, v91 dst_sel:DWORD dst_unused:UNUSED_PAD src0_sel:WORD_1
	v_cvt_f32_u32_sdwa v12, v91 dst_sel:DWORD dst_unused:UNUSED_PAD src0_sel:WORD_0
	;; [unrolled: 2-line block ×3, first 2 shown]
	v_cvt_f32_u32_sdwa v16, v93 dst_sel:DWORD dst_unused:UNUSED_PAD src0_sel:WORD_0
	v_cvt_f32_u32_sdwa v17, v93 dst_sel:DWORD dst_unused:UNUSED_PAD src0_sel:WORD_1
	s_mul_hi_i32 s29, s35, s6
	s_mul_i32 s28, s35, s6
	s_lshl_b64 s[28:29], s[28:29], 1
	s_waitcnt lgkmcnt(0)
	s_add_u32 s28, s22, s28
	s_mov_b32 s14, 0x7060302
	s_addc_u32 s17, s23, s29
	s_and_b32 s29, s17, 0xffff
	s_waitcnt vmcnt(1)
	v_cvt_f32_u32_sdwa v27, v4 dst_sel:DWORD dst_unused:UNUSED_PAD src0_sel:WORD_1
	v_cvt_f32_u32_sdwa v26, v4 dst_sel:DWORD dst_unused:UNUSED_PAD src0_sel:WORD_0
	v_cvt_f32_u32_sdwa v29, v5 dst_sel:DWORD dst_unused:UNUSED_PAD src0_sel:WORD_1
	v_cvt_f32_u32_sdwa v28, v5 dst_sel:DWORD dst_unused:UNUSED_PAD src0_sel:WORD_0
	;; [unrolled: 2-line block ×3, first 2 shown]
	v_cvt_f32_u32_sdwa v34, v7 dst_sel:DWORD dst_unused:UNUSED_PAD src0_sel:WORD_0
	v_cvt_f32_u32_sdwa v35, v7 dst_sel:DWORD dst_unused:UNUSED_PAD src0_sel:WORD_1
	s_waitcnt vmcnt(0)
	v_cvt_f32_u32_sdwa v37, v8 dst_sel:DWORD dst_unused:UNUSED_PAD src0_sel:WORD_1
	v_cvt_f32_u32_sdwa v36, v8 dst_sel:DWORD dst_unused:UNUSED_PAD src0_sel:WORD_0
	v_cvt_f32_u32_sdwa v5, v10 dst_sel:DWORD dst_unused:UNUSED_PAD src0_sel:WORD_1
	v_cvt_f32_u32_sdwa v4, v10 dst_sel:DWORD dst_unused:UNUSED_PAD src0_sel:WORD_0
	;; [unrolled: 2-line block ×4, first 2 shown]
	v_pk_add_f32 v[50:51], v[22:23], v[4:5]
	v_pk_add_f32 v[32:33], v[24:25], v[6:7]
	;; [unrolled: 1-line block ×4, first 2 shown]
	v_perm_b32 v7, v33, v32, s14
	v_perm_b32 v6, v51, v50, s14
	;; [unrolled: 1-line block ×4, first 2 shown]
	v_pk_add_f32 v[94:95], v[16:17], v[34:35]
	v_pk_add_f32 v[14:15], v[14:15], v[30:31]
	;; [unrolled: 1-line block ×4, first 2 shown]
	buffer_store_dwordx4 v[4:7], v38, s[28:31], 0 offen
	;;#ASMSTART
	s_nop 0
	;;#ASMEND
	s_nop 0
	v_perm_b32 v7, v95, v94, s14
	v_perm_b32 v6, v15, v14, s14
	;; [unrolled: 1-line block ×4, first 2 shown]
	buffer_store_dwordx4 v[4:7], v38, s[28:31], 16 offen
	;;#ASMSTART
	s_nop 0
	;;#ASMEND
.LBB726_10:
	s_or_b64 exec, exec, s[2:3]
.LBB726_11:
	v_mul_f32_e32 v2, v63, v63
	v_fmac_f32_e32 v2, v62, v62
	v_fmac_f32_e32 v2, v24, v24
	;; [unrolled: 1-line block ×15, first 2 shown]
	s_nop 1
	v_mov_b32_dpp v3, v2 quad_perm:[1,0,3,2] row_mask:0xf bank_mask:0xf
	v_add_f32_e32 v2, v2, v3
	s_nop 1
	v_mov_b32_dpp v3, v2 quad_perm:[2,3,0,1] row_mask:0xf bank_mask:0xf
	v_add_f32_e32 v2, v2, v3
	s_nop 1
	v_mov_b32_dpp v3, v2 row_half_mirror row_mask:0xf bank_mask:0xf
	v_add_f32_e32 v2, v2, v3
	s_nop 1
	v_mov_b32_dpp v3, v2 row_mirror row_mask:0xf bank_mask:0xf
	v_add_f32_e32 v2, v2, v3
	s_nop 1
	v_mov_b32_dpp v3, v2 row_bcast:15 row_mask:0xf bank_mask:0xf
	v_add_f32_e32 v2, v2, v3
	v_and_b32_e32 v3, 63, v0
	v_cmp_eq_u32_e64 s[2:3], 63, v3
	s_nop 0
	v_mov_b32_dpp v3, v2 row_bcast:31 row_mask:0xf bank_mask:0xf
	s_and_saveexec_b64 s[22:23], s[2:3]
	s_cbranch_execz .LBB726_13
; %bb.12:
	v_add_f32_e32 v2, v2, v3
	v_lshrrev_b32_e32 v3, 4, v0
	v_and_b32_e32 v3, 60, v3
	ds_write_b32 v3, v2 offset:8
.LBB726_13:
	s_or_b64 exec, exec, s[22:23]
	v_and_b32_e32 v2, 1, v0
	v_lshlrev_b32_e32 v34, 2, v2
	s_waitcnt lgkmcnt(0)
	s_barrier
	ds_read_b32 v3, v34 offset:8
	s_load_dwordx2 s[38:39], s[4:5], 0x18
	s_waitcnt lgkmcnt(0)
	v_mov_b32_dpp v4, v3 quad_perm:[1,0,3,2] row_mask:0xf bank_mask:0xf
	s_and_saveexec_b64 s[22:23], s[0:1]
	s_cbranch_execnz .LBB726_18
; %bb.14:
	s_or_b64 exec, exec, s[22:23]
	s_mov_b64 s[8:9], -1
	s_and_b64 vcc, exec, s[10:11]
	s_cbranch_vccnz .LBB726_19
.LBB726_15:
	s_andn2_b64 vcc, exec, s[8:9]
	s_cbranch_vccz .LBB726_22
.LBB726_16:
	s_cmp_lt_i32 s16, 1
	s_cbranch_scc0 .LBB726_29
.LBB726_17:
	s_endpgm
.LBB726_18:
	v_add_f32_e32 v3, v3, v4
	v_cvt_f32_u32_e32 v4, s7
	s_mov_b32 s7, 0x800000
	s_waitcnt vmcnt(1)
	v_cvt_f32_u32_sdwa v21, v82 dst_sel:DWORD dst_unused:UNUSED_PAD src0_sel:WORD_1
	v_cvt_f32_u32_sdwa v20, v82 dst_sel:DWORD dst_unused:UNUSED_PAD src0_sel:WORD_0
	v_div_scale_f32 v5, s[28:29], v4, v4, v3
	v_rcp_f32_e32 v6, v5
	v_cvt_f32_u32_sdwa v23, v83 dst_sel:DWORD dst_unused:UNUSED_PAD src0_sel:WORD_1
	v_cvt_f32_u32_sdwa v22, v83 dst_sel:DWORD dst_unused:UNUSED_PAD src0_sel:WORD_0
	s_waitcnt vmcnt(0)
	v_cvt_f32_u32_sdwa v27, v80 dst_sel:DWORD dst_unused:UNUSED_PAD src0_sel:WORD_1
	v_fma_f32 v7, -v5, v6, 1.0
	v_fmac_f32_e32 v6, v7, v6
	v_div_scale_f32 v7, vcc, v3, v4, v3
	v_mul_f32_e32 v8, v7, v6
	v_fma_f32 v9, -v5, v8, v7
	v_fmac_f32_e32 v8, v9, v6
	v_fma_f32 v5, -v5, v8, v7
	v_div_fmas_f32 v5, v5, v6, v8
	v_div_fixup_f32 v3, v5, v4, v3
	v_mov_b32_e32 v4, s13
	v_mov_b32_e32 v5, s12
	v_cndmask_b32_e64 v4, v4, v5, s[8:9]
	v_add_f32_e32 v3, v4, v3
	v_mul_f32_e32 v4, 0x4b800000, v3
	v_cmp_gt_f32_e32 vcc, s7, v3
	v_cndmask_b32_e32 v3, v3, v4, vcc
	v_rsq_f32_e32 v3, v3
	v_cvt_f32_u32_sdwa v26, v80 dst_sel:DWORD dst_unused:UNUSED_PAD src0_sel:WORD_0
	v_cvt_f32_u32_sdwa v29, v81 dst_sel:DWORD dst_unused:UNUSED_PAD src0_sel:WORD_1
	v_cvt_f32_u32_sdwa v28, v81 dst_sel:DWORD dst_unused:UNUSED_PAD src0_sel:WORD_0
	v_mul_f32_e32 v4, 0x45800000, v3
	v_cndmask_b32_e32 v4, v3, v4, vcc
	v_mov_b32_e32 v5, v4
	;;#ASMSTART
	v_pk_mul_f32 v[6:7], v[62:63], v[4:5]
	;;#ASMEND
	;;#ASMSTART
	v_pk_mul_f32 v[8:9], v[24:25], v[4:5]
	;;#ASMEND
	;; [unrolled: 3-line block ×10, first 2 shown]
	v_cvt_f32_u32_sdwa v7, v84 dst_sel:DWORD dst_unused:UNUSED_PAD src0_sel:WORD_1
	v_cvt_f32_u32_sdwa v6, v84 dst_sel:DWORD dst_unused:UNUSED_PAD src0_sel:WORD_0
	v_cvt_f32_u32_sdwa v9, v85 dst_sel:DWORD dst_unused:UNUSED_PAD src0_sel:WORD_1
	v_cvt_f32_u32_sdwa v8, v85 dst_sel:DWORD dst_unused:UNUSED_PAD src0_sel:WORD_0
	;; [unrolled: 2-line block ×4, first 2 shown]
	;;#ASMSTART
	v_pk_mul_f32 v[50:51], v[10:11], v[6:7]
	;;#ASMEND
	;;#ASMSTART
	v_pk_mul_f32 v[32:33], v[12:13], v[8:9]
	;;#ASMEND
	;; [unrolled: 3-line block ×6, first 2 shown]
	s_or_b64 exec, exec, s[22:23]
	s_mov_b64 s[8:9], -1
	s_and_b64 vcc, exec, s[10:11]
	s_cbranch_vccz .LBB726_15
.LBB726_19:
	s_and_saveexec_b64 s[8:9], s[0:1]
	s_cbranch_execz .LBB726_21
; %bb.20:
	s_mul_hi_i32 s11, s34, s6
	s_mul_i32 s10, s34, s6
	s_lshl_b64 s[10:11], s[10:11], 1
	s_add_u32 s28, s38, s10
	s_addc_u32 s7, s39, s11
	s_and_b32 s29, s7, 0xffff
	s_mov_b32 s7, 0x7060302
	s_mov_b32 s31, 0x20000
	v_perm_b32 v7, v33, v32, s7
	v_perm_b32 v6, v51, v50, s7
	;; [unrolled: 1-line block ×4, first 2 shown]
	v_lshlrev_b32_e32 v3, 5, v0
	buffer_store_dwordx4 v[4:7], v3, s[28:31], 0 offen
	;;#ASMSTART
	s_nop 0
	;;#ASMEND
	s_nop 0
	v_perm_b32 v7, v95, v94, s7
	v_perm_b32 v6, v15, v14, s7
	;; [unrolled: 1-line block ×4, first 2 shown]
	buffer_store_dwordx4 v[4:7], v3, s[28:31], 16 offen
	;;#ASMSTART
	s_nop 0
	;;#ASMEND
.LBB726_21:
	s_or_b64 exec, exec, s[8:9]
	s_cbranch_execnz .LBB726_16
.LBB726_22:
	v_mov_b32_e32 v3, 0
	s_and_saveexec_b64 s[8:9], s[0:1]
	s_cbranch_execz .LBB726_24
; %bb.23:
	v_and_b32_e32 v3, 0x7fffffff, v62
	v_and_b32_e32 v4, 0x7fffffff, v63
	v_mov_b32_e32 v5, 0x2edbe6ff
	;;#ASMSTART
	v_max3_f32 v3, v5, v3, v4

	;;#ASMEND
	v_and_b32_e32 v4, 0x7fffffff, v24
	v_and_b32_e32 v5, 0x7fffffff, v25
	;;#ASMSTART
	v_max3_f32 v3, v3, v4, v5

	;;#ASMEND
	v_and_b32_e32 v4, 0x7fffffff, v50
	v_and_b32_e32 v5, 0x7fffffff, v51
	;; [unrolled: 6-line block ×7, first 2 shown]
	;;#ASMSTART
	v_max3_f32 v3, v3, v4, v5

	;;#ASMEND
.LBB726_24:
	s_or_b64 exec, exec, s[8:9]
	v_cmp_eq_u32_e32 vcc, 0, v2
	v_cmp_gt_i32_e64 s[8:9], s15, v1
	;;#ASMSTART
	v_max_f32 v4, v3, v3 quad_perm:[1,0,3,2] row_mask:0xf bank_mask:0xf bound_ctrl:1
	;;#ASMEND
	v_mul_f32_e32 v3, 0x3b124925, v4
	s_and_b64 s[10:11], vcc, s[8:9]
	s_and_saveexec_b64 s[8:9], s[10:11]
	s_cbranch_execz .LBB726_26
; %bb.25:
	s_load_dwordx2 s[10:11], s[4:5], 0x8
	s_mul_hi_i32 s23, s25, s6
	s_mul_i32 s22, s25, s6
	v_lshrrev_b32_e32 v2, 1, v0
	s_lshl_b64 s[22:23], s[22:23], 2
	v_mad_i64_i32 v[4:5], s[26:27], s26, v2, 0
	s_waitcnt lgkmcnt(0)
	s_add_u32 s7, s10, s22
	s_addc_u32 s10, s11, s23
	v_lshlrev_b64 v[4:5], 2, v[4:5]
	v_mov_b32_e32 v2, s10
	v_add_co_u32_e32 v4, vcc, s7, v4
	v_addc_co_u32_e32 v5, vcc, v2, v5, vcc
	global_store_dword v[4:5], v3, off
.LBB726_26:
	s_or_b64 exec, exec, s[8:9]
	;;#ASMSTART
	v_rcp_f32 v2, v3
	;;#ASMEND
	s_and_saveexec_b64 s[22:23], s[0:1]
	s_cbranch_execz .LBB726_28
; %bb.27:
	v_mov_b32_e32 v3, v2
	;;#ASMSTART
	v_pk_mul_f32 v[4:5], v[62:63], v[2:3]
	;;#ASMEND
	v_mov_b32_e32 v10, 0xc3e00000
	v_mov_b32_e32 v11, 0x43e00000
	;;#ASMSTART
	v_med3_f32 v4, v4, v10, v11
v_med3_f32 v5, v5, v10, v11
v_cvt_pk_fp8_f32 v6, v4, v5
	;;#ASMEND
	;;#ASMSTART
	v_pk_mul_f32 v[4:5], v[24:25], v[2:3]
	;;#ASMEND
	;;#ASMSTART
	v_med3_f32 v4, v4, v10, v11
v_med3_f32 v5, v5, v10, v11
v_cvt_pk_fp8_f32 v7, v4, v5
	;;#ASMEND
	;;#ASMSTART
	v_pk_mul_f32 v[4:5], v[50:51], v[2:3]
	;;#ASMEND
	;; [unrolled: 8-line block ×3, first 2 shown]
	;;#ASMSTART
	v_med3_f32 v4, v4, v10, v11
v_med3_f32 v5, v5, v10, v11
v_cvt_pk_fp8_f32 v9, v4, v5
	;;#ASMEND
	s_mov_b32 s0, 0x5040100
	v_perm_b32 v4, v7, v6, s0
	s_mov_b32 s0, 0x1060504
	v_perm_b32 v4, v4, v7, s0
	s_load_dwordx2 s[0:1], s[4:5], 0x0
	s_mov_b32 s7, 0x1000504
	;;#ASMSTART
	v_pk_mul_f32 v[6:7], v[42:43], v[2:3]
	;;#ASMEND
	v_perm_b32 v5, v8, v9, s7
	s_mul_i32 s8, s24, s6
	;;#ASMSTART
	v_med3_f32 v6, v6, v10, v11
v_med3_f32 v7, v7, v10, v11
v_cvt_pk_fp8_f32 v8, v6, v7
	;;#ASMEND
	s_mul_hi_i32 s9, s24, s6
	s_waitcnt lgkmcnt(0)
	s_add_u32 s8, s0, s8
	;;#ASMSTART
	v_pk_mul_f32 v[6:7], v[18:19], v[2:3]
	;;#ASMEND
	s_addc_u32 s0, s1, s9
	s_add_i32 s1, s15, 3
	;;#ASMSTART
	v_med3_f32 v6, v6, v10, v11
v_med3_f32 v7, v7, v10, v11
v_cvt_pk_fp8_f32 v9, v6, v7
	;;#ASMEND
	s_ashr_i32 s9, s1, 31
	v_perm_b32 v6, v8, v9, s7
	;;#ASMSTART
	v_pk_mul_f32 v[8:9], v[14:15], v[2:3]
	;;#ASMEND
	v_mov_b32_e32 v7, v9
	s_lshr_b32 s9, s9, 30
	;;#ASMSTART
	v_med3_f32 v8, v8, v10, v11
v_med3_f32 v7, v7, v10, v11
v_cvt_pk_fp8_f32 v9, v8, v7
	;;#ASMEND
	;;#ASMSTART
	v_pk_mul_f32 v[2:3], v[94:95], v[2:3]
	;;#ASMEND
	s_add_i32 s1, s1, s9
	;;#ASMSTART
	v_med3_f32 v2, v2, v10, v11
v_med3_f32 v3, v3, v10, v11
v_cvt_pk_fp8_f32 v7, v2, v3
	;;#ASMEND
	s_and_b32 s10, s1, -4
	s_and_b32 s9, s0, 0xffff
	s_mov_b32 s11, 0x20000
	v_perm_b32 v7, v9, v7, s7
	buffer_store_dwordx4 v[4:7], v1, s[8:11], 0 offen
	;;#ASMSTART
	s_nop 0
	;;#ASMEND
.LBB726_28:
	s_or_b64 exec, exec, s[22:23]
	s_cmp_lt_i32 s16, 1
	s_cbranch_scc1 .LBB726_17
.LBB726_29:
	s_load_dword s0, s[4:5], 0x94
	s_waitcnt lgkmcnt(0)
	s_cmp_lg_u32 s0, 1
	s_cbranch_scc1 .LBB726_17
; %bb.30:
	s_lshl_b32 s0, s16, 1
	s_add_i32 s0, s0, 2
	v_cmp_gt_u32_e32 vcc, s16, v1
	s_and_b32 s22, s0, -4
	v_mov_b32_e32 v18, 0
	v_lshlrev_b32_e32 v1, 5, v0
	v_mov_b32_e32 v14, 0
	v_mov_b32_e32 v15, 0
	;; [unrolled: 1-line block ×16, first 2 shown]
	s_barrier
	s_and_saveexec_b64 s[0:1], vcc
	s_cbranch_execz .LBB726_32
; %bb.31:
	s_mul_hi_i32 s5, s18, s6
	s_mul_i32 s4, s18, s6
	s_and_b32 s21, s21, 0xffff
	s_lshl_b64 s[4:5], s[4:5], 1
	s_add_u32 s8, s36, s4
	s_mov_b32 s23, 0x20000
	s_addc_u32 s4, s37, s5
	s_and_b32 s9, s4, 0xffff
	s_mov_b32 s10, s22
	s_mov_b32 s11, s23
	buffer_load_dwordx4 v[14:17], v1, s[8:11], 0 offen
	buffer_load_dwordx4 v[10:13], v1, s[8:11], 16 offen
	;; [unrolled: 1-line block ×4, first 2 shown]
.LBB726_32:
	s_or_b64 exec, exec, s[0:1]
	v_mov_b32_e32 v19, 0
	v_mov_b32_e32 v32, 0
	;; [unrolled: 1-line block ×15, first 2 shown]
	s_and_saveexec_b64 s[0:1], vcc
	s_cbranch_execz .LBB726_34
; %bb.33:
	s_waitcnt vmcnt(3)
	v_cvt_f32_u32_sdwa v18, v14 dst_sel:DWORD dst_unused:UNUSED_PAD src0_sel:WORD_0
	v_cvt_f32_u32_sdwa v19, v14 dst_sel:DWORD dst_unused:UNUSED_PAD src0_sel:WORD_1
	v_cvt_f32_u32_sdwa v32, v15 dst_sel:DWORD dst_unused:UNUSED_PAD src0_sel:WORD_0
	v_cvt_f32_u32_sdwa v33, v15 dst_sel:DWORD dst_unused:UNUSED_PAD src0_sel:WORD_1
	;; [unrolled: 2-line block ×4, first 2 shown]
	s_waitcnt vmcnt(2)
	v_cvt_f32_u32_sdwa v26, v10 dst_sel:DWORD dst_unused:UNUSED_PAD src0_sel:WORD_0
	v_cvt_f32_u32_sdwa v27, v10 dst_sel:DWORD dst_unused:UNUSED_PAD src0_sel:WORD_1
	v_cvt_f32_u32_sdwa v24, v11 dst_sel:DWORD dst_unused:UNUSED_PAD src0_sel:WORD_0
	v_cvt_f32_u32_sdwa v25, v11 dst_sel:DWORD dst_unused:UNUSED_PAD src0_sel:WORD_1
	;; [unrolled: 2-line block ×4, first 2 shown]
.LBB726_34:
	s_or_b64 exec, exec, s[0:1]
	s_waitcnt vmcnt(2)
	v_mul_f32_e32 v10, v19, v19
	v_fmac_f32_e32 v10, v18, v18
	v_fmac_f32_e32 v10, v32, v32
	;; [unrolled: 1-line block ×15, first 2 shown]
	s_nop 1
	v_mov_b32_dpp v11, v10 quad_perm:[1,0,3,2] row_mask:0xf bank_mask:0xf
	v_add_f32_e32 v10, v10, v11
	s_nop 1
	v_mov_b32_dpp v11, v10 quad_perm:[2,3,0,1] row_mask:0xf bank_mask:0xf
	v_add_f32_e32 v10, v10, v11
	s_nop 1
	v_mov_b32_dpp v11, v10 row_half_mirror row_mask:0xf bank_mask:0xf
	v_add_f32_e32 v10, v10, v11
	s_nop 1
	v_mov_b32_dpp v11, v10 row_mirror row_mask:0xf bank_mask:0xf
	v_add_f32_e32 v10, v10, v11
	s_nop 1
	v_mov_b32_dpp v11, v10 row_bcast:15 row_mask:0xf bank_mask:0xf
	v_add_f32_e32 v10, v10, v11
	s_nop 1
	v_mov_b32_dpp v11, v10 row_bcast:31 row_mask:0xf bank_mask:0xf
	s_and_saveexec_b64 s[0:1], s[2:3]
	s_cbranch_execz .LBB726_36
; %bb.35:
	v_lshrrev_b32_e32 v0, 4, v0
	v_add_f32_e32 v10, v10, v11
	v_and_b32_e32 v0, 60, v0
	ds_write_b32 v0, v10
.LBB726_36:
	s_or_b64 exec, exec, s[0:1]
	s_waitcnt lgkmcnt(0)
	s_barrier
	ds_read_b32 v0, v34
	s_waitcnt lgkmcnt(0)
	s_nop 0
	v_mov_b32_dpp v10, v0 quad_perm:[1,0,3,2] row_mask:0xf bank_mask:0xf
	s_and_saveexec_b64 s[0:1], vcc
	s_cbranch_execz .LBB726_17
; %bb.37:
	v_cvt_f32_u32_e32 v11, s16
	v_add_f32_e32 v0, v0, v10
	s_mov_b32 s23, 0x20000
	v_div_scale_f32 v10, s[0:1], v11, v11, v0
	v_rcp_f32_e32 v12, v10
	v_div_scale_f32 v13, vcc, v0, v11, v0
	s_mov_b32 s0, 0x800000
	v_fma_f32 v14, -v10, v12, 1.0
	v_fmac_f32_e32 v12, v14, v12
	v_mul_f32_e32 v14, v13, v12
	v_fma_f32 v15, -v10, v14, v13
	v_fmac_f32_e32 v14, v15, v12
	v_fma_f32 v10, -v10, v14, v13
	v_div_fmas_f32 v10, v10, v12, v14
	v_div_fixup_f32 v0, v10, v11, v0
	v_add_f32_e32 v0, s13, v0
	v_mul_f32_e32 v10, 0x4b800000, v0
	v_cmp_gt_f32_e32 vcc, s0, v0
	v_cndmask_b32_e32 v0, v0, v10, vcc
	v_rsq_f32_e32 v0, v0
	s_mul_hi_i32 s1, s34, s6
	s_mul_i32 s0, s34, s6
	s_lshl_b64 s[0:1], s[0:1], 1
	v_mul_f32_e32 v10, 0x45800000, v0
	v_cndmask_b32_e32 v10, v0, v10, vcc
	v_mov_b32_e32 v11, v10
	s_add_u32 s20, s38, s0
	;;#ASMSTART
	v_pk_mul_f32 v[12:13], v[18:19], v[10:11]
	;;#ASMEND
	;;#ASMSTART
	v_pk_mul_f32 v[14:15], v[32:33], v[10:11]
	;;#ASMEND
	;; [unrolled: 3-line block ×8, first 2 shown]
	s_waitcnt vmcnt(1)
	v_cvt_f32_u32_sdwa v21, v6 dst_sel:DWORD dst_unused:UNUSED_PAD src0_sel:WORD_1
	v_cvt_f32_u32_sdwa v20, v6 dst_sel:DWORD dst_unused:UNUSED_PAD src0_sel:WORD_0
	v_cvt_f32_u32_sdwa v29, v7 dst_sel:DWORD dst_unused:UNUSED_PAD src0_sel:WORD_1
	v_cvt_f32_u32_sdwa v28, v7 dst_sel:DWORD dst_unused:UNUSED_PAD src0_sel:WORD_0
	;; [unrolled: 2-line block ×3, first 2 shown]
	s_addc_u32 s0, s39, s1
	v_cvt_f32_u32_sdwa v31, v9 dst_sel:DWORD dst_unused:UNUSED_PAD src0_sel:WORD_1
	v_cvt_f32_u32_sdwa v30, v9 dst_sel:DWORD dst_unused:UNUSED_PAD src0_sel:WORD_0
	;;#ASMSTART
	v_pk_mul_f32 v[8:9], v[12:13], v[20:21]
	;;#ASMEND
	;;#ASMSTART
	v_pk_mul_f32 v[12:13], v[14:15], v[28:29]
	;;#ASMEND
	;; [unrolled: 3-line block ×4, first 2 shown]
	s_waitcnt vmcnt(0)
	v_cvt_f32_u32_sdwa v17, v2 dst_sel:DWORD dst_unused:UNUSED_PAD src0_sel:WORD_1
	v_cvt_f32_u32_sdwa v16, v2 dst_sel:DWORD dst_unused:UNUSED_PAD src0_sel:WORD_0
	v_cvt_f32_u32_sdwa v19, v3 dst_sel:DWORD dst_unused:UNUSED_PAD src0_sel:WORD_1
	v_cvt_f32_u32_sdwa v18, v3 dst_sel:DWORD dst_unused:UNUSED_PAD src0_sel:WORD_0
	;; [unrolled: 2-line block ×3, first 2 shown]
	s_and_b32 s21, s0, 0xffff
	s_mov_b32 s0, 0x7060302
	v_cvt_f32_u32_sdwa v21, v5 dst_sel:DWORD dst_unused:UNUSED_PAD src0_sel:WORD_1
	v_cvt_f32_u32_sdwa v20, v5 dst_sel:DWORD dst_unused:UNUSED_PAD src0_sel:WORD_0
	;;#ASMSTART
	v_pk_mul_f32 v[16:17], v[26:27], v[16:17]
	;;#ASMEND
	;;#ASMSTART
	v_pk_mul_f32 v[18:19], v[24:25], v[18:19]
	;;#ASMEND
	;; [unrolled: 3-line block ×3, first 2 shown]
	v_perm_b32 v2, v9, v8, s0
	v_perm_b32 v3, v13, v12, s0
	;; [unrolled: 1-line block ×4, first 2 shown]
	;;#ASMSTART
	v_pk_mul_f32 v[10:11], v[10:11], v[20:21]
	;;#ASMEND
	buffer_store_dwordx4 v[2:5], v1, s[20:23], 0 offen
	;;#ASMSTART
	s_nop 0
	;;#ASMEND
	s_nop 0
	v_perm_b32 v2, v17, v16, s0
	v_perm_b32 v3, v19, v18, s0
	;; [unrolled: 1-line block ×4, first 2 shown]
	buffer_store_dwordx4 v[2:5], v1, s[20:23], 16 offen
	;;#ASMSTART
	s_nop 0
	;;#ASMEND
	s_endpgm
	.section	.rodata,"a",@progbits
	.p2align	6, 0x0
	.amdhsa_kernel _ZN5aiter35fused_qk_rmsnorm_group_quant_kernelItDB8_Li128ELi16ELi2ELb1ELb0ELb0ELb0ELb0ELb0EEEvPT0_PvPT_S6_S6_PKS5_S8_S8_S8_S8_ffiiiiiiiiiiiii
		.amdhsa_group_segment_fixed_size 16
		.amdhsa_private_segment_fixed_size 0
		.amdhsa_kernarg_size 400
		.amdhsa_user_sgpr_count 6
		.amdhsa_user_sgpr_private_segment_buffer 1
		.amdhsa_user_sgpr_dispatch_ptr 0
		.amdhsa_user_sgpr_queue_ptr 0
		.amdhsa_user_sgpr_kernarg_segment_ptr 1
		.amdhsa_user_sgpr_dispatch_id 0
		.amdhsa_user_sgpr_flat_scratch_init 0
		.amdhsa_user_sgpr_kernarg_preload_length 0
		.amdhsa_user_sgpr_kernarg_preload_offset 0
		.amdhsa_user_sgpr_private_segment_size 0
		.amdhsa_uses_dynamic_stack 0
		.amdhsa_system_sgpr_private_segment_wavefront_offset 0
		.amdhsa_system_sgpr_workgroup_id_x 1
		.amdhsa_system_sgpr_workgroup_id_y 1
		.amdhsa_system_sgpr_workgroup_id_z 0
		.amdhsa_system_sgpr_workgroup_info 0
		.amdhsa_system_vgpr_workitem_id 0
		.amdhsa_next_free_vgpr 96
		.amdhsa_next_free_sgpr 44
		.amdhsa_accum_offset 96
		.amdhsa_reserve_vcc 1
		.amdhsa_reserve_flat_scratch 0
		.amdhsa_float_round_mode_32 0
		.amdhsa_float_round_mode_16_64 0
		.amdhsa_float_denorm_mode_32 3
		.amdhsa_float_denorm_mode_16_64 3
		.amdhsa_dx10_clamp 1
		.amdhsa_ieee_mode 1
		.amdhsa_fp16_overflow 0
		.amdhsa_tg_split 0
		.amdhsa_exception_fp_ieee_invalid_op 0
		.amdhsa_exception_fp_denorm_src 0
		.amdhsa_exception_fp_ieee_div_zero 0
		.amdhsa_exception_fp_ieee_overflow 0
		.amdhsa_exception_fp_ieee_underflow 0
		.amdhsa_exception_fp_ieee_inexact 0
		.amdhsa_exception_int_div_zero 0
	.end_amdhsa_kernel
	.section	.text._ZN5aiter35fused_qk_rmsnorm_group_quant_kernelItDB8_Li128ELi16ELi2ELb1ELb0ELb0ELb0ELb0ELb0EEEvPT0_PvPT_S6_S6_PKS5_S8_S8_S8_S8_ffiiiiiiiiiiiii,"axG",@progbits,_ZN5aiter35fused_qk_rmsnorm_group_quant_kernelItDB8_Li128ELi16ELi2ELb1ELb0ELb0ELb0ELb0ELb0EEEvPT0_PvPT_S6_S6_PKS5_S8_S8_S8_S8_ffiiiiiiiiiiiii,comdat
.Lfunc_end726:
	.size	_ZN5aiter35fused_qk_rmsnorm_group_quant_kernelItDB8_Li128ELi16ELi2ELb1ELb0ELb0ELb0ELb0ELb0EEEvPT0_PvPT_S6_S6_PKS5_S8_S8_S8_S8_ffiiiiiiiiiiiii, .Lfunc_end726-_ZN5aiter35fused_qk_rmsnorm_group_quant_kernelItDB8_Li128ELi16ELi2ELb1ELb0ELb0ELb0ELb0ELb0EEEvPT0_PvPT_S6_S6_PKS5_S8_S8_S8_S8_ffiiiiiiiiiiiii
                                        ; -- End function
	.section	.AMDGPU.csdata,"",@progbits
; Kernel info:
; codeLenInByte = 4024
; NumSgprs: 48
; NumVgprs: 96
; NumAgprs: 0
; TotalNumVgprs: 96
; ScratchSize: 0
; MemoryBound: 0
; FloatMode: 240
; IeeeMode: 1
; LDSByteSize: 16 bytes/workgroup (compile time only)
; SGPRBlocks: 5
; VGPRBlocks: 11
; NumSGPRsForWavesPerEU: 48
; NumVGPRsForWavesPerEU: 96
; AccumOffset: 96
; Occupancy: 5
; WaveLimiterHint : 0
; COMPUTE_PGM_RSRC2:SCRATCH_EN: 0
; COMPUTE_PGM_RSRC2:USER_SGPR: 6
; COMPUTE_PGM_RSRC2:TRAP_HANDLER: 0
; COMPUTE_PGM_RSRC2:TGID_X_EN: 1
; COMPUTE_PGM_RSRC2:TGID_Y_EN: 1
; COMPUTE_PGM_RSRC2:TGID_Z_EN: 0
; COMPUTE_PGM_RSRC2:TIDIG_COMP_CNT: 0
; COMPUTE_PGM_RSRC3_GFX90A:ACCUM_OFFSET: 23
; COMPUTE_PGM_RSRC3_GFX90A:TG_SPLIT: 0
	.section	.text._ZN5aiter35fused_qk_rmsnorm_group_quant_kernelIDF16_N4opus5fp4_tELi128ELi16ELi2ELb1ELb0ELb0ELb0ELb0ELb0EEEvPT0_PvPT_S7_S7_PKS6_S9_S9_S9_S9_ffiiiiiiiiiiiii,"axG",@progbits,_ZN5aiter35fused_qk_rmsnorm_group_quant_kernelIDF16_N4opus5fp4_tELi128ELi16ELi2ELb1ELb0ELb0ELb0ELb0ELb0EEEvPT0_PvPT_S7_S7_PKS6_S9_S9_S9_S9_ffiiiiiiiiiiiii,comdat
	.protected	_ZN5aiter35fused_qk_rmsnorm_group_quant_kernelIDF16_N4opus5fp4_tELi128ELi16ELi2ELb1ELb0ELb0ELb0ELb0ELb0EEEvPT0_PvPT_S7_S7_PKS6_S9_S9_S9_S9_ffiiiiiiiiiiiii ; -- Begin function _ZN5aiter35fused_qk_rmsnorm_group_quant_kernelIDF16_N4opus5fp4_tELi128ELi16ELi2ELb1ELb0ELb0ELb0ELb0ELb0EEEvPT0_PvPT_S7_S7_PKS6_S9_S9_S9_S9_ffiiiiiiiiiiiii
	.globl	_ZN5aiter35fused_qk_rmsnorm_group_quant_kernelIDF16_N4opus5fp4_tELi128ELi16ELi2ELb1ELb0ELb0ELb0ELb0ELb0EEEvPT0_PvPT_S7_S7_PKS6_S9_S9_S9_S9_ffiiiiiiiiiiiii
	.p2align	8
	.type	_ZN5aiter35fused_qk_rmsnorm_group_quant_kernelIDF16_N4opus5fp4_tELi128ELi16ELi2ELb1ELb0ELb0ELb0ELb0ELb0EEEvPT0_PvPT_S7_S7_PKS6_S9_S9_S9_S9_ffiiiiiiiiiiiii,@function
_ZN5aiter35fused_qk_rmsnorm_group_quant_kernelIDF16_N4opus5fp4_tELi128ELi16ELi2ELb1ELb0ELb0ELb0ELb0ELb0EEEvPT0_PvPT_S7_S7_PKS6_S9_S9_S9_S9_ffiiiiiiiiiiiii: ; @_ZN5aiter35fused_qk_rmsnorm_group_quant_kernelIDF16_N4opus5fp4_tELi128ELi16ELi2ELb1ELb0ELb0ELb0ELb0ELb0EEEvPT0_PvPT_S7_S7_PKS6_S9_S9_S9_S9_ffiiiiiiiiiiiii
; %bb.0:
	s_load_dwordx8 s[12:19], s[4:5], 0x50
	s_waitcnt lgkmcnt(0)
	s_cmp_ge_i32 s6, s14
	s_cbranch_scc1 .LBB727_17
; %bb.1:
	s_cmp_lg_u32 s7, 0
	s_cselect_b64 s[22:23], -1, 0
	s_cmp_eq_u32 s7, 0
	s_cselect_b64 s[2:3], -1, 0
	s_and_b64 s[0:1], s[2:3], exec
	s_load_dwordx2 s[20:21], s[4:5], 0x48
	s_load_dwordx2 s[34:35], s[4:5], 0x30
	s_load_dwordx4 s[24:27], s[4:5], 0x70
	s_cselect_b32 s7, s15, s16
	s_add_i32 s0, s7, 1
	s_lshr_b32 s1, s0, 31
	s_add_i32 s0, s0, s1
	s_lshl_b32 s0, s0, 1
	v_lshlrev_b32_e32 v1, 4, v0
	s_and_b32 s30, s0, -4
	v_cmp_gt_i32_e64 s[0:1], s7, v1
	v_mov_b32_e32 v6, 0
	v_mov_b32_e32 v7, 0
	;; [unrolled: 1-line block ×16, first 2 shown]
	s_and_saveexec_b64 s[8:9], s[0:1]
	s_cbranch_execz .LBB727_3
; %bb.2:
	s_load_dwordx2 s[10:11], s[4:5], 0x28
	s_load_dwordx2 s[28:29], s[4:5], 0x40
	s_and_b64 s[36:37], s[2:3], exec
	s_cselect_b32 s14, s17, s18
	s_mov_b32 s31, 0x20000
	s_waitcnt lgkmcnt(0)
	s_cselect_b32 s17, s11, s35
	s_cselect_b32 s27, s10, s34
	s_mul_hi_i32 s11, s14, s6
	s_mul_i32 s10, s14, s6
	s_lshl_b64 s[10:11], s[10:11], 1
	s_add_u32 s36, s27, s10
	s_addc_u32 s14, s17, s11
	s_and_b64 s[10:11], s[2:3], exec
	s_cselect_b32 s28, s28, s20
	s_cselect_b32 s10, s29, s21
	s_and_b32 s37, s14, 0xffff
	s_mov_b32 s38, s30
	s_mov_b32 s39, s31
	v_lshlrev_b32_e32 v18, 5, v0
	s_and_b32 s29, s10, 0xffff
	buffer_load_dwordx4 v[10:13], v18, s[36:39], 0 offen
	buffer_load_dwordx4 v[14:17], v18, s[36:39], 16 offen
	;; [unrolled: 1-line block ×4, first 2 shown]
.LBB727_3:
	s_or_b64 exec, exec, s[8:9]
	s_load_dwordx2 s[10:11], s[4:5], 0x80
	s_and_b64 vcc, exec, s[22:23]
	s_cbranch_vccz .LBB727_7
; %bb.4:
	v_mov_b32_e32 v19, 0
	v_mov_b32_e32 v18, 0
	;; [unrolled: 1-line block ×16, first 2 shown]
	s_and_saveexec_b64 s[8:9], s[0:1]
	s_cbranch_execz .LBB727_6
; %bb.5:
	s_waitcnt vmcnt(3)
	v_cvt_f32_f16_sdwa v33, v10 dst_sel:DWORD dst_unused:UNUSED_PAD src0_sel:WORD_1
	v_cvt_f32_f16_e32 v32, v10
	v_cvt_f32_f16_sdwa v31, v11 dst_sel:DWORD dst_unused:UNUSED_PAD src0_sel:WORD_1
	v_cvt_f32_f16_e32 v30, v11
	;; [unrolled: 2-line block ×4, first 2 shown]
	s_waitcnt vmcnt(2)
	v_cvt_f32_f16_sdwa v27, v14 dst_sel:DWORD dst_unused:UNUSED_PAD src0_sel:WORD_1
	v_cvt_f32_f16_e32 v26, v14
	v_cvt_f32_f16_sdwa v23, v15 dst_sel:DWORD dst_unused:UNUSED_PAD src0_sel:WORD_1
	v_cvt_f32_f16_e32 v22, v15
	;; [unrolled: 2-line block ×4, first 2 shown]
.LBB727_6:
	s_or_b64 exec, exec, s[8:9]
	s_cbranch_execz .LBB727_8
	s_branch .LBB727_11
.LBB727_7:
                                        ; implicit-def: $vgpr19
                                        ; implicit-def: $vgpr21
                                        ; implicit-def: $vgpr23
                                        ; implicit-def: $vgpr27
                                        ; implicit-def: $vgpr25
                                        ; implicit-def: $vgpr29
                                        ; implicit-def: $vgpr31
                                        ; implicit-def: $vgpr33
.LBB727_8:
	v_mov_b32_e32 v19, 0
	v_mov_b32_e32 v18, 0
	;; [unrolled: 1-line block ×16, first 2 shown]
	s_and_saveexec_b64 s[8:9], s[0:1]
	s_cbranch_execz .LBB727_10
; %bb.9:
	s_load_dwordx2 s[28:29], s[4:5], 0x38
	s_mul_hi_i32 s37, s19, s6
	s_mul_i32 s36, s19, s6
	s_lshl_b64 s[36:37], s[36:37], 1
	s_mov_b32 s31, 0x20000
	s_waitcnt lgkmcnt(0)
	s_add_u32 s28, s28, s36
	s_addc_u32 s14, s29, s37
	s_and_b32 s29, s14, 0xffff
	v_lshlrev_b32_e32 v46, 5, v0
	buffer_load_dwordx4 v[18:21], v46, s[28:31], 16 offen
	buffer_load_dwordx4 v[22:25], v46, s[28:31], 0 offen
	s_waitcnt vmcnt(4)
	v_cvt_f32_f16_sdwa v27, v14 dst_sel:DWORD dst_unused:UNUSED_PAD src0_sel:WORD_1
	v_cvt_f32_f16_e32 v26, v14
	v_cvt_f32_f16_sdwa v29, v15 dst_sel:DWORD dst_unused:UNUSED_PAD src0_sel:WORD_1
	v_cvt_f32_f16_e32 v28, v15
	;; [unrolled: 2-line block ×8, first 2 shown]
	s_load_dwordx2 s[28:29], s[4:5], 0x20
	s_mul_hi_i32 s37, s11, s6
	s_mul_i32 s36, s11, s6
	s_lshl_b64 s[36:37], s[36:37], 1
	s_waitcnt lgkmcnt(0)
	s_add_u32 s28, s28, s36
	s_addc_u32 s11, s29, s37
	s_and_b32 s29, s11, 0xffff
	s_waitcnt vmcnt(1)
	v_cvt_f32_f16_e32 v12, v18
	v_cvt_f32_f16_sdwa v13, v18 dst_sel:DWORD dst_unused:UNUSED_PAD src0_sel:WORD_1
	v_cvt_f32_f16_e32 v18, v19
	v_cvt_f32_f16_sdwa v19, v19 dst_sel:DWORD dst_unused:UNUSED_PAD src0_sel:WORD_1
	;; [unrolled: 2-line block ×4, first 2 shown]
	s_waitcnt vmcnt(0)
	v_cvt_f32_f16_e32 v40, v22
	v_cvt_f32_f16_sdwa v41, v22 dst_sel:DWORD dst_unused:UNUSED_PAD src0_sel:WORD_1
	v_cvt_f32_f16_e32 v42, v23
	v_cvt_f32_f16_sdwa v43, v23 dst_sel:DWORD dst_unused:UNUSED_PAD src0_sel:WORD_1
	;; [unrolled: 2-line block ×4, first 2 shown]
	v_pk_add_f32 v[26:27], v[26:27], v[12:13]
	v_pk_add_f32 v[22:23], v[28:29], v[18:19]
	;; [unrolled: 1-line block ×8, first 2 shown]
	v_cvt_f16_f32_e32 v10, v33
	v_cvt_f16_f32_e32 v14, v32
	;; [unrolled: 1-line block ×16, first 2 shown]
	v_pack_b32_f16 v13, v17, v13
	v_pack_b32_f16 v12, v16, v12
	;; [unrolled: 1-line block ×8, first 2 shown]
	buffer_store_dwordx4 v[10:13], v46, s[28:31], 0 offen
	;;#ASMSTART
	s_nop 0
	;;#ASMEND
	buffer_store_dwordx4 v[14:17], v46, s[28:31], 16 offen
	;;#ASMSTART
	s_nop 0
	;;#ASMEND
.LBB727_10:
	s_or_b64 exec, exec, s[8:9]
.LBB727_11:
	s_waitcnt vmcnt(3)
	v_mul_f32_e32 v10, v33, v33
	v_fmac_f32_e32 v10, v32, v32
	v_fmac_f32_e32 v10, v30, v30
	;; [unrolled: 1-line block ×15, first 2 shown]
	v_and_b32_e32 v12, 63, v0
	v_cmp_eq_u32_e64 s[8:9], 63, v12
	v_mov_b32_dpp v11, v10 quad_perm:[1,0,3,2] row_mask:0xf bank_mask:0xf
	v_add_f32_e32 v10, v10, v11
	s_nop 1
	v_mov_b32_dpp v11, v10 quad_perm:[2,3,0,1] row_mask:0xf bank_mask:0xf
	v_add_f32_e32 v10, v10, v11
	s_nop 1
	v_mov_b32_dpp v11, v10 row_half_mirror row_mask:0xf bank_mask:0xf
	v_add_f32_e32 v10, v10, v11
	s_nop 1
	v_mov_b32_dpp v11, v10 row_mirror row_mask:0xf bank_mask:0xf
	v_add_f32_e32 v10, v10, v11
	s_nop 1
	v_mov_b32_dpp v11, v10 row_bcast:15 row_mask:0xf bank_mask:0xf
	v_add_f32_e32 v10, v10, v11
	s_nop 1
	v_mov_b32_dpp v11, v10 row_bcast:31 row_mask:0xf bank_mask:0xf
	s_and_saveexec_b64 s[28:29], s[8:9]
	s_cbranch_execz .LBB727_13
; %bb.12:
	v_add_f32_e32 v10, v10, v11
	v_lshrrev_b32_e32 v11, 4, v0
	v_and_b32_e32 v11, 60, v11
	ds_write_b32 v11, v10 offset:8
.LBB727_13:
	s_or_b64 exec, exec, s[28:29]
	v_and_b32_e32 v10, 1, v0
	v_lshlrev_b32_e32 v34, 2, v10
	s_waitcnt lgkmcnt(0)
	s_barrier
	ds_read_b32 v11, v34 offset:8
	s_load_dwordx2 s[36:37], s[4:5], 0x18
	s_waitcnt lgkmcnt(0)
	v_mov_b32_dpp v12, v11 quad_perm:[1,0,3,2] row_mask:0xf bank_mask:0xf
	s_and_saveexec_b64 s[28:29], s[0:1]
	s_cbranch_execnz .LBB727_18
; %bb.14:
	s_or_b64 exec, exec, s[28:29]
	s_mov_b64 s[2:3], -1
	s_and_b64 vcc, exec, s[22:23]
	s_cbranch_vccnz .LBB727_19
.LBB727_15:
	s_andn2_b64 vcc, exec, s[2:3]
	s_cbranch_vccz .LBB727_22
.LBB727_16:
	s_cmp_lt_i32 s16, 1
	s_cbranch_scc0 .LBB727_29
.LBB727_17:
	s_endpgm
.LBB727_18:
	v_cvt_f32_u32_e32 v13, s7
	v_add_f32_e32 v11, v11, v12
	s_waitcnt vmcnt(2)
	v_mov_b32_e32 v15, s13
	v_mov_b32_e32 v16, s12
	v_div_scale_f32 v12, s[38:39], v13, v13, v11
	v_rcp_f32_e32 v14, v12
	v_cndmask_b32_e64 v15, v15, v16, s[2:3]
	s_mov_b32 s2, 0x800000
	s_waitcnt vmcnt(1)
	v_cvt_f32_f16_sdwa v37, v9 dst_sel:DWORD dst_unused:UNUSED_PAD src0_sel:WORD_1
	v_fma_f32 v16, -v12, v14, 1.0
	v_fmac_f32_e32 v14, v16, v14
	v_div_scale_f32 v16, vcc, v11, v13, v11
	v_mul_f32_e32 v17, v16, v14
	v_fma_f32 v35, -v12, v17, v16
	v_fmac_f32_e32 v17, v35, v14
	v_fma_f32 v12, -v12, v17, v16
	v_div_fmas_f32 v12, v12, v14, v17
	v_div_fixup_f32 v11, v12, v13, v11
	v_add_f32_e32 v11, v15, v11
	v_mul_f32_e32 v12, 0x4b800000, v11
	v_cmp_gt_f32_e32 vcc, s2, v11
	v_cndmask_b32_e32 v11, v11, v12, vcc
	v_rsq_f32_e32 v11, v11
	v_cvt_f32_f16_e32 v36, v9
	s_waitcnt vmcnt(0)
	v_cvt_f32_f16_sdwa v9, v3 dst_sel:DWORD dst_unused:UNUSED_PAD src0_sel:WORD_1
	v_mul_f32_e32 v12, 0x45800000, v11
	v_cndmask_b32_e32 v12, v11, v12, vcc
	v_mov_b32_e32 v13, v12
	;;#ASMSTART
	v_pk_mul_f32 v[14:15], v[32:33], v[12:13]
	;;#ASMEND
	;;#ASMSTART
	v_pk_mul_f32 v[16:17], v[30:31], v[12:13]
	;;#ASMEND
	;; [unrolled: 3-line block ×8, first 2 shown]
	v_cvt_f32_f16_sdwa v19, v6 dst_sel:DWORD dst_unused:UNUSED_PAD src0_sel:WORD_1
	v_cvt_f32_f16_e32 v18, v6
	v_cvt_f32_f16_sdwa v31, v7 dst_sel:DWORD dst_unused:UNUSED_PAD src0_sel:WORD_1
	v_cvt_f32_f16_e32 v30, v7
	;; [unrolled: 2-line block ×3, first 2 shown]
	;;#ASMSTART
	v_pk_mul_f32 v[32:33], v[14:15], v[18:19]
	;;#ASMEND
	;;#ASMSTART
	v_pk_mul_f32 v[30:31], v[16:17], v[30:31]
	;;#ASMEND
	;; [unrolled: 3-line block ×4, first 2 shown]
	v_cvt_f32_f16_sdwa v7, v2 dst_sel:DWORD dst_unused:UNUSED_PAD src0_sel:WORD_1
	v_cvt_f32_f16_e32 v6, v2
	v_cvt_f32_f16_e32 v8, v3
	v_cvt_f32_f16_sdwa v3, v4 dst_sel:DWORD dst_unused:UNUSED_PAD src0_sel:WORD_1
	v_cvt_f32_f16_e32 v2, v4
	v_cvt_f32_f16_sdwa v15, v5 dst_sel:DWORD dst_unused:UNUSED_PAD src0_sel:WORD_1
	v_cvt_f32_f16_e32 v14, v5
	;;#ASMSTART
	v_pk_mul_f32 v[26:27], v[26:27], v[6:7]
	;;#ASMEND
	;;#ASMSTART
	v_pk_mul_f32 v[22:23], v[22:23], v[8:9]
	;;#ASMEND
	;; [unrolled: 3-line block ×4, first 2 shown]
	s_or_b64 exec, exec, s[28:29]
	s_mov_b64 s[2:3], -1
	s_and_b64 vcc, exec, s[22:23]
	s_cbranch_vccz .LBB727_15
.LBB727_19:
	s_and_saveexec_b64 s[2:3], s[0:1]
	s_cbranch_execz .LBB727_21
; %bb.20:
	s_mul_hi_i32 s23, s10, s6
	s_mul_i32 s22, s10, s6
	s_waitcnt vmcnt(0)
	v_cvt_f16_f32_e32 v2, v32
	v_cvt_f16_f32_e32 v3, v30
	v_cvt_f16_f32_e32 v4, v28
	v_cvt_f16_f32_e32 v5, v24
	v_cvt_f16_f32_e32 v6, v25
	v_cvt_f16_f32_e32 v7, v29
	v_cvt_f16_f32_e32 v8, v31
	v_cvt_f16_f32_e32 v9, v33
	s_lshl_b64 s[22:23], s[22:23], 1
	s_add_u32 s28, s36, s22
	s_addc_u32 s7, s37, s23
	s_and_b32 s29, s7, 0xffff
	s_mov_b32 s31, 0x20000
	v_pack_b32_f16 v5, v5, v6
	v_pack_b32_f16 v4, v4, v7
	;; [unrolled: 1-line block ×4, first 2 shown]
	v_lshlrev_b32_e32 v6, 5, v0
	buffer_store_dwordx4 v[2:5], v6, s[28:31], 0 offen
	v_cvt_f16_f32_e32 v7, v19
	v_cvt_f16_f32_e32 v2, v26
	;; [unrolled: 1-line block ×8, first 2 shown]
	v_pack_b32_f16 v5, v5, v7
	v_pack_b32_f16 v4, v4, v8
	;; [unrolled: 1-line block ×4, first 2 shown]
	;;#ASMSTART
	s_nop 0
	;;#ASMEND
	buffer_store_dwordx4 v[2:5], v6, s[28:31], 16 offen
	;;#ASMSTART
	s_nop 0
	;;#ASMEND
.LBB727_21:
	s_or_b64 exec, exec, s[2:3]
	s_cbranch_execnz .LBB727_16
.LBB727_22:
	s_waitcnt vmcnt(0)
	v_mov_b32_e32 v2, 0
	s_and_saveexec_b64 s[2:3], s[0:1]
	s_cbranch_execz .LBB727_24
; %bb.23:
	v_and_b32_e32 v2, 0x7fffffff, v32
	v_and_b32_e32 v3, 0x7fffffff, v33
	v_mov_b32_e32 v4, 0x2edbe6ff
	;;#ASMSTART
	v_max3_f32 v2, v4, v2, v3

	;;#ASMEND
	v_and_b32_e32 v3, 0x7fffffff, v30
	v_and_b32_e32 v4, 0x7fffffff, v31
	;;#ASMSTART
	v_max3_f32 v2, v2, v3, v4

	;;#ASMEND
	v_and_b32_e32 v3, 0x7fffffff, v28
	v_and_b32_e32 v4, 0x7fffffff, v29
	;; [unrolled: 6-line block ×7, first 2 shown]
	;;#ASMSTART
	v_max3_f32 v2, v2, v3, v4

	;;#ASMEND
.LBB727_24:
	s_or_b64 exec, exec, s[2:3]
	v_cmp_eq_u32_e32 vcc, 0, v10
	v_cmp_gt_i32_e64 s[2:3], s15, v1
	s_and_b64 s[22:23], vcc, s[2:3]
	;;#ASMSTART
	v_max_f32 v3, v2, v2 quad_perm:[1,0,3,2] row_mask:0xf bank_mask:0xf bound_ctrl:1
	;;#ASMEND
	s_and_saveexec_b64 s[2:3], s[22:23]
	s_cbranch_execz .LBB727_26
; %bb.25:
	s_load_dwordx2 s[22:23], s[4:5], 0x8
	v_mul_f32_e32 v2, 0x3e2aaaab, v3
	v_lshrrev_b32_e32 v3, 23, v2
	v_and_b32_e32 v4, 0x7f800000, v2
	v_and_b32_e32 v2, 0x7fffff, v2
	v_cmp_ne_u32_e32 vcc, 0, v2
	s_mul_i32 s12, s25, s6
	s_mov_b32 s7, 0x7f800000
	v_addc_co_u32_e32 v2, vcc, 0, v3, vcc
	s_mul_hi_i32 s11, s25, s6
	s_waitcnt lgkmcnt(0)
	s_add_u32 s22, s22, s12
	v_cmp_ne_u32_e32 vcc, s7, v4
	s_addc_u32 s23, s23, s11
	v_lshrrev_b32_e32 v5, 1, v0
	v_cndmask_b32_e32 v4, -1, v2, vcc
	v_pk_mov_b32 v[2:3], s[22:23], s[22:23] op_sel:[0,1]
	v_mad_i64_i32 v[2:3], s[22:23], s26, v5, v[2:3]
	global_store_byte v[2:3], v4, off
.LBB727_26:
	s_or_b64 exec, exec, s[2:3]
	s_and_saveexec_b64 s[2:3], s[0:1]
	s_cbranch_execz .LBB727_28
; %bb.27:
	s_load_dwordx2 s[0:1], s[4:5], 0x0
	s_mul_i32 s11, s24, s6
	s_mul_hi_i32 s7, s24, s6
	v_mov_b32_e32 v2, 0
	v_lshlrev_b32_e32 v4, 3, v0
	s_waitcnt lgkmcnt(0)
	s_add_u32 s24, s0, s11
	s_addc_u32 s0, s1, s7
	s_lshr_b32 s1, s15, 31
	s_add_i32 s1, s15, s1
	s_ashr_i32 s1, s1, 1
	s_add_i32 s1, s1, 3
	s_ashr_i32 s7, s1, 31
	s_lshr_b32 s7, s7, 30
	s_add_i32 s1, s1, s7
	s_and_b32 s26, s1, -4
	s_and_b32 s25, s0, 0xffff
	s_mov_b32 s27, 0x20000
	v_mov_b32_e32 v3, v2
	buffer_store_dwordx2 v[2:3], v4, s[24:27], 0 offen
	;;#ASMSTART
	s_nop 0
	;;#ASMEND
.LBB727_28:
	s_or_b64 exec, exec, s[2:3]
	s_cmp_lt_i32 s16, 1
	s_cbranch_scc1 .LBB727_17
.LBB727_29:
	s_load_dword s0, s[4:5], 0x94
	s_waitcnt lgkmcnt(0)
	s_cmp_lg_u32 s0, 1
	s_cbranch_scc1 .LBB727_17
; %bb.30:
	s_lshl_b32 s0, s16, 1
	s_add_i32 s0, s0, 2
	v_cmp_gt_u32_e32 vcc, s16, v1
	s_and_b32 s22, s0, -4
	v_mov_b32_e32 v18, 0
	v_lshlrev_b32_e32 v1, 5, v0
	s_waitcnt vmcnt(2)
	v_mov_b32_e32 v14, 0
	v_mov_b32_e32 v15, 0
	v_mov_b32_e32 v16, 0
	v_mov_b32_e32 v17, 0
	v_mov_b32_e32 v10, 0
	v_mov_b32_e32 v11, 0
	v_mov_b32_e32 v12, 0
	v_mov_b32_e32 v13, 0
	s_waitcnt vmcnt(1)
	v_mov_b32_e32 v6, 0
	v_mov_b32_e32 v7, 0
	;; [unrolled: 1-line block ×4, first 2 shown]
	s_waitcnt vmcnt(0)
	v_mov_b32_e32 v2, 0
	v_mov_b32_e32 v3, 0
	;; [unrolled: 1-line block ×4, first 2 shown]
	s_barrier
	s_and_saveexec_b64 s[0:1], vcc
	s_cbranch_execz .LBB727_32
; %bb.31:
	s_mul_hi_i32 s3, s18, s6
	s_mul_i32 s2, s18, s6
	s_and_b32 s21, s21, 0xffff
	s_lshl_b64 s[2:3], s[2:3], 1
	s_add_u32 s24, s34, s2
	s_mov_b32 s23, 0x20000
	s_addc_u32 s2, s35, s3
	s_and_b32 s25, s2, 0xffff
	s_mov_b32 s26, s22
	s_mov_b32 s27, s23
	buffer_load_dwordx4 v[14:17], v1, s[24:27], 0 offen
	buffer_load_dwordx4 v[10:13], v1, s[24:27], 16 offen
	;; [unrolled: 1-line block ×4, first 2 shown]
.LBB727_32:
	s_or_b64 exec, exec, s[0:1]
	v_mov_b32_e32 v19, 0
	v_mov_b32_e32 v32, 0
	;; [unrolled: 1-line block ×15, first 2 shown]
	s_and_saveexec_b64 s[0:1], vcc
	s_cbranch_execz .LBB727_34
; %bb.33:
	s_waitcnt vmcnt(3)
	v_cvt_f32_f16_sdwa v19, v14 dst_sel:DWORD dst_unused:UNUSED_PAD src0_sel:WORD_1
	v_cvt_f32_f16_e32 v18, v14
	v_cvt_f32_f16_sdwa v33, v15 dst_sel:DWORD dst_unused:UNUSED_PAD src0_sel:WORD_1
	v_cvt_f32_f16_e32 v32, v15
	v_cvt_f32_f16_sdwa v31, v16 dst_sel:DWORD dst_unused:UNUSED_PAD src0_sel:WORD_1
	v_cvt_f32_f16_e32 v30, v16
	v_cvt_f32_f16_sdwa v29, v17 dst_sel:DWORD dst_unused:UNUSED_PAD src0_sel:WORD_1
	v_cvt_f32_f16_e32 v28, v17
	s_waitcnt vmcnt(2)
	v_cvt_f32_f16_sdwa v27, v10 dst_sel:DWORD dst_unused:UNUSED_PAD src0_sel:WORD_1
	v_cvt_f32_f16_e32 v26, v10
	v_cvt_f32_f16_sdwa v25, v11 dst_sel:DWORD dst_unused:UNUSED_PAD src0_sel:WORD_1
	v_cvt_f32_f16_e32 v24, v11
	;; [unrolled: 2-line block ×4, first 2 shown]
.LBB727_34:
	s_or_b64 exec, exec, s[0:1]
	s_waitcnt vmcnt(2)
	v_mul_f32_e32 v10, v19, v19
	v_fmac_f32_e32 v10, v18, v18
	v_fmac_f32_e32 v10, v32, v32
	;; [unrolled: 1-line block ×15, first 2 shown]
	s_nop 1
	v_mov_b32_dpp v11, v10 quad_perm:[1,0,3,2] row_mask:0xf bank_mask:0xf
	v_add_f32_e32 v10, v10, v11
	s_nop 1
	v_mov_b32_dpp v11, v10 quad_perm:[2,3,0,1] row_mask:0xf bank_mask:0xf
	v_add_f32_e32 v10, v10, v11
	s_nop 1
	v_mov_b32_dpp v11, v10 row_half_mirror row_mask:0xf bank_mask:0xf
	v_add_f32_e32 v10, v10, v11
	s_nop 1
	v_mov_b32_dpp v11, v10 row_mirror row_mask:0xf bank_mask:0xf
	v_add_f32_e32 v10, v10, v11
	s_nop 1
	v_mov_b32_dpp v11, v10 row_bcast:15 row_mask:0xf bank_mask:0xf
	v_add_f32_e32 v10, v10, v11
	s_nop 1
	v_mov_b32_dpp v11, v10 row_bcast:31 row_mask:0xf bank_mask:0xf
	s_and_saveexec_b64 s[0:1], s[8:9]
	s_cbranch_execz .LBB727_36
; %bb.35:
	v_lshrrev_b32_e32 v0, 4, v0
	v_add_f32_e32 v10, v10, v11
	v_and_b32_e32 v0, 60, v0
	ds_write_b32 v0, v10
.LBB727_36:
	s_or_b64 exec, exec, s[0:1]
	s_waitcnt lgkmcnt(0)
	s_barrier
	ds_read_b32 v0, v34
	s_waitcnt lgkmcnt(0)
	s_nop 0
	v_mov_b32_dpp v10, v0 quad_perm:[1,0,3,2] row_mask:0xf bank_mask:0xf
	s_and_saveexec_b64 s[0:1], vcc
	s_cbranch_execz .LBB727_17
; %bb.37:
	v_cvt_f32_u32_e32 v11, s16
	v_add_f32_e32 v0, v0, v10
	s_mov_b32 s23, 0x20000
	v_div_scale_f32 v10, s[0:1], v11, v11, v0
	v_rcp_f32_e32 v12, v10
	v_div_scale_f32 v13, vcc, v0, v11, v0
	s_mov_b32 s0, 0x800000
	v_fma_f32 v14, -v10, v12, 1.0
	v_fmac_f32_e32 v12, v14, v12
	v_mul_f32_e32 v14, v13, v12
	v_fma_f32 v15, -v10, v14, v13
	v_fmac_f32_e32 v14, v15, v12
	v_fma_f32 v10, -v10, v14, v13
	v_div_fmas_f32 v10, v10, v12, v14
	v_div_fixup_f32 v0, v10, v11, v0
	v_add_f32_e32 v0, s13, v0
	v_mul_f32_e32 v10, 0x4b800000, v0
	v_cmp_gt_f32_e32 vcc, s0, v0
	v_cndmask_b32_e32 v0, v0, v10, vcc
	v_rsq_f32_e32 v0, v0
	s_mul_hi_i32 s1, s10, s6
	s_mul_i32 s0, s10, s6
	s_lshl_b64 s[0:1], s[0:1], 1
	v_mul_f32_e32 v10, 0x45800000, v0
	v_cndmask_b32_e32 v10, v0, v10, vcc
	v_mov_b32_e32 v11, v10
	;;#ASMSTART
	v_pk_mul_f32 v[12:13], v[18:19], v[10:11]
	;;#ASMEND
	;;#ASMSTART
	v_pk_mul_f32 v[14:15], v[32:33], v[10:11]
	;;#ASMEND
	;; [unrolled: 3-line block ×8, first 2 shown]
	s_waitcnt vmcnt(1)
	v_cvt_f32_f16_sdwa v21, v6 dst_sel:DWORD dst_unused:UNUSED_PAD src0_sel:WORD_1
	v_cvt_f32_f16_e32 v20, v6
	v_cvt_f32_f16_sdwa v29, v7 dst_sel:DWORD dst_unused:UNUSED_PAD src0_sel:WORD_1
	v_cvt_f32_f16_e32 v28, v7
	;; [unrolled: 2-line block ×4, first 2 shown]
	;;#ASMSTART
	v_pk_mul_f32 v[8:9], v[12:13], v[20:21]
	;;#ASMEND
	;;#ASMSTART
	v_pk_mul_f32 v[12:13], v[14:15], v[28:29]
	;;#ASMEND
	;; [unrolled: 3-line block ×4, first 2 shown]
	s_waitcnt vmcnt(0)
	v_cvt_f32_f16_sdwa v17, v2 dst_sel:DWORD dst_unused:UNUSED_PAD src0_sel:WORD_1
	v_cvt_f32_f16_e32 v16, v2
	v_cvt_f32_f16_sdwa v19, v3 dst_sel:DWORD dst_unused:UNUSED_PAD src0_sel:WORD_1
	v_cvt_f32_f16_e32 v18, v3
	v_cvt_f32_f16_sdwa v3, v4 dst_sel:DWORD dst_unused:UNUSED_PAD src0_sel:WORD_1
	v_cvt_f32_f16_e32 v2, v4
	v_cvt_f32_f16_sdwa v21, v5 dst_sel:DWORD dst_unused:UNUSED_PAD src0_sel:WORD_1
	v_cvt_f32_f16_e32 v20, v5
	;;#ASMSTART
	v_pk_mul_f32 v[16:17], v[26:27], v[16:17]
	;;#ASMEND
	;;#ASMSTART
	v_pk_mul_f32 v[18:19], v[24:25], v[18:19]
	;;#ASMEND
	;; [unrolled: 3-line block ×3, first 2 shown]
	v_cvt_f16_f32_e32 v0, v8
	v_cvt_f16_f32_e32 v2, v9
	;; [unrolled: 1-line block ×8, first 2 shown]
	s_add_u32 s20, s36, s0
	s_addc_u32 s0, s37, s1
	s_and_b32 s21, s0, 0xffff
	v_pack_b32_f16 v2, v0, v2
	v_pack_b32_f16 v3, v3, v4
	;; [unrolled: 1-line block ×4, first 2 shown]
	;;#ASMSTART
	v_pk_mul_f32 v[10:11], v[10:11], v[20:21]
	;;#ASMEND
	buffer_store_dwordx4 v[2:5], v1, s[20:23], 0 offen
	v_cvt_f16_f32_e32 v0, v16
	v_cvt_f16_f32_e32 v2, v17
	;; [unrolled: 1-line block ×8, first 2 shown]
	v_pack_b32_f16 v2, v0, v2
	v_pack_b32_f16 v3, v3, v4
	;; [unrolled: 1-line block ×4, first 2 shown]
	;;#ASMSTART
	s_nop 0
	;;#ASMEND
	buffer_store_dwordx4 v[2:5], v1, s[20:23], 16 offen
	;;#ASMSTART
	s_nop 0
	;;#ASMEND
	s_endpgm
	.section	.rodata,"a",@progbits
	.p2align	6, 0x0
	.amdhsa_kernel _ZN5aiter35fused_qk_rmsnorm_group_quant_kernelIDF16_N4opus5fp4_tELi128ELi16ELi2ELb1ELb0ELb0ELb0ELb0ELb0EEEvPT0_PvPT_S7_S7_PKS6_S9_S9_S9_S9_ffiiiiiiiiiiiii
		.amdhsa_group_segment_fixed_size 16
		.amdhsa_private_segment_fixed_size 0
		.amdhsa_kernarg_size 400
		.amdhsa_user_sgpr_count 6
		.amdhsa_user_sgpr_private_segment_buffer 1
		.amdhsa_user_sgpr_dispatch_ptr 0
		.amdhsa_user_sgpr_queue_ptr 0
		.amdhsa_user_sgpr_kernarg_segment_ptr 1
		.amdhsa_user_sgpr_dispatch_id 0
		.amdhsa_user_sgpr_flat_scratch_init 0
		.amdhsa_user_sgpr_kernarg_preload_length 0
		.amdhsa_user_sgpr_kernarg_preload_offset 0
		.amdhsa_user_sgpr_private_segment_size 0
		.amdhsa_uses_dynamic_stack 0
		.amdhsa_system_sgpr_private_segment_wavefront_offset 0
		.amdhsa_system_sgpr_workgroup_id_x 1
		.amdhsa_system_sgpr_workgroup_id_y 1
		.amdhsa_system_sgpr_workgroup_id_z 0
		.amdhsa_system_sgpr_workgroup_info 0
		.amdhsa_system_vgpr_workitem_id 0
		.amdhsa_next_free_vgpr 47
		.amdhsa_next_free_sgpr 40
		.amdhsa_accum_offset 48
		.amdhsa_reserve_vcc 1
		.amdhsa_reserve_flat_scratch 0
		.amdhsa_float_round_mode_32 0
		.amdhsa_float_round_mode_16_64 0
		.amdhsa_float_denorm_mode_32 3
		.amdhsa_float_denorm_mode_16_64 3
		.amdhsa_dx10_clamp 1
		.amdhsa_ieee_mode 1
		.amdhsa_fp16_overflow 0
		.amdhsa_tg_split 0
		.amdhsa_exception_fp_ieee_invalid_op 0
		.amdhsa_exception_fp_denorm_src 0
		.amdhsa_exception_fp_ieee_div_zero 0
		.amdhsa_exception_fp_ieee_overflow 0
		.amdhsa_exception_fp_ieee_underflow 0
		.amdhsa_exception_fp_ieee_inexact 0
		.amdhsa_exception_int_div_zero 0
	.end_amdhsa_kernel
	.section	.text._ZN5aiter35fused_qk_rmsnorm_group_quant_kernelIDF16_N4opus5fp4_tELi128ELi16ELi2ELb1ELb0ELb0ELb0ELb0ELb0EEEvPT0_PvPT_S7_S7_PKS6_S9_S9_S9_S9_ffiiiiiiiiiiiii,"axG",@progbits,_ZN5aiter35fused_qk_rmsnorm_group_quant_kernelIDF16_N4opus5fp4_tELi128ELi16ELi2ELb1ELb0ELb0ELb0ELb0ELb0EEEvPT0_PvPT_S7_S7_PKS6_S9_S9_S9_S9_ffiiiiiiiiiiiii,comdat
.Lfunc_end727:
	.size	_ZN5aiter35fused_qk_rmsnorm_group_quant_kernelIDF16_N4opus5fp4_tELi128ELi16ELi2ELb1ELb0ELb0ELb0ELb0ELb0EEEvPT0_PvPT_S7_S7_PKS6_S9_S9_S9_S9_ffiiiiiiiiiiiii, .Lfunc_end727-_ZN5aiter35fused_qk_rmsnorm_group_quant_kernelIDF16_N4opus5fp4_tELi128ELi16ELi2ELb1ELb0ELb0ELb0ELb0ELb0EEEvPT0_PvPT_S7_S7_PKS6_S9_S9_S9_S9_ffiiiiiiiiiiiii
                                        ; -- End function
	.section	.AMDGPU.csdata,"",@progbits
; Kernel info:
; codeLenInByte = 3708
; NumSgprs: 44
; NumVgprs: 47
; NumAgprs: 0
; TotalNumVgprs: 47
; ScratchSize: 0
; MemoryBound: 0
; FloatMode: 240
; IeeeMode: 1
; LDSByteSize: 16 bytes/workgroup (compile time only)
; SGPRBlocks: 5
; VGPRBlocks: 5
; NumSGPRsForWavesPerEU: 44
; NumVGPRsForWavesPerEU: 47
; AccumOffset: 48
; Occupancy: 8
; WaveLimiterHint : 0
; COMPUTE_PGM_RSRC2:SCRATCH_EN: 0
; COMPUTE_PGM_RSRC2:USER_SGPR: 6
; COMPUTE_PGM_RSRC2:TRAP_HANDLER: 0
; COMPUTE_PGM_RSRC2:TGID_X_EN: 1
; COMPUTE_PGM_RSRC2:TGID_Y_EN: 1
; COMPUTE_PGM_RSRC2:TGID_Z_EN: 0
; COMPUTE_PGM_RSRC2:TIDIG_COMP_CNT: 0
; COMPUTE_PGM_RSRC3_GFX90A:ACCUM_OFFSET: 11
; COMPUTE_PGM_RSRC3_GFX90A:TG_SPLIT: 0
	.section	.text._ZN5aiter35fused_qk_rmsnorm_group_quant_kernelItN4opus5fp4_tELi128ELi16ELi2ELb1ELb0ELb0ELb0ELb0ELb0EEEvPT0_PvPT_S7_S7_PKS6_S9_S9_S9_S9_ffiiiiiiiiiiiii,"axG",@progbits,_ZN5aiter35fused_qk_rmsnorm_group_quant_kernelItN4opus5fp4_tELi128ELi16ELi2ELb1ELb0ELb0ELb0ELb0ELb0EEEvPT0_PvPT_S7_S7_PKS6_S9_S9_S9_S9_ffiiiiiiiiiiiii,comdat
	.protected	_ZN5aiter35fused_qk_rmsnorm_group_quant_kernelItN4opus5fp4_tELi128ELi16ELi2ELb1ELb0ELb0ELb0ELb0ELb0EEEvPT0_PvPT_S7_S7_PKS6_S9_S9_S9_S9_ffiiiiiiiiiiiii ; -- Begin function _ZN5aiter35fused_qk_rmsnorm_group_quant_kernelItN4opus5fp4_tELi128ELi16ELi2ELb1ELb0ELb0ELb0ELb0ELb0EEEvPT0_PvPT_S7_S7_PKS6_S9_S9_S9_S9_ffiiiiiiiiiiiii
	.globl	_ZN5aiter35fused_qk_rmsnorm_group_quant_kernelItN4opus5fp4_tELi128ELi16ELi2ELb1ELb0ELb0ELb0ELb0ELb0EEEvPT0_PvPT_S7_S7_PKS6_S9_S9_S9_S9_ffiiiiiiiiiiiii
	.p2align	8
	.type	_ZN5aiter35fused_qk_rmsnorm_group_quant_kernelItN4opus5fp4_tELi128ELi16ELi2ELb1ELb0ELb0ELb0ELb0ELb0EEEvPT0_PvPT_S7_S7_PKS6_S9_S9_S9_S9_ffiiiiiiiiiiiii,@function
_ZN5aiter35fused_qk_rmsnorm_group_quant_kernelItN4opus5fp4_tELi128ELi16ELi2ELb1ELb0ELb0ELb0ELb0ELb0EEEvPT0_PvPT_S7_S7_PKS6_S9_S9_S9_S9_ffiiiiiiiiiiiii: ; @_ZN5aiter35fused_qk_rmsnorm_group_quant_kernelItN4opus5fp4_tELi128ELi16ELi2ELb1ELb0ELb0ELb0ELb0ELb0EEEvPT0_PvPT_S7_S7_PKS6_S9_S9_S9_S9_ffiiiiiiiiiiiii
; %bb.0:
	s_load_dwordx8 s[12:19], s[4:5], 0x50
	s_waitcnt lgkmcnt(0)
	s_cmp_ge_i32 s6, s14
	s_cbranch_scc1 .LBB728_17
; %bb.1:
	s_cmp_lg_u32 s7, 0
	s_cselect_b64 s[22:23], -1, 0
	s_cmp_eq_u32 s7, 0
	s_cselect_b64 s[2:3], -1, 0
	s_and_b64 s[0:1], s[2:3], exec
	s_load_dwordx2 s[20:21], s[4:5], 0x48
	s_load_dwordx2 s[34:35], s[4:5], 0x30
	s_load_dwordx4 s[24:27], s[4:5], 0x70
	s_cselect_b32 s7, s15, s16
	s_add_i32 s0, s7, 1
	s_lshr_b32 s1, s0, 31
	s_add_i32 s0, s0, s1
	s_lshl_b32 s0, s0, 1
	v_lshlrev_b32_e32 v1, 4, v0
	s_and_b32 s30, s0, -4
	v_cmp_gt_i32_e64 s[0:1], s7, v1
	v_mov_b32_e32 v80, 0
	v_mov_b32_e32 v81, 0
	;; [unrolled: 1-line block ×16, first 2 shown]
	s_and_saveexec_b64 s[8:9], s[0:1]
	s_cbranch_execz .LBB728_3
; %bb.2:
	s_load_dwordx2 s[10:11], s[4:5], 0x28
	s_load_dwordx2 s[28:29], s[4:5], 0x40
	s_and_b64 s[36:37], s[2:3], exec
	s_cselect_b32 s14, s17, s18
	s_mov_b32 s31, 0x20000
	s_waitcnt lgkmcnt(0)
	s_cselect_b32 s17, s11, s35
	s_cselect_b32 s27, s10, s34
	s_mul_hi_i32 s11, s14, s6
	s_mul_i32 s10, s14, s6
	s_lshl_b64 s[10:11], s[10:11], 1
	s_add_u32 s36, s27, s10
	s_addc_u32 s14, s17, s11
	s_and_b64 s[10:11], s[2:3], exec
	s_cselect_b32 s28, s28, s20
	s_cselect_b32 s10, s29, s21
	s_and_b32 s37, s14, 0xffff
	s_mov_b32 s38, s30
	s_mov_b32 s39, s31
	v_lshlrev_b32_e32 v2, 5, v0
	s_and_b32 s29, s10, 0xffff
	buffer_load_dwordx4 v[84:87], v2, s[36:39], 0 offen
	buffer_load_dwordx4 v[88:91], v2, s[36:39], 16 offen
	;; [unrolled: 1-line block ×4, first 2 shown]
.LBB728_3:
	s_or_b64 exec, exec, s[8:9]
	s_load_dwordx2 s[10:11], s[4:5], 0x80
	s_and_b64 vcc, exec, s[22:23]
	s_cbranch_vccz .LBB728_7
; %bb.4:
	v_mov_b32_e32 v93, 0
	v_mov_b32_e32 v92, 0
	;; [unrolled: 1-line block ×16, first 2 shown]
	s_and_saveexec_b64 s[8:9], s[0:1]
	s_cbranch_execz .LBB728_6
; %bb.5:
	s_waitcnt vmcnt(3)
	v_cvt_f32_u32_sdwa v32, v84 dst_sel:DWORD dst_unused:UNUSED_PAD src0_sel:WORD_0
	v_cvt_f32_u32_sdwa v33, v84 dst_sel:DWORD dst_unused:UNUSED_PAD src0_sel:WORD_1
	v_cvt_f32_u32_sdwa v18, v85 dst_sel:DWORD dst_unused:UNUSED_PAD src0_sel:WORD_0
	v_cvt_f32_u32_sdwa v19, v85 dst_sel:DWORD dst_unused:UNUSED_PAD src0_sel:WORD_1
	;; [unrolled: 2-line block ×4, first 2 shown]
	s_waitcnt vmcnt(2)
	v_cvt_f32_u32_sdwa v68, v88 dst_sel:DWORD dst_unused:UNUSED_PAD src0_sel:WORD_0
	v_cvt_f32_u32_sdwa v69, v88 dst_sel:DWORD dst_unused:UNUSED_PAD src0_sel:WORD_1
	v_cvt_f32_u32_sdwa v62, v89 dst_sel:DWORD dst_unused:UNUSED_PAD src0_sel:WORD_0
	v_cvt_f32_u32_sdwa v63, v89 dst_sel:DWORD dst_unused:UNUSED_PAD src0_sel:WORD_1
	;; [unrolled: 2-line block ×4, first 2 shown]
.LBB728_6:
	s_or_b64 exec, exec, s[8:9]
	s_cbranch_execz .LBB728_8
	s_branch .LBB728_11
.LBB728_7:
                                        ; implicit-def: $vgpr32_vgpr33_vgpr34_vgpr35_vgpr36_vgpr37_vgpr38_vgpr39_vgpr40_vgpr41_vgpr42_vgpr43_vgpr44_vgpr45_vgpr46_vgpr47
                                        ; implicit-def: $vgpr46_vgpr47_vgpr48_vgpr49_vgpr50_vgpr51_vgpr52_vgpr53_vgpr54_vgpr55_vgpr56_vgpr57_vgpr58_vgpr59_vgpr60_vgpr61
                                        ; implicit-def: $vgpr16_vgpr17_vgpr18_vgpr19_vgpr20_vgpr21_vgpr22_vgpr23_vgpr24_vgpr25_vgpr26_vgpr27_vgpr28_vgpr29_vgpr30_vgpr31
                                        ; implicit-def: $vgpr93
                                        ; implicit-def: $vgpr2_vgpr3_vgpr4_vgpr5_vgpr6_vgpr7_vgpr8_vgpr9_vgpr10_vgpr11_vgpr12_vgpr13_vgpr14_vgpr15_vgpr16_vgpr17
                                        ; implicit-def: $vgpr60_vgpr61_vgpr62_vgpr63_vgpr64_vgpr65_vgpr66_vgpr67_vgpr68_vgpr69_vgpr70_vgpr71_vgpr72_vgpr73_vgpr74_vgpr75
                                        ; implicit-def: $vgpr34_vgpr35_vgpr36_vgpr37_vgpr38_vgpr39_vgpr40_vgpr41_vgpr42_vgpr43_vgpr44_vgpr45_vgpr46_vgpr47_vgpr48_vgpr49
                                        ; implicit-def: $vgpr52_vgpr53_vgpr54_vgpr55_vgpr56_vgpr57_vgpr58_vgpr59_vgpr60_vgpr61_vgpr62_vgpr63_vgpr64_vgpr65_vgpr66_vgpr67
.LBB728_8:
	v_mov_b32_e32 v93, 0
	v_mov_b32_e32 v92, 0
	;; [unrolled: 1-line block ×16, first 2 shown]
	s_and_saveexec_b64 s[8:9], s[0:1]
	s_cbranch_execz .LBB728_10
; %bb.9:
	s_load_dwordx2 s[28:29], s[4:5], 0x38
	s_mul_hi_i32 s37, s19, s6
	s_mul_i32 s36, s19, s6
	s_lshl_b64 s[36:37], s[36:37], 1
	s_mov_b32 s31, 0x20000
	s_waitcnt lgkmcnt(0)
	s_add_u32 s28, s28, s36
	s_addc_u32 s14, s29, s37
	s_and_b32 s29, s14, 0xffff
	v_lshlrev_b32_e32 v36, 5, v0
	buffer_load_dwordx4 v[4:7], v36, s[28:31], 16 offen
	buffer_load_dwordx4 v[8:11], v36, s[28:31], 0 offen
	s_load_dwordx2 s[28:29], s[4:5], 0x20
	s_waitcnt vmcnt(5)
	v_cvt_f32_u32_sdwa v21, v84 dst_sel:DWORD dst_unused:UNUSED_PAD src0_sel:WORD_1
	v_cvt_f32_u32_sdwa v20, v84 dst_sel:DWORD dst_unused:UNUSED_PAD src0_sel:WORD_0
	v_cvt_f32_u32_sdwa v19, v85 dst_sel:DWORD dst_unused:UNUSED_PAD src0_sel:WORD_1
	v_cvt_f32_u32_sdwa v18, v85 dst_sel:DWORD dst_unused:UNUSED_PAD src0_sel:WORD_0
	;; [unrolled: 2-line block ×4, first 2 shown]
	s_waitcnt vmcnt(4)
	v_cvt_f32_u32_sdwa v3, v88 dst_sel:DWORD dst_unused:UNUSED_PAD src0_sel:WORD_1
	v_cvt_f32_u32_sdwa v2, v88 dst_sel:DWORD dst_unused:UNUSED_PAD src0_sel:WORD_0
	v_cvt_f32_u32_sdwa v13, v89 dst_sel:DWORD dst_unused:UNUSED_PAD src0_sel:WORD_1
	v_cvt_f32_u32_sdwa v12, v89 dst_sel:DWORD dst_unused:UNUSED_PAD src0_sel:WORD_0
	v_cvt_f32_u32_sdwa v15, v90 dst_sel:DWORD dst_unused:UNUSED_PAD src0_sel:WORD_1
	v_cvt_f32_u32_sdwa v14, v90 dst_sel:DWORD dst_unused:UNUSED_PAD src0_sel:WORD_0
	v_cvt_f32_u32_sdwa v16, v91 dst_sel:DWORD dst_unused:UNUSED_PAD src0_sel:WORD_0
	v_cvt_f32_u32_sdwa v17, v91 dst_sel:DWORD dst_unused:UNUSED_PAD src0_sel:WORD_1
	s_mul_hi_i32 s37, s11, s6
	s_mul_i32 s36, s11, s6
	s_lshl_b64 s[36:37], s[36:37], 1
	s_waitcnt lgkmcnt(0)
	s_add_u32 s28, s28, s36
	s_mov_b32 s11, 0x7060302
	s_addc_u32 s14, s29, s37
	s_and_b32 s29, s14, 0xffff
	s_waitcnt vmcnt(1)
	v_cvt_f32_u32_sdwa v27, v4 dst_sel:DWORD dst_unused:UNUSED_PAD src0_sel:WORD_1
	v_cvt_f32_u32_sdwa v26, v4 dst_sel:DWORD dst_unused:UNUSED_PAD src0_sel:WORD_0
	v_cvt_f32_u32_sdwa v29, v5 dst_sel:DWORD dst_unused:UNUSED_PAD src0_sel:WORD_1
	v_cvt_f32_u32_sdwa v28, v5 dst_sel:DWORD dst_unused:UNUSED_PAD src0_sel:WORD_0
	;; [unrolled: 2-line block ×3, first 2 shown]
	v_cvt_f32_u32_sdwa v34, v7 dst_sel:DWORD dst_unused:UNUSED_PAD src0_sel:WORD_0
	v_cvt_f32_u32_sdwa v35, v7 dst_sel:DWORD dst_unused:UNUSED_PAD src0_sel:WORD_1
	s_waitcnt vmcnt(0)
	v_cvt_f32_u32_sdwa v33, v8 dst_sel:DWORD dst_unused:UNUSED_PAD src0_sel:WORD_1
	v_cvt_f32_u32_sdwa v32, v8 dst_sel:DWORD dst_unused:UNUSED_PAD src0_sel:WORD_0
	v_cvt_f32_u32_sdwa v5, v10 dst_sel:DWORD dst_unused:UNUSED_PAD src0_sel:WORD_1
	v_cvt_f32_u32_sdwa v4, v10 dst_sel:DWORD dst_unused:UNUSED_PAD src0_sel:WORD_0
	;; [unrolled: 2-line block ×4, first 2 shown]
	v_pk_add_f32 v[50:51], v[22:23], v[4:5]
	v_pk_add_f32 v[40:41], v[24:25], v[6:7]
	;; [unrolled: 1-line block ×4, first 2 shown]
	v_perm_b32 v7, v41, v40, s11
	v_perm_b32 v6, v51, v50, s11
	;; [unrolled: 1-line block ×4, first 2 shown]
	v_pk_add_f32 v[92:93], v[16:17], v[34:35]
	v_pk_add_f32 v[14:15], v[14:15], v[30:31]
	;; [unrolled: 1-line block ×4, first 2 shown]
	buffer_store_dwordx4 v[4:7], v36, s[28:31], 0 offen
	;;#ASMSTART
	s_nop 0
	;;#ASMEND
	s_nop 0
	v_perm_b32 v7, v93, v92, s11
	v_perm_b32 v6, v15, v14, s11
	;; [unrolled: 1-line block ×4, first 2 shown]
	buffer_store_dwordx4 v[4:7], v36, s[28:31], 16 offen
	;;#ASMSTART
	s_nop 0
	;;#ASMEND
.LBB728_10:
	s_or_b64 exec, exec, s[8:9]
.LBB728_11:
	v_mul_f32_e32 v2, v33, v33
	v_fmac_f32_e32 v2, v32, v32
	v_fmac_f32_e32 v2, v18, v18
	v_fmac_f32_e32 v2, v19, v19
	v_fmac_f32_e32 v2, v50, v50
	v_fmac_f32_e32 v2, v51, v51
	v_fmac_f32_e32 v2, v40, v40
	v_fmac_f32_e32 v2, v41, v41
	v_fmac_f32_e32 v2, v68, v68
	v_fmac_f32_e32 v2, v69, v69
	v_fmac_f32_e32 v2, v62, v62
	v_fmac_f32_e32 v2, v63, v63
	v_fmac_f32_e32 v2, v14, v14
	v_fmac_f32_e32 v2, v15, v15
	v_fmac_f32_e32 v2, v92, v92
	v_fmac_f32_e32 v2, v93, v93
	s_nop 1
	v_mov_b32_dpp v3, v2 quad_perm:[1,0,3,2] row_mask:0xf bank_mask:0xf
	v_add_f32_e32 v2, v2, v3
	s_nop 1
	v_mov_b32_dpp v3, v2 quad_perm:[2,3,0,1] row_mask:0xf bank_mask:0xf
	v_add_f32_e32 v2, v2, v3
	s_nop 1
	v_mov_b32_dpp v3, v2 row_half_mirror row_mask:0xf bank_mask:0xf
	v_add_f32_e32 v2, v2, v3
	s_nop 1
	v_mov_b32_dpp v3, v2 row_mirror row_mask:0xf bank_mask:0xf
	v_add_f32_e32 v2, v2, v3
	s_nop 1
	v_mov_b32_dpp v3, v2 row_bcast:15 row_mask:0xf bank_mask:0xf
	v_add_f32_e32 v2, v2, v3
	v_and_b32_e32 v3, 63, v0
	v_cmp_eq_u32_e64 s[8:9], 63, v3
	s_nop 0
	v_mov_b32_dpp v3, v2 row_bcast:31 row_mask:0xf bank_mask:0xf
	s_and_saveexec_b64 s[28:29], s[8:9]
	s_cbranch_execz .LBB728_13
; %bb.12:
	v_add_f32_e32 v2, v2, v3
	v_lshrrev_b32_e32 v3, 4, v0
	v_and_b32_e32 v3, 60, v3
	ds_write_b32 v3, v2 offset:8
.LBB728_13:
	s_or_b64 exec, exec, s[28:29]
	v_and_b32_e32 v2, 1, v0
	v_lshlrev_b32_e32 v34, 2, v2
	s_waitcnt lgkmcnt(0)
	s_barrier
	ds_read_b32 v3, v34 offset:8
	s_load_dwordx2 s[36:37], s[4:5], 0x18
	s_waitcnt lgkmcnt(0)
	v_mov_b32_dpp v4, v3 quad_perm:[1,0,3,2] row_mask:0xf bank_mask:0xf
	s_and_saveexec_b64 s[28:29], s[0:1]
	s_cbranch_execnz .LBB728_18
; %bb.14:
	s_or_b64 exec, exec, s[28:29]
	s_mov_b64 s[2:3], -1
	s_and_b64 vcc, exec, s[22:23]
	s_cbranch_vccnz .LBB728_19
.LBB728_15:
	s_andn2_b64 vcc, exec, s[2:3]
	s_cbranch_vccz .LBB728_22
.LBB728_16:
	s_cmp_lt_i32 s16, 1
	s_cbranch_scc0 .LBB728_29
.LBB728_17:
	s_endpgm
.LBB728_18:
	v_add_f32_e32 v3, v3, v4
	v_cvt_f32_u32_e32 v4, s7
	s_waitcnt vmcnt(1)
	v_cvt_f32_u32_sdwa v23, v81 dst_sel:DWORD dst_unused:UNUSED_PAD src0_sel:WORD_1
	v_cvt_f32_u32_sdwa v22, v81 dst_sel:DWORD dst_unused:UNUSED_PAD src0_sel:WORD_0
	s_waitcnt vmcnt(0)
	v_cvt_f32_u32_sdwa v25, v77 dst_sel:DWORD dst_unused:UNUSED_PAD src0_sel:WORD_1
	v_div_scale_f32 v5, s[38:39], v4, v4, v3
	v_rcp_f32_e32 v6, v5
	v_cvt_f32_u32_sdwa v24, v77 dst_sel:DWORD dst_unused:UNUSED_PAD src0_sel:WORD_0
	v_cvt_f32_u32_sdwa v27, v78 dst_sel:DWORD dst_unused:UNUSED_PAD src0_sel:WORD_1
	v_cvt_f32_u32_sdwa v26, v78 dst_sel:DWORD dst_unused:UNUSED_PAD src0_sel:WORD_0
	v_fma_f32 v7, -v5, v6, 1.0
	v_fmac_f32_e32 v6, v7, v6
	v_div_scale_f32 v7, vcc, v3, v4, v3
	v_mul_f32_e32 v8, v7, v6
	v_fma_f32 v9, -v5, v8, v7
	v_fmac_f32_e32 v8, v9, v6
	v_fma_f32 v5, -v5, v8, v7
	v_div_fmas_f32 v5, v5, v6, v8
	v_div_fixup_f32 v3, v5, v4, v3
	v_mov_b32_e32 v4, s13
	v_mov_b32_e32 v5, s12
	v_cndmask_b32_e64 v4, v4, v5, s[2:3]
	v_add_f32_e32 v3, v4, v3
	s_mov_b32 s2, 0x800000
	v_mul_f32_e32 v4, 0x4b800000, v3
	v_cmp_gt_f32_e32 vcc, s2, v3
	v_cndmask_b32_e32 v3, v3, v4, vcc
	v_rsq_f32_e32 v3, v3
	v_cvt_f32_u32_sdwa v29, v79 dst_sel:DWORD dst_unused:UNUSED_PAD src0_sel:WORD_1
	v_cvt_f32_u32_sdwa v28, v79 dst_sel:DWORD dst_unused:UNUSED_PAD src0_sel:WORD_0
	v_mul_f32_e32 v4, 0x45800000, v3
	v_cndmask_b32_e32 v4, v3, v4, vcc
	v_mov_b32_e32 v5, v4
	;;#ASMSTART
	v_pk_mul_f32 v[6:7], v[32:33], v[4:5]
	;;#ASMEND
	;;#ASMSTART
	v_pk_mul_f32 v[8:9], v[18:19], v[4:5]
	;;#ASMEND
	;; [unrolled: 3-line block ×6, first 2 shown]
	v_cvt_f32_u32_sdwa v19, v80 dst_sel:DWORD dst_unused:UNUSED_PAD src0_sel:WORD_1
	v_cvt_f32_u32_sdwa v18, v80 dst_sel:DWORD dst_unused:UNUSED_PAD src0_sel:WORD_0
	;;#ASMSTART
	v_pk_mul_f32 v[14:15], v[14:15], v[4:5]
	;;#ASMEND
	;;#ASMSTART
	v_pk_mul_f32 v[4:5], v[92:93], v[4:5]
	;;#ASMEND
	;; [unrolled: 3-line block ×4, first 2 shown]
	v_cvt_f32_u32_sdwa v7, v82 dst_sel:DWORD dst_unused:UNUSED_PAD src0_sel:WORD_1
	v_cvt_f32_u32_sdwa v6, v82 dst_sel:DWORD dst_unused:UNUSED_PAD src0_sel:WORD_0
	v_cvt_f32_u32_sdwa v9, v83 dst_sel:DWORD dst_unused:UNUSED_PAD src0_sel:WORD_1
	v_cvt_f32_u32_sdwa v8, v83 dst_sel:DWORD dst_unused:UNUSED_PAD src0_sel:WORD_0
	;; [unrolled: 2-line block ×3, first 2 shown]
	;;#ASMSTART
	v_pk_mul_f32 v[50:51], v[10:11], v[6:7]
	;;#ASMEND
	;;#ASMSTART
	v_pk_mul_f32 v[40:41], v[12:13], v[8:9]
	;;#ASMEND
	;; [unrolled: 3-line block ×6, first 2 shown]
	s_or_b64 exec, exec, s[28:29]
	s_mov_b64 s[2:3], -1
	s_and_b64 vcc, exec, s[22:23]
	s_cbranch_vccz .LBB728_15
.LBB728_19:
	s_and_saveexec_b64 s[2:3], s[0:1]
	s_cbranch_execz .LBB728_21
; %bb.20:
	s_mul_hi_i32 s23, s10, s6
	s_mul_i32 s22, s10, s6
	s_lshl_b64 s[22:23], s[22:23], 1
	s_add_u32 s28, s36, s22
	s_addc_u32 s7, s37, s23
	s_and_b32 s29, s7, 0xffff
	s_mov_b32 s7, 0x7060302
	s_mov_b32 s31, 0x20000
	v_perm_b32 v7, v41, v40, s7
	v_perm_b32 v6, v51, v50, s7
	;; [unrolled: 1-line block ×4, first 2 shown]
	v_lshlrev_b32_e32 v3, 5, v0
	buffer_store_dwordx4 v[4:7], v3, s[28:31], 0 offen
	;;#ASMSTART
	s_nop 0
	;;#ASMEND
	s_nop 0
	v_perm_b32 v7, v93, v92, s7
	v_perm_b32 v6, v15, v14, s7
	v_perm_b32 v5, v63, v62, s7
	v_perm_b32 v4, v69, v68, s7
	buffer_store_dwordx4 v[4:7], v3, s[28:31], 16 offen
	;;#ASMSTART
	s_nop 0
	;;#ASMEND
.LBB728_21:
	s_or_b64 exec, exec, s[2:3]
	s_cbranch_execnz .LBB728_16
.LBB728_22:
	v_mov_b32_e32 v3, 0
	s_and_saveexec_b64 s[2:3], s[0:1]
	s_cbranch_execz .LBB728_24
; %bb.23:
	v_and_b32_e32 v3, 0x7fffffff, v32
	v_and_b32_e32 v4, 0x7fffffff, v33
	v_mov_b32_e32 v11, 0x2edbe6ff
	;;#ASMSTART
	v_max3_f32 v3, v11, v3, v4

	;;#ASMEND
	v_and_b32_e32 v5, 0x7fffffff, v18
	v_and_b32_e32 v6, 0x7fffffff, v19
	;;#ASMSTART
	v_max3_f32 v3, v3, v5, v6

	;;#ASMEND
	v_and_b32_e32 v7, 0x7fffffff, v50
	v_and_b32_e32 v8, 0x7fffffff, v51
	;; [unrolled: 6-line block ×7, first 2 shown]
	;;#ASMSTART
	v_max3_f32 v3, v3, v4, v5

	;;#ASMEND
.LBB728_24:
	s_or_b64 exec, exec, s[2:3]
	v_cmp_eq_u32_e32 vcc, 0, v2
	v_cmp_gt_i32_e64 s[2:3], s15, v1
	s_and_b64 s[22:23], vcc, s[2:3]
	;;#ASMSTART
	v_max_f32 v4, v3, v3 quad_perm:[1,0,3,2] row_mask:0xf bank_mask:0xf bound_ctrl:1
	;;#ASMEND
	s_and_saveexec_b64 s[2:3], s[22:23]
	s_cbranch_execz .LBB728_26
; %bb.25:
	s_load_dwordx2 s[22:23], s[4:5], 0x8
	v_mul_f32_e32 v2, 0x3e2aaaab, v4
	v_lshrrev_b32_e32 v3, 23, v2
	v_and_b32_e32 v4, 0x7f800000, v2
	v_and_b32_e32 v2, 0x7fffff, v2
	v_cmp_ne_u32_e32 vcc, 0, v2
	s_mul_i32 s12, s25, s6
	s_mov_b32 s7, 0x7f800000
	v_addc_co_u32_e32 v2, vcc, 0, v3, vcc
	s_mul_hi_i32 s11, s25, s6
	s_waitcnt lgkmcnt(0)
	s_add_u32 s22, s22, s12
	v_cmp_ne_u32_e32 vcc, s7, v4
	s_addc_u32 s23, s23, s11
	v_lshrrev_b32_e32 v5, 1, v0
	v_cndmask_b32_e32 v4, -1, v2, vcc
	v_pk_mov_b32 v[2:3], s[22:23], s[22:23] op_sel:[0,1]
	v_mad_i64_i32 v[2:3], s[22:23], s26, v5, v[2:3]
	global_store_byte v[2:3], v4, off
.LBB728_26:
	s_or_b64 exec, exec, s[2:3]
	s_and_saveexec_b64 s[2:3], s[0:1]
	s_cbranch_execz .LBB728_28
; %bb.27:
	s_load_dwordx2 s[0:1], s[4:5], 0x0
	s_mul_i32 s11, s24, s6
	s_mul_hi_i32 s7, s24, s6
	v_mov_b32_e32 v2, 0
	v_lshlrev_b32_e32 v4, 3, v0
	s_waitcnt lgkmcnt(0)
	s_add_u32 s24, s0, s11
	s_addc_u32 s0, s1, s7
	s_lshr_b32 s1, s15, 31
	s_add_i32 s1, s15, s1
	s_ashr_i32 s1, s1, 1
	s_add_i32 s1, s1, 3
	s_ashr_i32 s7, s1, 31
	s_lshr_b32 s7, s7, 30
	s_add_i32 s1, s1, s7
	s_and_b32 s26, s1, -4
	s_and_b32 s25, s0, 0xffff
	s_mov_b32 s27, 0x20000
	v_mov_b32_e32 v3, v2
	buffer_store_dwordx2 v[2:3], v4, s[24:27], 0 offen
	;;#ASMSTART
	s_nop 0
	;;#ASMEND
.LBB728_28:
	s_or_b64 exec, exec, s[2:3]
	s_cmp_lt_i32 s16, 1
	s_cbranch_scc1 .LBB728_17
.LBB728_29:
	s_load_dword s0, s[4:5], 0x94
	s_waitcnt lgkmcnt(0)
	s_cmp_lg_u32 s0, 1
	s_cbranch_scc1 .LBB728_17
; %bb.30:
	s_lshl_b32 s0, s16, 1
	s_add_i32 s0, s0, 2
	v_cmp_gt_u32_e32 vcc, s16, v1
	s_and_b32 s22, s0, -4
	v_mov_b32_e32 v18, 0
	v_lshlrev_b32_e32 v1, 5, v0
	v_mov_b32_e32 v14, 0
	v_mov_b32_e32 v15, 0
	;; [unrolled: 1-line block ×16, first 2 shown]
	s_barrier
	s_and_saveexec_b64 s[0:1], vcc
	s_cbranch_execz .LBB728_32
; %bb.31:
	s_mul_hi_i32 s3, s18, s6
	s_mul_i32 s2, s18, s6
	s_and_b32 s21, s21, 0xffff
	s_lshl_b64 s[2:3], s[2:3], 1
	s_add_u32 s24, s34, s2
	s_mov_b32 s23, 0x20000
	s_addc_u32 s2, s35, s3
	s_and_b32 s25, s2, 0xffff
	s_mov_b32 s26, s22
	s_mov_b32 s27, s23
	buffer_load_dwordx4 v[14:17], v1, s[24:27], 0 offen
	buffer_load_dwordx4 v[10:13], v1, s[24:27], 16 offen
	;; [unrolled: 1-line block ×4, first 2 shown]
.LBB728_32:
	s_or_b64 exec, exec, s[0:1]
	v_mov_b32_e32 v19, 0
	v_mov_b32_e32 v32, 0
	;; [unrolled: 1-line block ×15, first 2 shown]
	s_and_saveexec_b64 s[0:1], vcc
	s_cbranch_execz .LBB728_34
; %bb.33:
	s_waitcnt vmcnt(3)
	v_cvt_f32_u32_sdwa v18, v14 dst_sel:DWORD dst_unused:UNUSED_PAD src0_sel:WORD_0
	v_cvt_f32_u32_sdwa v19, v14 dst_sel:DWORD dst_unused:UNUSED_PAD src0_sel:WORD_1
	v_cvt_f32_u32_sdwa v32, v15 dst_sel:DWORD dst_unused:UNUSED_PAD src0_sel:WORD_0
	v_cvt_f32_u32_sdwa v33, v15 dst_sel:DWORD dst_unused:UNUSED_PAD src0_sel:WORD_1
	;; [unrolled: 2-line block ×4, first 2 shown]
	s_waitcnt vmcnt(2)
	v_cvt_f32_u32_sdwa v26, v10 dst_sel:DWORD dst_unused:UNUSED_PAD src0_sel:WORD_0
	v_cvt_f32_u32_sdwa v27, v10 dst_sel:DWORD dst_unused:UNUSED_PAD src0_sel:WORD_1
	v_cvt_f32_u32_sdwa v24, v11 dst_sel:DWORD dst_unused:UNUSED_PAD src0_sel:WORD_0
	v_cvt_f32_u32_sdwa v25, v11 dst_sel:DWORD dst_unused:UNUSED_PAD src0_sel:WORD_1
	;; [unrolled: 2-line block ×4, first 2 shown]
.LBB728_34:
	s_or_b64 exec, exec, s[0:1]
	s_waitcnt vmcnt(2)
	v_mul_f32_e32 v10, v19, v19
	v_fmac_f32_e32 v10, v18, v18
	v_fmac_f32_e32 v10, v32, v32
	;; [unrolled: 1-line block ×15, first 2 shown]
	s_nop 1
	v_mov_b32_dpp v11, v10 quad_perm:[1,0,3,2] row_mask:0xf bank_mask:0xf
	v_add_f32_e32 v10, v10, v11
	s_nop 1
	v_mov_b32_dpp v11, v10 quad_perm:[2,3,0,1] row_mask:0xf bank_mask:0xf
	v_add_f32_e32 v10, v10, v11
	s_nop 1
	v_mov_b32_dpp v11, v10 row_half_mirror row_mask:0xf bank_mask:0xf
	v_add_f32_e32 v10, v10, v11
	s_nop 1
	v_mov_b32_dpp v11, v10 row_mirror row_mask:0xf bank_mask:0xf
	v_add_f32_e32 v10, v10, v11
	s_nop 1
	v_mov_b32_dpp v11, v10 row_bcast:15 row_mask:0xf bank_mask:0xf
	v_add_f32_e32 v10, v10, v11
	s_nop 1
	v_mov_b32_dpp v11, v10 row_bcast:31 row_mask:0xf bank_mask:0xf
	s_and_saveexec_b64 s[0:1], s[8:9]
	s_cbranch_execz .LBB728_36
; %bb.35:
	v_lshrrev_b32_e32 v0, 4, v0
	v_add_f32_e32 v10, v10, v11
	v_and_b32_e32 v0, 60, v0
	ds_write_b32 v0, v10
.LBB728_36:
	s_or_b64 exec, exec, s[0:1]
	s_waitcnt lgkmcnt(0)
	s_barrier
	ds_read_b32 v0, v34
	s_waitcnt lgkmcnt(0)
	s_nop 0
	v_mov_b32_dpp v10, v0 quad_perm:[1,0,3,2] row_mask:0xf bank_mask:0xf
	s_and_saveexec_b64 s[0:1], vcc
	s_cbranch_execz .LBB728_17
; %bb.37:
	v_cvt_f32_u32_e32 v11, s16
	v_add_f32_e32 v0, v0, v10
	s_mov_b32 s23, 0x20000
	v_div_scale_f32 v10, s[0:1], v11, v11, v0
	v_rcp_f32_e32 v12, v10
	v_div_scale_f32 v13, vcc, v0, v11, v0
	s_mov_b32 s0, 0x800000
	v_fma_f32 v14, -v10, v12, 1.0
	v_fmac_f32_e32 v12, v14, v12
	v_mul_f32_e32 v14, v13, v12
	v_fma_f32 v15, -v10, v14, v13
	v_fmac_f32_e32 v14, v15, v12
	v_fma_f32 v10, -v10, v14, v13
	v_div_fmas_f32 v10, v10, v12, v14
	v_div_fixup_f32 v0, v10, v11, v0
	v_add_f32_e32 v0, s13, v0
	v_mul_f32_e32 v10, 0x4b800000, v0
	v_cmp_gt_f32_e32 vcc, s0, v0
	v_cndmask_b32_e32 v0, v0, v10, vcc
	v_rsq_f32_e32 v0, v0
	s_mul_hi_i32 s1, s10, s6
	s_mul_i32 s0, s10, s6
	s_lshl_b64 s[0:1], s[0:1], 1
	v_mul_f32_e32 v10, 0x45800000, v0
	v_cndmask_b32_e32 v10, v0, v10, vcc
	v_mov_b32_e32 v11, v10
	s_add_u32 s20, s36, s0
	;;#ASMSTART
	v_pk_mul_f32 v[12:13], v[18:19], v[10:11]
	;;#ASMEND
	;;#ASMSTART
	v_pk_mul_f32 v[14:15], v[32:33], v[10:11]
	;;#ASMEND
	;; [unrolled: 3-line block ×8, first 2 shown]
	s_waitcnt vmcnt(1)
	v_cvt_f32_u32_sdwa v21, v6 dst_sel:DWORD dst_unused:UNUSED_PAD src0_sel:WORD_1
	v_cvt_f32_u32_sdwa v20, v6 dst_sel:DWORD dst_unused:UNUSED_PAD src0_sel:WORD_0
	v_cvt_f32_u32_sdwa v29, v7 dst_sel:DWORD dst_unused:UNUSED_PAD src0_sel:WORD_1
	v_cvt_f32_u32_sdwa v28, v7 dst_sel:DWORD dst_unused:UNUSED_PAD src0_sel:WORD_0
	;; [unrolled: 2-line block ×3, first 2 shown]
	s_addc_u32 s0, s37, s1
	v_cvt_f32_u32_sdwa v31, v9 dst_sel:DWORD dst_unused:UNUSED_PAD src0_sel:WORD_1
	v_cvt_f32_u32_sdwa v30, v9 dst_sel:DWORD dst_unused:UNUSED_PAD src0_sel:WORD_0
	;;#ASMSTART
	v_pk_mul_f32 v[8:9], v[12:13], v[20:21]
	;;#ASMEND
	;;#ASMSTART
	v_pk_mul_f32 v[12:13], v[14:15], v[28:29]
	;;#ASMEND
	;; [unrolled: 3-line block ×4, first 2 shown]
	s_waitcnt vmcnt(0)
	v_cvt_f32_u32_sdwa v17, v2 dst_sel:DWORD dst_unused:UNUSED_PAD src0_sel:WORD_1
	v_cvt_f32_u32_sdwa v16, v2 dst_sel:DWORD dst_unused:UNUSED_PAD src0_sel:WORD_0
	v_cvt_f32_u32_sdwa v19, v3 dst_sel:DWORD dst_unused:UNUSED_PAD src0_sel:WORD_1
	v_cvt_f32_u32_sdwa v18, v3 dst_sel:DWORD dst_unused:UNUSED_PAD src0_sel:WORD_0
	v_cvt_f32_u32_sdwa v3, v4 dst_sel:DWORD dst_unused:UNUSED_PAD src0_sel:WORD_1
	v_cvt_f32_u32_sdwa v2, v4 dst_sel:DWORD dst_unused:UNUSED_PAD src0_sel:WORD_0
	s_and_b32 s21, s0, 0xffff
	s_mov_b32 s0, 0x7060302
	v_cvt_f32_u32_sdwa v21, v5 dst_sel:DWORD dst_unused:UNUSED_PAD src0_sel:WORD_1
	v_cvt_f32_u32_sdwa v20, v5 dst_sel:DWORD dst_unused:UNUSED_PAD src0_sel:WORD_0
	;;#ASMSTART
	v_pk_mul_f32 v[16:17], v[26:27], v[16:17]
	;;#ASMEND
	;;#ASMSTART
	v_pk_mul_f32 v[18:19], v[24:25], v[18:19]
	;;#ASMEND
	;; [unrolled: 3-line block ×3, first 2 shown]
	v_perm_b32 v2, v9, v8, s0
	v_perm_b32 v3, v13, v12, s0
	;; [unrolled: 1-line block ×4, first 2 shown]
	;;#ASMSTART
	v_pk_mul_f32 v[10:11], v[10:11], v[20:21]
	;;#ASMEND
	buffer_store_dwordx4 v[2:5], v1, s[20:23], 0 offen
	;;#ASMSTART
	s_nop 0
	;;#ASMEND
	s_nop 0
	v_perm_b32 v2, v17, v16, s0
	v_perm_b32 v3, v19, v18, s0
	;; [unrolled: 1-line block ×4, first 2 shown]
	buffer_store_dwordx4 v[2:5], v1, s[20:23], 16 offen
	;;#ASMSTART
	s_nop 0
	;;#ASMEND
	s_endpgm
	.section	.rodata,"a",@progbits
	.p2align	6, 0x0
	.amdhsa_kernel _ZN5aiter35fused_qk_rmsnorm_group_quant_kernelItN4opus5fp4_tELi128ELi16ELi2ELb1ELb0ELb0ELb0ELb0ELb0EEEvPT0_PvPT_S7_S7_PKS6_S9_S9_S9_S9_ffiiiiiiiiiiiii
		.amdhsa_group_segment_fixed_size 16
		.amdhsa_private_segment_fixed_size 0
		.amdhsa_kernarg_size 400
		.amdhsa_user_sgpr_count 6
		.amdhsa_user_sgpr_private_segment_buffer 1
		.amdhsa_user_sgpr_dispatch_ptr 0
		.amdhsa_user_sgpr_queue_ptr 0
		.amdhsa_user_sgpr_kernarg_segment_ptr 1
		.amdhsa_user_sgpr_dispatch_id 0
		.amdhsa_user_sgpr_flat_scratch_init 0
		.amdhsa_user_sgpr_kernarg_preload_length 0
		.amdhsa_user_sgpr_kernarg_preload_offset 0
		.amdhsa_user_sgpr_private_segment_size 0
		.amdhsa_uses_dynamic_stack 0
		.amdhsa_system_sgpr_private_segment_wavefront_offset 0
		.amdhsa_system_sgpr_workgroup_id_x 1
		.amdhsa_system_sgpr_workgroup_id_y 1
		.amdhsa_system_sgpr_workgroup_id_z 0
		.amdhsa_system_sgpr_workgroup_info 0
		.amdhsa_system_vgpr_workitem_id 0
		.amdhsa_next_free_vgpr 94
		.amdhsa_next_free_sgpr 40
		.amdhsa_accum_offset 96
		.amdhsa_reserve_vcc 1
		.amdhsa_reserve_flat_scratch 0
		.amdhsa_float_round_mode_32 0
		.amdhsa_float_round_mode_16_64 0
		.amdhsa_float_denorm_mode_32 3
		.amdhsa_float_denorm_mode_16_64 3
		.amdhsa_dx10_clamp 1
		.amdhsa_ieee_mode 1
		.amdhsa_fp16_overflow 0
		.amdhsa_tg_split 0
		.amdhsa_exception_fp_ieee_invalid_op 0
		.amdhsa_exception_fp_denorm_src 0
		.amdhsa_exception_fp_ieee_div_zero 0
		.amdhsa_exception_fp_ieee_overflow 0
		.amdhsa_exception_fp_ieee_underflow 0
		.amdhsa_exception_fp_ieee_inexact 0
		.amdhsa_exception_int_div_zero 0
	.end_amdhsa_kernel
	.section	.text._ZN5aiter35fused_qk_rmsnorm_group_quant_kernelItN4opus5fp4_tELi128ELi16ELi2ELb1ELb0ELb0ELb0ELb0ELb0EEEvPT0_PvPT_S7_S7_PKS6_S9_S9_S9_S9_ffiiiiiiiiiiiii,"axG",@progbits,_ZN5aiter35fused_qk_rmsnorm_group_quant_kernelItN4opus5fp4_tELi128ELi16ELi2ELb1ELb0ELb0ELb0ELb0ELb0EEEvPT0_PvPT_S7_S7_PKS6_S9_S9_S9_S9_ffiiiiiiiiiiiii,comdat
.Lfunc_end728:
	.size	_ZN5aiter35fused_qk_rmsnorm_group_quant_kernelItN4opus5fp4_tELi128ELi16ELi2ELb1ELb0ELb0ELb0ELb0ELb0EEEvPT0_PvPT_S7_S7_PKS6_S9_S9_S9_S9_ffiiiiiiiiiiiii, .Lfunc_end728-_ZN5aiter35fused_qk_rmsnorm_group_quant_kernelItN4opus5fp4_tELi128ELi16ELi2ELb1ELb0ELb0ELb0ELb0ELb0EEEvPT0_PvPT_S7_S7_PKS6_S9_S9_S9_S9_ffiiiiiiiiiiiii
                                        ; -- End function
	.section	.AMDGPU.csdata,"",@progbits
; Kernel info:
; codeLenInByte = 3724
; NumSgprs: 44
; NumVgprs: 94
; NumAgprs: 0
; TotalNumVgprs: 94
; ScratchSize: 0
; MemoryBound: 0
; FloatMode: 240
; IeeeMode: 1
; LDSByteSize: 16 bytes/workgroup (compile time only)
; SGPRBlocks: 5
; VGPRBlocks: 11
; NumSGPRsForWavesPerEU: 44
; NumVGPRsForWavesPerEU: 94
; AccumOffset: 96
; Occupancy: 5
; WaveLimiterHint : 0
; COMPUTE_PGM_RSRC2:SCRATCH_EN: 0
; COMPUTE_PGM_RSRC2:USER_SGPR: 6
; COMPUTE_PGM_RSRC2:TRAP_HANDLER: 0
; COMPUTE_PGM_RSRC2:TGID_X_EN: 1
; COMPUTE_PGM_RSRC2:TGID_Y_EN: 1
; COMPUTE_PGM_RSRC2:TGID_Z_EN: 0
; COMPUTE_PGM_RSRC2:TIDIG_COMP_CNT: 0
; COMPUTE_PGM_RSRC3_GFX90A:ACCUM_OFFSET: 23
; COMPUTE_PGM_RSRC3_GFX90A:TG_SPLIT: 0
	.section	.text._ZN5aiter35fused_qk_rmsnorm_group_quant_kernelIDF16_DB8_Li128ELi16ELi2ELb0ELb1ELb1ELb0ELb0ELb0EEEvPT0_PvPT_S6_S6_PKS5_S8_S8_S8_S8_ffiiiiiiiiiiiii,"axG",@progbits,_ZN5aiter35fused_qk_rmsnorm_group_quant_kernelIDF16_DB8_Li128ELi16ELi2ELb0ELb1ELb1ELb0ELb0ELb0EEEvPT0_PvPT_S6_S6_PKS5_S8_S8_S8_S8_ffiiiiiiiiiiiii,comdat
	.protected	_ZN5aiter35fused_qk_rmsnorm_group_quant_kernelIDF16_DB8_Li128ELi16ELi2ELb0ELb1ELb1ELb0ELb0ELb0EEEvPT0_PvPT_S6_S6_PKS5_S8_S8_S8_S8_ffiiiiiiiiiiiii ; -- Begin function _ZN5aiter35fused_qk_rmsnorm_group_quant_kernelIDF16_DB8_Li128ELi16ELi2ELb0ELb1ELb1ELb0ELb0ELb0EEEvPT0_PvPT_S6_S6_PKS5_S8_S8_S8_S8_ffiiiiiiiiiiiii
	.globl	_ZN5aiter35fused_qk_rmsnorm_group_quant_kernelIDF16_DB8_Li128ELi16ELi2ELb0ELb1ELb1ELb0ELb0ELb0EEEvPT0_PvPT_S6_S6_PKS5_S8_S8_S8_S8_ffiiiiiiiiiiiii
	.p2align	8
	.type	_ZN5aiter35fused_qk_rmsnorm_group_quant_kernelIDF16_DB8_Li128ELi16ELi2ELb0ELb1ELb1ELb0ELb0ELb0EEEvPT0_PvPT_S6_S6_PKS5_S8_S8_S8_S8_ffiiiiiiiiiiiii,@function
_ZN5aiter35fused_qk_rmsnorm_group_quant_kernelIDF16_DB8_Li128ELi16ELi2ELb0ELb1ELb1ELb0ELb0ELb0EEEvPT0_PvPT_S6_S6_PKS5_S8_S8_S8_S8_ffiiiiiiiiiiiii: ; @_ZN5aiter35fused_qk_rmsnorm_group_quant_kernelIDF16_DB8_Li128ELi16ELi2ELb0ELb1ELb1ELb0ELb0ELb0EEEvPT0_PvPT_S6_S6_PKS5_S8_S8_S8_S8_ffiiiiiiiiiiiii
; %bb.0:
	s_load_dwordx4 s[16:19], s[4:5], 0x50
	s_waitcnt lgkmcnt(0)
	s_cmp_ge_i32 s6, s18
	s_cbranch_scc1 .LBB729_12
; %bb.1:
	s_load_dwordx2 s[12:13], s[4:5], 0x48
	s_load_dwordx2 s[30:31], s[4:5], 0x30
	s_load_dwordx4 s[20:23], s[4:5], 0x60
	s_cmp_lg_u32 s7, 0
	s_cselect_b64 s[14:15], -1, 0
	s_cmp_eq_u32 s7, 0
	s_cselect_b64 vcc, -1, 0
	s_and_b64 s[0:1], vcc, exec
	s_waitcnt lgkmcnt(0)
	s_cselect_b32 s7, s19, s20
	s_add_i32 s0, s7, 1
	s_lshr_b32 s1, s0, 31
	s_add_i32 s0, s0, s1
	s_lshl_b32 s0, s0, 1
	v_lshlrev_b32_e32 v1, 4, v0
	s_and_b32 s10, s0, -4
	v_cmp_gt_i32_e64 s[2:3], s7, v1
	v_mov_b32_e32 v18, 0
	v_mov_b32_e32 v6, 0
	;; [unrolled: 1-line block ×17, first 2 shown]
	s_and_saveexec_b64 s[0:1], s[2:3]
	s_cbranch_execz .LBB729_3
; %bb.2:
	s_load_dwordx2 s[8:9], s[4:5], 0x28
	s_load_dwordx2 s[26:27], s[4:5], 0x40
	s_and_b64 s[24:25], vcc, exec
	s_cselect_b32 s11, s21, s22
	v_lshlrev_b32_e32 v19, 5, v0
	s_waitcnt lgkmcnt(0)
	s_cselect_b32 s18, s9, s31
	s_cselect_b32 s21, s8, s30
	s_mul_hi_i32 s9, s11, s6
	s_mul_i32 s8, s11, s6
	s_lshl_b64 s[8:9], s[8:9], 1
	s_add_u32 s24, s21, s8
	s_addc_u32 s18, s18, s9
	s_and_b64 s[8:9], vcc, exec
	s_mov_b32 s11, 0x20000
	s_cselect_b32 s8, s26, s12
	s_cselect_b32 s9, s27, s13
	s_and_b32 s25, s18, 0xffff
	s_mov_b32 s26, s10
	s_mov_b32 s27, s11
	s_and_b32 s9, s9, 0xffff
	buffer_load_dwordx4 v[14:17], v19, s[24:27], 0 offen
	buffer_load_dwordx4 v[10:13], v19, s[24:27], 16 offen
	;; [unrolled: 1-line block ×4, first 2 shown]
.LBB729_3:
	s_or_b64 exec, exec, s[0:1]
	v_mov_b32_e32 v19, 0
	v_mov_b32_e32 v32, 0
	;; [unrolled: 1-line block ×15, first 2 shown]
	s_and_saveexec_b64 s[0:1], s[2:3]
	s_cbranch_execz .LBB729_5
; %bb.4:
	s_waitcnt vmcnt(3)
	v_cvt_f32_f16_sdwa v19, v14 dst_sel:DWORD dst_unused:UNUSED_PAD src0_sel:WORD_1
	v_cvt_f32_f16_e32 v18, v14
	v_cvt_f32_f16_sdwa v33, v15 dst_sel:DWORD dst_unused:UNUSED_PAD src0_sel:WORD_1
	v_cvt_f32_f16_e32 v32, v15
	;; [unrolled: 2-line block ×4, first 2 shown]
	s_waitcnt vmcnt(2)
	v_cvt_f32_f16_sdwa v25, v10 dst_sel:DWORD dst_unused:UNUSED_PAD src0_sel:WORD_1
	v_cvt_f32_f16_e32 v24, v10
	v_cvt_f32_f16_sdwa v29, v11 dst_sel:DWORD dst_unused:UNUSED_PAD src0_sel:WORD_1
	v_cvt_f32_f16_e32 v28, v11
	;; [unrolled: 2-line block ×4, first 2 shown]
.LBB729_5:
	s_or_b64 exec, exec, s[0:1]
	s_waitcnt vmcnt(2)
	v_mul_f32_e32 v10, v19, v19
	v_fmac_f32_e32 v10, v18, v18
	v_fmac_f32_e32 v10, v32, v32
	;; [unrolled: 1-line block ×15, first 2 shown]
	v_and_b32_e32 v12, 63, v0
	v_cmp_eq_u32_e64 s[0:1], 63, v12
	v_mov_b32_dpp v11, v10 quad_perm:[1,0,3,2] row_mask:0xf bank_mask:0xf
	v_add_f32_e32 v10, v10, v11
	s_nop 1
	v_mov_b32_dpp v11, v10 quad_perm:[2,3,0,1] row_mask:0xf bank_mask:0xf
	v_add_f32_e32 v10, v10, v11
	s_nop 1
	v_mov_b32_dpp v11, v10 row_half_mirror row_mask:0xf bank_mask:0xf
	v_add_f32_e32 v10, v10, v11
	s_nop 1
	v_mov_b32_dpp v11, v10 row_mirror row_mask:0xf bank_mask:0xf
	v_add_f32_e32 v10, v10, v11
	s_nop 1
	v_mov_b32_dpp v11, v10 row_bcast:15 row_mask:0xf bank_mask:0xf
	v_add_f32_e32 v10, v10, v11
	s_nop 1
	v_mov_b32_dpp v11, v10 row_bcast:31 row_mask:0xf bank_mask:0xf
	s_and_saveexec_b64 s[8:9], s[0:1]
	s_cbranch_execz .LBB729_7
; %bb.6:
	v_add_f32_e32 v10, v10, v11
	v_lshrrev_b32_e32 v11, 4, v0
	v_and_b32_e32 v11, 60, v11
	ds_write_b32 v11, v10 offset:8
.LBB729_7:
	s_or_b64 exec, exec, s[8:9]
	v_and_b32_e32 v10, 1, v0
	v_lshlrev_b32_e32 v34, 2, v10
	s_waitcnt lgkmcnt(0)
	s_barrier
	ds_read_b32 v11, v34 offset:8
	s_load_dwordx2 s[28:29], s[4:5], 0x18
	s_waitcnt lgkmcnt(0)
	v_mov_b32_dpp v12, v11 quad_perm:[1,0,3,2] row_mask:0xf bank_mask:0xf
	s_and_saveexec_b64 s[8:9], s[2:3]
	s_cbranch_execz .LBB729_9
; %bb.8:
	v_cvt_f32_u32_e32 v13, s7
	v_add_f32_e32 v11, v11, v12
	v_mov_b32_e32 v15, s17
	v_mov_b32_e32 v16, s16
	v_div_scale_f32 v12, s[24:25], v13, v13, v11
	v_rcp_f32_e32 v14, v12
	v_cndmask_b32_e32 v15, v15, v16, vcc
	s_mov_b32 s7, 0x800000
	v_fma_f32 v16, -v12, v14, 1.0
	v_fmac_f32_e32 v14, v16, v14
	v_div_scale_f32 v16, vcc, v11, v13, v11
	v_mul_f32_e32 v17, v16, v14
	v_fma_f32 v35, -v12, v17, v16
	v_fmac_f32_e32 v17, v35, v14
	v_fma_f32 v12, -v12, v17, v16
	v_div_fmas_f32 v12, v12, v14, v17
	v_div_fixup_f32 v11, v12, v13, v11
	v_add_f32_e32 v11, v15, v11
	v_mul_f32_e32 v12, 0x4b800000, v11
	v_cmp_gt_f32_e32 vcc, s7, v11
	v_cndmask_b32_e32 v11, v11, v12, vcc
	v_rsq_f32_e32 v11, v11
	v_mul_f32_e32 v12, 0x45800000, v11
	v_cndmask_b32_e32 v12, v11, v12, vcc
	v_mov_b32_e32 v13, v12
	;;#ASMSTART
	v_pk_mul_f32 v[14:15], v[18:19], v[12:13]
	;;#ASMEND
	s_waitcnt vmcnt(1)
	v_cvt_f32_f16_sdwa v19, v6 dst_sel:DWORD dst_unused:UNUSED_PAD src0_sel:WORD_1
	v_cvt_f32_f16_e32 v18, v6
	;;#ASMSTART
	v_pk_mul_f32 v[16:17], v[32:33], v[12:13]
	;;#ASMEND
	v_cvt_f32_f16_sdwa v33, v7 dst_sel:DWORD dst_unused:UNUSED_PAD src0_sel:WORD_1
	v_cvt_f32_f16_e32 v32, v7
	;;#ASMSTART
	v_pk_mul_f32 v[26:27], v[26:27], v[12:13]
	;;#ASMEND
	;;#ASMSTART
	v_pk_mul_f32 v[30:31], v[30:31], v[12:13]
	;;#ASMEND
	;; [unrolled: 3-line block ×6, first 2 shown]
	v_pk_add_f32 v[12:13], v[18:19], 1.0 op_sel_hi:[1,0]
	;;#ASMSTART
	v_pk_mul_f32 v[18:19], v[14:15], v[12:13]
	;;#ASMEND
	v_cvt_f32_f16_sdwa v15, v8 dst_sel:DWORD dst_unused:UNUSED_PAD src0_sel:WORD_1
	v_cvt_f32_f16_e32 v14, v8
	v_cvt_f32_f16_sdwa v21, v9 dst_sel:DWORD dst_unused:UNUSED_PAD src0_sel:WORD_1
	v_cvt_f32_f16_e32 v20, v9
	v_pk_add_f32 v[12:13], v[32:33], 1.0 op_sel_hi:[1,0]
	;;#ASMSTART
	v_pk_mul_f32 v[32:33], v[16:17], v[12:13]
	;;#ASMEND
	s_waitcnt vmcnt(0)
	v_cvt_f32_f16_sdwa v13, v2 dst_sel:DWORD dst_unused:UNUSED_PAD src0_sel:WORD_1
	v_cvt_f32_f16_e32 v12, v2
	v_pk_add_f32 v[8:9], v[14:15], 1.0 op_sel_hi:[1,0]
	;;#ASMSTART
	v_pk_mul_f32 v[26:27], v[26:27], v[8:9]
	;;#ASMEND
	v_pk_add_f32 v[8:9], v[20:21], 1.0 op_sel_hi:[1,0]
	v_cvt_f32_f16_sdwa v15, v3 dst_sel:DWORD dst_unused:UNUSED_PAD src0_sel:WORD_1
	v_cvt_f32_f16_e32 v14, v3
	;;#ASMSTART
	v_pk_mul_f32 v[30:31], v[30:31], v[8:9]
	;;#ASMEND
	v_cvt_f32_f16_sdwa v9, v4 dst_sel:DWORD dst_unused:UNUSED_PAD src0_sel:WORD_1
	v_cvt_f32_f16_e32 v8, v4
	v_pk_add_f32 v[2:3], v[12:13], 1.0 op_sel_hi:[1,0]
	v_cvt_f32_f16_sdwa v13, v5 dst_sel:DWORD dst_unused:UNUSED_PAD src0_sel:WORD_1
	v_cvt_f32_f16_e32 v12, v5
	;;#ASMSTART
	v_pk_mul_f32 v[24:25], v[24:25], v[2:3]
	;;#ASMEND
	v_pk_add_f32 v[2:3], v[14:15], 1.0 op_sel_hi:[1,0]
	;;#ASMSTART
	v_pk_mul_f32 v[28:29], v[28:29], v[2:3]
	;;#ASMEND
	v_pk_add_f32 v[2:3], v[8:9], 1.0 op_sel_hi:[1,0]
	;; [unrolled: 4-line block ×3, first 2 shown]
	;;#ASMSTART
	v_pk_mul_f32 v[20:21], v[6:7], v[2:3]
	;;#ASMEND
.LBB729_9:
	s_or_b64 exec, exec, s[8:9]
	s_load_dword s7, s[4:5], 0x80
	s_mov_b64 s[8:9], -1
	s_and_b64 vcc, exec, s[14:15]
	s_cbranch_vccnz .LBB729_13
; %bb.10:
	s_andn2_b64 vcc, exec, s[8:9]
	s_cbranch_vccz .LBB729_16
.LBB729_11:
	s_cmp_lt_i32 s20, 1
	s_cbranch_scc0 .LBB729_25
.LBB729_12:
	s_endpgm
.LBB729_13:
	s_and_saveexec_b64 s[14:15], s[2:3]
	s_cbranch_execz .LBB729_15
; %bb.14:
	s_waitcnt lgkmcnt(0)
	s_mul_hi_i32 s9, s7, s6
	s_mul_i32 s8, s7, s6
	s_waitcnt vmcnt(0)
	v_cvt_f16_f32_e32 v2, v18
	v_cvt_f16_f32_e32 v3, v32
	;; [unrolled: 1-line block ×8, first 2 shown]
	s_lshl_b64 s[8:9], s[8:9], 1
	s_add_u32 s8, s28, s8
	s_addc_u32 s9, s29, s9
	s_and_b32 s9, s9, 0xffff
	s_mov_b32 s11, 0x20000
	v_pack_b32_f16 v5, v5, v6
	v_pack_b32_f16 v4, v4, v7
	;; [unrolled: 1-line block ×4, first 2 shown]
	v_lshlrev_b32_e32 v6, 5, v0
	buffer_store_dwordx4 v[2:5], v6, s[8:11], 0 offen
	v_cvt_f16_f32_e32 v7, v21
	v_cvt_f16_f32_e32 v2, v24
	;; [unrolled: 1-line block ×8, first 2 shown]
	v_pack_b32_f16 v5, v5, v7
	v_pack_b32_f16 v4, v4, v8
	;; [unrolled: 1-line block ×4, first 2 shown]
	;;#ASMSTART
	s_nop 0
	;;#ASMEND
	buffer_store_dwordx4 v[2:5], v6, s[8:11], 16 offen
	;;#ASMSTART
	s_nop 0
	;;#ASMEND
.LBB729_15:
	s_or_b64 exec, exec, s[14:15]
	s_cbranch_execnz .LBB729_11
.LBB729_16:
	s_load_dwordx4 s[24:27], s[4:5], 0x70
	s_waitcnt vmcnt(0)
	v_mov_b32_e32 v2, 0
	s_and_saveexec_b64 s[14:15], s[2:3]
	s_cbranch_execz .LBB729_18
; %bb.17:
	s_load_dwordx2 s[8:9], s[4:5], 0x10
	s_waitcnt lgkmcnt(0)
	s_mul_hi_i32 s35, s27, s6
	s_mul_i32 s34, s27, s6
	v_cvt_f16_f32_e32 v2, v18
	v_cvt_f16_f32_e32 v3, v32
	;; [unrolled: 1-line block ×8, first 2 shown]
	s_lshl_b64 s[34:35], s[34:35], 1
	s_add_u32 s8, s8, s34
	s_addc_u32 s9, s9, s35
	s_mov_b32 s11, 0x20000
	s_and_b32 s9, s9, 0xffff
	v_pack_b32_f16 v5, v5, v6
	v_pack_b32_f16 v4, v4, v7
	;; [unrolled: 1-line block ×4, first 2 shown]
	v_lshlrev_b32_e32 v6, 5, v0
	buffer_store_dwordx4 v[2:5], v6, s[8:11], 0 offen
	v_cvt_f16_f32_e32 v7, v21
	v_cvt_f16_f32_e32 v2, v24
	;; [unrolled: 1-line block ×8, first 2 shown]
	v_pack_b32_f16 v5, v5, v7
	v_pack_b32_f16 v4, v4, v8
	;; [unrolled: 1-line block ×4, first 2 shown]
	;;#ASMSTART
	s_nop 0
	;;#ASMEND
	buffer_store_dwordx4 v[2:5], v6, s[8:11], 16 offen
	;;#ASMSTART
	s_nop 0
	;;#ASMEND
	s_nop 0
	v_mov_b32_e32 v2, 0x2edbe6ff
.LBB729_18:
	s_or_b64 exec, exec, s[14:15]
	s_and_saveexec_b64 s[8:9], s[2:3]
	s_cbranch_execz .LBB729_20
; %bb.19:
	v_and_b32_e32 v3, 0x7fffffff, v18
	v_and_b32_e32 v4, 0x7fffffff, v19
	;;#ASMSTART
	v_max3_f32 v2, v2, v3, v4

	;;#ASMEND
	v_and_b32_e32 v3, 0x7fffffff, v32
	v_and_b32_e32 v4, 0x7fffffff, v33
	;;#ASMSTART
	v_max3_f32 v2, v2, v3, v4

	;;#ASMEND
	;; [unrolled: 6-line block ×8, first 2 shown]
.LBB729_20:
	s_or_b64 exec, exec, s[8:9]
	v_cmp_eq_u32_e32 vcc, 0, v10
	v_cmp_gt_i32_e64 s[8:9], s19, v1
	;;#ASMSTART
	v_max_f32 v3, v2, v2 quad_perm:[1,0,3,2] row_mask:0xf bank_mask:0xf bound_ctrl:1
	;;#ASMEND
	v_mul_f32_e32 v2, 0x3b124925, v3
	s_and_b64 s[10:11], vcc, s[8:9]
	s_and_saveexec_b64 s[8:9], s[10:11]
	s_cbranch_execz .LBB729_22
; %bb.21:
	s_load_dwordx2 s[10:11], s[4:5], 0x8
	s_waitcnt lgkmcnt(0)
	s_mul_hi_i32 s15, s25, s6
	s_mul_i32 s14, s25, s6
	v_lshrrev_b32_e32 v3, 1, v0
	s_lshl_b64 s[14:15], s[14:15], 2
	v_mad_i64_i32 v[4:5], s[26:27], s26, v3, 0
	s_add_u32 s10, s10, s14
	s_addc_u32 s11, s11, s15
	v_lshlrev_b64 v[4:5], 2, v[4:5]
	v_mov_b32_e32 v3, s11
	v_add_co_u32_e32 v4, vcc, s10, v4
	v_addc_co_u32_e32 v5, vcc, v3, v5, vcc
	global_store_dword v[4:5], v2, off
.LBB729_22:
	s_or_b64 exec, exec, s[8:9]
	;;#ASMSTART
	v_rcp_f32 v2, v2
	;;#ASMEND
	s_and_saveexec_b64 s[14:15], s[2:3]
	s_cbranch_execz .LBB729_24
; %bb.23:
	s_load_dwordx2 s[2:3], s[4:5], 0x0
	s_waitcnt lgkmcnt(0)
	s_mul_i32 s8, s24, s6
	s_mul_hi_i32 s9, s24, s6
	v_mov_b32_e32 v3, v2
	;;#ASMSTART
	v_pk_mul_f32 v[4:5], v[18:19], v[2:3]
	;;#ASMEND
	s_add_u32 s8, s2, s8
	s_addc_u32 s2, s3, s9
	s_add_i32 s3, s19, 3
	s_ashr_i32 s10, s3, 31
	v_mov_b32_e32 v10, 0xc3e00000
	v_mov_b32_e32 v11, 0x43e00000
	;;#ASMSTART
	v_med3_f32 v4, v4, v10, v11
v_med3_f32 v5, v5, v10, v11
v_cvt_pk_fp8_f32 v6, v4, v5
	;;#ASMEND
	s_and_b32 s9, s2, 0xffff
	s_lshr_b32 s2, s10, 30
	;;#ASMSTART
	v_pk_mul_f32 v[4:5], v[32:33], v[2:3]
	;;#ASMEND
	s_add_i32 s3, s3, s2
	;;#ASMSTART
	v_med3_f32 v4, v4, v10, v11
v_med3_f32 v5, v5, v10, v11
v_cvt_pk_fp8_f32 v7, v4, v5
	;;#ASMEND
	s_mov_b32 s2, 0x5040100
	v_perm_b32 v4, v7, v6, s2
	s_mov_b32 s2, 0x1060504
	v_perm_b32 v4, v4, v7, s2
	;;#ASMSTART
	v_pk_mul_f32 v[6:7], v[26:27], v[2:3]
	;;#ASMEND
	v_mov_b32_e32 v5, v7
	;;#ASMSTART
	v_med3_f32 v6, v6, v10, v11
v_med3_f32 v5, v5, v10, v11
v_cvt_pk_fp8_f32 v8, v6, v5
	;;#ASMEND
	;;#ASMSTART
	v_pk_mul_f32 v[6:7], v[30:31], v[2:3]
	;;#ASMEND
	v_mov_b32_e32 v5, v6
	;;#ASMSTART
	v_med3_f32 v5, v5, v10, v11
v_med3_f32 v7, v7, v10, v11
v_cvt_pk_fp8_f32 v6, v5, v7
	;;#ASMEND
	s_mov_b32 s2, 0x1000504
	v_perm_b32 v5, v8, v6, s2
	;;#ASMSTART
	v_pk_mul_f32 v[6:7], v[24:25], v[2:3]
	;;#ASMEND
	;;#ASMSTART
	v_med3_f32 v6, v6, v10, v11
v_med3_f32 v7, v7, v10, v11
v_cvt_pk_fp8_f32 v8, v6, v7
	;;#ASMEND
	;;#ASMSTART
	v_pk_mul_f32 v[6:7], v[28:29], v[2:3]
	;;#ASMEND
	;;#ASMSTART
	v_med3_f32 v6, v6, v10, v11
v_med3_f32 v7, v7, v10, v11
v_cvt_pk_fp8_f32 v9, v6, v7
	;;#ASMEND
	v_perm_b32 v6, v8, v9, s2
	;;#ASMSTART
	v_pk_mul_f32 v[8:9], v[22:23], v[2:3]
	;;#ASMEND
	v_mov_b32_e32 v7, v9
	;;#ASMSTART
	v_med3_f32 v8, v8, v10, v11
v_med3_f32 v7, v7, v10, v11
v_cvt_pk_fp8_f32 v9, v8, v7
	;;#ASMEND
	;;#ASMSTART
	v_pk_mul_f32 v[2:3], v[20:21], v[2:3]
	;;#ASMEND
	;;#ASMSTART
	v_med3_f32 v2, v2, v10, v11
v_med3_f32 v3, v3, v10, v11
v_cvt_pk_fp8_f32 v7, v2, v3
	;;#ASMEND
	s_and_b32 s10, s3, -4
	s_mov_b32 s11, 0x20000
	v_perm_b32 v7, v9, v7, s2
	buffer_store_dwordx4 v[4:7], v1, s[8:11], 0 offen
	;;#ASMSTART
	s_nop 0
	;;#ASMEND
.LBB729_24:
	s_or_b64 exec, exec, s[14:15]
	s_cmp_lt_i32 s20, 1
	s_cbranch_scc1 .LBB729_12
.LBB729_25:
	s_load_dword s2, s[4:5], 0x94
	s_waitcnt lgkmcnt(0)
	s_cmp_lg_u32 s2, 1
	s_cbranch_scc1 .LBB729_12
; %bb.26:
	s_lshl_b32 s2, s20, 1
	s_add_i32 s2, s2, 2
	v_cmp_gt_u32_e32 vcc, s20, v1
	s_and_b32 s14, s2, -4
	v_mov_b32_e32 v18, 0
	v_lshlrev_b32_e32 v1, 5, v0
	v_mov_b32_e32 v14, 0
	v_mov_b32_e32 v15, 0
	;; [unrolled: 1-line block ×8, first 2 shown]
	s_waitcnt vmcnt(1)
	v_mov_b32_e32 v6, 0
	v_mov_b32_e32 v7, 0
	v_mov_b32_e32 v8, 0
	v_mov_b32_e32 v9, 0
	s_waitcnt vmcnt(0)
	v_mov_b32_e32 v2, 0
	v_mov_b32_e32 v3, 0
	;; [unrolled: 1-line block ×4, first 2 shown]
	s_barrier
	s_and_saveexec_b64 s[2:3], vcc
	s_cbranch_execz .LBB729_28
; %bb.27:
	s_mul_hi_i32 s5, s22, s6
	s_mul_i32 s4, s22, s6
	s_and_b32 s13, s13, 0xffff
	s_lshl_b64 s[4:5], s[4:5], 1
	s_add_u32 s8, s30, s4
	s_mov_b32 s15, 0x20000
	s_addc_u32 s4, s31, s5
	s_and_b32 s9, s4, 0xffff
	s_mov_b32 s10, s14
	s_mov_b32 s11, s15
	buffer_load_dwordx4 v[14:17], v1, s[8:11], 0 offen
	buffer_load_dwordx4 v[10:13], v1, s[8:11], 16 offen
	;; [unrolled: 1-line block ×4, first 2 shown]
.LBB729_28:
	s_or_b64 exec, exec, s[2:3]
	v_mov_b32_e32 v19, 0
	v_mov_b32_e32 v32, 0
	;; [unrolled: 1-line block ×15, first 2 shown]
	s_and_saveexec_b64 s[2:3], vcc
	s_cbranch_execz .LBB729_30
; %bb.29:
	s_waitcnt vmcnt(3)
	v_cvt_f32_f16_sdwa v19, v14 dst_sel:DWORD dst_unused:UNUSED_PAD src0_sel:WORD_1
	v_cvt_f32_f16_e32 v18, v14
	v_cvt_f32_f16_sdwa v33, v15 dst_sel:DWORD dst_unused:UNUSED_PAD src0_sel:WORD_1
	v_cvt_f32_f16_e32 v32, v15
	;; [unrolled: 2-line block ×4, first 2 shown]
	s_waitcnt vmcnt(2)
	v_cvt_f32_f16_sdwa v27, v10 dst_sel:DWORD dst_unused:UNUSED_PAD src0_sel:WORD_1
	v_cvt_f32_f16_e32 v26, v10
	v_cvt_f32_f16_sdwa v25, v11 dst_sel:DWORD dst_unused:UNUSED_PAD src0_sel:WORD_1
	v_cvt_f32_f16_e32 v24, v11
	v_cvt_f32_f16_sdwa v23, v12 dst_sel:DWORD dst_unused:UNUSED_PAD src0_sel:WORD_1
	v_cvt_f32_f16_e32 v22, v12
	v_cvt_f32_f16_sdwa v21, v13 dst_sel:DWORD dst_unused:UNUSED_PAD src0_sel:WORD_1
	v_cvt_f32_f16_e32 v20, v13
.LBB729_30:
	s_or_b64 exec, exec, s[2:3]
	s_waitcnt vmcnt(2)
	v_mul_f32_e32 v10, v19, v19
	v_fmac_f32_e32 v10, v18, v18
	v_fmac_f32_e32 v10, v32, v32
	;; [unrolled: 1-line block ×15, first 2 shown]
	s_nop 1
	v_mov_b32_dpp v11, v10 quad_perm:[1,0,3,2] row_mask:0xf bank_mask:0xf
	v_add_f32_e32 v10, v10, v11
	s_nop 1
	v_mov_b32_dpp v11, v10 quad_perm:[2,3,0,1] row_mask:0xf bank_mask:0xf
	v_add_f32_e32 v10, v10, v11
	s_nop 1
	v_mov_b32_dpp v11, v10 row_half_mirror row_mask:0xf bank_mask:0xf
	v_add_f32_e32 v10, v10, v11
	s_nop 1
	v_mov_b32_dpp v11, v10 row_mirror row_mask:0xf bank_mask:0xf
	v_add_f32_e32 v10, v10, v11
	s_nop 1
	v_mov_b32_dpp v11, v10 row_bcast:15 row_mask:0xf bank_mask:0xf
	v_add_f32_e32 v10, v10, v11
	s_nop 1
	v_mov_b32_dpp v11, v10 row_bcast:31 row_mask:0xf bank_mask:0xf
	s_and_saveexec_b64 s[2:3], s[0:1]
	s_cbranch_execz .LBB729_32
; %bb.31:
	v_lshrrev_b32_e32 v0, 4, v0
	v_add_f32_e32 v10, v10, v11
	v_and_b32_e32 v0, 60, v0
	ds_write_b32 v0, v10
.LBB729_32:
	s_or_b64 exec, exec, s[2:3]
	s_waitcnt lgkmcnt(0)
	s_barrier
	ds_read_b32 v0, v34
	s_waitcnt lgkmcnt(0)
	s_nop 0
	v_mov_b32_dpp v10, v0 quad_perm:[1,0,3,2] row_mask:0xf bank_mask:0xf
	s_and_saveexec_b64 s[0:1], vcc
	s_cbranch_execz .LBB729_12
; %bb.33:
	v_cvt_f32_u32_e32 v11, s20
	v_add_f32_e32 v0, v0, v10
	s_mov_b32 s15, 0x20000
	v_div_scale_f32 v10, s[0:1], v11, v11, v0
	v_rcp_f32_e32 v12, v10
	v_div_scale_f32 v13, vcc, v0, v11, v0
	s_mov_b32 s0, 0x800000
	v_fma_f32 v14, -v10, v12, 1.0
	v_fmac_f32_e32 v12, v14, v12
	v_mul_f32_e32 v14, v13, v12
	v_fma_f32 v15, -v10, v14, v13
	v_fmac_f32_e32 v14, v15, v12
	v_fma_f32 v10, -v10, v14, v13
	v_div_fmas_f32 v10, v10, v12, v14
	v_div_fixup_f32 v0, v10, v11, v0
	v_add_f32_e32 v0, s17, v0
	v_mul_f32_e32 v10, 0x4b800000, v0
	v_cmp_gt_f32_e32 vcc, s0, v0
	v_cndmask_b32_e32 v0, v0, v10, vcc
	v_rsq_f32_e32 v0, v0
	s_mul_hi_i32 s1, s7, s6
	s_mul_i32 s0, s7, s6
	s_lshl_b64 s[0:1], s[0:1], 1
	v_mul_f32_e32 v10, 0x45800000, v0
	v_cndmask_b32_e32 v10, v0, v10, vcc
	v_mov_b32_e32 v11, v10
	;;#ASMSTART
	v_pk_mul_f32 v[12:13], v[18:19], v[10:11]
	;;#ASMEND
	;;#ASMSTART
	v_pk_mul_f32 v[14:15], v[32:33], v[10:11]
	;;#ASMEND
	;; [unrolled: 3-line block ×4, first 2 shown]
	s_waitcnt vmcnt(1)
	v_cvt_f32_f16_sdwa v29, v6 dst_sel:DWORD dst_unused:UNUSED_PAD src0_sel:WORD_1
	v_cvt_f32_f16_e32 v28, v6
	v_cvt_f32_f16_sdwa v31, v7 dst_sel:DWORD dst_unused:UNUSED_PAD src0_sel:WORD_1
	v_cvt_f32_f16_e32 v30, v7
	;;#ASMSTART
	v_pk_mul_f32 v[26:27], v[26:27], v[10:11]
	;;#ASMEND
	;;#ASMSTART
	v_pk_mul_f32 v[24:25], v[24:25], v[10:11]
	;;#ASMEND
	;; [unrolled: 3-line block ×4, first 2 shown]
	v_cvt_f32_f16_sdwa v21, v8 dst_sel:DWORD dst_unused:UNUSED_PAD src0_sel:WORD_1
	v_cvt_f32_f16_e32 v20, v8
	v_pk_add_f32 v[10:11], v[28:29], 1.0 op_sel_hi:[1,0]
	;;#ASMSTART
	v_pk_mul_f32 v[10:11], v[12:13], v[10:11]
	;;#ASMEND
	v_pk_add_f32 v[12:13], v[30:31], 1.0 op_sel_hi:[1,0]
	v_cvt_f32_f16_sdwa v29, v9 dst_sel:DWORD dst_unused:UNUSED_PAD src0_sel:WORD_1
	v_cvt_f32_f16_e32 v28, v9
	;;#ASMSTART
	v_pk_mul_f32 v[8:9], v[14:15], v[12:13]
	;;#ASMEND
	v_pk_add_f32 v[12:13], v[20:21], 1.0 op_sel_hi:[1,0]
	;;#ASMSTART
	v_pk_mul_f32 v[12:13], v[16:17], v[12:13]
	;;#ASMEND
	s_waitcnt vmcnt(0)
	v_cvt_f32_f16_sdwa v17, v2 dst_sel:DWORD dst_unused:UNUSED_PAD src0_sel:WORD_1
	v_cvt_f32_f16_e32 v16, v2
	v_cvt_f32_f16_sdwa v21, v3 dst_sel:DWORD dst_unused:UNUSED_PAD src0_sel:WORD_1
	v_cvt_f32_f16_e32 v20, v3
	v_pk_add_f32 v[14:15], v[28:29], 1.0 op_sel_hi:[1,0]
	;;#ASMSTART
	v_pk_mul_f32 v[2:3], v[18:19], v[14:15]
	;;#ASMEND
	v_cvt_f32_f16_sdwa v19, v4 dst_sel:DWORD dst_unused:UNUSED_PAD src0_sel:WORD_1
	v_cvt_f32_f16_e32 v18, v4
	v_pk_add_f32 v[14:15], v[16:17], 1.0 op_sel_hi:[1,0]
	v_pk_add_f32 v[16:17], v[20:21], 1.0 op_sel_hi:[1,0]
	v_cvt_f32_f16_sdwa v21, v5 dst_sel:DWORD dst_unused:UNUSED_PAD src0_sel:WORD_1
	v_cvt_f32_f16_e32 v20, v5
	v_pk_add_f32 v[4:5], v[18:19], 1.0 op_sel_hi:[1,0]
	;;#ASMSTART
	v_pk_mul_f32 v[14:15], v[26:27], v[14:15]
	;;#ASMEND
	;;#ASMSTART
	v_pk_mul_f32 v[16:17], v[24:25], v[16:17]
	;;#ASMEND
	;;#ASMSTART
	v_pk_mul_f32 v[18:19], v[22:23], v[4:5]
	;;#ASMEND
	v_pk_add_f32 v[4:5], v[20:21], 1.0 op_sel_hi:[1,0]
	;;#ASMSTART
	v_pk_mul_f32 v[6:7], v[6:7], v[4:5]
	;;#ASMEND
	v_cvt_f16_f32_e32 v0, v10
	v_cvt_f16_f32_e32 v4, v11
	;; [unrolled: 1-line block ×8, first 2 shown]
	s_add_u32 s12, s28, s0
	s_addc_u32 s0, s29, s1
	s_and_b32 s13, s0, 0xffff
	v_pack_b32_f16 v2, v0, v4
	v_pack_b32_f16 v3, v5, v8
	;; [unrolled: 1-line block ×4, first 2 shown]
	buffer_store_dwordx4 v[2:5], v1, s[12:15], 0 offen
	v_cvt_f16_f32_e32 v0, v14
	v_cvt_f16_f32_e32 v2, v15
	;; [unrolled: 1-line block ×8, first 2 shown]
	v_pack_b32_f16 v2, v0, v2
	v_pack_b32_f16 v3, v3, v4
	;; [unrolled: 1-line block ×4, first 2 shown]
	;;#ASMSTART
	s_nop 0
	;;#ASMEND
	buffer_store_dwordx4 v[2:5], v1, s[12:15], 16 offen
	;;#ASMSTART
	s_nop 0
	;;#ASMEND
	s_endpgm
	.section	.rodata,"a",@progbits
	.p2align	6, 0x0
	.amdhsa_kernel _ZN5aiter35fused_qk_rmsnorm_group_quant_kernelIDF16_DB8_Li128ELi16ELi2ELb0ELb1ELb1ELb0ELb0ELb0EEEvPT0_PvPT_S6_S6_PKS5_S8_S8_S8_S8_ffiiiiiiiiiiiii
		.amdhsa_group_segment_fixed_size 16
		.amdhsa_private_segment_fixed_size 0
		.amdhsa_kernarg_size 400
		.amdhsa_user_sgpr_count 6
		.amdhsa_user_sgpr_private_segment_buffer 1
		.amdhsa_user_sgpr_dispatch_ptr 0
		.amdhsa_user_sgpr_queue_ptr 0
		.amdhsa_user_sgpr_kernarg_segment_ptr 1
		.amdhsa_user_sgpr_dispatch_id 0
		.amdhsa_user_sgpr_flat_scratch_init 0
		.amdhsa_user_sgpr_kernarg_preload_length 0
		.amdhsa_user_sgpr_kernarg_preload_offset 0
		.amdhsa_user_sgpr_private_segment_size 0
		.amdhsa_uses_dynamic_stack 0
		.amdhsa_system_sgpr_private_segment_wavefront_offset 0
		.amdhsa_system_sgpr_workgroup_id_x 1
		.amdhsa_system_sgpr_workgroup_id_y 1
		.amdhsa_system_sgpr_workgroup_id_z 0
		.amdhsa_system_sgpr_workgroup_info 0
		.amdhsa_system_vgpr_workitem_id 0
		.amdhsa_next_free_vgpr 36
		.amdhsa_next_free_sgpr 36
		.amdhsa_accum_offset 36
		.amdhsa_reserve_vcc 1
		.amdhsa_reserve_flat_scratch 0
		.amdhsa_float_round_mode_32 0
		.amdhsa_float_round_mode_16_64 0
		.amdhsa_float_denorm_mode_32 3
		.amdhsa_float_denorm_mode_16_64 3
		.amdhsa_dx10_clamp 1
		.amdhsa_ieee_mode 1
		.amdhsa_fp16_overflow 0
		.amdhsa_tg_split 0
		.amdhsa_exception_fp_ieee_invalid_op 0
		.amdhsa_exception_fp_denorm_src 0
		.amdhsa_exception_fp_ieee_div_zero 0
		.amdhsa_exception_fp_ieee_overflow 0
		.amdhsa_exception_fp_ieee_underflow 0
		.amdhsa_exception_fp_ieee_inexact 0
		.amdhsa_exception_int_div_zero 0
	.end_amdhsa_kernel
	.section	.text._ZN5aiter35fused_qk_rmsnorm_group_quant_kernelIDF16_DB8_Li128ELi16ELi2ELb0ELb1ELb1ELb0ELb0ELb0EEEvPT0_PvPT_S6_S6_PKS5_S8_S8_S8_S8_ffiiiiiiiiiiiii,"axG",@progbits,_ZN5aiter35fused_qk_rmsnorm_group_quant_kernelIDF16_DB8_Li128ELi16ELi2ELb0ELb1ELb1ELb0ELb0ELb0EEEvPT0_PvPT_S6_S6_PKS5_S8_S8_S8_S8_ffiiiiiiiiiiiii,comdat
.Lfunc_end729:
	.size	_ZN5aiter35fused_qk_rmsnorm_group_quant_kernelIDF16_DB8_Li128ELi16ELi2ELb0ELb1ELb1ELb0ELb0ELb0EEEvPT0_PvPT_S6_S6_PKS5_S8_S8_S8_S8_ffiiiiiiiiiiiii, .Lfunc_end729-_ZN5aiter35fused_qk_rmsnorm_group_quant_kernelIDF16_DB8_Li128ELi16ELi2ELb0ELb1ELb1ELb0ELb0ELb0EEEvPT0_PvPT_S6_S6_PKS5_S8_S8_S8_S8_ffiiiiiiiiiiiii
                                        ; -- End function
	.section	.AMDGPU.csdata,"",@progbits
; Kernel info:
; codeLenInByte = 3732
; NumSgprs: 40
; NumVgprs: 36
; NumAgprs: 0
; TotalNumVgprs: 36
; ScratchSize: 0
; MemoryBound: 0
; FloatMode: 240
; IeeeMode: 1
; LDSByteSize: 16 bytes/workgroup (compile time only)
; SGPRBlocks: 4
; VGPRBlocks: 4
; NumSGPRsForWavesPerEU: 40
; NumVGPRsForWavesPerEU: 36
; AccumOffset: 36
; Occupancy: 8
; WaveLimiterHint : 0
; COMPUTE_PGM_RSRC2:SCRATCH_EN: 0
; COMPUTE_PGM_RSRC2:USER_SGPR: 6
; COMPUTE_PGM_RSRC2:TRAP_HANDLER: 0
; COMPUTE_PGM_RSRC2:TGID_X_EN: 1
; COMPUTE_PGM_RSRC2:TGID_Y_EN: 1
; COMPUTE_PGM_RSRC2:TGID_Z_EN: 0
; COMPUTE_PGM_RSRC2:TIDIG_COMP_CNT: 0
; COMPUTE_PGM_RSRC3_GFX90A:ACCUM_OFFSET: 8
; COMPUTE_PGM_RSRC3_GFX90A:TG_SPLIT: 0
	.section	.text._ZN5aiter35fused_qk_rmsnorm_group_quant_kernelItDB8_Li128ELi16ELi2ELb0ELb1ELb1ELb0ELb0ELb0EEEvPT0_PvPT_S6_S6_PKS5_S8_S8_S8_S8_ffiiiiiiiiiiiii,"axG",@progbits,_ZN5aiter35fused_qk_rmsnorm_group_quant_kernelItDB8_Li128ELi16ELi2ELb0ELb1ELb1ELb0ELb0ELb0EEEvPT0_PvPT_S6_S6_PKS5_S8_S8_S8_S8_ffiiiiiiiiiiiii,comdat
	.protected	_ZN5aiter35fused_qk_rmsnorm_group_quant_kernelItDB8_Li128ELi16ELi2ELb0ELb1ELb1ELb0ELb0ELb0EEEvPT0_PvPT_S6_S6_PKS5_S8_S8_S8_S8_ffiiiiiiiiiiiii ; -- Begin function _ZN5aiter35fused_qk_rmsnorm_group_quant_kernelItDB8_Li128ELi16ELi2ELb0ELb1ELb1ELb0ELb0ELb0EEEvPT0_PvPT_S6_S6_PKS5_S8_S8_S8_S8_ffiiiiiiiiiiiii
	.globl	_ZN5aiter35fused_qk_rmsnorm_group_quant_kernelItDB8_Li128ELi16ELi2ELb0ELb1ELb1ELb0ELb0ELb0EEEvPT0_PvPT_S6_S6_PKS5_S8_S8_S8_S8_ffiiiiiiiiiiiii
	.p2align	8
	.type	_ZN5aiter35fused_qk_rmsnorm_group_quant_kernelItDB8_Li128ELi16ELi2ELb0ELb1ELb1ELb0ELb0ELb0EEEvPT0_PvPT_S6_S6_PKS5_S8_S8_S8_S8_ffiiiiiiiiiiiii,@function
_ZN5aiter35fused_qk_rmsnorm_group_quant_kernelItDB8_Li128ELi16ELi2ELb0ELb1ELb1ELb0ELb0ELb0EEEvPT0_PvPT_S6_S6_PKS5_S8_S8_S8_S8_ffiiiiiiiiiiiii: ; @_ZN5aiter35fused_qk_rmsnorm_group_quant_kernelItDB8_Li128ELi16ELi2ELb0ELb1ELb1ELb0ELb0ELb0EEEvPT0_PvPT_S6_S6_PKS5_S8_S8_S8_S8_ffiiiiiiiiiiiii
; %bb.0:
	s_load_dwordx4 s[16:19], s[4:5], 0x50
	s_waitcnt lgkmcnt(0)
	s_cmp_ge_i32 s6, s18
	s_cbranch_scc1 .LBB730_12
; %bb.1:
	s_load_dwordx2 s[12:13], s[4:5], 0x48
	s_load_dwordx2 s[30:31], s[4:5], 0x30
	s_load_dwordx4 s[20:23], s[4:5], 0x60
	s_cmp_lg_u32 s7, 0
	s_cselect_b64 s[14:15], -1, 0
	s_cmp_eq_u32 s7, 0
	s_cselect_b64 vcc, -1, 0
	s_and_b64 s[0:1], vcc, exec
	s_waitcnt lgkmcnt(0)
	s_cselect_b32 s7, s19, s20
	s_add_i32 s0, s7, 1
	s_lshr_b32 s1, s0, 31
	s_add_i32 s0, s0, s1
	s_lshl_b32 s0, s0, 1
	v_lshlrev_b32_e32 v1, 4, v0
	s_and_b32 s10, s0, -4
	v_cmp_gt_i32_e64 s[2:3], s7, v1
	v_mov_b32_e32 v18, 0
	v_mov_b32_e32 v6, 0
	;; [unrolled: 1-line block ×17, first 2 shown]
	s_and_saveexec_b64 s[0:1], s[2:3]
	s_cbranch_execz .LBB730_3
; %bb.2:
	s_load_dwordx2 s[8:9], s[4:5], 0x28
	s_load_dwordx2 s[26:27], s[4:5], 0x40
	s_and_b64 s[24:25], vcc, exec
	s_cselect_b32 s11, s21, s22
	v_lshlrev_b32_e32 v19, 5, v0
	s_waitcnt lgkmcnt(0)
	s_cselect_b32 s18, s9, s31
	s_cselect_b32 s21, s8, s30
	s_mul_hi_i32 s9, s11, s6
	s_mul_i32 s8, s11, s6
	s_lshl_b64 s[8:9], s[8:9], 1
	s_add_u32 s24, s21, s8
	s_addc_u32 s18, s18, s9
	s_and_b64 s[8:9], vcc, exec
	s_mov_b32 s11, 0x20000
	s_cselect_b32 s8, s26, s12
	s_cselect_b32 s9, s27, s13
	s_and_b32 s25, s18, 0xffff
	s_mov_b32 s26, s10
	s_mov_b32 s27, s11
	s_and_b32 s9, s9, 0xffff
	buffer_load_dwordx4 v[14:17], v19, s[24:27], 0 offen
	buffer_load_dwordx4 v[10:13], v19, s[24:27], 16 offen
	;; [unrolled: 1-line block ×4, first 2 shown]
.LBB730_3:
	s_or_b64 exec, exec, s[0:1]
	v_mov_b32_e32 v19, 0
	v_mov_b32_e32 v32, 0
	;; [unrolled: 1-line block ×15, first 2 shown]
	s_and_saveexec_b64 s[0:1], s[2:3]
	s_cbranch_execz .LBB730_5
; %bb.4:
	s_waitcnt vmcnt(3)
	v_cvt_f32_u32_sdwa v18, v14 dst_sel:DWORD dst_unused:UNUSED_PAD src0_sel:WORD_0
	v_cvt_f32_u32_sdwa v19, v14 dst_sel:DWORD dst_unused:UNUSED_PAD src0_sel:WORD_1
	v_cvt_f32_u32_sdwa v32, v15 dst_sel:DWORD dst_unused:UNUSED_PAD src0_sel:WORD_0
	v_cvt_f32_u32_sdwa v33, v15 dst_sel:DWORD dst_unused:UNUSED_PAD src0_sel:WORD_1
	;; [unrolled: 2-line block ×4, first 2 shown]
	s_waitcnt vmcnt(2)
	v_cvt_f32_u32_sdwa v24, v10 dst_sel:DWORD dst_unused:UNUSED_PAD src0_sel:WORD_0
	v_cvt_f32_u32_sdwa v25, v10 dst_sel:DWORD dst_unused:UNUSED_PAD src0_sel:WORD_1
	v_cvt_f32_u32_sdwa v28, v11 dst_sel:DWORD dst_unused:UNUSED_PAD src0_sel:WORD_0
	v_cvt_f32_u32_sdwa v29, v11 dst_sel:DWORD dst_unused:UNUSED_PAD src0_sel:WORD_1
	;; [unrolled: 2-line block ×4, first 2 shown]
.LBB730_5:
	s_or_b64 exec, exec, s[0:1]
	s_waitcnt vmcnt(2)
	v_mul_f32_e32 v10, v19, v19
	v_fmac_f32_e32 v10, v18, v18
	v_fmac_f32_e32 v10, v32, v32
	;; [unrolled: 1-line block ×15, first 2 shown]
	v_and_b32_e32 v12, 63, v0
	v_cmp_eq_u32_e64 s[0:1], 63, v12
	v_mov_b32_dpp v11, v10 quad_perm:[1,0,3,2] row_mask:0xf bank_mask:0xf
	v_add_f32_e32 v10, v10, v11
	s_nop 1
	v_mov_b32_dpp v11, v10 quad_perm:[2,3,0,1] row_mask:0xf bank_mask:0xf
	v_add_f32_e32 v10, v10, v11
	s_nop 1
	v_mov_b32_dpp v11, v10 row_half_mirror row_mask:0xf bank_mask:0xf
	v_add_f32_e32 v10, v10, v11
	s_nop 1
	v_mov_b32_dpp v11, v10 row_mirror row_mask:0xf bank_mask:0xf
	v_add_f32_e32 v10, v10, v11
	s_nop 1
	v_mov_b32_dpp v11, v10 row_bcast:15 row_mask:0xf bank_mask:0xf
	v_add_f32_e32 v10, v10, v11
	s_nop 1
	v_mov_b32_dpp v11, v10 row_bcast:31 row_mask:0xf bank_mask:0xf
	s_and_saveexec_b64 s[8:9], s[0:1]
	s_cbranch_execz .LBB730_7
; %bb.6:
	v_add_f32_e32 v10, v10, v11
	v_lshrrev_b32_e32 v11, 4, v0
	v_and_b32_e32 v11, 60, v11
	ds_write_b32 v11, v10 offset:8
.LBB730_7:
	s_or_b64 exec, exec, s[8:9]
	v_and_b32_e32 v10, 1, v0
	v_lshlrev_b32_e32 v34, 2, v10
	s_waitcnt lgkmcnt(0)
	s_barrier
	ds_read_b32 v11, v34 offset:8
	s_load_dwordx2 s[28:29], s[4:5], 0x18
	s_waitcnt lgkmcnt(0)
	v_mov_b32_dpp v12, v11 quad_perm:[1,0,3,2] row_mask:0xf bank_mask:0xf
	s_and_saveexec_b64 s[8:9], s[2:3]
	s_cbranch_execz .LBB730_9
; %bb.8:
	v_cvt_f32_u32_e32 v13, s7
	v_add_f32_e32 v11, v11, v12
	v_mov_b32_e32 v15, s17
	v_mov_b32_e32 v16, s16
	v_div_scale_f32 v12, s[24:25], v13, v13, v11
	v_rcp_f32_e32 v14, v12
	v_cndmask_b32_e32 v15, v15, v16, vcc
	s_mov_b32 s7, 0x800000
	v_fma_f32 v16, -v12, v14, 1.0
	v_fmac_f32_e32 v14, v16, v14
	v_div_scale_f32 v16, vcc, v11, v13, v11
	v_mul_f32_e32 v17, v16, v14
	v_fma_f32 v35, -v12, v17, v16
	v_fmac_f32_e32 v17, v35, v14
	v_fma_f32 v12, -v12, v17, v16
	v_div_fmas_f32 v12, v12, v14, v17
	v_div_fixup_f32 v11, v12, v13, v11
	v_add_f32_e32 v11, v15, v11
	v_mul_f32_e32 v12, 0x4b800000, v11
	v_cmp_gt_f32_e32 vcc, s7, v11
	v_cndmask_b32_e32 v11, v11, v12, vcc
	v_rsq_f32_e32 v11, v11
	v_mul_f32_e32 v12, 0x45800000, v11
	v_cndmask_b32_e32 v12, v11, v12, vcc
	v_mov_b32_e32 v13, v12
	;;#ASMSTART
	v_pk_mul_f32 v[14:15], v[18:19], v[12:13]
	;;#ASMEND
	s_waitcnt vmcnt(1)
	v_cvt_f32_u32_sdwa v19, v6 dst_sel:DWORD dst_unused:UNUSED_PAD src0_sel:WORD_1
	v_cvt_f32_u32_sdwa v18, v6 dst_sel:DWORD dst_unused:UNUSED_PAD src0_sel:WORD_0
	;;#ASMSTART
	v_pk_mul_f32 v[16:17], v[32:33], v[12:13]
	;;#ASMEND
	v_cvt_f32_u32_sdwa v33, v7 dst_sel:DWORD dst_unused:UNUSED_PAD src0_sel:WORD_1
	v_cvt_f32_u32_sdwa v32, v7 dst_sel:DWORD dst_unused:UNUSED_PAD src0_sel:WORD_0
	;;#ASMSTART
	v_pk_mul_f32 v[26:27], v[26:27], v[12:13]
	;;#ASMEND
	;;#ASMSTART
	v_pk_mul_f32 v[30:31], v[30:31], v[12:13]
	;;#ASMEND
	;; [unrolled: 3-line block ×6, first 2 shown]
	v_pk_add_f32 v[12:13], v[18:19], 1.0 op_sel_hi:[1,0]
	;;#ASMSTART
	v_pk_mul_f32 v[18:19], v[14:15], v[12:13]
	;;#ASMEND
	v_cvt_f32_u32_sdwa v15, v8 dst_sel:DWORD dst_unused:UNUSED_PAD src0_sel:WORD_1
	v_cvt_f32_u32_sdwa v14, v8 dst_sel:DWORD dst_unused:UNUSED_PAD src0_sel:WORD_0
	v_cvt_f32_u32_sdwa v21, v9 dst_sel:DWORD dst_unused:UNUSED_PAD src0_sel:WORD_1
	v_cvt_f32_u32_sdwa v20, v9 dst_sel:DWORD dst_unused:UNUSED_PAD src0_sel:WORD_0
	v_pk_add_f32 v[12:13], v[32:33], 1.0 op_sel_hi:[1,0]
	;;#ASMSTART
	v_pk_mul_f32 v[32:33], v[16:17], v[12:13]
	;;#ASMEND
	s_waitcnt vmcnt(0)
	v_cvt_f32_u32_sdwa v13, v2 dst_sel:DWORD dst_unused:UNUSED_PAD src0_sel:WORD_1
	v_cvt_f32_u32_sdwa v12, v2 dst_sel:DWORD dst_unused:UNUSED_PAD src0_sel:WORD_0
	v_pk_add_f32 v[8:9], v[14:15], 1.0 op_sel_hi:[1,0]
	;;#ASMSTART
	v_pk_mul_f32 v[26:27], v[26:27], v[8:9]
	;;#ASMEND
	v_pk_add_f32 v[8:9], v[20:21], 1.0 op_sel_hi:[1,0]
	v_cvt_f32_u32_sdwa v15, v3 dst_sel:DWORD dst_unused:UNUSED_PAD src0_sel:WORD_1
	v_cvt_f32_u32_sdwa v14, v3 dst_sel:DWORD dst_unused:UNUSED_PAD src0_sel:WORD_0
	;;#ASMSTART
	v_pk_mul_f32 v[30:31], v[30:31], v[8:9]
	;;#ASMEND
	v_cvt_f32_u32_sdwa v9, v4 dst_sel:DWORD dst_unused:UNUSED_PAD src0_sel:WORD_1
	v_cvt_f32_u32_sdwa v8, v4 dst_sel:DWORD dst_unused:UNUSED_PAD src0_sel:WORD_0
	v_pk_add_f32 v[2:3], v[12:13], 1.0 op_sel_hi:[1,0]
	v_cvt_f32_u32_sdwa v13, v5 dst_sel:DWORD dst_unused:UNUSED_PAD src0_sel:WORD_1
	v_cvt_f32_u32_sdwa v12, v5 dst_sel:DWORD dst_unused:UNUSED_PAD src0_sel:WORD_0
	;;#ASMSTART
	v_pk_mul_f32 v[24:25], v[24:25], v[2:3]
	;;#ASMEND
	v_pk_add_f32 v[2:3], v[14:15], 1.0 op_sel_hi:[1,0]
	;;#ASMSTART
	v_pk_mul_f32 v[28:29], v[28:29], v[2:3]
	;;#ASMEND
	v_pk_add_f32 v[2:3], v[8:9], 1.0 op_sel_hi:[1,0]
	;; [unrolled: 4-line block ×3, first 2 shown]
	;;#ASMSTART
	v_pk_mul_f32 v[20:21], v[6:7], v[2:3]
	;;#ASMEND
.LBB730_9:
	s_or_b64 exec, exec, s[8:9]
	s_load_dword s7, s[4:5], 0x80
	s_mov_b64 s[8:9], -1
	s_and_b64 vcc, exec, s[14:15]
	s_cbranch_vccnz .LBB730_13
; %bb.10:
	s_andn2_b64 vcc, exec, s[8:9]
	s_cbranch_vccz .LBB730_16
.LBB730_11:
	s_cmp_lt_i32 s20, 1
	s_cbranch_scc0 .LBB730_25
.LBB730_12:
	s_endpgm
.LBB730_13:
	s_and_saveexec_b64 s[14:15], s[2:3]
	s_cbranch_execz .LBB730_15
; %bb.14:
	s_waitcnt lgkmcnt(0)
	s_mul_hi_i32 s9, s7, s6
	s_mul_i32 s8, s7, s6
	s_lshl_b64 s[8:9], s[8:9], 1
	s_add_u32 s8, s28, s8
	s_addc_u32 s9, s29, s9
	s_mov_b32 s16, 0x7060302
	s_and_b32 s9, s9, 0xffff
	s_mov_b32 s11, 0x20000
	s_waitcnt vmcnt(0)
	v_perm_b32 v5, v31, v30, s16
	v_perm_b32 v4, v27, v26, s16
	;; [unrolled: 1-line block ×4, first 2 shown]
	v_lshlrev_b32_e32 v6, 5, v0
	buffer_store_dwordx4 v[2:5], v6, s[8:11], 0 offen
	;;#ASMSTART
	s_nop 0
	;;#ASMEND
	s_nop 0
	v_perm_b32 v5, v21, v20, s16
	v_perm_b32 v4, v23, v22, s16
	;; [unrolled: 1-line block ×4, first 2 shown]
	buffer_store_dwordx4 v[2:5], v6, s[8:11], 16 offen
	;;#ASMSTART
	s_nop 0
	;;#ASMEND
.LBB730_15:
	s_or_b64 exec, exec, s[14:15]
	s_cbranch_execnz .LBB730_11
.LBB730_16:
	s_load_dwordx4 s[24:27], s[4:5], 0x70
	s_waitcnt vmcnt(0)
	v_mov_b32_e32 v2, 0
	s_and_saveexec_b64 s[14:15], s[2:3]
	s_cbranch_execz .LBB730_18
; %bb.17:
	s_load_dwordx2 s[8:9], s[4:5], 0x10
	s_waitcnt lgkmcnt(0)
	s_mul_hi_i32 s35, s27, s6
	s_mul_i32 s34, s27, s6
	s_lshl_b64 s[34:35], s[34:35], 1
	s_mov_b32 s16, 0x7060302
	s_add_u32 s8, s8, s34
	s_addc_u32 s9, s9, s35
	s_mov_b32 s11, 0x20000
	s_and_b32 s9, s9, 0xffff
	v_perm_b32 v5, v31, v30, s16
	v_perm_b32 v4, v27, v26, s16
	;; [unrolled: 1-line block ×4, first 2 shown]
	v_lshlrev_b32_e32 v6, 5, v0
	buffer_store_dwordx4 v[2:5], v6, s[8:11], 0 offen
	;;#ASMSTART
	s_nop 0
	;;#ASMEND
	s_nop 0
	v_perm_b32 v5, v21, v20, s16
	v_perm_b32 v4, v23, v22, s16
	;; [unrolled: 1-line block ×4, first 2 shown]
	buffer_store_dwordx4 v[2:5], v6, s[8:11], 16 offen
	;;#ASMSTART
	s_nop 0
	;;#ASMEND
	s_nop 0
	v_mov_b32_e32 v2, 0x2edbe6ff
.LBB730_18:
	s_or_b64 exec, exec, s[14:15]
	s_and_saveexec_b64 s[8:9], s[2:3]
	s_cbranch_execz .LBB730_20
; %bb.19:
	v_and_b32_e32 v3, 0x7fffffff, v18
	v_and_b32_e32 v4, 0x7fffffff, v19
	;;#ASMSTART
	v_max3_f32 v2, v2, v3, v4

	;;#ASMEND
	v_and_b32_e32 v3, 0x7fffffff, v32
	v_and_b32_e32 v4, 0x7fffffff, v33
	;;#ASMSTART
	v_max3_f32 v2, v2, v3, v4

	;;#ASMEND
	;; [unrolled: 6-line block ×8, first 2 shown]
.LBB730_20:
	s_or_b64 exec, exec, s[8:9]
	v_cmp_eq_u32_e32 vcc, 0, v10
	v_cmp_gt_i32_e64 s[8:9], s19, v1
	;;#ASMSTART
	v_max_f32 v3, v2, v2 quad_perm:[1,0,3,2] row_mask:0xf bank_mask:0xf bound_ctrl:1
	;;#ASMEND
	v_mul_f32_e32 v2, 0x3b124925, v3
	s_and_b64 s[10:11], vcc, s[8:9]
	s_and_saveexec_b64 s[8:9], s[10:11]
	s_cbranch_execz .LBB730_22
; %bb.21:
	s_load_dwordx2 s[10:11], s[4:5], 0x8
	s_waitcnt lgkmcnt(0)
	s_mul_hi_i32 s15, s25, s6
	s_mul_i32 s14, s25, s6
	v_lshrrev_b32_e32 v3, 1, v0
	s_lshl_b64 s[14:15], s[14:15], 2
	v_mad_i64_i32 v[4:5], s[26:27], s26, v3, 0
	s_add_u32 s10, s10, s14
	s_addc_u32 s11, s11, s15
	v_lshlrev_b64 v[4:5], 2, v[4:5]
	v_mov_b32_e32 v3, s11
	v_add_co_u32_e32 v4, vcc, s10, v4
	v_addc_co_u32_e32 v5, vcc, v3, v5, vcc
	global_store_dword v[4:5], v2, off
.LBB730_22:
	s_or_b64 exec, exec, s[8:9]
	;;#ASMSTART
	v_rcp_f32 v2, v2
	;;#ASMEND
	s_and_saveexec_b64 s[14:15], s[2:3]
	s_cbranch_execz .LBB730_24
; %bb.23:
	s_load_dwordx2 s[2:3], s[4:5], 0x0
	s_waitcnt lgkmcnt(0)
	s_mul_i32 s8, s24, s6
	s_mul_hi_i32 s9, s24, s6
	v_mov_b32_e32 v3, v2
	;;#ASMSTART
	v_pk_mul_f32 v[4:5], v[18:19], v[2:3]
	;;#ASMEND
	s_add_u32 s8, s2, s8
	s_addc_u32 s2, s3, s9
	s_add_i32 s3, s19, 3
	s_ashr_i32 s10, s3, 31
	v_mov_b32_e32 v10, 0xc3e00000
	v_mov_b32_e32 v11, 0x43e00000
	;;#ASMSTART
	v_med3_f32 v4, v4, v10, v11
v_med3_f32 v5, v5, v10, v11
v_cvt_pk_fp8_f32 v6, v4, v5
	;;#ASMEND
	s_and_b32 s9, s2, 0xffff
	s_lshr_b32 s2, s10, 30
	;;#ASMSTART
	v_pk_mul_f32 v[4:5], v[32:33], v[2:3]
	;;#ASMEND
	s_add_i32 s3, s3, s2
	;;#ASMSTART
	v_med3_f32 v4, v4, v10, v11
v_med3_f32 v5, v5, v10, v11
v_cvt_pk_fp8_f32 v7, v4, v5
	;;#ASMEND
	s_mov_b32 s2, 0x5040100
	v_perm_b32 v4, v7, v6, s2
	s_mov_b32 s2, 0x1060504
	v_perm_b32 v4, v4, v7, s2
	;;#ASMSTART
	v_pk_mul_f32 v[6:7], v[26:27], v[2:3]
	;;#ASMEND
	v_mov_b32_e32 v5, v7
	;;#ASMSTART
	v_med3_f32 v6, v6, v10, v11
v_med3_f32 v5, v5, v10, v11
v_cvt_pk_fp8_f32 v8, v6, v5
	;;#ASMEND
	;;#ASMSTART
	v_pk_mul_f32 v[6:7], v[30:31], v[2:3]
	;;#ASMEND
	v_mov_b32_e32 v5, v6
	;;#ASMSTART
	v_med3_f32 v5, v5, v10, v11
v_med3_f32 v7, v7, v10, v11
v_cvt_pk_fp8_f32 v6, v5, v7
	;;#ASMEND
	s_mov_b32 s2, 0x1000504
	v_perm_b32 v5, v8, v6, s2
	;;#ASMSTART
	v_pk_mul_f32 v[6:7], v[24:25], v[2:3]
	;;#ASMEND
	;;#ASMSTART
	v_med3_f32 v6, v6, v10, v11
v_med3_f32 v7, v7, v10, v11
v_cvt_pk_fp8_f32 v8, v6, v7
	;;#ASMEND
	;;#ASMSTART
	v_pk_mul_f32 v[6:7], v[28:29], v[2:3]
	;;#ASMEND
	;;#ASMSTART
	v_med3_f32 v6, v6, v10, v11
v_med3_f32 v7, v7, v10, v11
v_cvt_pk_fp8_f32 v9, v6, v7
	;;#ASMEND
	v_perm_b32 v6, v8, v9, s2
	;;#ASMSTART
	v_pk_mul_f32 v[8:9], v[22:23], v[2:3]
	;;#ASMEND
	v_mov_b32_e32 v7, v9
	;;#ASMSTART
	v_med3_f32 v8, v8, v10, v11
v_med3_f32 v7, v7, v10, v11
v_cvt_pk_fp8_f32 v9, v8, v7
	;;#ASMEND
	;;#ASMSTART
	v_pk_mul_f32 v[2:3], v[20:21], v[2:3]
	;;#ASMEND
	;;#ASMSTART
	v_med3_f32 v2, v2, v10, v11
v_med3_f32 v3, v3, v10, v11
v_cvt_pk_fp8_f32 v7, v2, v3
	;;#ASMEND
	s_and_b32 s10, s3, -4
	s_mov_b32 s11, 0x20000
	v_perm_b32 v7, v9, v7, s2
	buffer_store_dwordx4 v[4:7], v1, s[8:11], 0 offen
	;;#ASMSTART
	s_nop 0
	;;#ASMEND
.LBB730_24:
	s_or_b64 exec, exec, s[14:15]
	s_cmp_lt_i32 s20, 1
	s_cbranch_scc1 .LBB730_12
.LBB730_25:
	s_load_dword s2, s[4:5], 0x94
	s_waitcnt lgkmcnt(0)
	s_cmp_lg_u32 s2, 1
	s_cbranch_scc1 .LBB730_12
; %bb.26:
	s_lshl_b32 s2, s20, 1
	s_add_i32 s2, s2, 2
	v_cmp_gt_u32_e32 vcc, s20, v1
	s_and_b32 s14, s2, -4
	v_mov_b32_e32 v18, 0
	v_lshlrev_b32_e32 v1, 5, v0
	v_mov_b32_e32 v14, 0
	v_mov_b32_e32 v15, 0
	;; [unrolled: 1-line block ×8, first 2 shown]
	s_waitcnt vmcnt(1)
	v_mov_b32_e32 v6, 0
	v_mov_b32_e32 v7, 0
	;; [unrolled: 1-line block ×4, first 2 shown]
	s_waitcnt vmcnt(0)
	v_mov_b32_e32 v2, 0
	v_mov_b32_e32 v3, 0
	;; [unrolled: 1-line block ×4, first 2 shown]
	s_barrier
	s_and_saveexec_b64 s[2:3], vcc
	s_cbranch_execz .LBB730_28
; %bb.27:
	s_mul_hi_i32 s5, s22, s6
	s_mul_i32 s4, s22, s6
	s_and_b32 s13, s13, 0xffff
	s_lshl_b64 s[4:5], s[4:5], 1
	s_add_u32 s8, s30, s4
	s_mov_b32 s15, 0x20000
	s_addc_u32 s4, s31, s5
	s_and_b32 s9, s4, 0xffff
	s_mov_b32 s10, s14
	s_mov_b32 s11, s15
	buffer_load_dwordx4 v[14:17], v1, s[8:11], 0 offen
	buffer_load_dwordx4 v[10:13], v1, s[8:11], 16 offen
	buffer_load_dwordx4 v[6:9], v1, s[12:15], 0 offen
	buffer_load_dwordx4 v[2:5], v1, s[12:15], 16 offen
.LBB730_28:
	s_or_b64 exec, exec, s[2:3]
	v_mov_b32_e32 v19, 0
	v_mov_b32_e32 v32, 0
	v_mov_b32_e32 v33, 0
	v_mov_b32_e32 v30, 0
	v_mov_b32_e32 v31, 0
	v_mov_b32_e32 v28, 0
	v_mov_b32_e32 v29, 0
	v_mov_b32_e32 v26, 0
	v_mov_b32_e32 v27, 0
	v_mov_b32_e32 v24, 0
	v_mov_b32_e32 v25, 0
	v_mov_b32_e32 v22, 0
	v_mov_b32_e32 v23, 0
	v_mov_b32_e32 v20, 0
	v_mov_b32_e32 v21, 0
	s_and_saveexec_b64 s[2:3], vcc
	s_cbranch_execz .LBB730_30
; %bb.29:
	s_waitcnt vmcnt(3)
	v_cvt_f32_u32_sdwa v18, v14 dst_sel:DWORD dst_unused:UNUSED_PAD src0_sel:WORD_0
	v_cvt_f32_u32_sdwa v19, v14 dst_sel:DWORD dst_unused:UNUSED_PAD src0_sel:WORD_1
	v_cvt_f32_u32_sdwa v32, v15 dst_sel:DWORD dst_unused:UNUSED_PAD src0_sel:WORD_0
	v_cvt_f32_u32_sdwa v33, v15 dst_sel:DWORD dst_unused:UNUSED_PAD src0_sel:WORD_1
	;; [unrolled: 2-line block ×4, first 2 shown]
	s_waitcnt vmcnt(2)
	v_cvt_f32_u32_sdwa v26, v10 dst_sel:DWORD dst_unused:UNUSED_PAD src0_sel:WORD_0
	v_cvt_f32_u32_sdwa v27, v10 dst_sel:DWORD dst_unused:UNUSED_PAD src0_sel:WORD_1
	v_cvt_f32_u32_sdwa v24, v11 dst_sel:DWORD dst_unused:UNUSED_PAD src0_sel:WORD_0
	v_cvt_f32_u32_sdwa v25, v11 dst_sel:DWORD dst_unused:UNUSED_PAD src0_sel:WORD_1
	;; [unrolled: 2-line block ×4, first 2 shown]
.LBB730_30:
	s_or_b64 exec, exec, s[2:3]
	s_waitcnt vmcnt(2)
	v_mul_f32_e32 v10, v19, v19
	v_fmac_f32_e32 v10, v18, v18
	v_fmac_f32_e32 v10, v32, v32
	;; [unrolled: 1-line block ×15, first 2 shown]
	s_nop 1
	v_mov_b32_dpp v11, v10 quad_perm:[1,0,3,2] row_mask:0xf bank_mask:0xf
	v_add_f32_e32 v10, v10, v11
	s_nop 1
	v_mov_b32_dpp v11, v10 quad_perm:[2,3,0,1] row_mask:0xf bank_mask:0xf
	v_add_f32_e32 v10, v10, v11
	s_nop 1
	v_mov_b32_dpp v11, v10 row_half_mirror row_mask:0xf bank_mask:0xf
	v_add_f32_e32 v10, v10, v11
	s_nop 1
	v_mov_b32_dpp v11, v10 row_mirror row_mask:0xf bank_mask:0xf
	v_add_f32_e32 v10, v10, v11
	s_nop 1
	v_mov_b32_dpp v11, v10 row_bcast:15 row_mask:0xf bank_mask:0xf
	v_add_f32_e32 v10, v10, v11
	s_nop 1
	v_mov_b32_dpp v11, v10 row_bcast:31 row_mask:0xf bank_mask:0xf
	s_and_saveexec_b64 s[2:3], s[0:1]
	s_cbranch_execz .LBB730_32
; %bb.31:
	v_lshrrev_b32_e32 v0, 4, v0
	v_add_f32_e32 v10, v10, v11
	v_and_b32_e32 v0, 60, v0
	ds_write_b32 v0, v10
.LBB730_32:
	s_or_b64 exec, exec, s[2:3]
	s_waitcnt lgkmcnt(0)
	s_barrier
	ds_read_b32 v0, v34
	s_waitcnt lgkmcnt(0)
	s_nop 0
	v_mov_b32_dpp v10, v0 quad_perm:[1,0,3,2] row_mask:0xf bank_mask:0xf
	s_and_saveexec_b64 s[0:1], vcc
	s_cbranch_execz .LBB730_12
; %bb.33:
	v_cvt_f32_u32_e32 v11, s20
	v_add_f32_e32 v0, v0, v10
	s_mov_b32 s15, 0x20000
	v_div_scale_f32 v10, s[0:1], v11, v11, v0
	v_rcp_f32_e32 v12, v10
	v_div_scale_f32 v13, vcc, v0, v11, v0
	s_mov_b32 s0, 0x800000
	v_fma_f32 v14, -v10, v12, 1.0
	v_fmac_f32_e32 v12, v14, v12
	v_mul_f32_e32 v14, v13, v12
	v_fma_f32 v15, -v10, v14, v13
	v_fmac_f32_e32 v14, v15, v12
	v_fma_f32 v10, -v10, v14, v13
	v_div_fmas_f32 v10, v10, v12, v14
	v_div_fixup_f32 v0, v10, v11, v0
	v_add_f32_e32 v0, s17, v0
	v_mul_f32_e32 v10, 0x4b800000, v0
	v_cmp_gt_f32_e32 vcc, s0, v0
	v_cndmask_b32_e32 v0, v0, v10, vcc
	v_rsq_f32_e32 v0, v0
	s_mul_hi_i32 s1, s7, s6
	s_mul_i32 s0, s7, s6
	s_lshl_b64 s[0:1], s[0:1], 1
	v_mul_f32_e32 v10, 0x45800000, v0
	v_cndmask_b32_e32 v10, v0, v10, vcc
	v_mov_b32_e32 v11, v10
	;;#ASMSTART
	v_pk_mul_f32 v[12:13], v[18:19], v[10:11]
	;;#ASMEND
	;;#ASMSTART
	v_pk_mul_f32 v[14:15], v[32:33], v[10:11]
	;;#ASMEND
	;; [unrolled: 3-line block ×4, first 2 shown]
	s_waitcnt vmcnt(1)
	v_cvt_f32_u32_sdwa v29, v6 dst_sel:DWORD dst_unused:UNUSED_PAD src0_sel:WORD_1
	v_cvt_f32_u32_sdwa v28, v6 dst_sel:DWORD dst_unused:UNUSED_PAD src0_sel:WORD_0
	v_cvt_f32_u32_sdwa v31, v7 dst_sel:DWORD dst_unused:UNUSED_PAD src0_sel:WORD_1
	v_cvt_f32_u32_sdwa v30, v7 dst_sel:DWORD dst_unused:UNUSED_PAD src0_sel:WORD_0
	;;#ASMSTART
	v_pk_mul_f32 v[26:27], v[26:27], v[10:11]
	;;#ASMEND
	;;#ASMSTART
	v_pk_mul_f32 v[24:25], v[24:25], v[10:11]
	;;#ASMEND
	;; [unrolled: 3-line block ×4, first 2 shown]
	v_cvt_f32_u32_sdwa v21, v8 dst_sel:DWORD dst_unused:UNUSED_PAD src0_sel:WORD_1
	v_cvt_f32_u32_sdwa v20, v8 dst_sel:DWORD dst_unused:UNUSED_PAD src0_sel:WORD_0
	v_pk_add_f32 v[10:11], v[28:29], 1.0 op_sel_hi:[1,0]
	;;#ASMSTART
	v_pk_mul_f32 v[10:11], v[12:13], v[10:11]
	;;#ASMEND
	v_pk_add_f32 v[12:13], v[30:31], 1.0 op_sel_hi:[1,0]
	v_cvt_f32_u32_sdwa v29, v9 dst_sel:DWORD dst_unused:UNUSED_PAD src0_sel:WORD_1
	v_cvt_f32_u32_sdwa v28, v9 dst_sel:DWORD dst_unused:UNUSED_PAD src0_sel:WORD_0
	;;#ASMSTART
	v_pk_mul_f32 v[8:9], v[14:15], v[12:13]
	;;#ASMEND
	v_pk_add_f32 v[12:13], v[20:21], 1.0 op_sel_hi:[1,0]
	;;#ASMSTART
	v_pk_mul_f32 v[12:13], v[16:17], v[12:13]
	;;#ASMEND
	s_waitcnt vmcnt(0)
	v_cvt_f32_u32_sdwa v17, v2 dst_sel:DWORD dst_unused:UNUSED_PAD src0_sel:WORD_1
	v_cvt_f32_u32_sdwa v16, v2 dst_sel:DWORD dst_unused:UNUSED_PAD src0_sel:WORD_0
	v_cvt_f32_u32_sdwa v21, v3 dst_sel:DWORD dst_unused:UNUSED_PAD src0_sel:WORD_1
	v_cvt_f32_u32_sdwa v20, v3 dst_sel:DWORD dst_unused:UNUSED_PAD src0_sel:WORD_0
	v_pk_add_f32 v[14:15], v[28:29], 1.0 op_sel_hi:[1,0]
	;;#ASMSTART
	v_pk_mul_f32 v[14:15], v[18:19], v[14:15]
	;;#ASMEND
	v_pk_add_f32 v[2:3], v[16:17], 1.0 op_sel_hi:[1,0]
	v_cvt_f32_u32_sdwa v19, v4 dst_sel:DWORD dst_unused:UNUSED_PAD src0_sel:WORD_1
	v_cvt_f32_u32_sdwa v18, v4 dst_sel:DWORD dst_unused:UNUSED_PAD src0_sel:WORD_0
	;;#ASMSTART
	v_pk_mul_f32 v[16:17], v[26:27], v[2:3]
	;;#ASMEND
	v_pk_add_f32 v[2:3], v[20:21], 1.0 op_sel_hi:[1,0]
	v_cvt_f32_u32_sdwa v21, v5 dst_sel:DWORD dst_unused:UNUSED_PAD src0_sel:WORD_1
	v_cvt_f32_u32_sdwa v20, v5 dst_sel:DWORD dst_unused:UNUSED_PAD src0_sel:WORD_0
	s_add_u32 s12, s28, s0
	;;#ASMSTART
	v_pk_mul_f32 v[24:25], v[24:25], v[2:3]
	;;#ASMEND
	v_pk_add_f32 v[2:3], v[18:19], 1.0 op_sel_hi:[1,0]
	s_addc_u32 s0, s29, s1
	;;#ASMSTART
	v_pk_mul_f32 v[18:19], v[22:23], v[2:3]
	;;#ASMEND
	v_pk_add_f32 v[2:3], v[20:21], 1.0 op_sel_hi:[1,0]
	s_and_b32 s13, s0, 0xffff
	s_mov_b32 s0, 0x7060302
	;;#ASMSTART
	v_pk_mul_f32 v[6:7], v[6:7], v[2:3]
	;;#ASMEND
	v_perm_b32 v2, v11, v10, s0
	v_perm_b32 v3, v9, v8, s0
	v_perm_b32 v4, v13, v12, s0
	v_perm_b32 v5, v15, v14, s0
	buffer_store_dwordx4 v[2:5], v1, s[12:15], 0 offen
	;;#ASMSTART
	s_nop 0
	;;#ASMEND
	s_nop 0
	v_perm_b32 v2, v17, v16, s0
	v_perm_b32 v3, v25, v24, s0
	;; [unrolled: 1-line block ×4, first 2 shown]
	buffer_store_dwordx4 v[2:5], v1, s[12:15], 16 offen
	;;#ASMSTART
	s_nop 0
	;;#ASMEND
	s_endpgm
	.section	.rodata,"a",@progbits
	.p2align	6, 0x0
	.amdhsa_kernel _ZN5aiter35fused_qk_rmsnorm_group_quant_kernelItDB8_Li128ELi16ELi2ELb0ELb1ELb1ELb0ELb0ELb0EEEvPT0_PvPT_S6_S6_PKS5_S8_S8_S8_S8_ffiiiiiiiiiiiii
		.amdhsa_group_segment_fixed_size 16
		.amdhsa_private_segment_fixed_size 0
		.amdhsa_kernarg_size 400
		.amdhsa_user_sgpr_count 6
		.amdhsa_user_sgpr_private_segment_buffer 1
		.amdhsa_user_sgpr_dispatch_ptr 0
		.amdhsa_user_sgpr_queue_ptr 0
		.amdhsa_user_sgpr_kernarg_segment_ptr 1
		.amdhsa_user_sgpr_dispatch_id 0
		.amdhsa_user_sgpr_flat_scratch_init 0
		.amdhsa_user_sgpr_kernarg_preload_length 0
		.amdhsa_user_sgpr_kernarg_preload_offset 0
		.amdhsa_user_sgpr_private_segment_size 0
		.amdhsa_uses_dynamic_stack 0
		.amdhsa_system_sgpr_private_segment_wavefront_offset 0
		.amdhsa_system_sgpr_workgroup_id_x 1
		.amdhsa_system_sgpr_workgroup_id_y 1
		.amdhsa_system_sgpr_workgroup_id_z 0
		.amdhsa_system_sgpr_workgroup_info 0
		.amdhsa_system_vgpr_workitem_id 0
		.amdhsa_next_free_vgpr 36
		.amdhsa_next_free_sgpr 36
		.amdhsa_accum_offset 36
		.amdhsa_reserve_vcc 1
		.amdhsa_reserve_flat_scratch 0
		.amdhsa_float_round_mode_32 0
		.amdhsa_float_round_mode_16_64 0
		.amdhsa_float_denorm_mode_32 3
		.amdhsa_float_denorm_mode_16_64 3
		.amdhsa_dx10_clamp 1
		.amdhsa_ieee_mode 1
		.amdhsa_fp16_overflow 0
		.amdhsa_tg_split 0
		.amdhsa_exception_fp_ieee_invalid_op 0
		.amdhsa_exception_fp_denorm_src 0
		.amdhsa_exception_fp_ieee_div_zero 0
		.amdhsa_exception_fp_ieee_overflow 0
		.amdhsa_exception_fp_ieee_underflow 0
		.amdhsa_exception_fp_ieee_inexact 0
		.amdhsa_exception_int_div_zero 0
	.end_amdhsa_kernel
	.section	.text._ZN5aiter35fused_qk_rmsnorm_group_quant_kernelItDB8_Li128ELi16ELi2ELb0ELb1ELb1ELb0ELb0ELb0EEEvPT0_PvPT_S6_S6_PKS5_S8_S8_S8_S8_ffiiiiiiiiiiiii,"axG",@progbits,_ZN5aiter35fused_qk_rmsnorm_group_quant_kernelItDB8_Li128ELi16ELi2ELb0ELb1ELb1ELb0ELb0ELb0EEEvPT0_PvPT_S6_S6_PKS5_S8_S8_S8_S8_ffiiiiiiiiiiiii,comdat
.Lfunc_end730:
	.size	_ZN5aiter35fused_qk_rmsnorm_group_quant_kernelItDB8_Li128ELi16ELi2ELb0ELb1ELb1ELb0ELb0ELb0EEEvPT0_PvPT_S6_S6_PKS5_S8_S8_S8_S8_ffiiiiiiiiiiiii, .Lfunc_end730-_ZN5aiter35fused_qk_rmsnorm_group_quant_kernelItDB8_Li128ELi16ELi2ELb0ELb1ELb1ELb0ELb0ELb0EEEvPT0_PvPT_S6_S6_PKS5_S8_S8_S8_S8_ffiiiiiiiiiiiii
                                        ; -- End function
	.section	.AMDGPU.csdata,"",@progbits
; Kernel info:
; codeLenInByte = 3704
; NumSgprs: 40
; NumVgprs: 36
; NumAgprs: 0
; TotalNumVgprs: 36
; ScratchSize: 0
; MemoryBound: 0
; FloatMode: 240
; IeeeMode: 1
; LDSByteSize: 16 bytes/workgroup (compile time only)
; SGPRBlocks: 4
; VGPRBlocks: 4
; NumSGPRsForWavesPerEU: 40
; NumVGPRsForWavesPerEU: 36
; AccumOffset: 36
; Occupancy: 8
; WaveLimiterHint : 0
; COMPUTE_PGM_RSRC2:SCRATCH_EN: 0
; COMPUTE_PGM_RSRC2:USER_SGPR: 6
; COMPUTE_PGM_RSRC2:TRAP_HANDLER: 0
; COMPUTE_PGM_RSRC2:TGID_X_EN: 1
; COMPUTE_PGM_RSRC2:TGID_Y_EN: 1
; COMPUTE_PGM_RSRC2:TGID_Z_EN: 0
; COMPUTE_PGM_RSRC2:TIDIG_COMP_CNT: 0
; COMPUTE_PGM_RSRC3_GFX90A:ACCUM_OFFSET: 8
; COMPUTE_PGM_RSRC3_GFX90A:TG_SPLIT: 0
	.section	.text._ZN5aiter35fused_qk_rmsnorm_group_quant_kernelIDF16_N4opus5fp4_tELi128ELi16ELi2ELb0ELb1ELb1ELb0ELb0ELb0EEEvPT0_PvPT_S7_S7_PKS6_S9_S9_S9_S9_ffiiiiiiiiiiiii,"axG",@progbits,_ZN5aiter35fused_qk_rmsnorm_group_quant_kernelIDF16_N4opus5fp4_tELi128ELi16ELi2ELb0ELb1ELb1ELb0ELb0ELb0EEEvPT0_PvPT_S7_S7_PKS6_S9_S9_S9_S9_ffiiiiiiiiiiiii,comdat
	.protected	_ZN5aiter35fused_qk_rmsnorm_group_quant_kernelIDF16_N4opus5fp4_tELi128ELi16ELi2ELb0ELb1ELb1ELb0ELb0ELb0EEEvPT0_PvPT_S7_S7_PKS6_S9_S9_S9_S9_ffiiiiiiiiiiiii ; -- Begin function _ZN5aiter35fused_qk_rmsnorm_group_quant_kernelIDF16_N4opus5fp4_tELi128ELi16ELi2ELb0ELb1ELb1ELb0ELb0ELb0EEEvPT0_PvPT_S7_S7_PKS6_S9_S9_S9_S9_ffiiiiiiiiiiiii
	.globl	_ZN5aiter35fused_qk_rmsnorm_group_quant_kernelIDF16_N4opus5fp4_tELi128ELi16ELi2ELb0ELb1ELb1ELb0ELb0ELb0EEEvPT0_PvPT_S7_S7_PKS6_S9_S9_S9_S9_ffiiiiiiiiiiiii
	.p2align	8
	.type	_ZN5aiter35fused_qk_rmsnorm_group_quant_kernelIDF16_N4opus5fp4_tELi128ELi16ELi2ELb0ELb1ELb1ELb0ELb0ELb0EEEvPT0_PvPT_S7_S7_PKS6_S9_S9_S9_S9_ffiiiiiiiiiiiii,@function
_ZN5aiter35fused_qk_rmsnorm_group_quant_kernelIDF16_N4opus5fp4_tELi128ELi16ELi2ELb0ELb1ELb1ELb0ELb0ELb0EEEvPT0_PvPT_S7_S7_PKS6_S9_S9_S9_S9_ffiiiiiiiiiiiii: ; @_ZN5aiter35fused_qk_rmsnorm_group_quant_kernelIDF16_N4opus5fp4_tELi128ELi16ELi2ELb0ELb1ELb1ELb0ELb0ELb0EEEvPT0_PvPT_S7_S7_PKS6_S9_S9_S9_S9_ffiiiiiiiiiiiii
; %bb.0:
	s_load_dwordx4 s[16:19], s[4:5], 0x50
	s_waitcnt lgkmcnt(0)
	s_cmp_ge_i32 s6, s18
	s_cbranch_scc1 .LBB731_12
; %bb.1:
	s_load_dwordx2 s[12:13], s[4:5], 0x48
	s_load_dwordx2 s[30:31], s[4:5], 0x30
	s_load_dwordx4 s[20:23], s[4:5], 0x60
	s_cmp_lg_u32 s7, 0
	s_cselect_b64 s[14:15], -1, 0
	s_cmp_eq_u32 s7, 0
	s_cselect_b64 vcc, -1, 0
	s_and_b64 s[0:1], vcc, exec
	s_waitcnt lgkmcnt(0)
	s_cselect_b32 s7, s19, s20
	s_add_i32 s0, s7, 1
	s_lshr_b32 s1, s0, 31
	s_add_i32 s0, s0, s1
	s_lshl_b32 s0, s0, 1
	v_lshlrev_b32_e32 v1, 4, v0
	s_and_b32 s10, s0, -4
	v_cmp_gt_i32_e64 s[2:3], s7, v1
	v_mov_b32_e32 v18, 0
	v_mov_b32_e32 v6, 0
	;; [unrolled: 1-line block ×17, first 2 shown]
	s_and_saveexec_b64 s[0:1], s[2:3]
	s_cbranch_execz .LBB731_3
; %bb.2:
	s_load_dwordx2 s[8:9], s[4:5], 0x28
	s_load_dwordx2 s[26:27], s[4:5], 0x40
	s_and_b64 s[24:25], vcc, exec
	s_cselect_b32 s11, s21, s22
	v_lshlrev_b32_e32 v19, 5, v0
	s_waitcnt lgkmcnt(0)
	s_cselect_b32 s18, s9, s31
	s_cselect_b32 s21, s8, s30
	s_mul_hi_i32 s9, s11, s6
	s_mul_i32 s8, s11, s6
	s_lshl_b64 s[8:9], s[8:9], 1
	s_add_u32 s24, s21, s8
	s_addc_u32 s18, s18, s9
	s_and_b64 s[8:9], vcc, exec
	s_mov_b32 s11, 0x20000
	s_cselect_b32 s8, s26, s12
	s_cselect_b32 s9, s27, s13
	s_and_b32 s25, s18, 0xffff
	s_mov_b32 s26, s10
	s_mov_b32 s27, s11
	s_and_b32 s9, s9, 0xffff
	buffer_load_dwordx4 v[14:17], v19, s[24:27], 0 offen
	buffer_load_dwordx4 v[10:13], v19, s[24:27], 16 offen
	;; [unrolled: 1-line block ×4, first 2 shown]
.LBB731_3:
	s_or_b64 exec, exec, s[0:1]
	v_mov_b32_e32 v19, 0
	v_mov_b32_e32 v22, 0
	;; [unrolled: 1-line block ×15, first 2 shown]
	s_and_saveexec_b64 s[0:1], s[2:3]
	s_cbranch_execz .LBB731_5
; %bb.4:
	s_waitcnt vmcnt(3)
	v_cvt_f32_f16_sdwa v19, v14 dst_sel:DWORD dst_unused:UNUSED_PAD src0_sel:WORD_1
	v_cvt_f32_f16_e32 v18, v14
	v_cvt_f32_f16_sdwa v23, v15 dst_sel:DWORD dst_unused:UNUSED_PAD src0_sel:WORD_1
	v_cvt_f32_f16_e32 v22, v15
	;; [unrolled: 2-line block ×4, first 2 shown]
	s_waitcnt vmcnt(2)
	v_cvt_f32_f16_sdwa v27, v10 dst_sel:DWORD dst_unused:UNUSED_PAD src0_sel:WORD_1
	v_cvt_f32_f16_e32 v26, v10
	v_cvt_f32_f16_sdwa v33, v11 dst_sel:DWORD dst_unused:UNUSED_PAD src0_sel:WORD_1
	v_cvt_f32_f16_e32 v32, v11
	;; [unrolled: 2-line block ×4, first 2 shown]
.LBB731_5:
	s_or_b64 exec, exec, s[0:1]
	s_waitcnt vmcnt(2)
	v_mul_f32_e32 v10, v19, v19
	v_fmac_f32_e32 v10, v18, v18
	v_fmac_f32_e32 v10, v22, v22
	;; [unrolled: 1-line block ×15, first 2 shown]
	v_and_b32_e32 v12, 63, v0
	v_cmp_eq_u32_e64 s[0:1], 63, v12
	v_mov_b32_dpp v11, v10 quad_perm:[1,0,3,2] row_mask:0xf bank_mask:0xf
	v_add_f32_e32 v10, v10, v11
	s_nop 1
	v_mov_b32_dpp v11, v10 quad_perm:[2,3,0,1] row_mask:0xf bank_mask:0xf
	v_add_f32_e32 v10, v10, v11
	s_nop 1
	v_mov_b32_dpp v11, v10 row_half_mirror row_mask:0xf bank_mask:0xf
	v_add_f32_e32 v10, v10, v11
	s_nop 1
	v_mov_b32_dpp v11, v10 row_mirror row_mask:0xf bank_mask:0xf
	v_add_f32_e32 v10, v10, v11
	s_nop 1
	v_mov_b32_dpp v11, v10 row_bcast:15 row_mask:0xf bank_mask:0xf
	v_add_f32_e32 v10, v10, v11
	s_nop 1
	v_mov_b32_dpp v11, v10 row_bcast:31 row_mask:0xf bank_mask:0xf
	s_and_saveexec_b64 s[8:9], s[0:1]
	s_cbranch_execz .LBB731_7
; %bb.6:
	v_add_f32_e32 v10, v10, v11
	v_lshrrev_b32_e32 v11, 4, v0
	v_and_b32_e32 v11, 60, v11
	ds_write_b32 v11, v10 offset:8
.LBB731_7:
	s_or_b64 exec, exec, s[8:9]
	v_and_b32_e32 v10, 1, v0
	v_lshlrev_b32_e32 v34, 2, v10
	s_waitcnt lgkmcnt(0)
	s_barrier
	ds_read_b32 v11, v34 offset:8
	s_load_dwordx2 s[28:29], s[4:5], 0x18
	s_waitcnt lgkmcnt(0)
	v_mov_b32_dpp v12, v11 quad_perm:[1,0,3,2] row_mask:0xf bank_mask:0xf
	s_and_saveexec_b64 s[8:9], s[2:3]
	s_cbranch_execz .LBB731_9
; %bb.8:
	v_cvt_f32_u32_e32 v13, s7
	v_add_f32_e32 v11, v11, v12
	v_mov_b32_e32 v15, s17
	v_mov_b32_e32 v16, s16
	v_div_scale_f32 v12, s[24:25], v13, v13, v11
	v_rcp_f32_e32 v14, v12
	v_cndmask_b32_e32 v15, v15, v16, vcc
	s_mov_b32 s7, 0x800000
	v_fma_f32 v16, -v12, v14, 1.0
	v_fmac_f32_e32 v14, v16, v14
	v_div_scale_f32 v16, vcc, v11, v13, v11
	v_mul_f32_e32 v17, v16, v14
	v_fma_f32 v35, -v12, v17, v16
	v_fmac_f32_e32 v17, v35, v14
	v_fma_f32 v12, -v12, v17, v16
	v_div_fmas_f32 v12, v12, v14, v17
	v_div_fixup_f32 v11, v12, v13, v11
	v_add_f32_e32 v11, v15, v11
	v_mul_f32_e32 v12, 0x4b800000, v11
	v_cmp_gt_f32_e32 vcc, s7, v11
	v_cndmask_b32_e32 v11, v11, v12, vcc
	v_rsq_f32_e32 v11, v11
	v_mul_f32_e32 v12, 0x45800000, v11
	v_cndmask_b32_e32 v12, v11, v12, vcc
	v_mov_b32_e32 v13, v12
	;;#ASMSTART
	v_pk_mul_f32 v[14:15], v[18:19], v[12:13]
	;;#ASMEND
	s_waitcnt vmcnt(1)
	v_cvt_f32_f16_sdwa v19, v6 dst_sel:DWORD dst_unused:UNUSED_PAD src0_sel:WORD_1
	v_cvt_f32_f16_e32 v18, v6
	;;#ASMSTART
	v_pk_mul_f32 v[16:17], v[22:23], v[12:13]
	;;#ASMEND
	v_cvt_f32_f16_sdwa v23, v7 dst_sel:DWORD dst_unused:UNUSED_PAD src0_sel:WORD_1
	v_cvt_f32_f16_e32 v22, v7
	;;#ASMSTART
	v_pk_mul_f32 v[20:21], v[20:21], v[12:13]
	;;#ASMEND
	;;#ASMSTART
	v_pk_mul_f32 v[28:29], v[28:29], v[12:13]
	;;#ASMEND
	;; [unrolled: 3-line block ×6, first 2 shown]
	v_pk_add_f32 v[12:13], v[18:19], 1.0 op_sel_hi:[1,0]
	;;#ASMSTART
	v_pk_mul_f32 v[18:19], v[14:15], v[12:13]
	;;#ASMEND
	v_cvt_f32_f16_sdwa v15, v8 dst_sel:DWORD dst_unused:UNUSED_PAD src0_sel:WORD_1
	v_cvt_f32_f16_e32 v14, v8
	v_cvt_f32_f16_sdwa v25, v9 dst_sel:DWORD dst_unused:UNUSED_PAD src0_sel:WORD_1
	v_cvt_f32_f16_e32 v24, v9
	v_pk_add_f32 v[12:13], v[22:23], 1.0 op_sel_hi:[1,0]
	;;#ASMSTART
	v_pk_mul_f32 v[22:23], v[16:17], v[12:13]
	;;#ASMEND
	s_waitcnt vmcnt(0)
	v_cvt_f32_f16_sdwa v13, v2 dst_sel:DWORD dst_unused:UNUSED_PAD src0_sel:WORD_1
	v_cvt_f32_f16_e32 v12, v2
	v_pk_add_f32 v[8:9], v[14:15], 1.0 op_sel_hi:[1,0]
	;;#ASMSTART
	v_pk_mul_f32 v[20:21], v[20:21], v[8:9]
	;;#ASMEND
	v_pk_add_f32 v[8:9], v[24:25], 1.0 op_sel_hi:[1,0]
	v_cvt_f32_f16_sdwa v15, v3 dst_sel:DWORD dst_unused:UNUSED_PAD src0_sel:WORD_1
	v_cvt_f32_f16_e32 v14, v3
	;;#ASMSTART
	v_pk_mul_f32 v[28:29], v[28:29], v[8:9]
	;;#ASMEND
	v_cvt_f32_f16_sdwa v9, v4 dst_sel:DWORD dst_unused:UNUSED_PAD src0_sel:WORD_1
	v_cvt_f32_f16_e32 v8, v4
	v_pk_add_f32 v[2:3], v[12:13], 1.0 op_sel_hi:[1,0]
	v_cvt_f32_f16_sdwa v13, v5 dst_sel:DWORD dst_unused:UNUSED_PAD src0_sel:WORD_1
	v_cvt_f32_f16_e32 v12, v5
	;;#ASMSTART
	v_pk_mul_f32 v[26:27], v[26:27], v[2:3]
	;;#ASMEND
	v_pk_add_f32 v[2:3], v[14:15], 1.0 op_sel_hi:[1,0]
	;;#ASMSTART
	v_pk_mul_f32 v[32:33], v[32:33], v[2:3]
	;;#ASMEND
	v_pk_add_f32 v[2:3], v[8:9], 1.0 op_sel_hi:[1,0]
	;; [unrolled: 4-line block ×3, first 2 shown]
	;;#ASMSTART
	v_pk_mul_f32 v[24:25], v[6:7], v[2:3]
	;;#ASMEND
.LBB731_9:
	s_or_b64 exec, exec, s[8:9]
	s_load_dword s7, s[4:5], 0x80
	s_mov_b64 s[8:9], -1
	s_and_b64 vcc, exec, s[14:15]
	s_cbranch_vccnz .LBB731_13
; %bb.10:
	s_andn2_b64 vcc, exec, s[8:9]
	s_cbranch_vccz .LBB731_16
.LBB731_11:
	s_cmp_lt_i32 s20, 1
	s_cbranch_scc0 .LBB731_25
.LBB731_12:
	s_endpgm
.LBB731_13:
	s_and_saveexec_b64 s[14:15], s[2:3]
	s_cbranch_execz .LBB731_15
; %bb.14:
	s_waitcnt lgkmcnt(0)
	s_mul_hi_i32 s9, s7, s6
	s_mul_i32 s8, s7, s6
	s_waitcnt vmcnt(0)
	v_cvt_f16_f32_e32 v2, v18
	v_cvt_f16_f32_e32 v3, v22
	;; [unrolled: 1-line block ×8, first 2 shown]
	s_lshl_b64 s[8:9], s[8:9], 1
	s_add_u32 s8, s28, s8
	s_addc_u32 s9, s29, s9
	s_and_b32 s9, s9, 0xffff
	s_mov_b32 s11, 0x20000
	v_pack_b32_f16 v5, v5, v6
	v_pack_b32_f16 v4, v4, v7
	;; [unrolled: 1-line block ×4, first 2 shown]
	v_lshlrev_b32_e32 v6, 5, v0
	buffer_store_dwordx4 v[2:5], v6, s[8:11], 0 offen
	v_cvt_f16_f32_e32 v7, v25
	v_cvt_f16_f32_e32 v2, v26
	;; [unrolled: 1-line block ×8, first 2 shown]
	v_pack_b32_f16 v5, v5, v7
	v_pack_b32_f16 v4, v4, v8
	;; [unrolled: 1-line block ×4, first 2 shown]
	;;#ASMSTART
	s_nop 0
	;;#ASMEND
	buffer_store_dwordx4 v[2:5], v6, s[8:11], 16 offen
	;;#ASMSTART
	s_nop 0
	;;#ASMEND
.LBB731_15:
	s_or_b64 exec, exec, s[14:15]
	s_cbranch_execnz .LBB731_11
.LBB731_16:
	s_load_dwordx4 s[24:27], s[4:5], 0x70
	s_waitcnt vmcnt(0)
	v_mov_b32_e32 v2, 0
	s_and_saveexec_b64 s[14:15], s[2:3]
	s_cbranch_execz .LBB731_18
; %bb.17:
	s_load_dwordx2 s[8:9], s[4:5], 0x10
	s_waitcnt lgkmcnt(0)
	s_mul_hi_i32 s35, s27, s6
	s_mul_i32 s34, s27, s6
	v_cvt_f16_f32_e32 v2, v18
	v_cvt_f16_f32_e32 v3, v22
	;; [unrolled: 1-line block ×8, first 2 shown]
	s_lshl_b64 s[34:35], s[34:35], 1
	s_add_u32 s8, s8, s34
	s_addc_u32 s9, s9, s35
	s_mov_b32 s11, 0x20000
	s_and_b32 s9, s9, 0xffff
	v_pack_b32_f16 v5, v5, v6
	v_pack_b32_f16 v4, v4, v7
	;; [unrolled: 1-line block ×4, first 2 shown]
	v_lshlrev_b32_e32 v6, 5, v0
	buffer_store_dwordx4 v[2:5], v6, s[8:11], 0 offen
	v_cvt_f16_f32_e32 v7, v25
	v_cvt_f16_f32_e32 v2, v26
	;; [unrolled: 1-line block ×8, first 2 shown]
	v_pack_b32_f16 v5, v5, v7
	v_pack_b32_f16 v4, v4, v8
	;; [unrolled: 1-line block ×4, first 2 shown]
	;;#ASMSTART
	s_nop 0
	;;#ASMEND
	buffer_store_dwordx4 v[2:5], v6, s[8:11], 16 offen
	;;#ASMSTART
	s_nop 0
	;;#ASMEND
	s_nop 0
	v_mov_b32_e32 v2, 0x2edbe6ff
.LBB731_18:
	s_or_b64 exec, exec, s[14:15]
	s_and_saveexec_b64 s[8:9], s[2:3]
	s_cbranch_execz .LBB731_20
; %bb.19:
	v_and_b32_e32 v3, 0x7fffffff, v18
	v_and_b32_e32 v4, 0x7fffffff, v19
	;;#ASMSTART
	v_max3_f32 v2, v2, v3, v4

	;;#ASMEND
	v_and_b32_e32 v3, 0x7fffffff, v22
	v_and_b32_e32 v4, 0x7fffffff, v23
	;;#ASMSTART
	v_max3_f32 v2, v2, v3, v4

	;;#ASMEND
	;; [unrolled: 6-line block ×8, first 2 shown]
.LBB731_20:
	s_or_b64 exec, exec, s[8:9]
	v_cmp_eq_u32_e32 vcc, 0, v10
	v_cmp_gt_i32_e64 s[8:9], s19, v1
	s_and_b64 s[10:11], vcc, s[8:9]
	;;#ASMSTART
	v_max_f32 v3, v2, v2 quad_perm:[1,0,3,2] row_mask:0xf bank_mask:0xf bound_ctrl:1
	;;#ASMEND
	s_and_saveexec_b64 s[8:9], s[10:11]
	s_cbranch_execz .LBB731_22
; %bb.21:
	s_load_dwordx2 s[10:11], s[4:5], 0x8
	v_mul_f32_e32 v2, 0x3e2aaaab, v3
	v_lshrrev_b32_e32 v3, 23, v2
	v_and_b32_e32 v4, 0x7f800000, v2
	v_and_b32_e32 v2, 0x7fffff, v2
	v_cmp_ne_u32_e32 vcc, 0, v2
	s_waitcnt lgkmcnt(0)
	s_mul_i32 s16, s25, s6
	s_mov_b32 s14, 0x7f800000
	v_addc_co_u32_e32 v2, vcc, 0, v3, vcc
	s_mul_hi_i32 s15, s25, s6
	s_add_u32 s10, s10, s16
	v_cmp_ne_u32_e32 vcc, s14, v4
	s_addc_u32 s11, s11, s15
	v_lshrrev_b32_e32 v5, 1, v0
	v_cndmask_b32_e32 v4, -1, v2, vcc
	v_pk_mov_b32 v[2:3], s[10:11], s[10:11] op_sel:[0,1]
	v_mad_i64_i32 v[2:3], s[10:11], s26, v5, v[2:3]
	global_store_byte v[2:3], v4, off
.LBB731_22:
	s_or_b64 exec, exec, s[8:9]
	s_and_saveexec_b64 s[8:9], s[2:3]
	s_cbranch_execz .LBB731_24
; %bb.23:
	s_load_dwordx2 s[2:3], s[4:5], 0x0
	s_waitcnt lgkmcnt(0)
	s_mul_i32 s11, s24, s6
	s_mul_hi_i32 s10, s24, s6
	v_mov_b32_e32 v2, 0
	v_lshlrev_b32_e32 v4, 3, v0
	s_add_u32 s24, s2, s11
	s_addc_u32 s2, s3, s10
	s_lshr_b32 s3, s19, 31
	s_add_i32 s3, s19, s3
	s_ashr_i32 s3, s3, 1
	s_add_i32 s3, s3, 3
	s_ashr_i32 s10, s3, 31
	s_lshr_b32 s10, s10, 30
	s_add_i32 s3, s3, s10
	s_and_b32 s26, s3, -4
	s_and_b32 s25, s2, 0xffff
	s_mov_b32 s27, 0x20000
	v_mov_b32_e32 v3, v2
	buffer_store_dwordx2 v[2:3], v4, s[24:27], 0 offen
	;;#ASMSTART
	s_nop 0
	;;#ASMEND
.LBB731_24:
	s_or_b64 exec, exec, s[8:9]
	s_cmp_lt_i32 s20, 1
	s_cbranch_scc1 .LBB731_12
.LBB731_25:
	s_load_dword s2, s[4:5], 0x94
	s_waitcnt lgkmcnt(0)
	s_cmp_lg_u32 s2, 1
	s_cbranch_scc1 .LBB731_12
; %bb.26:
	s_lshl_b32 s2, s20, 1
	s_add_i32 s2, s2, 2
	v_cmp_gt_u32_e32 vcc, s20, v1
	s_and_b32 s14, s2, -4
	v_mov_b32_e32 v18, 0
	v_lshlrev_b32_e32 v1, 5, v0
	v_mov_b32_e32 v14, 0
	v_mov_b32_e32 v15, 0
	;; [unrolled: 1-line block ×8, first 2 shown]
	s_waitcnt vmcnt(1)
	v_mov_b32_e32 v6, 0
	v_mov_b32_e32 v7, 0
	v_mov_b32_e32 v8, 0
	v_mov_b32_e32 v9, 0
	s_waitcnt vmcnt(0)
	v_mov_b32_e32 v2, 0
	v_mov_b32_e32 v3, 0
	;; [unrolled: 1-line block ×4, first 2 shown]
	s_barrier
	s_and_saveexec_b64 s[2:3], vcc
	s_cbranch_execz .LBB731_28
; %bb.27:
	s_mul_hi_i32 s5, s22, s6
	s_mul_i32 s4, s22, s6
	s_and_b32 s13, s13, 0xffff
	s_lshl_b64 s[4:5], s[4:5], 1
	s_add_u32 s8, s30, s4
	s_mov_b32 s15, 0x20000
	s_addc_u32 s4, s31, s5
	s_and_b32 s9, s4, 0xffff
	s_mov_b32 s10, s14
	s_mov_b32 s11, s15
	buffer_load_dwordx4 v[14:17], v1, s[8:11], 0 offen
	buffer_load_dwordx4 v[10:13], v1, s[8:11], 16 offen
	buffer_load_dwordx4 v[6:9], v1, s[12:15], 0 offen
	buffer_load_dwordx4 v[2:5], v1, s[12:15], 16 offen
.LBB731_28:
	s_or_b64 exec, exec, s[2:3]
	v_mov_b32_e32 v19, 0
	v_mov_b32_e32 v32, 0
	;; [unrolled: 1-line block ×15, first 2 shown]
	s_and_saveexec_b64 s[2:3], vcc
	s_cbranch_execz .LBB731_30
; %bb.29:
	s_waitcnt vmcnt(3)
	v_cvt_f32_f16_sdwa v19, v14 dst_sel:DWORD dst_unused:UNUSED_PAD src0_sel:WORD_1
	v_cvt_f32_f16_e32 v18, v14
	v_cvt_f32_f16_sdwa v33, v15 dst_sel:DWORD dst_unused:UNUSED_PAD src0_sel:WORD_1
	v_cvt_f32_f16_e32 v32, v15
	;; [unrolled: 2-line block ×4, first 2 shown]
	s_waitcnt vmcnt(2)
	v_cvt_f32_f16_sdwa v27, v10 dst_sel:DWORD dst_unused:UNUSED_PAD src0_sel:WORD_1
	v_cvt_f32_f16_e32 v26, v10
	v_cvt_f32_f16_sdwa v25, v11 dst_sel:DWORD dst_unused:UNUSED_PAD src0_sel:WORD_1
	v_cvt_f32_f16_e32 v24, v11
	;; [unrolled: 2-line block ×4, first 2 shown]
.LBB731_30:
	s_or_b64 exec, exec, s[2:3]
	s_waitcnt vmcnt(2)
	v_mul_f32_e32 v10, v19, v19
	v_fmac_f32_e32 v10, v18, v18
	v_fmac_f32_e32 v10, v32, v32
	;; [unrolled: 1-line block ×15, first 2 shown]
	s_nop 1
	v_mov_b32_dpp v11, v10 quad_perm:[1,0,3,2] row_mask:0xf bank_mask:0xf
	v_add_f32_e32 v10, v10, v11
	s_nop 1
	v_mov_b32_dpp v11, v10 quad_perm:[2,3,0,1] row_mask:0xf bank_mask:0xf
	v_add_f32_e32 v10, v10, v11
	s_nop 1
	v_mov_b32_dpp v11, v10 row_half_mirror row_mask:0xf bank_mask:0xf
	v_add_f32_e32 v10, v10, v11
	s_nop 1
	v_mov_b32_dpp v11, v10 row_mirror row_mask:0xf bank_mask:0xf
	v_add_f32_e32 v10, v10, v11
	s_nop 1
	v_mov_b32_dpp v11, v10 row_bcast:15 row_mask:0xf bank_mask:0xf
	v_add_f32_e32 v10, v10, v11
	s_nop 1
	v_mov_b32_dpp v11, v10 row_bcast:31 row_mask:0xf bank_mask:0xf
	s_and_saveexec_b64 s[2:3], s[0:1]
	s_cbranch_execz .LBB731_32
; %bb.31:
	v_lshrrev_b32_e32 v0, 4, v0
	v_add_f32_e32 v10, v10, v11
	v_and_b32_e32 v0, 60, v0
	ds_write_b32 v0, v10
.LBB731_32:
	s_or_b64 exec, exec, s[2:3]
	s_waitcnt lgkmcnt(0)
	s_barrier
	ds_read_b32 v0, v34
	s_waitcnt lgkmcnt(0)
	s_nop 0
	v_mov_b32_dpp v10, v0 quad_perm:[1,0,3,2] row_mask:0xf bank_mask:0xf
	s_and_saveexec_b64 s[0:1], vcc
	s_cbranch_execz .LBB731_12
; %bb.33:
	v_cvt_f32_u32_e32 v11, s20
	v_add_f32_e32 v0, v0, v10
	s_mov_b32 s15, 0x20000
	v_div_scale_f32 v10, s[0:1], v11, v11, v0
	v_rcp_f32_e32 v12, v10
	v_div_scale_f32 v13, vcc, v0, v11, v0
	s_mov_b32 s0, 0x800000
	v_fma_f32 v14, -v10, v12, 1.0
	v_fmac_f32_e32 v12, v14, v12
	v_mul_f32_e32 v14, v13, v12
	v_fma_f32 v15, -v10, v14, v13
	v_fmac_f32_e32 v14, v15, v12
	v_fma_f32 v10, -v10, v14, v13
	v_div_fmas_f32 v10, v10, v12, v14
	v_div_fixup_f32 v0, v10, v11, v0
	v_add_f32_e32 v0, s17, v0
	v_mul_f32_e32 v10, 0x4b800000, v0
	v_cmp_gt_f32_e32 vcc, s0, v0
	v_cndmask_b32_e32 v0, v0, v10, vcc
	v_rsq_f32_e32 v0, v0
	s_mul_hi_i32 s1, s7, s6
	s_mul_i32 s0, s7, s6
	s_lshl_b64 s[0:1], s[0:1], 1
	v_mul_f32_e32 v10, 0x45800000, v0
	v_cndmask_b32_e32 v10, v0, v10, vcc
	v_mov_b32_e32 v11, v10
	;;#ASMSTART
	v_pk_mul_f32 v[12:13], v[18:19], v[10:11]
	;;#ASMEND
	;;#ASMSTART
	v_pk_mul_f32 v[14:15], v[32:33], v[10:11]
	;;#ASMEND
	;; [unrolled: 3-line block ×4, first 2 shown]
	s_waitcnt vmcnt(1)
	v_cvt_f32_f16_sdwa v29, v6 dst_sel:DWORD dst_unused:UNUSED_PAD src0_sel:WORD_1
	v_cvt_f32_f16_e32 v28, v6
	v_cvt_f32_f16_sdwa v31, v7 dst_sel:DWORD dst_unused:UNUSED_PAD src0_sel:WORD_1
	v_cvt_f32_f16_e32 v30, v7
	;;#ASMSTART
	v_pk_mul_f32 v[26:27], v[26:27], v[10:11]
	;;#ASMEND
	;;#ASMSTART
	v_pk_mul_f32 v[24:25], v[24:25], v[10:11]
	;;#ASMEND
	;; [unrolled: 3-line block ×4, first 2 shown]
	v_cvt_f32_f16_sdwa v21, v8 dst_sel:DWORD dst_unused:UNUSED_PAD src0_sel:WORD_1
	v_cvt_f32_f16_e32 v20, v8
	v_pk_add_f32 v[10:11], v[28:29], 1.0 op_sel_hi:[1,0]
	;;#ASMSTART
	v_pk_mul_f32 v[10:11], v[12:13], v[10:11]
	;;#ASMEND
	v_pk_add_f32 v[12:13], v[30:31], 1.0 op_sel_hi:[1,0]
	v_cvt_f32_f16_sdwa v29, v9 dst_sel:DWORD dst_unused:UNUSED_PAD src0_sel:WORD_1
	v_cvt_f32_f16_e32 v28, v9
	;;#ASMSTART
	v_pk_mul_f32 v[8:9], v[14:15], v[12:13]
	;;#ASMEND
	v_pk_add_f32 v[12:13], v[20:21], 1.0 op_sel_hi:[1,0]
	;;#ASMSTART
	v_pk_mul_f32 v[12:13], v[16:17], v[12:13]
	;;#ASMEND
	s_waitcnt vmcnt(0)
	v_cvt_f32_f16_sdwa v17, v2 dst_sel:DWORD dst_unused:UNUSED_PAD src0_sel:WORD_1
	v_cvt_f32_f16_e32 v16, v2
	v_cvt_f32_f16_sdwa v21, v3 dst_sel:DWORD dst_unused:UNUSED_PAD src0_sel:WORD_1
	v_cvt_f32_f16_e32 v20, v3
	v_pk_add_f32 v[14:15], v[28:29], 1.0 op_sel_hi:[1,0]
	;;#ASMSTART
	v_pk_mul_f32 v[2:3], v[18:19], v[14:15]
	;;#ASMEND
	v_cvt_f32_f16_sdwa v19, v4 dst_sel:DWORD dst_unused:UNUSED_PAD src0_sel:WORD_1
	v_cvt_f32_f16_e32 v18, v4
	v_pk_add_f32 v[14:15], v[16:17], 1.0 op_sel_hi:[1,0]
	v_pk_add_f32 v[16:17], v[20:21], 1.0 op_sel_hi:[1,0]
	v_cvt_f32_f16_sdwa v21, v5 dst_sel:DWORD dst_unused:UNUSED_PAD src0_sel:WORD_1
	v_cvt_f32_f16_e32 v20, v5
	v_pk_add_f32 v[4:5], v[18:19], 1.0 op_sel_hi:[1,0]
	;;#ASMSTART
	v_pk_mul_f32 v[14:15], v[26:27], v[14:15]
	;;#ASMEND
	;;#ASMSTART
	v_pk_mul_f32 v[16:17], v[24:25], v[16:17]
	;;#ASMEND
	;; [unrolled: 3-line block ×3, first 2 shown]
	v_pk_add_f32 v[4:5], v[20:21], 1.0 op_sel_hi:[1,0]
	;;#ASMSTART
	v_pk_mul_f32 v[6:7], v[6:7], v[4:5]
	;;#ASMEND
	v_cvt_f16_f32_e32 v0, v10
	v_cvt_f16_f32_e32 v4, v11
	v_cvt_f16_f32_e32 v5, v8
	v_cvt_f16_f32_e32 v8, v9
	v_cvt_f16_f32_e32 v9, v12
	v_cvt_f16_f32_e32 v10, v13
	v_cvt_f16_f32_e32 v11, v2
	v_cvt_f16_f32_e32 v12, v3
	s_add_u32 s12, s28, s0
	s_addc_u32 s0, s29, s1
	s_and_b32 s13, s0, 0xffff
	v_pack_b32_f16 v2, v0, v4
	v_pack_b32_f16 v3, v5, v8
	;; [unrolled: 1-line block ×4, first 2 shown]
	buffer_store_dwordx4 v[2:5], v1, s[12:15], 0 offen
	v_cvt_f16_f32_e32 v0, v14
	v_cvt_f16_f32_e32 v2, v15
	;; [unrolled: 1-line block ×8, first 2 shown]
	v_pack_b32_f16 v2, v0, v2
	v_pack_b32_f16 v3, v3, v4
	;; [unrolled: 1-line block ×4, first 2 shown]
	;;#ASMSTART
	s_nop 0
	;;#ASMEND
	buffer_store_dwordx4 v[2:5], v1, s[12:15], 16 offen
	;;#ASMSTART
	s_nop 0
	;;#ASMEND
	s_endpgm
	.section	.rodata,"a",@progbits
	.p2align	6, 0x0
	.amdhsa_kernel _ZN5aiter35fused_qk_rmsnorm_group_quant_kernelIDF16_N4opus5fp4_tELi128ELi16ELi2ELb0ELb1ELb1ELb0ELb0ELb0EEEvPT0_PvPT_S7_S7_PKS6_S9_S9_S9_S9_ffiiiiiiiiiiiii
		.amdhsa_group_segment_fixed_size 16
		.amdhsa_private_segment_fixed_size 0
		.amdhsa_kernarg_size 400
		.amdhsa_user_sgpr_count 6
		.amdhsa_user_sgpr_private_segment_buffer 1
		.amdhsa_user_sgpr_dispatch_ptr 0
		.amdhsa_user_sgpr_queue_ptr 0
		.amdhsa_user_sgpr_kernarg_segment_ptr 1
		.amdhsa_user_sgpr_dispatch_id 0
		.amdhsa_user_sgpr_flat_scratch_init 0
		.amdhsa_user_sgpr_kernarg_preload_length 0
		.amdhsa_user_sgpr_kernarg_preload_offset 0
		.amdhsa_user_sgpr_private_segment_size 0
		.amdhsa_uses_dynamic_stack 0
		.amdhsa_system_sgpr_private_segment_wavefront_offset 0
		.amdhsa_system_sgpr_workgroup_id_x 1
		.amdhsa_system_sgpr_workgroup_id_y 1
		.amdhsa_system_sgpr_workgroup_id_z 0
		.amdhsa_system_sgpr_workgroup_info 0
		.amdhsa_system_vgpr_workitem_id 0
		.amdhsa_next_free_vgpr 36
		.amdhsa_next_free_sgpr 36
		.amdhsa_accum_offset 36
		.amdhsa_reserve_vcc 1
		.amdhsa_reserve_flat_scratch 0
		.amdhsa_float_round_mode_32 0
		.amdhsa_float_round_mode_16_64 0
		.amdhsa_float_denorm_mode_32 3
		.amdhsa_float_denorm_mode_16_64 3
		.amdhsa_dx10_clamp 1
		.amdhsa_ieee_mode 1
		.amdhsa_fp16_overflow 0
		.amdhsa_tg_split 0
		.amdhsa_exception_fp_ieee_invalid_op 0
		.amdhsa_exception_fp_denorm_src 0
		.amdhsa_exception_fp_ieee_div_zero 0
		.amdhsa_exception_fp_ieee_overflow 0
		.amdhsa_exception_fp_ieee_underflow 0
		.amdhsa_exception_fp_ieee_inexact 0
		.amdhsa_exception_int_div_zero 0
	.end_amdhsa_kernel
	.section	.text._ZN5aiter35fused_qk_rmsnorm_group_quant_kernelIDF16_N4opus5fp4_tELi128ELi16ELi2ELb0ELb1ELb1ELb0ELb0ELb0EEEvPT0_PvPT_S7_S7_PKS6_S9_S9_S9_S9_ffiiiiiiiiiiiii,"axG",@progbits,_ZN5aiter35fused_qk_rmsnorm_group_quant_kernelIDF16_N4opus5fp4_tELi128ELi16ELi2ELb0ELb1ELb1ELb0ELb0ELb0EEEvPT0_PvPT_S7_S7_PKS6_S9_S9_S9_S9_ffiiiiiiiiiiiii,comdat
.Lfunc_end731:
	.size	_ZN5aiter35fused_qk_rmsnorm_group_quant_kernelIDF16_N4opus5fp4_tELi128ELi16ELi2ELb0ELb1ELb1ELb0ELb0ELb0EEEvPT0_PvPT_S7_S7_PKS6_S9_S9_S9_S9_ffiiiiiiiiiiiii, .Lfunc_end731-_ZN5aiter35fused_qk_rmsnorm_group_quant_kernelIDF16_N4opus5fp4_tELi128ELi16ELi2ELb0ELb1ELb1ELb0ELb0ELb0EEEvPT0_PvPT_S7_S7_PKS6_S9_S9_S9_S9_ffiiiiiiiiiiiii
                                        ; -- End function
	.section	.AMDGPU.csdata,"",@progbits
; Kernel info:
; codeLenInByte = 3424
; NumSgprs: 40
; NumVgprs: 36
; NumAgprs: 0
; TotalNumVgprs: 36
; ScratchSize: 0
; MemoryBound: 0
; FloatMode: 240
; IeeeMode: 1
; LDSByteSize: 16 bytes/workgroup (compile time only)
; SGPRBlocks: 4
; VGPRBlocks: 4
; NumSGPRsForWavesPerEU: 40
; NumVGPRsForWavesPerEU: 36
; AccumOffset: 36
; Occupancy: 8
; WaveLimiterHint : 0
; COMPUTE_PGM_RSRC2:SCRATCH_EN: 0
; COMPUTE_PGM_RSRC2:USER_SGPR: 6
; COMPUTE_PGM_RSRC2:TRAP_HANDLER: 0
; COMPUTE_PGM_RSRC2:TGID_X_EN: 1
; COMPUTE_PGM_RSRC2:TGID_Y_EN: 1
; COMPUTE_PGM_RSRC2:TGID_Z_EN: 0
; COMPUTE_PGM_RSRC2:TIDIG_COMP_CNT: 0
; COMPUTE_PGM_RSRC3_GFX90A:ACCUM_OFFSET: 8
; COMPUTE_PGM_RSRC3_GFX90A:TG_SPLIT: 0
	.section	.text._ZN5aiter35fused_qk_rmsnorm_group_quant_kernelItN4opus5fp4_tELi128ELi16ELi2ELb0ELb1ELb1ELb0ELb0ELb0EEEvPT0_PvPT_S7_S7_PKS6_S9_S9_S9_S9_ffiiiiiiiiiiiii,"axG",@progbits,_ZN5aiter35fused_qk_rmsnorm_group_quant_kernelItN4opus5fp4_tELi128ELi16ELi2ELb0ELb1ELb1ELb0ELb0ELb0EEEvPT0_PvPT_S7_S7_PKS6_S9_S9_S9_S9_ffiiiiiiiiiiiii,comdat
	.protected	_ZN5aiter35fused_qk_rmsnorm_group_quant_kernelItN4opus5fp4_tELi128ELi16ELi2ELb0ELb1ELb1ELb0ELb0ELb0EEEvPT0_PvPT_S7_S7_PKS6_S9_S9_S9_S9_ffiiiiiiiiiiiii ; -- Begin function _ZN5aiter35fused_qk_rmsnorm_group_quant_kernelItN4opus5fp4_tELi128ELi16ELi2ELb0ELb1ELb1ELb0ELb0ELb0EEEvPT0_PvPT_S7_S7_PKS6_S9_S9_S9_S9_ffiiiiiiiiiiiii
	.globl	_ZN5aiter35fused_qk_rmsnorm_group_quant_kernelItN4opus5fp4_tELi128ELi16ELi2ELb0ELb1ELb1ELb0ELb0ELb0EEEvPT0_PvPT_S7_S7_PKS6_S9_S9_S9_S9_ffiiiiiiiiiiiii
	.p2align	8
	.type	_ZN5aiter35fused_qk_rmsnorm_group_quant_kernelItN4opus5fp4_tELi128ELi16ELi2ELb0ELb1ELb1ELb0ELb0ELb0EEEvPT0_PvPT_S7_S7_PKS6_S9_S9_S9_S9_ffiiiiiiiiiiiii,@function
_ZN5aiter35fused_qk_rmsnorm_group_quant_kernelItN4opus5fp4_tELi128ELi16ELi2ELb0ELb1ELb1ELb0ELb0ELb0EEEvPT0_PvPT_S7_S7_PKS6_S9_S9_S9_S9_ffiiiiiiiiiiiii: ; @_ZN5aiter35fused_qk_rmsnorm_group_quant_kernelItN4opus5fp4_tELi128ELi16ELi2ELb0ELb1ELb1ELb0ELb0ELb0EEEvPT0_PvPT_S7_S7_PKS6_S9_S9_S9_S9_ffiiiiiiiiiiiii
; %bb.0:
	s_load_dwordx4 s[16:19], s[4:5], 0x50
	s_waitcnt lgkmcnt(0)
	s_cmp_ge_i32 s6, s18
	s_cbranch_scc1 .LBB732_12
; %bb.1:
	s_load_dwordx2 s[12:13], s[4:5], 0x48
	s_load_dwordx2 s[30:31], s[4:5], 0x30
	s_load_dwordx4 s[20:23], s[4:5], 0x60
	s_cmp_lg_u32 s7, 0
	s_cselect_b64 s[14:15], -1, 0
	s_cmp_eq_u32 s7, 0
	s_cselect_b64 vcc, -1, 0
	s_and_b64 s[0:1], vcc, exec
	s_waitcnt lgkmcnt(0)
	s_cselect_b32 s7, s19, s20
	s_add_i32 s0, s7, 1
	s_lshr_b32 s1, s0, 31
	s_add_i32 s0, s0, s1
	s_lshl_b32 s0, s0, 1
	v_lshlrev_b32_e32 v1, 4, v0
	s_and_b32 s10, s0, -4
	v_cmp_gt_i32_e64 s[2:3], s7, v1
	v_mov_b32_e32 v18, 0
	v_mov_b32_e32 v6, 0
	;; [unrolled: 1-line block ×17, first 2 shown]
	s_and_saveexec_b64 s[0:1], s[2:3]
	s_cbranch_execz .LBB732_3
; %bb.2:
	s_load_dwordx2 s[8:9], s[4:5], 0x28
	s_load_dwordx2 s[26:27], s[4:5], 0x40
	s_and_b64 s[24:25], vcc, exec
	s_cselect_b32 s11, s21, s22
	v_lshlrev_b32_e32 v19, 5, v0
	s_waitcnt lgkmcnt(0)
	s_cselect_b32 s18, s9, s31
	s_cselect_b32 s21, s8, s30
	s_mul_hi_i32 s9, s11, s6
	s_mul_i32 s8, s11, s6
	s_lshl_b64 s[8:9], s[8:9], 1
	s_add_u32 s24, s21, s8
	s_addc_u32 s18, s18, s9
	s_and_b64 s[8:9], vcc, exec
	s_mov_b32 s11, 0x20000
	s_cselect_b32 s8, s26, s12
	s_cselect_b32 s9, s27, s13
	s_and_b32 s25, s18, 0xffff
	s_mov_b32 s26, s10
	s_mov_b32 s27, s11
	s_and_b32 s9, s9, 0xffff
	buffer_load_dwordx4 v[14:17], v19, s[24:27], 0 offen
	buffer_load_dwordx4 v[10:13], v19, s[24:27], 16 offen
	;; [unrolled: 1-line block ×4, first 2 shown]
.LBB732_3:
	s_or_b64 exec, exec, s[0:1]
	v_mov_b32_e32 v19, 0
	v_mov_b32_e32 v22, 0
	;; [unrolled: 1-line block ×15, first 2 shown]
	s_and_saveexec_b64 s[0:1], s[2:3]
	s_cbranch_execz .LBB732_5
; %bb.4:
	s_waitcnt vmcnt(3)
	v_cvt_f32_u32_sdwa v18, v14 dst_sel:DWORD dst_unused:UNUSED_PAD src0_sel:WORD_0
	v_cvt_f32_u32_sdwa v19, v14 dst_sel:DWORD dst_unused:UNUSED_PAD src0_sel:WORD_1
	v_cvt_f32_u32_sdwa v22, v15 dst_sel:DWORD dst_unused:UNUSED_PAD src0_sel:WORD_0
	v_cvt_f32_u32_sdwa v23, v15 dst_sel:DWORD dst_unused:UNUSED_PAD src0_sel:WORD_1
	;; [unrolled: 2-line block ×4, first 2 shown]
	s_waitcnt vmcnt(2)
	v_cvt_f32_u32_sdwa v24, v10 dst_sel:DWORD dst_unused:UNUSED_PAD src0_sel:WORD_0
	v_cvt_f32_u32_sdwa v25, v10 dst_sel:DWORD dst_unused:UNUSED_PAD src0_sel:WORD_1
	v_cvt_f32_u32_sdwa v32, v11 dst_sel:DWORD dst_unused:UNUSED_PAD src0_sel:WORD_0
	v_cvt_f32_u32_sdwa v33, v11 dst_sel:DWORD dst_unused:UNUSED_PAD src0_sel:WORD_1
	;; [unrolled: 2-line block ×4, first 2 shown]
.LBB732_5:
	s_or_b64 exec, exec, s[0:1]
	s_waitcnt vmcnt(2)
	v_mul_f32_e32 v10, v19, v19
	v_fmac_f32_e32 v10, v18, v18
	v_fmac_f32_e32 v10, v22, v22
	v_fmac_f32_e32 v10, v23, v23
	v_fmac_f32_e32 v10, v20, v20
	v_fmac_f32_e32 v10, v21, v21
	v_fmac_f32_e32 v10, v28, v28
	v_fmac_f32_e32 v10, v29, v29
	v_fmac_f32_e32 v10, v24, v24
	v_fmac_f32_e32 v10, v25, v25
	v_fmac_f32_e32 v10, v32, v32
	v_fmac_f32_e32 v10, v33, v33
	v_fmac_f32_e32 v10, v30, v30
	v_fmac_f32_e32 v10, v31, v31
	v_fmac_f32_e32 v10, v26, v26
	v_fmac_f32_e32 v10, v27, v27
	v_and_b32_e32 v12, 63, v0
	v_cmp_eq_u32_e64 s[0:1], 63, v12
	v_mov_b32_dpp v11, v10 quad_perm:[1,0,3,2] row_mask:0xf bank_mask:0xf
	v_add_f32_e32 v10, v10, v11
	s_nop 1
	v_mov_b32_dpp v11, v10 quad_perm:[2,3,0,1] row_mask:0xf bank_mask:0xf
	v_add_f32_e32 v10, v10, v11
	s_nop 1
	v_mov_b32_dpp v11, v10 row_half_mirror row_mask:0xf bank_mask:0xf
	v_add_f32_e32 v10, v10, v11
	s_nop 1
	v_mov_b32_dpp v11, v10 row_mirror row_mask:0xf bank_mask:0xf
	v_add_f32_e32 v10, v10, v11
	s_nop 1
	v_mov_b32_dpp v11, v10 row_bcast:15 row_mask:0xf bank_mask:0xf
	v_add_f32_e32 v10, v10, v11
	s_nop 1
	v_mov_b32_dpp v11, v10 row_bcast:31 row_mask:0xf bank_mask:0xf
	s_and_saveexec_b64 s[8:9], s[0:1]
	s_cbranch_execz .LBB732_7
; %bb.6:
	v_add_f32_e32 v10, v10, v11
	v_lshrrev_b32_e32 v11, 4, v0
	v_and_b32_e32 v11, 60, v11
	ds_write_b32 v11, v10 offset:8
.LBB732_7:
	s_or_b64 exec, exec, s[8:9]
	v_and_b32_e32 v10, 1, v0
	v_lshlrev_b32_e32 v34, 2, v10
	s_waitcnt lgkmcnt(0)
	s_barrier
	ds_read_b32 v11, v34 offset:8
	s_load_dwordx2 s[28:29], s[4:5], 0x18
	s_waitcnt lgkmcnt(0)
	v_mov_b32_dpp v12, v11 quad_perm:[1,0,3,2] row_mask:0xf bank_mask:0xf
	s_and_saveexec_b64 s[8:9], s[2:3]
	s_cbranch_execz .LBB732_9
; %bb.8:
	v_cvt_f32_u32_e32 v13, s7
	v_add_f32_e32 v11, v11, v12
	v_mov_b32_e32 v15, s17
	v_mov_b32_e32 v16, s16
	v_div_scale_f32 v12, s[24:25], v13, v13, v11
	v_rcp_f32_e32 v14, v12
	v_cndmask_b32_e32 v15, v15, v16, vcc
	s_mov_b32 s7, 0x800000
	v_fma_f32 v16, -v12, v14, 1.0
	v_fmac_f32_e32 v14, v16, v14
	v_div_scale_f32 v16, vcc, v11, v13, v11
	v_mul_f32_e32 v17, v16, v14
	v_fma_f32 v35, -v12, v17, v16
	v_fmac_f32_e32 v17, v35, v14
	v_fma_f32 v12, -v12, v17, v16
	v_div_fmas_f32 v12, v12, v14, v17
	v_div_fixup_f32 v11, v12, v13, v11
	v_add_f32_e32 v11, v15, v11
	v_mul_f32_e32 v12, 0x4b800000, v11
	v_cmp_gt_f32_e32 vcc, s7, v11
	v_cndmask_b32_e32 v11, v11, v12, vcc
	v_rsq_f32_e32 v11, v11
	v_mul_f32_e32 v12, 0x45800000, v11
	v_cndmask_b32_e32 v12, v11, v12, vcc
	v_mov_b32_e32 v13, v12
	;;#ASMSTART
	v_pk_mul_f32 v[14:15], v[18:19], v[12:13]
	;;#ASMEND
	s_waitcnt vmcnt(1)
	v_cvt_f32_u32_sdwa v19, v6 dst_sel:DWORD dst_unused:UNUSED_PAD src0_sel:WORD_1
	v_cvt_f32_u32_sdwa v18, v6 dst_sel:DWORD dst_unused:UNUSED_PAD src0_sel:WORD_0
	;;#ASMSTART
	v_pk_mul_f32 v[16:17], v[22:23], v[12:13]
	;;#ASMEND
	v_cvt_f32_u32_sdwa v23, v7 dst_sel:DWORD dst_unused:UNUSED_PAD src0_sel:WORD_1
	v_cvt_f32_u32_sdwa v22, v7 dst_sel:DWORD dst_unused:UNUSED_PAD src0_sel:WORD_0
	;;#ASMSTART
	v_pk_mul_f32 v[20:21], v[20:21], v[12:13]
	;;#ASMEND
	;;#ASMSTART
	v_pk_mul_f32 v[28:29], v[28:29], v[12:13]
	;;#ASMEND
	;; [unrolled: 3-line block ×6, first 2 shown]
	v_pk_add_f32 v[12:13], v[18:19], 1.0 op_sel_hi:[1,0]
	;;#ASMSTART
	v_pk_mul_f32 v[18:19], v[14:15], v[12:13]
	;;#ASMEND
	v_cvt_f32_u32_sdwa v15, v8 dst_sel:DWORD dst_unused:UNUSED_PAD src0_sel:WORD_1
	v_cvt_f32_u32_sdwa v14, v8 dst_sel:DWORD dst_unused:UNUSED_PAD src0_sel:WORD_0
	v_cvt_f32_u32_sdwa v27, v9 dst_sel:DWORD dst_unused:UNUSED_PAD src0_sel:WORD_1
	v_cvt_f32_u32_sdwa v26, v9 dst_sel:DWORD dst_unused:UNUSED_PAD src0_sel:WORD_0
	v_pk_add_f32 v[12:13], v[22:23], 1.0 op_sel_hi:[1,0]
	;;#ASMSTART
	v_pk_mul_f32 v[22:23], v[16:17], v[12:13]
	;;#ASMEND
	s_waitcnt vmcnt(0)
	v_cvt_f32_u32_sdwa v13, v2 dst_sel:DWORD dst_unused:UNUSED_PAD src0_sel:WORD_1
	v_cvt_f32_u32_sdwa v12, v2 dst_sel:DWORD dst_unused:UNUSED_PAD src0_sel:WORD_0
	v_pk_add_f32 v[8:9], v[14:15], 1.0 op_sel_hi:[1,0]
	;;#ASMSTART
	v_pk_mul_f32 v[20:21], v[20:21], v[8:9]
	;;#ASMEND
	v_pk_add_f32 v[8:9], v[26:27], 1.0 op_sel_hi:[1,0]
	v_cvt_f32_u32_sdwa v15, v3 dst_sel:DWORD dst_unused:UNUSED_PAD src0_sel:WORD_1
	v_cvt_f32_u32_sdwa v14, v3 dst_sel:DWORD dst_unused:UNUSED_PAD src0_sel:WORD_0
	;;#ASMSTART
	v_pk_mul_f32 v[28:29], v[28:29], v[8:9]
	;;#ASMEND
	v_cvt_f32_u32_sdwa v9, v4 dst_sel:DWORD dst_unused:UNUSED_PAD src0_sel:WORD_1
	v_cvt_f32_u32_sdwa v8, v4 dst_sel:DWORD dst_unused:UNUSED_PAD src0_sel:WORD_0
	v_pk_add_f32 v[2:3], v[12:13], 1.0 op_sel_hi:[1,0]
	v_cvt_f32_u32_sdwa v13, v5 dst_sel:DWORD dst_unused:UNUSED_PAD src0_sel:WORD_1
	v_cvt_f32_u32_sdwa v12, v5 dst_sel:DWORD dst_unused:UNUSED_PAD src0_sel:WORD_0
	;;#ASMSTART
	v_pk_mul_f32 v[24:25], v[24:25], v[2:3]
	;;#ASMEND
	v_pk_add_f32 v[2:3], v[14:15], 1.0 op_sel_hi:[1,0]
	;;#ASMSTART
	v_pk_mul_f32 v[32:33], v[32:33], v[2:3]
	;;#ASMEND
	v_pk_add_f32 v[2:3], v[8:9], 1.0 op_sel_hi:[1,0]
	;;#ASMSTART
	v_pk_mul_f32 v[30:31], v[30:31], v[2:3]
	;;#ASMEND
	v_pk_add_f32 v[2:3], v[12:13], 1.0 op_sel_hi:[1,0]
	;;#ASMSTART
	v_pk_mul_f32 v[26:27], v[6:7], v[2:3]
	;;#ASMEND
.LBB732_9:
	s_or_b64 exec, exec, s[8:9]
	s_load_dword s7, s[4:5], 0x80
	s_mov_b64 s[8:9], -1
	s_and_b64 vcc, exec, s[14:15]
	s_cbranch_vccnz .LBB732_13
; %bb.10:
	s_andn2_b64 vcc, exec, s[8:9]
	s_cbranch_vccz .LBB732_16
.LBB732_11:
	s_cmp_lt_i32 s20, 1
	s_cbranch_scc0 .LBB732_25
.LBB732_12:
	s_endpgm
.LBB732_13:
	s_and_saveexec_b64 s[14:15], s[2:3]
	s_cbranch_execz .LBB732_15
; %bb.14:
	s_waitcnt lgkmcnt(0)
	s_mul_hi_i32 s9, s7, s6
	s_mul_i32 s8, s7, s6
	s_lshl_b64 s[8:9], s[8:9], 1
	s_add_u32 s8, s28, s8
	s_addc_u32 s9, s29, s9
	s_mov_b32 s16, 0x7060302
	s_and_b32 s9, s9, 0xffff
	s_mov_b32 s11, 0x20000
	s_waitcnt vmcnt(0)
	v_perm_b32 v5, v29, v28, s16
	v_perm_b32 v4, v21, v20, s16
	;; [unrolled: 1-line block ×4, first 2 shown]
	v_lshlrev_b32_e32 v6, 5, v0
	buffer_store_dwordx4 v[2:5], v6, s[8:11], 0 offen
	;;#ASMSTART
	s_nop 0
	;;#ASMEND
	s_nop 0
	v_perm_b32 v5, v27, v26, s16
	v_perm_b32 v4, v31, v30, s16
	v_perm_b32 v3, v33, v32, s16
	v_perm_b32 v2, v25, v24, s16
	buffer_store_dwordx4 v[2:5], v6, s[8:11], 16 offen
	;;#ASMSTART
	s_nop 0
	;;#ASMEND
.LBB732_15:
	s_or_b64 exec, exec, s[14:15]
	s_cbranch_execnz .LBB732_11
.LBB732_16:
	s_load_dwordx4 s[24:27], s[4:5], 0x70
	s_waitcnt vmcnt(0)
	v_mov_b32_e32 v2, 0
	s_and_saveexec_b64 s[14:15], s[2:3]
	s_cbranch_execz .LBB732_18
; %bb.17:
	s_load_dwordx2 s[8:9], s[4:5], 0x10
	s_waitcnt lgkmcnt(0)
	s_mul_hi_i32 s35, s27, s6
	s_mul_i32 s34, s27, s6
	s_lshl_b64 s[34:35], s[34:35], 1
	s_mov_b32 s16, 0x7060302
	s_add_u32 s8, s8, s34
	s_addc_u32 s9, s9, s35
	s_mov_b32 s11, 0x20000
	s_and_b32 s9, s9, 0xffff
	v_perm_b32 v5, v29, v28, s16
	v_perm_b32 v4, v21, v20, s16
	;; [unrolled: 1-line block ×4, first 2 shown]
	v_lshlrev_b32_e32 v6, 5, v0
	buffer_store_dwordx4 v[2:5], v6, s[8:11], 0 offen
	;;#ASMSTART
	s_nop 0
	;;#ASMEND
	s_nop 0
	v_perm_b32 v5, v27, v26, s16
	v_perm_b32 v4, v31, v30, s16
	;; [unrolled: 1-line block ×4, first 2 shown]
	buffer_store_dwordx4 v[2:5], v6, s[8:11], 16 offen
	;;#ASMSTART
	s_nop 0
	;;#ASMEND
	s_nop 0
	v_mov_b32_e32 v2, 0x2edbe6ff
.LBB732_18:
	s_or_b64 exec, exec, s[14:15]
	s_and_saveexec_b64 s[8:9], s[2:3]
	s_cbranch_execz .LBB732_20
; %bb.19:
	v_and_b32_e32 v3, 0x7fffffff, v18
	v_and_b32_e32 v4, 0x7fffffff, v19
	;;#ASMSTART
	v_max3_f32 v2, v2, v3, v4

	;;#ASMEND
	v_and_b32_e32 v3, 0x7fffffff, v22
	v_and_b32_e32 v4, 0x7fffffff, v23
	;;#ASMSTART
	v_max3_f32 v2, v2, v3, v4

	;;#ASMEND
	;; [unrolled: 6-line block ×8, first 2 shown]
.LBB732_20:
	s_or_b64 exec, exec, s[8:9]
	v_cmp_eq_u32_e32 vcc, 0, v10
	v_cmp_gt_i32_e64 s[8:9], s19, v1
	s_and_b64 s[10:11], vcc, s[8:9]
	;;#ASMSTART
	v_max_f32 v3, v2, v2 quad_perm:[1,0,3,2] row_mask:0xf bank_mask:0xf bound_ctrl:1
	;;#ASMEND
	s_and_saveexec_b64 s[8:9], s[10:11]
	s_cbranch_execz .LBB732_22
; %bb.21:
	s_load_dwordx2 s[10:11], s[4:5], 0x8
	v_mul_f32_e32 v2, 0x3e2aaaab, v3
	v_lshrrev_b32_e32 v3, 23, v2
	v_and_b32_e32 v4, 0x7f800000, v2
	v_and_b32_e32 v2, 0x7fffff, v2
	v_cmp_ne_u32_e32 vcc, 0, v2
	s_waitcnt lgkmcnt(0)
	s_mul_i32 s16, s25, s6
	s_mov_b32 s14, 0x7f800000
	v_addc_co_u32_e32 v2, vcc, 0, v3, vcc
	s_mul_hi_i32 s15, s25, s6
	s_add_u32 s10, s10, s16
	v_cmp_ne_u32_e32 vcc, s14, v4
	s_addc_u32 s11, s11, s15
	v_lshrrev_b32_e32 v5, 1, v0
	v_cndmask_b32_e32 v4, -1, v2, vcc
	v_pk_mov_b32 v[2:3], s[10:11], s[10:11] op_sel:[0,1]
	v_mad_i64_i32 v[2:3], s[10:11], s26, v5, v[2:3]
	global_store_byte v[2:3], v4, off
.LBB732_22:
	s_or_b64 exec, exec, s[8:9]
	s_and_saveexec_b64 s[8:9], s[2:3]
	s_cbranch_execz .LBB732_24
; %bb.23:
	s_load_dwordx2 s[2:3], s[4:5], 0x0
	s_waitcnt lgkmcnt(0)
	s_mul_i32 s11, s24, s6
	s_mul_hi_i32 s10, s24, s6
	v_mov_b32_e32 v2, 0
	v_lshlrev_b32_e32 v4, 3, v0
	s_add_u32 s24, s2, s11
	s_addc_u32 s2, s3, s10
	s_lshr_b32 s3, s19, 31
	s_add_i32 s3, s19, s3
	s_ashr_i32 s3, s3, 1
	s_add_i32 s3, s3, 3
	s_ashr_i32 s10, s3, 31
	s_lshr_b32 s10, s10, 30
	s_add_i32 s3, s3, s10
	s_and_b32 s26, s3, -4
	s_and_b32 s25, s2, 0xffff
	s_mov_b32 s27, 0x20000
	v_mov_b32_e32 v3, v2
	buffer_store_dwordx2 v[2:3], v4, s[24:27], 0 offen
	;;#ASMSTART
	s_nop 0
	;;#ASMEND
.LBB732_24:
	s_or_b64 exec, exec, s[8:9]
	s_cmp_lt_i32 s20, 1
	s_cbranch_scc1 .LBB732_12
.LBB732_25:
	s_load_dword s2, s[4:5], 0x94
	s_waitcnt lgkmcnt(0)
	s_cmp_lg_u32 s2, 1
	s_cbranch_scc1 .LBB732_12
; %bb.26:
	s_lshl_b32 s2, s20, 1
	s_add_i32 s2, s2, 2
	v_cmp_gt_u32_e32 vcc, s20, v1
	s_and_b32 s14, s2, -4
	v_mov_b32_e32 v18, 0
	v_lshlrev_b32_e32 v1, 5, v0
	v_mov_b32_e32 v14, 0
	v_mov_b32_e32 v15, 0
	;; [unrolled: 1-line block ×8, first 2 shown]
	s_waitcnt vmcnt(1)
	v_mov_b32_e32 v6, 0
	v_mov_b32_e32 v7, 0
	;; [unrolled: 1-line block ×4, first 2 shown]
	s_waitcnt vmcnt(0)
	v_mov_b32_e32 v2, 0
	v_mov_b32_e32 v3, 0
	;; [unrolled: 1-line block ×4, first 2 shown]
	s_barrier
	s_and_saveexec_b64 s[2:3], vcc
	s_cbranch_execz .LBB732_28
; %bb.27:
	s_mul_hi_i32 s5, s22, s6
	s_mul_i32 s4, s22, s6
	s_and_b32 s13, s13, 0xffff
	s_lshl_b64 s[4:5], s[4:5], 1
	s_add_u32 s8, s30, s4
	s_mov_b32 s15, 0x20000
	s_addc_u32 s4, s31, s5
	s_and_b32 s9, s4, 0xffff
	s_mov_b32 s10, s14
	s_mov_b32 s11, s15
	buffer_load_dwordx4 v[14:17], v1, s[8:11], 0 offen
	buffer_load_dwordx4 v[10:13], v1, s[8:11], 16 offen
	;; [unrolled: 1-line block ×4, first 2 shown]
.LBB732_28:
	s_or_b64 exec, exec, s[2:3]
	v_mov_b32_e32 v19, 0
	v_mov_b32_e32 v32, 0
	;; [unrolled: 1-line block ×15, first 2 shown]
	s_and_saveexec_b64 s[2:3], vcc
	s_cbranch_execz .LBB732_30
; %bb.29:
	s_waitcnt vmcnt(3)
	v_cvt_f32_u32_sdwa v18, v14 dst_sel:DWORD dst_unused:UNUSED_PAD src0_sel:WORD_0
	v_cvt_f32_u32_sdwa v19, v14 dst_sel:DWORD dst_unused:UNUSED_PAD src0_sel:WORD_1
	v_cvt_f32_u32_sdwa v32, v15 dst_sel:DWORD dst_unused:UNUSED_PAD src0_sel:WORD_0
	v_cvt_f32_u32_sdwa v33, v15 dst_sel:DWORD dst_unused:UNUSED_PAD src0_sel:WORD_1
	;; [unrolled: 2-line block ×4, first 2 shown]
	s_waitcnt vmcnt(2)
	v_cvt_f32_u32_sdwa v26, v10 dst_sel:DWORD dst_unused:UNUSED_PAD src0_sel:WORD_0
	v_cvt_f32_u32_sdwa v27, v10 dst_sel:DWORD dst_unused:UNUSED_PAD src0_sel:WORD_1
	v_cvt_f32_u32_sdwa v24, v11 dst_sel:DWORD dst_unused:UNUSED_PAD src0_sel:WORD_0
	v_cvt_f32_u32_sdwa v25, v11 dst_sel:DWORD dst_unused:UNUSED_PAD src0_sel:WORD_1
	v_cvt_f32_u32_sdwa v22, v12 dst_sel:DWORD dst_unused:UNUSED_PAD src0_sel:WORD_0
	v_cvt_f32_u32_sdwa v23, v12 dst_sel:DWORD dst_unused:UNUSED_PAD src0_sel:WORD_1
	v_cvt_f32_u32_sdwa v20, v13 dst_sel:DWORD dst_unused:UNUSED_PAD src0_sel:WORD_0
	v_cvt_f32_u32_sdwa v21, v13 dst_sel:DWORD dst_unused:UNUSED_PAD src0_sel:WORD_1
.LBB732_30:
	s_or_b64 exec, exec, s[2:3]
	s_waitcnt vmcnt(2)
	v_mul_f32_e32 v10, v19, v19
	v_fmac_f32_e32 v10, v18, v18
	v_fmac_f32_e32 v10, v32, v32
	;; [unrolled: 1-line block ×15, first 2 shown]
	s_nop 1
	v_mov_b32_dpp v11, v10 quad_perm:[1,0,3,2] row_mask:0xf bank_mask:0xf
	v_add_f32_e32 v10, v10, v11
	s_nop 1
	v_mov_b32_dpp v11, v10 quad_perm:[2,3,0,1] row_mask:0xf bank_mask:0xf
	v_add_f32_e32 v10, v10, v11
	s_nop 1
	v_mov_b32_dpp v11, v10 row_half_mirror row_mask:0xf bank_mask:0xf
	v_add_f32_e32 v10, v10, v11
	s_nop 1
	v_mov_b32_dpp v11, v10 row_mirror row_mask:0xf bank_mask:0xf
	v_add_f32_e32 v10, v10, v11
	s_nop 1
	v_mov_b32_dpp v11, v10 row_bcast:15 row_mask:0xf bank_mask:0xf
	v_add_f32_e32 v10, v10, v11
	s_nop 1
	v_mov_b32_dpp v11, v10 row_bcast:31 row_mask:0xf bank_mask:0xf
	s_and_saveexec_b64 s[2:3], s[0:1]
	s_cbranch_execz .LBB732_32
; %bb.31:
	v_lshrrev_b32_e32 v0, 4, v0
	v_add_f32_e32 v10, v10, v11
	v_and_b32_e32 v0, 60, v0
	ds_write_b32 v0, v10
.LBB732_32:
	s_or_b64 exec, exec, s[2:3]
	s_waitcnt lgkmcnt(0)
	s_barrier
	ds_read_b32 v0, v34
	s_waitcnt lgkmcnt(0)
	s_nop 0
	v_mov_b32_dpp v10, v0 quad_perm:[1,0,3,2] row_mask:0xf bank_mask:0xf
	s_and_saveexec_b64 s[0:1], vcc
	s_cbranch_execz .LBB732_12
; %bb.33:
	v_cvt_f32_u32_e32 v11, s20
	v_add_f32_e32 v0, v0, v10
	s_mov_b32 s15, 0x20000
	v_div_scale_f32 v10, s[0:1], v11, v11, v0
	v_rcp_f32_e32 v12, v10
	v_div_scale_f32 v13, vcc, v0, v11, v0
	s_mov_b32 s0, 0x800000
	v_fma_f32 v14, -v10, v12, 1.0
	v_fmac_f32_e32 v12, v14, v12
	v_mul_f32_e32 v14, v13, v12
	v_fma_f32 v15, -v10, v14, v13
	v_fmac_f32_e32 v14, v15, v12
	v_fma_f32 v10, -v10, v14, v13
	v_div_fmas_f32 v10, v10, v12, v14
	v_div_fixup_f32 v0, v10, v11, v0
	v_add_f32_e32 v0, s17, v0
	v_mul_f32_e32 v10, 0x4b800000, v0
	v_cmp_gt_f32_e32 vcc, s0, v0
	v_cndmask_b32_e32 v0, v0, v10, vcc
	v_rsq_f32_e32 v0, v0
	s_mul_hi_i32 s1, s7, s6
	s_mul_i32 s0, s7, s6
	s_lshl_b64 s[0:1], s[0:1], 1
	v_mul_f32_e32 v10, 0x45800000, v0
	v_cndmask_b32_e32 v10, v0, v10, vcc
	v_mov_b32_e32 v11, v10
	;;#ASMSTART
	v_pk_mul_f32 v[12:13], v[18:19], v[10:11]
	;;#ASMEND
	;;#ASMSTART
	v_pk_mul_f32 v[14:15], v[32:33], v[10:11]
	;;#ASMEND
	;; [unrolled: 3-line block ×4, first 2 shown]
	s_waitcnt vmcnt(1)
	v_cvt_f32_u32_sdwa v29, v6 dst_sel:DWORD dst_unused:UNUSED_PAD src0_sel:WORD_1
	v_cvt_f32_u32_sdwa v28, v6 dst_sel:DWORD dst_unused:UNUSED_PAD src0_sel:WORD_0
	v_cvt_f32_u32_sdwa v31, v7 dst_sel:DWORD dst_unused:UNUSED_PAD src0_sel:WORD_1
	v_cvt_f32_u32_sdwa v30, v7 dst_sel:DWORD dst_unused:UNUSED_PAD src0_sel:WORD_0
	;;#ASMSTART
	v_pk_mul_f32 v[26:27], v[26:27], v[10:11]
	;;#ASMEND
	;;#ASMSTART
	v_pk_mul_f32 v[24:25], v[24:25], v[10:11]
	;;#ASMEND
	;; [unrolled: 3-line block ×4, first 2 shown]
	v_cvt_f32_u32_sdwa v21, v8 dst_sel:DWORD dst_unused:UNUSED_PAD src0_sel:WORD_1
	v_cvt_f32_u32_sdwa v20, v8 dst_sel:DWORD dst_unused:UNUSED_PAD src0_sel:WORD_0
	v_pk_add_f32 v[10:11], v[28:29], 1.0 op_sel_hi:[1,0]
	;;#ASMSTART
	v_pk_mul_f32 v[10:11], v[12:13], v[10:11]
	;;#ASMEND
	v_pk_add_f32 v[12:13], v[30:31], 1.0 op_sel_hi:[1,0]
	v_cvt_f32_u32_sdwa v29, v9 dst_sel:DWORD dst_unused:UNUSED_PAD src0_sel:WORD_1
	v_cvt_f32_u32_sdwa v28, v9 dst_sel:DWORD dst_unused:UNUSED_PAD src0_sel:WORD_0
	;;#ASMSTART
	v_pk_mul_f32 v[8:9], v[14:15], v[12:13]
	;;#ASMEND
	v_pk_add_f32 v[12:13], v[20:21], 1.0 op_sel_hi:[1,0]
	;;#ASMSTART
	v_pk_mul_f32 v[12:13], v[16:17], v[12:13]
	;;#ASMEND
	s_waitcnt vmcnt(0)
	v_cvt_f32_u32_sdwa v17, v2 dst_sel:DWORD dst_unused:UNUSED_PAD src0_sel:WORD_1
	v_cvt_f32_u32_sdwa v16, v2 dst_sel:DWORD dst_unused:UNUSED_PAD src0_sel:WORD_0
	v_cvt_f32_u32_sdwa v21, v3 dst_sel:DWORD dst_unused:UNUSED_PAD src0_sel:WORD_1
	v_cvt_f32_u32_sdwa v20, v3 dst_sel:DWORD dst_unused:UNUSED_PAD src0_sel:WORD_0
	v_pk_add_f32 v[14:15], v[28:29], 1.0 op_sel_hi:[1,0]
	;;#ASMSTART
	v_pk_mul_f32 v[14:15], v[18:19], v[14:15]
	;;#ASMEND
	v_pk_add_f32 v[2:3], v[16:17], 1.0 op_sel_hi:[1,0]
	v_cvt_f32_u32_sdwa v19, v4 dst_sel:DWORD dst_unused:UNUSED_PAD src0_sel:WORD_1
	v_cvt_f32_u32_sdwa v18, v4 dst_sel:DWORD dst_unused:UNUSED_PAD src0_sel:WORD_0
	;;#ASMSTART
	v_pk_mul_f32 v[16:17], v[26:27], v[2:3]
	;;#ASMEND
	v_pk_add_f32 v[2:3], v[20:21], 1.0 op_sel_hi:[1,0]
	v_cvt_f32_u32_sdwa v21, v5 dst_sel:DWORD dst_unused:UNUSED_PAD src0_sel:WORD_1
	v_cvt_f32_u32_sdwa v20, v5 dst_sel:DWORD dst_unused:UNUSED_PAD src0_sel:WORD_0
	s_add_u32 s12, s28, s0
	;;#ASMSTART
	v_pk_mul_f32 v[24:25], v[24:25], v[2:3]
	;;#ASMEND
	v_pk_add_f32 v[2:3], v[18:19], 1.0 op_sel_hi:[1,0]
	s_addc_u32 s0, s29, s1
	;;#ASMSTART
	v_pk_mul_f32 v[18:19], v[22:23], v[2:3]
	;;#ASMEND
	v_pk_add_f32 v[2:3], v[20:21], 1.0 op_sel_hi:[1,0]
	s_and_b32 s13, s0, 0xffff
	s_mov_b32 s0, 0x7060302
	;;#ASMSTART
	v_pk_mul_f32 v[6:7], v[6:7], v[2:3]
	;;#ASMEND
	v_perm_b32 v2, v11, v10, s0
	v_perm_b32 v3, v9, v8, s0
	;; [unrolled: 1-line block ×4, first 2 shown]
	buffer_store_dwordx4 v[2:5], v1, s[12:15], 0 offen
	;;#ASMSTART
	s_nop 0
	;;#ASMEND
	s_nop 0
	v_perm_b32 v2, v17, v16, s0
	v_perm_b32 v3, v25, v24, s0
	;; [unrolled: 1-line block ×4, first 2 shown]
	buffer_store_dwordx4 v[2:5], v1, s[12:15], 16 offen
	;;#ASMSTART
	s_nop 0
	;;#ASMEND
	s_endpgm
	.section	.rodata,"a",@progbits
	.p2align	6, 0x0
	.amdhsa_kernel _ZN5aiter35fused_qk_rmsnorm_group_quant_kernelItN4opus5fp4_tELi128ELi16ELi2ELb0ELb1ELb1ELb0ELb0ELb0EEEvPT0_PvPT_S7_S7_PKS6_S9_S9_S9_S9_ffiiiiiiiiiiiii
		.amdhsa_group_segment_fixed_size 16
		.amdhsa_private_segment_fixed_size 0
		.amdhsa_kernarg_size 400
		.amdhsa_user_sgpr_count 6
		.amdhsa_user_sgpr_private_segment_buffer 1
		.amdhsa_user_sgpr_dispatch_ptr 0
		.amdhsa_user_sgpr_queue_ptr 0
		.amdhsa_user_sgpr_kernarg_segment_ptr 1
		.amdhsa_user_sgpr_dispatch_id 0
		.amdhsa_user_sgpr_flat_scratch_init 0
		.amdhsa_user_sgpr_kernarg_preload_length 0
		.amdhsa_user_sgpr_kernarg_preload_offset 0
		.amdhsa_user_sgpr_private_segment_size 0
		.amdhsa_uses_dynamic_stack 0
		.amdhsa_system_sgpr_private_segment_wavefront_offset 0
		.amdhsa_system_sgpr_workgroup_id_x 1
		.amdhsa_system_sgpr_workgroup_id_y 1
		.amdhsa_system_sgpr_workgroup_id_z 0
		.amdhsa_system_sgpr_workgroup_info 0
		.amdhsa_system_vgpr_workitem_id 0
		.amdhsa_next_free_vgpr 36
		.amdhsa_next_free_sgpr 36
		.amdhsa_accum_offset 36
		.amdhsa_reserve_vcc 1
		.amdhsa_reserve_flat_scratch 0
		.amdhsa_float_round_mode_32 0
		.amdhsa_float_round_mode_16_64 0
		.amdhsa_float_denorm_mode_32 3
		.amdhsa_float_denorm_mode_16_64 3
		.amdhsa_dx10_clamp 1
		.amdhsa_ieee_mode 1
		.amdhsa_fp16_overflow 0
		.amdhsa_tg_split 0
		.amdhsa_exception_fp_ieee_invalid_op 0
		.amdhsa_exception_fp_denorm_src 0
		.amdhsa_exception_fp_ieee_div_zero 0
		.amdhsa_exception_fp_ieee_overflow 0
		.amdhsa_exception_fp_ieee_underflow 0
		.amdhsa_exception_fp_ieee_inexact 0
		.amdhsa_exception_int_div_zero 0
	.end_amdhsa_kernel
	.section	.text._ZN5aiter35fused_qk_rmsnorm_group_quant_kernelItN4opus5fp4_tELi128ELi16ELi2ELb0ELb1ELb1ELb0ELb0ELb0EEEvPT0_PvPT_S7_S7_PKS6_S9_S9_S9_S9_ffiiiiiiiiiiiii,"axG",@progbits,_ZN5aiter35fused_qk_rmsnorm_group_quant_kernelItN4opus5fp4_tELi128ELi16ELi2ELb0ELb1ELb1ELb0ELb0ELb0EEEvPT0_PvPT_S7_S7_PKS6_S9_S9_S9_S9_ffiiiiiiiiiiiii,comdat
.Lfunc_end732:
	.size	_ZN5aiter35fused_qk_rmsnorm_group_quant_kernelItN4opus5fp4_tELi128ELi16ELi2ELb0ELb1ELb1ELb0ELb0ELb0EEEvPT0_PvPT_S7_S7_PKS6_S9_S9_S9_S9_ffiiiiiiiiiiiii, .Lfunc_end732-_ZN5aiter35fused_qk_rmsnorm_group_quant_kernelItN4opus5fp4_tELi128ELi16ELi2ELb0ELb1ELb1ELb0ELb0ELb0EEEvPT0_PvPT_S7_S7_PKS6_S9_S9_S9_S9_ffiiiiiiiiiiiii
                                        ; -- End function
	.section	.AMDGPU.csdata,"",@progbits
; Kernel info:
; codeLenInByte = 3396
; NumSgprs: 40
; NumVgprs: 36
; NumAgprs: 0
; TotalNumVgprs: 36
; ScratchSize: 0
; MemoryBound: 0
; FloatMode: 240
; IeeeMode: 1
; LDSByteSize: 16 bytes/workgroup (compile time only)
; SGPRBlocks: 4
; VGPRBlocks: 4
; NumSGPRsForWavesPerEU: 40
; NumVGPRsForWavesPerEU: 36
; AccumOffset: 36
; Occupancy: 8
; WaveLimiterHint : 0
; COMPUTE_PGM_RSRC2:SCRATCH_EN: 0
; COMPUTE_PGM_RSRC2:USER_SGPR: 6
; COMPUTE_PGM_RSRC2:TRAP_HANDLER: 0
; COMPUTE_PGM_RSRC2:TGID_X_EN: 1
; COMPUTE_PGM_RSRC2:TGID_Y_EN: 1
; COMPUTE_PGM_RSRC2:TGID_Z_EN: 0
; COMPUTE_PGM_RSRC2:TIDIG_COMP_CNT: 0
; COMPUTE_PGM_RSRC3_GFX90A:ACCUM_OFFSET: 8
; COMPUTE_PGM_RSRC3_GFX90A:TG_SPLIT: 0
	.section	.text._ZN5aiter35fused_qk_rmsnorm_group_quant_kernelIDF16_DB8_Li128ELi16ELi2ELb0ELb1ELb0ELb0ELb0ELb0EEEvPT0_PvPT_S6_S6_PKS5_S8_S8_S8_S8_ffiiiiiiiiiiiii,"axG",@progbits,_ZN5aiter35fused_qk_rmsnorm_group_quant_kernelIDF16_DB8_Li128ELi16ELi2ELb0ELb1ELb0ELb0ELb0ELb0EEEvPT0_PvPT_S6_S6_PKS5_S8_S8_S8_S8_ffiiiiiiiiiiiii,comdat
	.protected	_ZN5aiter35fused_qk_rmsnorm_group_quant_kernelIDF16_DB8_Li128ELi16ELi2ELb0ELb1ELb0ELb0ELb0ELb0EEEvPT0_PvPT_S6_S6_PKS5_S8_S8_S8_S8_ffiiiiiiiiiiiii ; -- Begin function _ZN5aiter35fused_qk_rmsnorm_group_quant_kernelIDF16_DB8_Li128ELi16ELi2ELb0ELb1ELb0ELb0ELb0ELb0EEEvPT0_PvPT_S6_S6_PKS5_S8_S8_S8_S8_ffiiiiiiiiiiiii
	.globl	_ZN5aiter35fused_qk_rmsnorm_group_quant_kernelIDF16_DB8_Li128ELi16ELi2ELb0ELb1ELb0ELb0ELb0ELb0EEEvPT0_PvPT_S6_S6_PKS5_S8_S8_S8_S8_ffiiiiiiiiiiiii
	.p2align	8
	.type	_ZN5aiter35fused_qk_rmsnorm_group_quant_kernelIDF16_DB8_Li128ELi16ELi2ELb0ELb1ELb0ELb0ELb0ELb0EEEvPT0_PvPT_S6_S6_PKS5_S8_S8_S8_S8_ffiiiiiiiiiiiii,@function
_ZN5aiter35fused_qk_rmsnorm_group_quant_kernelIDF16_DB8_Li128ELi16ELi2ELb0ELb1ELb0ELb0ELb0ELb0EEEvPT0_PvPT_S6_S6_PKS5_S8_S8_S8_S8_ffiiiiiiiiiiiii: ; @_ZN5aiter35fused_qk_rmsnorm_group_quant_kernelIDF16_DB8_Li128ELi16ELi2ELb0ELb1ELb0ELb0ELb0ELb0EEEvPT0_PvPT_S6_S6_PKS5_S8_S8_S8_S8_ffiiiiiiiiiiiii
; %bb.0:
	s_load_dwordx4 s[16:19], s[4:5], 0x50
	s_waitcnt lgkmcnt(0)
	s_cmp_ge_i32 s6, s18
	s_cbranch_scc1 .LBB733_12
; %bb.1:
	s_load_dwordx2 s[12:13], s[4:5], 0x48
	s_load_dwordx2 s[30:31], s[4:5], 0x30
	s_load_dwordx4 s[20:23], s[4:5], 0x60
	s_cmp_lg_u32 s7, 0
	s_cselect_b64 s[14:15], -1, 0
	s_cmp_eq_u32 s7, 0
	s_cselect_b64 vcc, -1, 0
	s_and_b64 s[0:1], vcc, exec
	s_waitcnt lgkmcnt(0)
	s_cselect_b32 s7, s19, s20
	s_add_i32 s0, s7, 1
	s_lshr_b32 s1, s0, 31
	s_add_i32 s0, s0, s1
	s_lshl_b32 s0, s0, 1
	v_lshlrev_b32_e32 v1, 4, v0
	s_and_b32 s10, s0, -4
	v_cmp_gt_i32_e64 s[2:3], s7, v1
	v_mov_b32_e32 v18, 0
	v_mov_b32_e32 v6, 0
	;; [unrolled: 1-line block ×17, first 2 shown]
	s_and_saveexec_b64 s[0:1], s[2:3]
	s_cbranch_execz .LBB733_3
; %bb.2:
	s_load_dwordx2 s[8:9], s[4:5], 0x28
	s_load_dwordx2 s[26:27], s[4:5], 0x40
	s_and_b64 s[24:25], vcc, exec
	s_cselect_b32 s11, s21, s22
	v_lshlrev_b32_e32 v19, 5, v0
	s_waitcnt lgkmcnt(0)
	s_cselect_b32 s18, s9, s31
	s_cselect_b32 s21, s8, s30
	s_mul_hi_i32 s9, s11, s6
	s_mul_i32 s8, s11, s6
	s_lshl_b64 s[8:9], s[8:9], 1
	s_add_u32 s24, s21, s8
	s_addc_u32 s18, s18, s9
	s_and_b64 s[8:9], vcc, exec
	s_mov_b32 s11, 0x20000
	s_cselect_b32 s8, s26, s12
	s_cselect_b32 s9, s27, s13
	s_and_b32 s25, s18, 0xffff
	s_mov_b32 s26, s10
	s_mov_b32 s27, s11
	s_and_b32 s9, s9, 0xffff
	buffer_load_dwordx4 v[14:17], v19, s[24:27], 0 offen
	buffer_load_dwordx4 v[10:13], v19, s[24:27], 16 offen
	;; [unrolled: 1-line block ×4, first 2 shown]
.LBB733_3:
	s_or_b64 exec, exec, s[0:1]
	v_mov_b32_e32 v19, 0
	v_mov_b32_e32 v32, 0
	v_mov_b32_e32 v33, 0
	v_mov_b32_e32 v26, 0
	v_mov_b32_e32 v27, 0
	v_mov_b32_e32 v24, 0
	v_mov_b32_e32 v25, 0
	v_mov_b32_e32 v30, 0
	v_mov_b32_e32 v31, 0
	v_mov_b32_e32 v28, 0
	v_mov_b32_e32 v29, 0
	v_mov_b32_e32 v22, 0
	v_mov_b32_e32 v23, 0
	v_mov_b32_e32 v20, 0
	v_mov_b32_e32 v21, 0
	s_and_saveexec_b64 s[0:1], s[2:3]
	s_cbranch_execz .LBB733_5
; %bb.4:
	s_waitcnt vmcnt(3)
	v_cvt_f32_f16_sdwa v19, v14 dst_sel:DWORD dst_unused:UNUSED_PAD src0_sel:WORD_1
	v_cvt_f32_f16_e32 v18, v14
	v_cvt_f32_f16_sdwa v33, v15 dst_sel:DWORD dst_unused:UNUSED_PAD src0_sel:WORD_1
	v_cvt_f32_f16_e32 v32, v15
	;; [unrolled: 2-line block ×4, first 2 shown]
	s_waitcnt vmcnt(2)
	v_cvt_f32_f16_sdwa v31, v10 dst_sel:DWORD dst_unused:UNUSED_PAD src0_sel:WORD_1
	v_cvt_f32_f16_e32 v30, v10
	v_cvt_f32_f16_sdwa v29, v11 dst_sel:DWORD dst_unused:UNUSED_PAD src0_sel:WORD_1
	v_cvt_f32_f16_e32 v28, v11
	;; [unrolled: 2-line block ×4, first 2 shown]
.LBB733_5:
	s_or_b64 exec, exec, s[0:1]
	s_waitcnt vmcnt(2)
	v_mul_f32_e32 v10, v19, v19
	v_fmac_f32_e32 v10, v18, v18
	v_fmac_f32_e32 v10, v32, v32
	v_fmac_f32_e32 v10, v33, v33
	v_fmac_f32_e32 v10, v26, v26
	v_fmac_f32_e32 v10, v27, v27
	v_fmac_f32_e32 v10, v24, v24
	v_fmac_f32_e32 v10, v25, v25
	v_fmac_f32_e32 v10, v30, v30
	v_fmac_f32_e32 v10, v31, v31
	v_fmac_f32_e32 v10, v28, v28
	v_fmac_f32_e32 v10, v29, v29
	v_fmac_f32_e32 v10, v22, v22
	v_fmac_f32_e32 v10, v23, v23
	v_fmac_f32_e32 v10, v20, v20
	v_fmac_f32_e32 v10, v21, v21
	v_and_b32_e32 v12, 63, v0
	v_cmp_eq_u32_e64 s[0:1], 63, v12
	v_mov_b32_dpp v11, v10 quad_perm:[1,0,3,2] row_mask:0xf bank_mask:0xf
	v_add_f32_e32 v10, v10, v11
	s_nop 1
	v_mov_b32_dpp v11, v10 quad_perm:[2,3,0,1] row_mask:0xf bank_mask:0xf
	v_add_f32_e32 v10, v10, v11
	s_nop 1
	v_mov_b32_dpp v11, v10 row_half_mirror row_mask:0xf bank_mask:0xf
	v_add_f32_e32 v10, v10, v11
	s_nop 1
	v_mov_b32_dpp v11, v10 row_mirror row_mask:0xf bank_mask:0xf
	v_add_f32_e32 v10, v10, v11
	s_nop 1
	v_mov_b32_dpp v11, v10 row_bcast:15 row_mask:0xf bank_mask:0xf
	v_add_f32_e32 v10, v10, v11
	s_nop 1
	v_mov_b32_dpp v11, v10 row_bcast:31 row_mask:0xf bank_mask:0xf
	s_and_saveexec_b64 s[8:9], s[0:1]
	s_cbranch_execz .LBB733_7
; %bb.6:
	v_add_f32_e32 v10, v10, v11
	v_lshrrev_b32_e32 v11, 4, v0
	v_and_b32_e32 v11, 60, v11
	ds_write_b32 v11, v10 offset:8
.LBB733_7:
	s_or_b64 exec, exec, s[8:9]
	v_and_b32_e32 v10, 1, v0
	v_lshlrev_b32_e32 v34, 2, v10
	s_waitcnt lgkmcnt(0)
	s_barrier
	ds_read_b32 v11, v34 offset:8
	s_load_dwordx2 s[28:29], s[4:5], 0x18
	s_waitcnt lgkmcnt(0)
	v_mov_b32_dpp v12, v11 quad_perm:[1,0,3,2] row_mask:0xf bank_mask:0xf
	s_and_saveexec_b64 s[8:9], s[2:3]
	s_cbranch_execz .LBB733_9
; %bb.8:
	v_cvt_f32_u32_e32 v13, s7
	v_add_f32_e32 v11, v11, v12
	v_mov_b32_e32 v15, s17
	v_mov_b32_e32 v16, s16
	v_div_scale_f32 v12, s[24:25], v13, v13, v11
	v_rcp_f32_e32 v14, v12
	v_cndmask_b32_e32 v15, v15, v16, vcc
	s_mov_b32 s7, 0x800000
	s_waitcnt vmcnt(1)
	v_cvt_f32_f16_sdwa v37, v9 dst_sel:DWORD dst_unused:UNUSED_PAD src0_sel:WORD_1
	v_fma_f32 v16, -v12, v14, 1.0
	v_fmac_f32_e32 v14, v16, v14
	v_div_scale_f32 v16, vcc, v11, v13, v11
	v_mul_f32_e32 v17, v16, v14
	v_fma_f32 v35, -v12, v17, v16
	v_fmac_f32_e32 v17, v35, v14
	v_fma_f32 v12, -v12, v17, v16
	v_div_fmas_f32 v12, v12, v14, v17
	v_div_fixup_f32 v11, v12, v13, v11
	v_add_f32_e32 v11, v15, v11
	v_mul_f32_e32 v12, 0x4b800000, v11
	v_cmp_gt_f32_e32 vcc, s7, v11
	v_cndmask_b32_e32 v11, v11, v12, vcc
	v_rsq_f32_e32 v11, v11
	v_cvt_f32_f16_e32 v36, v9
	s_waitcnt vmcnt(0)
	v_cvt_f32_f16_sdwa v9, v3 dst_sel:DWORD dst_unused:UNUSED_PAD src0_sel:WORD_1
	v_mul_f32_e32 v12, 0x45800000, v11
	v_cndmask_b32_e32 v12, v11, v12, vcc
	v_mov_b32_e32 v13, v12
	;;#ASMSTART
	v_pk_mul_f32 v[14:15], v[18:19], v[12:13]
	;;#ASMEND
	;;#ASMSTART
	v_pk_mul_f32 v[16:17], v[32:33], v[12:13]
	;;#ASMEND
	;; [unrolled: 3-line block ×8, first 2 shown]
	v_cvt_f32_f16_sdwa v19, v6 dst_sel:DWORD dst_unused:UNUSED_PAD src0_sel:WORD_1
	v_cvt_f32_f16_e32 v18, v6
	v_cvt_f32_f16_sdwa v21, v7 dst_sel:DWORD dst_unused:UNUSED_PAD src0_sel:WORD_1
	v_cvt_f32_f16_e32 v20, v7
	;; [unrolled: 2-line block ×3, first 2 shown]
	;;#ASMSTART
	v_pk_mul_f32 v[18:19], v[14:15], v[18:19]
	;;#ASMEND
	;;#ASMSTART
	v_pk_mul_f32 v[32:33], v[16:17], v[20:21]
	;;#ASMEND
	;; [unrolled: 3-line block ×4, first 2 shown]
	v_cvt_f32_f16_sdwa v7, v2 dst_sel:DWORD dst_unused:UNUSED_PAD src0_sel:WORD_1
	v_cvt_f32_f16_e32 v6, v2
	v_cvt_f32_f16_e32 v8, v3
	v_cvt_f32_f16_sdwa v3, v4 dst_sel:DWORD dst_unused:UNUSED_PAD src0_sel:WORD_1
	v_cvt_f32_f16_e32 v2, v4
	v_cvt_f32_f16_sdwa v15, v5 dst_sel:DWORD dst_unused:UNUSED_PAD src0_sel:WORD_1
	v_cvt_f32_f16_e32 v14, v5
	;;#ASMSTART
	v_pk_mul_f32 v[30:31], v[30:31], v[6:7]
	;;#ASMEND
	;;#ASMSTART
	v_pk_mul_f32 v[28:29], v[28:29], v[8:9]
	;;#ASMEND
	;; [unrolled: 3-line block ×4, first 2 shown]
.LBB733_9:
	s_or_b64 exec, exec, s[8:9]
	s_load_dword s7, s[4:5], 0x80
	s_mov_b64 s[8:9], -1
	s_and_b64 vcc, exec, s[14:15]
	s_cbranch_vccnz .LBB733_13
; %bb.10:
	s_andn2_b64 vcc, exec, s[8:9]
	s_cbranch_vccz .LBB733_16
.LBB733_11:
	s_cmp_lt_i32 s20, 1
	s_cbranch_scc0 .LBB733_25
.LBB733_12:
	s_endpgm
.LBB733_13:
	s_and_saveexec_b64 s[14:15], s[2:3]
	s_cbranch_execz .LBB733_15
; %bb.14:
	s_waitcnt lgkmcnt(0)
	s_mul_hi_i32 s9, s7, s6
	s_mul_i32 s8, s7, s6
	s_waitcnt vmcnt(0)
	v_cvt_f16_f32_e32 v2, v18
	v_cvt_f16_f32_e32 v3, v32
	;; [unrolled: 1-line block ×8, first 2 shown]
	s_lshl_b64 s[8:9], s[8:9], 1
	s_add_u32 s8, s28, s8
	s_addc_u32 s9, s29, s9
	s_and_b32 s9, s9, 0xffff
	s_mov_b32 s11, 0x20000
	v_pack_b32_f16 v5, v5, v6
	v_pack_b32_f16 v4, v4, v7
	;; [unrolled: 1-line block ×4, first 2 shown]
	v_lshlrev_b32_e32 v6, 5, v0
	buffer_store_dwordx4 v[2:5], v6, s[8:11], 0 offen
	v_cvt_f16_f32_e32 v7, v21
	v_cvt_f16_f32_e32 v2, v30
	;; [unrolled: 1-line block ×8, first 2 shown]
	v_pack_b32_f16 v5, v5, v7
	v_pack_b32_f16 v4, v4, v8
	;; [unrolled: 1-line block ×4, first 2 shown]
	;;#ASMSTART
	s_nop 0
	;;#ASMEND
	buffer_store_dwordx4 v[2:5], v6, s[8:11], 16 offen
	;;#ASMSTART
	s_nop 0
	;;#ASMEND
.LBB733_15:
	s_or_b64 exec, exec, s[14:15]
	s_cbranch_execnz .LBB733_11
.LBB733_16:
	s_load_dwordx4 s[24:27], s[4:5], 0x70
	s_waitcnt vmcnt(0)
	v_mov_b32_e32 v2, 0
	s_and_saveexec_b64 s[14:15], s[2:3]
	s_cbranch_execz .LBB733_18
; %bb.17:
	s_load_dwordx2 s[8:9], s[4:5], 0x10
	s_waitcnt lgkmcnt(0)
	s_mul_hi_i32 s35, s27, s6
	s_mul_i32 s34, s27, s6
	v_cvt_f16_f32_e32 v2, v18
	v_cvt_f16_f32_e32 v3, v32
	;; [unrolled: 1-line block ×8, first 2 shown]
	s_lshl_b64 s[34:35], s[34:35], 1
	s_add_u32 s8, s8, s34
	s_addc_u32 s9, s9, s35
	s_mov_b32 s11, 0x20000
	s_and_b32 s9, s9, 0xffff
	v_pack_b32_f16 v5, v5, v6
	v_pack_b32_f16 v4, v4, v7
	;; [unrolled: 1-line block ×4, first 2 shown]
	v_lshlrev_b32_e32 v6, 5, v0
	buffer_store_dwordx4 v[2:5], v6, s[8:11], 0 offen
	v_cvt_f16_f32_e32 v7, v21
	v_cvt_f16_f32_e32 v2, v30
	v_cvt_f16_f32_e32 v3, v28
	v_cvt_f16_f32_e32 v4, v22
	v_cvt_f16_f32_e32 v5, v20
	v_cvt_f16_f32_e32 v8, v23
	v_cvt_f16_f32_e32 v9, v29
	v_cvt_f16_f32_e32 v11, v31
	v_pack_b32_f16 v5, v5, v7
	v_pack_b32_f16 v4, v4, v8
	;; [unrolled: 1-line block ×4, first 2 shown]
	;;#ASMSTART
	s_nop 0
	;;#ASMEND
	buffer_store_dwordx4 v[2:5], v6, s[8:11], 16 offen
	;;#ASMSTART
	s_nop 0
	;;#ASMEND
	s_nop 0
	v_mov_b32_e32 v2, 0x2edbe6ff
.LBB733_18:
	s_or_b64 exec, exec, s[14:15]
	s_and_saveexec_b64 s[8:9], s[2:3]
	s_cbranch_execz .LBB733_20
; %bb.19:
	v_and_b32_e32 v3, 0x7fffffff, v18
	v_and_b32_e32 v4, 0x7fffffff, v19
	;;#ASMSTART
	v_max3_f32 v2, v2, v3, v4

	;;#ASMEND
	v_and_b32_e32 v3, 0x7fffffff, v32
	v_and_b32_e32 v4, 0x7fffffff, v33
	;;#ASMSTART
	v_max3_f32 v2, v2, v3, v4

	;;#ASMEND
	v_and_b32_e32 v3, 0x7fffffff, v26
	v_and_b32_e32 v4, 0x7fffffff, v27
	;;#ASMSTART
	v_max3_f32 v2, v2, v3, v4

	;;#ASMEND
	v_and_b32_e32 v3, 0x7fffffff, v24
	v_and_b32_e32 v4, 0x7fffffff, v25
	;;#ASMSTART
	v_max3_f32 v2, v2, v3, v4

	;;#ASMEND
	v_and_b32_e32 v3, 0x7fffffff, v30
	v_and_b32_e32 v4, 0x7fffffff, v31
	;;#ASMSTART
	v_max3_f32 v2, v2, v3, v4

	;;#ASMEND
	v_and_b32_e32 v3, 0x7fffffff, v28
	v_and_b32_e32 v4, 0x7fffffff, v29
	;;#ASMSTART
	v_max3_f32 v2, v2, v3, v4

	;;#ASMEND
	v_and_b32_e32 v3, 0x7fffffff, v22
	v_and_b32_e32 v4, 0x7fffffff, v23
	;;#ASMSTART
	v_max3_f32 v2, v2, v3, v4

	;;#ASMEND
	v_and_b32_e32 v3, 0x7fffffff, v20
	v_and_b32_e32 v4, 0x7fffffff, v21
	;;#ASMSTART
	v_max3_f32 v2, v2, v3, v4

	;;#ASMEND
.LBB733_20:
	s_or_b64 exec, exec, s[8:9]
	v_cmp_eq_u32_e32 vcc, 0, v10
	v_cmp_gt_i32_e64 s[8:9], s19, v1
	;;#ASMSTART
	v_max_f32 v3, v2, v2 quad_perm:[1,0,3,2] row_mask:0xf bank_mask:0xf bound_ctrl:1
	;;#ASMEND
	v_mul_f32_e32 v2, 0x3b124925, v3
	s_and_b64 s[10:11], vcc, s[8:9]
	s_and_saveexec_b64 s[8:9], s[10:11]
	s_cbranch_execz .LBB733_22
; %bb.21:
	s_load_dwordx2 s[10:11], s[4:5], 0x8
	s_waitcnt lgkmcnt(0)
	s_mul_hi_i32 s15, s25, s6
	s_mul_i32 s14, s25, s6
	v_lshrrev_b32_e32 v3, 1, v0
	s_lshl_b64 s[14:15], s[14:15], 2
	v_mad_i64_i32 v[4:5], s[26:27], s26, v3, 0
	s_add_u32 s10, s10, s14
	s_addc_u32 s11, s11, s15
	v_lshlrev_b64 v[4:5], 2, v[4:5]
	v_mov_b32_e32 v3, s11
	v_add_co_u32_e32 v4, vcc, s10, v4
	v_addc_co_u32_e32 v5, vcc, v3, v5, vcc
	global_store_dword v[4:5], v2, off
.LBB733_22:
	s_or_b64 exec, exec, s[8:9]
	;;#ASMSTART
	v_rcp_f32 v2, v2
	;;#ASMEND
	s_and_saveexec_b64 s[14:15], s[2:3]
	s_cbranch_execz .LBB733_24
; %bb.23:
	s_load_dwordx2 s[2:3], s[4:5], 0x0
	s_waitcnt lgkmcnt(0)
	s_mul_i32 s8, s24, s6
	s_mul_hi_i32 s9, s24, s6
	v_mov_b32_e32 v3, v2
	;;#ASMSTART
	v_pk_mul_f32 v[4:5], v[18:19], v[2:3]
	;;#ASMEND
	s_add_u32 s8, s2, s8
	s_addc_u32 s2, s3, s9
	s_add_i32 s3, s19, 3
	s_ashr_i32 s10, s3, 31
	v_mov_b32_e32 v10, 0xc3e00000
	v_mov_b32_e32 v11, 0x43e00000
	;;#ASMSTART
	v_med3_f32 v4, v4, v10, v11
v_med3_f32 v5, v5, v10, v11
v_cvt_pk_fp8_f32 v6, v4, v5
	;;#ASMEND
	s_and_b32 s9, s2, 0xffff
	s_lshr_b32 s2, s10, 30
	;;#ASMSTART
	v_pk_mul_f32 v[4:5], v[32:33], v[2:3]
	;;#ASMEND
	s_add_i32 s3, s3, s2
	;;#ASMSTART
	v_med3_f32 v4, v4, v10, v11
v_med3_f32 v5, v5, v10, v11
v_cvt_pk_fp8_f32 v7, v4, v5
	;;#ASMEND
	s_mov_b32 s2, 0x5040100
	v_perm_b32 v4, v7, v6, s2
	s_mov_b32 s2, 0x1060504
	v_perm_b32 v4, v4, v7, s2
	;;#ASMSTART
	v_pk_mul_f32 v[6:7], v[26:27], v[2:3]
	;;#ASMEND
	v_mov_b32_e32 v5, v7
	;;#ASMSTART
	v_med3_f32 v6, v6, v10, v11
v_med3_f32 v5, v5, v10, v11
v_cvt_pk_fp8_f32 v8, v6, v5
	;;#ASMEND
	;;#ASMSTART
	v_pk_mul_f32 v[6:7], v[24:25], v[2:3]
	;;#ASMEND
	v_mov_b32_e32 v5, v6
	;;#ASMSTART
	v_med3_f32 v5, v5, v10, v11
v_med3_f32 v7, v7, v10, v11
v_cvt_pk_fp8_f32 v6, v5, v7
	;;#ASMEND
	s_mov_b32 s2, 0x1000504
	v_perm_b32 v5, v8, v6, s2
	;;#ASMSTART
	v_pk_mul_f32 v[6:7], v[30:31], v[2:3]
	;;#ASMEND
	;;#ASMSTART
	v_med3_f32 v6, v6, v10, v11
v_med3_f32 v7, v7, v10, v11
v_cvt_pk_fp8_f32 v8, v6, v7
	;;#ASMEND
	;;#ASMSTART
	v_pk_mul_f32 v[6:7], v[28:29], v[2:3]
	;;#ASMEND
	;;#ASMSTART
	v_med3_f32 v6, v6, v10, v11
v_med3_f32 v7, v7, v10, v11
v_cvt_pk_fp8_f32 v9, v6, v7
	;;#ASMEND
	v_perm_b32 v6, v8, v9, s2
	;;#ASMSTART
	v_pk_mul_f32 v[8:9], v[22:23], v[2:3]
	;;#ASMEND
	v_mov_b32_e32 v7, v9
	;;#ASMSTART
	v_med3_f32 v8, v8, v10, v11
v_med3_f32 v7, v7, v10, v11
v_cvt_pk_fp8_f32 v9, v8, v7
	;;#ASMEND
	;;#ASMSTART
	v_pk_mul_f32 v[2:3], v[20:21], v[2:3]
	;;#ASMEND
	;;#ASMSTART
	v_med3_f32 v2, v2, v10, v11
v_med3_f32 v3, v3, v10, v11
v_cvt_pk_fp8_f32 v7, v2, v3
	;;#ASMEND
	s_and_b32 s10, s3, -4
	s_mov_b32 s11, 0x20000
	v_perm_b32 v7, v9, v7, s2
	buffer_store_dwordx4 v[4:7], v1, s[8:11], 0 offen
	;;#ASMSTART
	s_nop 0
	;;#ASMEND
.LBB733_24:
	s_or_b64 exec, exec, s[14:15]
	s_cmp_lt_i32 s20, 1
	s_cbranch_scc1 .LBB733_12
.LBB733_25:
	s_load_dword s2, s[4:5], 0x94
	s_waitcnt lgkmcnt(0)
	s_cmp_lg_u32 s2, 1
	s_cbranch_scc1 .LBB733_12
; %bb.26:
	s_lshl_b32 s2, s20, 1
	s_add_i32 s2, s2, 2
	v_cmp_gt_u32_e32 vcc, s20, v1
	s_and_b32 s14, s2, -4
	v_mov_b32_e32 v18, 0
	v_lshlrev_b32_e32 v1, 5, v0
	v_mov_b32_e32 v14, 0
	v_mov_b32_e32 v15, 0
	;; [unrolled: 1-line block ×8, first 2 shown]
	s_waitcnt vmcnt(1)
	v_mov_b32_e32 v6, 0
	v_mov_b32_e32 v7, 0
	;; [unrolled: 1-line block ×4, first 2 shown]
	s_waitcnt vmcnt(0)
	v_mov_b32_e32 v2, 0
	v_mov_b32_e32 v3, 0
	;; [unrolled: 1-line block ×4, first 2 shown]
	s_barrier
	s_and_saveexec_b64 s[2:3], vcc
	s_cbranch_execz .LBB733_28
; %bb.27:
	s_mul_hi_i32 s5, s22, s6
	s_mul_i32 s4, s22, s6
	s_and_b32 s13, s13, 0xffff
	s_lshl_b64 s[4:5], s[4:5], 1
	s_add_u32 s8, s30, s4
	s_mov_b32 s15, 0x20000
	s_addc_u32 s4, s31, s5
	s_and_b32 s9, s4, 0xffff
	s_mov_b32 s10, s14
	s_mov_b32 s11, s15
	buffer_load_dwordx4 v[14:17], v1, s[8:11], 0 offen
	buffer_load_dwordx4 v[10:13], v1, s[8:11], 16 offen
	;; [unrolled: 1-line block ×4, first 2 shown]
.LBB733_28:
	s_or_b64 exec, exec, s[2:3]
	v_mov_b32_e32 v19, 0
	v_mov_b32_e32 v32, 0
	;; [unrolled: 1-line block ×15, first 2 shown]
	s_and_saveexec_b64 s[2:3], vcc
	s_cbranch_execz .LBB733_30
; %bb.29:
	s_waitcnt vmcnt(3)
	v_cvt_f32_f16_sdwa v19, v14 dst_sel:DWORD dst_unused:UNUSED_PAD src0_sel:WORD_1
	v_cvt_f32_f16_e32 v18, v14
	v_cvt_f32_f16_sdwa v33, v15 dst_sel:DWORD dst_unused:UNUSED_PAD src0_sel:WORD_1
	v_cvt_f32_f16_e32 v32, v15
	;; [unrolled: 2-line block ×4, first 2 shown]
	s_waitcnt vmcnt(2)
	v_cvt_f32_f16_sdwa v27, v10 dst_sel:DWORD dst_unused:UNUSED_PAD src0_sel:WORD_1
	v_cvt_f32_f16_e32 v26, v10
	v_cvt_f32_f16_sdwa v25, v11 dst_sel:DWORD dst_unused:UNUSED_PAD src0_sel:WORD_1
	v_cvt_f32_f16_e32 v24, v11
	;; [unrolled: 2-line block ×4, first 2 shown]
.LBB733_30:
	s_or_b64 exec, exec, s[2:3]
	s_waitcnt vmcnt(2)
	v_mul_f32_e32 v10, v19, v19
	v_fmac_f32_e32 v10, v18, v18
	v_fmac_f32_e32 v10, v32, v32
	v_fmac_f32_e32 v10, v33, v33
	v_fmac_f32_e32 v10, v30, v30
	v_fmac_f32_e32 v10, v31, v31
	v_fmac_f32_e32 v10, v28, v28
	v_fmac_f32_e32 v10, v29, v29
	v_fmac_f32_e32 v10, v26, v26
	v_fmac_f32_e32 v10, v27, v27
	v_fmac_f32_e32 v10, v24, v24
	v_fmac_f32_e32 v10, v25, v25
	v_fmac_f32_e32 v10, v22, v22
	v_fmac_f32_e32 v10, v23, v23
	v_fmac_f32_e32 v10, v20, v20
	v_fmac_f32_e32 v10, v21, v21
	s_nop 1
	v_mov_b32_dpp v11, v10 quad_perm:[1,0,3,2] row_mask:0xf bank_mask:0xf
	v_add_f32_e32 v10, v10, v11
	s_nop 1
	v_mov_b32_dpp v11, v10 quad_perm:[2,3,0,1] row_mask:0xf bank_mask:0xf
	v_add_f32_e32 v10, v10, v11
	s_nop 1
	v_mov_b32_dpp v11, v10 row_half_mirror row_mask:0xf bank_mask:0xf
	v_add_f32_e32 v10, v10, v11
	s_nop 1
	v_mov_b32_dpp v11, v10 row_mirror row_mask:0xf bank_mask:0xf
	v_add_f32_e32 v10, v10, v11
	s_nop 1
	v_mov_b32_dpp v11, v10 row_bcast:15 row_mask:0xf bank_mask:0xf
	v_add_f32_e32 v10, v10, v11
	s_nop 1
	v_mov_b32_dpp v11, v10 row_bcast:31 row_mask:0xf bank_mask:0xf
	s_and_saveexec_b64 s[2:3], s[0:1]
	s_cbranch_execz .LBB733_32
; %bb.31:
	v_lshrrev_b32_e32 v0, 4, v0
	v_add_f32_e32 v10, v10, v11
	v_and_b32_e32 v0, 60, v0
	ds_write_b32 v0, v10
.LBB733_32:
	s_or_b64 exec, exec, s[2:3]
	s_waitcnt lgkmcnt(0)
	s_barrier
	ds_read_b32 v0, v34
	s_waitcnt lgkmcnt(0)
	s_nop 0
	v_mov_b32_dpp v10, v0 quad_perm:[1,0,3,2] row_mask:0xf bank_mask:0xf
	s_and_saveexec_b64 s[0:1], vcc
	s_cbranch_execz .LBB733_12
; %bb.33:
	v_cvt_f32_u32_e32 v11, s20
	v_add_f32_e32 v0, v0, v10
	s_mov_b32 s15, 0x20000
	v_div_scale_f32 v10, s[0:1], v11, v11, v0
	v_rcp_f32_e32 v12, v10
	v_div_scale_f32 v13, vcc, v0, v11, v0
	s_mov_b32 s0, 0x800000
	v_fma_f32 v14, -v10, v12, 1.0
	v_fmac_f32_e32 v12, v14, v12
	v_mul_f32_e32 v14, v13, v12
	v_fma_f32 v15, -v10, v14, v13
	v_fmac_f32_e32 v14, v15, v12
	v_fma_f32 v10, -v10, v14, v13
	v_div_fmas_f32 v10, v10, v12, v14
	v_div_fixup_f32 v0, v10, v11, v0
	v_add_f32_e32 v0, s17, v0
	v_mul_f32_e32 v10, 0x4b800000, v0
	v_cmp_gt_f32_e32 vcc, s0, v0
	v_cndmask_b32_e32 v0, v0, v10, vcc
	v_rsq_f32_e32 v0, v0
	s_mul_hi_i32 s1, s7, s6
	s_mul_i32 s0, s7, s6
	s_lshl_b64 s[0:1], s[0:1], 1
	v_mul_f32_e32 v10, 0x45800000, v0
	v_cndmask_b32_e32 v10, v0, v10, vcc
	v_mov_b32_e32 v11, v10
	;;#ASMSTART
	v_pk_mul_f32 v[12:13], v[18:19], v[10:11]
	;;#ASMEND
	;;#ASMSTART
	v_pk_mul_f32 v[14:15], v[32:33], v[10:11]
	;;#ASMEND
	;; [unrolled: 3-line block ×8, first 2 shown]
	s_waitcnt vmcnt(1)
	v_cvt_f32_f16_sdwa v21, v6 dst_sel:DWORD dst_unused:UNUSED_PAD src0_sel:WORD_1
	v_cvt_f32_f16_e32 v20, v6
	v_cvt_f32_f16_sdwa v29, v7 dst_sel:DWORD dst_unused:UNUSED_PAD src0_sel:WORD_1
	v_cvt_f32_f16_e32 v28, v7
	;; [unrolled: 2-line block ×4, first 2 shown]
	;;#ASMSTART
	v_pk_mul_f32 v[8:9], v[12:13], v[20:21]
	;;#ASMEND
	;;#ASMSTART
	v_pk_mul_f32 v[12:13], v[14:15], v[28:29]
	;;#ASMEND
	;; [unrolled: 3-line block ×4, first 2 shown]
	s_waitcnt vmcnt(0)
	v_cvt_f32_f16_sdwa v17, v2 dst_sel:DWORD dst_unused:UNUSED_PAD src0_sel:WORD_1
	v_cvt_f32_f16_e32 v16, v2
	v_cvt_f32_f16_sdwa v19, v3 dst_sel:DWORD dst_unused:UNUSED_PAD src0_sel:WORD_1
	v_cvt_f32_f16_e32 v18, v3
	;; [unrolled: 2-line block ×4, first 2 shown]
	;;#ASMSTART
	v_pk_mul_f32 v[16:17], v[26:27], v[16:17]
	;;#ASMEND
	;;#ASMSTART
	v_pk_mul_f32 v[18:19], v[24:25], v[18:19]
	;;#ASMEND
	;; [unrolled: 3-line block ×3, first 2 shown]
	v_cvt_f16_f32_e32 v0, v8
	v_cvt_f16_f32_e32 v2, v9
	;; [unrolled: 1-line block ×8, first 2 shown]
	s_add_u32 s12, s28, s0
	s_addc_u32 s0, s29, s1
	s_and_b32 s13, s0, 0xffff
	v_pack_b32_f16 v2, v0, v2
	v_pack_b32_f16 v3, v3, v4
	;; [unrolled: 1-line block ×4, first 2 shown]
	;;#ASMSTART
	v_pk_mul_f32 v[10:11], v[10:11], v[20:21]
	;;#ASMEND
	buffer_store_dwordx4 v[2:5], v1, s[12:15], 0 offen
	v_cvt_f16_f32_e32 v0, v16
	v_cvt_f16_f32_e32 v2, v17
	;; [unrolled: 1-line block ×8, first 2 shown]
	v_pack_b32_f16 v2, v0, v2
	v_pack_b32_f16 v3, v3, v4
	;; [unrolled: 1-line block ×4, first 2 shown]
	;;#ASMSTART
	s_nop 0
	;;#ASMEND
	buffer_store_dwordx4 v[2:5], v1, s[12:15], 16 offen
	;;#ASMSTART
	s_nop 0
	;;#ASMEND
	s_endpgm
	.section	.rodata,"a",@progbits
	.p2align	6, 0x0
	.amdhsa_kernel _ZN5aiter35fused_qk_rmsnorm_group_quant_kernelIDF16_DB8_Li128ELi16ELi2ELb0ELb1ELb0ELb0ELb0ELb0EEEvPT0_PvPT_S6_S6_PKS5_S8_S8_S8_S8_ffiiiiiiiiiiiii
		.amdhsa_group_segment_fixed_size 16
		.amdhsa_private_segment_fixed_size 0
		.amdhsa_kernarg_size 400
		.amdhsa_user_sgpr_count 6
		.amdhsa_user_sgpr_private_segment_buffer 1
		.amdhsa_user_sgpr_dispatch_ptr 0
		.amdhsa_user_sgpr_queue_ptr 0
		.amdhsa_user_sgpr_kernarg_segment_ptr 1
		.amdhsa_user_sgpr_dispatch_id 0
		.amdhsa_user_sgpr_flat_scratch_init 0
		.amdhsa_user_sgpr_kernarg_preload_length 0
		.amdhsa_user_sgpr_kernarg_preload_offset 0
		.amdhsa_user_sgpr_private_segment_size 0
		.amdhsa_uses_dynamic_stack 0
		.amdhsa_system_sgpr_private_segment_wavefront_offset 0
		.amdhsa_system_sgpr_workgroup_id_x 1
		.amdhsa_system_sgpr_workgroup_id_y 1
		.amdhsa_system_sgpr_workgroup_id_z 0
		.amdhsa_system_sgpr_workgroup_info 0
		.amdhsa_system_vgpr_workitem_id 0
		.amdhsa_next_free_vgpr 38
		.amdhsa_next_free_sgpr 36
		.amdhsa_accum_offset 40
		.amdhsa_reserve_vcc 1
		.amdhsa_reserve_flat_scratch 0
		.amdhsa_float_round_mode_32 0
		.amdhsa_float_round_mode_16_64 0
		.amdhsa_float_denorm_mode_32 3
		.amdhsa_float_denorm_mode_16_64 3
		.amdhsa_dx10_clamp 1
		.amdhsa_ieee_mode 1
		.amdhsa_fp16_overflow 0
		.amdhsa_tg_split 0
		.amdhsa_exception_fp_ieee_invalid_op 0
		.amdhsa_exception_fp_denorm_src 0
		.amdhsa_exception_fp_ieee_div_zero 0
		.amdhsa_exception_fp_ieee_overflow 0
		.amdhsa_exception_fp_ieee_underflow 0
		.amdhsa_exception_fp_ieee_inexact 0
		.amdhsa_exception_int_div_zero 0
	.end_amdhsa_kernel
	.section	.text._ZN5aiter35fused_qk_rmsnorm_group_quant_kernelIDF16_DB8_Li128ELi16ELi2ELb0ELb1ELb0ELb0ELb0ELb0EEEvPT0_PvPT_S6_S6_PKS5_S8_S8_S8_S8_ffiiiiiiiiiiiii,"axG",@progbits,_ZN5aiter35fused_qk_rmsnorm_group_quant_kernelIDF16_DB8_Li128ELi16ELi2ELb0ELb1ELb0ELb0ELb0ELb0EEEvPT0_PvPT_S6_S6_PKS5_S8_S8_S8_S8_ffiiiiiiiiiiiii,comdat
.Lfunc_end733:
	.size	_ZN5aiter35fused_qk_rmsnorm_group_quant_kernelIDF16_DB8_Li128ELi16ELi2ELb0ELb1ELb0ELb0ELb0ELb0EEEvPT0_PvPT_S6_S6_PKS5_S8_S8_S8_S8_ffiiiiiiiiiiiii, .Lfunc_end733-_ZN5aiter35fused_qk_rmsnorm_group_quant_kernelIDF16_DB8_Li128ELi16ELi2ELb0ELb1ELb0ELb0ELb0ELb0EEEvPT0_PvPT_S6_S6_PKS5_S8_S8_S8_S8_ffiiiiiiiiiiiii
                                        ; -- End function
	.section	.AMDGPU.csdata,"",@progbits
; Kernel info:
; codeLenInByte = 3604
; NumSgprs: 40
; NumVgprs: 38
; NumAgprs: 0
; TotalNumVgprs: 38
; ScratchSize: 0
; MemoryBound: 0
; FloatMode: 240
; IeeeMode: 1
; LDSByteSize: 16 bytes/workgroup (compile time only)
; SGPRBlocks: 4
; VGPRBlocks: 4
; NumSGPRsForWavesPerEU: 40
; NumVGPRsForWavesPerEU: 38
; AccumOffset: 40
; Occupancy: 8
; WaveLimiterHint : 0
; COMPUTE_PGM_RSRC2:SCRATCH_EN: 0
; COMPUTE_PGM_RSRC2:USER_SGPR: 6
; COMPUTE_PGM_RSRC2:TRAP_HANDLER: 0
; COMPUTE_PGM_RSRC2:TGID_X_EN: 1
; COMPUTE_PGM_RSRC2:TGID_Y_EN: 1
; COMPUTE_PGM_RSRC2:TGID_Z_EN: 0
; COMPUTE_PGM_RSRC2:TIDIG_COMP_CNT: 0
; COMPUTE_PGM_RSRC3_GFX90A:ACCUM_OFFSET: 9
; COMPUTE_PGM_RSRC3_GFX90A:TG_SPLIT: 0
	.section	.text._ZN5aiter35fused_qk_rmsnorm_group_quant_kernelItDB8_Li128ELi16ELi2ELb0ELb1ELb0ELb0ELb0ELb0EEEvPT0_PvPT_S6_S6_PKS5_S8_S8_S8_S8_ffiiiiiiiiiiiii,"axG",@progbits,_ZN5aiter35fused_qk_rmsnorm_group_quant_kernelItDB8_Li128ELi16ELi2ELb0ELb1ELb0ELb0ELb0ELb0EEEvPT0_PvPT_S6_S6_PKS5_S8_S8_S8_S8_ffiiiiiiiiiiiii,comdat
	.protected	_ZN5aiter35fused_qk_rmsnorm_group_quant_kernelItDB8_Li128ELi16ELi2ELb0ELb1ELb0ELb0ELb0ELb0EEEvPT0_PvPT_S6_S6_PKS5_S8_S8_S8_S8_ffiiiiiiiiiiiii ; -- Begin function _ZN5aiter35fused_qk_rmsnorm_group_quant_kernelItDB8_Li128ELi16ELi2ELb0ELb1ELb0ELb0ELb0ELb0EEEvPT0_PvPT_S6_S6_PKS5_S8_S8_S8_S8_ffiiiiiiiiiiiii
	.globl	_ZN5aiter35fused_qk_rmsnorm_group_quant_kernelItDB8_Li128ELi16ELi2ELb0ELb1ELb0ELb0ELb0ELb0EEEvPT0_PvPT_S6_S6_PKS5_S8_S8_S8_S8_ffiiiiiiiiiiiii
	.p2align	8
	.type	_ZN5aiter35fused_qk_rmsnorm_group_quant_kernelItDB8_Li128ELi16ELi2ELb0ELb1ELb0ELb0ELb0ELb0EEEvPT0_PvPT_S6_S6_PKS5_S8_S8_S8_S8_ffiiiiiiiiiiiii,@function
_ZN5aiter35fused_qk_rmsnorm_group_quant_kernelItDB8_Li128ELi16ELi2ELb0ELb1ELb0ELb0ELb0ELb0EEEvPT0_PvPT_S6_S6_PKS5_S8_S8_S8_S8_ffiiiiiiiiiiiii: ; @_ZN5aiter35fused_qk_rmsnorm_group_quant_kernelItDB8_Li128ELi16ELi2ELb0ELb1ELb0ELb0ELb0ELb0EEEvPT0_PvPT_S6_S6_PKS5_S8_S8_S8_S8_ffiiiiiiiiiiiii
; %bb.0:
	s_load_dwordx4 s[16:19], s[4:5], 0x50
	s_waitcnt lgkmcnt(0)
	s_cmp_ge_i32 s6, s18
	s_cbranch_scc1 .LBB734_12
; %bb.1:
	s_load_dwordx2 s[12:13], s[4:5], 0x48
	s_load_dwordx2 s[30:31], s[4:5], 0x30
	s_load_dwordx4 s[20:23], s[4:5], 0x60
	s_cmp_lg_u32 s7, 0
	s_cselect_b64 s[14:15], -1, 0
	s_cmp_eq_u32 s7, 0
	s_cselect_b64 vcc, -1, 0
	s_and_b64 s[0:1], vcc, exec
	s_waitcnt lgkmcnt(0)
	s_cselect_b32 s7, s19, s20
	s_add_i32 s0, s7, 1
	s_lshr_b32 s1, s0, 31
	s_add_i32 s0, s0, s1
	s_lshl_b32 s0, s0, 1
	v_lshlrev_b32_e32 v1, 4, v0
	s_and_b32 s10, s0, -4
	v_cmp_gt_i32_e64 s[2:3], s7, v1
	v_mov_b32_e32 v18, 0
	v_mov_b32_e32 v6, 0
	;; [unrolled: 1-line block ×17, first 2 shown]
	s_and_saveexec_b64 s[0:1], s[2:3]
	s_cbranch_execz .LBB734_3
; %bb.2:
	s_load_dwordx2 s[8:9], s[4:5], 0x28
	s_load_dwordx2 s[26:27], s[4:5], 0x40
	s_and_b64 s[24:25], vcc, exec
	s_cselect_b32 s11, s21, s22
	v_lshlrev_b32_e32 v19, 5, v0
	s_waitcnt lgkmcnt(0)
	s_cselect_b32 s18, s9, s31
	s_cselect_b32 s21, s8, s30
	s_mul_hi_i32 s9, s11, s6
	s_mul_i32 s8, s11, s6
	s_lshl_b64 s[8:9], s[8:9], 1
	s_add_u32 s24, s21, s8
	s_addc_u32 s18, s18, s9
	s_and_b64 s[8:9], vcc, exec
	s_mov_b32 s11, 0x20000
	s_cselect_b32 s8, s26, s12
	s_cselect_b32 s9, s27, s13
	s_and_b32 s25, s18, 0xffff
	s_mov_b32 s26, s10
	s_mov_b32 s27, s11
	s_and_b32 s9, s9, 0xffff
	buffer_load_dwordx4 v[14:17], v19, s[24:27], 0 offen
	buffer_load_dwordx4 v[10:13], v19, s[24:27], 16 offen
	;; [unrolled: 1-line block ×4, first 2 shown]
.LBB734_3:
	s_or_b64 exec, exec, s[0:1]
	v_mov_b32_e32 v19, 0
	v_mov_b32_e32 v32, 0
	;; [unrolled: 1-line block ×15, first 2 shown]
	s_and_saveexec_b64 s[0:1], s[2:3]
	s_cbranch_execz .LBB734_5
; %bb.4:
	s_waitcnt vmcnt(3)
	v_cvt_f32_u32_sdwa v18, v14 dst_sel:DWORD dst_unused:UNUSED_PAD src0_sel:WORD_0
	v_cvt_f32_u32_sdwa v19, v14 dst_sel:DWORD dst_unused:UNUSED_PAD src0_sel:WORD_1
	v_cvt_f32_u32_sdwa v32, v15 dst_sel:DWORD dst_unused:UNUSED_PAD src0_sel:WORD_0
	v_cvt_f32_u32_sdwa v33, v15 dst_sel:DWORD dst_unused:UNUSED_PAD src0_sel:WORD_1
	;; [unrolled: 2-line block ×4, first 2 shown]
	s_waitcnt vmcnt(2)
	v_cvt_f32_u32_sdwa v30, v10 dst_sel:DWORD dst_unused:UNUSED_PAD src0_sel:WORD_0
	v_cvt_f32_u32_sdwa v31, v10 dst_sel:DWORD dst_unused:UNUSED_PAD src0_sel:WORD_1
	v_cvt_f32_u32_sdwa v28, v11 dst_sel:DWORD dst_unused:UNUSED_PAD src0_sel:WORD_0
	v_cvt_f32_u32_sdwa v29, v11 dst_sel:DWORD dst_unused:UNUSED_PAD src0_sel:WORD_1
	;; [unrolled: 2-line block ×4, first 2 shown]
.LBB734_5:
	s_or_b64 exec, exec, s[0:1]
	s_waitcnt vmcnt(2)
	v_mul_f32_e32 v10, v19, v19
	v_fmac_f32_e32 v10, v18, v18
	v_fmac_f32_e32 v10, v32, v32
	;; [unrolled: 1-line block ×15, first 2 shown]
	v_and_b32_e32 v12, 63, v0
	v_cmp_eq_u32_e64 s[0:1], 63, v12
	v_mov_b32_dpp v11, v10 quad_perm:[1,0,3,2] row_mask:0xf bank_mask:0xf
	v_add_f32_e32 v10, v10, v11
	s_nop 1
	v_mov_b32_dpp v11, v10 quad_perm:[2,3,0,1] row_mask:0xf bank_mask:0xf
	v_add_f32_e32 v10, v10, v11
	s_nop 1
	v_mov_b32_dpp v11, v10 row_half_mirror row_mask:0xf bank_mask:0xf
	v_add_f32_e32 v10, v10, v11
	s_nop 1
	v_mov_b32_dpp v11, v10 row_mirror row_mask:0xf bank_mask:0xf
	v_add_f32_e32 v10, v10, v11
	s_nop 1
	v_mov_b32_dpp v11, v10 row_bcast:15 row_mask:0xf bank_mask:0xf
	v_add_f32_e32 v10, v10, v11
	s_nop 1
	v_mov_b32_dpp v11, v10 row_bcast:31 row_mask:0xf bank_mask:0xf
	s_and_saveexec_b64 s[8:9], s[0:1]
	s_cbranch_execz .LBB734_7
; %bb.6:
	v_add_f32_e32 v10, v10, v11
	v_lshrrev_b32_e32 v11, 4, v0
	v_and_b32_e32 v11, 60, v11
	ds_write_b32 v11, v10 offset:8
.LBB734_7:
	s_or_b64 exec, exec, s[8:9]
	v_and_b32_e32 v10, 1, v0
	v_lshlrev_b32_e32 v34, 2, v10
	s_waitcnt lgkmcnt(0)
	s_barrier
	ds_read_b32 v11, v34 offset:8
	s_load_dwordx2 s[28:29], s[4:5], 0x18
	s_waitcnt lgkmcnt(0)
	v_mov_b32_dpp v12, v11 quad_perm:[1,0,3,2] row_mask:0xf bank_mask:0xf
	s_and_saveexec_b64 s[8:9], s[2:3]
	s_cbranch_execz .LBB734_9
; %bb.8:
	v_cvt_f32_u32_e32 v13, s7
	v_add_f32_e32 v11, v11, v12
	v_mov_b32_e32 v15, s17
	v_mov_b32_e32 v16, s16
	v_div_scale_f32 v12, s[24:25], v13, v13, v11
	v_rcp_f32_e32 v14, v12
	v_cndmask_b32_e32 v15, v15, v16, vcc
	s_mov_b32 s7, 0x800000
	s_waitcnt vmcnt(1)
	v_cvt_f32_u32_sdwa v37, v9 dst_sel:DWORD dst_unused:UNUSED_PAD src0_sel:WORD_1
	v_fma_f32 v16, -v12, v14, 1.0
	v_fmac_f32_e32 v14, v16, v14
	v_div_scale_f32 v16, vcc, v11, v13, v11
	v_mul_f32_e32 v17, v16, v14
	v_fma_f32 v35, -v12, v17, v16
	v_fmac_f32_e32 v17, v35, v14
	v_fma_f32 v12, -v12, v17, v16
	v_div_fmas_f32 v12, v12, v14, v17
	v_div_fixup_f32 v11, v12, v13, v11
	v_add_f32_e32 v11, v15, v11
	v_mul_f32_e32 v12, 0x4b800000, v11
	v_cmp_gt_f32_e32 vcc, s7, v11
	v_cndmask_b32_e32 v11, v11, v12, vcc
	v_rsq_f32_e32 v11, v11
	v_cvt_f32_u32_sdwa v36, v9 dst_sel:DWORD dst_unused:UNUSED_PAD src0_sel:WORD_0
	s_waitcnt vmcnt(0)
	v_cvt_f32_u32_sdwa v9, v3 dst_sel:DWORD dst_unused:UNUSED_PAD src0_sel:WORD_1
	v_mul_f32_e32 v12, 0x45800000, v11
	v_cndmask_b32_e32 v12, v11, v12, vcc
	v_mov_b32_e32 v13, v12
	;;#ASMSTART
	v_pk_mul_f32 v[14:15], v[18:19], v[12:13]
	;;#ASMEND
	;;#ASMSTART
	v_pk_mul_f32 v[16:17], v[32:33], v[12:13]
	;;#ASMEND
	;; [unrolled: 3-line block ×8, first 2 shown]
	v_cvt_f32_u32_sdwa v19, v6 dst_sel:DWORD dst_unused:UNUSED_PAD src0_sel:WORD_1
	v_cvt_f32_u32_sdwa v18, v6 dst_sel:DWORD dst_unused:UNUSED_PAD src0_sel:WORD_0
	v_cvt_f32_u32_sdwa v21, v7 dst_sel:DWORD dst_unused:UNUSED_PAD src0_sel:WORD_1
	v_cvt_f32_u32_sdwa v20, v7 dst_sel:DWORD dst_unused:UNUSED_PAD src0_sel:WORD_0
	;; [unrolled: 2-line block ×3, first 2 shown]
	;;#ASMSTART
	v_pk_mul_f32 v[18:19], v[14:15], v[18:19]
	;;#ASMEND
	;;#ASMSTART
	v_pk_mul_f32 v[32:33], v[16:17], v[20:21]
	;;#ASMEND
	;; [unrolled: 3-line block ×4, first 2 shown]
	v_cvt_f32_u32_sdwa v7, v2 dst_sel:DWORD dst_unused:UNUSED_PAD src0_sel:WORD_1
	v_cvt_f32_u32_sdwa v6, v2 dst_sel:DWORD dst_unused:UNUSED_PAD src0_sel:WORD_0
	v_cvt_f32_u32_sdwa v8, v3 dst_sel:DWORD dst_unused:UNUSED_PAD src0_sel:WORD_0
	v_cvt_f32_u32_sdwa v3, v4 dst_sel:DWORD dst_unused:UNUSED_PAD src0_sel:WORD_1
	v_cvt_f32_u32_sdwa v2, v4 dst_sel:DWORD dst_unused:UNUSED_PAD src0_sel:WORD_0
	v_cvt_f32_u32_sdwa v15, v5 dst_sel:DWORD dst_unused:UNUSED_PAD src0_sel:WORD_1
	v_cvt_f32_u32_sdwa v14, v5 dst_sel:DWORD dst_unused:UNUSED_PAD src0_sel:WORD_0
	;;#ASMSTART
	v_pk_mul_f32 v[30:31], v[30:31], v[6:7]
	;;#ASMEND
	;;#ASMSTART
	v_pk_mul_f32 v[28:29], v[28:29], v[8:9]
	;;#ASMEND
	;; [unrolled: 3-line block ×4, first 2 shown]
.LBB734_9:
	s_or_b64 exec, exec, s[8:9]
	s_load_dword s7, s[4:5], 0x80
	s_mov_b64 s[8:9], -1
	s_and_b64 vcc, exec, s[14:15]
	s_cbranch_vccnz .LBB734_13
; %bb.10:
	s_andn2_b64 vcc, exec, s[8:9]
	s_cbranch_vccz .LBB734_16
.LBB734_11:
	s_cmp_lt_i32 s20, 1
	s_cbranch_scc0 .LBB734_25
.LBB734_12:
	s_endpgm
.LBB734_13:
	s_and_saveexec_b64 s[14:15], s[2:3]
	s_cbranch_execz .LBB734_15
; %bb.14:
	s_waitcnt lgkmcnt(0)
	s_mul_hi_i32 s9, s7, s6
	s_mul_i32 s8, s7, s6
	s_lshl_b64 s[8:9], s[8:9], 1
	s_add_u32 s8, s28, s8
	s_addc_u32 s9, s29, s9
	s_mov_b32 s16, 0x7060302
	s_and_b32 s9, s9, 0xffff
	s_mov_b32 s11, 0x20000
	s_waitcnt vmcnt(0)
	v_perm_b32 v5, v25, v24, s16
	v_perm_b32 v4, v27, v26, s16
	;; [unrolled: 1-line block ×4, first 2 shown]
	v_lshlrev_b32_e32 v6, 5, v0
	buffer_store_dwordx4 v[2:5], v6, s[8:11], 0 offen
	;;#ASMSTART
	s_nop 0
	;;#ASMEND
	s_nop 0
	v_perm_b32 v5, v21, v20, s16
	v_perm_b32 v4, v23, v22, s16
	;; [unrolled: 1-line block ×4, first 2 shown]
	buffer_store_dwordx4 v[2:5], v6, s[8:11], 16 offen
	;;#ASMSTART
	s_nop 0
	;;#ASMEND
.LBB734_15:
	s_or_b64 exec, exec, s[14:15]
	s_cbranch_execnz .LBB734_11
.LBB734_16:
	s_load_dwordx4 s[24:27], s[4:5], 0x70
	s_waitcnt vmcnt(0)
	v_mov_b32_e32 v2, 0
	s_and_saveexec_b64 s[14:15], s[2:3]
	s_cbranch_execz .LBB734_18
; %bb.17:
	s_load_dwordx2 s[8:9], s[4:5], 0x10
	s_waitcnt lgkmcnt(0)
	s_mul_hi_i32 s35, s27, s6
	s_mul_i32 s34, s27, s6
	s_lshl_b64 s[34:35], s[34:35], 1
	s_mov_b32 s16, 0x7060302
	s_add_u32 s8, s8, s34
	s_addc_u32 s9, s9, s35
	s_mov_b32 s11, 0x20000
	s_and_b32 s9, s9, 0xffff
	v_perm_b32 v5, v25, v24, s16
	v_perm_b32 v4, v27, v26, s16
	;; [unrolled: 1-line block ×4, first 2 shown]
	v_lshlrev_b32_e32 v6, 5, v0
	buffer_store_dwordx4 v[2:5], v6, s[8:11], 0 offen
	;;#ASMSTART
	s_nop 0
	;;#ASMEND
	s_nop 0
	v_perm_b32 v5, v21, v20, s16
	v_perm_b32 v4, v23, v22, s16
	;; [unrolled: 1-line block ×4, first 2 shown]
	buffer_store_dwordx4 v[2:5], v6, s[8:11], 16 offen
	;;#ASMSTART
	s_nop 0
	;;#ASMEND
	s_nop 0
	v_mov_b32_e32 v2, 0x2edbe6ff
.LBB734_18:
	s_or_b64 exec, exec, s[14:15]
	s_and_saveexec_b64 s[8:9], s[2:3]
	s_cbranch_execz .LBB734_20
; %bb.19:
	v_and_b32_e32 v3, 0x7fffffff, v18
	v_and_b32_e32 v4, 0x7fffffff, v19
	;;#ASMSTART
	v_max3_f32 v2, v2, v3, v4

	;;#ASMEND
	v_and_b32_e32 v3, 0x7fffffff, v32
	v_and_b32_e32 v4, 0x7fffffff, v33
	;;#ASMSTART
	v_max3_f32 v2, v2, v3, v4

	;;#ASMEND
	;; [unrolled: 6-line block ×8, first 2 shown]
.LBB734_20:
	s_or_b64 exec, exec, s[8:9]
	v_cmp_eq_u32_e32 vcc, 0, v10
	v_cmp_gt_i32_e64 s[8:9], s19, v1
	;;#ASMSTART
	v_max_f32 v3, v2, v2 quad_perm:[1,0,3,2] row_mask:0xf bank_mask:0xf bound_ctrl:1
	;;#ASMEND
	v_mul_f32_e32 v2, 0x3b124925, v3
	s_and_b64 s[10:11], vcc, s[8:9]
	s_and_saveexec_b64 s[8:9], s[10:11]
	s_cbranch_execz .LBB734_22
; %bb.21:
	s_load_dwordx2 s[10:11], s[4:5], 0x8
	s_waitcnt lgkmcnt(0)
	s_mul_hi_i32 s15, s25, s6
	s_mul_i32 s14, s25, s6
	v_lshrrev_b32_e32 v3, 1, v0
	s_lshl_b64 s[14:15], s[14:15], 2
	v_mad_i64_i32 v[4:5], s[26:27], s26, v3, 0
	s_add_u32 s10, s10, s14
	s_addc_u32 s11, s11, s15
	v_lshlrev_b64 v[4:5], 2, v[4:5]
	v_mov_b32_e32 v3, s11
	v_add_co_u32_e32 v4, vcc, s10, v4
	v_addc_co_u32_e32 v5, vcc, v3, v5, vcc
	global_store_dword v[4:5], v2, off
.LBB734_22:
	s_or_b64 exec, exec, s[8:9]
	;;#ASMSTART
	v_rcp_f32 v2, v2
	;;#ASMEND
	s_and_saveexec_b64 s[14:15], s[2:3]
	s_cbranch_execz .LBB734_24
; %bb.23:
	s_load_dwordx2 s[2:3], s[4:5], 0x0
	s_waitcnt lgkmcnt(0)
	s_mul_i32 s8, s24, s6
	s_mul_hi_i32 s9, s24, s6
	v_mov_b32_e32 v3, v2
	;;#ASMSTART
	v_pk_mul_f32 v[4:5], v[18:19], v[2:3]
	;;#ASMEND
	s_add_u32 s8, s2, s8
	s_addc_u32 s2, s3, s9
	s_add_i32 s3, s19, 3
	s_ashr_i32 s10, s3, 31
	v_mov_b32_e32 v10, 0xc3e00000
	v_mov_b32_e32 v11, 0x43e00000
	;;#ASMSTART
	v_med3_f32 v4, v4, v10, v11
v_med3_f32 v5, v5, v10, v11
v_cvt_pk_fp8_f32 v6, v4, v5
	;;#ASMEND
	s_and_b32 s9, s2, 0xffff
	s_lshr_b32 s2, s10, 30
	;;#ASMSTART
	v_pk_mul_f32 v[4:5], v[32:33], v[2:3]
	;;#ASMEND
	s_add_i32 s3, s3, s2
	;;#ASMSTART
	v_med3_f32 v4, v4, v10, v11
v_med3_f32 v5, v5, v10, v11
v_cvt_pk_fp8_f32 v7, v4, v5
	;;#ASMEND
	s_mov_b32 s2, 0x5040100
	v_perm_b32 v4, v7, v6, s2
	s_mov_b32 s2, 0x1060504
	v_perm_b32 v4, v4, v7, s2
	;;#ASMSTART
	v_pk_mul_f32 v[6:7], v[26:27], v[2:3]
	;;#ASMEND
	v_mov_b32_e32 v5, v7
	;;#ASMSTART
	v_med3_f32 v6, v6, v10, v11
v_med3_f32 v5, v5, v10, v11
v_cvt_pk_fp8_f32 v8, v6, v5
	;;#ASMEND
	;;#ASMSTART
	v_pk_mul_f32 v[6:7], v[24:25], v[2:3]
	;;#ASMEND
	v_mov_b32_e32 v5, v6
	;;#ASMSTART
	v_med3_f32 v5, v5, v10, v11
v_med3_f32 v7, v7, v10, v11
v_cvt_pk_fp8_f32 v6, v5, v7
	;;#ASMEND
	s_mov_b32 s2, 0x1000504
	v_perm_b32 v5, v8, v6, s2
	;;#ASMSTART
	v_pk_mul_f32 v[6:7], v[30:31], v[2:3]
	;;#ASMEND
	;;#ASMSTART
	v_med3_f32 v6, v6, v10, v11
v_med3_f32 v7, v7, v10, v11
v_cvt_pk_fp8_f32 v8, v6, v7
	;;#ASMEND
	;;#ASMSTART
	v_pk_mul_f32 v[6:7], v[28:29], v[2:3]
	;;#ASMEND
	;;#ASMSTART
	v_med3_f32 v6, v6, v10, v11
v_med3_f32 v7, v7, v10, v11
v_cvt_pk_fp8_f32 v9, v6, v7
	;;#ASMEND
	v_perm_b32 v6, v8, v9, s2
	;;#ASMSTART
	v_pk_mul_f32 v[8:9], v[22:23], v[2:3]
	;;#ASMEND
	v_mov_b32_e32 v7, v9
	;;#ASMSTART
	v_med3_f32 v8, v8, v10, v11
v_med3_f32 v7, v7, v10, v11
v_cvt_pk_fp8_f32 v9, v8, v7
	;;#ASMEND
	;;#ASMSTART
	v_pk_mul_f32 v[2:3], v[20:21], v[2:3]
	;;#ASMEND
	;;#ASMSTART
	v_med3_f32 v2, v2, v10, v11
v_med3_f32 v3, v3, v10, v11
v_cvt_pk_fp8_f32 v7, v2, v3
	;;#ASMEND
	s_and_b32 s10, s3, -4
	s_mov_b32 s11, 0x20000
	v_perm_b32 v7, v9, v7, s2
	buffer_store_dwordx4 v[4:7], v1, s[8:11], 0 offen
	;;#ASMSTART
	s_nop 0
	;;#ASMEND
.LBB734_24:
	s_or_b64 exec, exec, s[14:15]
	s_cmp_lt_i32 s20, 1
	s_cbranch_scc1 .LBB734_12
.LBB734_25:
	s_load_dword s2, s[4:5], 0x94
	s_waitcnt lgkmcnt(0)
	s_cmp_lg_u32 s2, 1
	s_cbranch_scc1 .LBB734_12
; %bb.26:
	s_lshl_b32 s2, s20, 1
	s_add_i32 s2, s2, 2
	v_cmp_gt_u32_e32 vcc, s20, v1
	s_and_b32 s14, s2, -4
	v_mov_b32_e32 v18, 0
	v_lshlrev_b32_e32 v1, 5, v0
	v_mov_b32_e32 v14, 0
	v_mov_b32_e32 v15, 0
	;; [unrolled: 1-line block ×8, first 2 shown]
	s_waitcnt vmcnt(1)
	v_mov_b32_e32 v6, 0
	v_mov_b32_e32 v7, 0
	;; [unrolled: 1-line block ×4, first 2 shown]
	s_waitcnt vmcnt(0)
	v_mov_b32_e32 v2, 0
	v_mov_b32_e32 v3, 0
	v_mov_b32_e32 v4, 0
	v_mov_b32_e32 v5, 0
	s_barrier
	s_and_saveexec_b64 s[2:3], vcc
	s_cbranch_execz .LBB734_28
; %bb.27:
	s_mul_hi_i32 s5, s22, s6
	s_mul_i32 s4, s22, s6
	s_and_b32 s13, s13, 0xffff
	s_lshl_b64 s[4:5], s[4:5], 1
	s_add_u32 s8, s30, s4
	s_mov_b32 s15, 0x20000
	s_addc_u32 s4, s31, s5
	s_and_b32 s9, s4, 0xffff
	s_mov_b32 s10, s14
	s_mov_b32 s11, s15
	buffer_load_dwordx4 v[14:17], v1, s[8:11], 0 offen
	buffer_load_dwordx4 v[10:13], v1, s[8:11], 16 offen
	;; [unrolled: 1-line block ×4, first 2 shown]
.LBB734_28:
	s_or_b64 exec, exec, s[2:3]
	v_mov_b32_e32 v19, 0
	v_mov_b32_e32 v32, 0
	;; [unrolled: 1-line block ×15, first 2 shown]
	s_and_saveexec_b64 s[2:3], vcc
	s_cbranch_execz .LBB734_30
; %bb.29:
	s_waitcnt vmcnt(3)
	v_cvt_f32_u32_sdwa v18, v14 dst_sel:DWORD dst_unused:UNUSED_PAD src0_sel:WORD_0
	v_cvt_f32_u32_sdwa v19, v14 dst_sel:DWORD dst_unused:UNUSED_PAD src0_sel:WORD_1
	v_cvt_f32_u32_sdwa v32, v15 dst_sel:DWORD dst_unused:UNUSED_PAD src0_sel:WORD_0
	v_cvt_f32_u32_sdwa v33, v15 dst_sel:DWORD dst_unused:UNUSED_PAD src0_sel:WORD_1
	;; [unrolled: 2-line block ×4, first 2 shown]
	s_waitcnt vmcnt(2)
	v_cvt_f32_u32_sdwa v26, v10 dst_sel:DWORD dst_unused:UNUSED_PAD src0_sel:WORD_0
	v_cvt_f32_u32_sdwa v27, v10 dst_sel:DWORD dst_unused:UNUSED_PAD src0_sel:WORD_1
	v_cvt_f32_u32_sdwa v24, v11 dst_sel:DWORD dst_unused:UNUSED_PAD src0_sel:WORD_0
	v_cvt_f32_u32_sdwa v25, v11 dst_sel:DWORD dst_unused:UNUSED_PAD src0_sel:WORD_1
	;; [unrolled: 2-line block ×4, first 2 shown]
.LBB734_30:
	s_or_b64 exec, exec, s[2:3]
	s_waitcnt vmcnt(2)
	v_mul_f32_e32 v10, v19, v19
	v_fmac_f32_e32 v10, v18, v18
	v_fmac_f32_e32 v10, v32, v32
	v_fmac_f32_e32 v10, v33, v33
	v_fmac_f32_e32 v10, v30, v30
	v_fmac_f32_e32 v10, v31, v31
	v_fmac_f32_e32 v10, v28, v28
	v_fmac_f32_e32 v10, v29, v29
	v_fmac_f32_e32 v10, v26, v26
	v_fmac_f32_e32 v10, v27, v27
	v_fmac_f32_e32 v10, v24, v24
	v_fmac_f32_e32 v10, v25, v25
	v_fmac_f32_e32 v10, v22, v22
	v_fmac_f32_e32 v10, v23, v23
	v_fmac_f32_e32 v10, v20, v20
	v_fmac_f32_e32 v10, v21, v21
	s_nop 1
	v_mov_b32_dpp v11, v10 quad_perm:[1,0,3,2] row_mask:0xf bank_mask:0xf
	v_add_f32_e32 v10, v10, v11
	s_nop 1
	v_mov_b32_dpp v11, v10 quad_perm:[2,3,0,1] row_mask:0xf bank_mask:0xf
	v_add_f32_e32 v10, v10, v11
	s_nop 1
	v_mov_b32_dpp v11, v10 row_half_mirror row_mask:0xf bank_mask:0xf
	v_add_f32_e32 v10, v10, v11
	s_nop 1
	v_mov_b32_dpp v11, v10 row_mirror row_mask:0xf bank_mask:0xf
	v_add_f32_e32 v10, v10, v11
	s_nop 1
	v_mov_b32_dpp v11, v10 row_bcast:15 row_mask:0xf bank_mask:0xf
	v_add_f32_e32 v10, v10, v11
	s_nop 1
	v_mov_b32_dpp v11, v10 row_bcast:31 row_mask:0xf bank_mask:0xf
	s_and_saveexec_b64 s[2:3], s[0:1]
	s_cbranch_execz .LBB734_32
; %bb.31:
	v_lshrrev_b32_e32 v0, 4, v0
	v_add_f32_e32 v10, v10, v11
	v_and_b32_e32 v0, 60, v0
	ds_write_b32 v0, v10
.LBB734_32:
	s_or_b64 exec, exec, s[2:3]
	s_waitcnt lgkmcnt(0)
	s_barrier
	ds_read_b32 v0, v34
	s_waitcnt lgkmcnt(0)
	s_nop 0
	v_mov_b32_dpp v10, v0 quad_perm:[1,0,3,2] row_mask:0xf bank_mask:0xf
	s_and_saveexec_b64 s[0:1], vcc
	s_cbranch_execz .LBB734_12
; %bb.33:
	v_cvt_f32_u32_e32 v11, s20
	v_add_f32_e32 v0, v0, v10
	s_mov_b32 s15, 0x20000
	v_div_scale_f32 v10, s[0:1], v11, v11, v0
	v_rcp_f32_e32 v12, v10
	v_div_scale_f32 v13, vcc, v0, v11, v0
	s_mov_b32 s0, 0x800000
	v_fma_f32 v14, -v10, v12, 1.0
	v_fmac_f32_e32 v12, v14, v12
	v_mul_f32_e32 v14, v13, v12
	v_fma_f32 v15, -v10, v14, v13
	v_fmac_f32_e32 v14, v15, v12
	v_fma_f32 v10, -v10, v14, v13
	v_div_fmas_f32 v10, v10, v12, v14
	v_div_fixup_f32 v0, v10, v11, v0
	v_add_f32_e32 v0, s17, v0
	v_mul_f32_e32 v10, 0x4b800000, v0
	v_cmp_gt_f32_e32 vcc, s0, v0
	v_cndmask_b32_e32 v0, v0, v10, vcc
	v_rsq_f32_e32 v0, v0
	s_mul_hi_i32 s1, s7, s6
	s_mul_i32 s0, s7, s6
	s_lshl_b64 s[0:1], s[0:1], 1
	v_mul_f32_e32 v10, 0x45800000, v0
	v_cndmask_b32_e32 v10, v0, v10, vcc
	v_mov_b32_e32 v11, v10
	s_add_u32 s12, s28, s0
	;;#ASMSTART
	v_pk_mul_f32 v[12:13], v[18:19], v[10:11]
	;;#ASMEND
	;;#ASMSTART
	v_pk_mul_f32 v[14:15], v[32:33], v[10:11]
	;;#ASMEND
	;; [unrolled: 3-line block ×8, first 2 shown]
	s_waitcnt vmcnt(1)
	v_cvt_f32_u32_sdwa v21, v6 dst_sel:DWORD dst_unused:UNUSED_PAD src0_sel:WORD_1
	v_cvt_f32_u32_sdwa v20, v6 dst_sel:DWORD dst_unused:UNUSED_PAD src0_sel:WORD_0
	v_cvt_f32_u32_sdwa v29, v7 dst_sel:DWORD dst_unused:UNUSED_PAD src0_sel:WORD_1
	v_cvt_f32_u32_sdwa v28, v7 dst_sel:DWORD dst_unused:UNUSED_PAD src0_sel:WORD_0
	;; [unrolled: 2-line block ×3, first 2 shown]
	s_addc_u32 s0, s29, s1
	v_cvt_f32_u32_sdwa v31, v9 dst_sel:DWORD dst_unused:UNUSED_PAD src0_sel:WORD_1
	v_cvt_f32_u32_sdwa v30, v9 dst_sel:DWORD dst_unused:UNUSED_PAD src0_sel:WORD_0
	;;#ASMSTART
	v_pk_mul_f32 v[8:9], v[12:13], v[20:21]
	;;#ASMEND
	;;#ASMSTART
	v_pk_mul_f32 v[12:13], v[14:15], v[28:29]
	;;#ASMEND
	;; [unrolled: 3-line block ×4, first 2 shown]
	s_waitcnt vmcnt(0)
	v_cvt_f32_u32_sdwa v17, v2 dst_sel:DWORD dst_unused:UNUSED_PAD src0_sel:WORD_1
	v_cvt_f32_u32_sdwa v16, v2 dst_sel:DWORD dst_unused:UNUSED_PAD src0_sel:WORD_0
	v_cvt_f32_u32_sdwa v19, v3 dst_sel:DWORD dst_unused:UNUSED_PAD src0_sel:WORD_1
	v_cvt_f32_u32_sdwa v18, v3 dst_sel:DWORD dst_unused:UNUSED_PAD src0_sel:WORD_0
	v_cvt_f32_u32_sdwa v3, v4 dst_sel:DWORD dst_unused:UNUSED_PAD src0_sel:WORD_1
	v_cvt_f32_u32_sdwa v2, v4 dst_sel:DWORD dst_unused:UNUSED_PAD src0_sel:WORD_0
	s_and_b32 s13, s0, 0xffff
	s_mov_b32 s0, 0x7060302
	v_cvt_f32_u32_sdwa v21, v5 dst_sel:DWORD dst_unused:UNUSED_PAD src0_sel:WORD_1
	v_cvt_f32_u32_sdwa v20, v5 dst_sel:DWORD dst_unused:UNUSED_PAD src0_sel:WORD_0
	;;#ASMSTART
	v_pk_mul_f32 v[16:17], v[26:27], v[16:17]
	;;#ASMEND
	;;#ASMSTART
	v_pk_mul_f32 v[18:19], v[24:25], v[18:19]
	;;#ASMEND
	;; [unrolled: 3-line block ×3, first 2 shown]
	v_perm_b32 v2, v9, v8, s0
	v_perm_b32 v3, v13, v12, s0
	;; [unrolled: 1-line block ×4, first 2 shown]
	;;#ASMSTART
	v_pk_mul_f32 v[10:11], v[10:11], v[20:21]
	;;#ASMEND
	buffer_store_dwordx4 v[2:5], v1, s[12:15], 0 offen
	;;#ASMSTART
	s_nop 0
	;;#ASMEND
	s_nop 0
	v_perm_b32 v2, v17, v16, s0
	v_perm_b32 v3, v19, v18, s0
	;; [unrolled: 1-line block ×4, first 2 shown]
	buffer_store_dwordx4 v[2:5], v1, s[12:15], 16 offen
	;;#ASMSTART
	s_nop 0
	;;#ASMEND
	s_endpgm
	.section	.rodata,"a",@progbits
	.p2align	6, 0x0
	.amdhsa_kernel _ZN5aiter35fused_qk_rmsnorm_group_quant_kernelItDB8_Li128ELi16ELi2ELb0ELb1ELb0ELb0ELb0ELb0EEEvPT0_PvPT_S6_S6_PKS5_S8_S8_S8_S8_ffiiiiiiiiiiiii
		.amdhsa_group_segment_fixed_size 16
		.amdhsa_private_segment_fixed_size 0
		.amdhsa_kernarg_size 400
		.amdhsa_user_sgpr_count 6
		.amdhsa_user_sgpr_private_segment_buffer 1
		.amdhsa_user_sgpr_dispatch_ptr 0
		.amdhsa_user_sgpr_queue_ptr 0
		.amdhsa_user_sgpr_kernarg_segment_ptr 1
		.amdhsa_user_sgpr_dispatch_id 0
		.amdhsa_user_sgpr_flat_scratch_init 0
		.amdhsa_user_sgpr_kernarg_preload_length 0
		.amdhsa_user_sgpr_kernarg_preload_offset 0
		.amdhsa_user_sgpr_private_segment_size 0
		.amdhsa_uses_dynamic_stack 0
		.amdhsa_system_sgpr_private_segment_wavefront_offset 0
		.amdhsa_system_sgpr_workgroup_id_x 1
		.amdhsa_system_sgpr_workgroup_id_y 1
		.amdhsa_system_sgpr_workgroup_id_z 0
		.amdhsa_system_sgpr_workgroup_info 0
		.amdhsa_system_vgpr_workitem_id 0
		.amdhsa_next_free_vgpr 38
		.amdhsa_next_free_sgpr 36
		.amdhsa_accum_offset 40
		.amdhsa_reserve_vcc 1
		.amdhsa_reserve_flat_scratch 0
		.amdhsa_float_round_mode_32 0
		.amdhsa_float_round_mode_16_64 0
		.amdhsa_float_denorm_mode_32 3
		.amdhsa_float_denorm_mode_16_64 3
		.amdhsa_dx10_clamp 1
		.amdhsa_ieee_mode 1
		.amdhsa_fp16_overflow 0
		.amdhsa_tg_split 0
		.amdhsa_exception_fp_ieee_invalid_op 0
		.amdhsa_exception_fp_denorm_src 0
		.amdhsa_exception_fp_ieee_div_zero 0
		.amdhsa_exception_fp_ieee_overflow 0
		.amdhsa_exception_fp_ieee_underflow 0
		.amdhsa_exception_fp_ieee_inexact 0
		.amdhsa_exception_int_div_zero 0
	.end_amdhsa_kernel
	.section	.text._ZN5aiter35fused_qk_rmsnorm_group_quant_kernelItDB8_Li128ELi16ELi2ELb0ELb1ELb0ELb0ELb0ELb0EEEvPT0_PvPT_S6_S6_PKS5_S8_S8_S8_S8_ffiiiiiiiiiiiii,"axG",@progbits,_ZN5aiter35fused_qk_rmsnorm_group_quant_kernelItDB8_Li128ELi16ELi2ELb0ELb1ELb0ELb0ELb0ELb0EEEvPT0_PvPT_S6_S6_PKS5_S8_S8_S8_S8_ffiiiiiiiiiiiii,comdat
.Lfunc_end734:
	.size	_ZN5aiter35fused_qk_rmsnorm_group_quant_kernelItDB8_Li128ELi16ELi2ELb0ELb1ELb0ELb0ELb0ELb0EEEvPT0_PvPT_S6_S6_PKS5_S8_S8_S8_S8_ffiiiiiiiiiiiii, .Lfunc_end734-_ZN5aiter35fused_qk_rmsnorm_group_quant_kernelItDB8_Li128ELi16ELi2ELb0ELb1ELb0ELb0ELb0ELb0EEEvPT0_PvPT_S6_S6_PKS5_S8_S8_S8_S8_ffiiiiiiiiiiiii
                                        ; -- End function
	.section	.AMDGPU.csdata,"",@progbits
; Kernel info:
; codeLenInByte = 3576
; NumSgprs: 40
; NumVgprs: 38
; NumAgprs: 0
; TotalNumVgprs: 38
; ScratchSize: 0
; MemoryBound: 0
; FloatMode: 240
; IeeeMode: 1
; LDSByteSize: 16 bytes/workgroup (compile time only)
; SGPRBlocks: 4
; VGPRBlocks: 4
; NumSGPRsForWavesPerEU: 40
; NumVGPRsForWavesPerEU: 38
; AccumOffset: 40
; Occupancy: 8
; WaveLimiterHint : 0
; COMPUTE_PGM_RSRC2:SCRATCH_EN: 0
; COMPUTE_PGM_RSRC2:USER_SGPR: 6
; COMPUTE_PGM_RSRC2:TRAP_HANDLER: 0
; COMPUTE_PGM_RSRC2:TGID_X_EN: 1
; COMPUTE_PGM_RSRC2:TGID_Y_EN: 1
; COMPUTE_PGM_RSRC2:TGID_Z_EN: 0
; COMPUTE_PGM_RSRC2:TIDIG_COMP_CNT: 0
; COMPUTE_PGM_RSRC3_GFX90A:ACCUM_OFFSET: 9
; COMPUTE_PGM_RSRC3_GFX90A:TG_SPLIT: 0
	.section	.text._ZN5aiter35fused_qk_rmsnorm_group_quant_kernelIDF16_N4opus5fp4_tELi128ELi16ELi2ELb0ELb1ELb0ELb0ELb0ELb0EEEvPT0_PvPT_S7_S7_PKS6_S9_S9_S9_S9_ffiiiiiiiiiiiii,"axG",@progbits,_ZN5aiter35fused_qk_rmsnorm_group_quant_kernelIDF16_N4opus5fp4_tELi128ELi16ELi2ELb0ELb1ELb0ELb0ELb0ELb0EEEvPT0_PvPT_S7_S7_PKS6_S9_S9_S9_S9_ffiiiiiiiiiiiii,comdat
	.protected	_ZN5aiter35fused_qk_rmsnorm_group_quant_kernelIDF16_N4opus5fp4_tELi128ELi16ELi2ELb0ELb1ELb0ELb0ELb0ELb0EEEvPT0_PvPT_S7_S7_PKS6_S9_S9_S9_S9_ffiiiiiiiiiiiii ; -- Begin function _ZN5aiter35fused_qk_rmsnorm_group_quant_kernelIDF16_N4opus5fp4_tELi128ELi16ELi2ELb0ELb1ELb0ELb0ELb0ELb0EEEvPT0_PvPT_S7_S7_PKS6_S9_S9_S9_S9_ffiiiiiiiiiiiii
	.globl	_ZN5aiter35fused_qk_rmsnorm_group_quant_kernelIDF16_N4opus5fp4_tELi128ELi16ELi2ELb0ELb1ELb0ELb0ELb0ELb0EEEvPT0_PvPT_S7_S7_PKS6_S9_S9_S9_S9_ffiiiiiiiiiiiii
	.p2align	8
	.type	_ZN5aiter35fused_qk_rmsnorm_group_quant_kernelIDF16_N4opus5fp4_tELi128ELi16ELi2ELb0ELb1ELb0ELb0ELb0ELb0EEEvPT0_PvPT_S7_S7_PKS6_S9_S9_S9_S9_ffiiiiiiiiiiiii,@function
_ZN5aiter35fused_qk_rmsnorm_group_quant_kernelIDF16_N4opus5fp4_tELi128ELi16ELi2ELb0ELb1ELb0ELb0ELb0ELb0EEEvPT0_PvPT_S7_S7_PKS6_S9_S9_S9_S9_ffiiiiiiiiiiiii: ; @_ZN5aiter35fused_qk_rmsnorm_group_quant_kernelIDF16_N4opus5fp4_tELi128ELi16ELi2ELb0ELb1ELb0ELb0ELb0ELb0EEEvPT0_PvPT_S7_S7_PKS6_S9_S9_S9_S9_ffiiiiiiiiiiiii
; %bb.0:
	s_load_dwordx4 s[16:19], s[4:5], 0x50
	s_waitcnt lgkmcnt(0)
	s_cmp_ge_i32 s6, s18
	s_cbranch_scc1 .LBB735_12
; %bb.1:
	s_load_dwordx2 s[12:13], s[4:5], 0x48
	s_load_dwordx2 s[30:31], s[4:5], 0x30
	s_load_dwordx4 s[20:23], s[4:5], 0x60
	s_cmp_lg_u32 s7, 0
	s_cselect_b64 s[14:15], -1, 0
	s_cmp_eq_u32 s7, 0
	s_cselect_b64 vcc, -1, 0
	s_and_b64 s[0:1], vcc, exec
	s_waitcnt lgkmcnt(0)
	s_cselect_b32 s7, s19, s20
	s_add_i32 s0, s7, 1
	s_lshr_b32 s1, s0, 31
	s_add_i32 s0, s0, s1
	s_lshl_b32 s0, s0, 1
	v_lshlrev_b32_e32 v1, 4, v0
	s_and_b32 s10, s0, -4
	v_cmp_gt_i32_e64 s[2:3], s7, v1
	v_mov_b32_e32 v18, 0
	v_mov_b32_e32 v6, 0
	v_mov_b32_e32 v7, 0
	v_mov_b32_e32 v8, 0
	v_mov_b32_e32 v9, 0
	v_mov_b32_e32 v2, 0
	v_mov_b32_e32 v3, 0
	v_mov_b32_e32 v4, 0
	v_mov_b32_e32 v5, 0
	v_mov_b32_e32 v14, 0
	v_mov_b32_e32 v15, 0
	v_mov_b32_e32 v16, 0
	v_mov_b32_e32 v17, 0
	v_mov_b32_e32 v10, 0
	v_mov_b32_e32 v11, 0
	v_mov_b32_e32 v12, 0
	v_mov_b32_e32 v13, 0
	s_and_saveexec_b64 s[0:1], s[2:3]
	s_cbranch_execz .LBB735_3
; %bb.2:
	s_load_dwordx2 s[8:9], s[4:5], 0x28
	s_load_dwordx2 s[26:27], s[4:5], 0x40
	s_and_b64 s[24:25], vcc, exec
	s_cselect_b32 s11, s21, s22
	v_lshlrev_b32_e32 v19, 5, v0
	s_waitcnt lgkmcnt(0)
	s_cselect_b32 s18, s9, s31
	s_cselect_b32 s21, s8, s30
	s_mul_hi_i32 s9, s11, s6
	s_mul_i32 s8, s11, s6
	s_lshl_b64 s[8:9], s[8:9], 1
	s_add_u32 s24, s21, s8
	s_addc_u32 s18, s18, s9
	s_and_b64 s[8:9], vcc, exec
	s_mov_b32 s11, 0x20000
	s_cselect_b32 s8, s26, s12
	s_cselect_b32 s9, s27, s13
	s_and_b32 s25, s18, 0xffff
	s_mov_b32 s26, s10
	s_mov_b32 s27, s11
	s_and_b32 s9, s9, 0xffff
	buffer_load_dwordx4 v[14:17], v19, s[24:27], 0 offen
	buffer_load_dwordx4 v[10:13], v19, s[24:27], 16 offen
	;; [unrolled: 1-line block ×4, first 2 shown]
.LBB735_3:
	s_or_b64 exec, exec, s[0:1]
	v_mov_b32_e32 v19, 0
	v_mov_b32_e32 v24, 0
	;; [unrolled: 1-line block ×15, first 2 shown]
	s_and_saveexec_b64 s[0:1], s[2:3]
	s_cbranch_execz .LBB735_5
; %bb.4:
	s_waitcnt vmcnt(3)
	v_cvt_f32_f16_sdwa v19, v14 dst_sel:DWORD dst_unused:UNUSED_PAD src0_sel:WORD_1
	v_cvt_f32_f16_e32 v18, v14
	v_cvt_f32_f16_sdwa v25, v15 dst_sel:DWORD dst_unused:UNUSED_PAD src0_sel:WORD_1
	v_cvt_f32_f16_e32 v24, v15
	;; [unrolled: 2-line block ×4, first 2 shown]
	s_waitcnt vmcnt(2)
	v_cvt_f32_f16_sdwa v33, v10 dst_sel:DWORD dst_unused:UNUSED_PAD src0_sel:WORD_1
	v_cvt_f32_f16_e32 v32, v10
	v_cvt_f32_f16_sdwa v31, v11 dst_sel:DWORD dst_unused:UNUSED_PAD src0_sel:WORD_1
	v_cvt_f32_f16_e32 v30, v11
	;; [unrolled: 2-line block ×4, first 2 shown]
.LBB735_5:
	s_or_b64 exec, exec, s[0:1]
	s_waitcnt vmcnt(2)
	v_mul_f32_e32 v10, v19, v19
	v_fmac_f32_e32 v10, v18, v18
	v_fmac_f32_e32 v10, v24, v24
	;; [unrolled: 1-line block ×15, first 2 shown]
	v_and_b32_e32 v12, 63, v0
	v_cmp_eq_u32_e64 s[0:1], 63, v12
	v_mov_b32_dpp v11, v10 quad_perm:[1,0,3,2] row_mask:0xf bank_mask:0xf
	v_add_f32_e32 v10, v10, v11
	s_nop 1
	v_mov_b32_dpp v11, v10 quad_perm:[2,3,0,1] row_mask:0xf bank_mask:0xf
	v_add_f32_e32 v10, v10, v11
	s_nop 1
	v_mov_b32_dpp v11, v10 row_half_mirror row_mask:0xf bank_mask:0xf
	v_add_f32_e32 v10, v10, v11
	s_nop 1
	v_mov_b32_dpp v11, v10 row_mirror row_mask:0xf bank_mask:0xf
	v_add_f32_e32 v10, v10, v11
	s_nop 1
	v_mov_b32_dpp v11, v10 row_bcast:15 row_mask:0xf bank_mask:0xf
	v_add_f32_e32 v10, v10, v11
	s_nop 1
	v_mov_b32_dpp v11, v10 row_bcast:31 row_mask:0xf bank_mask:0xf
	s_and_saveexec_b64 s[8:9], s[0:1]
	s_cbranch_execz .LBB735_7
; %bb.6:
	v_add_f32_e32 v10, v10, v11
	v_lshrrev_b32_e32 v11, 4, v0
	v_and_b32_e32 v11, 60, v11
	ds_write_b32 v11, v10 offset:8
.LBB735_7:
	s_or_b64 exec, exec, s[8:9]
	v_and_b32_e32 v10, 1, v0
	v_lshlrev_b32_e32 v34, 2, v10
	s_waitcnt lgkmcnt(0)
	s_barrier
	ds_read_b32 v11, v34 offset:8
	s_load_dwordx2 s[28:29], s[4:5], 0x18
	s_waitcnt lgkmcnt(0)
	v_mov_b32_dpp v12, v11 quad_perm:[1,0,3,2] row_mask:0xf bank_mask:0xf
	s_and_saveexec_b64 s[8:9], s[2:3]
	s_cbranch_execz .LBB735_9
; %bb.8:
	v_cvt_f32_u32_e32 v13, s7
	v_add_f32_e32 v11, v11, v12
	v_mov_b32_e32 v15, s17
	v_mov_b32_e32 v16, s16
	v_div_scale_f32 v12, s[24:25], v13, v13, v11
	v_rcp_f32_e32 v14, v12
	v_cndmask_b32_e32 v15, v15, v16, vcc
	s_mov_b32 s7, 0x800000
	v_fma_f32 v16, -v12, v14, 1.0
	v_fmac_f32_e32 v14, v16, v14
	v_div_scale_f32 v16, vcc, v11, v13, v11
	v_mul_f32_e32 v17, v16, v14
	v_fma_f32 v35, -v12, v17, v16
	v_fmac_f32_e32 v17, v35, v14
	v_fma_f32 v12, -v12, v17, v16
	v_div_fmas_f32 v12, v12, v14, v17
	v_div_fixup_f32 v11, v12, v13, v11
	v_add_f32_e32 v11, v15, v11
	v_mul_f32_e32 v12, 0x4b800000, v11
	v_cmp_gt_f32_e32 vcc, s7, v11
	v_cndmask_b32_e32 v11, v11, v12, vcc
	v_rsq_f32_e32 v11, v11
	v_mul_f32_e32 v12, 0x45800000, v11
	v_cndmask_b32_e32 v12, v11, v12, vcc
	v_mov_b32_e32 v13, v12
	;;#ASMSTART
	v_pk_mul_f32 v[14:15], v[18:19], v[12:13]
	;;#ASMEND
	;;#ASMSTART
	v_pk_mul_f32 v[16:17], v[24:25], v[12:13]
	;;#ASMEND
	;; [unrolled: 3-line block ×8, first 2 shown]
	s_waitcnt vmcnt(1)
	v_cvt_f32_f16_sdwa v19, v6 dst_sel:DWORD dst_unused:UNUSED_PAD src0_sel:WORD_1
	v_cvt_f32_f16_e32 v18, v6
	v_cvt_f32_f16_sdwa v25, v7 dst_sel:DWORD dst_unused:UNUSED_PAD src0_sel:WORD_1
	v_cvt_f32_f16_e32 v24, v7
	;; [unrolled: 2-line block ×4, first 2 shown]
	;;#ASMSTART
	v_pk_mul_f32 v[18:19], v[14:15], v[18:19]
	;;#ASMEND
	;;#ASMSTART
	v_pk_mul_f32 v[24:25], v[16:17], v[24:25]
	;;#ASMEND
	;; [unrolled: 3-line block ×4, first 2 shown]
	s_waitcnt vmcnt(0)
	v_cvt_f32_f16_sdwa v7, v2 dst_sel:DWORD dst_unused:UNUSED_PAD src0_sel:WORD_1
	v_cvt_f32_f16_e32 v6, v2
	v_cvt_f32_f16_sdwa v9, v3 dst_sel:DWORD dst_unused:UNUSED_PAD src0_sel:WORD_1
	v_cvt_f32_f16_e32 v8, v3
	;; [unrolled: 2-line block ×4, first 2 shown]
	;;#ASMSTART
	v_pk_mul_f32 v[32:33], v[32:33], v[6:7]
	;;#ASMEND
	;;#ASMSTART
	v_pk_mul_f32 v[30:31], v[30:31], v[8:9]
	;;#ASMEND
	;; [unrolled: 3-line block ×4, first 2 shown]
.LBB735_9:
	s_or_b64 exec, exec, s[8:9]
	s_load_dword s7, s[4:5], 0x80
	s_mov_b64 s[8:9], -1
	s_and_b64 vcc, exec, s[14:15]
	s_cbranch_vccnz .LBB735_13
; %bb.10:
	s_andn2_b64 vcc, exec, s[8:9]
	s_cbranch_vccz .LBB735_16
.LBB735_11:
	s_cmp_lt_i32 s20, 1
	s_cbranch_scc0 .LBB735_25
.LBB735_12:
	s_endpgm
.LBB735_13:
	s_and_saveexec_b64 s[14:15], s[2:3]
	s_cbranch_execz .LBB735_15
; %bb.14:
	s_waitcnt lgkmcnt(0)
	s_mul_hi_i32 s9, s7, s6
	s_mul_i32 s8, s7, s6
	s_waitcnt vmcnt(0)
	v_cvt_f16_f32_e32 v2, v18
	v_cvt_f16_f32_e32 v3, v24
	;; [unrolled: 1-line block ×8, first 2 shown]
	s_lshl_b64 s[8:9], s[8:9], 1
	s_add_u32 s8, s28, s8
	s_addc_u32 s9, s29, s9
	s_and_b32 s9, s9, 0xffff
	s_mov_b32 s11, 0x20000
	v_pack_b32_f16 v5, v5, v6
	v_pack_b32_f16 v4, v4, v7
	;; [unrolled: 1-line block ×4, first 2 shown]
	v_lshlrev_b32_e32 v6, 5, v0
	buffer_store_dwordx4 v[2:5], v6, s[8:11], 0 offen
	v_cvt_f16_f32_e32 v7, v29
	v_cvt_f16_f32_e32 v2, v32
	;; [unrolled: 1-line block ×8, first 2 shown]
	v_pack_b32_f16 v5, v5, v7
	v_pack_b32_f16 v4, v4, v8
	;; [unrolled: 1-line block ×4, first 2 shown]
	;;#ASMSTART
	s_nop 0
	;;#ASMEND
	buffer_store_dwordx4 v[2:5], v6, s[8:11], 16 offen
	;;#ASMSTART
	s_nop 0
	;;#ASMEND
.LBB735_15:
	s_or_b64 exec, exec, s[14:15]
	s_cbranch_execnz .LBB735_11
.LBB735_16:
	s_load_dwordx4 s[24:27], s[4:5], 0x70
	s_waitcnt vmcnt(0)
	v_mov_b32_e32 v2, 0
	s_and_saveexec_b64 s[14:15], s[2:3]
	s_cbranch_execz .LBB735_18
; %bb.17:
	s_load_dwordx2 s[8:9], s[4:5], 0x10
	s_waitcnt lgkmcnt(0)
	s_mul_hi_i32 s35, s27, s6
	s_mul_i32 s34, s27, s6
	v_cvt_f16_f32_e32 v2, v18
	v_cvt_f16_f32_e32 v3, v24
	v_cvt_f16_f32_e32 v4, v20
	v_cvt_f16_f32_e32 v5, v22
	v_cvt_f16_f32_e32 v6, v23
	v_cvt_f16_f32_e32 v7, v21
	v_cvt_f16_f32_e32 v8, v25
	v_cvt_f16_f32_e32 v9, v19
	s_lshl_b64 s[34:35], s[34:35], 1
	s_add_u32 s8, s8, s34
	s_addc_u32 s9, s9, s35
	s_mov_b32 s11, 0x20000
	s_and_b32 s9, s9, 0xffff
	v_pack_b32_f16 v5, v5, v6
	v_pack_b32_f16 v4, v4, v7
	v_pack_b32_f16 v3, v3, v8
	v_pack_b32_f16 v2, v2, v9
	v_lshlrev_b32_e32 v6, 5, v0
	buffer_store_dwordx4 v[2:5], v6, s[8:11], 0 offen
	v_cvt_f16_f32_e32 v7, v29
	v_cvt_f16_f32_e32 v2, v32
	;; [unrolled: 1-line block ×8, first 2 shown]
	v_pack_b32_f16 v5, v5, v7
	v_pack_b32_f16 v4, v4, v8
	;; [unrolled: 1-line block ×4, first 2 shown]
	;;#ASMSTART
	s_nop 0
	;;#ASMEND
	buffer_store_dwordx4 v[2:5], v6, s[8:11], 16 offen
	;;#ASMSTART
	s_nop 0
	;;#ASMEND
	s_nop 0
	v_mov_b32_e32 v2, 0x2edbe6ff
.LBB735_18:
	s_or_b64 exec, exec, s[14:15]
	s_and_saveexec_b64 s[8:9], s[2:3]
	s_cbranch_execz .LBB735_20
; %bb.19:
	v_and_b32_e32 v3, 0x7fffffff, v18
	v_and_b32_e32 v4, 0x7fffffff, v19
	;;#ASMSTART
	v_max3_f32 v2, v2, v3, v4

	;;#ASMEND
	v_and_b32_e32 v3, 0x7fffffff, v24
	v_and_b32_e32 v4, 0x7fffffff, v25
	;;#ASMSTART
	v_max3_f32 v2, v2, v3, v4

	;;#ASMEND
	;; [unrolled: 6-line block ×8, first 2 shown]
.LBB735_20:
	s_or_b64 exec, exec, s[8:9]
	v_cmp_eq_u32_e32 vcc, 0, v10
	v_cmp_gt_i32_e64 s[8:9], s19, v1
	s_and_b64 s[10:11], vcc, s[8:9]
	;;#ASMSTART
	v_max_f32 v3, v2, v2 quad_perm:[1,0,3,2] row_mask:0xf bank_mask:0xf bound_ctrl:1
	;;#ASMEND
	s_and_saveexec_b64 s[8:9], s[10:11]
	s_cbranch_execz .LBB735_22
; %bb.21:
	s_load_dwordx2 s[10:11], s[4:5], 0x8
	v_mul_f32_e32 v2, 0x3e2aaaab, v3
	v_lshrrev_b32_e32 v3, 23, v2
	v_and_b32_e32 v4, 0x7f800000, v2
	v_and_b32_e32 v2, 0x7fffff, v2
	v_cmp_ne_u32_e32 vcc, 0, v2
	s_waitcnt lgkmcnt(0)
	s_mul_i32 s16, s25, s6
	s_mov_b32 s14, 0x7f800000
	v_addc_co_u32_e32 v2, vcc, 0, v3, vcc
	s_mul_hi_i32 s15, s25, s6
	s_add_u32 s10, s10, s16
	v_cmp_ne_u32_e32 vcc, s14, v4
	s_addc_u32 s11, s11, s15
	v_lshrrev_b32_e32 v5, 1, v0
	v_cndmask_b32_e32 v4, -1, v2, vcc
	v_pk_mov_b32 v[2:3], s[10:11], s[10:11] op_sel:[0,1]
	v_mad_i64_i32 v[2:3], s[10:11], s26, v5, v[2:3]
	global_store_byte v[2:3], v4, off
.LBB735_22:
	s_or_b64 exec, exec, s[8:9]
	s_and_saveexec_b64 s[8:9], s[2:3]
	s_cbranch_execz .LBB735_24
; %bb.23:
	s_load_dwordx2 s[2:3], s[4:5], 0x0
	s_waitcnt lgkmcnt(0)
	s_mul_i32 s11, s24, s6
	s_mul_hi_i32 s10, s24, s6
	v_mov_b32_e32 v2, 0
	v_lshlrev_b32_e32 v4, 3, v0
	s_add_u32 s24, s2, s11
	s_addc_u32 s2, s3, s10
	s_lshr_b32 s3, s19, 31
	s_add_i32 s3, s19, s3
	s_ashr_i32 s3, s3, 1
	s_add_i32 s3, s3, 3
	s_ashr_i32 s10, s3, 31
	s_lshr_b32 s10, s10, 30
	s_add_i32 s3, s3, s10
	s_and_b32 s26, s3, -4
	s_and_b32 s25, s2, 0xffff
	s_mov_b32 s27, 0x20000
	v_mov_b32_e32 v3, v2
	buffer_store_dwordx2 v[2:3], v4, s[24:27], 0 offen
	;;#ASMSTART
	s_nop 0
	;;#ASMEND
.LBB735_24:
	s_or_b64 exec, exec, s[8:9]
	s_cmp_lt_i32 s20, 1
	s_cbranch_scc1 .LBB735_12
.LBB735_25:
	s_load_dword s2, s[4:5], 0x94
	s_waitcnt lgkmcnt(0)
	s_cmp_lg_u32 s2, 1
	s_cbranch_scc1 .LBB735_12
; %bb.26:
	s_lshl_b32 s2, s20, 1
	s_add_i32 s2, s2, 2
	v_cmp_gt_u32_e32 vcc, s20, v1
	s_and_b32 s14, s2, -4
	v_mov_b32_e32 v18, 0
	v_lshlrev_b32_e32 v1, 5, v0
	v_mov_b32_e32 v14, 0
	v_mov_b32_e32 v15, 0
	;; [unrolled: 1-line block ×8, first 2 shown]
	s_waitcnt vmcnt(1)
	v_mov_b32_e32 v6, 0
	v_mov_b32_e32 v7, 0
	;; [unrolled: 1-line block ×4, first 2 shown]
	s_waitcnt vmcnt(0)
	v_mov_b32_e32 v2, 0
	v_mov_b32_e32 v3, 0
	;; [unrolled: 1-line block ×4, first 2 shown]
	s_barrier
	s_and_saveexec_b64 s[2:3], vcc
	s_cbranch_execz .LBB735_28
; %bb.27:
	s_mul_hi_i32 s5, s22, s6
	s_mul_i32 s4, s22, s6
	s_and_b32 s13, s13, 0xffff
	s_lshl_b64 s[4:5], s[4:5], 1
	s_add_u32 s8, s30, s4
	s_mov_b32 s15, 0x20000
	s_addc_u32 s4, s31, s5
	s_and_b32 s9, s4, 0xffff
	s_mov_b32 s10, s14
	s_mov_b32 s11, s15
	buffer_load_dwordx4 v[14:17], v1, s[8:11], 0 offen
	buffer_load_dwordx4 v[10:13], v1, s[8:11], 16 offen
	;; [unrolled: 1-line block ×4, first 2 shown]
.LBB735_28:
	s_or_b64 exec, exec, s[2:3]
	v_mov_b32_e32 v19, 0
	v_mov_b32_e32 v32, 0
	;; [unrolled: 1-line block ×15, first 2 shown]
	s_and_saveexec_b64 s[2:3], vcc
	s_cbranch_execz .LBB735_30
; %bb.29:
	s_waitcnt vmcnt(3)
	v_cvt_f32_f16_sdwa v19, v14 dst_sel:DWORD dst_unused:UNUSED_PAD src0_sel:WORD_1
	v_cvt_f32_f16_e32 v18, v14
	v_cvt_f32_f16_sdwa v33, v15 dst_sel:DWORD dst_unused:UNUSED_PAD src0_sel:WORD_1
	v_cvt_f32_f16_e32 v32, v15
	;; [unrolled: 2-line block ×4, first 2 shown]
	s_waitcnt vmcnt(2)
	v_cvt_f32_f16_sdwa v27, v10 dst_sel:DWORD dst_unused:UNUSED_PAD src0_sel:WORD_1
	v_cvt_f32_f16_e32 v26, v10
	v_cvt_f32_f16_sdwa v25, v11 dst_sel:DWORD dst_unused:UNUSED_PAD src0_sel:WORD_1
	v_cvt_f32_f16_e32 v24, v11
	;; [unrolled: 2-line block ×4, first 2 shown]
.LBB735_30:
	s_or_b64 exec, exec, s[2:3]
	s_waitcnt vmcnt(2)
	v_mul_f32_e32 v10, v19, v19
	v_fmac_f32_e32 v10, v18, v18
	v_fmac_f32_e32 v10, v32, v32
	;; [unrolled: 1-line block ×15, first 2 shown]
	s_nop 1
	v_mov_b32_dpp v11, v10 quad_perm:[1,0,3,2] row_mask:0xf bank_mask:0xf
	v_add_f32_e32 v10, v10, v11
	s_nop 1
	v_mov_b32_dpp v11, v10 quad_perm:[2,3,0,1] row_mask:0xf bank_mask:0xf
	v_add_f32_e32 v10, v10, v11
	s_nop 1
	v_mov_b32_dpp v11, v10 row_half_mirror row_mask:0xf bank_mask:0xf
	v_add_f32_e32 v10, v10, v11
	s_nop 1
	v_mov_b32_dpp v11, v10 row_mirror row_mask:0xf bank_mask:0xf
	v_add_f32_e32 v10, v10, v11
	s_nop 1
	v_mov_b32_dpp v11, v10 row_bcast:15 row_mask:0xf bank_mask:0xf
	v_add_f32_e32 v10, v10, v11
	s_nop 1
	v_mov_b32_dpp v11, v10 row_bcast:31 row_mask:0xf bank_mask:0xf
	s_and_saveexec_b64 s[2:3], s[0:1]
	s_cbranch_execz .LBB735_32
; %bb.31:
	v_lshrrev_b32_e32 v0, 4, v0
	v_add_f32_e32 v10, v10, v11
	v_and_b32_e32 v0, 60, v0
	ds_write_b32 v0, v10
.LBB735_32:
	s_or_b64 exec, exec, s[2:3]
	s_waitcnt lgkmcnt(0)
	s_barrier
	ds_read_b32 v0, v34
	s_waitcnt lgkmcnt(0)
	s_nop 0
	v_mov_b32_dpp v10, v0 quad_perm:[1,0,3,2] row_mask:0xf bank_mask:0xf
	s_and_saveexec_b64 s[0:1], vcc
	s_cbranch_execz .LBB735_12
; %bb.33:
	v_cvt_f32_u32_e32 v11, s20
	v_add_f32_e32 v0, v0, v10
	s_mov_b32 s15, 0x20000
	v_div_scale_f32 v10, s[0:1], v11, v11, v0
	v_rcp_f32_e32 v12, v10
	v_div_scale_f32 v13, vcc, v0, v11, v0
	s_mov_b32 s0, 0x800000
	v_fma_f32 v14, -v10, v12, 1.0
	v_fmac_f32_e32 v12, v14, v12
	v_mul_f32_e32 v14, v13, v12
	v_fma_f32 v15, -v10, v14, v13
	v_fmac_f32_e32 v14, v15, v12
	v_fma_f32 v10, -v10, v14, v13
	v_div_fmas_f32 v10, v10, v12, v14
	v_div_fixup_f32 v0, v10, v11, v0
	v_add_f32_e32 v0, s17, v0
	v_mul_f32_e32 v10, 0x4b800000, v0
	v_cmp_gt_f32_e32 vcc, s0, v0
	v_cndmask_b32_e32 v0, v0, v10, vcc
	v_rsq_f32_e32 v0, v0
	s_mul_hi_i32 s1, s7, s6
	s_mul_i32 s0, s7, s6
	s_lshl_b64 s[0:1], s[0:1], 1
	v_mul_f32_e32 v10, 0x45800000, v0
	v_cndmask_b32_e32 v10, v0, v10, vcc
	v_mov_b32_e32 v11, v10
	;;#ASMSTART
	v_pk_mul_f32 v[12:13], v[18:19], v[10:11]
	;;#ASMEND
	;;#ASMSTART
	v_pk_mul_f32 v[14:15], v[32:33], v[10:11]
	;;#ASMEND
	;; [unrolled: 3-line block ×8, first 2 shown]
	s_waitcnt vmcnt(1)
	v_cvt_f32_f16_sdwa v21, v6 dst_sel:DWORD dst_unused:UNUSED_PAD src0_sel:WORD_1
	v_cvt_f32_f16_e32 v20, v6
	v_cvt_f32_f16_sdwa v29, v7 dst_sel:DWORD dst_unused:UNUSED_PAD src0_sel:WORD_1
	v_cvt_f32_f16_e32 v28, v7
	;; [unrolled: 2-line block ×4, first 2 shown]
	;;#ASMSTART
	v_pk_mul_f32 v[8:9], v[12:13], v[20:21]
	;;#ASMEND
	;;#ASMSTART
	v_pk_mul_f32 v[12:13], v[14:15], v[28:29]
	;;#ASMEND
	;; [unrolled: 3-line block ×4, first 2 shown]
	s_waitcnt vmcnt(0)
	v_cvt_f32_f16_sdwa v17, v2 dst_sel:DWORD dst_unused:UNUSED_PAD src0_sel:WORD_1
	v_cvt_f32_f16_e32 v16, v2
	v_cvt_f32_f16_sdwa v19, v3 dst_sel:DWORD dst_unused:UNUSED_PAD src0_sel:WORD_1
	v_cvt_f32_f16_e32 v18, v3
	;; [unrolled: 2-line block ×4, first 2 shown]
	;;#ASMSTART
	v_pk_mul_f32 v[16:17], v[26:27], v[16:17]
	;;#ASMEND
	;;#ASMSTART
	v_pk_mul_f32 v[18:19], v[24:25], v[18:19]
	;;#ASMEND
	;; [unrolled: 3-line block ×3, first 2 shown]
	v_cvt_f16_f32_e32 v0, v8
	v_cvt_f16_f32_e32 v2, v9
	;; [unrolled: 1-line block ×8, first 2 shown]
	s_add_u32 s12, s28, s0
	s_addc_u32 s0, s29, s1
	s_and_b32 s13, s0, 0xffff
	v_pack_b32_f16 v2, v0, v2
	v_pack_b32_f16 v3, v3, v4
	;; [unrolled: 1-line block ×4, first 2 shown]
	;;#ASMSTART
	v_pk_mul_f32 v[10:11], v[10:11], v[20:21]
	;;#ASMEND
	buffer_store_dwordx4 v[2:5], v1, s[12:15], 0 offen
	v_cvt_f16_f32_e32 v0, v16
	v_cvt_f16_f32_e32 v2, v17
	v_cvt_f16_f32_e32 v3, v18
	v_cvt_f16_f32_e32 v4, v19
	v_cvt_f16_f32_e32 v5, v22
	v_cvt_f16_f32_e32 v6, v23
	v_cvt_f16_f32_e32 v7, v10
	v_cvt_f16_f32_e32 v8, v11
	v_pack_b32_f16 v2, v0, v2
	v_pack_b32_f16 v3, v3, v4
	;; [unrolled: 1-line block ×4, first 2 shown]
	;;#ASMSTART
	s_nop 0
	;;#ASMEND
	buffer_store_dwordx4 v[2:5], v1, s[12:15], 16 offen
	;;#ASMSTART
	s_nop 0
	;;#ASMEND
	s_endpgm
	.section	.rodata,"a",@progbits
	.p2align	6, 0x0
	.amdhsa_kernel _ZN5aiter35fused_qk_rmsnorm_group_quant_kernelIDF16_N4opus5fp4_tELi128ELi16ELi2ELb0ELb1ELb0ELb0ELb0ELb0EEEvPT0_PvPT_S7_S7_PKS6_S9_S9_S9_S9_ffiiiiiiiiiiiii
		.amdhsa_group_segment_fixed_size 16
		.amdhsa_private_segment_fixed_size 0
		.amdhsa_kernarg_size 400
		.amdhsa_user_sgpr_count 6
		.amdhsa_user_sgpr_private_segment_buffer 1
		.amdhsa_user_sgpr_dispatch_ptr 0
		.amdhsa_user_sgpr_queue_ptr 0
		.amdhsa_user_sgpr_kernarg_segment_ptr 1
		.amdhsa_user_sgpr_dispatch_id 0
		.amdhsa_user_sgpr_flat_scratch_init 0
		.amdhsa_user_sgpr_kernarg_preload_length 0
		.amdhsa_user_sgpr_kernarg_preload_offset 0
		.amdhsa_user_sgpr_private_segment_size 0
		.amdhsa_uses_dynamic_stack 0
		.amdhsa_system_sgpr_private_segment_wavefront_offset 0
		.amdhsa_system_sgpr_workgroup_id_x 1
		.amdhsa_system_sgpr_workgroup_id_y 1
		.amdhsa_system_sgpr_workgroup_id_z 0
		.amdhsa_system_sgpr_workgroup_info 0
		.amdhsa_system_vgpr_workitem_id 0
		.amdhsa_next_free_vgpr 36
		.amdhsa_next_free_sgpr 36
		.amdhsa_accum_offset 36
		.amdhsa_reserve_vcc 1
		.amdhsa_reserve_flat_scratch 0
		.amdhsa_float_round_mode_32 0
		.amdhsa_float_round_mode_16_64 0
		.amdhsa_float_denorm_mode_32 3
		.amdhsa_float_denorm_mode_16_64 3
		.amdhsa_dx10_clamp 1
		.amdhsa_ieee_mode 1
		.amdhsa_fp16_overflow 0
		.amdhsa_tg_split 0
		.amdhsa_exception_fp_ieee_invalid_op 0
		.amdhsa_exception_fp_denorm_src 0
		.amdhsa_exception_fp_ieee_div_zero 0
		.amdhsa_exception_fp_ieee_overflow 0
		.amdhsa_exception_fp_ieee_underflow 0
		.amdhsa_exception_fp_ieee_inexact 0
		.amdhsa_exception_int_div_zero 0
	.end_amdhsa_kernel
	.section	.text._ZN5aiter35fused_qk_rmsnorm_group_quant_kernelIDF16_N4opus5fp4_tELi128ELi16ELi2ELb0ELb1ELb0ELb0ELb0ELb0EEEvPT0_PvPT_S7_S7_PKS6_S9_S9_S9_S9_ffiiiiiiiiiiiii,"axG",@progbits,_ZN5aiter35fused_qk_rmsnorm_group_quant_kernelIDF16_N4opus5fp4_tELi128ELi16ELi2ELb0ELb1ELb0ELb0ELb0ELb0EEEvPT0_PvPT_S7_S7_PKS6_S9_S9_S9_S9_ffiiiiiiiiiiiii,comdat
.Lfunc_end735:
	.size	_ZN5aiter35fused_qk_rmsnorm_group_quant_kernelIDF16_N4opus5fp4_tELi128ELi16ELi2ELb0ELb1ELb0ELb0ELb0ELb0EEEvPT0_PvPT_S7_S7_PKS6_S9_S9_S9_S9_ffiiiiiiiiiiiii, .Lfunc_end735-_ZN5aiter35fused_qk_rmsnorm_group_quant_kernelIDF16_N4opus5fp4_tELi128ELi16ELi2ELb0ELb1ELb0ELb0ELb0ELb0EEEvPT0_PvPT_S7_S7_PKS6_S9_S9_S9_S9_ffiiiiiiiiiiiii
                                        ; -- End function
	.section	.AMDGPU.csdata,"",@progbits
; Kernel info:
; codeLenInByte = 3296
; NumSgprs: 40
; NumVgprs: 36
; NumAgprs: 0
; TotalNumVgprs: 36
; ScratchSize: 0
; MemoryBound: 0
; FloatMode: 240
; IeeeMode: 1
; LDSByteSize: 16 bytes/workgroup (compile time only)
; SGPRBlocks: 4
; VGPRBlocks: 4
; NumSGPRsForWavesPerEU: 40
; NumVGPRsForWavesPerEU: 36
; AccumOffset: 36
; Occupancy: 8
; WaveLimiterHint : 0
; COMPUTE_PGM_RSRC2:SCRATCH_EN: 0
; COMPUTE_PGM_RSRC2:USER_SGPR: 6
; COMPUTE_PGM_RSRC2:TRAP_HANDLER: 0
; COMPUTE_PGM_RSRC2:TGID_X_EN: 1
; COMPUTE_PGM_RSRC2:TGID_Y_EN: 1
; COMPUTE_PGM_RSRC2:TGID_Z_EN: 0
; COMPUTE_PGM_RSRC2:TIDIG_COMP_CNT: 0
; COMPUTE_PGM_RSRC3_GFX90A:ACCUM_OFFSET: 8
; COMPUTE_PGM_RSRC3_GFX90A:TG_SPLIT: 0
	.section	.text._ZN5aiter35fused_qk_rmsnorm_group_quant_kernelItN4opus5fp4_tELi128ELi16ELi2ELb0ELb1ELb0ELb0ELb0ELb0EEEvPT0_PvPT_S7_S7_PKS6_S9_S9_S9_S9_ffiiiiiiiiiiiii,"axG",@progbits,_ZN5aiter35fused_qk_rmsnorm_group_quant_kernelItN4opus5fp4_tELi128ELi16ELi2ELb0ELb1ELb0ELb0ELb0ELb0EEEvPT0_PvPT_S7_S7_PKS6_S9_S9_S9_S9_ffiiiiiiiiiiiii,comdat
	.protected	_ZN5aiter35fused_qk_rmsnorm_group_quant_kernelItN4opus5fp4_tELi128ELi16ELi2ELb0ELb1ELb0ELb0ELb0ELb0EEEvPT0_PvPT_S7_S7_PKS6_S9_S9_S9_S9_ffiiiiiiiiiiiii ; -- Begin function _ZN5aiter35fused_qk_rmsnorm_group_quant_kernelItN4opus5fp4_tELi128ELi16ELi2ELb0ELb1ELb0ELb0ELb0ELb0EEEvPT0_PvPT_S7_S7_PKS6_S9_S9_S9_S9_ffiiiiiiiiiiiii
	.globl	_ZN5aiter35fused_qk_rmsnorm_group_quant_kernelItN4opus5fp4_tELi128ELi16ELi2ELb0ELb1ELb0ELb0ELb0ELb0EEEvPT0_PvPT_S7_S7_PKS6_S9_S9_S9_S9_ffiiiiiiiiiiiii
	.p2align	8
	.type	_ZN5aiter35fused_qk_rmsnorm_group_quant_kernelItN4opus5fp4_tELi128ELi16ELi2ELb0ELb1ELb0ELb0ELb0ELb0EEEvPT0_PvPT_S7_S7_PKS6_S9_S9_S9_S9_ffiiiiiiiiiiiii,@function
_ZN5aiter35fused_qk_rmsnorm_group_quant_kernelItN4opus5fp4_tELi128ELi16ELi2ELb0ELb1ELb0ELb0ELb0ELb0EEEvPT0_PvPT_S7_S7_PKS6_S9_S9_S9_S9_ffiiiiiiiiiiiii: ; @_ZN5aiter35fused_qk_rmsnorm_group_quant_kernelItN4opus5fp4_tELi128ELi16ELi2ELb0ELb1ELb0ELb0ELb0ELb0EEEvPT0_PvPT_S7_S7_PKS6_S9_S9_S9_S9_ffiiiiiiiiiiiii
; %bb.0:
	s_load_dwordx4 s[16:19], s[4:5], 0x50
	s_waitcnt lgkmcnt(0)
	s_cmp_ge_i32 s6, s18
	s_cbranch_scc1 .LBB736_12
; %bb.1:
	s_load_dwordx2 s[12:13], s[4:5], 0x48
	s_load_dwordx2 s[30:31], s[4:5], 0x30
	s_load_dwordx4 s[20:23], s[4:5], 0x60
	s_cmp_lg_u32 s7, 0
	s_cselect_b64 s[14:15], -1, 0
	s_cmp_eq_u32 s7, 0
	s_cselect_b64 vcc, -1, 0
	s_and_b64 s[0:1], vcc, exec
	s_waitcnt lgkmcnt(0)
	s_cselect_b32 s7, s19, s20
	s_add_i32 s0, s7, 1
	s_lshr_b32 s1, s0, 31
	s_add_i32 s0, s0, s1
	s_lshl_b32 s0, s0, 1
	v_lshlrev_b32_e32 v1, 4, v0
	s_and_b32 s10, s0, -4
	v_cmp_gt_i32_e64 s[2:3], s7, v1
	v_mov_b32_e32 v18, 0
	v_mov_b32_e32 v6, 0
	;; [unrolled: 1-line block ×17, first 2 shown]
	s_and_saveexec_b64 s[0:1], s[2:3]
	s_cbranch_execz .LBB736_3
; %bb.2:
	s_load_dwordx2 s[8:9], s[4:5], 0x28
	s_load_dwordx2 s[26:27], s[4:5], 0x40
	s_and_b64 s[24:25], vcc, exec
	s_cselect_b32 s11, s21, s22
	v_lshlrev_b32_e32 v19, 5, v0
	s_waitcnt lgkmcnt(0)
	s_cselect_b32 s18, s9, s31
	s_cselect_b32 s21, s8, s30
	s_mul_hi_i32 s9, s11, s6
	s_mul_i32 s8, s11, s6
	s_lshl_b64 s[8:9], s[8:9], 1
	s_add_u32 s24, s21, s8
	s_addc_u32 s18, s18, s9
	s_and_b64 s[8:9], vcc, exec
	s_mov_b32 s11, 0x20000
	s_cselect_b32 s8, s26, s12
	s_cselect_b32 s9, s27, s13
	s_and_b32 s25, s18, 0xffff
	s_mov_b32 s26, s10
	s_mov_b32 s27, s11
	s_and_b32 s9, s9, 0xffff
	buffer_load_dwordx4 v[14:17], v19, s[24:27], 0 offen
	buffer_load_dwordx4 v[10:13], v19, s[24:27], 16 offen
	;; [unrolled: 1-line block ×4, first 2 shown]
.LBB736_3:
	s_or_b64 exec, exec, s[0:1]
	v_mov_b32_e32 v19, 0
	v_mov_b32_e32 v24, 0
	;; [unrolled: 1-line block ×15, first 2 shown]
	s_and_saveexec_b64 s[0:1], s[2:3]
	s_cbranch_execz .LBB736_5
; %bb.4:
	s_waitcnt vmcnt(3)
	v_cvt_f32_u32_sdwa v18, v14 dst_sel:DWORD dst_unused:UNUSED_PAD src0_sel:WORD_0
	v_cvt_f32_u32_sdwa v19, v14 dst_sel:DWORD dst_unused:UNUSED_PAD src0_sel:WORD_1
	v_cvt_f32_u32_sdwa v24, v15 dst_sel:DWORD dst_unused:UNUSED_PAD src0_sel:WORD_0
	v_cvt_f32_u32_sdwa v25, v15 dst_sel:DWORD dst_unused:UNUSED_PAD src0_sel:WORD_1
	;; [unrolled: 2-line block ×4, first 2 shown]
	s_waitcnt vmcnt(2)
	v_cvt_f32_u32_sdwa v32, v10 dst_sel:DWORD dst_unused:UNUSED_PAD src0_sel:WORD_0
	v_cvt_f32_u32_sdwa v33, v10 dst_sel:DWORD dst_unused:UNUSED_PAD src0_sel:WORD_1
	v_cvt_f32_u32_sdwa v30, v11 dst_sel:DWORD dst_unused:UNUSED_PAD src0_sel:WORD_0
	v_cvt_f32_u32_sdwa v31, v11 dst_sel:DWORD dst_unused:UNUSED_PAD src0_sel:WORD_1
	;; [unrolled: 2-line block ×4, first 2 shown]
.LBB736_5:
	s_or_b64 exec, exec, s[0:1]
	s_waitcnt vmcnt(2)
	v_mul_f32_e32 v10, v19, v19
	v_fmac_f32_e32 v10, v18, v18
	v_fmac_f32_e32 v10, v24, v24
	;; [unrolled: 1-line block ×15, first 2 shown]
	v_and_b32_e32 v12, 63, v0
	v_cmp_eq_u32_e64 s[0:1], 63, v12
	v_mov_b32_dpp v11, v10 quad_perm:[1,0,3,2] row_mask:0xf bank_mask:0xf
	v_add_f32_e32 v10, v10, v11
	s_nop 1
	v_mov_b32_dpp v11, v10 quad_perm:[2,3,0,1] row_mask:0xf bank_mask:0xf
	v_add_f32_e32 v10, v10, v11
	s_nop 1
	v_mov_b32_dpp v11, v10 row_half_mirror row_mask:0xf bank_mask:0xf
	v_add_f32_e32 v10, v10, v11
	s_nop 1
	v_mov_b32_dpp v11, v10 row_mirror row_mask:0xf bank_mask:0xf
	v_add_f32_e32 v10, v10, v11
	s_nop 1
	v_mov_b32_dpp v11, v10 row_bcast:15 row_mask:0xf bank_mask:0xf
	v_add_f32_e32 v10, v10, v11
	s_nop 1
	v_mov_b32_dpp v11, v10 row_bcast:31 row_mask:0xf bank_mask:0xf
	s_and_saveexec_b64 s[8:9], s[0:1]
	s_cbranch_execz .LBB736_7
; %bb.6:
	v_add_f32_e32 v10, v10, v11
	v_lshrrev_b32_e32 v11, 4, v0
	v_and_b32_e32 v11, 60, v11
	ds_write_b32 v11, v10 offset:8
.LBB736_7:
	s_or_b64 exec, exec, s[8:9]
	v_and_b32_e32 v10, 1, v0
	v_lshlrev_b32_e32 v34, 2, v10
	s_waitcnt lgkmcnt(0)
	s_barrier
	ds_read_b32 v11, v34 offset:8
	s_load_dwordx2 s[28:29], s[4:5], 0x18
	s_waitcnt lgkmcnt(0)
	v_mov_b32_dpp v12, v11 quad_perm:[1,0,3,2] row_mask:0xf bank_mask:0xf
	s_and_saveexec_b64 s[8:9], s[2:3]
	s_cbranch_execz .LBB736_9
; %bb.8:
	v_cvt_f32_u32_e32 v13, s7
	v_add_f32_e32 v11, v11, v12
	v_mov_b32_e32 v15, s17
	v_mov_b32_e32 v16, s16
	v_div_scale_f32 v12, s[24:25], v13, v13, v11
	v_rcp_f32_e32 v14, v12
	v_cndmask_b32_e32 v15, v15, v16, vcc
	s_mov_b32 s7, 0x800000
	v_fma_f32 v16, -v12, v14, 1.0
	v_fmac_f32_e32 v14, v16, v14
	v_div_scale_f32 v16, vcc, v11, v13, v11
	v_mul_f32_e32 v17, v16, v14
	v_fma_f32 v35, -v12, v17, v16
	v_fmac_f32_e32 v17, v35, v14
	v_fma_f32 v12, -v12, v17, v16
	v_div_fmas_f32 v12, v12, v14, v17
	v_div_fixup_f32 v11, v12, v13, v11
	v_add_f32_e32 v11, v15, v11
	v_mul_f32_e32 v12, 0x4b800000, v11
	v_cmp_gt_f32_e32 vcc, s7, v11
	v_cndmask_b32_e32 v11, v11, v12, vcc
	v_rsq_f32_e32 v11, v11
	v_mul_f32_e32 v12, 0x45800000, v11
	v_cndmask_b32_e32 v12, v11, v12, vcc
	v_mov_b32_e32 v13, v12
	;;#ASMSTART
	v_pk_mul_f32 v[14:15], v[18:19], v[12:13]
	;;#ASMEND
	;;#ASMSTART
	v_pk_mul_f32 v[16:17], v[24:25], v[12:13]
	;;#ASMEND
	;; [unrolled: 3-line block ×8, first 2 shown]
	s_waitcnt vmcnt(1)
	v_cvt_f32_u32_sdwa v19, v6 dst_sel:DWORD dst_unused:UNUSED_PAD src0_sel:WORD_1
	v_cvt_f32_u32_sdwa v18, v6 dst_sel:DWORD dst_unused:UNUSED_PAD src0_sel:WORD_0
	v_cvt_f32_u32_sdwa v25, v7 dst_sel:DWORD dst_unused:UNUSED_PAD src0_sel:WORD_1
	v_cvt_f32_u32_sdwa v24, v7 dst_sel:DWORD dst_unused:UNUSED_PAD src0_sel:WORD_0
	;; [unrolled: 2-line block ×4, first 2 shown]
	;;#ASMSTART
	v_pk_mul_f32 v[18:19], v[14:15], v[18:19]
	;;#ASMEND
	;;#ASMSTART
	v_pk_mul_f32 v[24:25], v[16:17], v[24:25]
	;;#ASMEND
	;; [unrolled: 3-line block ×4, first 2 shown]
	s_waitcnt vmcnt(0)
	v_cvt_f32_u32_sdwa v7, v2 dst_sel:DWORD dst_unused:UNUSED_PAD src0_sel:WORD_1
	v_cvt_f32_u32_sdwa v6, v2 dst_sel:DWORD dst_unused:UNUSED_PAD src0_sel:WORD_0
	v_cvt_f32_u32_sdwa v9, v3 dst_sel:DWORD dst_unused:UNUSED_PAD src0_sel:WORD_1
	v_cvt_f32_u32_sdwa v8, v3 dst_sel:DWORD dst_unused:UNUSED_PAD src0_sel:WORD_0
	;; [unrolled: 2-line block ×4, first 2 shown]
	;;#ASMSTART
	v_pk_mul_f32 v[32:33], v[32:33], v[6:7]
	;;#ASMEND
	;;#ASMSTART
	v_pk_mul_f32 v[30:31], v[30:31], v[8:9]
	;;#ASMEND
	;; [unrolled: 3-line block ×4, first 2 shown]
.LBB736_9:
	s_or_b64 exec, exec, s[8:9]
	s_load_dword s7, s[4:5], 0x80
	s_mov_b64 s[8:9], -1
	s_and_b64 vcc, exec, s[14:15]
	s_cbranch_vccnz .LBB736_13
; %bb.10:
	s_andn2_b64 vcc, exec, s[8:9]
	s_cbranch_vccz .LBB736_16
.LBB736_11:
	s_cmp_lt_i32 s20, 1
	s_cbranch_scc0 .LBB736_25
.LBB736_12:
	s_endpgm
.LBB736_13:
	s_and_saveexec_b64 s[14:15], s[2:3]
	s_cbranch_execz .LBB736_15
; %bb.14:
	s_waitcnt lgkmcnt(0)
	s_mul_hi_i32 s9, s7, s6
	s_mul_i32 s8, s7, s6
	s_lshl_b64 s[8:9], s[8:9], 1
	s_add_u32 s8, s28, s8
	s_addc_u32 s9, s29, s9
	s_mov_b32 s16, 0x7060302
	s_and_b32 s9, s9, 0xffff
	s_mov_b32 s11, 0x20000
	s_waitcnt vmcnt(0)
	v_perm_b32 v5, v23, v22, s16
	v_perm_b32 v4, v21, v20, s16
	;; [unrolled: 1-line block ×4, first 2 shown]
	v_lshlrev_b32_e32 v6, 5, v0
	buffer_store_dwordx4 v[2:5], v6, s[8:11], 0 offen
	;;#ASMSTART
	s_nop 0
	;;#ASMEND
	s_nop 0
	v_perm_b32 v5, v29, v28, s16
	v_perm_b32 v4, v27, v26, s16
	v_perm_b32 v3, v31, v30, s16
	v_perm_b32 v2, v33, v32, s16
	buffer_store_dwordx4 v[2:5], v6, s[8:11], 16 offen
	;;#ASMSTART
	s_nop 0
	;;#ASMEND
.LBB736_15:
	s_or_b64 exec, exec, s[14:15]
	s_cbranch_execnz .LBB736_11
.LBB736_16:
	s_load_dwordx4 s[24:27], s[4:5], 0x70
	s_waitcnt vmcnt(0)
	v_mov_b32_e32 v2, 0
	s_and_saveexec_b64 s[14:15], s[2:3]
	s_cbranch_execz .LBB736_18
; %bb.17:
	s_load_dwordx2 s[8:9], s[4:5], 0x10
	s_waitcnt lgkmcnt(0)
	s_mul_hi_i32 s35, s27, s6
	s_mul_i32 s34, s27, s6
	s_lshl_b64 s[34:35], s[34:35], 1
	s_mov_b32 s16, 0x7060302
	s_add_u32 s8, s8, s34
	s_addc_u32 s9, s9, s35
	s_mov_b32 s11, 0x20000
	s_and_b32 s9, s9, 0xffff
	v_perm_b32 v5, v23, v22, s16
	v_perm_b32 v4, v21, v20, s16
	;; [unrolled: 1-line block ×4, first 2 shown]
	v_lshlrev_b32_e32 v6, 5, v0
	buffer_store_dwordx4 v[2:5], v6, s[8:11], 0 offen
	;;#ASMSTART
	s_nop 0
	;;#ASMEND
	s_nop 0
	v_perm_b32 v5, v29, v28, s16
	v_perm_b32 v4, v27, v26, s16
	;; [unrolled: 1-line block ×4, first 2 shown]
	buffer_store_dwordx4 v[2:5], v6, s[8:11], 16 offen
	;;#ASMSTART
	s_nop 0
	;;#ASMEND
	s_nop 0
	v_mov_b32_e32 v2, 0x2edbe6ff
.LBB736_18:
	s_or_b64 exec, exec, s[14:15]
	s_and_saveexec_b64 s[8:9], s[2:3]
	s_cbranch_execz .LBB736_20
; %bb.19:
	v_and_b32_e32 v3, 0x7fffffff, v18
	v_and_b32_e32 v4, 0x7fffffff, v19
	;;#ASMSTART
	v_max3_f32 v2, v2, v3, v4

	;;#ASMEND
	v_and_b32_e32 v3, 0x7fffffff, v24
	v_and_b32_e32 v4, 0x7fffffff, v25
	;;#ASMSTART
	v_max3_f32 v2, v2, v3, v4

	;;#ASMEND
	;; [unrolled: 6-line block ×8, first 2 shown]
.LBB736_20:
	s_or_b64 exec, exec, s[8:9]
	v_cmp_eq_u32_e32 vcc, 0, v10
	v_cmp_gt_i32_e64 s[8:9], s19, v1
	s_and_b64 s[10:11], vcc, s[8:9]
	;;#ASMSTART
	v_max_f32 v3, v2, v2 quad_perm:[1,0,3,2] row_mask:0xf bank_mask:0xf bound_ctrl:1
	;;#ASMEND
	s_and_saveexec_b64 s[8:9], s[10:11]
	s_cbranch_execz .LBB736_22
; %bb.21:
	s_load_dwordx2 s[10:11], s[4:5], 0x8
	v_mul_f32_e32 v2, 0x3e2aaaab, v3
	v_lshrrev_b32_e32 v3, 23, v2
	v_and_b32_e32 v4, 0x7f800000, v2
	v_and_b32_e32 v2, 0x7fffff, v2
	v_cmp_ne_u32_e32 vcc, 0, v2
	s_waitcnt lgkmcnt(0)
	s_mul_i32 s16, s25, s6
	s_mov_b32 s14, 0x7f800000
	v_addc_co_u32_e32 v2, vcc, 0, v3, vcc
	s_mul_hi_i32 s15, s25, s6
	s_add_u32 s10, s10, s16
	v_cmp_ne_u32_e32 vcc, s14, v4
	s_addc_u32 s11, s11, s15
	v_lshrrev_b32_e32 v5, 1, v0
	v_cndmask_b32_e32 v4, -1, v2, vcc
	v_pk_mov_b32 v[2:3], s[10:11], s[10:11] op_sel:[0,1]
	v_mad_i64_i32 v[2:3], s[10:11], s26, v5, v[2:3]
	global_store_byte v[2:3], v4, off
.LBB736_22:
	s_or_b64 exec, exec, s[8:9]
	s_and_saveexec_b64 s[8:9], s[2:3]
	s_cbranch_execz .LBB736_24
; %bb.23:
	s_load_dwordx2 s[2:3], s[4:5], 0x0
	s_waitcnt lgkmcnt(0)
	s_mul_i32 s11, s24, s6
	s_mul_hi_i32 s10, s24, s6
	v_mov_b32_e32 v2, 0
	v_lshlrev_b32_e32 v4, 3, v0
	s_add_u32 s24, s2, s11
	s_addc_u32 s2, s3, s10
	s_lshr_b32 s3, s19, 31
	s_add_i32 s3, s19, s3
	s_ashr_i32 s3, s3, 1
	s_add_i32 s3, s3, 3
	s_ashr_i32 s10, s3, 31
	s_lshr_b32 s10, s10, 30
	s_add_i32 s3, s3, s10
	s_and_b32 s26, s3, -4
	s_and_b32 s25, s2, 0xffff
	s_mov_b32 s27, 0x20000
	v_mov_b32_e32 v3, v2
	buffer_store_dwordx2 v[2:3], v4, s[24:27], 0 offen
	;;#ASMSTART
	s_nop 0
	;;#ASMEND
.LBB736_24:
	s_or_b64 exec, exec, s[8:9]
	s_cmp_lt_i32 s20, 1
	s_cbranch_scc1 .LBB736_12
.LBB736_25:
	s_load_dword s2, s[4:5], 0x94
	s_waitcnt lgkmcnt(0)
	s_cmp_lg_u32 s2, 1
	s_cbranch_scc1 .LBB736_12
; %bb.26:
	s_lshl_b32 s2, s20, 1
	s_add_i32 s2, s2, 2
	v_cmp_gt_u32_e32 vcc, s20, v1
	s_and_b32 s14, s2, -4
	v_mov_b32_e32 v18, 0
	v_lshlrev_b32_e32 v1, 5, v0
	v_mov_b32_e32 v14, 0
	v_mov_b32_e32 v15, 0
	;; [unrolled: 1-line block ×8, first 2 shown]
	s_waitcnt vmcnt(1)
	v_mov_b32_e32 v6, 0
	v_mov_b32_e32 v7, 0
	;; [unrolled: 1-line block ×4, first 2 shown]
	s_waitcnt vmcnt(0)
	v_mov_b32_e32 v2, 0
	v_mov_b32_e32 v3, 0
	;; [unrolled: 1-line block ×4, first 2 shown]
	s_barrier
	s_and_saveexec_b64 s[2:3], vcc
	s_cbranch_execz .LBB736_28
; %bb.27:
	s_mul_hi_i32 s5, s22, s6
	s_mul_i32 s4, s22, s6
	s_and_b32 s13, s13, 0xffff
	s_lshl_b64 s[4:5], s[4:5], 1
	s_add_u32 s8, s30, s4
	s_mov_b32 s15, 0x20000
	s_addc_u32 s4, s31, s5
	s_and_b32 s9, s4, 0xffff
	s_mov_b32 s10, s14
	s_mov_b32 s11, s15
	buffer_load_dwordx4 v[14:17], v1, s[8:11], 0 offen
	buffer_load_dwordx4 v[10:13], v1, s[8:11], 16 offen
	buffer_load_dwordx4 v[6:9], v1, s[12:15], 0 offen
	buffer_load_dwordx4 v[2:5], v1, s[12:15], 16 offen
.LBB736_28:
	s_or_b64 exec, exec, s[2:3]
	v_mov_b32_e32 v19, 0
	v_mov_b32_e32 v32, 0
	;; [unrolled: 1-line block ×15, first 2 shown]
	s_and_saveexec_b64 s[2:3], vcc
	s_cbranch_execz .LBB736_30
; %bb.29:
	s_waitcnt vmcnt(3)
	v_cvt_f32_u32_sdwa v18, v14 dst_sel:DWORD dst_unused:UNUSED_PAD src0_sel:WORD_0
	v_cvt_f32_u32_sdwa v19, v14 dst_sel:DWORD dst_unused:UNUSED_PAD src0_sel:WORD_1
	v_cvt_f32_u32_sdwa v32, v15 dst_sel:DWORD dst_unused:UNUSED_PAD src0_sel:WORD_0
	v_cvt_f32_u32_sdwa v33, v15 dst_sel:DWORD dst_unused:UNUSED_PAD src0_sel:WORD_1
	;; [unrolled: 2-line block ×4, first 2 shown]
	s_waitcnt vmcnt(2)
	v_cvt_f32_u32_sdwa v26, v10 dst_sel:DWORD dst_unused:UNUSED_PAD src0_sel:WORD_0
	v_cvt_f32_u32_sdwa v27, v10 dst_sel:DWORD dst_unused:UNUSED_PAD src0_sel:WORD_1
	v_cvt_f32_u32_sdwa v24, v11 dst_sel:DWORD dst_unused:UNUSED_PAD src0_sel:WORD_0
	v_cvt_f32_u32_sdwa v25, v11 dst_sel:DWORD dst_unused:UNUSED_PAD src0_sel:WORD_1
	;; [unrolled: 2-line block ×4, first 2 shown]
.LBB736_30:
	s_or_b64 exec, exec, s[2:3]
	s_waitcnt vmcnt(2)
	v_mul_f32_e32 v10, v19, v19
	v_fmac_f32_e32 v10, v18, v18
	v_fmac_f32_e32 v10, v32, v32
	;; [unrolled: 1-line block ×15, first 2 shown]
	s_nop 1
	v_mov_b32_dpp v11, v10 quad_perm:[1,0,3,2] row_mask:0xf bank_mask:0xf
	v_add_f32_e32 v10, v10, v11
	s_nop 1
	v_mov_b32_dpp v11, v10 quad_perm:[2,3,0,1] row_mask:0xf bank_mask:0xf
	v_add_f32_e32 v10, v10, v11
	s_nop 1
	v_mov_b32_dpp v11, v10 row_half_mirror row_mask:0xf bank_mask:0xf
	v_add_f32_e32 v10, v10, v11
	s_nop 1
	v_mov_b32_dpp v11, v10 row_mirror row_mask:0xf bank_mask:0xf
	v_add_f32_e32 v10, v10, v11
	s_nop 1
	v_mov_b32_dpp v11, v10 row_bcast:15 row_mask:0xf bank_mask:0xf
	v_add_f32_e32 v10, v10, v11
	s_nop 1
	v_mov_b32_dpp v11, v10 row_bcast:31 row_mask:0xf bank_mask:0xf
	s_and_saveexec_b64 s[2:3], s[0:1]
	s_cbranch_execz .LBB736_32
; %bb.31:
	v_lshrrev_b32_e32 v0, 4, v0
	v_add_f32_e32 v10, v10, v11
	v_and_b32_e32 v0, 60, v0
	ds_write_b32 v0, v10
.LBB736_32:
	s_or_b64 exec, exec, s[2:3]
	s_waitcnt lgkmcnt(0)
	s_barrier
	ds_read_b32 v0, v34
	s_waitcnt lgkmcnt(0)
	s_nop 0
	v_mov_b32_dpp v10, v0 quad_perm:[1,0,3,2] row_mask:0xf bank_mask:0xf
	s_and_saveexec_b64 s[0:1], vcc
	s_cbranch_execz .LBB736_12
; %bb.33:
	v_cvt_f32_u32_e32 v11, s20
	v_add_f32_e32 v0, v0, v10
	s_mov_b32 s15, 0x20000
	v_div_scale_f32 v10, s[0:1], v11, v11, v0
	v_rcp_f32_e32 v12, v10
	v_div_scale_f32 v13, vcc, v0, v11, v0
	s_mov_b32 s0, 0x800000
	v_fma_f32 v14, -v10, v12, 1.0
	v_fmac_f32_e32 v12, v14, v12
	v_mul_f32_e32 v14, v13, v12
	v_fma_f32 v15, -v10, v14, v13
	v_fmac_f32_e32 v14, v15, v12
	v_fma_f32 v10, -v10, v14, v13
	v_div_fmas_f32 v10, v10, v12, v14
	v_div_fixup_f32 v0, v10, v11, v0
	v_add_f32_e32 v0, s17, v0
	v_mul_f32_e32 v10, 0x4b800000, v0
	v_cmp_gt_f32_e32 vcc, s0, v0
	v_cndmask_b32_e32 v0, v0, v10, vcc
	v_rsq_f32_e32 v0, v0
	s_mul_hi_i32 s1, s7, s6
	s_mul_i32 s0, s7, s6
	s_lshl_b64 s[0:1], s[0:1], 1
	v_mul_f32_e32 v10, 0x45800000, v0
	v_cndmask_b32_e32 v10, v0, v10, vcc
	v_mov_b32_e32 v11, v10
	s_add_u32 s12, s28, s0
	;;#ASMSTART
	v_pk_mul_f32 v[12:13], v[18:19], v[10:11]
	;;#ASMEND
	;;#ASMSTART
	v_pk_mul_f32 v[14:15], v[32:33], v[10:11]
	;;#ASMEND
	;; [unrolled: 3-line block ×8, first 2 shown]
	s_waitcnt vmcnt(1)
	v_cvt_f32_u32_sdwa v21, v6 dst_sel:DWORD dst_unused:UNUSED_PAD src0_sel:WORD_1
	v_cvt_f32_u32_sdwa v20, v6 dst_sel:DWORD dst_unused:UNUSED_PAD src0_sel:WORD_0
	v_cvt_f32_u32_sdwa v29, v7 dst_sel:DWORD dst_unused:UNUSED_PAD src0_sel:WORD_1
	v_cvt_f32_u32_sdwa v28, v7 dst_sel:DWORD dst_unused:UNUSED_PAD src0_sel:WORD_0
	;; [unrolled: 2-line block ×3, first 2 shown]
	s_addc_u32 s0, s29, s1
	v_cvt_f32_u32_sdwa v31, v9 dst_sel:DWORD dst_unused:UNUSED_PAD src0_sel:WORD_1
	v_cvt_f32_u32_sdwa v30, v9 dst_sel:DWORD dst_unused:UNUSED_PAD src0_sel:WORD_0
	;;#ASMSTART
	v_pk_mul_f32 v[8:9], v[12:13], v[20:21]
	;;#ASMEND
	;;#ASMSTART
	v_pk_mul_f32 v[12:13], v[14:15], v[28:29]
	;;#ASMEND
	;; [unrolled: 3-line block ×4, first 2 shown]
	s_waitcnt vmcnt(0)
	v_cvt_f32_u32_sdwa v17, v2 dst_sel:DWORD dst_unused:UNUSED_PAD src0_sel:WORD_1
	v_cvt_f32_u32_sdwa v16, v2 dst_sel:DWORD dst_unused:UNUSED_PAD src0_sel:WORD_0
	v_cvt_f32_u32_sdwa v19, v3 dst_sel:DWORD dst_unused:UNUSED_PAD src0_sel:WORD_1
	v_cvt_f32_u32_sdwa v18, v3 dst_sel:DWORD dst_unused:UNUSED_PAD src0_sel:WORD_0
	;; [unrolled: 2-line block ×3, first 2 shown]
	s_and_b32 s13, s0, 0xffff
	s_mov_b32 s0, 0x7060302
	v_cvt_f32_u32_sdwa v21, v5 dst_sel:DWORD dst_unused:UNUSED_PAD src0_sel:WORD_1
	v_cvt_f32_u32_sdwa v20, v5 dst_sel:DWORD dst_unused:UNUSED_PAD src0_sel:WORD_0
	;;#ASMSTART
	v_pk_mul_f32 v[16:17], v[26:27], v[16:17]
	;;#ASMEND
	;;#ASMSTART
	v_pk_mul_f32 v[18:19], v[24:25], v[18:19]
	;;#ASMEND
	;; [unrolled: 3-line block ×3, first 2 shown]
	v_perm_b32 v2, v9, v8, s0
	v_perm_b32 v3, v13, v12, s0
	;; [unrolled: 1-line block ×4, first 2 shown]
	;;#ASMSTART
	v_pk_mul_f32 v[10:11], v[10:11], v[20:21]
	;;#ASMEND
	buffer_store_dwordx4 v[2:5], v1, s[12:15], 0 offen
	;;#ASMSTART
	s_nop 0
	;;#ASMEND
	s_nop 0
	v_perm_b32 v2, v17, v16, s0
	v_perm_b32 v3, v19, v18, s0
	;; [unrolled: 1-line block ×4, first 2 shown]
	buffer_store_dwordx4 v[2:5], v1, s[12:15], 16 offen
	;;#ASMSTART
	s_nop 0
	;;#ASMEND
	s_endpgm
	.section	.rodata,"a",@progbits
	.p2align	6, 0x0
	.amdhsa_kernel _ZN5aiter35fused_qk_rmsnorm_group_quant_kernelItN4opus5fp4_tELi128ELi16ELi2ELb0ELb1ELb0ELb0ELb0ELb0EEEvPT0_PvPT_S7_S7_PKS6_S9_S9_S9_S9_ffiiiiiiiiiiiii
		.amdhsa_group_segment_fixed_size 16
		.amdhsa_private_segment_fixed_size 0
		.amdhsa_kernarg_size 400
		.amdhsa_user_sgpr_count 6
		.amdhsa_user_sgpr_private_segment_buffer 1
		.amdhsa_user_sgpr_dispatch_ptr 0
		.amdhsa_user_sgpr_queue_ptr 0
		.amdhsa_user_sgpr_kernarg_segment_ptr 1
		.amdhsa_user_sgpr_dispatch_id 0
		.amdhsa_user_sgpr_flat_scratch_init 0
		.amdhsa_user_sgpr_kernarg_preload_length 0
		.amdhsa_user_sgpr_kernarg_preload_offset 0
		.amdhsa_user_sgpr_private_segment_size 0
		.amdhsa_uses_dynamic_stack 0
		.amdhsa_system_sgpr_private_segment_wavefront_offset 0
		.amdhsa_system_sgpr_workgroup_id_x 1
		.amdhsa_system_sgpr_workgroup_id_y 1
		.amdhsa_system_sgpr_workgroup_id_z 0
		.amdhsa_system_sgpr_workgroup_info 0
		.amdhsa_system_vgpr_workitem_id 0
		.amdhsa_next_free_vgpr 36
		.amdhsa_next_free_sgpr 36
		.amdhsa_accum_offset 36
		.amdhsa_reserve_vcc 1
		.amdhsa_reserve_flat_scratch 0
		.amdhsa_float_round_mode_32 0
		.amdhsa_float_round_mode_16_64 0
		.amdhsa_float_denorm_mode_32 3
		.amdhsa_float_denorm_mode_16_64 3
		.amdhsa_dx10_clamp 1
		.amdhsa_ieee_mode 1
		.amdhsa_fp16_overflow 0
		.amdhsa_tg_split 0
		.amdhsa_exception_fp_ieee_invalid_op 0
		.amdhsa_exception_fp_denorm_src 0
		.amdhsa_exception_fp_ieee_div_zero 0
		.amdhsa_exception_fp_ieee_overflow 0
		.amdhsa_exception_fp_ieee_underflow 0
		.amdhsa_exception_fp_ieee_inexact 0
		.amdhsa_exception_int_div_zero 0
	.end_amdhsa_kernel
	.section	.text._ZN5aiter35fused_qk_rmsnorm_group_quant_kernelItN4opus5fp4_tELi128ELi16ELi2ELb0ELb1ELb0ELb0ELb0ELb0EEEvPT0_PvPT_S7_S7_PKS6_S9_S9_S9_S9_ffiiiiiiiiiiiii,"axG",@progbits,_ZN5aiter35fused_qk_rmsnorm_group_quant_kernelItN4opus5fp4_tELi128ELi16ELi2ELb0ELb1ELb0ELb0ELb0ELb0EEEvPT0_PvPT_S7_S7_PKS6_S9_S9_S9_S9_ffiiiiiiiiiiiii,comdat
.Lfunc_end736:
	.size	_ZN5aiter35fused_qk_rmsnorm_group_quant_kernelItN4opus5fp4_tELi128ELi16ELi2ELb0ELb1ELb0ELb0ELb0ELb0EEEvPT0_PvPT_S7_S7_PKS6_S9_S9_S9_S9_ffiiiiiiiiiiiii, .Lfunc_end736-_ZN5aiter35fused_qk_rmsnorm_group_quant_kernelItN4opus5fp4_tELi128ELi16ELi2ELb0ELb1ELb0ELb0ELb0ELb0EEEvPT0_PvPT_S7_S7_PKS6_S9_S9_S9_S9_ffiiiiiiiiiiiii
                                        ; -- End function
	.section	.AMDGPU.csdata,"",@progbits
; Kernel info:
; codeLenInByte = 3268
; NumSgprs: 40
; NumVgprs: 36
; NumAgprs: 0
; TotalNumVgprs: 36
; ScratchSize: 0
; MemoryBound: 0
; FloatMode: 240
; IeeeMode: 1
; LDSByteSize: 16 bytes/workgroup (compile time only)
; SGPRBlocks: 4
; VGPRBlocks: 4
; NumSGPRsForWavesPerEU: 40
; NumVGPRsForWavesPerEU: 36
; AccumOffset: 36
; Occupancy: 8
; WaveLimiterHint : 0
; COMPUTE_PGM_RSRC2:SCRATCH_EN: 0
; COMPUTE_PGM_RSRC2:USER_SGPR: 6
; COMPUTE_PGM_RSRC2:TRAP_HANDLER: 0
; COMPUTE_PGM_RSRC2:TGID_X_EN: 1
; COMPUTE_PGM_RSRC2:TGID_Y_EN: 1
; COMPUTE_PGM_RSRC2:TGID_Z_EN: 0
; COMPUTE_PGM_RSRC2:TIDIG_COMP_CNT: 0
; COMPUTE_PGM_RSRC3_GFX90A:ACCUM_OFFSET: 8
; COMPUTE_PGM_RSRC3_GFX90A:TG_SPLIT: 0
	.section	.text._ZN5aiter35fused_qk_rmsnorm_group_quant_kernelIDF16_DB8_Li128ELi16ELi2ELb0ELb0ELb1ELb0ELb0ELb0EEEvPT0_PvPT_S6_S6_PKS5_S8_S8_S8_S8_ffiiiiiiiiiiiii,"axG",@progbits,_ZN5aiter35fused_qk_rmsnorm_group_quant_kernelIDF16_DB8_Li128ELi16ELi2ELb0ELb0ELb1ELb0ELb0ELb0EEEvPT0_PvPT_S6_S6_PKS5_S8_S8_S8_S8_ffiiiiiiiiiiiii,comdat
	.protected	_ZN5aiter35fused_qk_rmsnorm_group_quant_kernelIDF16_DB8_Li128ELi16ELi2ELb0ELb0ELb1ELb0ELb0ELb0EEEvPT0_PvPT_S6_S6_PKS5_S8_S8_S8_S8_ffiiiiiiiiiiiii ; -- Begin function _ZN5aiter35fused_qk_rmsnorm_group_quant_kernelIDF16_DB8_Li128ELi16ELi2ELb0ELb0ELb1ELb0ELb0ELb0EEEvPT0_PvPT_S6_S6_PKS5_S8_S8_S8_S8_ffiiiiiiiiiiiii
	.globl	_ZN5aiter35fused_qk_rmsnorm_group_quant_kernelIDF16_DB8_Li128ELi16ELi2ELb0ELb0ELb1ELb0ELb0ELb0EEEvPT0_PvPT_S6_S6_PKS5_S8_S8_S8_S8_ffiiiiiiiiiiiii
	.p2align	8
	.type	_ZN5aiter35fused_qk_rmsnorm_group_quant_kernelIDF16_DB8_Li128ELi16ELi2ELb0ELb0ELb1ELb0ELb0ELb0EEEvPT0_PvPT_S6_S6_PKS5_S8_S8_S8_S8_ffiiiiiiiiiiiii,@function
_ZN5aiter35fused_qk_rmsnorm_group_quant_kernelIDF16_DB8_Li128ELi16ELi2ELb0ELb0ELb1ELb0ELb0ELb0EEEvPT0_PvPT_S6_S6_PKS5_S8_S8_S8_S8_ffiiiiiiiiiiiii: ; @_ZN5aiter35fused_qk_rmsnorm_group_quant_kernelIDF16_DB8_Li128ELi16ELi2ELb0ELb0ELb1ELb0ELb0ELb0EEEvPT0_PvPT_S6_S6_PKS5_S8_S8_S8_S8_ffiiiiiiiiiiiii
; %bb.0:
	s_load_dwordx4 s[16:19], s[4:5], 0x50
	s_waitcnt lgkmcnt(0)
	s_cmp_ge_i32 s6, s18
	s_cbranch_scc1 .LBB737_12
; %bb.1:
	s_load_dwordx2 s[12:13], s[4:5], 0x48
	s_load_dwordx2 s[30:31], s[4:5], 0x30
	s_load_dwordx4 s[20:23], s[4:5], 0x60
	s_cmp_lg_u32 s7, 0
	s_cselect_b64 s[14:15], -1, 0
	s_cmp_eq_u32 s7, 0
	s_cselect_b64 vcc, -1, 0
	s_and_b64 s[0:1], vcc, exec
	s_waitcnt lgkmcnt(0)
	s_cselect_b32 s7, s19, s20
	s_add_i32 s0, s7, 1
	s_lshr_b32 s1, s0, 31
	s_add_i32 s0, s0, s1
	s_lshl_b32 s0, s0, 1
	v_lshlrev_b32_e32 v1, 4, v0
	s_and_b32 s10, s0, -4
	v_cmp_gt_i32_e64 s[2:3], s7, v1
	v_mov_b32_e32 v18, 0
	v_mov_b32_e32 v6, 0
	;; [unrolled: 1-line block ×17, first 2 shown]
	s_and_saveexec_b64 s[0:1], s[2:3]
	s_cbranch_execz .LBB737_3
; %bb.2:
	s_load_dwordx2 s[8:9], s[4:5], 0x28
	s_load_dwordx2 s[26:27], s[4:5], 0x40
	s_and_b64 s[24:25], vcc, exec
	s_cselect_b32 s11, s21, s22
	v_lshlrev_b32_e32 v19, 5, v0
	s_waitcnt lgkmcnt(0)
	s_cselect_b32 s18, s9, s31
	s_cselect_b32 s21, s8, s30
	s_mul_hi_i32 s9, s11, s6
	s_mul_i32 s8, s11, s6
	s_lshl_b64 s[8:9], s[8:9], 1
	s_add_u32 s24, s21, s8
	s_addc_u32 s18, s18, s9
	s_and_b64 s[8:9], vcc, exec
	s_mov_b32 s11, 0x20000
	s_cselect_b32 s8, s26, s12
	s_cselect_b32 s9, s27, s13
	s_and_b32 s25, s18, 0xffff
	s_mov_b32 s26, s10
	s_mov_b32 s27, s11
	s_and_b32 s9, s9, 0xffff
	buffer_load_dwordx4 v[14:17], v19, s[24:27], 0 offen
	buffer_load_dwordx4 v[10:13], v19, s[24:27], 16 offen
	buffer_load_dwordx4 v[6:9], v19, s[8:11], 0 offen
	buffer_load_dwordx4 v[2:5], v19, s[8:11], 16 offen
.LBB737_3:
	s_or_b64 exec, exec, s[0:1]
	v_mov_b32_e32 v19, 0
	v_mov_b32_e32 v32, 0
	;; [unrolled: 1-line block ×15, first 2 shown]
	s_and_saveexec_b64 s[0:1], s[2:3]
	s_cbranch_execz .LBB737_5
; %bb.4:
	s_waitcnt vmcnt(3)
	v_cvt_f32_f16_sdwa v19, v14 dst_sel:DWORD dst_unused:UNUSED_PAD src0_sel:WORD_1
	v_cvt_f32_f16_e32 v18, v14
	v_cvt_f32_f16_sdwa v33, v15 dst_sel:DWORD dst_unused:UNUSED_PAD src0_sel:WORD_1
	v_cvt_f32_f16_e32 v32, v15
	;; [unrolled: 2-line block ×4, first 2 shown]
	s_waitcnt vmcnt(2)
	v_cvt_f32_f16_sdwa v25, v10 dst_sel:DWORD dst_unused:UNUSED_PAD src0_sel:WORD_1
	v_cvt_f32_f16_e32 v24, v10
	v_cvt_f32_f16_sdwa v29, v11 dst_sel:DWORD dst_unused:UNUSED_PAD src0_sel:WORD_1
	v_cvt_f32_f16_e32 v28, v11
	;; [unrolled: 2-line block ×4, first 2 shown]
.LBB737_5:
	s_or_b64 exec, exec, s[0:1]
	s_waitcnt vmcnt(2)
	v_mul_f32_e32 v10, v19, v19
	v_fmac_f32_e32 v10, v18, v18
	v_fmac_f32_e32 v10, v32, v32
	;; [unrolled: 1-line block ×15, first 2 shown]
	v_and_b32_e32 v12, 63, v0
	v_cmp_eq_u32_e64 s[0:1], 63, v12
	v_mov_b32_dpp v11, v10 quad_perm:[1,0,3,2] row_mask:0xf bank_mask:0xf
	v_add_f32_e32 v10, v10, v11
	s_nop 1
	v_mov_b32_dpp v11, v10 quad_perm:[2,3,0,1] row_mask:0xf bank_mask:0xf
	v_add_f32_e32 v10, v10, v11
	s_nop 1
	v_mov_b32_dpp v11, v10 row_half_mirror row_mask:0xf bank_mask:0xf
	v_add_f32_e32 v10, v10, v11
	s_nop 1
	v_mov_b32_dpp v11, v10 row_mirror row_mask:0xf bank_mask:0xf
	v_add_f32_e32 v10, v10, v11
	s_nop 1
	v_mov_b32_dpp v11, v10 row_bcast:15 row_mask:0xf bank_mask:0xf
	v_add_f32_e32 v10, v10, v11
	s_nop 1
	v_mov_b32_dpp v11, v10 row_bcast:31 row_mask:0xf bank_mask:0xf
	s_and_saveexec_b64 s[8:9], s[0:1]
	s_cbranch_execz .LBB737_7
; %bb.6:
	v_add_f32_e32 v10, v10, v11
	v_lshrrev_b32_e32 v11, 4, v0
	v_and_b32_e32 v11, 60, v11
	ds_write_b32 v11, v10 offset:8
.LBB737_7:
	s_or_b64 exec, exec, s[8:9]
	v_and_b32_e32 v10, 1, v0
	v_lshlrev_b32_e32 v34, 2, v10
	s_waitcnt lgkmcnt(0)
	s_barrier
	ds_read_b32 v11, v34 offset:8
	s_load_dwordx2 s[28:29], s[4:5], 0x18
	s_waitcnt lgkmcnt(0)
	v_mov_b32_dpp v12, v11 quad_perm:[1,0,3,2] row_mask:0xf bank_mask:0xf
	s_and_saveexec_b64 s[8:9], s[2:3]
	s_cbranch_execz .LBB737_9
; %bb.8:
	v_cvt_f32_u32_e32 v13, s7
	v_add_f32_e32 v11, v11, v12
	v_mov_b32_e32 v15, s17
	v_mov_b32_e32 v16, s16
	v_div_scale_f32 v12, s[24:25], v13, v13, v11
	v_rcp_f32_e32 v14, v12
	v_cndmask_b32_e32 v15, v15, v16, vcc
	s_mov_b32 s7, 0x800000
	v_fma_f32 v16, -v12, v14, 1.0
	v_fmac_f32_e32 v14, v16, v14
	v_div_scale_f32 v16, vcc, v11, v13, v11
	v_mul_f32_e32 v17, v16, v14
	v_fma_f32 v35, -v12, v17, v16
	v_fmac_f32_e32 v17, v35, v14
	v_fma_f32 v12, -v12, v17, v16
	v_div_fmas_f32 v12, v12, v14, v17
	v_div_fixup_f32 v11, v12, v13, v11
	v_add_f32_e32 v11, v15, v11
	v_mul_f32_e32 v12, 0x4b800000, v11
	v_cmp_gt_f32_e32 vcc, s7, v11
	v_cndmask_b32_e32 v11, v11, v12, vcc
	v_rsq_f32_e32 v11, v11
	v_mul_f32_e32 v12, 0x45800000, v11
	v_cndmask_b32_e32 v12, v11, v12, vcc
	v_mov_b32_e32 v13, v12
	;;#ASMSTART
	v_pk_mul_f32 v[14:15], v[18:19], v[12:13]
	;;#ASMEND
	s_waitcnt vmcnt(1)
	v_cvt_f32_f16_sdwa v19, v6 dst_sel:DWORD dst_unused:UNUSED_PAD src0_sel:WORD_1
	v_cvt_f32_f16_e32 v18, v6
	;;#ASMSTART
	v_pk_mul_f32 v[16:17], v[32:33], v[12:13]
	;;#ASMEND
	v_cvt_f32_f16_sdwa v33, v7 dst_sel:DWORD dst_unused:UNUSED_PAD src0_sel:WORD_1
	v_cvt_f32_f16_e32 v32, v7
	;;#ASMSTART
	v_pk_mul_f32 v[26:27], v[26:27], v[12:13]
	;;#ASMEND
	;;#ASMSTART
	v_pk_mul_f32 v[30:31], v[30:31], v[12:13]
	;;#ASMEND
	;; [unrolled: 3-line block ×6, first 2 shown]
	v_pk_add_f32 v[12:13], v[18:19], 1.0 op_sel_hi:[1,0]
	;;#ASMSTART
	v_pk_mul_f32 v[18:19], v[14:15], v[12:13]
	;;#ASMEND
	v_cvt_f32_f16_sdwa v15, v8 dst_sel:DWORD dst_unused:UNUSED_PAD src0_sel:WORD_1
	v_cvt_f32_f16_e32 v14, v8
	v_cvt_f32_f16_sdwa v21, v9 dst_sel:DWORD dst_unused:UNUSED_PAD src0_sel:WORD_1
	v_cvt_f32_f16_e32 v20, v9
	v_pk_add_f32 v[12:13], v[32:33], 1.0 op_sel_hi:[1,0]
	;;#ASMSTART
	v_pk_mul_f32 v[32:33], v[16:17], v[12:13]
	;;#ASMEND
	s_waitcnt vmcnt(0)
	v_cvt_f32_f16_sdwa v13, v2 dst_sel:DWORD dst_unused:UNUSED_PAD src0_sel:WORD_1
	v_cvt_f32_f16_e32 v12, v2
	v_pk_add_f32 v[8:9], v[14:15], 1.0 op_sel_hi:[1,0]
	;;#ASMSTART
	v_pk_mul_f32 v[26:27], v[26:27], v[8:9]
	;;#ASMEND
	v_pk_add_f32 v[8:9], v[20:21], 1.0 op_sel_hi:[1,0]
	v_cvt_f32_f16_sdwa v15, v3 dst_sel:DWORD dst_unused:UNUSED_PAD src0_sel:WORD_1
	v_cvt_f32_f16_e32 v14, v3
	;;#ASMSTART
	v_pk_mul_f32 v[30:31], v[30:31], v[8:9]
	;;#ASMEND
	v_cvt_f32_f16_sdwa v9, v4 dst_sel:DWORD dst_unused:UNUSED_PAD src0_sel:WORD_1
	v_cvt_f32_f16_e32 v8, v4
	v_pk_add_f32 v[2:3], v[12:13], 1.0 op_sel_hi:[1,0]
	v_cvt_f32_f16_sdwa v13, v5 dst_sel:DWORD dst_unused:UNUSED_PAD src0_sel:WORD_1
	v_cvt_f32_f16_e32 v12, v5
	;;#ASMSTART
	v_pk_mul_f32 v[24:25], v[24:25], v[2:3]
	;;#ASMEND
	v_pk_add_f32 v[2:3], v[14:15], 1.0 op_sel_hi:[1,0]
	;;#ASMSTART
	v_pk_mul_f32 v[28:29], v[28:29], v[2:3]
	;;#ASMEND
	v_pk_add_f32 v[2:3], v[8:9], 1.0 op_sel_hi:[1,0]
	;; [unrolled: 4-line block ×3, first 2 shown]
	;;#ASMSTART
	v_pk_mul_f32 v[20:21], v[6:7], v[2:3]
	;;#ASMEND
.LBB737_9:
	s_or_b64 exec, exec, s[8:9]
	s_load_dword s7, s[4:5], 0x80
	s_mov_b64 s[8:9], -1
	s_and_b64 vcc, exec, s[14:15]
	s_cbranch_vccnz .LBB737_13
; %bb.10:
	s_andn2_b64 vcc, exec, s[8:9]
	s_cbranch_vccz .LBB737_16
.LBB737_11:
	s_cmp_lt_i32 s20, 1
	s_cbranch_scc0 .LBB737_23
.LBB737_12:
	s_endpgm
.LBB737_13:
	s_and_saveexec_b64 s[14:15], s[2:3]
	s_cbranch_execz .LBB737_15
; %bb.14:
	s_waitcnt lgkmcnt(0)
	s_mul_hi_i32 s9, s7, s6
	s_mul_i32 s8, s7, s6
	s_waitcnt vmcnt(0)
	v_cvt_f16_f32_e32 v2, v18
	v_cvt_f16_f32_e32 v3, v32
	;; [unrolled: 1-line block ×8, first 2 shown]
	s_lshl_b64 s[8:9], s[8:9], 1
	s_add_u32 s8, s28, s8
	s_addc_u32 s9, s29, s9
	s_and_b32 s9, s9, 0xffff
	s_mov_b32 s11, 0x20000
	v_pack_b32_f16 v5, v5, v6
	v_pack_b32_f16 v4, v4, v7
	;; [unrolled: 1-line block ×4, first 2 shown]
	v_lshlrev_b32_e32 v6, 5, v0
	buffer_store_dwordx4 v[2:5], v6, s[8:11], 0 offen
	v_cvt_f16_f32_e32 v7, v21
	v_cvt_f16_f32_e32 v2, v24
	;; [unrolled: 1-line block ×8, first 2 shown]
	v_pack_b32_f16 v5, v5, v7
	v_pack_b32_f16 v4, v4, v8
	;; [unrolled: 1-line block ×4, first 2 shown]
	;;#ASMSTART
	s_nop 0
	;;#ASMEND
	buffer_store_dwordx4 v[2:5], v6, s[8:11], 16 offen
	;;#ASMSTART
	s_nop 0
	;;#ASMEND
.LBB737_15:
	s_or_b64 exec, exec, s[14:15]
	s_cbranch_execnz .LBB737_11
.LBB737_16:
	s_waitcnt vmcnt(0)
	v_mov_b32_e32 v2, 0
	s_and_saveexec_b64 s[8:9], s[2:3]
	s_cbranch_execz .LBB737_18
; %bb.17:
	v_and_b32_e32 v2, 0x7fffffff, v18
	v_and_b32_e32 v3, 0x7fffffff, v19
	v_mov_b32_e32 v4, 0x2edbe6ff
	;;#ASMSTART
	v_max3_f32 v2, v4, v2, v3

	;;#ASMEND
	v_and_b32_e32 v3, 0x7fffffff, v32
	v_and_b32_e32 v4, 0x7fffffff, v33
	;;#ASMSTART
	v_max3_f32 v2, v2, v3, v4

	;;#ASMEND
	v_and_b32_e32 v3, 0x7fffffff, v26
	v_and_b32_e32 v4, 0x7fffffff, v27
	;; [unrolled: 6-line block ×7, first 2 shown]
	;;#ASMSTART
	v_max3_f32 v2, v2, v3, v4

	;;#ASMEND
.LBB737_18:
	s_or_b64 exec, exec, s[8:9]
	s_load_dwordx4 s[24:27], s[4:5], 0x70
	v_cmp_eq_u32_e32 vcc, 0, v10
	v_cmp_gt_i32_e64 s[8:9], s19, v1
	;;#ASMSTART
	v_max_f32 v3, v2, v2 quad_perm:[1,0,3,2] row_mask:0xf bank_mask:0xf bound_ctrl:1
	;;#ASMEND
	v_mul_f32_e32 v2, 0x3b124925, v3
	s_and_b64 s[10:11], vcc, s[8:9]
	s_and_saveexec_b64 s[8:9], s[10:11]
	s_cbranch_execz .LBB737_20
; %bb.19:
	s_load_dwordx2 s[10:11], s[4:5], 0x8
	s_waitcnt lgkmcnt(0)
	s_mul_hi_i32 s15, s25, s6
	s_mul_i32 s14, s25, s6
	v_lshrrev_b32_e32 v3, 1, v0
	s_lshl_b64 s[14:15], s[14:15], 2
	v_mad_i64_i32 v[4:5], s[26:27], s26, v3, 0
	s_add_u32 s10, s10, s14
	s_addc_u32 s11, s11, s15
	v_lshlrev_b64 v[4:5], 2, v[4:5]
	v_mov_b32_e32 v3, s11
	v_add_co_u32_e32 v4, vcc, s10, v4
	v_addc_co_u32_e32 v5, vcc, v3, v5, vcc
	global_store_dword v[4:5], v2, off
.LBB737_20:
	s_or_b64 exec, exec, s[8:9]
	;;#ASMSTART
	v_rcp_f32 v2, v2
	;;#ASMEND
	s_and_saveexec_b64 s[14:15], s[2:3]
	s_cbranch_execz .LBB737_22
; %bb.21:
	s_load_dwordx2 s[2:3], s[4:5], 0x0
	s_waitcnt lgkmcnt(0)
	s_mul_i32 s8, s24, s6
	s_mul_hi_i32 s9, s24, s6
	v_mov_b32_e32 v3, v2
	;;#ASMSTART
	v_pk_mul_f32 v[4:5], v[18:19], v[2:3]
	;;#ASMEND
	s_add_u32 s8, s2, s8
	s_addc_u32 s2, s3, s9
	s_add_i32 s3, s19, 3
	s_ashr_i32 s10, s3, 31
	v_mov_b32_e32 v10, 0xc3e00000
	v_mov_b32_e32 v11, 0x43e00000
	;;#ASMSTART
	v_med3_f32 v4, v4, v10, v11
v_med3_f32 v5, v5, v10, v11
v_cvt_pk_fp8_f32 v6, v4, v5
	;;#ASMEND
	s_and_b32 s9, s2, 0xffff
	s_lshr_b32 s2, s10, 30
	;;#ASMSTART
	v_pk_mul_f32 v[4:5], v[32:33], v[2:3]
	;;#ASMEND
	s_add_i32 s3, s3, s2
	;;#ASMSTART
	v_med3_f32 v4, v4, v10, v11
v_med3_f32 v5, v5, v10, v11
v_cvt_pk_fp8_f32 v7, v4, v5
	;;#ASMEND
	s_mov_b32 s2, 0x5040100
	v_perm_b32 v4, v7, v6, s2
	s_mov_b32 s2, 0x1060504
	v_perm_b32 v4, v4, v7, s2
	;;#ASMSTART
	v_pk_mul_f32 v[6:7], v[26:27], v[2:3]
	;;#ASMEND
	v_mov_b32_e32 v5, v7
	;;#ASMSTART
	v_med3_f32 v6, v6, v10, v11
v_med3_f32 v5, v5, v10, v11
v_cvt_pk_fp8_f32 v8, v6, v5
	;;#ASMEND
	;;#ASMSTART
	v_pk_mul_f32 v[6:7], v[30:31], v[2:3]
	;;#ASMEND
	v_mov_b32_e32 v5, v6
	;;#ASMSTART
	v_med3_f32 v5, v5, v10, v11
v_med3_f32 v7, v7, v10, v11
v_cvt_pk_fp8_f32 v6, v5, v7
	;;#ASMEND
	s_mov_b32 s2, 0x1000504
	v_perm_b32 v5, v8, v6, s2
	;;#ASMSTART
	v_pk_mul_f32 v[6:7], v[24:25], v[2:3]
	;;#ASMEND
	;;#ASMSTART
	v_med3_f32 v6, v6, v10, v11
v_med3_f32 v7, v7, v10, v11
v_cvt_pk_fp8_f32 v8, v6, v7
	;;#ASMEND
	;;#ASMSTART
	v_pk_mul_f32 v[6:7], v[28:29], v[2:3]
	;;#ASMEND
	;;#ASMSTART
	v_med3_f32 v6, v6, v10, v11
v_med3_f32 v7, v7, v10, v11
v_cvt_pk_fp8_f32 v9, v6, v7
	;;#ASMEND
	v_perm_b32 v6, v8, v9, s2
	;;#ASMSTART
	v_pk_mul_f32 v[8:9], v[22:23], v[2:3]
	;;#ASMEND
	v_mov_b32_e32 v7, v9
	;;#ASMSTART
	v_med3_f32 v8, v8, v10, v11
v_med3_f32 v7, v7, v10, v11
v_cvt_pk_fp8_f32 v9, v8, v7
	;;#ASMEND
	;;#ASMSTART
	v_pk_mul_f32 v[2:3], v[20:21], v[2:3]
	;;#ASMEND
	;;#ASMSTART
	v_med3_f32 v2, v2, v10, v11
v_med3_f32 v3, v3, v10, v11
v_cvt_pk_fp8_f32 v7, v2, v3
	;;#ASMEND
	s_and_b32 s10, s3, -4
	s_mov_b32 s11, 0x20000
	v_perm_b32 v7, v9, v7, s2
	buffer_store_dwordx4 v[4:7], v1, s[8:11], 0 offen
	;;#ASMSTART
	s_nop 0
	;;#ASMEND
.LBB737_22:
	s_or_b64 exec, exec, s[14:15]
	s_cmp_lt_i32 s20, 1
	s_cbranch_scc1 .LBB737_12
.LBB737_23:
	s_load_dword s2, s[4:5], 0x94
	s_waitcnt lgkmcnt(0)
	s_cmp_lg_u32 s2, 1
	s_cbranch_scc1 .LBB737_12
; %bb.24:
	s_lshl_b32 s2, s20, 1
	s_add_i32 s2, s2, 2
	v_cmp_gt_u32_e32 vcc, s20, v1
	s_and_b32 s14, s2, -4
	v_mov_b32_e32 v18, 0
	v_lshlrev_b32_e32 v1, 5, v0
	v_mov_b32_e32 v14, 0
	v_mov_b32_e32 v15, 0
	;; [unrolled: 1-line block ×8, first 2 shown]
	s_waitcnt vmcnt(1)
	v_mov_b32_e32 v6, 0
	v_mov_b32_e32 v7, 0
	;; [unrolled: 1-line block ×4, first 2 shown]
	s_waitcnt vmcnt(0)
	v_mov_b32_e32 v2, 0
	v_mov_b32_e32 v3, 0
	;; [unrolled: 1-line block ×4, first 2 shown]
	s_barrier
	s_and_saveexec_b64 s[2:3], vcc
	s_cbranch_execz .LBB737_26
; %bb.25:
	s_mul_hi_i32 s5, s22, s6
	s_mul_i32 s4, s22, s6
	s_and_b32 s13, s13, 0xffff
	s_lshl_b64 s[4:5], s[4:5], 1
	s_add_u32 s8, s30, s4
	s_mov_b32 s15, 0x20000
	s_addc_u32 s4, s31, s5
	s_and_b32 s9, s4, 0xffff
	s_mov_b32 s10, s14
	s_mov_b32 s11, s15
	buffer_load_dwordx4 v[14:17], v1, s[8:11], 0 offen
	buffer_load_dwordx4 v[10:13], v1, s[8:11], 16 offen
	;; [unrolled: 1-line block ×4, first 2 shown]
.LBB737_26:
	s_or_b64 exec, exec, s[2:3]
	v_mov_b32_e32 v19, 0
	v_mov_b32_e32 v32, 0
	;; [unrolled: 1-line block ×15, first 2 shown]
	s_and_saveexec_b64 s[2:3], vcc
	s_cbranch_execz .LBB737_28
; %bb.27:
	s_waitcnt vmcnt(3)
	v_cvt_f32_f16_sdwa v19, v14 dst_sel:DWORD dst_unused:UNUSED_PAD src0_sel:WORD_1
	v_cvt_f32_f16_e32 v18, v14
	v_cvt_f32_f16_sdwa v33, v15 dst_sel:DWORD dst_unused:UNUSED_PAD src0_sel:WORD_1
	v_cvt_f32_f16_e32 v32, v15
	;; [unrolled: 2-line block ×4, first 2 shown]
	s_waitcnt vmcnt(2)
	v_cvt_f32_f16_sdwa v27, v10 dst_sel:DWORD dst_unused:UNUSED_PAD src0_sel:WORD_1
	v_cvt_f32_f16_e32 v26, v10
	v_cvt_f32_f16_sdwa v25, v11 dst_sel:DWORD dst_unused:UNUSED_PAD src0_sel:WORD_1
	v_cvt_f32_f16_e32 v24, v11
	;; [unrolled: 2-line block ×4, first 2 shown]
.LBB737_28:
	s_or_b64 exec, exec, s[2:3]
	s_waitcnt vmcnt(2)
	v_mul_f32_e32 v10, v19, v19
	v_fmac_f32_e32 v10, v18, v18
	v_fmac_f32_e32 v10, v32, v32
	;; [unrolled: 1-line block ×15, first 2 shown]
	s_nop 1
	v_mov_b32_dpp v11, v10 quad_perm:[1,0,3,2] row_mask:0xf bank_mask:0xf
	v_add_f32_e32 v10, v10, v11
	s_nop 1
	v_mov_b32_dpp v11, v10 quad_perm:[2,3,0,1] row_mask:0xf bank_mask:0xf
	v_add_f32_e32 v10, v10, v11
	s_nop 1
	v_mov_b32_dpp v11, v10 row_half_mirror row_mask:0xf bank_mask:0xf
	v_add_f32_e32 v10, v10, v11
	s_nop 1
	v_mov_b32_dpp v11, v10 row_mirror row_mask:0xf bank_mask:0xf
	v_add_f32_e32 v10, v10, v11
	s_nop 1
	v_mov_b32_dpp v11, v10 row_bcast:15 row_mask:0xf bank_mask:0xf
	v_add_f32_e32 v10, v10, v11
	s_nop 1
	v_mov_b32_dpp v11, v10 row_bcast:31 row_mask:0xf bank_mask:0xf
	s_and_saveexec_b64 s[2:3], s[0:1]
	s_cbranch_execz .LBB737_30
; %bb.29:
	v_lshrrev_b32_e32 v0, 4, v0
	v_add_f32_e32 v10, v10, v11
	v_and_b32_e32 v0, 60, v0
	ds_write_b32 v0, v10
.LBB737_30:
	s_or_b64 exec, exec, s[2:3]
	s_waitcnt lgkmcnt(0)
	s_barrier
	ds_read_b32 v0, v34
	s_waitcnt lgkmcnt(0)
	s_nop 0
	v_mov_b32_dpp v10, v0 quad_perm:[1,0,3,2] row_mask:0xf bank_mask:0xf
	s_and_saveexec_b64 s[0:1], vcc
	s_cbranch_execz .LBB737_12
; %bb.31:
	v_cvt_f32_u32_e32 v11, s20
	v_add_f32_e32 v0, v0, v10
	s_mov_b32 s15, 0x20000
	v_div_scale_f32 v10, s[0:1], v11, v11, v0
	v_rcp_f32_e32 v12, v10
	v_div_scale_f32 v13, vcc, v0, v11, v0
	s_mov_b32 s0, 0x800000
	v_fma_f32 v14, -v10, v12, 1.0
	v_fmac_f32_e32 v12, v14, v12
	v_mul_f32_e32 v14, v13, v12
	v_fma_f32 v15, -v10, v14, v13
	v_fmac_f32_e32 v14, v15, v12
	v_fma_f32 v10, -v10, v14, v13
	v_div_fmas_f32 v10, v10, v12, v14
	v_div_fixup_f32 v0, v10, v11, v0
	v_add_f32_e32 v0, s17, v0
	v_mul_f32_e32 v10, 0x4b800000, v0
	v_cmp_gt_f32_e32 vcc, s0, v0
	v_cndmask_b32_e32 v0, v0, v10, vcc
	v_rsq_f32_e32 v0, v0
	s_mul_hi_i32 s1, s7, s6
	s_mul_i32 s0, s7, s6
	s_lshl_b64 s[0:1], s[0:1], 1
	v_mul_f32_e32 v10, 0x45800000, v0
	v_cndmask_b32_e32 v10, v0, v10, vcc
	v_mov_b32_e32 v11, v10
	;;#ASMSTART
	v_pk_mul_f32 v[12:13], v[18:19], v[10:11]
	;;#ASMEND
	;;#ASMSTART
	v_pk_mul_f32 v[14:15], v[32:33], v[10:11]
	;;#ASMEND
	;; [unrolled: 3-line block ×4, first 2 shown]
	s_waitcnt vmcnt(1)
	v_cvt_f32_f16_sdwa v29, v6 dst_sel:DWORD dst_unused:UNUSED_PAD src0_sel:WORD_1
	v_cvt_f32_f16_e32 v28, v6
	v_cvt_f32_f16_sdwa v31, v7 dst_sel:DWORD dst_unused:UNUSED_PAD src0_sel:WORD_1
	v_cvt_f32_f16_e32 v30, v7
	;;#ASMSTART
	v_pk_mul_f32 v[26:27], v[26:27], v[10:11]
	;;#ASMEND
	;;#ASMSTART
	v_pk_mul_f32 v[24:25], v[24:25], v[10:11]
	;;#ASMEND
	;; [unrolled: 3-line block ×4, first 2 shown]
	v_cvt_f32_f16_sdwa v21, v8 dst_sel:DWORD dst_unused:UNUSED_PAD src0_sel:WORD_1
	v_cvt_f32_f16_e32 v20, v8
	v_pk_add_f32 v[10:11], v[28:29], 1.0 op_sel_hi:[1,0]
	;;#ASMSTART
	v_pk_mul_f32 v[10:11], v[12:13], v[10:11]
	;;#ASMEND
	v_pk_add_f32 v[12:13], v[30:31], 1.0 op_sel_hi:[1,0]
	v_cvt_f32_f16_sdwa v29, v9 dst_sel:DWORD dst_unused:UNUSED_PAD src0_sel:WORD_1
	v_cvt_f32_f16_e32 v28, v9
	;;#ASMSTART
	v_pk_mul_f32 v[8:9], v[14:15], v[12:13]
	;;#ASMEND
	v_pk_add_f32 v[12:13], v[20:21], 1.0 op_sel_hi:[1,0]
	;;#ASMSTART
	v_pk_mul_f32 v[12:13], v[16:17], v[12:13]
	;;#ASMEND
	s_waitcnt vmcnt(0)
	v_cvt_f32_f16_sdwa v17, v2 dst_sel:DWORD dst_unused:UNUSED_PAD src0_sel:WORD_1
	v_cvt_f32_f16_e32 v16, v2
	v_cvt_f32_f16_sdwa v21, v3 dst_sel:DWORD dst_unused:UNUSED_PAD src0_sel:WORD_1
	v_cvt_f32_f16_e32 v20, v3
	v_pk_add_f32 v[14:15], v[28:29], 1.0 op_sel_hi:[1,0]
	;;#ASMSTART
	v_pk_mul_f32 v[2:3], v[18:19], v[14:15]
	;;#ASMEND
	v_cvt_f32_f16_sdwa v19, v4 dst_sel:DWORD dst_unused:UNUSED_PAD src0_sel:WORD_1
	v_cvt_f32_f16_e32 v18, v4
	v_pk_add_f32 v[14:15], v[16:17], 1.0 op_sel_hi:[1,0]
	v_pk_add_f32 v[16:17], v[20:21], 1.0 op_sel_hi:[1,0]
	v_cvt_f32_f16_sdwa v21, v5 dst_sel:DWORD dst_unused:UNUSED_PAD src0_sel:WORD_1
	v_cvt_f32_f16_e32 v20, v5
	v_pk_add_f32 v[4:5], v[18:19], 1.0 op_sel_hi:[1,0]
	;;#ASMSTART
	v_pk_mul_f32 v[14:15], v[26:27], v[14:15]
	;;#ASMEND
	;;#ASMSTART
	v_pk_mul_f32 v[16:17], v[24:25], v[16:17]
	;;#ASMEND
	;; [unrolled: 3-line block ×3, first 2 shown]
	v_pk_add_f32 v[4:5], v[20:21], 1.0 op_sel_hi:[1,0]
	;;#ASMSTART
	v_pk_mul_f32 v[6:7], v[6:7], v[4:5]
	;;#ASMEND
	v_cvt_f16_f32_e32 v0, v10
	v_cvt_f16_f32_e32 v4, v11
	;; [unrolled: 1-line block ×8, first 2 shown]
	s_add_u32 s12, s28, s0
	s_addc_u32 s0, s29, s1
	s_and_b32 s13, s0, 0xffff
	v_pack_b32_f16 v2, v0, v4
	v_pack_b32_f16 v3, v5, v8
	v_pack_b32_f16 v4, v9, v10
	v_pack_b32_f16 v5, v11, v12
	buffer_store_dwordx4 v[2:5], v1, s[12:15], 0 offen
	v_cvt_f16_f32_e32 v0, v14
	v_cvt_f16_f32_e32 v2, v15
	;; [unrolled: 1-line block ×8, first 2 shown]
	v_pack_b32_f16 v2, v0, v2
	v_pack_b32_f16 v3, v3, v4
	;; [unrolled: 1-line block ×4, first 2 shown]
	;;#ASMSTART
	s_nop 0
	;;#ASMEND
	buffer_store_dwordx4 v[2:5], v1, s[12:15], 16 offen
	;;#ASMSTART
	s_nop 0
	;;#ASMEND
	s_endpgm
	.section	.rodata,"a",@progbits
	.p2align	6, 0x0
	.amdhsa_kernel _ZN5aiter35fused_qk_rmsnorm_group_quant_kernelIDF16_DB8_Li128ELi16ELi2ELb0ELb0ELb1ELb0ELb0ELb0EEEvPT0_PvPT_S6_S6_PKS5_S8_S8_S8_S8_ffiiiiiiiiiiiii
		.amdhsa_group_segment_fixed_size 16
		.amdhsa_private_segment_fixed_size 0
		.amdhsa_kernarg_size 400
		.amdhsa_user_sgpr_count 6
		.amdhsa_user_sgpr_private_segment_buffer 1
		.amdhsa_user_sgpr_dispatch_ptr 0
		.amdhsa_user_sgpr_queue_ptr 0
		.amdhsa_user_sgpr_kernarg_segment_ptr 1
		.amdhsa_user_sgpr_dispatch_id 0
		.amdhsa_user_sgpr_flat_scratch_init 0
		.amdhsa_user_sgpr_kernarg_preload_length 0
		.amdhsa_user_sgpr_kernarg_preload_offset 0
		.amdhsa_user_sgpr_private_segment_size 0
		.amdhsa_uses_dynamic_stack 0
		.amdhsa_system_sgpr_private_segment_wavefront_offset 0
		.amdhsa_system_sgpr_workgroup_id_x 1
		.amdhsa_system_sgpr_workgroup_id_y 1
		.amdhsa_system_sgpr_workgroup_id_z 0
		.amdhsa_system_sgpr_workgroup_info 0
		.amdhsa_system_vgpr_workitem_id 0
		.amdhsa_next_free_vgpr 36
		.amdhsa_next_free_sgpr 32
		.amdhsa_accum_offset 36
		.amdhsa_reserve_vcc 1
		.amdhsa_reserve_flat_scratch 0
		.amdhsa_float_round_mode_32 0
		.amdhsa_float_round_mode_16_64 0
		.amdhsa_float_denorm_mode_32 3
		.amdhsa_float_denorm_mode_16_64 3
		.amdhsa_dx10_clamp 1
		.amdhsa_ieee_mode 1
		.amdhsa_fp16_overflow 0
		.amdhsa_tg_split 0
		.amdhsa_exception_fp_ieee_invalid_op 0
		.amdhsa_exception_fp_denorm_src 0
		.amdhsa_exception_fp_ieee_div_zero 0
		.amdhsa_exception_fp_ieee_overflow 0
		.amdhsa_exception_fp_ieee_underflow 0
		.amdhsa_exception_fp_ieee_inexact 0
		.amdhsa_exception_int_div_zero 0
	.end_amdhsa_kernel
	.section	.text._ZN5aiter35fused_qk_rmsnorm_group_quant_kernelIDF16_DB8_Li128ELi16ELi2ELb0ELb0ELb1ELb0ELb0ELb0EEEvPT0_PvPT_S6_S6_PKS5_S8_S8_S8_S8_ffiiiiiiiiiiiii,"axG",@progbits,_ZN5aiter35fused_qk_rmsnorm_group_quant_kernelIDF16_DB8_Li128ELi16ELi2ELb0ELb0ELb1ELb0ELb0ELb0EEEvPT0_PvPT_S6_S6_PKS5_S8_S8_S8_S8_ffiiiiiiiiiiiii,comdat
.Lfunc_end737:
	.size	_ZN5aiter35fused_qk_rmsnorm_group_quant_kernelIDF16_DB8_Li128ELi16ELi2ELb0ELb0ELb1ELb0ELb0ELb0EEEvPT0_PvPT_S6_S6_PKS5_S8_S8_S8_S8_ffiiiiiiiiiiiii, .Lfunc_end737-_ZN5aiter35fused_qk_rmsnorm_group_quant_kernelIDF16_DB8_Li128ELi16ELi2ELb0ELb0ELb1ELb0ELb0ELb0EEEvPT0_PvPT_S6_S6_PKS5_S8_S8_S8_S8_ffiiiiiiiiiiiii
                                        ; -- End function
	.section	.AMDGPU.csdata,"",@progbits
; Kernel info:
; codeLenInByte = 3504
; NumSgprs: 36
; NumVgprs: 36
; NumAgprs: 0
; TotalNumVgprs: 36
; ScratchSize: 0
; MemoryBound: 0
; FloatMode: 240
; IeeeMode: 1
; LDSByteSize: 16 bytes/workgroup (compile time only)
; SGPRBlocks: 4
; VGPRBlocks: 4
; NumSGPRsForWavesPerEU: 36
; NumVGPRsForWavesPerEU: 36
; AccumOffset: 36
; Occupancy: 8
; WaveLimiterHint : 0
; COMPUTE_PGM_RSRC2:SCRATCH_EN: 0
; COMPUTE_PGM_RSRC2:USER_SGPR: 6
; COMPUTE_PGM_RSRC2:TRAP_HANDLER: 0
; COMPUTE_PGM_RSRC2:TGID_X_EN: 1
; COMPUTE_PGM_RSRC2:TGID_Y_EN: 1
; COMPUTE_PGM_RSRC2:TGID_Z_EN: 0
; COMPUTE_PGM_RSRC2:TIDIG_COMP_CNT: 0
; COMPUTE_PGM_RSRC3_GFX90A:ACCUM_OFFSET: 8
; COMPUTE_PGM_RSRC3_GFX90A:TG_SPLIT: 0
	.section	.text._ZN5aiter35fused_qk_rmsnorm_group_quant_kernelItDB8_Li128ELi16ELi2ELb0ELb0ELb1ELb0ELb0ELb0EEEvPT0_PvPT_S6_S6_PKS5_S8_S8_S8_S8_ffiiiiiiiiiiiii,"axG",@progbits,_ZN5aiter35fused_qk_rmsnorm_group_quant_kernelItDB8_Li128ELi16ELi2ELb0ELb0ELb1ELb0ELb0ELb0EEEvPT0_PvPT_S6_S6_PKS5_S8_S8_S8_S8_ffiiiiiiiiiiiii,comdat
	.protected	_ZN5aiter35fused_qk_rmsnorm_group_quant_kernelItDB8_Li128ELi16ELi2ELb0ELb0ELb1ELb0ELb0ELb0EEEvPT0_PvPT_S6_S6_PKS5_S8_S8_S8_S8_ffiiiiiiiiiiiii ; -- Begin function _ZN5aiter35fused_qk_rmsnorm_group_quant_kernelItDB8_Li128ELi16ELi2ELb0ELb0ELb1ELb0ELb0ELb0EEEvPT0_PvPT_S6_S6_PKS5_S8_S8_S8_S8_ffiiiiiiiiiiiii
	.globl	_ZN5aiter35fused_qk_rmsnorm_group_quant_kernelItDB8_Li128ELi16ELi2ELb0ELb0ELb1ELb0ELb0ELb0EEEvPT0_PvPT_S6_S6_PKS5_S8_S8_S8_S8_ffiiiiiiiiiiiii
	.p2align	8
	.type	_ZN5aiter35fused_qk_rmsnorm_group_quant_kernelItDB8_Li128ELi16ELi2ELb0ELb0ELb1ELb0ELb0ELb0EEEvPT0_PvPT_S6_S6_PKS5_S8_S8_S8_S8_ffiiiiiiiiiiiii,@function
_ZN5aiter35fused_qk_rmsnorm_group_quant_kernelItDB8_Li128ELi16ELi2ELb0ELb0ELb1ELb0ELb0ELb0EEEvPT0_PvPT_S6_S6_PKS5_S8_S8_S8_S8_ffiiiiiiiiiiiii: ; @_ZN5aiter35fused_qk_rmsnorm_group_quant_kernelItDB8_Li128ELi16ELi2ELb0ELb0ELb1ELb0ELb0ELb0EEEvPT0_PvPT_S6_S6_PKS5_S8_S8_S8_S8_ffiiiiiiiiiiiii
; %bb.0:
	s_load_dwordx4 s[16:19], s[4:5], 0x50
	s_waitcnt lgkmcnt(0)
	s_cmp_ge_i32 s6, s18
	s_cbranch_scc1 .LBB738_12
; %bb.1:
	s_load_dwordx2 s[12:13], s[4:5], 0x48
	s_load_dwordx2 s[30:31], s[4:5], 0x30
	s_load_dwordx4 s[20:23], s[4:5], 0x60
	s_cmp_lg_u32 s7, 0
	s_cselect_b64 s[14:15], -1, 0
	s_cmp_eq_u32 s7, 0
	s_cselect_b64 vcc, -1, 0
	s_and_b64 s[0:1], vcc, exec
	s_waitcnt lgkmcnt(0)
	s_cselect_b32 s7, s19, s20
	s_add_i32 s0, s7, 1
	s_lshr_b32 s1, s0, 31
	s_add_i32 s0, s0, s1
	s_lshl_b32 s0, s0, 1
	v_lshlrev_b32_e32 v1, 4, v0
	s_and_b32 s10, s0, -4
	v_cmp_gt_i32_e64 s[2:3], s7, v1
	v_mov_b32_e32 v18, 0
	v_mov_b32_e32 v6, 0
	;; [unrolled: 1-line block ×17, first 2 shown]
	s_and_saveexec_b64 s[0:1], s[2:3]
	s_cbranch_execz .LBB738_3
; %bb.2:
	s_load_dwordx2 s[8:9], s[4:5], 0x28
	s_load_dwordx2 s[26:27], s[4:5], 0x40
	s_and_b64 s[24:25], vcc, exec
	s_cselect_b32 s11, s21, s22
	v_lshlrev_b32_e32 v19, 5, v0
	s_waitcnt lgkmcnt(0)
	s_cselect_b32 s18, s9, s31
	s_cselect_b32 s21, s8, s30
	s_mul_hi_i32 s9, s11, s6
	s_mul_i32 s8, s11, s6
	s_lshl_b64 s[8:9], s[8:9], 1
	s_add_u32 s24, s21, s8
	s_addc_u32 s18, s18, s9
	s_and_b64 s[8:9], vcc, exec
	s_mov_b32 s11, 0x20000
	s_cselect_b32 s8, s26, s12
	s_cselect_b32 s9, s27, s13
	s_and_b32 s25, s18, 0xffff
	s_mov_b32 s26, s10
	s_mov_b32 s27, s11
	s_and_b32 s9, s9, 0xffff
	buffer_load_dwordx4 v[14:17], v19, s[24:27], 0 offen
	buffer_load_dwordx4 v[10:13], v19, s[24:27], 16 offen
	;; [unrolled: 1-line block ×4, first 2 shown]
.LBB738_3:
	s_or_b64 exec, exec, s[0:1]
	v_mov_b32_e32 v19, 0
	v_mov_b32_e32 v32, 0
	v_mov_b32_e32 v33, 0
	v_mov_b32_e32 v26, 0
	v_mov_b32_e32 v27, 0
	v_mov_b32_e32 v30, 0
	v_mov_b32_e32 v31, 0
	v_mov_b32_e32 v24, 0
	v_mov_b32_e32 v25, 0
	v_mov_b32_e32 v28, 0
	v_mov_b32_e32 v29, 0
	v_mov_b32_e32 v22, 0
	v_mov_b32_e32 v23, 0
	v_mov_b32_e32 v20, 0
	v_mov_b32_e32 v21, 0
	s_and_saveexec_b64 s[0:1], s[2:3]
	s_cbranch_execz .LBB738_5
; %bb.4:
	s_waitcnt vmcnt(3)
	v_cvt_f32_u32_sdwa v18, v14 dst_sel:DWORD dst_unused:UNUSED_PAD src0_sel:WORD_0
	v_cvt_f32_u32_sdwa v19, v14 dst_sel:DWORD dst_unused:UNUSED_PAD src0_sel:WORD_1
	v_cvt_f32_u32_sdwa v32, v15 dst_sel:DWORD dst_unused:UNUSED_PAD src0_sel:WORD_0
	v_cvt_f32_u32_sdwa v33, v15 dst_sel:DWORD dst_unused:UNUSED_PAD src0_sel:WORD_1
	;; [unrolled: 2-line block ×4, first 2 shown]
	s_waitcnt vmcnt(2)
	v_cvt_f32_u32_sdwa v24, v10 dst_sel:DWORD dst_unused:UNUSED_PAD src0_sel:WORD_0
	v_cvt_f32_u32_sdwa v25, v10 dst_sel:DWORD dst_unused:UNUSED_PAD src0_sel:WORD_1
	v_cvt_f32_u32_sdwa v28, v11 dst_sel:DWORD dst_unused:UNUSED_PAD src0_sel:WORD_0
	v_cvt_f32_u32_sdwa v29, v11 dst_sel:DWORD dst_unused:UNUSED_PAD src0_sel:WORD_1
	;; [unrolled: 2-line block ×4, first 2 shown]
.LBB738_5:
	s_or_b64 exec, exec, s[0:1]
	s_waitcnt vmcnt(2)
	v_mul_f32_e32 v10, v19, v19
	v_fmac_f32_e32 v10, v18, v18
	v_fmac_f32_e32 v10, v32, v32
	;; [unrolled: 1-line block ×15, first 2 shown]
	v_and_b32_e32 v12, 63, v0
	v_cmp_eq_u32_e64 s[0:1], 63, v12
	v_mov_b32_dpp v11, v10 quad_perm:[1,0,3,2] row_mask:0xf bank_mask:0xf
	v_add_f32_e32 v10, v10, v11
	s_nop 1
	v_mov_b32_dpp v11, v10 quad_perm:[2,3,0,1] row_mask:0xf bank_mask:0xf
	v_add_f32_e32 v10, v10, v11
	s_nop 1
	v_mov_b32_dpp v11, v10 row_half_mirror row_mask:0xf bank_mask:0xf
	v_add_f32_e32 v10, v10, v11
	s_nop 1
	v_mov_b32_dpp v11, v10 row_mirror row_mask:0xf bank_mask:0xf
	v_add_f32_e32 v10, v10, v11
	s_nop 1
	v_mov_b32_dpp v11, v10 row_bcast:15 row_mask:0xf bank_mask:0xf
	v_add_f32_e32 v10, v10, v11
	s_nop 1
	v_mov_b32_dpp v11, v10 row_bcast:31 row_mask:0xf bank_mask:0xf
	s_and_saveexec_b64 s[8:9], s[0:1]
	s_cbranch_execz .LBB738_7
; %bb.6:
	v_add_f32_e32 v10, v10, v11
	v_lshrrev_b32_e32 v11, 4, v0
	v_and_b32_e32 v11, 60, v11
	ds_write_b32 v11, v10 offset:8
.LBB738_7:
	s_or_b64 exec, exec, s[8:9]
	v_and_b32_e32 v10, 1, v0
	v_lshlrev_b32_e32 v34, 2, v10
	s_waitcnt lgkmcnt(0)
	s_barrier
	ds_read_b32 v11, v34 offset:8
	s_load_dwordx2 s[28:29], s[4:5], 0x18
	s_waitcnt lgkmcnt(0)
	v_mov_b32_dpp v12, v11 quad_perm:[1,0,3,2] row_mask:0xf bank_mask:0xf
	s_and_saveexec_b64 s[8:9], s[2:3]
	s_cbranch_execz .LBB738_9
; %bb.8:
	v_cvt_f32_u32_e32 v13, s7
	v_add_f32_e32 v11, v11, v12
	v_mov_b32_e32 v15, s17
	v_mov_b32_e32 v16, s16
	v_div_scale_f32 v12, s[24:25], v13, v13, v11
	v_rcp_f32_e32 v14, v12
	v_cndmask_b32_e32 v15, v15, v16, vcc
	s_mov_b32 s7, 0x800000
	v_fma_f32 v16, -v12, v14, 1.0
	v_fmac_f32_e32 v14, v16, v14
	v_div_scale_f32 v16, vcc, v11, v13, v11
	v_mul_f32_e32 v17, v16, v14
	v_fma_f32 v35, -v12, v17, v16
	v_fmac_f32_e32 v17, v35, v14
	v_fma_f32 v12, -v12, v17, v16
	v_div_fmas_f32 v12, v12, v14, v17
	v_div_fixup_f32 v11, v12, v13, v11
	v_add_f32_e32 v11, v15, v11
	v_mul_f32_e32 v12, 0x4b800000, v11
	v_cmp_gt_f32_e32 vcc, s7, v11
	v_cndmask_b32_e32 v11, v11, v12, vcc
	v_rsq_f32_e32 v11, v11
	v_mul_f32_e32 v12, 0x45800000, v11
	v_cndmask_b32_e32 v12, v11, v12, vcc
	v_mov_b32_e32 v13, v12
	;;#ASMSTART
	v_pk_mul_f32 v[14:15], v[18:19], v[12:13]
	;;#ASMEND
	s_waitcnt vmcnt(1)
	v_cvt_f32_u32_sdwa v19, v6 dst_sel:DWORD dst_unused:UNUSED_PAD src0_sel:WORD_1
	v_cvt_f32_u32_sdwa v18, v6 dst_sel:DWORD dst_unused:UNUSED_PAD src0_sel:WORD_0
	;;#ASMSTART
	v_pk_mul_f32 v[16:17], v[32:33], v[12:13]
	;;#ASMEND
	v_cvt_f32_u32_sdwa v33, v7 dst_sel:DWORD dst_unused:UNUSED_PAD src0_sel:WORD_1
	v_cvt_f32_u32_sdwa v32, v7 dst_sel:DWORD dst_unused:UNUSED_PAD src0_sel:WORD_0
	;;#ASMSTART
	v_pk_mul_f32 v[26:27], v[26:27], v[12:13]
	;;#ASMEND
	;;#ASMSTART
	v_pk_mul_f32 v[30:31], v[30:31], v[12:13]
	;;#ASMEND
	;; [unrolled: 3-line block ×6, first 2 shown]
	v_pk_add_f32 v[12:13], v[18:19], 1.0 op_sel_hi:[1,0]
	;;#ASMSTART
	v_pk_mul_f32 v[18:19], v[14:15], v[12:13]
	;;#ASMEND
	v_cvt_f32_u32_sdwa v15, v8 dst_sel:DWORD dst_unused:UNUSED_PAD src0_sel:WORD_1
	v_cvt_f32_u32_sdwa v14, v8 dst_sel:DWORD dst_unused:UNUSED_PAD src0_sel:WORD_0
	v_cvt_f32_u32_sdwa v21, v9 dst_sel:DWORD dst_unused:UNUSED_PAD src0_sel:WORD_1
	v_cvt_f32_u32_sdwa v20, v9 dst_sel:DWORD dst_unused:UNUSED_PAD src0_sel:WORD_0
	v_pk_add_f32 v[12:13], v[32:33], 1.0 op_sel_hi:[1,0]
	;;#ASMSTART
	v_pk_mul_f32 v[32:33], v[16:17], v[12:13]
	;;#ASMEND
	s_waitcnt vmcnt(0)
	v_cvt_f32_u32_sdwa v13, v2 dst_sel:DWORD dst_unused:UNUSED_PAD src0_sel:WORD_1
	v_cvt_f32_u32_sdwa v12, v2 dst_sel:DWORD dst_unused:UNUSED_PAD src0_sel:WORD_0
	v_pk_add_f32 v[8:9], v[14:15], 1.0 op_sel_hi:[1,0]
	;;#ASMSTART
	v_pk_mul_f32 v[26:27], v[26:27], v[8:9]
	;;#ASMEND
	v_pk_add_f32 v[8:9], v[20:21], 1.0 op_sel_hi:[1,0]
	v_cvt_f32_u32_sdwa v15, v3 dst_sel:DWORD dst_unused:UNUSED_PAD src0_sel:WORD_1
	v_cvt_f32_u32_sdwa v14, v3 dst_sel:DWORD dst_unused:UNUSED_PAD src0_sel:WORD_0
	;;#ASMSTART
	v_pk_mul_f32 v[30:31], v[30:31], v[8:9]
	;;#ASMEND
	v_cvt_f32_u32_sdwa v9, v4 dst_sel:DWORD dst_unused:UNUSED_PAD src0_sel:WORD_1
	v_cvt_f32_u32_sdwa v8, v4 dst_sel:DWORD dst_unused:UNUSED_PAD src0_sel:WORD_0
	v_pk_add_f32 v[2:3], v[12:13], 1.0 op_sel_hi:[1,0]
	v_cvt_f32_u32_sdwa v13, v5 dst_sel:DWORD dst_unused:UNUSED_PAD src0_sel:WORD_1
	v_cvt_f32_u32_sdwa v12, v5 dst_sel:DWORD dst_unused:UNUSED_PAD src0_sel:WORD_0
	;;#ASMSTART
	v_pk_mul_f32 v[24:25], v[24:25], v[2:3]
	;;#ASMEND
	v_pk_add_f32 v[2:3], v[14:15], 1.0 op_sel_hi:[1,0]
	;;#ASMSTART
	v_pk_mul_f32 v[28:29], v[28:29], v[2:3]
	;;#ASMEND
	v_pk_add_f32 v[2:3], v[8:9], 1.0 op_sel_hi:[1,0]
	;; [unrolled: 4-line block ×3, first 2 shown]
	;;#ASMSTART
	v_pk_mul_f32 v[20:21], v[6:7], v[2:3]
	;;#ASMEND
.LBB738_9:
	s_or_b64 exec, exec, s[8:9]
	s_load_dword s7, s[4:5], 0x80
	s_mov_b64 s[8:9], -1
	s_and_b64 vcc, exec, s[14:15]
	s_cbranch_vccnz .LBB738_13
; %bb.10:
	s_andn2_b64 vcc, exec, s[8:9]
	s_cbranch_vccz .LBB738_16
.LBB738_11:
	s_cmp_lt_i32 s20, 1
	s_cbranch_scc0 .LBB738_23
.LBB738_12:
	s_endpgm
.LBB738_13:
	s_and_saveexec_b64 s[14:15], s[2:3]
	s_cbranch_execz .LBB738_15
; %bb.14:
	s_waitcnt lgkmcnt(0)
	s_mul_hi_i32 s9, s7, s6
	s_mul_i32 s8, s7, s6
	s_lshl_b64 s[8:9], s[8:9], 1
	s_add_u32 s8, s28, s8
	s_addc_u32 s9, s29, s9
	s_mov_b32 s16, 0x7060302
	s_and_b32 s9, s9, 0xffff
	s_mov_b32 s11, 0x20000
	s_waitcnt vmcnt(0)
	v_perm_b32 v5, v31, v30, s16
	v_perm_b32 v4, v27, v26, s16
	;; [unrolled: 1-line block ×4, first 2 shown]
	v_lshlrev_b32_e32 v6, 5, v0
	buffer_store_dwordx4 v[2:5], v6, s[8:11], 0 offen
	;;#ASMSTART
	s_nop 0
	;;#ASMEND
	s_nop 0
	v_perm_b32 v5, v21, v20, s16
	v_perm_b32 v4, v23, v22, s16
	;; [unrolled: 1-line block ×4, first 2 shown]
	buffer_store_dwordx4 v[2:5], v6, s[8:11], 16 offen
	;;#ASMSTART
	s_nop 0
	;;#ASMEND
.LBB738_15:
	s_or_b64 exec, exec, s[14:15]
	s_cbranch_execnz .LBB738_11
.LBB738_16:
	s_waitcnt vmcnt(0)
	v_mov_b32_e32 v2, 0
	s_and_saveexec_b64 s[8:9], s[2:3]
	s_cbranch_execz .LBB738_18
; %bb.17:
	v_and_b32_e32 v2, 0x7fffffff, v18
	v_and_b32_e32 v3, 0x7fffffff, v19
	v_mov_b32_e32 v4, 0x2edbe6ff
	;;#ASMSTART
	v_max3_f32 v2, v4, v2, v3

	;;#ASMEND
	v_and_b32_e32 v3, 0x7fffffff, v32
	v_and_b32_e32 v4, 0x7fffffff, v33
	;;#ASMSTART
	v_max3_f32 v2, v2, v3, v4

	;;#ASMEND
	v_and_b32_e32 v3, 0x7fffffff, v26
	v_and_b32_e32 v4, 0x7fffffff, v27
	;; [unrolled: 6-line block ×7, first 2 shown]
	;;#ASMSTART
	v_max3_f32 v2, v2, v3, v4

	;;#ASMEND
.LBB738_18:
	s_or_b64 exec, exec, s[8:9]
	s_load_dwordx4 s[24:27], s[4:5], 0x70
	v_cmp_eq_u32_e32 vcc, 0, v10
	v_cmp_gt_i32_e64 s[8:9], s19, v1
	;;#ASMSTART
	v_max_f32 v3, v2, v2 quad_perm:[1,0,3,2] row_mask:0xf bank_mask:0xf bound_ctrl:1
	;;#ASMEND
	v_mul_f32_e32 v2, 0x3b124925, v3
	s_and_b64 s[10:11], vcc, s[8:9]
	s_and_saveexec_b64 s[8:9], s[10:11]
	s_cbranch_execz .LBB738_20
; %bb.19:
	s_load_dwordx2 s[10:11], s[4:5], 0x8
	s_waitcnt lgkmcnt(0)
	s_mul_hi_i32 s15, s25, s6
	s_mul_i32 s14, s25, s6
	v_lshrrev_b32_e32 v3, 1, v0
	s_lshl_b64 s[14:15], s[14:15], 2
	v_mad_i64_i32 v[4:5], s[26:27], s26, v3, 0
	s_add_u32 s10, s10, s14
	s_addc_u32 s11, s11, s15
	v_lshlrev_b64 v[4:5], 2, v[4:5]
	v_mov_b32_e32 v3, s11
	v_add_co_u32_e32 v4, vcc, s10, v4
	v_addc_co_u32_e32 v5, vcc, v3, v5, vcc
	global_store_dword v[4:5], v2, off
.LBB738_20:
	s_or_b64 exec, exec, s[8:9]
	;;#ASMSTART
	v_rcp_f32 v2, v2
	;;#ASMEND
	s_and_saveexec_b64 s[14:15], s[2:3]
	s_cbranch_execz .LBB738_22
; %bb.21:
	s_load_dwordx2 s[2:3], s[4:5], 0x0
	s_waitcnt lgkmcnt(0)
	s_mul_i32 s8, s24, s6
	s_mul_hi_i32 s9, s24, s6
	v_mov_b32_e32 v3, v2
	;;#ASMSTART
	v_pk_mul_f32 v[4:5], v[18:19], v[2:3]
	;;#ASMEND
	s_add_u32 s8, s2, s8
	s_addc_u32 s2, s3, s9
	s_add_i32 s3, s19, 3
	s_ashr_i32 s10, s3, 31
	v_mov_b32_e32 v10, 0xc3e00000
	v_mov_b32_e32 v11, 0x43e00000
	;;#ASMSTART
	v_med3_f32 v4, v4, v10, v11
v_med3_f32 v5, v5, v10, v11
v_cvt_pk_fp8_f32 v6, v4, v5
	;;#ASMEND
	s_and_b32 s9, s2, 0xffff
	s_lshr_b32 s2, s10, 30
	;;#ASMSTART
	v_pk_mul_f32 v[4:5], v[32:33], v[2:3]
	;;#ASMEND
	s_add_i32 s3, s3, s2
	;;#ASMSTART
	v_med3_f32 v4, v4, v10, v11
v_med3_f32 v5, v5, v10, v11
v_cvt_pk_fp8_f32 v7, v4, v5
	;;#ASMEND
	s_mov_b32 s2, 0x5040100
	v_perm_b32 v4, v7, v6, s2
	s_mov_b32 s2, 0x1060504
	v_perm_b32 v4, v4, v7, s2
	;;#ASMSTART
	v_pk_mul_f32 v[6:7], v[26:27], v[2:3]
	;;#ASMEND
	v_mov_b32_e32 v5, v7
	;;#ASMSTART
	v_med3_f32 v6, v6, v10, v11
v_med3_f32 v5, v5, v10, v11
v_cvt_pk_fp8_f32 v8, v6, v5
	;;#ASMEND
	;;#ASMSTART
	v_pk_mul_f32 v[6:7], v[30:31], v[2:3]
	;;#ASMEND
	v_mov_b32_e32 v5, v7
	;;#ASMSTART
	v_med3_f32 v6, v6, v10, v11
v_med3_f32 v5, v5, v10, v11
v_cvt_pk_fp8_f32 v7, v6, v5
	;;#ASMEND
	s_mov_b32 s2, 0x1000504
	v_perm_b32 v5, v8, v7, s2
	;;#ASMSTART
	v_pk_mul_f32 v[6:7], v[24:25], v[2:3]
	;;#ASMEND
	;;#ASMSTART
	v_med3_f32 v6, v6, v10, v11
v_med3_f32 v7, v7, v10, v11
v_cvt_pk_fp8_f32 v8, v6, v7
	;;#ASMEND
	;;#ASMSTART
	v_pk_mul_f32 v[6:7], v[28:29], v[2:3]
	;;#ASMEND
	;;#ASMSTART
	v_med3_f32 v6, v6, v10, v11
v_med3_f32 v7, v7, v10, v11
v_cvt_pk_fp8_f32 v9, v6, v7
	;;#ASMEND
	v_perm_b32 v6, v8, v9, s2
	;;#ASMSTART
	v_pk_mul_f32 v[8:9], v[22:23], v[2:3]
	;;#ASMEND
	v_mov_b32_e32 v7, v9
	;;#ASMSTART
	v_med3_f32 v8, v8, v10, v11
v_med3_f32 v7, v7, v10, v11
v_cvt_pk_fp8_f32 v9, v8, v7
	;;#ASMEND
	;;#ASMSTART
	v_pk_mul_f32 v[2:3], v[20:21], v[2:3]
	;;#ASMEND
	;;#ASMSTART
	v_med3_f32 v2, v2, v10, v11
v_med3_f32 v3, v3, v10, v11
v_cvt_pk_fp8_f32 v7, v2, v3
	;;#ASMEND
	s_and_b32 s10, s3, -4
	s_mov_b32 s11, 0x20000
	v_perm_b32 v7, v9, v7, s2
	buffer_store_dwordx4 v[4:7], v1, s[8:11], 0 offen
	;;#ASMSTART
	s_nop 0
	;;#ASMEND
.LBB738_22:
	s_or_b64 exec, exec, s[14:15]
	s_cmp_lt_i32 s20, 1
	s_cbranch_scc1 .LBB738_12
.LBB738_23:
	s_load_dword s2, s[4:5], 0x94
	s_waitcnt lgkmcnt(0)
	s_cmp_lg_u32 s2, 1
	s_cbranch_scc1 .LBB738_12
; %bb.24:
	s_lshl_b32 s2, s20, 1
	s_add_i32 s2, s2, 2
	v_cmp_gt_u32_e32 vcc, s20, v1
	s_and_b32 s14, s2, -4
	v_mov_b32_e32 v18, 0
	v_lshlrev_b32_e32 v1, 5, v0
	v_mov_b32_e32 v14, 0
	v_mov_b32_e32 v15, 0
	;; [unrolled: 1-line block ×8, first 2 shown]
	s_waitcnt vmcnt(1)
	v_mov_b32_e32 v6, 0
	v_mov_b32_e32 v7, 0
	;; [unrolled: 1-line block ×4, first 2 shown]
	s_waitcnt vmcnt(0)
	v_mov_b32_e32 v2, 0
	v_mov_b32_e32 v3, 0
	;; [unrolled: 1-line block ×4, first 2 shown]
	s_barrier
	s_and_saveexec_b64 s[2:3], vcc
	s_cbranch_execz .LBB738_26
; %bb.25:
	s_mul_hi_i32 s5, s22, s6
	s_mul_i32 s4, s22, s6
	s_and_b32 s13, s13, 0xffff
	s_lshl_b64 s[4:5], s[4:5], 1
	s_add_u32 s8, s30, s4
	s_mov_b32 s15, 0x20000
	s_addc_u32 s4, s31, s5
	s_and_b32 s9, s4, 0xffff
	s_mov_b32 s10, s14
	s_mov_b32 s11, s15
	buffer_load_dwordx4 v[14:17], v1, s[8:11], 0 offen
	buffer_load_dwordx4 v[10:13], v1, s[8:11], 16 offen
	;; [unrolled: 1-line block ×4, first 2 shown]
.LBB738_26:
	s_or_b64 exec, exec, s[2:3]
	v_mov_b32_e32 v19, 0
	v_mov_b32_e32 v32, 0
	;; [unrolled: 1-line block ×15, first 2 shown]
	s_and_saveexec_b64 s[2:3], vcc
	s_cbranch_execz .LBB738_28
; %bb.27:
	s_waitcnt vmcnt(3)
	v_cvt_f32_u32_sdwa v18, v14 dst_sel:DWORD dst_unused:UNUSED_PAD src0_sel:WORD_0
	v_cvt_f32_u32_sdwa v19, v14 dst_sel:DWORD dst_unused:UNUSED_PAD src0_sel:WORD_1
	v_cvt_f32_u32_sdwa v32, v15 dst_sel:DWORD dst_unused:UNUSED_PAD src0_sel:WORD_0
	v_cvt_f32_u32_sdwa v33, v15 dst_sel:DWORD dst_unused:UNUSED_PAD src0_sel:WORD_1
	;; [unrolled: 2-line block ×4, first 2 shown]
	s_waitcnt vmcnt(2)
	v_cvt_f32_u32_sdwa v26, v10 dst_sel:DWORD dst_unused:UNUSED_PAD src0_sel:WORD_0
	v_cvt_f32_u32_sdwa v27, v10 dst_sel:DWORD dst_unused:UNUSED_PAD src0_sel:WORD_1
	v_cvt_f32_u32_sdwa v24, v11 dst_sel:DWORD dst_unused:UNUSED_PAD src0_sel:WORD_0
	v_cvt_f32_u32_sdwa v25, v11 dst_sel:DWORD dst_unused:UNUSED_PAD src0_sel:WORD_1
	;; [unrolled: 2-line block ×4, first 2 shown]
.LBB738_28:
	s_or_b64 exec, exec, s[2:3]
	s_waitcnt vmcnt(2)
	v_mul_f32_e32 v10, v19, v19
	v_fmac_f32_e32 v10, v18, v18
	v_fmac_f32_e32 v10, v32, v32
	;; [unrolled: 1-line block ×15, first 2 shown]
	s_nop 1
	v_mov_b32_dpp v11, v10 quad_perm:[1,0,3,2] row_mask:0xf bank_mask:0xf
	v_add_f32_e32 v10, v10, v11
	s_nop 1
	v_mov_b32_dpp v11, v10 quad_perm:[2,3,0,1] row_mask:0xf bank_mask:0xf
	v_add_f32_e32 v10, v10, v11
	s_nop 1
	v_mov_b32_dpp v11, v10 row_half_mirror row_mask:0xf bank_mask:0xf
	v_add_f32_e32 v10, v10, v11
	s_nop 1
	v_mov_b32_dpp v11, v10 row_mirror row_mask:0xf bank_mask:0xf
	v_add_f32_e32 v10, v10, v11
	s_nop 1
	v_mov_b32_dpp v11, v10 row_bcast:15 row_mask:0xf bank_mask:0xf
	v_add_f32_e32 v10, v10, v11
	s_nop 1
	v_mov_b32_dpp v11, v10 row_bcast:31 row_mask:0xf bank_mask:0xf
	s_and_saveexec_b64 s[2:3], s[0:1]
	s_cbranch_execz .LBB738_30
; %bb.29:
	v_lshrrev_b32_e32 v0, 4, v0
	v_add_f32_e32 v10, v10, v11
	v_and_b32_e32 v0, 60, v0
	ds_write_b32 v0, v10
.LBB738_30:
	s_or_b64 exec, exec, s[2:3]
	s_waitcnt lgkmcnt(0)
	s_barrier
	ds_read_b32 v0, v34
	s_waitcnt lgkmcnt(0)
	s_nop 0
	v_mov_b32_dpp v10, v0 quad_perm:[1,0,3,2] row_mask:0xf bank_mask:0xf
	s_and_saveexec_b64 s[0:1], vcc
	s_cbranch_execz .LBB738_12
; %bb.31:
	v_cvt_f32_u32_e32 v11, s20
	v_add_f32_e32 v0, v0, v10
	s_mov_b32 s15, 0x20000
	v_div_scale_f32 v10, s[0:1], v11, v11, v0
	v_rcp_f32_e32 v12, v10
	v_div_scale_f32 v13, vcc, v0, v11, v0
	s_mov_b32 s0, 0x800000
	v_fma_f32 v14, -v10, v12, 1.0
	v_fmac_f32_e32 v12, v14, v12
	v_mul_f32_e32 v14, v13, v12
	v_fma_f32 v15, -v10, v14, v13
	v_fmac_f32_e32 v14, v15, v12
	v_fma_f32 v10, -v10, v14, v13
	v_div_fmas_f32 v10, v10, v12, v14
	v_div_fixup_f32 v0, v10, v11, v0
	v_add_f32_e32 v0, s17, v0
	v_mul_f32_e32 v10, 0x4b800000, v0
	v_cmp_gt_f32_e32 vcc, s0, v0
	v_cndmask_b32_e32 v0, v0, v10, vcc
	v_rsq_f32_e32 v0, v0
	s_mul_hi_i32 s1, s7, s6
	s_mul_i32 s0, s7, s6
	s_lshl_b64 s[0:1], s[0:1], 1
	v_mul_f32_e32 v10, 0x45800000, v0
	v_cndmask_b32_e32 v10, v0, v10, vcc
	v_mov_b32_e32 v11, v10
	;;#ASMSTART
	v_pk_mul_f32 v[12:13], v[18:19], v[10:11]
	;;#ASMEND
	;;#ASMSTART
	v_pk_mul_f32 v[14:15], v[32:33], v[10:11]
	;;#ASMEND
	;; [unrolled: 3-line block ×4, first 2 shown]
	s_waitcnt vmcnt(1)
	v_cvt_f32_u32_sdwa v29, v6 dst_sel:DWORD dst_unused:UNUSED_PAD src0_sel:WORD_1
	v_cvt_f32_u32_sdwa v28, v6 dst_sel:DWORD dst_unused:UNUSED_PAD src0_sel:WORD_0
	v_cvt_f32_u32_sdwa v31, v7 dst_sel:DWORD dst_unused:UNUSED_PAD src0_sel:WORD_1
	v_cvt_f32_u32_sdwa v30, v7 dst_sel:DWORD dst_unused:UNUSED_PAD src0_sel:WORD_0
	;;#ASMSTART
	v_pk_mul_f32 v[26:27], v[26:27], v[10:11]
	;;#ASMEND
	;;#ASMSTART
	v_pk_mul_f32 v[24:25], v[24:25], v[10:11]
	;;#ASMEND
	;; [unrolled: 3-line block ×4, first 2 shown]
	v_cvt_f32_u32_sdwa v21, v8 dst_sel:DWORD dst_unused:UNUSED_PAD src0_sel:WORD_1
	v_cvt_f32_u32_sdwa v20, v8 dst_sel:DWORD dst_unused:UNUSED_PAD src0_sel:WORD_0
	v_pk_add_f32 v[10:11], v[28:29], 1.0 op_sel_hi:[1,0]
	;;#ASMSTART
	v_pk_mul_f32 v[10:11], v[12:13], v[10:11]
	;;#ASMEND
	v_pk_add_f32 v[12:13], v[30:31], 1.0 op_sel_hi:[1,0]
	v_cvt_f32_u32_sdwa v29, v9 dst_sel:DWORD dst_unused:UNUSED_PAD src0_sel:WORD_1
	v_cvt_f32_u32_sdwa v28, v9 dst_sel:DWORD dst_unused:UNUSED_PAD src0_sel:WORD_0
	;;#ASMSTART
	v_pk_mul_f32 v[8:9], v[14:15], v[12:13]
	;;#ASMEND
	v_pk_add_f32 v[12:13], v[20:21], 1.0 op_sel_hi:[1,0]
	;;#ASMSTART
	v_pk_mul_f32 v[12:13], v[16:17], v[12:13]
	;;#ASMEND
	s_waitcnt vmcnt(0)
	v_cvt_f32_u32_sdwa v17, v2 dst_sel:DWORD dst_unused:UNUSED_PAD src0_sel:WORD_1
	v_cvt_f32_u32_sdwa v16, v2 dst_sel:DWORD dst_unused:UNUSED_PAD src0_sel:WORD_0
	v_cvt_f32_u32_sdwa v21, v3 dst_sel:DWORD dst_unused:UNUSED_PAD src0_sel:WORD_1
	v_cvt_f32_u32_sdwa v20, v3 dst_sel:DWORD dst_unused:UNUSED_PAD src0_sel:WORD_0
	v_pk_add_f32 v[14:15], v[28:29], 1.0 op_sel_hi:[1,0]
	;;#ASMSTART
	v_pk_mul_f32 v[14:15], v[18:19], v[14:15]
	;;#ASMEND
	v_pk_add_f32 v[2:3], v[16:17], 1.0 op_sel_hi:[1,0]
	v_cvt_f32_u32_sdwa v19, v4 dst_sel:DWORD dst_unused:UNUSED_PAD src0_sel:WORD_1
	v_cvt_f32_u32_sdwa v18, v4 dst_sel:DWORD dst_unused:UNUSED_PAD src0_sel:WORD_0
	;;#ASMSTART
	v_pk_mul_f32 v[16:17], v[26:27], v[2:3]
	;;#ASMEND
	v_pk_add_f32 v[2:3], v[20:21], 1.0 op_sel_hi:[1,0]
	v_cvt_f32_u32_sdwa v21, v5 dst_sel:DWORD dst_unused:UNUSED_PAD src0_sel:WORD_1
	v_cvt_f32_u32_sdwa v20, v5 dst_sel:DWORD dst_unused:UNUSED_PAD src0_sel:WORD_0
	s_add_u32 s12, s28, s0
	;;#ASMSTART
	v_pk_mul_f32 v[24:25], v[24:25], v[2:3]
	;;#ASMEND
	v_pk_add_f32 v[2:3], v[18:19], 1.0 op_sel_hi:[1,0]
	s_addc_u32 s0, s29, s1
	;;#ASMSTART
	v_pk_mul_f32 v[18:19], v[22:23], v[2:3]
	;;#ASMEND
	v_pk_add_f32 v[2:3], v[20:21], 1.0 op_sel_hi:[1,0]
	s_and_b32 s13, s0, 0xffff
	s_mov_b32 s0, 0x7060302
	;;#ASMSTART
	v_pk_mul_f32 v[6:7], v[6:7], v[2:3]
	;;#ASMEND
	v_perm_b32 v2, v11, v10, s0
	v_perm_b32 v3, v9, v8, s0
	;; [unrolled: 1-line block ×4, first 2 shown]
	buffer_store_dwordx4 v[2:5], v1, s[12:15], 0 offen
	;;#ASMSTART
	s_nop 0
	;;#ASMEND
	s_nop 0
	v_perm_b32 v2, v17, v16, s0
	v_perm_b32 v3, v25, v24, s0
	;; [unrolled: 1-line block ×4, first 2 shown]
	buffer_store_dwordx4 v[2:5], v1, s[12:15], 16 offen
	;;#ASMSTART
	s_nop 0
	;;#ASMEND
	s_endpgm
	.section	.rodata,"a",@progbits
	.p2align	6, 0x0
	.amdhsa_kernel _ZN5aiter35fused_qk_rmsnorm_group_quant_kernelItDB8_Li128ELi16ELi2ELb0ELb0ELb1ELb0ELb0ELb0EEEvPT0_PvPT_S6_S6_PKS5_S8_S8_S8_S8_ffiiiiiiiiiiiii
		.amdhsa_group_segment_fixed_size 16
		.amdhsa_private_segment_fixed_size 0
		.amdhsa_kernarg_size 400
		.amdhsa_user_sgpr_count 6
		.amdhsa_user_sgpr_private_segment_buffer 1
		.amdhsa_user_sgpr_dispatch_ptr 0
		.amdhsa_user_sgpr_queue_ptr 0
		.amdhsa_user_sgpr_kernarg_segment_ptr 1
		.amdhsa_user_sgpr_dispatch_id 0
		.amdhsa_user_sgpr_flat_scratch_init 0
		.amdhsa_user_sgpr_kernarg_preload_length 0
		.amdhsa_user_sgpr_kernarg_preload_offset 0
		.amdhsa_user_sgpr_private_segment_size 0
		.amdhsa_uses_dynamic_stack 0
		.amdhsa_system_sgpr_private_segment_wavefront_offset 0
		.amdhsa_system_sgpr_workgroup_id_x 1
		.amdhsa_system_sgpr_workgroup_id_y 1
		.amdhsa_system_sgpr_workgroup_id_z 0
		.amdhsa_system_sgpr_workgroup_info 0
		.amdhsa_system_vgpr_workitem_id 0
		.amdhsa_next_free_vgpr 36
		.amdhsa_next_free_sgpr 32
		.amdhsa_accum_offset 36
		.amdhsa_reserve_vcc 1
		.amdhsa_reserve_flat_scratch 0
		.amdhsa_float_round_mode_32 0
		.amdhsa_float_round_mode_16_64 0
		.amdhsa_float_denorm_mode_32 3
		.amdhsa_float_denorm_mode_16_64 3
		.amdhsa_dx10_clamp 1
		.amdhsa_ieee_mode 1
		.amdhsa_fp16_overflow 0
		.amdhsa_tg_split 0
		.amdhsa_exception_fp_ieee_invalid_op 0
		.amdhsa_exception_fp_denorm_src 0
		.amdhsa_exception_fp_ieee_div_zero 0
		.amdhsa_exception_fp_ieee_overflow 0
		.amdhsa_exception_fp_ieee_underflow 0
		.amdhsa_exception_fp_ieee_inexact 0
		.amdhsa_exception_int_div_zero 0
	.end_amdhsa_kernel
	.section	.text._ZN5aiter35fused_qk_rmsnorm_group_quant_kernelItDB8_Li128ELi16ELi2ELb0ELb0ELb1ELb0ELb0ELb0EEEvPT0_PvPT_S6_S6_PKS5_S8_S8_S8_S8_ffiiiiiiiiiiiii,"axG",@progbits,_ZN5aiter35fused_qk_rmsnorm_group_quant_kernelItDB8_Li128ELi16ELi2ELb0ELb0ELb1ELb0ELb0ELb0EEEvPT0_PvPT_S6_S6_PKS5_S8_S8_S8_S8_ffiiiiiiiiiiiii,comdat
.Lfunc_end738:
	.size	_ZN5aiter35fused_qk_rmsnorm_group_quant_kernelItDB8_Li128ELi16ELi2ELb0ELb0ELb1ELb0ELb0ELb0EEEvPT0_PvPT_S6_S6_PKS5_S8_S8_S8_S8_ffiiiiiiiiiiiii, .Lfunc_end738-_ZN5aiter35fused_qk_rmsnorm_group_quant_kernelItDB8_Li128ELi16ELi2ELb0ELb0ELb1ELb0ELb0ELb0EEEvPT0_PvPT_S6_S6_PKS5_S8_S8_S8_S8_ffiiiiiiiiiiiii
                                        ; -- End function
	.section	.AMDGPU.csdata,"",@progbits
; Kernel info:
; codeLenInByte = 3528
; NumSgprs: 36
; NumVgprs: 36
; NumAgprs: 0
; TotalNumVgprs: 36
; ScratchSize: 0
; MemoryBound: 0
; FloatMode: 240
; IeeeMode: 1
; LDSByteSize: 16 bytes/workgroup (compile time only)
; SGPRBlocks: 4
; VGPRBlocks: 4
; NumSGPRsForWavesPerEU: 36
; NumVGPRsForWavesPerEU: 36
; AccumOffset: 36
; Occupancy: 8
; WaveLimiterHint : 0
; COMPUTE_PGM_RSRC2:SCRATCH_EN: 0
; COMPUTE_PGM_RSRC2:USER_SGPR: 6
; COMPUTE_PGM_RSRC2:TRAP_HANDLER: 0
; COMPUTE_PGM_RSRC2:TGID_X_EN: 1
; COMPUTE_PGM_RSRC2:TGID_Y_EN: 1
; COMPUTE_PGM_RSRC2:TGID_Z_EN: 0
; COMPUTE_PGM_RSRC2:TIDIG_COMP_CNT: 0
; COMPUTE_PGM_RSRC3_GFX90A:ACCUM_OFFSET: 8
; COMPUTE_PGM_RSRC3_GFX90A:TG_SPLIT: 0
	.section	.text._ZN5aiter35fused_qk_rmsnorm_group_quant_kernelIDF16_N4opus5fp4_tELi128ELi16ELi2ELb0ELb0ELb1ELb0ELb0ELb0EEEvPT0_PvPT_S7_S7_PKS6_S9_S9_S9_S9_ffiiiiiiiiiiiii,"axG",@progbits,_ZN5aiter35fused_qk_rmsnorm_group_quant_kernelIDF16_N4opus5fp4_tELi128ELi16ELi2ELb0ELb0ELb1ELb0ELb0ELb0EEEvPT0_PvPT_S7_S7_PKS6_S9_S9_S9_S9_ffiiiiiiiiiiiii,comdat
	.protected	_ZN5aiter35fused_qk_rmsnorm_group_quant_kernelIDF16_N4opus5fp4_tELi128ELi16ELi2ELb0ELb0ELb1ELb0ELb0ELb0EEEvPT0_PvPT_S7_S7_PKS6_S9_S9_S9_S9_ffiiiiiiiiiiiii ; -- Begin function _ZN5aiter35fused_qk_rmsnorm_group_quant_kernelIDF16_N4opus5fp4_tELi128ELi16ELi2ELb0ELb0ELb1ELb0ELb0ELb0EEEvPT0_PvPT_S7_S7_PKS6_S9_S9_S9_S9_ffiiiiiiiiiiiii
	.globl	_ZN5aiter35fused_qk_rmsnorm_group_quant_kernelIDF16_N4opus5fp4_tELi128ELi16ELi2ELb0ELb0ELb1ELb0ELb0ELb0EEEvPT0_PvPT_S7_S7_PKS6_S9_S9_S9_S9_ffiiiiiiiiiiiii
	.p2align	8
	.type	_ZN5aiter35fused_qk_rmsnorm_group_quant_kernelIDF16_N4opus5fp4_tELi128ELi16ELi2ELb0ELb0ELb1ELb0ELb0ELb0EEEvPT0_PvPT_S7_S7_PKS6_S9_S9_S9_S9_ffiiiiiiiiiiiii,@function
_ZN5aiter35fused_qk_rmsnorm_group_quant_kernelIDF16_N4opus5fp4_tELi128ELi16ELi2ELb0ELb0ELb1ELb0ELb0ELb0EEEvPT0_PvPT_S7_S7_PKS6_S9_S9_S9_S9_ffiiiiiiiiiiiii: ; @_ZN5aiter35fused_qk_rmsnorm_group_quant_kernelIDF16_N4opus5fp4_tELi128ELi16ELi2ELb0ELb0ELb1ELb0ELb0ELb0EEEvPT0_PvPT_S7_S7_PKS6_S9_S9_S9_S9_ffiiiiiiiiiiiii
; %bb.0:
	s_load_dwordx4 s[16:19], s[4:5], 0x50
	s_waitcnt lgkmcnt(0)
	s_cmp_ge_i32 s6, s18
	s_cbranch_scc1 .LBB739_12
; %bb.1:
	s_load_dwordx2 s[12:13], s[4:5], 0x48
	s_load_dwordx2 s[30:31], s[4:5], 0x30
	s_load_dwordx4 s[20:23], s[4:5], 0x60
	s_cmp_lg_u32 s7, 0
	s_cselect_b64 s[14:15], -1, 0
	s_cmp_eq_u32 s7, 0
	s_cselect_b64 vcc, -1, 0
	s_and_b64 s[0:1], vcc, exec
	s_waitcnt lgkmcnt(0)
	s_cselect_b32 s7, s19, s20
	s_add_i32 s0, s7, 1
	s_lshr_b32 s1, s0, 31
	s_add_i32 s0, s0, s1
	s_lshl_b32 s0, s0, 1
	v_lshlrev_b32_e32 v1, 4, v0
	s_and_b32 s10, s0, -4
	v_cmp_gt_i32_e64 s[2:3], s7, v1
	v_mov_b32_e32 v18, 0
	v_mov_b32_e32 v6, 0
	;; [unrolled: 1-line block ×17, first 2 shown]
	s_and_saveexec_b64 s[0:1], s[2:3]
	s_cbranch_execz .LBB739_3
; %bb.2:
	s_load_dwordx2 s[8:9], s[4:5], 0x28
	s_load_dwordx2 s[26:27], s[4:5], 0x40
	s_and_b64 s[24:25], vcc, exec
	s_cselect_b32 s11, s21, s22
	v_lshlrev_b32_e32 v19, 5, v0
	s_waitcnt lgkmcnt(0)
	s_cselect_b32 s18, s9, s31
	s_cselect_b32 s21, s8, s30
	s_mul_hi_i32 s9, s11, s6
	s_mul_i32 s8, s11, s6
	s_lshl_b64 s[8:9], s[8:9], 1
	s_add_u32 s24, s21, s8
	s_addc_u32 s18, s18, s9
	s_and_b64 s[8:9], vcc, exec
	s_mov_b32 s11, 0x20000
	s_cselect_b32 s8, s26, s12
	s_cselect_b32 s9, s27, s13
	s_and_b32 s25, s18, 0xffff
	s_mov_b32 s26, s10
	s_mov_b32 s27, s11
	s_and_b32 s9, s9, 0xffff
	buffer_load_dwordx4 v[14:17], v19, s[24:27], 0 offen
	buffer_load_dwordx4 v[10:13], v19, s[24:27], 16 offen
	;; [unrolled: 1-line block ×4, first 2 shown]
.LBB739_3:
	s_or_b64 exec, exec, s[0:1]
	v_mov_b32_e32 v19, 0
	v_mov_b32_e32 v22, 0
	v_mov_b32_e32 v23, 0
	v_mov_b32_e32 v20, 0
	v_mov_b32_e32 v21, 0
	v_mov_b32_e32 v28, 0
	v_mov_b32_e32 v29, 0
	v_mov_b32_e32 v26, 0
	v_mov_b32_e32 v27, 0
	v_mov_b32_e32 v32, 0
	v_mov_b32_e32 v33, 0
	v_mov_b32_e32 v30, 0
	v_mov_b32_e32 v31, 0
	v_mov_b32_e32 v24, 0
	v_mov_b32_e32 v25, 0
	s_and_saveexec_b64 s[0:1], s[2:3]
	s_cbranch_execz .LBB739_5
; %bb.4:
	s_waitcnt vmcnt(3)
	v_cvt_f32_f16_sdwa v19, v14 dst_sel:DWORD dst_unused:UNUSED_PAD src0_sel:WORD_1
	v_cvt_f32_f16_e32 v18, v14
	v_cvt_f32_f16_sdwa v23, v15 dst_sel:DWORD dst_unused:UNUSED_PAD src0_sel:WORD_1
	v_cvt_f32_f16_e32 v22, v15
	;; [unrolled: 2-line block ×4, first 2 shown]
	s_waitcnt vmcnt(2)
	v_cvt_f32_f16_sdwa v27, v10 dst_sel:DWORD dst_unused:UNUSED_PAD src0_sel:WORD_1
	v_cvt_f32_f16_e32 v26, v10
	v_cvt_f32_f16_sdwa v33, v11 dst_sel:DWORD dst_unused:UNUSED_PAD src0_sel:WORD_1
	v_cvt_f32_f16_e32 v32, v11
	;; [unrolled: 2-line block ×4, first 2 shown]
.LBB739_5:
	s_or_b64 exec, exec, s[0:1]
	s_waitcnt vmcnt(2)
	v_mul_f32_e32 v10, v19, v19
	v_fmac_f32_e32 v10, v18, v18
	v_fmac_f32_e32 v10, v22, v22
	;; [unrolled: 1-line block ×15, first 2 shown]
	v_and_b32_e32 v12, 63, v0
	v_cmp_eq_u32_e64 s[0:1], 63, v12
	v_mov_b32_dpp v11, v10 quad_perm:[1,0,3,2] row_mask:0xf bank_mask:0xf
	v_add_f32_e32 v10, v10, v11
	s_nop 1
	v_mov_b32_dpp v11, v10 quad_perm:[2,3,0,1] row_mask:0xf bank_mask:0xf
	v_add_f32_e32 v10, v10, v11
	s_nop 1
	v_mov_b32_dpp v11, v10 row_half_mirror row_mask:0xf bank_mask:0xf
	v_add_f32_e32 v10, v10, v11
	s_nop 1
	v_mov_b32_dpp v11, v10 row_mirror row_mask:0xf bank_mask:0xf
	v_add_f32_e32 v10, v10, v11
	s_nop 1
	v_mov_b32_dpp v11, v10 row_bcast:15 row_mask:0xf bank_mask:0xf
	v_add_f32_e32 v10, v10, v11
	s_nop 1
	v_mov_b32_dpp v11, v10 row_bcast:31 row_mask:0xf bank_mask:0xf
	s_and_saveexec_b64 s[8:9], s[0:1]
	s_cbranch_execz .LBB739_7
; %bb.6:
	v_add_f32_e32 v10, v10, v11
	v_lshrrev_b32_e32 v11, 4, v0
	v_and_b32_e32 v11, 60, v11
	ds_write_b32 v11, v10 offset:8
.LBB739_7:
	s_or_b64 exec, exec, s[8:9]
	v_and_b32_e32 v10, 1, v0
	v_lshlrev_b32_e32 v34, 2, v10
	s_waitcnt lgkmcnt(0)
	s_barrier
	ds_read_b32 v11, v34 offset:8
	s_load_dwordx2 s[28:29], s[4:5], 0x18
	s_waitcnt lgkmcnt(0)
	v_mov_b32_dpp v12, v11 quad_perm:[1,0,3,2] row_mask:0xf bank_mask:0xf
	s_and_saveexec_b64 s[8:9], s[2:3]
	s_cbranch_execz .LBB739_9
; %bb.8:
	v_cvt_f32_u32_e32 v13, s7
	v_add_f32_e32 v11, v11, v12
	v_mov_b32_e32 v15, s17
	v_mov_b32_e32 v16, s16
	v_div_scale_f32 v12, s[24:25], v13, v13, v11
	v_rcp_f32_e32 v14, v12
	v_cndmask_b32_e32 v15, v15, v16, vcc
	s_mov_b32 s7, 0x800000
	v_fma_f32 v16, -v12, v14, 1.0
	v_fmac_f32_e32 v14, v16, v14
	v_div_scale_f32 v16, vcc, v11, v13, v11
	v_mul_f32_e32 v17, v16, v14
	v_fma_f32 v35, -v12, v17, v16
	v_fmac_f32_e32 v17, v35, v14
	v_fma_f32 v12, -v12, v17, v16
	v_div_fmas_f32 v12, v12, v14, v17
	v_div_fixup_f32 v11, v12, v13, v11
	v_add_f32_e32 v11, v15, v11
	v_mul_f32_e32 v12, 0x4b800000, v11
	v_cmp_gt_f32_e32 vcc, s7, v11
	v_cndmask_b32_e32 v11, v11, v12, vcc
	v_rsq_f32_e32 v11, v11
	v_mul_f32_e32 v12, 0x45800000, v11
	v_cndmask_b32_e32 v12, v11, v12, vcc
	v_mov_b32_e32 v13, v12
	;;#ASMSTART
	v_pk_mul_f32 v[14:15], v[18:19], v[12:13]
	;;#ASMEND
	s_waitcnt vmcnt(1)
	v_cvt_f32_f16_sdwa v19, v6 dst_sel:DWORD dst_unused:UNUSED_PAD src0_sel:WORD_1
	v_cvt_f32_f16_e32 v18, v6
	;;#ASMSTART
	v_pk_mul_f32 v[16:17], v[22:23], v[12:13]
	;;#ASMEND
	v_cvt_f32_f16_sdwa v23, v7 dst_sel:DWORD dst_unused:UNUSED_PAD src0_sel:WORD_1
	v_cvt_f32_f16_e32 v22, v7
	;;#ASMSTART
	v_pk_mul_f32 v[20:21], v[20:21], v[12:13]
	;;#ASMEND
	;;#ASMSTART
	v_pk_mul_f32 v[28:29], v[28:29], v[12:13]
	;;#ASMEND
	;; [unrolled: 3-line block ×6, first 2 shown]
	v_pk_add_f32 v[12:13], v[18:19], 1.0 op_sel_hi:[1,0]
	;;#ASMSTART
	v_pk_mul_f32 v[18:19], v[14:15], v[12:13]
	;;#ASMEND
	v_cvt_f32_f16_sdwa v15, v8 dst_sel:DWORD dst_unused:UNUSED_PAD src0_sel:WORD_1
	v_cvt_f32_f16_e32 v14, v8
	v_cvt_f32_f16_sdwa v25, v9 dst_sel:DWORD dst_unused:UNUSED_PAD src0_sel:WORD_1
	v_cvt_f32_f16_e32 v24, v9
	v_pk_add_f32 v[12:13], v[22:23], 1.0 op_sel_hi:[1,0]
	;;#ASMSTART
	v_pk_mul_f32 v[22:23], v[16:17], v[12:13]
	;;#ASMEND
	s_waitcnt vmcnt(0)
	v_cvt_f32_f16_sdwa v13, v2 dst_sel:DWORD dst_unused:UNUSED_PAD src0_sel:WORD_1
	v_cvt_f32_f16_e32 v12, v2
	v_pk_add_f32 v[8:9], v[14:15], 1.0 op_sel_hi:[1,0]
	;;#ASMSTART
	v_pk_mul_f32 v[20:21], v[20:21], v[8:9]
	;;#ASMEND
	v_pk_add_f32 v[8:9], v[24:25], 1.0 op_sel_hi:[1,0]
	v_cvt_f32_f16_sdwa v15, v3 dst_sel:DWORD dst_unused:UNUSED_PAD src0_sel:WORD_1
	v_cvt_f32_f16_e32 v14, v3
	;;#ASMSTART
	v_pk_mul_f32 v[28:29], v[28:29], v[8:9]
	;;#ASMEND
	v_cvt_f32_f16_sdwa v9, v4 dst_sel:DWORD dst_unused:UNUSED_PAD src0_sel:WORD_1
	v_cvt_f32_f16_e32 v8, v4
	v_pk_add_f32 v[2:3], v[12:13], 1.0 op_sel_hi:[1,0]
	v_cvt_f32_f16_sdwa v13, v5 dst_sel:DWORD dst_unused:UNUSED_PAD src0_sel:WORD_1
	v_cvt_f32_f16_e32 v12, v5
	;;#ASMSTART
	v_pk_mul_f32 v[26:27], v[26:27], v[2:3]
	;;#ASMEND
	v_pk_add_f32 v[2:3], v[14:15], 1.0 op_sel_hi:[1,0]
	;;#ASMSTART
	v_pk_mul_f32 v[32:33], v[32:33], v[2:3]
	;;#ASMEND
	v_pk_add_f32 v[2:3], v[8:9], 1.0 op_sel_hi:[1,0]
	;; [unrolled: 4-line block ×3, first 2 shown]
	;;#ASMSTART
	v_pk_mul_f32 v[24:25], v[6:7], v[2:3]
	;;#ASMEND
.LBB739_9:
	s_or_b64 exec, exec, s[8:9]
	s_load_dword s7, s[4:5], 0x80
	s_mov_b64 s[8:9], -1
	s_and_b64 vcc, exec, s[14:15]
	s_cbranch_vccnz .LBB739_13
; %bb.10:
	s_andn2_b64 vcc, exec, s[8:9]
	s_cbranch_vccz .LBB739_16
.LBB739_11:
	s_cmp_lt_i32 s20, 1
	s_cbranch_scc0 .LBB739_23
.LBB739_12:
	s_endpgm
.LBB739_13:
	s_and_saveexec_b64 s[14:15], s[2:3]
	s_cbranch_execz .LBB739_15
; %bb.14:
	s_waitcnt lgkmcnt(0)
	s_mul_hi_i32 s9, s7, s6
	s_mul_i32 s8, s7, s6
	s_waitcnt vmcnt(0)
	v_cvt_f16_f32_e32 v2, v18
	v_cvt_f16_f32_e32 v3, v22
	;; [unrolled: 1-line block ×8, first 2 shown]
	s_lshl_b64 s[8:9], s[8:9], 1
	s_add_u32 s8, s28, s8
	s_addc_u32 s9, s29, s9
	s_and_b32 s9, s9, 0xffff
	s_mov_b32 s11, 0x20000
	v_pack_b32_f16 v5, v5, v6
	v_pack_b32_f16 v4, v4, v7
	;; [unrolled: 1-line block ×4, first 2 shown]
	v_lshlrev_b32_e32 v6, 5, v0
	buffer_store_dwordx4 v[2:5], v6, s[8:11], 0 offen
	v_cvt_f16_f32_e32 v7, v25
	v_cvt_f16_f32_e32 v2, v26
	;; [unrolled: 1-line block ×8, first 2 shown]
	v_pack_b32_f16 v5, v5, v7
	v_pack_b32_f16 v4, v4, v8
	;; [unrolled: 1-line block ×4, first 2 shown]
	;;#ASMSTART
	s_nop 0
	;;#ASMEND
	buffer_store_dwordx4 v[2:5], v6, s[8:11], 16 offen
	;;#ASMSTART
	s_nop 0
	;;#ASMEND
.LBB739_15:
	s_or_b64 exec, exec, s[14:15]
	s_cbranch_execnz .LBB739_11
.LBB739_16:
	s_waitcnt vmcnt(0)
	v_mov_b32_e32 v2, 0
	s_and_saveexec_b64 s[8:9], s[2:3]
	s_cbranch_execz .LBB739_18
; %bb.17:
	v_and_b32_e32 v2, 0x7fffffff, v18
	v_and_b32_e32 v3, 0x7fffffff, v19
	v_mov_b32_e32 v4, 0x2edbe6ff
	;;#ASMSTART
	v_max3_f32 v2, v4, v2, v3

	;;#ASMEND
	v_and_b32_e32 v3, 0x7fffffff, v22
	v_and_b32_e32 v4, 0x7fffffff, v23
	;;#ASMSTART
	v_max3_f32 v2, v2, v3, v4

	;;#ASMEND
	v_and_b32_e32 v3, 0x7fffffff, v20
	v_and_b32_e32 v4, 0x7fffffff, v21
	;; [unrolled: 6-line block ×7, first 2 shown]
	;;#ASMSTART
	v_max3_f32 v2, v2, v3, v4

	;;#ASMEND
.LBB739_18:
	s_or_b64 exec, exec, s[8:9]
	s_load_dwordx4 s[24:27], s[4:5], 0x70
	v_cmp_eq_u32_e32 vcc, 0, v10
	v_cmp_gt_i32_e64 s[8:9], s19, v1
	s_and_b64 s[10:11], vcc, s[8:9]
	;;#ASMSTART
	v_max_f32 v3, v2, v2 quad_perm:[1,0,3,2] row_mask:0xf bank_mask:0xf bound_ctrl:1
	;;#ASMEND
	s_and_saveexec_b64 s[8:9], s[10:11]
	s_cbranch_execz .LBB739_20
; %bb.19:
	s_load_dwordx2 s[10:11], s[4:5], 0x8
	v_mul_f32_e32 v2, 0x3e2aaaab, v3
	v_lshrrev_b32_e32 v3, 23, v2
	v_and_b32_e32 v4, 0x7f800000, v2
	v_and_b32_e32 v2, 0x7fffff, v2
	v_cmp_ne_u32_e32 vcc, 0, v2
	s_waitcnt lgkmcnt(0)
	s_mul_i32 s16, s25, s6
	s_mov_b32 s14, 0x7f800000
	v_addc_co_u32_e32 v2, vcc, 0, v3, vcc
	s_mul_hi_i32 s15, s25, s6
	s_add_u32 s10, s10, s16
	v_cmp_ne_u32_e32 vcc, s14, v4
	s_addc_u32 s11, s11, s15
	v_lshrrev_b32_e32 v5, 1, v0
	v_cndmask_b32_e32 v4, -1, v2, vcc
	v_pk_mov_b32 v[2:3], s[10:11], s[10:11] op_sel:[0,1]
	v_mad_i64_i32 v[2:3], s[10:11], s26, v5, v[2:3]
	global_store_byte v[2:3], v4, off
.LBB739_20:
	s_or_b64 exec, exec, s[8:9]
	s_and_saveexec_b64 s[8:9], s[2:3]
	s_cbranch_execz .LBB739_22
; %bb.21:
	s_load_dwordx2 s[2:3], s[4:5], 0x0
	s_waitcnt lgkmcnt(0)
	s_mul_i32 s11, s24, s6
	s_mul_hi_i32 s10, s24, s6
	v_mov_b32_e32 v2, 0
	v_lshlrev_b32_e32 v4, 3, v0
	s_add_u32 s24, s2, s11
	s_addc_u32 s2, s3, s10
	s_lshr_b32 s3, s19, 31
	s_add_i32 s3, s19, s3
	s_ashr_i32 s3, s3, 1
	s_add_i32 s3, s3, 3
	s_ashr_i32 s10, s3, 31
	s_lshr_b32 s10, s10, 30
	s_add_i32 s3, s3, s10
	s_and_b32 s26, s3, -4
	s_and_b32 s25, s2, 0xffff
	s_mov_b32 s27, 0x20000
	v_mov_b32_e32 v3, v2
	buffer_store_dwordx2 v[2:3], v4, s[24:27], 0 offen
	;;#ASMSTART
	s_nop 0
	;;#ASMEND
.LBB739_22:
	s_or_b64 exec, exec, s[8:9]
	s_cmp_lt_i32 s20, 1
	s_cbranch_scc1 .LBB739_12
.LBB739_23:
	s_load_dword s2, s[4:5], 0x94
	s_waitcnt lgkmcnt(0)
	s_cmp_lg_u32 s2, 1
	s_cbranch_scc1 .LBB739_12
; %bb.24:
	s_lshl_b32 s2, s20, 1
	s_add_i32 s2, s2, 2
	v_cmp_gt_u32_e32 vcc, s20, v1
	s_and_b32 s14, s2, -4
	v_mov_b32_e32 v18, 0
	v_lshlrev_b32_e32 v1, 5, v0
	v_mov_b32_e32 v14, 0
	v_mov_b32_e32 v15, 0
	;; [unrolled: 1-line block ×8, first 2 shown]
	s_waitcnt vmcnt(1)
	v_mov_b32_e32 v6, 0
	v_mov_b32_e32 v7, 0
	;; [unrolled: 1-line block ×4, first 2 shown]
	s_waitcnt vmcnt(0)
	v_mov_b32_e32 v2, 0
	v_mov_b32_e32 v3, 0
	;; [unrolled: 1-line block ×4, first 2 shown]
	s_barrier
	s_and_saveexec_b64 s[2:3], vcc
	s_cbranch_execz .LBB739_26
; %bb.25:
	s_mul_hi_i32 s5, s22, s6
	s_mul_i32 s4, s22, s6
	s_and_b32 s13, s13, 0xffff
	s_lshl_b64 s[4:5], s[4:5], 1
	s_add_u32 s8, s30, s4
	s_mov_b32 s15, 0x20000
	s_addc_u32 s4, s31, s5
	s_and_b32 s9, s4, 0xffff
	s_mov_b32 s10, s14
	s_mov_b32 s11, s15
	buffer_load_dwordx4 v[14:17], v1, s[8:11], 0 offen
	buffer_load_dwordx4 v[10:13], v1, s[8:11], 16 offen
	;; [unrolled: 1-line block ×4, first 2 shown]
.LBB739_26:
	s_or_b64 exec, exec, s[2:3]
	v_mov_b32_e32 v19, 0
	v_mov_b32_e32 v32, 0
	;; [unrolled: 1-line block ×15, first 2 shown]
	s_and_saveexec_b64 s[2:3], vcc
	s_cbranch_execz .LBB739_28
; %bb.27:
	s_waitcnt vmcnt(3)
	v_cvt_f32_f16_sdwa v19, v14 dst_sel:DWORD dst_unused:UNUSED_PAD src0_sel:WORD_1
	v_cvt_f32_f16_e32 v18, v14
	v_cvt_f32_f16_sdwa v33, v15 dst_sel:DWORD dst_unused:UNUSED_PAD src0_sel:WORD_1
	v_cvt_f32_f16_e32 v32, v15
	;; [unrolled: 2-line block ×4, first 2 shown]
	s_waitcnt vmcnt(2)
	v_cvt_f32_f16_sdwa v27, v10 dst_sel:DWORD dst_unused:UNUSED_PAD src0_sel:WORD_1
	v_cvt_f32_f16_e32 v26, v10
	v_cvt_f32_f16_sdwa v25, v11 dst_sel:DWORD dst_unused:UNUSED_PAD src0_sel:WORD_1
	v_cvt_f32_f16_e32 v24, v11
	;; [unrolled: 2-line block ×4, first 2 shown]
.LBB739_28:
	s_or_b64 exec, exec, s[2:3]
	s_waitcnt vmcnt(2)
	v_mul_f32_e32 v10, v19, v19
	v_fmac_f32_e32 v10, v18, v18
	v_fmac_f32_e32 v10, v32, v32
	;; [unrolled: 1-line block ×15, first 2 shown]
	s_nop 1
	v_mov_b32_dpp v11, v10 quad_perm:[1,0,3,2] row_mask:0xf bank_mask:0xf
	v_add_f32_e32 v10, v10, v11
	s_nop 1
	v_mov_b32_dpp v11, v10 quad_perm:[2,3,0,1] row_mask:0xf bank_mask:0xf
	v_add_f32_e32 v10, v10, v11
	s_nop 1
	v_mov_b32_dpp v11, v10 row_half_mirror row_mask:0xf bank_mask:0xf
	v_add_f32_e32 v10, v10, v11
	s_nop 1
	v_mov_b32_dpp v11, v10 row_mirror row_mask:0xf bank_mask:0xf
	v_add_f32_e32 v10, v10, v11
	s_nop 1
	v_mov_b32_dpp v11, v10 row_bcast:15 row_mask:0xf bank_mask:0xf
	v_add_f32_e32 v10, v10, v11
	s_nop 1
	v_mov_b32_dpp v11, v10 row_bcast:31 row_mask:0xf bank_mask:0xf
	s_and_saveexec_b64 s[2:3], s[0:1]
	s_cbranch_execz .LBB739_30
; %bb.29:
	v_lshrrev_b32_e32 v0, 4, v0
	v_add_f32_e32 v10, v10, v11
	v_and_b32_e32 v0, 60, v0
	ds_write_b32 v0, v10
.LBB739_30:
	s_or_b64 exec, exec, s[2:3]
	s_waitcnt lgkmcnt(0)
	s_barrier
	ds_read_b32 v0, v34
	s_waitcnt lgkmcnt(0)
	s_nop 0
	v_mov_b32_dpp v10, v0 quad_perm:[1,0,3,2] row_mask:0xf bank_mask:0xf
	s_and_saveexec_b64 s[0:1], vcc
	s_cbranch_execz .LBB739_12
; %bb.31:
	v_cvt_f32_u32_e32 v11, s20
	v_add_f32_e32 v0, v0, v10
	s_mov_b32 s15, 0x20000
	v_div_scale_f32 v10, s[0:1], v11, v11, v0
	v_rcp_f32_e32 v12, v10
	v_div_scale_f32 v13, vcc, v0, v11, v0
	s_mov_b32 s0, 0x800000
	v_fma_f32 v14, -v10, v12, 1.0
	v_fmac_f32_e32 v12, v14, v12
	v_mul_f32_e32 v14, v13, v12
	v_fma_f32 v15, -v10, v14, v13
	v_fmac_f32_e32 v14, v15, v12
	v_fma_f32 v10, -v10, v14, v13
	v_div_fmas_f32 v10, v10, v12, v14
	v_div_fixup_f32 v0, v10, v11, v0
	v_add_f32_e32 v0, s17, v0
	v_mul_f32_e32 v10, 0x4b800000, v0
	v_cmp_gt_f32_e32 vcc, s0, v0
	v_cndmask_b32_e32 v0, v0, v10, vcc
	v_rsq_f32_e32 v0, v0
	s_mul_hi_i32 s1, s7, s6
	s_mul_i32 s0, s7, s6
	s_lshl_b64 s[0:1], s[0:1], 1
	v_mul_f32_e32 v10, 0x45800000, v0
	v_cndmask_b32_e32 v10, v0, v10, vcc
	v_mov_b32_e32 v11, v10
	;;#ASMSTART
	v_pk_mul_f32 v[12:13], v[18:19], v[10:11]
	;;#ASMEND
	;;#ASMSTART
	v_pk_mul_f32 v[14:15], v[32:33], v[10:11]
	;;#ASMEND
	;; [unrolled: 3-line block ×4, first 2 shown]
	s_waitcnt vmcnt(1)
	v_cvt_f32_f16_sdwa v29, v6 dst_sel:DWORD dst_unused:UNUSED_PAD src0_sel:WORD_1
	v_cvt_f32_f16_e32 v28, v6
	v_cvt_f32_f16_sdwa v31, v7 dst_sel:DWORD dst_unused:UNUSED_PAD src0_sel:WORD_1
	v_cvt_f32_f16_e32 v30, v7
	;;#ASMSTART
	v_pk_mul_f32 v[26:27], v[26:27], v[10:11]
	;;#ASMEND
	;;#ASMSTART
	v_pk_mul_f32 v[24:25], v[24:25], v[10:11]
	;;#ASMEND
	;; [unrolled: 3-line block ×4, first 2 shown]
	v_cvt_f32_f16_sdwa v21, v8 dst_sel:DWORD dst_unused:UNUSED_PAD src0_sel:WORD_1
	v_cvt_f32_f16_e32 v20, v8
	v_pk_add_f32 v[10:11], v[28:29], 1.0 op_sel_hi:[1,0]
	;;#ASMSTART
	v_pk_mul_f32 v[10:11], v[12:13], v[10:11]
	;;#ASMEND
	v_pk_add_f32 v[12:13], v[30:31], 1.0 op_sel_hi:[1,0]
	v_cvt_f32_f16_sdwa v29, v9 dst_sel:DWORD dst_unused:UNUSED_PAD src0_sel:WORD_1
	v_cvt_f32_f16_e32 v28, v9
	;;#ASMSTART
	v_pk_mul_f32 v[8:9], v[14:15], v[12:13]
	;;#ASMEND
	v_pk_add_f32 v[12:13], v[20:21], 1.0 op_sel_hi:[1,0]
	;;#ASMSTART
	v_pk_mul_f32 v[12:13], v[16:17], v[12:13]
	;;#ASMEND
	s_waitcnt vmcnt(0)
	v_cvt_f32_f16_sdwa v17, v2 dst_sel:DWORD dst_unused:UNUSED_PAD src0_sel:WORD_1
	v_cvt_f32_f16_e32 v16, v2
	v_cvt_f32_f16_sdwa v21, v3 dst_sel:DWORD dst_unused:UNUSED_PAD src0_sel:WORD_1
	v_cvt_f32_f16_e32 v20, v3
	v_pk_add_f32 v[14:15], v[28:29], 1.0 op_sel_hi:[1,0]
	;;#ASMSTART
	v_pk_mul_f32 v[2:3], v[18:19], v[14:15]
	;;#ASMEND
	v_cvt_f32_f16_sdwa v19, v4 dst_sel:DWORD dst_unused:UNUSED_PAD src0_sel:WORD_1
	v_cvt_f32_f16_e32 v18, v4
	v_pk_add_f32 v[14:15], v[16:17], 1.0 op_sel_hi:[1,0]
	v_pk_add_f32 v[16:17], v[20:21], 1.0 op_sel_hi:[1,0]
	v_cvt_f32_f16_sdwa v21, v5 dst_sel:DWORD dst_unused:UNUSED_PAD src0_sel:WORD_1
	v_cvt_f32_f16_e32 v20, v5
	v_pk_add_f32 v[4:5], v[18:19], 1.0 op_sel_hi:[1,0]
	;;#ASMSTART
	v_pk_mul_f32 v[14:15], v[26:27], v[14:15]
	;;#ASMEND
	;;#ASMSTART
	v_pk_mul_f32 v[16:17], v[24:25], v[16:17]
	;;#ASMEND
	;; [unrolled: 3-line block ×3, first 2 shown]
	v_pk_add_f32 v[4:5], v[20:21], 1.0 op_sel_hi:[1,0]
	;;#ASMSTART
	v_pk_mul_f32 v[6:7], v[6:7], v[4:5]
	;;#ASMEND
	v_cvt_f16_f32_e32 v0, v10
	v_cvt_f16_f32_e32 v4, v11
	;; [unrolled: 1-line block ×8, first 2 shown]
	s_add_u32 s12, s28, s0
	s_addc_u32 s0, s29, s1
	s_and_b32 s13, s0, 0xffff
	v_pack_b32_f16 v2, v0, v4
	v_pack_b32_f16 v3, v5, v8
	;; [unrolled: 1-line block ×4, first 2 shown]
	buffer_store_dwordx4 v[2:5], v1, s[12:15], 0 offen
	v_cvt_f16_f32_e32 v0, v14
	v_cvt_f16_f32_e32 v2, v15
	;; [unrolled: 1-line block ×8, first 2 shown]
	v_pack_b32_f16 v2, v0, v2
	v_pack_b32_f16 v3, v3, v4
	;; [unrolled: 1-line block ×4, first 2 shown]
	;;#ASMSTART
	s_nop 0
	;;#ASMEND
	buffer_store_dwordx4 v[2:5], v1, s[12:15], 16 offen
	;;#ASMSTART
	s_nop 0
	;;#ASMEND
	s_endpgm
	.section	.rodata,"a",@progbits
	.p2align	6, 0x0
	.amdhsa_kernel _ZN5aiter35fused_qk_rmsnorm_group_quant_kernelIDF16_N4opus5fp4_tELi128ELi16ELi2ELb0ELb0ELb1ELb0ELb0ELb0EEEvPT0_PvPT_S7_S7_PKS6_S9_S9_S9_S9_ffiiiiiiiiiiiii
		.amdhsa_group_segment_fixed_size 16
		.amdhsa_private_segment_fixed_size 0
		.amdhsa_kernarg_size 400
		.amdhsa_user_sgpr_count 6
		.amdhsa_user_sgpr_private_segment_buffer 1
		.amdhsa_user_sgpr_dispatch_ptr 0
		.amdhsa_user_sgpr_queue_ptr 0
		.amdhsa_user_sgpr_kernarg_segment_ptr 1
		.amdhsa_user_sgpr_dispatch_id 0
		.amdhsa_user_sgpr_flat_scratch_init 0
		.amdhsa_user_sgpr_kernarg_preload_length 0
		.amdhsa_user_sgpr_kernarg_preload_offset 0
		.amdhsa_user_sgpr_private_segment_size 0
		.amdhsa_uses_dynamic_stack 0
		.amdhsa_system_sgpr_private_segment_wavefront_offset 0
		.amdhsa_system_sgpr_workgroup_id_x 1
		.amdhsa_system_sgpr_workgroup_id_y 1
		.amdhsa_system_sgpr_workgroup_id_z 0
		.amdhsa_system_sgpr_workgroup_info 0
		.amdhsa_system_vgpr_workitem_id 0
		.amdhsa_next_free_vgpr 36
		.amdhsa_next_free_sgpr 32
		.amdhsa_accum_offset 36
		.amdhsa_reserve_vcc 1
		.amdhsa_reserve_flat_scratch 0
		.amdhsa_float_round_mode_32 0
		.amdhsa_float_round_mode_16_64 0
		.amdhsa_float_denorm_mode_32 3
		.amdhsa_float_denorm_mode_16_64 3
		.amdhsa_dx10_clamp 1
		.amdhsa_ieee_mode 1
		.amdhsa_fp16_overflow 0
		.amdhsa_tg_split 0
		.amdhsa_exception_fp_ieee_invalid_op 0
		.amdhsa_exception_fp_denorm_src 0
		.amdhsa_exception_fp_ieee_div_zero 0
		.amdhsa_exception_fp_ieee_overflow 0
		.amdhsa_exception_fp_ieee_underflow 0
		.amdhsa_exception_fp_ieee_inexact 0
		.amdhsa_exception_int_div_zero 0
	.end_amdhsa_kernel
	.section	.text._ZN5aiter35fused_qk_rmsnorm_group_quant_kernelIDF16_N4opus5fp4_tELi128ELi16ELi2ELb0ELb0ELb1ELb0ELb0ELb0EEEvPT0_PvPT_S7_S7_PKS6_S9_S9_S9_S9_ffiiiiiiiiiiiii,"axG",@progbits,_ZN5aiter35fused_qk_rmsnorm_group_quant_kernelIDF16_N4opus5fp4_tELi128ELi16ELi2ELb0ELb0ELb1ELb0ELb0ELb0EEEvPT0_PvPT_S7_S7_PKS6_S9_S9_S9_S9_ffiiiiiiiiiiiii,comdat
.Lfunc_end739:
	.size	_ZN5aiter35fused_qk_rmsnorm_group_quant_kernelIDF16_N4opus5fp4_tELi128ELi16ELi2ELb0ELb0ELb1ELb0ELb0ELb0EEEvPT0_PvPT_S7_S7_PKS6_S9_S9_S9_S9_ffiiiiiiiiiiiii, .Lfunc_end739-_ZN5aiter35fused_qk_rmsnorm_group_quant_kernelIDF16_N4opus5fp4_tELi128ELi16ELi2ELb0ELb0ELb1ELb0ELb0ELb0EEEvPT0_PvPT_S7_S7_PKS6_S9_S9_S9_S9_ffiiiiiiiiiiiii
                                        ; -- End function
	.section	.AMDGPU.csdata,"",@progbits
; Kernel info:
; codeLenInByte = 3196
; NumSgprs: 36
; NumVgprs: 36
; NumAgprs: 0
; TotalNumVgprs: 36
; ScratchSize: 0
; MemoryBound: 0
; FloatMode: 240
; IeeeMode: 1
; LDSByteSize: 16 bytes/workgroup (compile time only)
; SGPRBlocks: 4
; VGPRBlocks: 4
; NumSGPRsForWavesPerEU: 36
; NumVGPRsForWavesPerEU: 36
; AccumOffset: 36
; Occupancy: 8
; WaveLimiterHint : 0
; COMPUTE_PGM_RSRC2:SCRATCH_EN: 0
; COMPUTE_PGM_RSRC2:USER_SGPR: 6
; COMPUTE_PGM_RSRC2:TRAP_HANDLER: 0
; COMPUTE_PGM_RSRC2:TGID_X_EN: 1
; COMPUTE_PGM_RSRC2:TGID_Y_EN: 1
; COMPUTE_PGM_RSRC2:TGID_Z_EN: 0
; COMPUTE_PGM_RSRC2:TIDIG_COMP_CNT: 0
; COMPUTE_PGM_RSRC3_GFX90A:ACCUM_OFFSET: 8
; COMPUTE_PGM_RSRC3_GFX90A:TG_SPLIT: 0
	.section	.text._ZN5aiter35fused_qk_rmsnorm_group_quant_kernelItN4opus5fp4_tELi128ELi16ELi2ELb0ELb0ELb1ELb0ELb0ELb0EEEvPT0_PvPT_S7_S7_PKS6_S9_S9_S9_S9_ffiiiiiiiiiiiii,"axG",@progbits,_ZN5aiter35fused_qk_rmsnorm_group_quant_kernelItN4opus5fp4_tELi128ELi16ELi2ELb0ELb0ELb1ELb0ELb0ELb0EEEvPT0_PvPT_S7_S7_PKS6_S9_S9_S9_S9_ffiiiiiiiiiiiii,comdat
	.protected	_ZN5aiter35fused_qk_rmsnorm_group_quant_kernelItN4opus5fp4_tELi128ELi16ELi2ELb0ELb0ELb1ELb0ELb0ELb0EEEvPT0_PvPT_S7_S7_PKS6_S9_S9_S9_S9_ffiiiiiiiiiiiii ; -- Begin function _ZN5aiter35fused_qk_rmsnorm_group_quant_kernelItN4opus5fp4_tELi128ELi16ELi2ELb0ELb0ELb1ELb0ELb0ELb0EEEvPT0_PvPT_S7_S7_PKS6_S9_S9_S9_S9_ffiiiiiiiiiiiii
	.globl	_ZN5aiter35fused_qk_rmsnorm_group_quant_kernelItN4opus5fp4_tELi128ELi16ELi2ELb0ELb0ELb1ELb0ELb0ELb0EEEvPT0_PvPT_S7_S7_PKS6_S9_S9_S9_S9_ffiiiiiiiiiiiii
	.p2align	8
	.type	_ZN5aiter35fused_qk_rmsnorm_group_quant_kernelItN4opus5fp4_tELi128ELi16ELi2ELb0ELb0ELb1ELb0ELb0ELb0EEEvPT0_PvPT_S7_S7_PKS6_S9_S9_S9_S9_ffiiiiiiiiiiiii,@function
_ZN5aiter35fused_qk_rmsnorm_group_quant_kernelItN4opus5fp4_tELi128ELi16ELi2ELb0ELb0ELb1ELb0ELb0ELb0EEEvPT0_PvPT_S7_S7_PKS6_S9_S9_S9_S9_ffiiiiiiiiiiiii: ; @_ZN5aiter35fused_qk_rmsnorm_group_quant_kernelItN4opus5fp4_tELi128ELi16ELi2ELb0ELb0ELb1ELb0ELb0ELb0EEEvPT0_PvPT_S7_S7_PKS6_S9_S9_S9_S9_ffiiiiiiiiiiiii
; %bb.0:
	s_load_dwordx4 s[16:19], s[4:5], 0x50
	s_waitcnt lgkmcnt(0)
	s_cmp_ge_i32 s6, s18
	s_cbranch_scc1 .LBB740_12
; %bb.1:
	s_load_dwordx2 s[12:13], s[4:5], 0x48
	s_load_dwordx2 s[30:31], s[4:5], 0x30
	s_load_dwordx4 s[20:23], s[4:5], 0x60
	s_cmp_lg_u32 s7, 0
	s_cselect_b64 s[14:15], -1, 0
	s_cmp_eq_u32 s7, 0
	s_cselect_b64 vcc, -1, 0
	s_and_b64 s[0:1], vcc, exec
	s_waitcnt lgkmcnt(0)
	s_cselect_b32 s7, s19, s20
	s_add_i32 s0, s7, 1
	s_lshr_b32 s1, s0, 31
	s_add_i32 s0, s0, s1
	s_lshl_b32 s0, s0, 1
	v_lshlrev_b32_e32 v1, 4, v0
	s_and_b32 s10, s0, -4
	v_cmp_gt_i32_e64 s[2:3], s7, v1
	v_mov_b32_e32 v18, 0
	v_mov_b32_e32 v6, 0
	;; [unrolled: 1-line block ×17, first 2 shown]
	s_and_saveexec_b64 s[0:1], s[2:3]
	s_cbranch_execz .LBB740_3
; %bb.2:
	s_load_dwordx2 s[8:9], s[4:5], 0x28
	s_load_dwordx2 s[26:27], s[4:5], 0x40
	s_and_b64 s[24:25], vcc, exec
	s_cselect_b32 s11, s21, s22
	v_lshlrev_b32_e32 v19, 5, v0
	s_waitcnt lgkmcnt(0)
	s_cselect_b32 s18, s9, s31
	s_cselect_b32 s21, s8, s30
	s_mul_hi_i32 s9, s11, s6
	s_mul_i32 s8, s11, s6
	s_lshl_b64 s[8:9], s[8:9], 1
	s_add_u32 s24, s21, s8
	s_addc_u32 s18, s18, s9
	s_and_b64 s[8:9], vcc, exec
	s_mov_b32 s11, 0x20000
	s_cselect_b32 s8, s26, s12
	s_cselect_b32 s9, s27, s13
	s_and_b32 s25, s18, 0xffff
	s_mov_b32 s26, s10
	s_mov_b32 s27, s11
	s_and_b32 s9, s9, 0xffff
	buffer_load_dwordx4 v[14:17], v19, s[24:27], 0 offen
	buffer_load_dwordx4 v[10:13], v19, s[24:27], 16 offen
	;; [unrolled: 1-line block ×4, first 2 shown]
.LBB740_3:
	s_or_b64 exec, exec, s[0:1]
	v_mov_b32_e32 v19, 0
	v_mov_b32_e32 v22, 0
	;; [unrolled: 1-line block ×15, first 2 shown]
	s_and_saveexec_b64 s[0:1], s[2:3]
	s_cbranch_execz .LBB740_5
; %bb.4:
	s_waitcnt vmcnt(3)
	v_cvt_f32_u32_sdwa v18, v14 dst_sel:DWORD dst_unused:UNUSED_PAD src0_sel:WORD_0
	v_cvt_f32_u32_sdwa v19, v14 dst_sel:DWORD dst_unused:UNUSED_PAD src0_sel:WORD_1
	v_cvt_f32_u32_sdwa v22, v15 dst_sel:DWORD dst_unused:UNUSED_PAD src0_sel:WORD_0
	v_cvt_f32_u32_sdwa v23, v15 dst_sel:DWORD dst_unused:UNUSED_PAD src0_sel:WORD_1
	;; [unrolled: 2-line block ×4, first 2 shown]
	s_waitcnt vmcnt(2)
	v_cvt_f32_u32_sdwa v24, v10 dst_sel:DWORD dst_unused:UNUSED_PAD src0_sel:WORD_0
	v_cvt_f32_u32_sdwa v25, v10 dst_sel:DWORD dst_unused:UNUSED_PAD src0_sel:WORD_1
	v_cvt_f32_u32_sdwa v32, v11 dst_sel:DWORD dst_unused:UNUSED_PAD src0_sel:WORD_0
	v_cvt_f32_u32_sdwa v33, v11 dst_sel:DWORD dst_unused:UNUSED_PAD src0_sel:WORD_1
	;; [unrolled: 2-line block ×4, first 2 shown]
.LBB740_5:
	s_or_b64 exec, exec, s[0:1]
	s_waitcnt vmcnt(2)
	v_mul_f32_e32 v10, v19, v19
	v_fmac_f32_e32 v10, v18, v18
	v_fmac_f32_e32 v10, v22, v22
	;; [unrolled: 1-line block ×15, first 2 shown]
	v_and_b32_e32 v12, 63, v0
	v_cmp_eq_u32_e64 s[0:1], 63, v12
	v_mov_b32_dpp v11, v10 quad_perm:[1,0,3,2] row_mask:0xf bank_mask:0xf
	v_add_f32_e32 v10, v10, v11
	s_nop 1
	v_mov_b32_dpp v11, v10 quad_perm:[2,3,0,1] row_mask:0xf bank_mask:0xf
	v_add_f32_e32 v10, v10, v11
	s_nop 1
	v_mov_b32_dpp v11, v10 row_half_mirror row_mask:0xf bank_mask:0xf
	v_add_f32_e32 v10, v10, v11
	s_nop 1
	v_mov_b32_dpp v11, v10 row_mirror row_mask:0xf bank_mask:0xf
	v_add_f32_e32 v10, v10, v11
	s_nop 1
	v_mov_b32_dpp v11, v10 row_bcast:15 row_mask:0xf bank_mask:0xf
	v_add_f32_e32 v10, v10, v11
	s_nop 1
	v_mov_b32_dpp v11, v10 row_bcast:31 row_mask:0xf bank_mask:0xf
	s_and_saveexec_b64 s[8:9], s[0:1]
	s_cbranch_execz .LBB740_7
; %bb.6:
	v_add_f32_e32 v10, v10, v11
	v_lshrrev_b32_e32 v11, 4, v0
	v_and_b32_e32 v11, 60, v11
	ds_write_b32 v11, v10 offset:8
.LBB740_7:
	s_or_b64 exec, exec, s[8:9]
	v_and_b32_e32 v10, 1, v0
	v_lshlrev_b32_e32 v34, 2, v10
	s_waitcnt lgkmcnt(0)
	s_barrier
	ds_read_b32 v11, v34 offset:8
	s_load_dwordx2 s[28:29], s[4:5], 0x18
	s_waitcnt lgkmcnt(0)
	v_mov_b32_dpp v12, v11 quad_perm:[1,0,3,2] row_mask:0xf bank_mask:0xf
	s_and_saveexec_b64 s[8:9], s[2:3]
	s_cbranch_execz .LBB740_9
; %bb.8:
	v_cvt_f32_u32_e32 v13, s7
	v_add_f32_e32 v11, v11, v12
	v_mov_b32_e32 v15, s17
	v_mov_b32_e32 v16, s16
	v_div_scale_f32 v12, s[24:25], v13, v13, v11
	v_rcp_f32_e32 v14, v12
	v_cndmask_b32_e32 v15, v15, v16, vcc
	s_mov_b32 s7, 0x800000
	v_fma_f32 v16, -v12, v14, 1.0
	v_fmac_f32_e32 v14, v16, v14
	v_div_scale_f32 v16, vcc, v11, v13, v11
	v_mul_f32_e32 v17, v16, v14
	v_fma_f32 v35, -v12, v17, v16
	v_fmac_f32_e32 v17, v35, v14
	v_fma_f32 v12, -v12, v17, v16
	v_div_fmas_f32 v12, v12, v14, v17
	v_div_fixup_f32 v11, v12, v13, v11
	v_add_f32_e32 v11, v15, v11
	v_mul_f32_e32 v12, 0x4b800000, v11
	v_cmp_gt_f32_e32 vcc, s7, v11
	v_cndmask_b32_e32 v11, v11, v12, vcc
	v_rsq_f32_e32 v11, v11
	v_mul_f32_e32 v12, 0x45800000, v11
	v_cndmask_b32_e32 v12, v11, v12, vcc
	v_mov_b32_e32 v13, v12
	;;#ASMSTART
	v_pk_mul_f32 v[14:15], v[18:19], v[12:13]
	;;#ASMEND
	s_waitcnt vmcnt(1)
	v_cvt_f32_u32_sdwa v19, v6 dst_sel:DWORD dst_unused:UNUSED_PAD src0_sel:WORD_1
	v_cvt_f32_u32_sdwa v18, v6 dst_sel:DWORD dst_unused:UNUSED_PAD src0_sel:WORD_0
	;;#ASMSTART
	v_pk_mul_f32 v[16:17], v[22:23], v[12:13]
	;;#ASMEND
	v_cvt_f32_u32_sdwa v23, v7 dst_sel:DWORD dst_unused:UNUSED_PAD src0_sel:WORD_1
	v_cvt_f32_u32_sdwa v22, v7 dst_sel:DWORD dst_unused:UNUSED_PAD src0_sel:WORD_0
	;;#ASMSTART
	v_pk_mul_f32 v[20:21], v[20:21], v[12:13]
	;;#ASMEND
	;;#ASMSTART
	v_pk_mul_f32 v[28:29], v[28:29], v[12:13]
	;;#ASMEND
	;; [unrolled: 3-line block ×6, first 2 shown]
	v_pk_add_f32 v[12:13], v[18:19], 1.0 op_sel_hi:[1,0]
	;;#ASMSTART
	v_pk_mul_f32 v[18:19], v[14:15], v[12:13]
	;;#ASMEND
	v_cvt_f32_u32_sdwa v15, v8 dst_sel:DWORD dst_unused:UNUSED_PAD src0_sel:WORD_1
	v_cvt_f32_u32_sdwa v14, v8 dst_sel:DWORD dst_unused:UNUSED_PAD src0_sel:WORD_0
	v_cvt_f32_u32_sdwa v27, v9 dst_sel:DWORD dst_unused:UNUSED_PAD src0_sel:WORD_1
	v_cvt_f32_u32_sdwa v26, v9 dst_sel:DWORD dst_unused:UNUSED_PAD src0_sel:WORD_0
	v_pk_add_f32 v[12:13], v[22:23], 1.0 op_sel_hi:[1,0]
	;;#ASMSTART
	v_pk_mul_f32 v[22:23], v[16:17], v[12:13]
	;;#ASMEND
	s_waitcnt vmcnt(0)
	v_cvt_f32_u32_sdwa v13, v2 dst_sel:DWORD dst_unused:UNUSED_PAD src0_sel:WORD_1
	v_cvt_f32_u32_sdwa v12, v2 dst_sel:DWORD dst_unused:UNUSED_PAD src0_sel:WORD_0
	v_pk_add_f32 v[8:9], v[14:15], 1.0 op_sel_hi:[1,0]
	;;#ASMSTART
	v_pk_mul_f32 v[20:21], v[20:21], v[8:9]
	;;#ASMEND
	v_pk_add_f32 v[8:9], v[26:27], 1.0 op_sel_hi:[1,0]
	v_cvt_f32_u32_sdwa v15, v3 dst_sel:DWORD dst_unused:UNUSED_PAD src0_sel:WORD_1
	v_cvt_f32_u32_sdwa v14, v3 dst_sel:DWORD dst_unused:UNUSED_PAD src0_sel:WORD_0
	;;#ASMSTART
	v_pk_mul_f32 v[28:29], v[28:29], v[8:9]
	;;#ASMEND
	v_cvt_f32_u32_sdwa v9, v4 dst_sel:DWORD dst_unused:UNUSED_PAD src0_sel:WORD_1
	v_cvt_f32_u32_sdwa v8, v4 dst_sel:DWORD dst_unused:UNUSED_PAD src0_sel:WORD_0
	v_pk_add_f32 v[2:3], v[12:13], 1.0 op_sel_hi:[1,0]
	v_cvt_f32_u32_sdwa v13, v5 dst_sel:DWORD dst_unused:UNUSED_PAD src0_sel:WORD_1
	v_cvt_f32_u32_sdwa v12, v5 dst_sel:DWORD dst_unused:UNUSED_PAD src0_sel:WORD_0
	;;#ASMSTART
	v_pk_mul_f32 v[24:25], v[24:25], v[2:3]
	;;#ASMEND
	v_pk_add_f32 v[2:3], v[14:15], 1.0 op_sel_hi:[1,0]
	;;#ASMSTART
	v_pk_mul_f32 v[32:33], v[32:33], v[2:3]
	;;#ASMEND
	v_pk_add_f32 v[2:3], v[8:9], 1.0 op_sel_hi:[1,0]
	;; [unrolled: 4-line block ×3, first 2 shown]
	;;#ASMSTART
	v_pk_mul_f32 v[26:27], v[6:7], v[2:3]
	;;#ASMEND
.LBB740_9:
	s_or_b64 exec, exec, s[8:9]
	s_load_dword s7, s[4:5], 0x80
	s_mov_b64 s[8:9], -1
	s_and_b64 vcc, exec, s[14:15]
	s_cbranch_vccnz .LBB740_13
; %bb.10:
	s_andn2_b64 vcc, exec, s[8:9]
	s_cbranch_vccz .LBB740_16
.LBB740_11:
	s_cmp_lt_i32 s20, 1
	s_cbranch_scc0 .LBB740_23
.LBB740_12:
	s_endpgm
.LBB740_13:
	s_and_saveexec_b64 s[14:15], s[2:3]
	s_cbranch_execz .LBB740_15
; %bb.14:
	s_waitcnt lgkmcnt(0)
	s_mul_hi_i32 s9, s7, s6
	s_mul_i32 s8, s7, s6
	s_lshl_b64 s[8:9], s[8:9], 1
	s_add_u32 s8, s28, s8
	s_addc_u32 s9, s29, s9
	s_mov_b32 s16, 0x7060302
	s_and_b32 s9, s9, 0xffff
	s_mov_b32 s11, 0x20000
	s_waitcnt vmcnt(0)
	v_perm_b32 v5, v29, v28, s16
	v_perm_b32 v4, v21, v20, s16
	;; [unrolled: 1-line block ×4, first 2 shown]
	v_lshlrev_b32_e32 v6, 5, v0
	buffer_store_dwordx4 v[2:5], v6, s[8:11], 0 offen
	;;#ASMSTART
	s_nop 0
	;;#ASMEND
	s_nop 0
	v_perm_b32 v5, v27, v26, s16
	v_perm_b32 v4, v31, v30, s16
	;; [unrolled: 1-line block ×4, first 2 shown]
	buffer_store_dwordx4 v[2:5], v6, s[8:11], 16 offen
	;;#ASMSTART
	s_nop 0
	;;#ASMEND
.LBB740_15:
	s_or_b64 exec, exec, s[14:15]
	s_cbranch_execnz .LBB740_11
.LBB740_16:
	s_waitcnt vmcnt(0)
	v_mov_b32_e32 v2, 0
	s_and_saveexec_b64 s[8:9], s[2:3]
	s_cbranch_execz .LBB740_18
; %bb.17:
	v_and_b32_e32 v2, 0x7fffffff, v18
	v_and_b32_e32 v3, 0x7fffffff, v19
	v_mov_b32_e32 v4, 0x2edbe6ff
	;;#ASMSTART
	v_max3_f32 v2, v4, v2, v3

	;;#ASMEND
	v_and_b32_e32 v3, 0x7fffffff, v22
	v_and_b32_e32 v4, 0x7fffffff, v23
	;;#ASMSTART
	v_max3_f32 v2, v2, v3, v4

	;;#ASMEND
	v_and_b32_e32 v3, 0x7fffffff, v20
	v_and_b32_e32 v4, 0x7fffffff, v21
	;; [unrolled: 6-line block ×7, first 2 shown]
	;;#ASMSTART
	v_max3_f32 v2, v2, v3, v4

	;;#ASMEND
.LBB740_18:
	s_or_b64 exec, exec, s[8:9]
	s_load_dwordx4 s[24:27], s[4:5], 0x70
	v_cmp_eq_u32_e32 vcc, 0, v10
	v_cmp_gt_i32_e64 s[8:9], s19, v1
	s_and_b64 s[10:11], vcc, s[8:9]
	;;#ASMSTART
	v_max_f32 v3, v2, v2 quad_perm:[1,0,3,2] row_mask:0xf bank_mask:0xf bound_ctrl:1
	;;#ASMEND
	s_and_saveexec_b64 s[8:9], s[10:11]
	s_cbranch_execz .LBB740_20
; %bb.19:
	s_load_dwordx2 s[10:11], s[4:5], 0x8
	v_mul_f32_e32 v2, 0x3e2aaaab, v3
	v_lshrrev_b32_e32 v3, 23, v2
	v_and_b32_e32 v4, 0x7f800000, v2
	v_and_b32_e32 v2, 0x7fffff, v2
	v_cmp_ne_u32_e32 vcc, 0, v2
	s_waitcnt lgkmcnt(0)
	s_mul_i32 s16, s25, s6
	s_mov_b32 s14, 0x7f800000
	v_addc_co_u32_e32 v2, vcc, 0, v3, vcc
	s_mul_hi_i32 s15, s25, s6
	s_add_u32 s10, s10, s16
	v_cmp_ne_u32_e32 vcc, s14, v4
	s_addc_u32 s11, s11, s15
	v_lshrrev_b32_e32 v5, 1, v0
	v_cndmask_b32_e32 v4, -1, v2, vcc
	v_pk_mov_b32 v[2:3], s[10:11], s[10:11] op_sel:[0,1]
	v_mad_i64_i32 v[2:3], s[10:11], s26, v5, v[2:3]
	global_store_byte v[2:3], v4, off
.LBB740_20:
	s_or_b64 exec, exec, s[8:9]
	s_and_saveexec_b64 s[8:9], s[2:3]
	s_cbranch_execz .LBB740_22
; %bb.21:
	s_load_dwordx2 s[2:3], s[4:5], 0x0
	s_waitcnt lgkmcnt(0)
	s_mul_i32 s11, s24, s6
	s_mul_hi_i32 s10, s24, s6
	v_mov_b32_e32 v2, 0
	v_lshlrev_b32_e32 v4, 3, v0
	s_add_u32 s24, s2, s11
	s_addc_u32 s2, s3, s10
	s_lshr_b32 s3, s19, 31
	s_add_i32 s3, s19, s3
	s_ashr_i32 s3, s3, 1
	s_add_i32 s3, s3, 3
	s_ashr_i32 s10, s3, 31
	s_lshr_b32 s10, s10, 30
	s_add_i32 s3, s3, s10
	s_and_b32 s26, s3, -4
	s_and_b32 s25, s2, 0xffff
	s_mov_b32 s27, 0x20000
	v_mov_b32_e32 v3, v2
	buffer_store_dwordx2 v[2:3], v4, s[24:27], 0 offen
	;;#ASMSTART
	s_nop 0
	;;#ASMEND
.LBB740_22:
	s_or_b64 exec, exec, s[8:9]
	s_cmp_lt_i32 s20, 1
	s_cbranch_scc1 .LBB740_12
.LBB740_23:
	s_load_dword s2, s[4:5], 0x94
	s_waitcnt lgkmcnt(0)
	s_cmp_lg_u32 s2, 1
	s_cbranch_scc1 .LBB740_12
; %bb.24:
	s_lshl_b32 s2, s20, 1
	s_add_i32 s2, s2, 2
	v_cmp_gt_u32_e32 vcc, s20, v1
	s_and_b32 s14, s2, -4
	v_mov_b32_e32 v18, 0
	v_lshlrev_b32_e32 v1, 5, v0
	v_mov_b32_e32 v14, 0
	v_mov_b32_e32 v15, 0
	;; [unrolled: 1-line block ×8, first 2 shown]
	s_waitcnt vmcnt(1)
	v_mov_b32_e32 v6, 0
	v_mov_b32_e32 v7, 0
	;; [unrolled: 1-line block ×4, first 2 shown]
	s_waitcnt vmcnt(0)
	v_mov_b32_e32 v2, 0
	v_mov_b32_e32 v3, 0
	;; [unrolled: 1-line block ×4, first 2 shown]
	s_barrier
	s_and_saveexec_b64 s[2:3], vcc
	s_cbranch_execz .LBB740_26
; %bb.25:
	s_mul_hi_i32 s5, s22, s6
	s_mul_i32 s4, s22, s6
	s_and_b32 s13, s13, 0xffff
	s_lshl_b64 s[4:5], s[4:5], 1
	s_add_u32 s8, s30, s4
	s_mov_b32 s15, 0x20000
	s_addc_u32 s4, s31, s5
	s_and_b32 s9, s4, 0xffff
	s_mov_b32 s10, s14
	s_mov_b32 s11, s15
	buffer_load_dwordx4 v[14:17], v1, s[8:11], 0 offen
	buffer_load_dwordx4 v[10:13], v1, s[8:11], 16 offen
	buffer_load_dwordx4 v[6:9], v1, s[12:15], 0 offen
	buffer_load_dwordx4 v[2:5], v1, s[12:15], 16 offen
.LBB740_26:
	s_or_b64 exec, exec, s[2:3]
	v_mov_b32_e32 v19, 0
	v_mov_b32_e32 v32, 0
	;; [unrolled: 1-line block ×15, first 2 shown]
	s_and_saveexec_b64 s[2:3], vcc
	s_cbranch_execz .LBB740_28
; %bb.27:
	s_waitcnt vmcnt(3)
	v_cvt_f32_u32_sdwa v18, v14 dst_sel:DWORD dst_unused:UNUSED_PAD src0_sel:WORD_0
	v_cvt_f32_u32_sdwa v19, v14 dst_sel:DWORD dst_unused:UNUSED_PAD src0_sel:WORD_1
	v_cvt_f32_u32_sdwa v32, v15 dst_sel:DWORD dst_unused:UNUSED_PAD src0_sel:WORD_0
	v_cvt_f32_u32_sdwa v33, v15 dst_sel:DWORD dst_unused:UNUSED_PAD src0_sel:WORD_1
	;; [unrolled: 2-line block ×4, first 2 shown]
	s_waitcnt vmcnt(2)
	v_cvt_f32_u32_sdwa v26, v10 dst_sel:DWORD dst_unused:UNUSED_PAD src0_sel:WORD_0
	v_cvt_f32_u32_sdwa v27, v10 dst_sel:DWORD dst_unused:UNUSED_PAD src0_sel:WORD_1
	v_cvt_f32_u32_sdwa v24, v11 dst_sel:DWORD dst_unused:UNUSED_PAD src0_sel:WORD_0
	v_cvt_f32_u32_sdwa v25, v11 dst_sel:DWORD dst_unused:UNUSED_PAD src0_sel:WORD_1
	;; [unrolled: 2-line block ×4, first 2 shown]
.LBB740_28:
	s_or_b64 exec, exec, s[2:3]
	s_waitcnt vmcnt(2)
	v_mul_f32_e32 v10, v19, v19
	v_fmac_f32_e32 v10, v18, v18
	v_fmac_f32_e32 v10, v32, v32
	;; [unrolled: 1-line block ×15, first 2 shown]
	s_nop 1
	v_mov_b32_dpp v11, v10 quad_perm:[1,0,3,2] row_mask:0xf bank_mask:0xf
	v_add_f32_e32 v10, v10, v11
	s_nop 1
	v_mov_b32_dpp v11, v10 quad_perm:[2,3,0,1] row_mask:0xf bank_mask:0xf
	v_add_f32_e32 v10, v10, v11
	s_nop 1
	v_mov_b32_dpp v11, v10 row_half_mirror row_mask:0xf bank_mask:0xf
	v_add_f32_e32 v10, v10, v11
	s_nop 1
	v_mov_b32_dpp v11, v10 row_mirror row_mask:0xf bank_mask:0xf
	v_add_f32_e32 v10, v10, v11
	s_nop 1
	v_mov_b32_dpp v11, v10 row_bcast:15 row_mask:0xf bank_mask:0xf
	v_add_f32_e32 v10, v10, v11
	s_nop 1
	v_mov_b32_dpp v11, v10 row_bcast:31 row_mask:0xf bank_mask:0xf
	s_and_saveexec_b64 s[2:3], s[0:1]
	s_cbranch_execz .LBB740_30
; %bb.29:
	v_lshrrev_b32_e32 v0, 4, v0
	v_add_f32_e32 v10, v10, v11
	v_and_b32_e32 v0, 60, v0
	ds_write_b32 v0, v10
.LBB740_30:
	s_or_b64 exec, exec, s[2:3]
	s_waitcnt lgkmcnt(0)
	s_barrier
	ds_read_b32 v0, v34
	s_waitcnt lgkmcnt(0)
	s_nop 0
	v_mov_b32_dpp v10, v0 quad_perm:[1,0,3,2] row_mask:0xf bank_mask:0xf
	s_and_saveexec_b64 s[0:1], vcc
	s_cbranch_execz .LBB740_12
; %bb.31:
	v_cvt_f32_u32_e32 v11, s20
	v_add_f32_e32 v0, v0, v10
	s_mov_b32 s15, 0x20000
	v_div_scale_f32 v10, s[0:1], v11, v11, v0
	v_rcp_f32_e32 v12, v10
	v_div_scale_f32 v13, vcc, v0, v11, v0
	s_mov_b32 s0, 0x800000
	v_fma_f32 v14, -v10, v12, 1.0
	v_fmac_f32_e32 v12, v14, v12
	v_mul_f32_e32 v14, v13, v12
	v_fma_f32 v15, -v10, v14, v13
	v_fmac_f32_e32 v14, v15, v12
	v_fma_f32 v10, -v10, v14, v13
	v_div_fmas_f32 v10, v10, v12, v14
	v_div_fixup_f32 v0, v10, v11, v0
	v_add_f32_e32 v0, s17, v0
	v_mul_f32_e32 v10, 0x4b800000, v0
	v_cmp_gt_f32_e32 vcc, s0, v0
	v_cndmask_b32_e32 v0, v0, v10, vcc
	v_rsq_f32_e32 v0, v0
	s_mul_hi_i32 s1, s7, s6
	s_mul_i32 s0, s7, s6
	s_lshl_b64 s[0:1], s[0:1], 1
	v_mul_f32_e32 v10, 0x45800000, v0
	v_cndmask_b32_e32 v10, v0, v10, vcc
	v_mov_b32_e32 v11, v10
	;;#ASMSTART
	v_pk_mul_f32 v[12:13], v[18:19], v[10:11]
	;;#ASMEND
	;;#ASMSTART
	v_pk_mul_f32 v[14:15], v[32:33], v[10:11]
	;;#ASMEND
	;; [unrolled: 3-line block ×4, first 2 shown]
	s_waitcnt vmcnt(1)
	v_cvt_f32_u32_sdwa v29, v6 dst_sel:DWORD dst_unused:UNUSED_PAD src0_sel:WORD_1
	v_cvt_f32_u32_sdwa v28, v6 dst_sel:DWORD dst_unused:UNUSED_PAD src0_sel:WORD_0
	v_cvt_f32_u32_sdwa v31, v7 dst_sel:DWORD dst_unused:UNUSED_PAD src0_sel:WORD_1
	v_cvt_f32_u32_sdwa v30, v7 dst_sel:DWORD dst_unused:UNUSED_PAD src0_sel:WORD_0
	;;#ASMSTART
	v_pk_mul_f32 v[26:27], v[26:27], v[10:11]
	;;#ASMEND
	;;#ASMSTART
	v_pk_mul_f32 v[24:25], v[24:25], v[10:11]
	;;#ASMEND
	;; [unrolled: 3-line block ×4, first 2 shown]
	v_cvt_f32_u32_sdwa v21, v8 dst_sel:DWORD dst_unused:UNUSED_PAD src0_sel:WORD_1
	v_cvt_f32_u32_sdwa v20, v8 dst_sel:DWORD dst_unused:UNUSED_PAD src0_sel:WORD_0
	v_pk_add_f32 v[10:11], v[28:29], 1.0 op_sel_hi:[1,0]
	;;#ASMSTART
	v_pk_mul_f32 v[10:11], v[12:13], v[10:11]
	;;#ASMEND
	v_pk_add_f32 v[12:13], v[30:31], 1.0 op_sel_hi:[1,0]
	v_cvt_f32_u32_sdwa v29, v9 dst_sel:DWORD dst_unused:UNUSED_PAD src0_sel:WORD_1
	v_cvt_f32_u32_sdwa v28, v9 dst_sel:DWORD dst_unused:UNUSED_PAD src0_sel:WORD_0
	;;#ASMSTART
	v_pk_mul_f32 v[8:9], v[14:15], v[12:13]
	;;#ASMEND
	v_pk_add_f32 v[12:13], v[20:21], 1.0 op_sel_hi:[1,0]
	;;#ASMSTART
	v_pk_mul_f32 v[12:13], v[16:17], v[12:13]
	;;#ASMEND
	s_waitcnt vmcnt(0)
	v_cvt_f32_u32_sdwa v17, v2 dst_sel:DWORD dst_unused:UNUSED_PAD src0_sel:WORD_1
	v_cvt_f32_u32_sdwa v16, v2 dst_sel:DWORD dst_unused:UNUSED_PAD src0_sel:WORD_0
	v_cvt_f32_u32_sdwa v21, v3 dst_sel:DWORD dst_unused:UNUSED_PAD src0_sel:WORD_1
	v_cvt_f32_u32_sdwa v20, v3 dst_sel:DWORD dst_unused:UNUSED_PAD src0_sel:WORD_0
	v_pk_add_f32 v[14:15], v[28:29], 1.0 op_sel_hi:[1,0]
	;;#ASMSTART
	v_pk_mul_f32 v[14:15], v[18:19], v[14:15]
	;;#ASMEND
	v_pk_add_f32 v[2:3], v[16:17], 1.0 op_sel_hi:[1,0]
	v_cvt_f32_u32_sdwa v19, v4 dst_sel:DWORD dst_unused:UNUSED_PAD src0_sel:WORD_1
	v_cvt_f32_u32_sdwa v18, v4 dst_sel:DWORD dst_unused:UNUSED_PAD src0_sel:WORD_0
	;;#ASMSTART
	v_pk_mul_f32 v[16:17], v[26:27], v[2:3]
	;;#ASMEND
	v_pk_add_f32 v[2:3], v[20:21], 1.0 op_sel_hi:[1,0]
	v_cvt_f32_u32_sdwa v21, v5 dst_sel:DWORD dst_unused:UNUSED_PAD src0_sel:WORD_1
	v_cvt_f32_u32_sdwa v20, v5 dst_sel:DWORD dst_unused:UNUSED_PAD src0_sel:WORD_0
	s_add_u32 s12, s28, s0
	;;#ASMSTART
	v_pk_mul_f32 v[24:25], v[24:25], v[2:3]
	;;#ASMEND
	v_pk_add_f32 v[2:3], v[18:19], 1.0 op_sel_hi:[1,0]
	s_addc_u32 s0, s29, s1
	;;#ASMSTART
	v_pk_mul_f32 v[18:19], v[22:23], v[2:3]
	;;#ASMEND
	v_pk_add_f32 v[2:3], v[20:21], 1.0 op_sel_hi:[1,0]
	s_and_b32 s13, s0, 0xffff
	s_mov_b32 s0, 0x7060302
	;;#ASMSTART
	v_pk_mul_f32 v[6:7], v[6:7], v[2:3]
	;;#ASMEND
	v_perm_b32 v2, v11, v10, s0
	v_perm_b32 v3, v9, v8, s0
	v_perm_b32 v4, v13, v12, s0
	v_perm_b32 v5, v15, v14, s0
	buffer_store_dwordx4 v[2:5], v1, s[12:15], 0 offen
	;;#ASMSTART
	s_nop 0
	;;#ASMEND
	s_nop 0
	v_perm_b32 v2, v17, v16, s0
	v_perm_b32 v3, v25, v24, s0
	;; [unrolled: 1-line block ×4, first 2 shown]
	buffer_store_dwordx4 v[2:5], v1, s[12:15], 16 offen
	;;#ASMSTART
	s_nop 0
	;;#ASMEND
	s_endpgm
	.section	.rodata,"a",@progbits
	.p2align	6, 0x0
	.amdhsa_kernel _ZN5aiter35fused_qk_rmsnorm_group_quant_kernelItN4opus5fp4_tELi128ELi16ELi2ELb0ELb0ELb1ELb0ELb0ELb0EEEvPT0_PvPT_S7_S7_PKS6_S9_S9_S9_S9_ffiiiiiiiiiiiii
		.amdhsa_group_segment_fixed_size 16
		.amdhsa_private_segment_fixed_size 0
		.amdhsa_kernarg_size 400
		.amdhsa_user_sgpr_count 6
		.amdhsa_user_sgpr_private_segment_buffer 1
		.amdhsa_user_sgpr_dispatch_ptr 0
		.amdhsa_user_sgpr_queue_ptr 0
		.amdhsa_user_sgpr_kernarg_segment_ptr 1
		.amdhsa_user_sgpr_dispatch_id 0
		.amdhsa_user_sgpr_flat_scratch_init 0
		.amdhsa_user_sgpr_kernarg_preload_length 0
		.amdhsa_user_sgpr_kernarg_preload_offset 0
		.amdhsa_user_sgpr_private_segment_size 0
		.amdhsa_uses_dynamic_stack 0
		.amdhsa_system_sgpr_private_segment_wavefront_offset 0
		.amdhsa_system_sgpr_workgroup_id_x 1
		.amdhsa_system_sgpr_workgroup_id_y 1
		.amdhsa_system_sgpr_workgroup_id_z 0
		.amdhsa_system_sgpr_workgroup_info 0
		.amdhsa_system_vgpr_workitem_id 0
		.amdhsa_next_free_vgpr 36
		.amdhsa_next_free_sgpr 32
		.amdhsa_accum_offset 36
		.amdhsa_reserve_vcc 1
		.amdhsa_reserve_flat_scratch 0
		.amdhsa_float_round_mode_32 0
		.amdhsa_float_round_mode_16_64 0
		.amdhsa_float_denorm_mode_32 3
		.amdhsa_float_denorm_mode_16_64 3
		.amdhsa_dx10_clamp 1
		.amdhsa_ieee_mode 1
		.amdhsa_fp16_overflow 0
		.amdhsa_tg_split 0
		.amdhsa_exception_fp_ieee_invalid_op 0
		.amdhsa_exception_fp_denorm_src 0
		.amdhsa_exception_fp_ieee_div_zero 0
		.amdhsa_exception_fp_ieee_overflow 0
		.amdhsa_exception_fp_ieee_underflow 0
		.amdhsa_exception_fp_ieee_inexact 0
		.amdhsa_exception_int_div_zero 0
	.end_amdhsa_kernel
	.section	.text._ZN5aiter35fused_qk_rmsnorm_group_quant_kernelItN4opus5fp4_tELi128ELi16ELi2ELb0ELb0ELb1ELb0ELb0ELb0EEEvPT0_PvPT_S7_S7_PKS6_S9_S9_S9_S9_ffiiiiiiiiiiiii,"axG",@progbits,_ZN5aiter35fused_qk_rmsnorm_group_quant_kernelItN4opus5fp4_tELi128ELi16ELi2ELb0ELb0ELb1ELb0ELb0ELb0EEEvPT0_PvPT_S7_S7_PKS6_S9_S9_S9_S9_ffiiiiiiiiiiiii,comdat
.Lfunc_end740:
	.size	_ZN5aiter35fused_qk_rmsnorm_group_quant_kernelItN4opus5fp4_tELi128ELi16ELi2ELb0ELb0ELb1ELb0ELb0ELb0EEEvPT0_PvPT_S7_S7_PKS6_S9_S9_S9_S9_ffiiiiiiiiiiiii, .Lfunc_end740-_ZN5aiter35fused_qk_rmsnorm_group_quant_kernelItN4opus5fp4_tELi128ELi16ELi2ELb0ELb0ELb1ELb0ELb0ELb0EEEvPT0_PvPT_S7_S7_PKS6_S9_S9_S9_S9_ffiiiiiiiiiiiii
                                        ; -- End function
	.section	.AMDGPU.csdata,"",@progbits
; Kernel info:
; codeLenInByte = 3220
; NumSgprs: 36
; NumVgprs: 36
; NumAgprs: 0
; TotalNumVgprs: 36
; ScratchSize: 0
; MemoryBound: 0
; FloatMode: 240
; IeeeMode: 1
; LDSByteSize: 16 bytes/workgroup (compile time only)
; SGPRBlocks: 4
; VGPRBlocks: 4
; NumSGPRsForWavesPerEU: 36
; NumVGPRsForWavesPerEU: 36
; AccumOffset: 36
; Occupancy: 8
; WaveLimiterHint : 0
; COMPUTE_PGM_RSRC2:SCRATCH_EN: 0
; COMPUTE_PGM_RSRC2:USER_SGPR: 6
; COMPUTE_PGM_RSRC2:TRAP_HANDLER: 0
; COMPUTE_PGM_RSRC2:TGID_X_EN: 1
; COMPUTE_PGM_RSRC2:TGID_Y_EN: 1
; COMPUTE_PGM_RSRC2:TGID_Z_EN: 0
; COMPUTE_PGM_RSRC2:TIDIG_COMP_CNT: 0
; COMPUTE_PGM_RSRC3_GFX90A:ACCUM_OFFSET: 8
; COMPUTE_PGM_RSRC3_GFX90A:TG_SPLIT: 0
	.section	.text._ZN5aiter35fused_qk_rmsnorm_group_quant_kernelIDF16_DB8_Li128ELi16ELi2ELb0ELb0ELb0ELb0ELb0ELb0EEEvPT0_PvPT_S6_S6_PKS5_S8_S8_S8_S8_ffiiiiiiiiiiiii,"axG",@progbits,_ZN5aiter35fused_qk_rmsnorm_group_quant_kernelIDF16_DB8_Li128ELi16ELi2ELb0ELb0ELb0ELb0ELb0ELb0EEEvPT0_PvPT_S6_S6_PKS5_S8_S8_S8_S8_ffiiiiiiiiiiiii,comdat
	.protected	_ZN5aiter35fused_qk_rmsnorm_group_quant_kernelIDF16_DB8_Li128ELi16ELi2ELb0ELb0ELb0ELb0ELb0ELb0EEEvPT0_PvPT_S6_S6_PKS5_S8_S8_S8_S8_ffiiiiiiiiiiiii ; -- Begin function _ZN5aiter35fused_qk_rmsnorm_group_quant_kernelIDF16_DB8_Li128ELi16ELi2ELb0ELb0ELb0ELb0ELb0ELb0EEEvPT0_PvPT_S6_S6_PKS5_S8_S8_S8_S8_ffiiiiiiiiiiiii
	.globl	_ZN5aiter35fused_qk_rmsnorm_group_quant_kernelIDF16_DB8_Li128ELi16ELi2ELb0ELb0ELb0ELb0ELb0ELb0EEEvPT0_PvPT_S6_S6_PKS5_S8_S8_S8_S8_ffiiiiiiiiiiiii
	.p2align	8
	.type	_ZN5aiter35fused_qk_rmsnorm_group_quant_kernelIDF16_DB8_Li128ELi16ELi2ELb0ELb0ELb0ELb0ELb0ELb0EEEvPT0_PvPT_S6_S6_PKS5_S8_S8_S8_S8_ffiiiiiiiiiiiii,@function
_ZN5aiter35fused_qk_rmsnorm_group_quant_kernelIDF16_DB8_Li128ELi16ELi2ELb0ELb0ELb0ELb0ELb0ELb0EEEvPT0_PvPT_S6_S6_PKS5_S8_S8_S8_S8_ffiiiiiiiiiiiii: ; @_ZN5aiter35fused_qk_rmsnorm_group_quant_kernelIDF16_DB8_Li128ELi16ELi2ELb0ELb0ELb0ELb0ELb0ELb0EEEvPT0_PvPT_S6_S6_PKS5_S8_S8_S8_S8_ffiiiiiiiiiiiii
; %bb.0:
	s_load_dwordx4 s[16:19], s[4:5], 0x50
	s_waitcnt lgkmcnt(0)
	s_cmp_ge_i32 s6, s18
	s_cbranch_scc1 .LBB741_12
; %bb.1:
	s_load_dwordx2 s[12:13], s[4:5], 0x48
	s_load_dwordx2 s[30:31], s[4:5], 0x30
	s_load_dwordx4 s[20:23], s[4:5], 0x60
	s_cmp_lg_u32 s7, 0
	s_cselect_b64 s[14:15], -1, 0
	s_cmp_eq_u32 s7, 0
	s_cselect_b64 vcc, -1, 0
	s_and_b64 s[0:1], vcc, exec
	s_waitcnt lgkmcnt(0)
	s_cselect_b32 s7, s19, s20
	s_add_i32 s0, s7, 1
	s_lshr_b32 s1, s0, 31
	s_add_i32 s0, s0, s1
	s_lshl_b32 s0, s0, 1
	v_lshlrev_b32_e32 v1, 4, v0
	s_and_b32 s10, s0, -4
	v_cmp_gt_i32_e64 s[2:3], s7, v1
	v_mov_b32_e32 v18, 0
	v_mov_b32_e32 v6, 0
	;; [unrolled: 1-line block ×17, first 2 shown]
	s_and_saveexec_b64 s[0:1], s[2:3]
	s_cbranch_execz .LBB741_3
; %bb.2:
	s_load_dwordx2 s[8:9], s[4:5], 0x28
	s_load_dwordx2 s[26:27], s[4:5], 0x40
	s_and_b64 s[24:25], vcc, exec
	s_cselect_b32 s11, s21, s22
	v_lshlrev_b32_e32 v19, 5, v0
	s_waitcnt lgkmcnt(0)
	s_cselect_b32 s18, s9, s31
	s_cselect_b32 s21, s8, s30
	s_mul_hi_i32 s9, s11, s6
	s_mul_i32 s8, s11, s6
	s_lshl_b64 s[8:9], s[8:9], 1
	s_add_u32 s24, s21, s8
	s_addc_u32 s18, s18, s9
	s_and_b64 s[8:9], vcc, exec
	s_mov_b32 s11, 0x20000
	s_cselect_b32 s8, s26, s12
	s_cselect_b32 s9, s27, s13
	s_and_b32 s25, s18, 0xffff
	s_mov_b32 s26, s10
	s_mov_b32 s27, s11
	s_and_b32 s9, s9, 0xffff
	buffer_load_dwordx4 v[14:17], v19, s[24:27], 0 offen
	buffer_load_dwordx4 v[10:13], v19, s[24:27], 16 offen
	;; [unrolled: 1-line block ×4, first 2 shown]
.LBB741_3:
	s_or_b64 exec, exec, s[0:1]
	v_mov_b32_e32 v19, 0
	v_mov_b32_e32 v32, 0
	;; [unrolled: 1-line block ×15, first 2 shown]
	s_and_saveexec_b64 s[0:1], s[2:3]
	s_cbranch_execz .LBB741_5
; %bb.4:
	s_waitcnt vmcnt(3)
	v_cvt_f32_f16_sdwa v19, v14 dst_sel:DWORD dst_unused:UNUSED_PAD src0_sel:WORD_1
	v_cvt_f32_f16_e32 v18, v14
	v_cvt_f32_f16_sdwa v33, v15 dst_sel:DWORD dst_unused:UNUSED_PAD src0_sel:WORD_1
	v_cvt_f32_f16_e32 v32, v15
	;; [unrolled: 2-line block ×4, first 2 shown]
	s_waitcnt vmcnt(2)
	v_cvt_f32_f16_sdwa v31, v10 dst_sel:DWORD dst_unused:UNUSED_PAD src0_sel:WORD_1
	v_cvt_f32_f16_e32 v30, v10
	v_cvt_f32_f16_sdwa v29, v11 dst_sel:DWORD dst_unused:UNUSED_PAD src0_sel:WORD_1
	v_cvt_f32_f16_e32 v28, v11
	;; [unrolled: 2-line block ×4, first 2 shown]
.LBB741_5:
	s_or_b64 exec, exec, s[0:1]
	s_waitcnt vmcnt(2)
	v_mul_f32_e32 v10, v19, v19
	v_fmac_f32_e32 v10, v18, v18
	v_fmac_f32_e32 v10, v32, v32
	;; [unrolled: 1-line block ×15, first 2 shown]
	v_and_b32_e32 v12, 63, v0
	v_cmp_eq_u32_e64 s[0:1], 63, v12
	v_mov_b32_dpp v11, v10 quad_perm:[1,0,3,2] row_mask:0xf bank_mask:0xf
	v_add_f32_e32 v10, v10, v11
	s_nop 1
	v_mov_b32_dpp v11, v10 quad_perm:[2,3,0,1] row_mask:0xf bank_mask:0xf
	v_add_f32_e32 v10, v10, v11
	s_nop 1
	v_mov_b32_dpp v11, v10 row_half_mirror row_mask:0xf bank_mask:0xf
	v_add_f32_e32 v10, v10, v11
	s_nop 1
	v_mov_b32_dpp v11, v10 row_mirror row_mask:0xf bank_mask:0xf
	v_add_f32_e32 v10, v10, v11
	s_nop 1
	v_mov_b32_dpp v11, v10 row_bcast:15 row_mask:0xf bank_mask:0xf
	v_add_f32_e32 v10, v10, v11
	s_nop 1
	v_mov_b32_dpp v11, v10 row_bcast:31 row_mask:0xf bank_mask:0xf
	s_and_saveexec_b64 s[8:9], s[0:1]
	s_cbranch_execz .LBB741_7
; %bb.6:
	v_add_f32_e32 v10, v10, v11
	v_lshrrev_b32_e32 v11, 4, v0
	v_and_b32_e32 v11, 60, v11
	ds_write_b32 v11, v10 offset:8
.LBB741_7:
	s_or_b64 exec, exec, s[8:9]
	v_and_b32_e32 v10, 1, v0
	v_lshlrev_b32_e32 v34, 2, v10
	s_waitcnt lgkmcnt(0)
	s_barrier
	ds_read_b32 v11, v34 offset:8
	s_load_dwordx2 s[28:29], s[4:5], 0x18
	s_waitcnt lgkmcnt(0)
	v_mov_b32_dpp v12, v11 quad_perm:[1,0,3,2] row_mask:0xf bank_mask:0xf
	s_and_saveexec_b64 s[8:9], s[2:3]
	s_cbranch_execz .LBB741_9
; %bb.8:
	v_cvt_f32_u32_e32 v13, s7
	v_add_f32_e32 v11, v11, v12
	v_mov_b32_e32 v15, s17
	v_mov_b32_e32 v16, s16
	v_div_scale_f32 v12, s[24:25], v13, v13, v11
	v_rcp_f32_e32 v14, v12
	v_cndmask_b32_e32 v15, v15, v16, vcc
	s_mov_b32 s7, 0x800000
	s_waitcnt vmcnt(1)
	v_cvt_f32_f16_sdwa v37, v9 dst_sel:DWORD dst_unused:UNUSED_PAD src0_sel:WORD_1
	v_fma_f32 v16, -v12, v14, 1.0
	v_fmac_f32_e32 v14, v16, v14
	v_div_scale_f32 v16, vcc, v11, v13, v11
	v_mul_f32_e32 v17, v16, v14
	v_fma_f32 v35, -v12, v17, v16
	v_fmac_f32_e32 v17, v35, v14
	v_fma_f32 v12, -v12, v17, v16
	v_div_fmas_f32 v12, v12, v14, v17
	v_div_fixup_f32 v11, v12, v13, v11
	v_add_f32_e32 v11, v15, v11
	v_mul_f32_e32 v12, 0x4b800000, v11
	v_cmp_gt_f32_e32 vcc, s7, v11
	v_cndmask_b32_e32 v11, v11, v12, vcc
	v_rsq_f32_e32 v11, v11
	v_cvt_f32_f16_e32 v36, v9
	s_waitcnt vmcnt(0)
	v_cvt_f32_f16_sdwa v9, v3 dst_sel:DWORD dst_unused:UNUSED_PAD src0_sel:WORD_1
	v_mul_f32_e32 v12, 0x45800000, v11
	v_cndmask_b32_e32 v12, v11, v12, vcc
	v_mov_b32_e32 v13, v12
	;;#ASMSTART
	v_pk_mul_f32 v[14:15], v[18:19], v[12:13]
	;;#ASMEND
	;;#ASMSTART
	v_pk_mul_f32 v[16:17], v[32:33], v[12:13]
	;;#ASMEND
	;; [unrolled: 3-line block ×8, first 2 shown]
	v_cvt_f32_f16_sdwa v19, v6 dst_sel:DWORD dst_unused:UNUSED_PAD src0_sel:WORD_1
	v_cvt_f32_f16_e32 v18, v6
	v_cvt_f32_f16_sdwa v21, v7 dst_sel:DWORD dst_unused:UNUSED_PAD src0_sel:WORD_1
	v_cvt_f32_f16_e32 v20, v7
	;; [unrolled: 2-line block ×3, first 2 shown]
	;;#ASMSTART
	v_pk_mul_f32 v[18:19], v[14:15], v[18:19]
	;;#ASMEND
	;;#ASMSTART
	v_pk_mul_f32 v[32:33], v[16:17], v[20:21]
	;;#ASMEND
	;; [unrolled: 3-line block ×4, first 2 shown]
	v_cvt_f32_f16_sdwa v7, v2 dst_sel:DWORD dst_unused:UNUSED_PAD src0_sel:WORD_1
	v_cvt_f32_f16_e32 v6, v2
	v_cvt_f32_f16_e32 v8, v3
	v_cvt_f32_f16_sdwa v3, v4 dst_sel:DWORD dst_unused:UNUSED_PAD src0_sel:WORD_1
	v_cvt_f32_f16_e32 v2, v4
	v_cvt_f32_f16_sdwa v15, v5 dst_sel:DWORD dst_unused:UNUSED_PAD src0_sel:WORD_1
	v_cvt_f32_f16_e32 v14, v5
	;;#ASMSTART
	v_pk_mul_f32 v[30:31], v[30:31], v[6:7]
	;;#ASMEND
	;;#ASMSTART
	v_pk_mul_f32 v[28:29], v[28:29], v[8:9]
	;;#ASMEND
	;; [unrolled: 3-line block ×4, first 2 shown]
.LBB741_9:
	s_or_b64 exec, exec, s[8:9]
	s_load_dword s7, s[4:5], 0x80
	s_mov_b64 s[8:9], -1
	s_and_b64 vcc, exec, s[14:15]
	s_cbranch_vccnz .LBB741_13
; %bb.10:
	s_andn2_b64 vcc, exec, s[8:9]
	s_cbranch_vccz .LBB741_16
.LBB741_11:
	s_cmp_lt_i32 s20, 1
	s_cbranch_scc0 .LBB741_23
.LBB741_12:
	s_endpgm
.LBB741_13:
	s_and_saveexec_b64 s[14:15], s[2:3]
	s_cbranch_execz .LBB741_15
; %bb.14:
	s_waitcnt lgkmcnt(0)
	s_mul_hi_i32 s9, s7, s6
	s_mul_i32 s8, s7, s6
	s_waitcnt vmcnt(0)
	v_cvt_f16_f32_e32 v2, v18
	v_cvt_f16_f32_e32 v3, v32
	;; [unrolled: 1-line block ×8, first 2 shown]
	s_lshl_b64 s[8:9], s[8:9], 1
	s_add_u32 s8, s28, s8
	s_addc_u32 s9, s29, s9
	s_and_b32 s9, s9, 0xffff
	s_mov_b32 s11, 0x20000
	v_pack_b32_f16 v5, v5, v6
	v_pack_b32_f16 v4, v4, v7
	;; [unrolled: 1-line block ×4, first 2 shown]
	v_lshlrev_b32_e32 v6, 5, v0
	buffer_store_dwordx4 v[2:5], v6, s[8:11], 0 offen
	v_cvt_f16_f32_e32 v7, v21
	v_cvt_f16_f32_e32 v2, v30
	;; [unrolled: 1-line block ×8, first 2 shown]
	v_pack_b32_f16 v5, v5, v7
	v_pack_b32_f16 v4, v4, v8
	;; [unrolled: 1-line block ×4, first 2 shown]
	;;#ASMSTART
	s_nop 0
	;;#ASMEND
	buffer_store_dwordx4 v[2:5], v6, s[8:11], 16 offen
	;;#ASMSTART
	s_nop 0
	;;#ASMEND
.LBB741_15:
	s_or_b64 exec, exec, s[14:15]
	s_cbranch_execnz .LBB741_11
.LBB741_16:
	s_waitcnt vmcnt(0)
	v_mov_b32_e32 v2, 0
	s_and_saveexec_b64 s[8:9], s[2:3]
	s_cbranch_execz .LBB741_18
; %bb.17:
	v_and_b32_e32 v2, 0x7fffffff, v18
	v_and_b32_e32 v3, 0x7fffffff, v19
	v_mov_b32_e32 v4, 0x2edbe6ff
	;;#ASMSTART
	v_max3_f32 v2, v4, v2, v3

	;;#ASMEND
	v_and_b32_e32 v3, 0x7fffffff, v32
	v_and_b32_e32 v4, 0x7fffffff, v33
	;;#ASMSTART
	v_max3_f32 v2, v2, v3, v4

	;;#ASMEND
	v_and_b32_e32 v3, 0x7fffffff, v26
	v_and_b32_e32 v4, 0x7fffffff, v27
	;; [unrolled: 6-line block ×7, first 2 shown]
	;;#ASMSTART
	v_max3_f32 v2, v2, v3, v4

	;;#ASMEND
.LBB741_18:
	s_or_b64 exec, exec, s[8:9]
	s_load_dwordx4 s[24:27], s[4:5], 0x70
	v_cmp_eq_u32_e32 vcc, 0, v10
	v_cmp_gt_i32_e64 s[8:9], s19, v1
	;;#ASMSTART
	v_max_f32 v3, v2, v2 quad_perm:[1,0,3,2] row_mask:0xf bank_mask:0xf bound_ctrl:1
	;;#ASMEND
	v_mul_f32_e32 v2, 0x3b124925, v3
	s_and_b64 s[10:11], vcc, s[8:9]
	s_and_saveexec_b64 s[8:9], s[10:11]
	s_cbranch_execz .LBB741_20
; %bb.19:
	s_load_dwordx2 s[10:11], s[4:5], 0x8
	s_waitcnt lgkmcnt(0)
	s_mul_hi_i32 s15, s25, s6
	s_mul_i32 s14, s25, s6
	v_lshrrev_b32_e32 v3, 1, v0
	s_lshl_b64 s[14:15], s[14:15], 2
	v_mad_i64_i32 v[4:5], s[26:27], s26, v3, 0
	s_add_u32 s10, s10, s14
	s_addc_u32 s11, s11, s15
	v_lshlrev_b64 v[4:5], 2, v[4:5]
	v_mov_b32_e32 v3, s11
	v_add_co_u32_e32 v4, vcc, s10, v4
	v_addc_co_u32_e32 v5, vcc, v3, v5, vcc
	global_store_dword v[4:5], v2, off
.LBB741_20:
	s_or_b64 exec, exec, s[8:9]
	;;#ASMSTART
	v_rcp_f32 v2, v2
	;;#ASMEND
	s_and_saveexec_b64 s[14:15], s[2:3]
	s_cbranch_execz .LBB741_22
; %bb.21:
	s_load_dwordx2 s[2:3], s[4:5], 0x0
	s_waitcnt lgkmcnt(0)
	s_mul_i32 s8, s24, s6
	s_mul_hi_i32 s9, s24, s6
	v_mov_b32_e32 v3, v2
	;;#ASMSTART
	v_pk_mul_f32 v[4:5], v[18:19], v[2:3]
	;;#ASMEND
	s_add_u32 s8, s2, s8
	s_addc_u32 s2, s3, s9
	s_add_i32 s3, s19, 3
	s_ashr_i32 s10, s3, 31
	v_mov_b32_e32 v10, 0xc3e00000
	v_mov_b32_e32 v11, 0x43e00000
	;;#ASMSTART
	v_med3_f32 v4, v4, v10, v11
v_med3_f32 v5, v5, v10, v11
v_cvt_pk_fp8_f32 v6, v4, v5
	;;#ASMEND
	s_and_b32 s9, s2, 0xffff
	s_lshr_b32 s2, s10, 30
	;;#ASMSTART
	v_pk_mul_f32 v[4:5], v[32:33], v[2:3]
	;;#ASMEND
	s_add_i32 s3, s3, s2
	;;#ASMSTART
	v_med3_f32 v4, v4, v10, v11
v_med3_f32 v5, v5, v10, v11
v_cvt_pk_fp8_f32 v7, v4, v5
	;;#ASMEND
	s_mov_b32 s2, 0x5040100
	v_perm_b32 v4, v7, v6, s2
	s_mov_b32 s2, 0x1060504
	v_perm_b32 v4, v4, v7, s2
	;;#ASMSTART
	v_pk_mul_f32 v[6:7], v[26:27], v[2:3]
	;;#ASMEND
	v_mov_b32_e32 v5, v7
	;;#ASMSTART
	v_med3_f32 v6, v6, v10, v11
v_med3_f32 v5, v5, v10, v11
v_cvt_pk_fp8_f32 v8, v6, v5
	;;#ASMEND
	;;#ASMSTART
	v_pk_mul_f32 v[6:7], v[24:25], v[2:3]
	;;#ASMEND
	v_mov_b32_e32 v5, v6
	;;#ASMSTART
	v_med3_f32 v5, v5, v10, v11
v_med3_f32 v7, v7, v10, v11
v_cvt_pk_fp8_f32 v6, v5, v7
	;;#ASMEND
	s_mov_b32 s2, 0x1000504
	v_perm_b32 v5, v8, v6, s2
	;;#ASMSTART
	v_pk_mul_f32 v[6:7], v[30:31], v[2:3]
	;;#ASMEND
	;;#ASMSTART
	v_med3_f32 v6, v6, v10, v11
v_med3_f32 v7, v7, v10, v11
v_cvt_pk_fp8_f32 v8, v6, v7
	;;#ASMEND
	;;#ASMSTART
	v_pk_mul_f32 v[6:7], v[28:29], v[2:3]
	;;#ASMEND
	;;#ASMSTART
	v_med3_f32 v6, v6, v10, v11
v_med3_f32 v7, v7, v10, v11
v_cvt_pk_fp8_f32 v9, v6, v7
	;;#ASMEND
	v_perm_b32 v6, v8, v9, s2
	;;#ASMSTART
	v_pk_mul_f32 v[8:9], v[22:23], v[2:3]
	;;#ASMEND
	v_mov_b32_e32 v7, v9
	;;#ASMSTART
	v_med3_f32 v8, v8, v10, v11
v_med3_f32 v7, v7, v10, v11
v_cvt_pk_fp8_f32 v9, v8, v7
	;;#ASMEND
	;;#ASMSTART
	v_pk_mul_f32 v[2:3], v[20:21], v[2:3]
	;;#ASMEND
	;;#ASMSTART
	v_med3_f32 v2, v2, v10, v11
v_med3_f32 v3, v3, v10, v11
v_cvt_pk_fp8_f32 v7, v2, v3
	;;#ASMEND
	s_and_b32 s10, s3, -4
	s_mov_b32 s11, 0x20000
	v_perm_b32 v7, v9, v7, s2
	buffer_store_dwordx4 v[4:7], v1, s[8:11], 0 offen
	;;#ASMSTART
	s_nop 0
	;;#ASMEND
.LBB741_22:
	s_or_b64 exec, exec, s[14:15]
	s_cmp_lt_i32 s20, 1
	s_cbranch_scc1 .LBB741_12
.LBB741_23:
	s_load_dword s2, s[4:5], 0x94
	s_waitcnt lgkmcnt(0)
	s_cmp_lg_u32 s2, 1
	s_cbranch_scc1 .LBB741_12
; %bb.24:
	s_lshl_b32 s2, s20, 1
	s_add_i32 s2, s2, 2
	v_cmp_gt_u32_e32 vcc, s20, v1
	s_and_b32 s14, s2, -4
	v_mov_b32_e32 v18, 0
	v_lshlrev_b32_e32 v1, 5, v0
	v_mov_b32_e32 v14, 0
	v_mov_b32_e32 v15, 0
	;; [unrolled: 1-line block ×8, first 2 shown]
	s_waitcnt vmcnt(1)
	v_mov_b32_e32 v6, 0
	v_mov_b32_e32 v7, 0
	;; [unrolled: 1-line block ×4, first 2 shown]
	s_waitcnt vmcnt(0)
	v_mov_b32_e32 v2, 0
	v_mov_b32_e32 v3, 0
	v_mov_b32_e32 v4, 0
	v_mov_b32_e32 v5, 0
	s_barrier
	s_and_saveexec_b64 s[2:3], vcc
	s_cbranch_execz .LBB741_26
; %bb.25:
	s_mul_hi_i32 s5, s22, s6
	s_mul_i32 s4, s22, s6
	s_and_b32 s13, s13, 0xffff
	s_lshl_b64 s[4:5], s[4:5], 1
	s_add_u32 s8, s30, s4
	s_mov_b32 s15, 0x20000
	s_addc_u32 s4, s31, s5
	s_and_b32 s9, s4, 0xffff
	s_mov_b32 s10, s14
	s_mov_b32 s11, s15
	buffer_load_dwordx4 v[14:17], v1, s[8:11], 0 offen
	buffer_load_dwordx4 v[10:13], v1, s[8:11], 16 offen
	;; [unrolled: 1-line block ×4, first 2 shown]
.LBB741_26:
	s_or_b64 exec, exec, s[2:3]
	v_mov_b32_e32 v19, 0
	v_mov_b32_e32 v32, 0
	;; [unrolled: 1-line block ×15, first 2 shown]
	s_and_saveexec_b64 s[2:3], vcc
	s_cbranch_execz .LBB741_28
; %bb.27:
	s_waitcnt vmcnt(3)
	v_cvt_f32_f16_sdwa v19, v14 dst_sel:DWORD dst_unused:UNUSED_PAD src0_sel:WORD_1
	v_cvt_f32_f16_e32 v18, v14
	v_cvt_f32_f16_sdwa v33, v15 dst_sel:DWORD dst_unused:UNUSED_PAD src0_sel:WORD_1
	v_cvt_f32_f16_e32 v32, v15
	v_cvt_f32_f16_sdwa v31, v16 dst_sel:DWORD dst_unused:UNUSED_PAD src0_sel:WORD_1
	v_cvt_f32_f16_e32 v30, v16
	v_cvt_f32_f16_sdwa v29, v17 dst_sel:DWORD dst_unused:UNUSED_PAD src0_sel:WORD_1
	v_cvt_f32_f16_e32 v28, v17
	s_waitcnt vmcnt(2)
	v_cvt_f32_f16_sdwa v27, v10 dst_sel:DWORD dst_unused:UNUSED_PAD src0_sel:WORD_1
	v_cvt_f32_f16_e32 v26, v10
	v_cvt_f32_f16_sdwa v25, v11 dst_sel:DWORD dst_unused:UNUSED_PAD src0_sel:WORD_1
	v_cvt_f32_f16_e32 v24, v11
	;; [unrolled: 2-line block ×4, first 2 shown]
.LBB741_28:
	s_or_b64 exec, exec, s[2:3]
	s_waitcnt vmcnt(2)
	v_mul_f32_e32 v10, v19, v19
	v_fmac_f32_e32 v10, v18, v18
	v_fmac_f32_e32 v10, v32, v32
	;; [unrolled: 1-line block ×15, first 2 shown]
	s_nop 1
	v_mov_b32_dpp v11, v10 quad_perm:[1,0,3,2] row_mask:0xf bank_mask:0xf
	v_add_f32_e32 v10, v10, v11
	s_nop 1
	v_mov_b32_dpp v11, v10 quad_perm:[2,3,0,1] row_mask:0xf bank_mask:0xf
	v_add_f32_e32 v10, v10, v11
	s_nop 1
	v_mov_b32_dpp v11, v10 row_half_mirror row_mask:0xf bank_mask:0xf
	v_add_f32_e32 v10, v10, v11
	s_nop 1
	v_mov_b32_dpp v11, v10 row_mirror row_mask:0xf bank_mask:0xf
	v_add_f32_e32 v10, v10, v11
	s_nop 1
	v_mov_b32_dpp v11, v10 row_bcast:15 row_mask:0xf bank_mask:0xf
	v_add_f32_e32 v10, v10, v11
	s_nop 1
	v_mov_b32_dpp v11, v10 row_bcast:31 row_mask:0xf bank_mask:0xf
	s_and_saveexec_b64 s[2:3], s[0:1]
	s_cbranch_execz .LBB741_30
; %bb.29:
	v_lshrrev_b32_e32 v0, 4, v0
	v_add_f32_e32 v10, v10, v11
	v_and_b32_e32 v0, 60, v0
	ds_write_b32 v0, v10
.LBB741_30:
	s_or_b64 exec, exec, s[2:3]
	s_waitcnt lgkmcnt(0)
	s_barrier
	ds_read_b32 v0, v34
	s_waitcnt lgkmcnt(0)
	s_nop 0
	v_mov_b32_dpp v10, v0 quad_perm:[1,0,3,2] row_mask:0xf bank_mask:0xf
	s_and_saveexec_b64 s[0:1], vcc
	s_cbranch_execz .LBB741_12
; %bb.31:
	v_cvt_f32_u32_e32 v11, s20
	v_add_f32_e32 v0, v0, v10
	s_mov_b32 s15, 0x20000
	v_div_scale_f32 v10, s[0:1], v11, v11, v0
	v_rcp_f32_e32 v12, v10
	v_div_scale_f32 v13, vcc, v0, v11, v0
	s_mov_b32 s0, 0x800000
	v_fma_f32 v14, -v10, v12, 1.0
	v_fmac_f32_e32 v12, v14, v12
	v_mul_f32_e32 v14, v13, v12
	v_fma_f32 v15, -v10, v14, v13
	v_fmac_f32_e32 v14, v15, v12
	v_fma_f32 v10, -v10, v14, v13
	v_div_fmas_f32 v10, v10, v12, v14
	v_div_fixup_f32 v0, v10, v11, v0
	v_add_f32_e32 v0, s17, v0
	v_mul_f32_e32 v10, 0x4b800000, v0
	v_cmp_gt_f32_e32 vcc, s0, v0
	v_cndmask_b32_e32 v0, v0, v10, vcc
	v_rsq_f32_e32 v0, v0
	s_mul_hi_i32 s1, s7, s6
	s_mul_i32 s0, s7, s6
	s_lshl_b64 s[0:1], s[0:1], 1
	v_mul_f32_e32 v10, 0x45800000, v0
	v_cndmask_b32_e32 v10, v0, v10, vcc
	v_mov_b32_e32 v11, v10
	;;#ASMSTART
	v_pk_mul_f32 v[12:13], v[18:19], v[10:11]
	;;#ASMEND
	;;#ASMSTART
	v_pk_mul_f32 v[14:15], v[32:33], v[10:11]
	;;#ASMEND
	;; [unrolled: 3-line block ×8, first 2 shown]
	s_waitcnt vmcnt(1)
	v_cvt_f32_f16_sdwa v21, v6 dst_sel:DWORD dst_unused:UNUSED_PAD src0_sel:WORD_1
	v_cvt_f32_f16_e32 v20, v6
	v_cvt_f32_f16_sdwa v29, v7 dst_sel:DWORD dst_unused:UNUSED_PAD src0_sel:WORD_1
	v_cvt_f32_f16_e32 v28, v7
	;; [unrolled: 2-line block ×4, first 2 shown]
	;;#ASMSTART
	v_pk_mul_f32 v[8:9], v[12:13], v[20:21]
	;;#ASMEND
	;;#ASMSTART
	v_pk_mul_f32 v[12:13], v[14:15], v[28:29]
	;;#ASMEND
	;; [unrolled: 3-line block ×4, first 2 shown]
	s_waitcnt vmcnt(0)
	v_cvt_f32_f16_sdwa v17, v2 dst_sel:DWORD dst_unused:UNUSED_PAD src0_sel:WORD_1
	v_cvt_f32_f16_e32 v16, v2
	v_cvt_f32_f16_sdwa v19, v3 dst_sel:DWORD dst_unused:UNUSED_PAD src0_sel:WORD_1
	v_cvt_f32_f16_e32 v18, v3
	;; [unrolled: 2-line block ×4, first 2 shown]
	;;#ASMSTART
	v_pk_mul_f32 v[16:17], v[26:27], v[16:17]
	;;#ASMEND
	;;#ASMSTART
	v_pk_mul_f32 v[18:19], v[24:25], v[18:19]
	;;#ASMEND
	;; [unrolled: 3-line block ×3, first 2 shown]
	v_cvt_f16_f32_e32 v0, v8
	v_cvt_f16_f32_e32 v2, v9
	;; [unrolled: 1-line block ×8, first 2 shown]
	s_add_u32 s12, s28, s0
	s_addc_u32 s0, s29, s1
	s_and_b32 s13, s0, 0xffff
	v_pack_b32_f16 v2, v0, v2
	v_pack_b32_f16 v3, v3, v4
	;; [unrolled: 1-line block ×4, first 2 shown]
	;;#ASMSTART
	v_pk_mul_f32 v[10:11], v[10:11], v[20:21]
	;;#ASMEND
	buffer_store_dwordx4 v[2:5], v1, s[12:15], 0 offen
	v_cvt_f16_f32_e32 v0, v16
	v_cvt_f16_f32_e32 v2, v17
	;; [unrolled: 1-line block ×8, first 2 shown]
	v_pack_b32_f16 v2, v0, v2
	v_pack_b32_f16 v3, v3, v4
	;; [unrolled: 1-line block ×4, first 2 shown]
	;;#ASMSTART
	s_nop 0
	;;#ASMEND
	buffer_store_dwordx4 v[2:5], v1, s[12:15], 16 offen
	;;#ASMSTART
	s_nop 0
	;;#ASMEND
	s_endpgm
	.section	.rodata,"a",@progbits
	.p2align	6, 0x0
	.amdhsa_kernel _ZN5aiter35fused_qk_rmsnorm_group_quant_kernelIDF16_DB8_Li128ELi16ELi2ELb0ELb0ELb0ELb0ELb0ELb0EEEvPT0_PvPT_S6_S6_PKS5_S8_S8_S8_S8_ffiiiiiiiiiiiii
		.amdhsa_group_segment_fixed_size 16
		.amdhsa_private_segment_fixed_size 0
		.amdhsa_kernarg_size 400
		.amdhsa_user_sgpr_count 6
		.amdhsa_user_sgpr_private_segment_buffer 1
		.amdhsa_user_sgpr_dispatch_ptr 0
		.amdhsa_user_sgpr_queue_ptr 0
		.amdhsa_user_sgpr_kernarg_segment_ptr 1
		.amdhsa_user_sgpr_dispatch_id 0
		.amdhsa_user_sgpr_flat_scratch_init 0
		.amdhsa_user_sgpr_kernarg_preload_length 0
		.amdhsa_user_sgpr_kernarg_preload_offset 0
		.amdhsa_user_sgpr_private_segment_size 0
		.amdhsa_uses_dynamic_stack 0
		.amdhsa_system_sgpr_private_segment_wavefront_offset 0
		.amdhsa_system_sgpr_workgroup_id_x 1
		.amdhsa_system_sgpr_workgroup_id_y 1
		.amdhsa_system_sgpr_workgroup_id_z 0
		.amdhsa_system_sgpr_workgroup_info 0
		.amdhsa_system_vgpr_workitem_id 0
		.amdhsa_next_free_vgpr 38
		.amdhsa_next_free_sgpr 32
		.amdhsa_accum_offset 40
		.amdhsa_reserve_vcc 1
		.amdhsa_reserve_flat_scratch 0
		.amdhsa_float_round_mode_32 0
		.amdhsa_float_round_mode_16_64 0
		.amdhsa_float_denorm_mode_32 3
		.amdhsa_float_denorm_mode_16_64 3
		.amdhsa_dx10_clamp 1
		.amdhsa_ieee_mode 1
		.amdhsa_fp16_overflow 0
		.amdhsa_tg_split 0
		.amdhsa_exception_fp_ieee_invalid_op 0
		.amdhsa_exception_fp_denorm_src 0
		.amdhsa_exception_fp_ieee_div_zero 0
		.amdhsa_exception_fp_ieee_overflow 0
		.amdhsa_exception_fp_ieee_underflow 0
		.amdhsa_exception_fp_ieee_inexact 0
		.amdhsa_exception_int_div_zero 0
	.end_amdhsa_kernel
	.section	.text._ZN5aiter35fused_qk_rmsnorm_group_quant_kernelIDF16_DB8_Li128ELi16ELi2ELb0ELb0ELb0ELb0ELb0ELb0EEEvPT0_PvPT_S6_S6_PKS5_S8_S8_S8_S8_ffiiiiiiiiiiiii,"axG",@progbits,_ZN5aiter35fused_qk_rmsnorm_group_quant_kernelIDF16_DB8_Li128ELi16ELi2ELb0ELb0ELb0ELb0ELb0ELb0EEEvPT0_PvPT_S6_S6_PKS5_S8_S8_S8_S8_ffiiiiiiiiiiiii,comdat
.Lfunc_end741:
	.size	_ZN5aiter35fused_qk_rmsnorm_group_quant_kernelIDF16_DB8_Li128ELi16ELi2ELb0ELb0ELb0ELb0ELb0ELb0EEEvPT0_PvPT_S6_S6_PKS5_S8_S8_S8_S8_ffiiiiiiiiiiiii, .Lfunc_end741-_ZN5aiter35fused_qk_rmsnorm_group_quant_kernelIDF16_DB8_Li128ELi16ELi2ELb0ELb0ELb0ELb0ELb0ELb0EEEvPT0_PvPT_S6_S6_PKS5_S8_S8_S8_S8_ffiiiiiiiiiiiii
                                        ; -- End function
	.section	.AMDGPU.csdata,"",@progbits
; Kernel info:
; codeLenInByte = 3376
; NumSgprs: 36
; NumVgprs: 38
; NumAgprs: 0
; TotalNumVgprs: 38
; ScratchSize: 0
; MemoryBound: 0
; FloatMode: 240
; IeeeMode: 1
; LDSByteSize: 16 bytes/workgroup (compile time only)
; SGPRBlocks: 4
; VGPRBlocks: 4
; NumSGPRsForWavesPerEU: 36
; NumVGPRsForWavesPerEU: 38
; AccumOffset: 40
; Occupancy: 8
; WaveLimiterHint : 0
; COMPUTE_PGM_RSRC2:SCRATCH_EN: 0
; COMPUTE_PGM_RSRC2:USER_SGPR: 6
; COMPUTE_PGM_RSRC2:TRAP_HANDLER: 0
; COMPUTE_PGM_RSRC2:TGID_X_EN: 1
; COMPUTE_PGM_RSRC2:TGID_Y_EN: 1
; COMPUTE_PGM_RSRC2:TGID_Z_EN: 0
; COMPUTE_PGM_RSRC2:TIDIG_COMP_CNT: 0
; COMPUTE_PGM_RSRC3_GFX90A:ACCUM_OFFSET: 9
; COMPUTE_PGM_RSRC3_GFX90A:TG_SPLIT: 0
	.section	.text._ZN5aiter35fused_qk_rmsnorm_group_quant_kernelItDB8_Li128ELi16ELi2ELb0ELb0ELb0ELb0ELb0ELb0EEEvPT0_PvPT_S6_S6_PKS5_S8_S8_S8_S8_ffiiiiiiiiiiiii,"axG",@progbits,_ZN5aiter35fused_qk_rmsnorm_group_quant_kernelItDB8_Li128ELi16ELi2ELb0ELb0ELb0ELb0ELb0ELb0EEEvPT0_PvPT_S6_S6_PKS5_S8_S8_S8_S8_ffiiiiiiiiiiiii,comdat
	.protected	_ZN5aiter35fused_qk_rmsnorm_group_quant_kernelItDB8_Li128ELi16ELi2ELb0ELb0ELb0ELb0ELb0ELb0EEEvPT0_PvPT_S6_S6_PKS5_S8_S8_S8_S8_ffiiiiiiiiiiiii ; -- Begin function _ZN5aiter35fused_qk_rmsnorm_group_quant_kernelItDB8_Li128ELi16ELi2ELb0ELb0ELb0ELb0ELb0ELb0EEEvPT0_PvPT_S6_S6_PKS5_S8_S8_S8_S8_ffiiiiiiiiiiiii
	.globl	_ZN5aiter35fused_qk_rmsnorm_group_quant_kernelItDB8_Li128ELi16ELi2ELb0ELb0ELb0ELb0ELb0ELb0EEEvPT0_PvPT_S6_S6_PKS5_S8_S8_S8_S8_ffiiiiiiiiiiiii
	.p2align	8
	.type	_ZN5aiter35fused_qk_rmsnorm_group_quant_kernelItDB8_Li128ELi16ELi2ELb0ELb0ELb0ELb0ELb0ELb0EEEvPT0_PvPT_S6_S6_PKS5_S8_S8_S8_S8_ffiiiiiiiiiiiii,@function
_ZN5aiter35fused_qk_rmsnorm_group_quant_kernelItDB8_Li128ELi16ELi2ELb0ELb0ELb0ELb0ELb0ELb0EEEvPT0_PvPT_S6_S6_PKS5_S8_S8_S8_S8_ffiiiiiiiiiiiii: ; @_ZN5aiter35fused_qk_rmsnorm_group_quant_kernelItDB8_Li128ELi16ELi2ELb0ELb0ELb0ELb0ELb0ELb0EEEvPT0_PvPT_S6_S6_PKS5_S8_S8_S8_S8_ffiiiiiiiiiiiii
; %bb.0:
	s_load_dwordx4 s[16:19], s[4:5], 0x50
	s_waitcnt lgkmcnt(0)
	s_cmp_ge_i32 s6, s18
	s_cbranch_scc1 .LBB742_12
; %bb.1:
	s_load_dwordx2 s[12:13], s[4:5], 0x48
	s_load_dwordx2 s[30:31], s[4:5], 0x30
	s_load_dwordx4 s[20:23], s[4:5], 0x60
	s_cmp_lg_u32 s7, 0
	s_cselect_b64 s[14:15], -1, 0
	s_cmp_eq_u32 s7, 0
	s_cselect_b64 vcc, -1, 0
	s_and_b64 s[0:1], vcc, exec
	s_waitcnt lgkmcnt(0)
	s_cselect_b32 s7, s19, s20
	s_add_i32 s0, s7, 1
	s_lshr_b32 s1, s0, 31
	s_add_i32 s0, s0, s1
	s_lshl_b32 s0, s0, 1
	v_lshlrev_b32_e32 v1, 4, v0
	s_and_b32 s10, s0, -4
	v_cmp_gt_i32_e64 s[2:3], s7, v1
	v_mov_b32_e32 v18, 0
	v_mov_b32_e32 v6, 0
	;; [unrolled: 1-line block ×17, first 2 shown]
	s_and_saveexec_b64 s[0:1], s[2:3]
	s_cbranch_execz .LBB742_3
; %bb.2:
	s_load_dwordx2 s[8:9], s[4:5], 0x28
	s_load_dwordx2 s[26:27], s[4:5], 0x40
	s_and_b64 s[24:25], vcc, exec
	s_cselect_b32 s11, s21, s22
	v_lshlrev_b32_e32 v19, 5, v0
	s_waitcnt lgkmcnt(0)
	s_cselect_b32 s18, s9, s31
	s_cselect_b32 s21, s8, s30
	s_mul_hi_i32 s9, s11, s6
	s_mul_i32 s8, s11, s6
	s_lshl_b64 s[8:9], s[8:9], 1
	s_add_u32 s24, s21, s8
	s_addc_u32 s18, s18, s9
	s_and_b64 s[8:9], vcc, exec
	s_mov_b32 s11, 0x20000
	s_cselect_b32 s8, s26, s12
	s_cselect_b32 s9, s27, s13
	s_and_b32 s25, s18, 0xffff
	s_mov_b32 s26, s10
	s_mov_b32 s27, s11
	s_and_b32 s9, s9, 0xffff
	buffer_load_dwordx4 v[14:17], v19, s[24:27], 0 offen
	buffer_load_dwordx4 v[10:13], v19, s[24:27], 16 offen
	;; [unrolled: 1-line block ×4, first 2 shown]
.LBB742_3:
	s_or_b64 exec, exec, s[0:1]
	v_mov_b32_e32 v19, 0
	v_mov_b32_e32 v32, 0
	;; [unrolled: 1-line block ×15, first 2 shown]
	s_and_saveexec_b64 s[0:1], s[2:3]
	s_cbranch_execz .LBB742_5
; %bb.4:
	s_waitcnt vmcnt(3)
	v_cvt_f32_u32_sdwa v18, v14 dst_sel:DWORD dst_unused:UNUSED_PAD src0_sel:WORD_0
	v_cvt_f32_u32_sdwa v19, v14 dst_sel:DWORD dst_unused:UNUSED_PAD src0_sel:WORD_1
	v_cvt_f32_u32_sdwa v32, v15 dst_sel:DWORD dst_unused:UNUSED_PAD src0_sel:WORD_0
	v_cvt_f32_u32_sdwa v33, v15 dst_sel:DWORD dst_unused:UNUSED_PAD src0_sel:WORD_1
	;; [unrolled: 2-line block ×4, first 2 shown]
	s_waitcnt vmcnt(2)
	v_cvt_f32_u32_sdwa v30, v10 dst_sel:DWORD dst_unused:UNUSED_PAD src0_sel:WORD_0
	v_cvt_f32_u32_sdwa v31, v10 dst_sel:DWORD dst_unused:UNUSED_PAD src0_sel:WORD_1
	v_cvt_f32_u32_sdwa v28, v11 dst_sel:DWORD dst_unused:UNUSED_PAD src0_sel:WORD_0
	v_cvt_f32_u32_sdwa v29, v11 dst_sel:DWORD dst_unused:UNUSED_PAD src0_sel:WORD_1
	;; [unrolled: 2-line block ×4, first 2 shown]
.LBB742_5:
	s_or_b64 exec, exec, s[0:1]
	s_waitcnt vmcnt(2)
	v_mul_f32_e32 v10, v19, v19
	v_fmac_f32_e32 v10, v18, v18
	v_fmac_f32_e32 v10, v32, v32
	;; [unrolled: 1-line block ×15, first 2 shown]
	v_and_b32_e32 v12, 63, v0
	v_cmp_eq_u32_e64 s[0:1], 63, v12
	v_mov_b32_dpp v11, v10 quad_perm:[1,0,3,2] row_mask:0xf bank_mask:0xf
	v_add_f32_e32 v10, v10, v11
	s_nop 1
	v_mov_b32_dpp v11, v10 quad_perm:[2,3,0,1] row_mask:0xf bank_mask:0xf
	v_add_f32_e32 v10, v10, v11
	s_nop 1
	v_mov_b32_dpp v11, v10 row_half_mirror row_mask:0xf bank_mask:0xf
	v_add_f32_e32 v10, v10, v11
	s_nop 1
	v_mov_b32_dpp v11, v10 row_mirror row_mask:0xf bank_mask:0xf
	v_add_f32_e32 v10, v10, v11
	s_nop 1
	v_mov_b32_dpp v11, v10 row_bcast:15 row_mask:0xf bank_mask:0xf
	v_add_f32_e32 v10, v10, v11
	s_nop 1
	v_mov_b32_dpp v11, v10 row_bcast:31 row_mask:0xf bank_mask:0xf
	s_and_saveexec_b64 s[8:9], s[0:1]
	s_cbranch_execz .LBB742_7
; %bb.6:
	v_add_f32_e32 v10, v10, v11
	v_lshrrev_b32_e32 v11, 4, v0
	v_and_b32_e32 v11, 60, v11
	ds_write_b32 v11, v10 offset:8
.LBB742_7:
	s_or_b64 exec, exec, s[8:9]
	v_and_b32_e32 v10, 1, v0
	v_lshlrev_b32_e32 v34, 2, v10
	s_waitcnt lgkmcnt(0)
	s_barrier
	ds_read_b32 v11, v34 offset:8
	s_load_dwordx2 s[28:29], s[4:5], 0x18
	s_waitcnt lgkmcnt(0)
	v_mov_b32_dpp v12, v11 quad_perm:[1,0,3,2] row_mask:0xf bank_mask:0xf
	s_and_saveexec_b64 s[8:9], s[2:3]
	s_cbranch_execz .LBB742_9
; %bb.8:
	v_cvt_f32_u32_e32 v13, s7
	v_add_f32_e32 v11, v11, v12
	v_mov_b32_e32 v15, s17
	v_mov_b32_e32 v16, s16
	v_div_scale_f32 v12, s[24:25], v13, v13, v11
	v_rcp_f32_e32 v14, v12
	v_cndmask_b32_e32 v15, v15, v16, vcc
	s_mov_b32 s7, 0x800000
	s_waitcnt vmcnt(1)
	v_cvt_f32_u32_sdwa v37, v9 dst_sel:DWORD dst_unused:UNUSED_PAD src0_sel:WORD_1
	v_fma_f32 v16, -v12, v14, 1.0
	v_fmac_f32_e32 v14, v16, v14
	v_div_scale_f32 v16, vcc, v11, v13, v11
	v_mul_f32_e32 v17, v16, v14
	v_fma_f32 v35, -v12, v17, v16
	v_fmac_f32_e32 v17, v35, v14
	v_fma_f32 v12, -v12, v17, v16
	v_div_fmas_f32 v12, v12, v14, v17
	v_div_fixup_f32 v11, v12, v13, v11
	v_add_f32_e32 v11, v15, v11
	v_mul_f32_e32 v12, 0x4b800000, v11
	v_cmp_gt_f32_e32 vcc, s7, v11
	v_cndmask_b32_e32 v11, v11, v12, vcc
	v_rsq_f32_e32 v11, v11
	v_cvt_f32_u32_sdwa v36, v9 dst_sel:DWORD dst_unused:UNUSED_PAD src0_sel:WORD_0
	s_waitcnt vmcnt(0)
	v_cvt_f32_u32_sdwa v9, v3 dst_sel:DWORD dst_unused:UNUSED_PAD src0_sel:WORD_1
	v_mul_f32_e32 v12, 0x45800000, v11
	v_cndmask_b32_e32 v12, v11, v12, vcc
	v_mov_b32_e32 v13, v12
	;;#ASMSTART
	v_pk_mul_f32 v[14:15], v[18:19], v[12:13]
	;;#ASMEND
	;;#ASMSTART
	v_pk_mul_f32 v[16:17], v[32:33], v[12:13]
	;;#ASMEND
	;; [unrolled: 3-line block ×8, first 2 shown]
	v_cvt_f32_u32_sdwa v19, v6 dst_sel:DWORD dst_unused:UNUSED_PAD src0_sel:WORD_1
	v_cvt_f32_u32_sdwa v18, v6 dst_sel:DWORD dst_unused:UNUSED_PAD src0_sel:WORD_0
	v_cvt_f32_u32_sdwa v21, v7 dst_sel:DWORD dst_unused:UNUSED_PAD src0_sel:WORD_1
	v_cvt_f32_u32_sdwa v20, v7 dst_sel:DWORD dst_unused:UNUSED_PAD src0_sel:WORD_0
	;; [unrolled: 2-line block ×3, first 2 shown]
	;;#ASMSTART
	v_pk_mul_f32 v[18:19], v[14:15], v[18:19]
	;;#ASMEND
	;;#ASMSTART
	v_pk_mul_f32 v[32:33], v[16:17], v[20:21]
	;;#ASMEND
	;; [unrolled: 3-line block ×4, first 2 shown]
	v_cvt_f32_u32_sdwa v7, v2 dst_sel:DWORD dst_unused:UNUSED_PAD src0_sel:WORD_1
	v_cvt_f32_u32_sdwa v6, v2 dst_sel:DWORD dst_unused:UNUSED_PAD src0_sel:WORD_0
	v_cvt_f32_u32_sdwa v8, v3 dst_sel:DWORD dst_unused:UNUSED_PAD src0_sel:WORD_0
	v_cvt_f32_u32_sdwa v3, v4 dst_sel:DWORD dst_unused:UNUSED_PAD src0_sel:WORD_1
	v_cvt_f32_u32_sdwa v2, v4 dst_sel:DWORD dst_unused:UNUSED_PAD src0_sel:WORD_0
	v_cvt_f32_u32_sdwa v15, v5 dst_sel:DWORD dst_unused:UNUSED_PAD src0_sel:WORD_1
	v_cvt_f32_u32_sdwa v14, v5 dst_sel:DWORD dst_unused:UNUSED_PAD src0_sel:WORD_0
	;;#ASMSTART
	v_pk_mul_f32 v[30:31], v[30:31], v[6:7]
	;;#ASMEND
	;;#ASMSTART
	v_pk_mul_f32 v[28:29], v[28:29], v[8:9]
	;;#ASMEND
	;; [unrolled: 3-line block ×4, first 2 shown]
.LBB742_9:
	s_or_b64 exec, exec, s[8:9]
	s_load_dword s7, s[4:5], 0x80
	s_mov_b64 s[8:9], -1
	s_and_b64 vcc, exec, s[14:15]
	s_cbranch_vccnz .LBB742_13
; %bb.10:
	s_andn2_b64 vcc, exec, s[8:9]
	s_cbranch_vccz .LBB742_16
.LBB742_11:
	s_cmp_lt_i32 s20, 1
	s_cbranch_scc0 .LBB742_23
.LBB742_12:
	s_endpgm
.LBB742_13:
	s_and_saveexec_b64 s[14:15], s[2:3]
	s_cbranch_execz .LBB742_15
; %bb.14:
	s_waitcnt lgkmcnt(0)
	s_mul_hi_i32 s9, s7, s6
	s_mul_i32 s8, s7, s6
	s_lshl_b64 s[8:9], s[8:9], 1
	s_add_u32 s8, s28, s8
	s_addc_u32 s9, s29, s9
	s_mov_b32 s16, 0x7060302
	s_and_b32 s9, s9, 0xffff
	s_mov_b32 s11, 0x20000
	s_waitcnt vmcnt(0)
	v_perm_b32 v5, v25, v24, s16
	v_perm_b32 v4, v27, v26, s16
	v_perm_b32 v3, v33, v32, s16
	v_perm_b32 v2, v19, v18, s16
	v_lshlrev_b32_e32 v6, 5, v0
	buffer_store_dwordx4 v[2:5], v6, s[8:11], 0 offen
	;;#ASMSTART
	s_nop 0
	;;#ASMEND
	s_nop 0
	v_perm_b32 v5, v21, v20, s16
	v_perm_b32 v4, v23, v22, s16
	;; [unrolled: 1-line block ×4, first 2 shown]
	buffer_store_dwordx4 v[2:5], v6, s[8:11], 16 offen
	;;#ASMSTART
	s_nop 0
	;;#ASMEND
.LBB742_15:
	s_or_b64 exec, exec, s[14:15]
	s_cbranch_execnz .LBB742_11
.LBB742_16:
	s_waitcnt vmcnt(0)
	v_mov_b32_e32 v2, 0
	s_and_saveexec_b64 s[8:9], s[2:3]
	s_cbranch_execz .LBB742_18
; %bb.17:
	v_and_b32_e32 v2, 0x7fffffff, v18
	v_and_b32_e32 v3, 0x7fffffff, v19
	v_mov_b32_e32 v4, 0x2edbe6ff
	;;#ASMSTART
	v_max3_f32 v2, v4, v2, v3

	;;#ASMEND
	v_and_b32_e32 v3, 0x7fffffff, v32
	v_and_b32_e32 v4, 0x7fffffff, v33
	;;#ASMSTART
	v_max3_f32 v2, v2, v3, v4

	;;#ASMEND
	v_and_b32_e32 v3, 0x7fffffff, v26
	v_and_b32_e32 v4, 0x7fffffff, v27
	;; [unrolled: 6-line block ×7, first 2 shown]
	;;#ASMSTART
	v_max3_f32 v2, v2, v3, v4

	;;#ASMEND
.LBB742_18:
	s_or_b64 exec, exec, s[8:9]
	s_load_dwordx4 s[24:27], s[4:5], 0x70
	v_cmp_eq_u32_e32 vcc, 0, v10
	v_cmp_gt_i32_e64 s[8:9], s19, v1
	;;#ASMSTART
	v_max_f32 v3, v2, v2 quad_perm:[1,0,3,2] row_mask:0xf bank_mask:0xf bound_ctrl:1
	;;#ASMEND
	v_mul_f32_e32 v2, 0x3b124925, v3
	s_and_b64 s[10:11], vcc, s[8:9]
	s_and_saveexec_b64 s[8:9], s[10:11]
	s_cbranch_execz .LBB742_20
; %bb.19:
	s_load_dwordx2 s[10:11], s[4:5], 0x8
	s_waitcnt lgkmcnt(0)
	s_mul_hi_i32 s15, s25, s6
	s_mul_i32 s14, s25, s6
	v_lshrrev_b32_e32 v3, 1, v0
	s_lshl_b64 s[14:15], s[14:15], 2
	v_mad_i64_i32 v[4:5], s[26:27], s26, v3, 0
	s_add_u32 s10, s10, s14
	s_addc_u32 s11, s11, s15
	v_lshlrev_b64 v[4:5], 2, v[4:5]
	v_mov_b32_e32 v3, s11
	v_add_co_u32_e32 v4, vcc, s10, v4
	v_addc_co_u32_e32 v5, vcc, v3, v5, vcc
	global_store_dword v[4:5], v2, off
.LBB742_20:
	s_or_b64 exec, exec, s[8:9]
	;;#ASMSTART
	v_rcp_f32 v2, v2
	;;#ASMEND
	s_and_saveexec_b64 s[14:15], s[2:3]
	s_cbranch_execz .LBB742_22
; %bb.21:
	s_load_dwordx2 s[2:3], s[4:5], 0x0
	s_waitcnt lgkmcnt(0)
	s_mul_i32 s8, s24, s6
	s_mul_hi_i32 s9, s24, s6
	v_mov_b32_e32 v3, v2
	;;#ASMSTART
	v_pk_mul_f32 v[4:5], v[18:19], v[2:3]
	;;#ASMEND
	s_add_u32 s8, s2, s8
	s_addc_u32 s2, s3, s9
	s_add_i32 s3, s19, 3
	s_ashr_i32 s10, s3, 31
	v_mov_b32_e32 v10, 0xc3e00000
	v_mov_b32_e32 v11, 0x43e00000
	;;#ASMSTART
	v_med3_f32 v4, v4, v10, v11
v_med3_f32 v5, v5, v10, v11
v_cvt_pk_fp8_f32 v6, v4, v5
	;;#ASMEND
	s_and_b32 s9, s2, 0xffff
	s_lshr_b32 s2, s10, 30
	;;#ASMSTART
	v_pk_mul_f32 v[4:5], v[32:33], v[2:3]
	;;#ASMEND
	s_add_i32 s3, s3, s2
	;;#ASMSTART
	v_med3_f32 v4, v4, v10, v11
v_med3_f32 v5, v5, v10, v11
v_cvt_pk_fp8_f32 v7, v4, v5
	;;#ASMEND
	s_mov_b32 s2, 0x5040100
	v_perm_b32 v4, v7, v6, s2
	s_mov_b32 s2, 0x1060504
	v_perm_b32 v4, v4, v7, s2
	;;#ASMSTART
	v_pk_mul_f32 v[6:7], v[26:27], v[2:3]
	;;#ASMEND
	v_mov_b32_e32 v5, v7
	;;#ASMSTART
	v_med3_f32 v6, v6, v10, v11
v_med3_f32 v5, v5, v10, v11
v_cvt_pk_fp8_f32 v8, v6, v5
	;;#ASMEND
	;;#ASMSTART
	v_pk_mul_f32 v[6:7], v[24:25], v[2:3]
	;;#ASMEND
	v_mov_b32_e32 v5, v7
	;;#ASMSTART
	v_med3_f32 v6, v6, v10, v11
v_med3_f32 v5, v5, v10, v11
v_cvt_pk_fp8_f32 v7, v6, v5
	;;#ASMEND
	s_mov_b32 s2, 0x1000504
	v_perm_b32 v5, v8, v7, s2
	;;#ASMSTART
	v_pk_mul_f32 v[6:7], v[30:31], v[2:3]
	;;#ASMEND
	;;#ASMSTART
	v_med3_f32 v6, v6, v10, v11
v_med3_f32 v7, v7, v10, v11
v_cvt_pk_fp8_f32 v8, v6, v7
	;;#ASMEND
	;;#ASMSTART
	v_pk_mul_f32 v[6:7], v[28:29], v[2:3]
	;;#ASMEND
	;;#ASMSTART
	v_med3_f32 v6, v6, v10, v11
v_med3_f32 v7, v7, v10, v11
v_cvt_pk_fp8_f32 v9, v6, v7
	;;#ASMEND
	v_perm_b32 v6, v8, v9, s2
	;;#ASMSTART
	v_pk_mul_f32 v[8:9], v[22:23], v[2:3]
	;;#ASMEND
	v_mov_b32_e32 v7, v9
	;;#ASMSTART
	v_med3_f32 v8, v8, v10, v11
v_med3_f32 v7, v7, v10, v11
v_cvt_pk_fp8_f32 v9, v8, v7
	;;#ASMEND
	;;#ASMSTART
	v_pk_mul_f32 v[2:3], v[20:21], v[2:3]
	;;#ASMEND
	;;#ASMSTART
	v_med3_f32 v2, v2, v10, v11
v_med3_f32 v3, v3, v10, v11
v_cvt_pk_fp8_f32 v7, v2, v3
	;;#ASMEND
	s_and_b32 s10, s3, -4
	s_mov_b32 s11, 0x20000
	v_perm_b32 v7, v9, v7, s2
	buffer_store_dwordx4 v[4:7], v1, s[8:11], 0 offen
	;;#ASMSTART
	s_nop 0
	;;#ASMEND
.LBB742_22:
	s_or_b64 exec, exec, s[14:15]
	s_cmp_lt_i32 s20, 1
	s_cbranch_scc1 .LBB742_12
.LBB742_23:
	s_load_dword s2, s[4:5], 0x94
	s_waitcnt lgkmcnt(0)
	s_cmp_lg_u32 s2, 1
	s_cbranch_scc1 .LBB742_12
; %bb.24:
	s_lshl_b32 s2, s20, 1
	s_add_i32 s2, s2, 2
	v_cmp_gt_u32_e32 vcc, s20, v1
	s_and_b32 s14, s2, -4
	v_mov_b32_e32 v18, 0
	v_lshlrev_b32_e32 v1, 5, v0
	v_mov_b32_e32 v14, 0
	v_mov_b32_e32 v15, 0
	;; [unrolled: 1-line block ×8, first 2 shown]
	s_waitcnt vmcnt(1)
	v_mov_b32_e32 v6, 0
	v_mov_b32_e32 v7, 0
	;; [unrolled: 1-line block ×4, first 2 shown]
	s_waitcnt vmcnt(0)
	v_mov_b32_e32 v2, 0
	v_mov_b32_e32 v3, 0
	;; [unrolled: 1-line block ×4, first 2 shown]
	s_barrier
	s_and_saveexec_b64 s[2:3], vcc
	s_cbranch_execz .LBB742_26
; %bb.25:
	s_mul_hi_i32 s5, s22, s6
	s_mul_i32 s4, s22, s6
	s_and_b32 s13, s13, 0xffff
	s_lshl_b64 s[4:5], s[4:5], 1
	s_add_u32 s8, s30, s4
	s_mov_b32 s15, 0x20000
	s_addc_u32 s4, s31, s5
	s_and_b32 s9, s4, 0xffff
	s_mov_b32 s10, s14
	s_mov_b32 s11, s15
	buffer_load_dwordx4 v[14:17], v1, s[8:11], 0 offen
	buffer_load_dwordx4 v[10:13], v1, s[8:11], 16 offen
	;; [unrolled: 1-line block ×4, first 2 shown]
.LBB742_26:
	s_or_b64 exec, exec, s[2:3]
	v_mov_b32_e32 v19, 0
	v_mov_b32_e32 v32, 0
	;; [unrolled: 1-line block ×15, first 2 shown]
	s_and_saveexec_b64 s[2:3], vcc
	s_cbranch_execz .LBB742_28
; %bb.27:
	s_waitcnt vmcnt(3)
	v_cvt_f32_u32_sdwa v18, v14 dst_sel:DWORD dst_unused:UNUSED_PAD src0_sel:WORD_0
	v_cvt_f32_u32_sdwa v19, v14 dst_sel:DWORD dst_unused:UNUSED_PAD src0_sel:WORD_1
	v_cvt_f32_u32_sdwa v32, v15 dst_sel:DWORD dst_unused:UNUSED_PAD src0_sel:WORD_0
	v_cvt_f32_u32_sdwa v33, v15 dst_sel:DWORD dst_unused:UNUSED_PAD src0_sel:WORD_1
	;; [unrolled: 2-line block ×4, first 2 shown]
	s_waitcnt vmcnt(2)
	v_cvt_f32_u32_sdwa v26, v10 dst_sel:DWORD dst_unused:UNUSED_PAD src0_sel:WORD_0
	v_cvt_f32_u32_sdwa v27, v10 dst_sel:DWORD dst_unused:UNUSED_PAD src0_sel:WORD_1
	v_cvt_f32_u32_sdwa v24, v11 dst_sel:DWORD dst_unused:UNUSED_PAD src0_sel:WORD_0
	v_cvt_f32_u32_sdwa v25, v11 dst_sel:DWORD dst_unused:UNUSED_PAD src0_sel:WORD_1
	;; [unrolled: 2-line block ×4, first 2 shown]
.LBB742_28:
	s_or_b64 exec, exec, s[2:3]
	s_waitcnt vmcnt(2)
	v_mul_f32_e32 v10, v19, v19
	v_fmac_f32_e32 v10, v18, v18
	v_fmac_f32_e32 v10, v32, v32
	;; [unrolled: 1-line block ×15, first 2 shown]
	s_nop 1
	v_mov_b32_dpp v11, v10 quad_perm:[1,0,3,2] row_mask:0xf bank_mask:0xf
	v_add_f32_e32 v10, v10, v11
	s_nop 1
	v_mov_b32_dpp v11, v10 quad_perm:[2,3,0,1] row_mask:0xf bank_mask:0xf
	v_add_f32_e32 v10, v10, v11
	s_nop 1
	v_mov_b32_dpp v11, v10 row_half_mirror row_mask:0xf bank_mask:0xf
	v_add_f32_e32 v10, v10, v11
	s_nop 1
	v_mov_b32_dpp v11, v10 row_mirror row_mask:0xf bank_mask:0xf
	v_add_f32_e32 v10, v10, v11
	s_nop 1
	v_mov_b32_dpp v11, v10 row_bcast:15 row_mask:0xf bank_mask:0xf
	v_add_f32_e32 v10, v10, v11
	s_nop 1
	v_mov_b32_dpp v11, v10 row_bcast:31 row_mask:0xf bank_mask:0xf
	s_and_saveexec_b64 s[2:3], s[0:1]
	s_cbranch_execz .LBB742_30
; %bb.29:
	v_lshrrev_b32_e32 v0, 4, v0
	v_add_f32_e32 v10, v10, v11
	v_and_b32_e32 v0, 60, v0
	ds_write_b32 v0, v10
.LBB742_30:
	s_or_b64 exec, exec, s[2:3]
	s_waitcnt lgkmcnt(0)
	s_barrier
	ds_read_b32 v0, v34
	s_waitcnt lgkmcnt(0)
	s_nop 0
	v_mov_b32_dpp v10, v0 quad_perm:[1,0,3,2] row_mask:0xf bank_mask:0xf
	s_and_saveexec_b64 s[0:1], vcc
	s_cbranch_execz .LBB742_12
; %bb.31:
	v_cvt_f32_u32_e32 v11, s20
	v_add_f32_e32 v0, v0, v10
	s_mov_b32 s15, 0x20000
	v_div_scale_f32 v10, s[0:1], v11, v11, v0
	v_rcp_f32_e32 v12, v10
	v_div_scale_f32 v13, vcc, v0, v11, v0
	s_mov_b32 s0, 0x800000
	v_fma_f32 v14, -v10, v12, 1.0
	v_fmac_f32_e32 v12, v14, v12
	v_mul_f32_e32 v14, v13, v12
	v_fma_f32 v15, -v10, v14, v13
	v_fmac_f32_e32 v14, v15, v12
	v_fma_f32 v10, -v10, v14, v13
	v_div_fmas_f32 v10, v10, v12, v14
	v_div_fixup_f32 v0, v10, v11, v0
	v_add_f32_e32 v0, s17, v0
	v_mul_f32_e32 v10, 0x4b800000, v0
	v_cmp_gt_f32_e32 vcc, s0, v0
	v_cndmask_b32_e32 v0, v0, v10, vcc
	v_rsq_f32_e32 v0, v0
	s_mul_hi_i32 s1, s7, s6
	s_mul_i32 s0, s7, s6
	s_lshl_b64 s[0:1], s[0:1], 1
	v_mul_f32_e32 v10, 0x45800000, v0
	v_cndmask_b32_e32 v10, v0, v10, vcc
	v_mov_b32_e32 v11, v10
	s_add_u32 s12, s28, s0
	;;#ASMSTART
	v_pk_mul_f32 v[12:13], v[18:19], v[10:11]
	;;#ASMEND
	;;#ASMSTART
	v_pk_mul_f32 v[14:15], v[32:33], v[10:11]
	;;#ASMEND
	;; [unrolled: 3-line block ×8, first 2 shown]
	s_waitcnt vmcnt(1)
	v_cvt_f32_u32_sdwa v21, v6 dst_sel:DWORD dst_unused:UNUSED_PAD src0_sel:WORD_1
	v_cvt_f32_u32_sdwa v20, v6 dst_sel:DWORD dst_unused:UNUSED_PAD src0_sel:WORD_0
	v_cvt_f32_u32_sdwa v29, v7 dst_sel:DWORD dst_unused:UNUSED_PAD src0_sel:WORD_1
	v_cvt_f32_u32_sdwa v28, v7 dst_sel:DWORD dst_unused:UNUSED_PAD src0_sel:WORD_0
	;; [unrolled: 2-line block ×3, first 2 shown]
	s_addc_u32 s0, s29, s1
	v_cvt_f32_u32_sdwa v31, v9 dst_sel:DWORD dst_unused:UNUSED_PAD src0_sel:WORD_1
	v_cvt_f32_u32_sdwa v30, v9 dst_sel:DWORD dst_unused:UNUSED_PAD src0_sel:WORD_0
	;;#ASMSTART
	v_pk_mul_f32 v[8:9], v[12:13], v[20:21]
	;;#ASMEND
	;;#ASMSTART
	v_pk_mul_f32 v[12:13], v[14:15], v[28:29]
	;;#ASMEND
	;; [unrolled: 3-line block ×4, first 2 shown]
	s_waitcnt vmcnt(0)
	v_cvt_f32_u32_sdwa v17, v2 dst_sel:DWORD dst_unused:UNUSED_PAD src0_sel:WORD_1
	v_cvt_f32_u32_sdwa v16, v2 dst_sel:DWORD dst_unused:UNUSED_PAD src0_sel:WORD_0
	v_cvt_f32_u32_sdwa v19, v3 dst_sel:DWORD dst_unused:UNUSED_PAD src0_sel:WORD_1
	v_cvt_f32_u32_sdwa v18, v3 dst_sel:DWORD dst_unused:UNUSED_PAD src0_sel:WORD_0
	;; [unrolled: 2-line block ×3, first 2 shown]
	s_and_b32 s13, s0, 0xffff
	s_mov_b32 s0, 0x7060302
	v_cvt_f32_u32_sdwa v21, v5 dst_sel:DWORD dst_unused:UNUSED_PAD src0_sel:WORD_1
	v_cvt_f32_u32_sdwa v20, v5 dst_sel:DWORD dst_unused:UNUSED_PAD src0_sel:WORD_0
	;;#ASMSTART
	v_pk_mul_f32 v[16:17], v[26:27], v[16:17]
	;;#ASMEND
	;;#ASMSTART
	v_pk_mul_f32 v[18:19], v[24:25], v[18:19]
	;;#ASMEND
	;;#ASMSTART
	v_pk_mul_f32 v[22:23], v[22:23], v[2:3]
	;;#ASMEND
	v_perm_b32 v2, v9, v8, s0
	v_perm_b32 v3, v13, v12, s0
	;; [unrolled: 1-line block ×4, first 2 shown]
	;;#ASMSTART
	v_pk_mul_f32 v[10:11], v[10:11], v[20:21]
	;;#ASMEND
	buffer_store_dwordx4 v[2:5], v1, s[12:15], 0 offen
	;;#ASMSTART
	s_nop 0
	;;#ASMEND
	s_nop 0
	v_perm_b32 v2, v17, v16, s0
	v_perm_b32 v3, v19, v18, s0
	;; [unrolled: 1-line block ×4, first 2 shown]
	buffer_store_dwordx4 v[2:5], v1, s[12:15], 16 offen
	;;#ASMSTART
	s_nop 0
	;;#ASMEND
	s_endpgm
	.section	.rodata,"a",@progbits
	.p2align	6, 0x0
	.amdhsa_kernel _ZN5aiter35fused_qk_rmsnorm_group_quant_kernelItDB8_Li128ELi16ELi2ELb0ELb0ELb0ELb0ELb0ELb0EEEvPT0_PvPT_S6_S6_PKS5_S8_S8_S8_S8_ffiiiiiiiiiiiii
		.amdhsa_group_segment_fixed_size 16
		.amdhsa_private_segment_fixed_size 0
		.amdhsa_kernarg_size 400
		.amdhsa_user_sgpr_count 6
		.amdhsa_user_sgpr_private_segment_buffer 1
		.amdhsa_user_sgpr_dispatch_ptr 0
		.amdhsa_user_sgpr_queue_ptr 0
		.amdhsa_user_sgpr_kernarg_segment_ptr 1
		.amdhsa_user_sgpr_dispatch_id 0
		.amdhsa_user_sgpr_flat_scratch_init 0
		.amdhsa_user_sgpr_kernarg_preload_length 0
		.amdhsa_user_sgpr_kernarg_preload_offset 0
		.amdhsa_user_sgpr_private_segment_size 0
		.amdhsa_uses_dynamic_stack 0
		.amdhsa_system_sgpr_private_segment_wavefront_offset 0
		.amdhsa_system_sgpr_workgroup_id_x 1
		.amdhsa_system_sgpr_workgroup_id_y 1
		.amdhsa_system_sgpr_workgroup_id_z 0
		.amdhsa_system_sgpr_workgroup_info 0
		.amdhsa_system_vgpr_workitem_id 0
		.amdhsa_next_free_vgpr 38
		.amdhsa_next_free_sgpr 32
		.amdhsa_accum_offset 40
		.amdhsa_reserve_vcc 1
		.amdhsa_reserve_flat_scratch 0
		.amdhsa_float_round_mode_32 0
		.amdhsa_float_round_mode_16_64 0
		.amdhsa_float_denorm_mode_32 3
		.amdhsa_float_denorm_mode_16_64 3
		.amdhsa_dx10_clamp 1
		.amdhsa_ieee_mode 1
		.amdhsa_fp16_overflow 0
		.amdhsa_tg_split 0
		.amdhsa_exception_fp_ieee_invalid_op 0
		.amdhsa_exception_fp_denorm_src 0
		.amdhsa_exception_fp_ieee_div_zero 0
		.amdhsa_exception_fp_ieee_overflow 0
		.amdhsa_exception_fp_ieee_underflow 0
		.amdhsa_exception_fp_ieee_inexact 0
		.amdhsa_exception_int_div_zero 0
	.end_amdhsa_kernel
	.section	.text._ZN5aiter35fused_qk_rmsnorm_group_quant_kernelItDB8_Li128ELi16ELi2ELb0ELb0ELb0ELb0ELb0ELb0EEEvPT0_PvPT_S6_S6_PKS5_S8_S8_S8_S8_ffiiiiiiiiiiiii,"axG",@progbits,_ZN5aiter35fused_qk_rmsnorm_group_quant_kernelItDB8_Li128ELi16ELi2ELb0ELb0ELb0ELb0ELb0ELb0EEEvPT0_PvPT_S6_S6_PKS5_S8_S8_S8_S8_ffiiiiiiiiiiiii,comdat
.Lfunc_end742:
	.size	_ZN5aiter35fused_qk_rmsnorm_group_quant_kernelItDB8_Li128ELi16ELi2ELb0ELb0ELb0ELb0ELb0ELb0EEEvPT0_PvPT_S6_S6_PKS5_S8_S8_S8_S8_ffiiiiiiiiiiiii, .Lfunc_end742-_ZN5aiter35fused_qk_rmsnorm_group_quant_kernelItDB8_Li128ELi16ELi2ELb0ELb0ELb0ELb0ELb0ELb0EEEvPT0_PvPT_S6_S6_PKS5_S8_S8_S8_S8_ffiiiiiiiiiiiii
                                        ; -- End function
	.section	.AMDGPU.csdata,"",@progbits
; Kernel info:
; codeLenInByte = 3400
; NumSgprs: 36
; NumVgprs: 38
; NumAgprs: 0
; TotalNumVgprs: 38
; ScratchSize: 0
; MemoryBound: 0
; FloatMode: 240
; IeeeMode: 1
; LDSByteSize: 16 bytes/workgroup (compile time only)
; SGPRBlocks: 4
; VGPRBlocks: 4
; NumSGPRsForWavesPerEU: 36
; NumVGPRsForWavesPerEU: 38
; AccumOffset: 40
; Occupancy: 8
; WaveLimiterHint : 0
; COMPUTE_PGM_RSRC2:SCRATCH_EN: 0
; COMPUTE_PGM_RSRC2:USER_SGPR: 6
; COMPUTE_PGM_RSRC2:TRAP_HANDLER: 0
; COMPUTE_PGM_RSRC2:TGID_X_EN: 1
; COMPUTE_PGM_RSRC2:TGID_Y_EN: 1
; COMPUTE_PGM_RSRC2:TGID_Z_EN: 0
; COMPUTE_PGM_RSRC2:TIDIG_COMP_CNT: 0
; COMPUTE_PGM_RSRC3_GFX90A:ACCUM_OFFSET: 9
; COMPUTE_PGM_RSRC3_GFX90A:TG_SPLIT: 0
	.section	.text._ZN5aiter35fused_qk_rmsnorm_group_quant_kernelIDF16_N4opus5fp4_tELi128ELi16ELi2ELb0ELb0ELb0ELb0ELb0ELb0EEEvPT0_PvPT_S7_S7_PKS6_S9_S9_S9_S9_ffiiiiiiiiiiiii,"axG",@progbits,_ZN5aiter35fused_qk_rmsnorm_group_quant_kernelIDF16_N4opus5fp4_tELi128ELi16ELi2ELb0ELb0ELb0ELb0ELb0ELb0EEEvPT0_PvPT_S7_S7_PKS6_S9_S9_S9_S9_ffiiiiiiiiiiiii,comdat
	.protected	_ZN5aiter35fused_qk_rmsnorm_group_quant_kernelIDF16_N4opus5fp4_tELi128ELi16ELi2ELb0ELb0ELb0ELb0ELb0ELb0EEEvPT0_PvPT_S7_S7_PKS6_S9_S9_S9_S9_ffiiiiiiiiiiiii ; -- Begin function _ZN5aiter35fused_qk_rmsnorm_group_quant_kernelIDF16_N4opus5fp4_tELi128ELi16ELi2ELb0ELb0ELb0ELb0ELb0ELb0EEEvPT0_PvPT_S7_S7_PKS6_S9_S9_S9_S9_ffiiiiiiiiiiiii
	.globl	_ZN5aiter35fused_qk_rmsnorm_group_quant_kernelIDF16_N4opus5fp4_tELi128ELi16ELi2ELb0ELb0ELb0ELb0ELb0ELb0EEEvPT0_PvPT_S7_S7_PKS6_S9_S9_S9_S9_ffiiiiiiiiiiiii
	.p2align	8
	.type	_ZN5aiter35fused_qk_rmsnorm_group_quant_kernelIDF16_N4opus5fp4_tELi128ELi16ELi2ELb0ELb0ELb0ELb0ELb0ELb0EEEvPT0_PvPT_S7_S7_PKS6_S9_S9_S9_S9_ffiiiiiiiiiiiii,@function
_ZN5aiter35fused_qk_rmsnorm_group_quant_kernelIDF16_N4opus5fp4_tELi128ELi16ELi2ELb0ELb0ELb0ELb0ELb0ELb0EEEvPT0_PvPT_S7_S7_PKS6_S9_S9_S9_S9_ffiiiiiiiiiiiii: ; @_ZN5aiter35fused_qk_rmsnorm_group_quant_kernelIDF16_N4opus5fp4_tELi128ELi16ELi2ELb0ELb0ELb0ELb0ELb0ELb0EEEvPT0_PvPT_S7_S7_PKS6_S9_S9_S9_S9_ffiiiiiiiiiiiii
; %bb.0:
	s_load_dwordx4 s[16:19], s[4:5], 0x50
	s_waitcnt lgkmcnt(0)
	s_cmp_ge_i32 s6, s18
	s_cbranch_scc1 .LBB743_12
; %bb.1:
	s_load_dwordx2 s[12:13], s[4:5], 0x48
	s_load_dwordx2 s[30:31], s[4:5], 0x30
	s_load_dwordx4 s[20:23], s[4:5], 0x60
	s_cmp_lg_u32 s7, 0
	s_cselect_b64 s[14:15], -1, 0
	s_cmp_eq_u32 s7, 0
	s_cselect_b64 vcc, -1, 0
	s_and_b64 s[0:1], vcc, exec
	s_waitcnt lgkmcnt(0)
	s_cselect_b32 s7, s19, s20
	s_add_i32 s0, s7, 1
	s_lshr_b32 s1, s0, 31
	s_add_i32 s0, s0, s1
	s_lshl_b32 s0, s0, 1
	v_lshlrev_b32_e32 v1, 4, v0
	s_and_b32 s10, s0, -4
	v_cmp_gt_i32_e64 s[2:3], s7, v1
	v_mov_b32_e32 v18, 0
	v_mov_b32_e32 v6, 0
	v_mov_b32_e32 v7, 0
	v_mov_b32_e32 v8, 0
	v_mov_b32_e32 v9, 0
	v_mov_b32_e32 v2, 0
	v_mov_b32_e32 v3, 0
	v_mov_b32_e32 v4, 0
	v_mov_b32_e32 v5, 0
	v_mov_b32_e32 v14, 0
	v_mov_b32_e32 v15, 0
	v_mov_b32_e32 v16, 0
	v_mov_b32_e32 v17, 0
	v_mov_b32_e32 v10, 0
	v_mov_b32_e32 v11, 0
	v_mov_b32_e32 v12, 0
	v_mov_b32_e32 v13, 0
	s_and_saveexec_b64 s[0:1], s[2:3]
	s_cbranch_execz .LBB743_3
; %bb.2:
	s_load_dwordx2 s[8:9], s[4:5], 0x28
	s_load_dwordx2 s[26:27], s[4:5], 0x40
	s_and_b64 s[24:25], vcc, exec
	s_cselect_b32 s11, s21, s22
	v_lshlrev_b32_e32 v19, 5, v0
	s_waitcnt lgkmcnt(0)
	s_cselect_b32 s18, s9, s31
	s_cselect_b32 s21, s8, s30
	s_mul_hi_i32 s9, s11, s6
	s_mul_i32 s8, s11, s6
	s_lshl_b64 s[8:9], s[8:9], 1
	s_add_u32 s24, s21, s8
	s_addc_u32 s18, s18, s9
	s_and_b64 s[8:9], vcc, exec
	s_mov_b32 s11, 0x20000
	s_cselect_b32 s8, s26, s12
	s_cselect_b32 s9, s27, s13
	s_and_b32 s25, s18, 0xffff
	s_mov_b32 s26, s10
	s_mov_b32 s27, s11
	s_and_b32 s9, s9, 0xffff
	buffer_load_dwordx4 v[14:17], v19, s[24:27], 0 offen
	buffer_load_dwordx4 v[10:13], v19, s[24:27], 16 offen
	;; [unrolled: 1-line block ×4, first 2 shown]
.LBB743_3:
	s_or_b64 exec, exec, s[0:1]
	v_mov_b32_e32 v19, 0
	v_mov_b32_e32 v24, 0
	;; [unrolled: 1-line block ×15, first 2 shown]
	s_and_saveexec_b64 s[0:1], s[2:3]
	s_cbranch_execz .LBB743_5
; %bb.4:
	s_waitcnt vmcnt(3)
	v_cvt_f32_f16_sdwa v19, v14 dst_sel:DWORD dst_unused:UNUSED_PAD src0_sel:WORD_1
	v_cvt_f32_f16_e32 v18, v14
	v_cvt_f32_f16_sdwa v25, v15 dst_sel:DWORD dst_unused:UNUSED_PAD src0_sel:WORD_1
	v_cvt_f32_f16_e32 v24, v15
	;; [unrolled: 2-line block ×4, first 2 shown]
	s_waitcnt vmcnt(2)
	v_cvt_f32_f16_sdwa v33, v10 dst_sel:DWORD dst_unused:UNUSED_PAD src0_sel:WORD_1
	v_cvt_f32_f16_e32 v32, v10
	v_cvt_f32_f16_sdwa v31, v11 dst_sel:DWORD dst_unused:UNUSED_PAD src0_sel:WORD_1
	v_cvt_f32_f16_e32 v30, v11
	;; [unrolled: 2-line block ×4, first 2 shown]
.LBB743_5:
	s_or_b64 exec, exec, s[0:1]
	s_waitcnt vmcnt(2)
	v_mul_f32_e32 v10, v19, v19
	v_fmac_f32_e32 v10, v18, v18
	v_fmac_f32_e32 v10, v24, v24
	;; [unrolled: 1-line block ×15, first 2 shown]
	v_and_b32_e32 v12, 63, v0
	v_cmp_eq_u32_e64 s[0:1], 63, v12
	v_mov_b32_dpp v11, v10 quad_perm:[1,0,3,2] row_mask:0xf bank_mask:0xf
	v_add_f32_e32 v10, v10, v11
	s_nop 1
	v_mov_b32_dpp v11, v10 quad_perm:[2,3,0,1] row_mask:0xf bank_mask:0xf
	v_add_f32_e32 v10, v10, v11
	s_nop 1
	v_mov_b32_dpp v11, v10 row_half_mirror row_mask:0xf bank_mask:0xf
	v_add_f32_e32 v10, v10, v11
	s_nop 1
	v_mov_b32_dpp v11, v10 row_mirror row_mask:0xf bank_mask:0xf
	v_add_f32_e32 v10, v10, v11
	s_nop 1
	v_mov_b32_dpp v11, v10 row_bcast:15 row_mask:0xf bank_mask:0xf
	v_add_f32_e32 v10, v10, v11
	s_nop 1
	v_mov_b32_dpp v11, v10 row_bcast:31 row_mask:0xf bank_mask:0xf
	s_and_saveexec_b64 s[8:9], s[0:1]
	s_cbranch_execz .LBB743_7
; %bb.6:
	v_add_f32_e32 v10, v10, v11
	v_lshrrev_b32_e32 v11, 4, v0
	v_and_b32_e32 v11, 60, v11
	ds_write_b32 v11, v10 offset:8
.LBB743_7:
	s_or_b64 exec, exec, s[8:9]
	v_and_b32_e32 v10, 1, v0
	v_lshlrev_b32_e32 v34, 2, v10
	s_waitcnt lgkmcnt(0)
	s_barrier
	ds_read_b32 v11, v34 offset:8
	s_load_dwordx2 s[28:29], s[4:5], 0x18
	s_waitcnt lgkmcnt(0)
	v_mov_b32_dpp v12, v11 quad_perm:[1,0,3,2] row_mask:0xf bank_mask:0xf
	s_and_saveexec_b64 s[8:9], s[2:3]
	s_cbranch_execz .LBB743_9
; %bb.8:
	v_cvt_f32_u32_e32 v13, s7
	v_add_f32_e32 v11, v11, v12
	v_mov_b32_e32 v15, s17
	v_mov_b32_e32 v16, s16
	v_div_scale_f32 v12, s[24:25], v13, v13, v11
	v_rcp_f32_e32 v14, v12
	v_cndmask_b32_e32 v15, v15, v16, vcc
	s_mov_b32 s7, 0x800000
	v_fma_f32 v16, -v12, v14, 1.0
	v_fmac_f32_e32 v14, v16, v14
	v_div_scale_f32 v16, vcc, v11, v13, v11
	v_mul_f32_e32 v17, v16, v14
	v_fma_f32 v35, -v12, v17, v16
	v_fmac_f32_e32 v17, v35, v14
	v_fma_f32 v12, -v12, v17, v16
	v_div_fmas_f32 v12, v12, v14, v17
	v_div_fixup_f32 v11, v12, v13, v11
	v_add_f32_e32 v11, v15, v11
	v_mul_f32_e32 v12, 0x4b800000, v11
	v_cmp_gt_f32_e32 vcc, s7, v11
	v_cndmask_b32_e32 v11, v11, v12, vcc
	v_rsq_f32_e32 v11, v11
	v_mul_f32_e32 v12, 0x45800000, v11
	v_cndmask_b32_e32 v12, v11, v12, vcc
	v_mov_b32_e32 v13, v12
	;;#ASMSTART
	v_pk_mul_f32 v[14:15], v[18:19], v[12:13]
	;;#ASMEND
	;;#ASMSTART
	v_pk_mul_f32 v[16:17], v[24:25], v[12:13]
	;;#ASMEND
	;; [unrolled: 3-line block ×8, first 2 shown]
	s_waitcnt vmcnt(1)
	v_cvt_f32_f16_sdwa v19, v6 dst_sel:DWORD dst_unused:UNUSED_PAD src0_sel:WORD_1
	v_cvt_f32_f16_e32 v18, v6
	v_cvt_f32_f16_sdwa v25, v7 dst_sel:DWORD dst_unused:UNUSED_PAD src0_sel:WORD_1
	v_cvt_f32_f16_e32 v24, v7
	;; [unrolled: 2-line block ×4, first 2 shown]
	;;#ASMSTART
	v_pk_mul_f32 v[18:19], v[14:15], v[18:19]
	;;#ASMEND
	;;#ASMSTART
	v_pk_mul_f32 v[24:25], v[16:17], v[24:25]
	;;#ASMEND
	;;#ASMSTART
	v_pk_mul_f32 v[20:21], v[20:21], v[6:7]
	;;#ASMEND
	;;#ASMSTART
	v_pk_mul_f32 v[22:23], v[22:23], v[28:29]
	;;#ASMEND
	s_waitcnt vmcnt(0)
	v_cvt_f32_f16_sdwa v7, v2 dst_sel:DWORD dst_unused:UNUSED_PAD src0_sel:WORD_1
	v_cvt_f32_f16_e32 v6, v2
	v_cvt_f32_f16_sdwa v9, v3 dst_sel:DWORD dst_unused:UNUSED_PAD src0_sel:WORD_1
	v_cvt_f32_f16_e32 v8, v3
	;; [unrolled: 2-line block ×4, first 2 shown]
	;;#ASMSTART
	v_pk_mul_f32 v[32:33], v[32:33], v[6:7]
	;;#ASMEND
	;;#ASMSTART
	v_pk_mul_f32 v[30:31], v[30:31], v[8:9]
	;;#ASMEND
	;; [unrolled: 3-line block ×4, first 2 shown]
.LBB743_9:
	s_or_b64 exec, exec, s[8:9]
	s_load_dword s7, s[4:5], 0x80
	s_mov_b64 s[8:9], -1
	s_and_b64 vcc, exec, s[14:15]
	s_cbranch_vccnz .LBB743_13
; %bb.10:
	s_andn2_b64 vcc, exec, s[8:9]
	s_cbranch_vccz .LBB743_16
.LBB743_11:
	s_cmp_lt_i32 s20, 1
	s_cbranch_scc0 .LBB743_23
.LBB743_12:
	s_endpgm
.LBB743_13:
	s_and_saveexec_b64 s[14:15], s[2:3]
	s_cbranch_execz .LBB743_15
; %bb.14:
	s_waitcnt lgkmcnt(0)
	s_mul_hi_i32 s9, s7, s6
	s_mul_i32 s8, s7, s6
	s_waitcnt vmcnt(0)
	v_cvt_f16_f32_e32 v2, v18
	v_cvt_f16_f32_e32 v3, v24
	;; [unrolled: 1-line block ×8, first 2 shown]
	s_lshl_b64 s[8:9], s[8:9], 1
	s_add_u32 s8, s28, s8
	s_addc_u32 s9, s29, s9
	s_and_b32 s9, s9, 0xffff
	s_mov_b32 s11, 0x20000
	v_pack_b32_f16 v5, v5, v6
	v_pack_b32_f16 v4, v4, v7
	;; [unrolled: 1-line block ×4, first 2 shown]
	v_lshlrev_b32_e32 v6, 5, v0
	buffer_store_dwordx4 v[2:5], v6, s[8:11], 0 offen
	v_cvt_f16_f32_e32 v7, v29
	v_cvt_f16_f32_e32 v2, v32
	;; [unrolled: 1-line block ×8, first 2 shown]
	v_pack_b32_f16 v5, v5, v7
	v_pack_b32_f16 v4, v4, v8
	v_pack_b32_f16 v3, v3, v9
	v_pack_b32_f16 v2, v2, v11
	;;#ASMSTART
	s_nop 0
	;;#ASMEND
	buffer_store_dwordx4 v[2:5], v6, s[8:11], 16 offen
	;;#ASMSTART
	s_nop 0
	;;#ASMEND
.LBB743_15:
	s_or_b64 exec, exec, s[14:15]
	s_cbranch_execnz .LBB743_11
.LBB743_16:
	s_waitcnt vmcnt(0)
	v_mov_b32_e32 v2, 0
	s_and_saveexec_b64 s[8:9], s[2:3]
	s_cbranch_execz .LBB743_18
; %bb.17:
	v_and_b32_e32 v2, 0x7fffffff, v18
	v_and_b32_e32 v3, 0x7fffffff, v19
	v_mov_b32_e32 v4, 0x2edbe6ff
	;;#ASMSTART
	v_max3_f32 v2, v4, v2, v3

	;;#ASMEND
	v_and_b32_e32 v3, 0x7fffffff, v24
	v_and_b32_e32 v4, 0x7fffffff, v25
	;;#ASMSTART
	v_max3_f32 v2, v2, v3, v4

	;;#ASMEND
	v_and_b32_e32 v3, 0x7fffffff, v20
	v_and_b32_e32 v4, 0x7fffffff, v21
	;; [unrolled: 6-line block ×7, first 2 shown]
	;;#ASMSTART
	v_max3_f32 v2, v2, v3, v4

	;;#ASMEND
.LBB743_18:
	s_or_b64 exec, exec, s[8:9]
	s_load_dwordx4 s[24:27], s[4:5], 0x70
	v_cmp_eq_u32_e32 vcc, 0, v10
	v_cmp_gt_i32_e64 s[8:9], s19, v1
	s_and_b64 s[10:11], vcc, s[8:9]
	;;#ASMSTART
	v_max_f32 v3, v2, v2 quad_perm:[1,0,3,2] row_mask:0xf bank_mask:0xf bound_ctrl:1
	;;#ASMEND
	s_and_saveexec_b64 s[8:9], s[10:11]
	s_cbranch_execz .LBB743_20
; %bb.19:
	s_load_dwordx2 s[10:11], s[4:5], 0x8
	v_mul_f32_e32 v2, 0x3e2aaaab, v3
	v_lshrrev_b32_e32 v3, 23, v2
	v_and_b32_e32 v4, 0x7f800000, v2
	v_and_b32_e32 v2, 0x7fffff, v2
	v_cmp_ne_u32_e32 vcc, 0, v2
	s_waitcnt lgkmcnt(0)
	s_mul_i32 s16, s25, s6
	s_mov_b32 s14, 0x7f800000
	v_addc_co_u32_e32 v2, vcc, 0, v3, vcc
	s_mul_hi_i32 s15, s25, s6
	s_add_u32 s10, s10, s16
	v_cmp_ne_u32_e32 vcc, s14, v4
	s_addc_u32 s11, s11, s15
	v_lshrrev_b32_e32 v5, 1, v0
	v_cndmask_b32_e32 v4, -1, v2, vcc
	v_pk_mov_b32 v[2:3], s[10:11], s[10:11] op_sel:[0,1]
	v_mad_i64_i32 v[2:3], s[10:11], s26, v5, v[2:3]
	global_store_byte v[2:3], v4, off
.LBB743_20:
	s_or_b64 exec, exec, s[8:9]
	s_and_saveexec_b64 s[8:9], s[2:3]
	s_cbranch_execz .LBB743_22
; %bb.21:
	s_load_dwordx2 s[2:3], s[4:5], 0x0
	s_waitcnt lgkmcnt(0)
	s_mul_i32 s11, s24, s6
	s_mul_hi_i32 s10, s24, s6
	v_mov_b32_e32 v2, 0
	v_lshlrev_b32_e32 v4, 3, v0
	s_add_u32 s24, s2, s11
	s_addc_u32 s2, s3, s10
	s_lshr_b32 s3, s19, 31
	s_add_i32 s3, s19, s3
	s_ashr_i32 s3, s3, 1
	s_add_i32 s3, s3, 3
	s_ashr_i32 s10, s3, 31
	s_lshr_b32 s10, s10, 30
	s_add_i32 s3, s3, s10
	s_and_b32 s26, s3, -4
	s_and_b32 s25, s2, 0xffff
	s_mov_b32 s27, 0x20000
	v_mov_b32_e32 v3, v2
	buffer_store_dwordx2 v[2:3], v4, s[24:27], 0 offen
	;;#ASMSTART
	s_nop 0
	;;#ASMEND
.LBB743_22:
	s_or_b64 exec, exec, s[8:9]
	s_cmp_lt_i32 s20, 1
	s_cbranch_scc1 .LBB743_12
.LBB743_23:
	s_load_dword s2, s[4:5], 0x94
	s_waitcnt lgkmcnt(0)
	s_cmp_lg_u32 s2, 1
	s_cbranch_scc1 .LBB743_12
; %bb.24:
	s_lshl_b32 s2, s20, 1
	s_add_i32 s2, s2, 2
	v_cmp_gt_u32_e32 vcc, s20, v1
	s_and_b32 s14, s2, -4
	v_mov_b32_e32 v18, 0
	v_lshlrev_b32_e32 v1, 5, v0
	v_mov_b32_e32 v14, 0
	v_mov_b32_e32 v15, 0
	;; [unrolled: 1-line block ×8, first 2 shown]
	s_waitcnt vmcnt(1)
	v_mov_b32_e32 v6, 0
	v_mov_b32_e32 v7, 0
	;; [unrolled: 1-line block ×4, first 2 shown]
	s_waitcnt vmcnt(0)
	v_mov_b32_e32 v2, 0
	v_mov_b32_e32 v3, 0
	v_mov_b32_e32 v4, 0
	v_mov_b32_e32 v5, 0
	s_barrier
	s_and_saveexec_b64 s[2:3], vcc
	s_cbranch_execz .LBB743_26
; %bb.25:
	s_mul_hi_i32 s5, s22, s6
	s_mul_i32 s4, s22, s6
	s_and_b32 s13, s13, 0xffff
	s_lshl_b64 s[4:5], s[4:5], 1
	s_add_u32 s8, s30, s4
	s_mov_b32 s15, 0x20000
	s_addc_u32 s4, s31, s5
	s_and_b32 s9, s4, 0xffff
	s_mov_b32 s10, s14
	s_mov_b32 s11, s15
	buffer_load_dwordx4 v[14:17], v1, s[8:11], 0 offen
	buffer_load_dwordx4 v[10:13], v1, s[8:11], 16 offen
	;; [unrolled: 1-line block ×4, first 2 shown]
.LBB743_26:
	s_or_b64 exec, exec, s[2:3]
	v_mov_b32_e32 v19, 0
	v_mov_b32_e32 v32, 0
	;; [unrolled: 1-line block ×15, first 2 shown]
	s_and_saveexec_b64 s[2:3], vcc
	s_cbranch_execz .LBB743_28
; %bb.27:
	s_waitcnt vmcnt(3)
	v_cvt_f32_f16_sdwa v19, v14 dst_sel:DWORD dst_unused:UNUSED_PAD src0_sel:WORD_1
	v_cvt_f32_f16_e32 v18, v14
	v_cvt_f32_f16_sdwa v33, v15 dst_sel:DWORD dst_unused:UNUSED_PAD src0_sel:WORD_1
	v_cvt_f32_f16_e32 v32, v15
	;; [unrolled: 2-line block ×4, first 2 shown]
	s_waitcnt vmcnt(2)
	v_cvt_f32_f16_sdwa v27, v10 dst_sel:DWORD dst_unused:UNUSED_PAD src0_sel:WORD_1
	v_cvt_f32_f16_e32 v26, v10
	v_cvt_f32_f16_sdwa v25, v11 dst_sel:DWORD dst_unused:UNUSED_PAD src0_sel:WORD_1
	v_cvt_f32_f16_e32 v24, v11
	;; [unrolled: 2-line block ×4, first 2 shown]
.LBB743_28:
	s_or_b64 exec, exec, s[2:3]
	s_waitcnt vmcnt(2)
	v_mul_f32_e32 v10, v19, v19
	v_fmac_f32_e32 v10, v18, v18
	v_fmac_f32_e32 v10, v32, v32
	;; [unrolled: 1-line block ×15, first 2 shown]
	s_nop 1
	v_mov_b32_dpp v11, v10 quad_perm:[1,0,3,2] row_mask:0xf bank_mask:0xf
	v_add_f32_e32 v10, v10, v11
	s_nop 1
	v_mov_b32_dpp v11, v10 quad_perm:[2,3,0,1] row_mask:0xf bank_mask:0xf
	v_add_f32_e32 v10, v10, v11
	s_nop 1
	v_mov_b32_dpp v11, v10 row_half_mirror row_mask:0xf bank_mask:0xf
	v_add_f32_e32 v10, v10, v11
	s_nop 1
	v_mov_b32_dpp v11, v10 row_mirror row_mask:0xf bank_mask:0xf
	v_add_f32_e32 v10, v10, v11
	s_nop 1
	v_mov_b32_dpp v11, v10 row_bcast:15 row_mask:0xf bank_mask:0xf
	v_add_f32_e32 v10, v10, v11
	s_nop 1
	v_mov_b32_dpp v11, v10 row_bcast:31 row_mask:0xf bank_mask:0xf
	s_and_saveexec_b64 s[2:3], s[0:1]
	s_cbranch_execz .LBB743_30
; %bb.29:
	v_lshrrev_b32_e32 v0, 4, v0
	v_add_f32_e32 v10, v10, v11
	v_and_b32_e32 v0, 60, v0
	ds_write_b32 v0, v10
.LBB743_30:
	s_or_b64 exec, exec, s[2:3]
	s_waitcnt lgkmcnt(0)
	s_barrier
	ds_read_b32 v0, v34
	s_waitcnt lgkmcnt(0)
	s_nop 0
	v_mov_b32_dpp v10, v0 quad_perm:[1,0,3,2] row_mask:0xf bank_mask:0xf
	s_and_saveexec_b64 s[0:1], vcc
	s_cbranch_execz .LBB743_12
; %bb.31:
	v_cvt_f32_u32_e32 v11, s20
	v_add_f32_e32 v0, v0, v10
	s_mov_b32 s15, 0x20000
	v_div_scale_f32 v10, s[0:1], v11, v11, v0
	v_rcp_f32_e32 v12, v10
	v_div_scale_f32 v13, vcc, v0, v11, v0
	s_mov_b32 s0, 0x800000
	v_fma_f32 v14, -v10, v12, 1.0
	v_fmac_f32_e32 v12, v14, v12
	v_mul_f32_e32 v14, v13, v12
	v_fma_f32 v15, -v10, v14, v13
	v_fmac_f32_e32 v14, v15, v12
	v_fma_f32 v10, -v10, v14, v13
	v_div_fmas_f32 v10, v10, v12, v14
	v_div_fixup_f32 v0, v10, v11, v0
	v_add_f32_e32 v0, s17, v0
	v_mul_f32_e32 v10, 0x4b800000, v0
	v_cmp_gt_f32_e32 vcc, s0, v0
	v_cndmask_b32_e32 v0, v0, v10, vcc
	v_rsq_f32_e32 v0, v0
	s_mul_hi_i32 s1, s7, s6
	s_mul_i32 s0, s7, s6
	s_lshl_b64 s[0:1], s[0:1], 1
	v_mul_f32_e32 v10, 0x45800000, v0
	v_cndmask_b32_e32 v10, v0, v10, vcc
	v_mov_b32_e32 v11, v10
	;;#ASMSTART
	v_pk_mul_f32 v[12:13], v[18:19], v[10:11]
	;;#ASMEND
	;;#ASMSTART
	v_pk_mul_f32 v[14:15], v[32:33], v[10:11]
	;;#ASMEND
	;; [unrolled: 3-line block ×8, first 2 shown]
	s_waitcnt vmcnt(1)
	v_cvt_f32_f16_sdwa v21, v6 dst_sel:DWORD dst_unused:UNUSED_PAD src0_sel:WORD_1
	v_cvt_f32_f16_e32 v20, v6
	v_cvt_f32_f16_sdwa v29, v7 dst_sel:DWORD dst_unused:UNUSED_PAD src0_sel:WORD_1
	v_cvt_f32_f16_e32 v28, v7
	;; [unrolled: 2-line block ×4, first 2 shown]
	;;#ASMSTART
	v_pk_mul_f32 v[8:9], v[12:13], v[20:21]
	;;#ASMEND
	;;#ASMSTART
	v_pk_mul_f32 v[12:13], v[14:15], v[28:29]
	;;#ASMEND
	;; [unrolled: 3-line block ×4, first 2 shown]
	s_waitcnt vmcnt(0)
	v_cvt_f32_f16_sdwa v17, v2 dst_sel:DWORD dst_unused:UNUSED_PAD src0_sel:WORD_1
	v_cvt_f32_f16_e32 v16, v2
	v_cvt_f32_f16_sdwa v19, v3 dst_sel:DWORD dst_unused:UNUSED_PAD src0_sel:WORD_1
	v_cvt_f32_f16_e32 v18, v3
	;; [unrolled: 2-line block ×4, first 2 shown]
	;;#ASMSTART
	v_pk_mul_f32 v[16:17], v[26:27], v[16:17]
	;;#ASMEND
	;;#ASMSTART
	v_pk_mul_f32 v[18:19], v[24:25], v[18:19]
	;;#ASMEND
	;; [unrolled: 3-line block ×3, first 2 shown]
	v_cvt_f16_f32_e32 v0, v8
	v_cvt_f16_f32_e32 v2, v9
	;; [unrolled: 1-line block ×8, first 2 shown]
	s_add_u32 s12, s28, s0
	s_addc_u32 s0, s29, s1
	s_and_b32 s13, s0, 0xffff
	v_pack_b32_f16 v2, v0, v2
	v_pack_b32_f16 v3, v3, v4
	;; [unrolled: 1-line block ×4, first 2 shown]
	;;#ASMSTART
	v_pk_mul_f32 v[10:11], v[10:11], v[20:21]
	;;#ASMEND
	buffer_store_dwordx4 v[2:5], v1, s[12:15], 0 offen
	v_cvt_f16_f32_e32 v0, v16
	v_cvt_f16_f32_e32 v2, v17
	;; [unrolled: 1-line block ×8, first 2 shown]
	v_pack_b32_f16 v2, v0, v2
	v_pack_b32_f16 v3, v3, v4
	;; [unrolled: 1-line block ×4, first 2 shown]
	;;#ASMSTART
	s_nop 0
	;;#ASMEND
	buffer_store_dwordx4 v[2:5], v1, s[12:15], 16 offen
	;;#ASMSTART
	s_nop 0
	;;#ASMEND
	s_endpgm
	.section	.rodata,"a",@progbits
	.p2align	6, 0x0
	.amdhsa_kernel _ZN5aiter35fused_qk_rmsnorm_group_quant_kernelIDF16_N4opus5fp4_tELi128ELi16ELi2ELb0ELb0ELb0ELb0ELb0ELb0EEEvPT0_PvPT_S7_S7_PKS6_S9_S9_S9_S9_ffiiiiiiiiiiiii
		.amdhsa_group_segment_fixed_size 16
		.amdhsa_private_segment_fixed_size 0
		.amdhsa_kernarg_size 400
		.amdhsa_user_sgpr_count 6
		.amdhsa_user_sgpr_private_segment_buffer 1
		.amdhsa_user_sgpr_dispatch_ptr 0
		.amdhsa_user_sgpr_queue_ptr 0
		.amdhsa_user_sgpr_kernarg_segment_ptr 1
		.amdhsa_user_sgpr_dispatch_id 0
		.amdhsa_user_sgpr_flat_scratch_init 0
		.amdhsa_user_sgpr_kernarg_preload_length 0
		.amdhsa_user_sgpr_kernarg_preload_offset 0
		.amdhsa_user_sgpr_private_segment_size 0
		.amdhsa_uses_dynamic_stack 0
		.amdhsa_system_sgpr_private_segment_wavefront_offset 0
		.amdhsa_system_sgpr_workgroup_id_x 1
		.amdhsa_system_sgpr_workgroup_id_y 1
		.amdhsa_system_sgpr_workgroup_id_z 0
		.amdhsa_system_sgpr_workgroup_info 0
		.amdhsa_system_vgpr_workitem_id 0
		.amdhsa_next_free_vgpr 36
		.amdhsa_next_free_sgpr 32
		.amdhsa_accum_offset 36
		.amdhsa_reserve_vcc 1
		.amdhsa_reserve_flat_scratch 0
		.amdhsa_float_round_mode_32 0
		.amdhsa_float_round_mode_16_64 0
		.amdhsa_float_denorm_mode_32 3
		.amdhsa_float_denorm_mode_16_64 3
		.amdhsa_dx10_clamp 1
		.amdhsa_ieee_mode 1
		.amdhsa_fp16_overflow 0
		.amdhsa_tg_split 0
		.amdhsa_exception_fp_ieee_invalid_op 0
		.amdhsa_exception_fp_denorm_src 0
		.amdhsa_exception_fp_ieee_div_zero 0
		.amdhsa_exception_fp_ieee_overflow 0
		.amdhsa_exception_fp_ieee_underflow 0
		.amdhsa_exception_fp_ieee_inexact 0
		.amdhsa_exception_int_div_zero 0
	.end_amdhsa_kernel
	.section	.text._ZN5aiter35fused_qk_rmsnorm_group_quant_kernelIDF16_N4opus5fp4_tELi128ELi16ELi2ELb0ELb0ELb0ELb0ELb0ELb0EEEvPT0_PvPT_S7_S7_PKS6_S9_S9_S9_S9_ffiiiiiiiiiiiii,"axG",@progbits,_ZN5aiter35fused_qk_rmsnorm_group_quant_kernelIDF16_N4opus5fp4_tELi128ELi16ELi2ELb0ELb0ELb0ELb0ELb0ELb0EEEvPT0_PvPT_S7_S7_PKS6_S9_S9_S9_S9_ffiiiiiiiiiiiii,comdat
.Lfunc_end743:
	.size	_ZN5aiter35fused_qk_rmsnorm_group_quant_kernelIDF16_N4opus5fp4_tELi128ELi16ELi2ELb0ELb0ELb0ELb0ELb0ELb0EEEvPT0_PvPT_S7_S7_PKS6_S9_S9_S9_S9_ffiiiiiiiiiiiii, .Lfunc_end743-_ZN5aiter35fused_qk_rmsnorm_group_quant_kernelIDF16_N4opus5fp4_tELi128ELi16ELi2ELb0ELb0ELb0ELb0ELb0ELb0EEEvPT0_PvPT_S7_S7_PKS6_S9_S9_S9_S9_ffiiiiiiiiiiiii
                                        ; -- End function
	.section	.AMDGPU.csdata,"",@progbits
; Kernel info:
; codeLenInByte = 3068
; NumSgprs: 36
; NumVgprs: 36
; NumAgprs: 0
; TotalNumVgprs: 36
; ScratchSize: 0
; MemoryBound: 0
; FloatMode: 240
; IeeeMode: 1
; LDSByteSize: 16 bytes/workgroup (compile time only)
; SGPRBlocks: 4
; VGPRBlocks: 4
; NumSGPRsForWavesPerEU: 36
; NumVGPRsForWavesPerEU: 36
; AccumOffset: 36
; Occupancy: 8
; WaveLimiterHint : 0
; COMPUTE_PGM_RSRC2:SCRATCH_EN: 0
; COMPUTE_PGM_RSRC2:USER_SGPR: 6
; COMPUTE_PGM_RSRC2:TRAP_HANDLER: 0
; COMPUTE_PGM_RSRC2:TGID_X_EN: 1
; COMPUTE_PGM_RSRC2:TGID_Y_EN: 1
; COMPUTE_PGM_RSRC2:TGID_Z_EN: 0
; COMPUTE_PGM_RSRC2:TIDIG_COMP_CNT: 0
; COMPUTE_PGM_RSRC3_GFX90A:ACCUM_OFFSET: 8
; COMPUTE_PGM_RSRC3_GFX90A:TG_SPLIT: 0
	.section	.text._ZN5aiter35fused_qk_rmsnorm_group_quant_kernelItN4opus5fp4_tELi128ELi16ELi2ELb0ELb0ELb0ELb0ELb0ELb0EEEvPT0_PvPT_S7_S7_PKS6_S9_S9_S9_S9_ffiiiiiiiiiiiii,"axG",@progbits,_ZN5aiter35fused_qk_rmsnorm_group_quant_kernelItN4opus5fp4_tELi128ELi16ELi2ELb0ELb0ELb0ELb0ELb0ELb0EEEvPT0_PvPT_S7_S7_PKS6_S9_S9_S9_S9_ffiiiiiiiiiiiii,comdat
	.protected	_ZN5aiter35fused_qk_rmsnorm_group_quant_kernelItN4opus5fp4_tELi128ELi16ELi2ELb0ELb0ELb0ELb0ELb0ELb0EEEvPT0_PvPT_S7_S7_PKS6_S9_S9_S9_S9_ffiiiiiiiiiiiii ; -- Begin function _ZN5aiter35fused_qk_rmsnorm_group_quant_kernelItN4opus5fp4_tELi128ELi16ELi2ELb0ELb0ELb0ELb0ELb0ELb0EEEvPT0_PvPT_S7_S7_PKS6_S9_S9_S9_S9_ffiiiiiiiiiiiii
	.globl	_ZN5aiter35fused_qk_rmsnorm_group_quant_kernelItN4opus5fp4_tELi128ELi16ELi2ELb0ELb0ELb0ELb0ELb0ELb0EEEvPT0_PvPT_S7_S7_PKS6_S9_S9_S9_S9_ffiiiiiiiiiiiii
	.p2align	8
	.type	_ZN5aiter35fused_qk_rmsnorm_group_quant_kernelItN4opus5fp4_tELi128ELi16ELi2ELb0ELb0ELb0ELb0ELb0ELb0EEEvPT0_PvPT_S7_S7_PKS6_S9_S9_S9_S9_ffiiiiiiiiiiiii,@function
_ZN5aiter35fused_qk_rmsnorm_group_quant_kernelItN4opus5fp4_tELi128ELi16ELi2ELb0ELb0ELb0ELb0ELb0ELb0EEEvPT0_PvPT_S7_S7_PKS6_S9_S9_S9_S9_ffiiiiiiiiiiiii: ; @_ZN5aiter35fused_qk_rmsnorm_group_quant_kernelItN4opus5fp4_tELi128ELi16ELi2ELb0ELb0ELb0ELb0ELb0ELb0EEEvPT0_PvPT_S7_S7_PKS6_S9_S9_S9_S9_ffiiiiiiiiiiiii
; %bb.0:
	s_load_dwordx4 s[16:19], s[4:5], 0x50
	s_waitcnt lgkmcnt(0)
	s_cmp_ge_i32 s6, s18
	s_cbranch_scc1 .LBB744_12
; %bb.1:
	s_load_dwordx2 s[12:13], s[4:5], 0x48
	s_load_dwordx2 s[30:31], s[4:5], 0x30
	s_load_dwordx4 s[20:23], s[4:5], 0x60
	s_cmp_lg_u32 s7, 0
	s_cselect_b64 s[14:15], -1, 0
	s_cmp_eq_u32 s7, 0
	s_cselect_b64 vcc, -1, 0
	s_and_b64 s[0:1], vcc, exec
	s_waitcnt lgkmcnt(0)
	s_cselect_b32 s7, s19, s20
	s_add_i32 s0, s7, 1
	s_lshr_b32 s1, s0, 31
	s_add_i32 s0, s0, s1
	s_lshl_b32 s0, s0, 1
	v_lshlrev_b32_e32 v1, 4, v0
	s_and_b32 s10, s0, -4
	v_cmp_gt_i32_e64 s[2:3], s7, v1
	v_mov_b32_e32 v18, 0
	v_mov_b32_e32 v6, 0
	;; [unrolled: 1-line block ×17, first 2 shown]
	s_and_saveexec_b64 s[0:1], s[2:3]
	s_cbranch_execz .LBB744_3
; %bb.2:
	s_load_dwordx2 s[8:9], s[4:5], 0x28
	s_load_dwordx2 s[26:27], s[4:5], 0x40
	s_and_b64 s[24:25], vcc, exec
	s_cselect_b32 s11, s21, s22
	v_lshlrev_b32_e32 v19, 5, v0
	s_waitcnt lgkmcnt(0)
	s_cselect_b32 s18, s9, s31
	s_cselect_b32 s21, s8, s30
	s_mul_hi_i32 s9, s11, s6
	s_mul_i32 s8, s11, s6
	s_lshl_b64 s[8:9], s[8:9], 1
	s_add_u32 s24, s21, s8
	s_addc_u32 s18, s18, s9
	s_and_b64 s[8:9], vcc, exec
	s_mov_b32 s11, 0x20000
	s_cselect_b32 s8, s26, s12
	s_cselect_b32 s9, s27, s13
	s_and_b32 s25, s18, 0xffff
	s_mov_b32 s26, s10
	s_mov_b32 s27, s11
	s_and_b32 s9, s9, 0xffff
	buffer_load_dwordx4 v[14:17], v19, s[24:27], 0 offen
	buffer_load_dwordx4 v[10:13], v19, s[24:27], 16 offen
	;; [unrolled: 1-line block ×4, first 2 shown]
.LBB744_3:
	s_or_b64 exec, exec, s[0:1]
	v_mov_b32_e32 v19, 0
	v_mov_b32_e32 v24, 0
	;; [unrolled: 1-line block ×15, first 2 shown]
	s_and_saveexec_b64 s[0:1], s[2:3]
	s_cbranch_execz .LBB744_5
; %bb.4:
	s_waitcnt vmcnt(3)
	v_cvt_f32_u32_sdwa v18, v14 dst_sel:DWORD dst_unused:UNUSED_PAD src0_sel:WORD_0
	v_cvt_f32_u32_sdwa v19, v14 dst_sel:DWORD dst_unused:UNUSED_PAD src0_sel:WORD_1
	v_cvt_f32_u32_sdwa v24, v15 dst_sel:DWORD dst_unused:UNUSED_PAD src0_sel:WORD_0
	v_cvt_f32_u32_sdwa v25, v15 dst_sel:DWORD dst_unused:UNUSED_PAD src0_sel:WORD_1
	;; [unrolled: 2-line block ×4, first 2 shown]
	s_waitcnt vmcnt(2)
	v_cvt_f32_u32_sdwa v32, v10 dst_sel:DWORD dst_unused:UNUSED_PAD src0_sel:WORD_0
	v_cvt_f32_u32_sdwa v33, v10 dst_sel:DWORD dst_unused:UNUSED_PAD src0_sel:WORD_1
	v_cvt_f32_u32_sdwa v30, v11 dst_sel:DWORD dst_unused:UNUSED_PAD src0_sel:WORD_0
	v_cvt_f32_u32_sdwa v31, v11 dst_sel:DWORD dst_unused:UNUSED_PAD src0_sel:WORD_1
	;; [unrolled: 2-line block ×4, first 2 shown]
.LBB744_5:
	s_or_b64 exec, exec, s[0:1]
	s_waitcnt vmcnt(2)
	v_mul_f32_e32 v10, v19, v19
	v_fmac_f32_e32 v10, v18, v18
	v_fmac_f32_e32 v10, v24, v24
	;; [unrolled: 1-line block ×15, first 2 shown]
	v_and_b32_e32 v12, 63, v0
	v_cmp_eq_u32_e64 s[0:1], 63, v12
	v_mov_b32_dpp v11, v10 quad_perm:[1,0,3,2] row_mask:0xf bank_mask:0xf
	v_add_f32_e32 v10, v10, v11
	s_nop 1
	v_mov_b32_dpp v11, v10 quad_perm:[2,3,0,1] row_mask:0xf bank_mask:0xf
	v_add_f32_e32 v10, v10, v11
	s_nop 1
	v_mov_b32_dpp v11, v10 row_half_mirror row_mask:0xf bank_mask:0xf
	v_add_f32_e32 v10, v10, v11
	s_nop 1
	v_mov_b32_dpp v11, v10 row_mirror row_mask:0xf bank_mask:0xf
	v_add_f32_e32 v10, v10, v11
	s_nop 1
	v_mov_b32_dpp v11, v10 row_bcast:15 row_mask:0xf bank_mask:0xf
	v_add_f32_e32 v10, v10, v11
	s_nop 1
	v_mov_b32_dpp v11, v10 row_bcast:31 row_mask:0xf bank_mask:0xf
	s_and_saveexec_b64 s[8:9], s[0:1]
	s_cbranch_execz .LBB744_7
; %bb.6:
	v_add_f32_e32 v10, v10, v11
	v_lshrrev_b32_e32 v11, 4, v0
	v_and_b32_e32 v11, 60, v11
	ds_write_b32 v11, v10 offset:8
.LBB744_7:
	s_or_b64 exec, exec, s[8:9]
	v_and_b32_e32 v10, 1, v0
	v_lshlrev_b32_e32 v34, 2, v10
	s_waitcnt lgkmcnt(0)
	s_barrier
	ds_read_b32 v11, v34 offset:8
	s_load_dwordx2 s[28:29], s[4:5], 0x18
	s_waitcnt lgkmcnt(0)
	v_mov_b32_dpp v12, v11 quad_perm:[1,0,3,2] row_mask:0xf bank_mask:0xf
	s_and_saveexec_b64 s[8:9], s[2:3]
	s_cbranch_execz .LBB744_9
; %bb.8:
	v_cvt_f32_u32_e32 v13, s7
	v_add_f32_e32 v11, v11, v12
	v_mov_b32_e32 v15, s17
	v_mov_b32_e32 v16, s16
	v_div_scale_f32 v12, s[24:25], v13, v13, v11
	v_rcp_f32_e32 v14, v12
	v_cndmask_b32_e32 v15, v15, v16, vcc
	s_mov_b32 s7, 0x800000
	v_fma_f32 v16, -v12, v14, 1.0
	v_fmac_f32_e32 v14, v16, v14
	v_div_scale_f32 v16, vcc, v11, v13, v11
	v_mul_f32_e32 v17, v16, v14
	v_fma_f32 v35, -v12, v17, v16
	v_fmac_f32_e32 v17, v35, v14
	v_fma_f32 v12, -v12, v17, v16
	v_div_fmas_f32 v12, v12, v14, v17
	v_div_fixup_f32 v11, v12, v13, v11
	v_add_f32_e32 v11, v15, v11
	v_mul_f32_e32 v12, 0x4b800000, v11
	v_cmp_gt_f32_e32 vcc, s7, v11
	v_cndmask_b32_e32 v11, v11, v12, vcc
	v_rsq_f32_e32 v11, v11
	v_mul_f32_e32 v12, 0x45800000, v11
	v_cndmask_b32_e32 v12, v11, v12, vcc
	v_mov_b32_e32 v13, v12
	;;#ASMSTART
	v_pk_mul_f32 v[14:15], v[18:19], v[12:13]
	;;#ASMEND
	;;#ASMSTART
	v_pk_mul_f32 v[16:17], v[24:25], v[12:13]
	;;#ASMEND
	;; [unrolled: 3-line block ×8, first 2 shown]
	s_waitcnt vmcnt(1)
	v_cvt_f32_u32_sdwa v19, v6 dst_sel:DWORD dst_unused:UNUSED_PAD src0_sel:WORD_1
	v_cvt_f32_u32_sdwa v18, v6 dst_sel:DWORD dst_unused:UNUSED_PAD src0_sel:WORD_0
	v_cvt_f32_u32_sdwa v25, v7 dst_sel:DWORD dst_unused:UNUSED_PAD src0_sel:WORD_1
	v_cvt_f32_u32_sdwa v24, v7 dst_sel:DWORD dst_unused:UNUSED_PAD src0_sel:WORD_0
	;; [unrolled: 2-line block ×4, first 2 shown]
	;;#ASMSTART
	v_pk_mul_f32 v[18:19], v[14:15], v[18:19]
	;;#ASMEND
	;;#ASMSTART
	v_pk_mul_f32 v[24:25], v[16:17], v[24:25]
	;;#ASMEND
	;; [unrolled: 3-line block ×4, first 2 shown]
	s_waitcnt vmcnt(0)
	v_cvt_f32_u32_sdwa v7, v2 dst_sel:DWORD dst_unused:UNUSED_PAD src0_sel:WORD_1
	v_cvt_f32_u32_sdwa v6, v2 dst_sel:DWORD dst_unused:UNUSED_PAD src0_sel:WORD_0
	v_cvt_f32_u32_sdwa v9, v3 dst_sel:DWORD dst_unused:UNUSED_PAD src0_sel:WORD_1
	v_cvt_f32_u32_sdwa v8, v3 dst_sel:DWORD dst_unused:UNUSED_PAD src0_sel:WORD_0
	;; [unrolled: 2-line block ×4, first 2 shown]
	;;#ASMSTART
	v_pk_mul_f32 v[32:33], v[32:33], v[6:7]
	;;#ASMEND
	;;#ASMSTART
	v_pk_mul_f32 v[30:31], v[30:31], v[8:9]
	;;#ASMEND
	;; [unrolled: 3-line block ×4, first 2 shown]
.LBB744_9:
	s_or_b64 exec, exec, s[8:9]
	s_load_dword s7, s[4:5], 0x80
	s_mov_b64 s[8:9], -1
	s_and_b64 vcc, exec, s[14:15]
	s_cbranch_vccnz .LBB744_13
; %bb.10:
	s_andn2_b64 vcc, exec, s[8:9]
	s_cbranch_vccz .LBB744_16
.LBB744_11:
	s_cmp_lt_i32 s20, 1
	s_cbranch_scc0 .LBB744_23
.LBB744_12:
	s_endpgm
.LBB744_13:
	s_and_saveexec_b64 s[14:15], s[2:3]
	s_cbranch_execz .LBB744_15
; %bb.14:
	s_waitcnt lgkmcnt(0)
	s_mul_hi_i32 s9, s7, s6
	s_mul_i32 s8, s7, s6
	s_lshl_b64 s[8:9], s[8:9], 1
	s_add_u32 s8, s28, s8
	s_addc_u32 s9, s29, s9
	s_mov_b32 s16, 0x7060302
	s_and_b32 s9, s9, 0xffff
	s_mov_b32 s11, 0x20000
	s_waitcnt vmcnt(0)
	v_perm_b32 v5, v23, v22, s16
	v_perm_b32 v4, v21, v20, s16
	;; [unrolled: 1-line block ×4, first 2 shown]
	v_lshlrev_b32_e32 v6, 5, v0
	buffer_store_dwordx4 v[2:5], v6, s[8:11], 0 offen
	;;#ASMSTART
	s_nop 0
	;;#ASMEND
	s_nop 0
	v_perm_b32 v5, v29, v28, s16
	v_perm_b32 v4, v27, v26, s16
	;; [unrolled: 1-line block ×4, first 2 shown]
	buffer_store_dwordx4 v[2:5], v6, s[8:11], 16 offen
	;;#ASMSTART
	s_nop 0
	;;#ASMEND
.LBB744_15:
	s_or_b64 exec, exec, s[14:15]
	s_cbranch_execnz .LBB744_11
.LBB744_16:
	s_waitcnt vmcnt(0)
	v_mov_b32_e32 v2, 0
	s_and_saveexec_b64 s[8:9], s[2:3]
	s_cbranch_execz .LBB744_18
; %bb.17:
	v_and_b32_e32 v2, 0x7fffffff, v18
	v_and_b32_e32 v3, 0x7fffffff, v19
	v_mov_b32_e32 v4, 0x2edbe6ff
	;;#ASMSTART
	v_max3_f32 v2, v4, v2, v3

	;;#ASMEND
	v_and_b32_e32 v3, 0x7fffffff, v24
	v_and_b32_e32 v4, 0x7fffffff, v25
	;;#ASMSTART
	v_max3_f32 v2, v2, v3, v4

	;;#ASMEND
	v_and_b32_e32 v3, 0x7fffffff, v20
	v_and_b32_e32 v4, 0x7fffffff, v21
	;; [unrolled: 6-line block ×7, first 2 shown]
	;;#ASMSTART
	v_max3_f32 v2, v2, v3, v4

	;;#ASMEND
.LBB744_18:
	s_or_b64 exec, exec, s[8:9]
	s_load_dwordx4 s[24:27], s[4:5], 0x70
	v_cmp_eq_u32_e32 vcc, 0, v10
	v_cmp_gt_i32_e64 s[8:9], s19, v1
	s_and_b64 s[10:11], vcc, s[8:9]
	;;#ASMSTART
	v_max_f32 v3, v2, v2 quad_perm:[1,0,3,2] row_mask:0xf bank_mask:0xf bound_ctrl:1
	;;#ASMEND
	s_and_saveexec_b64 s[8:9], s[10:11]
	s_cbranch_execz .LBB744_20
; %bb.19:
	s_load_dwordx2 s[10:11], s[4:5], 0x8
	v_mul_f32_e32 v2, 0x3e2aaaab, v3
	v_lshrrev_b32_e32 v3, 23, v2
	v_and_b32_e32 v4, 0x7f800000, v2
	v_and_b32_e32 v2, 0x7fffff, v2
	v_cmp_ne_u32_e32 vcc, 0, v2
	s_waitcnt lgkmcnt(0)
	s_mul_i32 s16, s25, s6
	s_mov_b32 s14, 0x7f800000
	v_addc_co_u32_e32 v2, vcc, 0, v3, vcc
	s_mul_hi_i32 s15, s25, s6
	s_add_u32 s10, s10, s16
	v_cmp_ne_u32_e32 vcc, s14, v4
	s_addc_u32 s11, s11, s15
	v_lshrrev_b32_e32 v5, 1, v0
	v_cndmask_b32_e32 v4, -1, v2, vcc
	v_pk_mov_b32 v[2:3], s[10:11], s[10:11] op_sel:[0,1]
	v_mad_i64_i32 v[2:3], s[10:11], s26, v5, v[2:3]
	global_store_byte v[2:3], v4, off
.LBB744_20:
	s_or_b64 exec, exec, s[8:9]
	s_and_saveexec_b64 s[8:9], s[2:3]
	s_cbranch_execz .LBB744_22
; %bb.21:
	s_load_dwordx2 s[2:3], s[4:5], 0x0
	s_waitcnt lgkmcnt(0)
	s_mul_i32 s11, s24, s6
	s_mul_hi_i32 s10, s24, s6
	v_mov_b32_e32 v2, 0
	v_lshlrev_b32_e32 v4, 3, v0
	s_add_u32 s24, s2, s11
	s_addc_u32 s2, s3, s10
	s_lshr_b32 s3, s19, 31
	s_add_i32 s3, s19, s3
	s_ashr_i32 s3, s3, 1
	s_add_i32 s3, s3, 3
	s_ashr_i32 s10, s3, 31
	s_lshr_b32 s10, s10, 30
	s_add_i32 s3, s3, s10
	s_and_b32 s26, s3, -4
	s_and_b32 s25, s2, 0xffff
	s_mov_b32 s27, 0x20000
	v_mov_b32_e32 v3, v2
	buffer_store_dwordx2 v[2:3], v4, s[24:27], 0 offen
	;;#ASMSTART
	s_nop 0
	;;#ASMEND
.LBB744_22:
	s_or_b64 exec, exec, s[8:9]
	s_cmp_lt_i32 s20, 1
	s_cbranch_scc1 .LBB744_12
.LBB744_23:
	s_load_dword s2, s[4:5], 0x94
	s_waitcnt lgkmcnt(0)
	s_cmp_lg_u32 s2, 1
	s_cbranch_scc1 .LBB744_12
; %bb.24:
	s_lshl_b32 s2, s20, 1
	s_add_i32 s2, s2, 2
	v_cmp_gt_u32_e32 vcc, s20, v1
	s_and_b32 s14, s2, -4
	v_mov_b32_e32 v18, 0
	v_lshlrev_b32_e32 v1, 5, v0
	v_mov_b32_e32 v14, 0
	v_mov_b32_e32 v15, 0
	;; [unrolled: 1-line block ×8, first 2 shown]
	s_waitcnt vmcnt(1)
	v_mov_b32_e32 v6, 0
	v_mov_b32_e32 v7, 0
	;; [unrolled: 1-line block ×4, first 2 shown]
	s_waitcnt vmcnt(0)
	v_mov_b32_e32 v2, 0
	v_mov_b32_e32 v3, 0
	;; [unrolled: 1-line block ×4, first 2 shown]
	s_barrier
	s_and_saveexec_b64 s[2:3], vcc
	s_cbranch_execz .LBB744_26
; %bb.25:
	s_mul_hi_i32 s5, s22, s6
	s_mul_i32 s4, s22, s6
	s_and_b32 s13, s13, 0xffff
	s_lshl_b64 s[4:5], s[4:5], 1
	s_add_u32 s8, s30, s4
	s_mov_b32 s15, 0x20000
	s_addc_u32 s4, s31, s5
	s_and_b32 s9, s4, 0xffff
	s_mov_b32 s10, s14
	s_mov_b32 s11, s15
	buffer_load_dwordx4 v[14:17], v1, s[8:11], 0 offen
	buffer_load_dwordx4 v[10:13], v1, s[8:11], 16 offen
	;; [unrolled: 1-line block ×4, first 2 shown]
.LBB744_26:
	s_or_b64 exec, exec, s[2:3]
	v_mov_b32_e32 v19, 0
	v_mov_b32_e32 v32, 0
	;; [unrolled: 1-line block ×15, first 2 shown]
	s_and_saveexec_b64 s[2:3], vcc
	s_cbranch_execz .LBB744_28
; %bb.27:
	s_waitcnt vmcnt(3)
	v_cvt_f32_u32_sdwa v18, v14 dst_sel:DWORD dst_unused:UNUSED_PAD src0_sel:WORD_0
	v_cvt_f32_u32_sdwa v19, v14 dst_sel:DWORD dst_unused:UNUSED_PAD src0_sel:WORD_1
	v_cvt_f32_u32_sdwa v32, v15 dst_sel:DWORD dst_unused:UNUSED_PAD src0_sel:WORD_0
	v_cvt_f32_u32_sdwa v33, v15 dst_sel:DWORD dst_unused:UNUSED_PAD src0_sel:WORD_1
	;; [unrolled: 2-line block ×4, first 2 shown]
	s_waitcnt vmcnt(2)
	v_cvt_f32_u32_sdwa v26, v10 dst_sel:DWORD dst_unused:UNUSED_PAD src0_sel:WORD_0
	v_cvt_f32_u32_sdwa v27, v10 dst_sel:DWORD dst_unused:UNUSED_PAD src0_sel:WORD_1
	v_cvt_f32_u32_sdwa v24, v11 dst_sel:DWORD dst_unused:UNUSED_PAD src0_sel:WORD_0
	v_cvt_f32_u32_sdwa v25, v11 dst_sel:DWORD dst_unused:UNUSED_PAD src0_sel:WORD_1
	;; [unrolled: 2-line block ×4, first 2 shown]
.LBB744_28:
	s_or_b64 exec, exec, s[2:3]
	s_waitcnt vmcnt(2)
	v_mul_f32_e32 v10, v19, v19
	v_fmac_f32_e32 v10, v18, v18
	v_fmac_f32_e32 v10, v32, v32
	;; [unrolled: 1-line block ×15, first 2 shown]
	s_nop 1
	v_mov_b32_dpp v11, v10 quad_perm:[1,0,3,2] row_mask:0xf bank_mask:0xf
	v_add_f32_e32 v10, v10, v11
	s_nop 1
	v_mov_b32_dpp v11, v10 quad_perm:[2,3,0,1] row_mask:0xf bank_mask:0xf
	v_add_f32_e32 v10, v10, v11
	s_nop 1
	v_mov_b32_dpp v11, v10 row_half_mirror row_mask:0xf bank_mask:0xf
	v_add_f32_e32 v10, v10, v11
	s_nop 1
	v_mov_b32_dpp v11, v10 row_mirror row_mask:0xf bank_mask:0xf
	v_add_f32_e32 v10, v10, v11
	s_nop 1
	v_mov_b32_dpp v11, v10 row_bcast:15 row_mask:0xf bank_mask:0xf
	v_add_f32_e32 v10, v10, v11
	s_nop 1
	v_mov_b32_dpp v11, v10 row_bcast:31 row_mask:0xf bank_mask:0xf
	s_and_saveexec_b64 s[2:3], s[0:1]
	s_cbranch_execz .LBB744_30
; %bb.29:
	v_lshrrev_b32_e32 v0, 4, v0
	v_add_f32_e32 v10, v10, v11
	v_and_b32_e32 v0, 60, v0
	ds_write_b32 v0, v10
.LBB744_30:
	s_or_b64 exec, exec, s[2:3]
	s_waitcnt lgkmcnt(0)
	s_barrier
	ds_read_b32 v0, v34
	s_waitcnt lgkmcnt(0)
	s_nop 0
	v_mov_b32_dpp v10, v0 quad_perm:[1,0,3,2] row_mask:0xf bank_mask:0xf
	s_and_saveexec_b64 s[0:1], vcc
	s_cbranch_execz .LBB744_12
; %bb.31:
	v_cvt_f32_u32_e32 v11, s20
	v_add_f32_e32 v0, v0, v10
	s_mov_b32 s15, 0x20000
	v_div_scale_f32 v10, s[0:1], v11, v11, v0
	v_rcp_f32_e32 v12, v10
	v_div_scale_f32 v13, vcc, v0, v11, v0
	s_mov_b32 s0, 0x800000
	v_fma_f32 v14, -v10, v12, 1.0
	v_fmac_f32_e32 v12, v14, v12
	v_mul_f32_e32 v14, v13, v12
	v_fma_f32 v15, -v10, v14, v13
	v_fmac_f32_e32 v14, v15, v12
	v_fma_f32 v10, -v10, v14, v13
	v_div_fmas_f32 v10, v10, v12, v14
	v_div_fixup_f32 v0, v10, v11, v0
	v_add_f32_e32 v0, s17, v0
	v_mul_f32_e32 v10, 0x4b800000, v0
	v_cmp_gt_f32_e32 vcc, s0, v0
	v_cndmask_b32_e32 v0, v0, v10, vcc
	v_rsq_f32_e32 v0, v0
	s_mul_hi_i32 s1, s7, s6
	s_mul_i32 s0, s7, s6
	s_lshl_b64 s[0:1], s[0:1], 1
	v_mul_f32_e32 v10, 0x45800000, v0
	v_cndmask_b32_e32 v10, v0, v10, vcc
	v_mov_b32_e32 v11, v10
	s_add_u32 s12, s28, s0
	;;#ASMSTART
	v_pk_mul_f32 v[12:13], v[18:19], v[10:11]
	;;#ASMEND
	;;#ASMSTART
	v_pk_mul_f32 v[14:15], v[32:33], v[10:11]
	;;#ASMEND
	;; [unrolled: 3-line block ×8, first 2 shown]
	s_waitcnt vmcnt(1)
	v_cvt_f32_u32_sdwa v21, v6 dst_sel:DWORD dst_unused:UNUSED_PAD src0_sel:WORD_1
	v_cvt_f32_u32_sdwa v20, v6 dst_sel:DWORD dst_unused:UNUSED_PAD src0_sel:WORD_0
	v_cvt_f32_u32_sdwa v29, v7 dst_sel:DWORD dst_unused:UNUSED_PAD src0_sel:WORD_1
	v_cvt_f32_u32_sdwa v28, v7 dst_sel:DWORD dst_unused:UNUSED_PAD src0_sel:WORD_0
	v_cvt_f32_u32_sdwa v7, v8 dst_sel:DWORD dst_unused:UNUSED_PAD src0_sel:WORD_1
	v_cvt_f32_u32_sdwa v6, v8 dst_sel:DWORD dst_unused:UNUSED_PAD src0_sel:WORD_0
	s_addc_u32 s0, s29, s1
	v_cvt_f32_u32_sdwa v31, v9 dst_sel:DWORD dst_unused:UNUSED_PAD src0_sel:WORD_1
	v_cvt_f32_u32_sdwa v30, v9 dst_sel:DWORD dst_unused:UNUSED_PAD src0_sel:WORD_0
	;;#ASMSTART
	v_pk_mul_f32 v[8:9], v[12:13], v[20:21]
	;;#ASMEND
	;;#ASMSTART
	v_pk_mul_f32 v[12:13], v[14:15], v[28:29]
	;;#ASMEND
	;;#ASMSTART
	v_pk_mul_f32 v[6:7], v[16:17], v[6:7]
	;;#ASMEND
	;;#ASMSTART
	v_pk_mul_f32 v[14:15], v[18:19], v[30:31]
	;;#ASMEND
	s_waitcnt vmcnt(0)
	v_cvt_f32_u32_sdwa v17, v2 dst_sel:DWORD dst_unused:UNUSED_PAD src0_sel:WORD_1
	v_cvt_f32_u32_sdwa v16, v2 dst_sel:DWORD dst_unused:UNUSED_PAD src0_sel:WORD_0
	v_cvt_f32_u32_sdwa v19, v3 dst_sel:DWORD dst_unused:UNUSED_PAD src0_sel:WORD_1
	v_cvt_f32_u32_sdwa v18, v3 dst_sel:DWORD dst_unused:UNUSED_PAD src0_sel:WORD_0
	;; [unrolled: 2-line block ×3, first 2 shown]
	s_and_b32 s13, s0, 0xffff
	s_mov_b32 s0, 0x7060302
	v_cvt_f32_u32_sdwa v21, v5 dst_sel:DWORD dst_unused:UNUSED_PAD src0_sel:WORD_1
	v_cvt_f32_u32_sdwa v20, v5 dst_sel:DWORD dst_unused:UNUSED_PAD src0_sel:WORD_0
	;;#ASMSTART
	v_pk_mul_f32 v[16:17], v[26:27], v[16:17]
	;;#ASMEND
	;;#ASMSTART
	v_pk_mul_f32 v[18:19], v[24:25], v[18:19]
	;;#ASMEND
	;;#ASMSTART
	v_pk_mul_f32 v[22:23], v[22:23], v[2:3]
	;;#ASMEND
	v_perm_b32 v2, v9, v8, s0
	v_perm_b32 v3, v13, v12, s0
	;; [unrolled: 1-line block ×4, first 2 shown]
	;;#ASMSTART
	v_pk_mul_f32 v[10:11], v[10:11], v[20:21]
	;;#ASMEND
	buffer_store_dwordx4 v[2:5], v1, s[12:15], 0 offen
	;;#ASMSTART
	s_nop 0
	;;#ASMEND
	s_nop 0
	v_perm_b32 v2, v17, v16, s0
	v_perm_b32 v3, v19, v18, s0
	v_perm_b32 v4, v23, v22, s0
	v_perm_b32 v5, v11, v10, s0
	buffer_store_dwordx4 v[2:5], v1, s[12:15], 16 offen
	;;#ASMSTART
	s_nop 0
	;;#ASMEND
	s_endpgm
	.section	.rodata,"a",@progbits
	.p2align	6, 0x0
	.amdhsa_kernel _ZN5aiter35fused_qk_rmsnorm_group_quant_kernelItN4opus5fp4_tELi128ELi16ELi2ELb0ELb0ELb0ELb0ELb0ELb0EEEvPT0_PvPT_S7_S7_PKS6_S9_S9_S9_S9_ffiiiiiiiiiiiii
		.amdhsa_group_segment_fixed_size 16
		.amdhsa_private_segment_fixed_size 0
		.amdhsa_kernarg_size 400
		.amdhsa_user_sgpr_count 6
		.amdhsa_user_sgpr_private_segment_buffer 1
		.amdhsa_user_sgpr_dispatch_ptr 0
		.amdhsa_user_sgpr_queue_ptr 0
		.amdhsa_user_sgpr_kernarg_segment_ptr 1
		.amdhsa_user_sgpr_dispatch_id 0
		.amdhsa_user_sgpr_flat_scratch_init 0
		.amdhsa_user_sgpr_kernarg_preload_length 0
		.amdhsa_user_sgpr_kernarg_preload_offset 0
		.amdhsa_user_sgpr_private_segment_size 0
		.amdhsa_uses_dynamic_stack 0
		.amdhsa_system_sgpr_private_segment_wavefront_offset 0
		.amdhsa_system_sgpr_workgroup_id_x 1
		.amdhsa_system_sgpr_workgroup_id_y 1
		.amdhsa_system_sgpr_workgroup_id_z 0
		.amdhsa_system_sgpr_workgroup_info 0
		.amdhsa_system_vgpr_workitem_id 0
		.amdhsa_next_free_vgpr 36
		.amdhsa_next_free_sgpr 32
		.amdhsa_accum_offset 36
		.amdhsa_reserve_vcc 1
		.amdhsa_reserve_flat_scratch 0
		.amdhsa_float_round_mode_32 0
		.amdhsa_float_round_mode_16_64 0
		.amdhsa_float_denorm_mode_32 3
		.amdhsa_float_denorm_mode_16_64 3
		.amdhsa_dx10_clamp 1
		.amdhsa_ieee_mode 1
		.amdhsa_fp16_overflow 0
		.amdhsa_tg_split 0
		.amdhsa_exception_fp_ieee_invalid_op 0
		.amdhsa_exception_fp_denorm_src 0
		.amdhsa_exception_fp_ieee_div_zero 0
		.amdhsa_exception_fp_ieee_overflow 0
		.amdhsa_exception_fp_ieee_underflow 0
		.amdhsa_exception_fp_ieee_inexact 0
		.amdhsa_exception_int_div_zero 0
	.end_amdhsa_kernel
	.section	.text._ZN5aiter35fused_qk_rmsnorm_group_quant_kernelItN4opus5fp4_tELi128ELi16ELi2ELb0ELb0ELb0ELb0ELb0ELb0EEEvPT0_PvPT_S7_S7_PKS6_S9_S9_S9_S9_ffiiiiiiiiiiiii,"axG",@progbits,_ZN5aiter35fused_qk_rmsnorm_group_quant_kernelItN4opus5fp4_tELi128ELi16ELi2ELb0ELb0ELb0ELb0ELb0ELb0EEEvPT0_PvPT_S7_S7_PKS6_S9_S9_S9_S9_ffiiiiiiiiiiiii,comdat
.Lfunc_end744:
	.size	_ZN5aiter35fused_qk_rmsnorm_group_quant_kernelItN4opus5fp4_tELi128ELi16ELi2ELb0ELb0ELb0ELb0ELb0ELb0EEEvPT0_PvPT_S7_S7_PKS6_S9_S9_S9_S9_ffiiiiiiiiiiiii, .Lfunc_end744-_ZN5aiter35fused_qk_rmsnorm_group_quant_kernelItN4opus5fp4_tELi128ELi16ELi2ELb0ELb0ELb0ELb0ELb0ELb0EEEvPT0_PvPT_S7_S7_PKS6_S9_S9_S9_S9_ffiiiiiiiiiiiii
                                        ; -- End function
	.section	.AMDGPU.csdata,"",@progbits
; Kernel info:
; codeLenInByte = 3092
; NumSgprs: 36
; NumVgprs: 36
; NumAgprs: 0
; TotalNumVgprs: 36
; ScratchSize: 0
; MemoryBound: 0
; FloatMode: 240
; IeeeMode: 1
; LDSByteSize: 16 bytes/workgroup (compile time only)
; SGPRBlocks: 4
; VGPRBlocks: 4
; NumSGPRsForWavesPerEU: 36
; NumVGPRsForWavesPerEU: 36
; AccumOffset: 36
; Occupancy: 8
; WaveLimiterHint : 0
; COMPUTE_PGM_RSRC2:SCRATCH_EN: 0
; COMPUTE_PGM_RSRC2:USER_SGPR: 6
; COMPUTE_PGM_RSRC2:TRAP_HANDLER: 0
; COMPUTE_PGM_RSRC2:TGID_X_EN: 1
; COMPUTE_PGM_RSRC2:TGID_Y_EN: 1
; COMPUTE_PGM_RSRC2:TGID_Z_EN: 0
; COMPUTE_PGM_RSRC2:TIDIG_COMP_CNT: 0
; COMPUTE_PGM_RSRC3_GFX90A:ACCUM_OFFSET: 8
; COMPUTE_PGM_RSRC3_GFX90A:TG_SPLIT: 0
	.section	.text._ZN5aiter35fused_qk_rmsnorm_group_quant_kernelIDF16_DB8_Li256ELi16ELi8ELb1ELb1ELb1ELb1ELb0ELb0EEEvPT0_PvPT_S6_S6_PKS5_S8_S8_S8_S8_ffiiiiiiiiiiiii,"axG",@progbits,_ZN5aiter35fused_qk_rmsnorm_group_quant_kernelIDF16_DB8_Li256ELi16ELi8ELb1ELb1ELb1ELb1ELb0ELb0EEEvPT0_PvPT_S6_S6_PKS5_S8_S8_S8_S8_ffiiiiiiiiiiiii,comdat
	.protected	_ZN5aiter35fused_qk_rmsnorm_group_quant_kernelIDF16_DB8_Li256ELi16ELi8ELb1ELb1ELb1ELb1ELb0ELb0EEEvPT0_PvPT_S6_S6_PKS5_S8_S8_S8_S8_ffiiiiiiiiiiiii ; -- Begin function _ZN5aiter35fused_qk_rmsnorm_group_quant_kernelIDF16_DB8_Li256ELi16ELi8ELb1ELb1ELb1ELb1ELb0ELb0EEEvPT0_PvPT_S6_S6_PKS5_S8_S8_S8_S8_ffiiiiiiiiiiiii
	.globl	_ZN5aiter35fused_qk_rmsnorm_group_quant_kernelIDF16_DB8_Li256ELi16ELi8ELb1ELb1ELb1ELb1ELb0ELb0EEEvPT0_PvPT_S6_S6_PKS5_S8_S8_S8_S8_ffiiiiiiiiiiiii
	.p2align	8
	.type	_ZN5aiter35fused_qk_rmsnorm_group_quant_kernelIDF16_DB8_Li256ELi16ELi8ELb1ELb1ELb1ELb1ELb0ELb0EEEvPT0_PvPT_S6_S6_PKS5_S8_S8_S8_S8_ffiiiiiiiiiiiii,@function
_ZN5aiter35fused_qk_rmsnorm_group_quant_kernelIDF16_DB8_Li256ELi16ELi8ELb1ELb1ELb1ELb1ELb0ELb0EEEvPT0_PvPT_S6_S6_PKS5_S8_S8_S8_S8_ffiiiiiiiiiiiii: ; @_ZN5aiter35fused_qk_rmsnorm_group_quant_kernelIDF16_DB8_Li256ELi16ELi8ELb1ELb1ELb1ELb1ELb0ELb0EEEvPT0_PvPT_S6_S6_PKS5_S8_S8_S8_S8_ffiiiiiiiiiiiii
; %bb.0:
	s_load_dwordx8 s[12:19], s[4:5], 0x50
	s_waitcnt lgkmcnt(0)
	s_cmp_ge_i32 s6, s14
	s_cbranch_scc1 .LBB745_17
; %bb.1:
	s_cmp_lg_u32 s7, 0
	s_cselect_b64 s[22:23], -1, 0
	s_cmp_eq_u32 s7, 0
	s_cselect_b64 s[2:3], -1, 0
	s_and_b64 s[0:1], s[2:3], exec
	s_cselect_b32 s7, s15, s16
	s_load_dwordx2 s[10:11], s[4:5], 0x30
	s_load_dwordx2 s[20:21], s[4:5], 0x48
	s_add_i32 s0, s7, 1
	s_lshr_b32 s1, s0, 31
	s_add_i32 s0, s0, s1
	s_lshl_b32 s0, s0, 1
	v_lshlrev_b32_e32 v1, 4, v0
	s_and_b32 s30, s0, -4
	v_cmp_gt_i32_e64 s[0:1], s7, v1
	v_mov_b32_e32 v6, 0
	v_mov_b32_e32 v7, 0
	;; [unrolled: 1-line block ×16, first 2 shown]
	s_and_saveexec_b64 s[8:9], s[0:1]
	s_cbranch_execz .LBB745_3
; %bb.2:
	s_load_dwordx2 s[14:15], s[4:5], 0x28
	s_load_dwordx2 s[26:27], s[4:5], 0x40
	s_and_b64 s[24:25], s[2:3], exec
	s_cselect_b32 s17, s17, s18
	s_mov_b32 s31, 0x20000
	s_waitcnt lgkmcnt(0)
	s_cselect_b32 s25, s15, s11
	s_cselect_b32 s24, s14, s10
	s_mul_hi_i32 s15, s17, s6
	s_mul_i32 s14, s17, s6
	s_lshl_b64 s[14:15], s[14:15], 1
	s_add_u32 s24, s24, s14
	s_addc_u32 s17, s25, s15
	s_and_b64 s[14:15], s[2:3], exec
	s_cselect_b32 s28, s26, s20
	s_cselect_b32 s14, s27, s21
	s_and_b32 s25, s17, 0xffff
	s_mov_b32 s26, s30
	s_mov_b32 s27, s31
	v_lshlrev_b32_e32 v18, 5, v0
	s_and_b32 s29, s14, 0xffff
	buffer_load_dwordx4 v[10:13], v18, s[24:27], 0 offen
	buffer_load_dwordx4 v[14:17], v18, s[24:27], 16 offen
	buffer_load_dwordx4 v[6:9], v18, s[28:31], 0 offen
	buffer_load_dwordx4 v[2:5], v18, s[28:31], 16 offen
.LBB745_3:
	s_or_b64 exec, exec, s[8:9]
	s_load_dwordx4 s[24:27], s[4:5], 0x7c
	s_and_b64 vcc, exec, s[22:23]
	s_cbranch_vccz .LBB745_7
; %bb.4:
	v_mov_b32_e32 v19, 0
	v_mov_b32_e32 v18, 0
	;; [unrolled: 1-line block ×16, first 2 shown]
	s_and_saveexec_b64 s[8:9], s[0:1]
	s_cbranch_execz .LBB745_6
; %bb.5:
	s_waitcnt vmcnt(3)
	v_cvt_f32_f16_sdwa v27, v10 dst_sel:DWORD dst_unused:UNUSED_PAD src0_sel:WORD_1
	v_cvt_f32_f16_e32 v26, v10
	v_cvt_f32_f16_sdwa v31, v11 dst_sel:DWORD dst_unused:UNUSED_PAD src0_sel:WORD_1
	v_cvt_f32_f16_e32 v30, v11
	;; [unrolled: 2-line block ×4, first 2 shown]
	s_waitcnt vmcnt(2)
	v_cvt_f32_f16_sdwa v21, v14 dst_sel:DWORD dst_unused:UNUSED_PAD src0_sel:WORD_1
	v_cvt_f32_f16_e32 v20, v14
	v_cvt_f32_f16_sdwa v25, v15 dst_sel:DWORD dst_unused:UNUSED_PAD src0_sel:WORD_1
	v_cvt_f32_f16_e32 v24, v15
	;; [unrolled: 2-line block ×4, first 2 shown]
.LBB745_6:
	s_or_b64 exec, exec, s[8:9]
	s_cbranch_execz .LBB745_8
	s_branch .LBB745_11
.LBB745_7:
                                        ; implicit-def: $vgpr19
                                        ; implicit-def: $vgpr23
                                        ; implicit-def: $vgpr25
                                        ; implicit-def: $vgpr21
                                        ; implicit-def: $vgpr33
                                        ; implicit-def: $vgpr29
                                        ; implicit-def: $vgpr31
                                        ; implicit-def: $vgpr27
.LBB745_8:
	v_mov_b32_e32 v19, 0
	v_mov_b32_e32 v18, 0
	;; [unrolled: 1-line block ×16, first 2 shown]
	s_and_saveexec_b64 s[8:9], s[0:1]
	s_cbranch_execz .LBB745_10
; %bb.9:
	s_load_dwordx2 s[14:15], s[4:5], 0x38
	s_mul_hi_i32 s29, s19, s6
	s_mul_i32 s28, s19, s6
	s_lshl_b64 s[28:29], s[28:29], 1
	s_mov_b32 s31, 0x20000
	s_waitcnt lgkmcnt(0)
	s_add_u32 s28, s14, s28
	s_addc_u32 s14, s15, s29
	s_and_b32 s29, s14, 0xffff
	v_lshlrev_b32_e32 v48, 5, v0
	buffer_load_dwordx4 v[18:21], v48, s[28:31], 16 offen
	buffer_load_dwordx4 v[22:25], v48, s[28:31], 0 offen
	s_waitcnt vmcnt(4)
	v_cvt_f32_f16_sdwa v27, v14 dst_sel:DWORD dst_unused:UNUSED_PAD src0_sel:WORD_1
	v_cvt_f32_f16_e32 v26, v14
	v_cvt_f32_f16_sdwa v29, v15 dst_sel:DWORD dst_unused:UNUSED_PAD src0_sel:WORD_1
	v_cvt_f32_f16_e32 v28, v15
	;; [unrolled: 2-line block ×8, first 2 shown]
	s_load_dwordx2 s[14:15], s[4:5], 0x20
	s_mul_hi_i32 s27, s26, s6
	s_mul_i32 s26, s26, s6
	s_lshl_b64 s[26:27], s[26:27], 1
	s_waitcnt lgkmcnt(0)
	s_add_u32 s28, s14, s26
	s_addc_u32 s14, s15, s27
	s_and_b32 s29, s14, 0xffff
	s_waitcnt vmcnt(1)
	v_cvt_f32_f16_e32 v12, v18
	v_cvt_f32_f16_sdwa v13, v18 dst_sel:DWORD dst_unused:UNUSED_PAD src0_sel:WORD_1
	v_cvt_f32_f16_e32 v18, v19
	v_cvt_f32_f16_sdwa v19, v19 dst_sel:DWORD dst_unused:UNUSED_PAD src0_sel:WORD_1
	;; [unrolled: 2-line block ×4, first 2 shown]
	s_waitcnt vmcnt(0)
	v_cvt_f32_f16_e32 v40, v22
	v_cvt_f32_f16_sdwa v41, v22 dst_sel:DWORD dst_unused:UNUSED_PAD src0_sel:WORD_1
	v_cvt_f32_f16_e32 v42, v23
	v_cvt_f32_f16_sdwa v43, v23 dst_sel:DWORD dst_unused:UNUSED_PAD src0_sel:WORD_1
	;; [unrolled: 2-line block ×4, first 2 shown]
	v_pk_add_f32 v[20:21], v[26:27], v[12:13]
	v_pk_add_f32 v[24:25], v[28:29], v[18:19]
	;; [unrolled: 1-line block ×8, first 2 shown]
	v_cvt_f16_f32_e32 v10, v27
	v_cvt_f16_f32_e32 v14, v26
	;; [unrolled: 1-line block ×16, first 2 shown]
	v_pack_b32_f16 v13, v17, v13
	v_pack_b32_f16 v12, v16, v12
	;; [unrolled: 1-line block ×8, first 2 shown]
	buffer_store_dwordx4 v[10:13], v48, s[28:31], 0 offen
	;;#ASMSTART
	s_nop 0
	;;#ASMEND
	buffer_store_dwordx4 v[14:17], v48, s[28:31], 16 offen
	;;#ASMSTART
	s_nop 0
	;;#ASMEND
.LBB745_10:
	s_or_b64 exec, exec, s[8:9]
.LBB745_11:
	s_waitcnt vmcnt(3)
	v_mul_f32_e32 v10, v27, v27
	v_fmac_f32_e32 v10, v26, v26
	v_fmac_f32_e32 v10, v30, v30
	;; [unrolled: 1-line block ×15, first 2 shown]
	v_and_b32_e32 v12, 63, v0
	v_cmp_eq_u32_e64 s[8:9], 63, v12
	v_mov_b32_dpp v11, v10 quad_perm:[1,0,3,2] row_mask:0xf bank_mask:0xf
	v_add_f32_e32 v10, v10, v11
	s_nop 1
	v_mov_b32_dpp v11, v10 quad_perm:[2,3,0,1] row_mask:0xf bank_mask:0xf
	v_add_f32_e32 v10, v10, v11
	s_nop 1
	v_mov_b32_dpp v11, v10 row_half_mirror row_mask:0xf bank_mask:0xf
	v_add_f32_e32 v10, v10, v11
	s_nop 1
	v_mov_b32_dpp v11, v10 row_mirror row_mask:0xf bank_mask:0xf
	v_add_f32_e32 v10, v10, v11
	s_nop 1
	v_mov_b32_dpp v11, v10 row_bcast:15 row_mask:0xf bank_mask:0xf
	v_add_f32_e32 v10, v10, v11
	s_nop 1
	v_mov_b32_dpp v11, v10 row_bcast:31 row_mask:0xf bank_mask:0xf
	s_and_saveexec_b64 s[14:15], s[8:9]
	s_cbranch_execz .LBB745_13
; %bb.12:
	v_add_f32_e32 v10, v10, v11
	v_lshrrev_b32_e32 v11, 4, v0
	v_and_b32_e32 v11, 60, v11
	ds_write_b32 v11, v10 offset:16
.LBB745_13:
	s_or_b64 exec, exec, s[14:15]
	v_and_b32_e32 v10, 3, v0
	v_lshlrev_b32_e32 v34, 2, v10
	s_waitcnt lgkmcnt(0)
	s_barrier
	ds_read_b32 v10, v34 offset:16
	s_load_dwordx2 s[14:15], s[4:5], 0x18
	s_waitcnt lgkmcnt(0)
	v_mov_b32_dpp v11, v10 quad_perm:[1,0,3,2] row_mask:0xf bank_mask:0xf
	v_add_f32_e32 v10, v10, v11
	s_nop 1
	v_mov_b32_dpp v11, v10 quad_perm:[2,3,0,1] row_mask:0xf bank_mask:0xf
	s_and_saveexec_b64 s[26:27], s[0:1]
	s_cbranch_execnz .LBB745_18
; %bb.14:
	s_or_b64 exec, exec, s[26:27]
	s_mov_b64 s[2:3], -1
	s_and_b64 vcc, exec, s[22:23]
	s_cbranch_vccnz .LBB745_19
.LBB745_15:
	s_andn2_b64 vcc, exec, s[2:3]
	s_cbranch_vccz .LBB745_22
.LBB745_16:
	s_cmp_lt_i32 s16, 1
	s_cbranch_scc0 .LBB745_25
.LBB745_17:
	s_endpgm
.LBB745_18:
	v_cvt_f32_u32_e32 v12, s7
	v_add_f32_e32 v10, v10, v11
	s_waitcnt vmcnt(2)
	v_mov_b32_e32 v14, s13
	v_mov_b32_e32 v15, s12
	v_div_scale_f32 v11, s[28:29], v12, v12, v10
	v_rcp_f32_e32 v13, v11
	v_cndmask_b32_e64 v14, v14, v15, s[2:3]
	s_mov_b32 s2, 0x800000
	v_fma_f32 v15, -v11, v13, 1.0
	v_fmac_f32_e32 v13, v15, v13
	v_div_scale_f32 v15, vcc, v10, v12, v10
	v_mul_f32_e32 v16, v15, v13
	v_fma_f32 v17, -v11, v16, v15
	v_fmac_f32_e32 v16, v17, v13
	v_fma_f32 v11, -v11, v16, v15
	v_div_fmas_f32 v11, v11, v13, v16
	v_div_fixup_f32 v10, v11, v12, v10
	v_add_f32_e32 v10, v14, v10
	v_mul_f32_e32 v11, 0x4b800000, v10
	v_cmp_gt_f32_e32 vcc, s2, v10
	v_cndmask_b32_e32 v10, v10, v11, vcc
	v_rsq_f32_e32 v10, v10
	v_mul_f32_e32 v11, 0x45800000, v10
	v_cndmask_b32_e32 v10, v10, v11, vcc
	v_mov_b32_e32 v11, v10
	;;#ASMSTART
	v_pk_mul_f32 v[12:13], v[26:27], v[10:11]
	;;#ASMEND
	s_waitcnt vmcnt(1)
	v_cvt_f32_f16_sdwa v27, v6 dst_sel:DWORD dst_unused:UNUSED_PAD src0_sel:WORD_1
	v_cvt_f32_f16_e32 v26, v6
	;;#ASMSTART
	v_pk_mul_f32 v[14:15], v[30:31], v[10:11]
	;;#ASMEND
	;;#ASMSTART
	v_pk_mul_f32 v[16:17], v[28:29], v[10:11]
	;;#ASMEND
	v_cvt_f32_f16_sdwa v29, v7 dst_sel:DWORD dst_unused:UNUSED_PAD src0_sel:WORD_1
	v_cvt_f32_f16_e32 v28, v7
	;;#ASMSTART
	v_pk_mul_f32 v[32:33], v[32:33], v[10:11]
	;;#ASMEND
	;;#ASMSTART
	v_pk_mul_f32 v[20:21], v[20:21], v[10:11]
	;;#ASMEND
	;; [unrolled: 3-line block ×5, first 2 shown]
	v_pk_add_f32 v[10:11], v[26:27], 1.0 op_sel_hi:[1,0]
	;;#ASMSTART
	v_pk_mul_f32 v[26:27], v[12:13], v[10:11]
	;;#ASMEND
	v_cvt_f32_f16_sdwa v13, v8 dst_sel:DWORD dst_unused:UNUSED_PAD src0_sel:WORD_1
	v_cvt_f32_f16_e32 v12, v8
	v_cvt_f32_f16_sdwa v19, v9 dst_sel:DWORD dst_unused:UNUSED_PAD src0_sel:WORD_1
	v_cvt_f32_f16_e32 v18, v9
	v_pk_add_f32 v[10:11], v[28:29], 1.0 op_sel_hi:[1,0]
	;;#ASMSTART
	v_pk_mul_f32 v[30:31], v[14:15], v[10:11]
	;;#ASMEND
	s_waitcnt vmcnt(0)
	v_cvt_f32_f16_sdwa v11, v2 dst_sel:DWORD dst_unused:UNUSED_PAD src0_sel:WORD_1
	v_cvt_f32_f16_e32 v10, v2
	v_pk_add_f32 v[8:9], v[12:13], 1.0 op_sel_hi:[1,0]
	;;#ASMSTART
	v_pk_mul_f32 v[28:29], v[16:17], v[8:9]
	;;#ASMEND
	v_pk_add_f32 v[8:9], v[18:19], 1.0 op_sel_hi:[1,0]
	v_cvt_f32_f16_sdwa v13, v3 dst_sel:DWORD dst_unused:UNUSED_PAD src0_sel:WORD_1
	v_cvt_f32_f16_e32 v12, v3
	;;#ASMSTART
	v_pk_mul_f32 v[32:33], v[32:33], v[8:9]
	;;#ASMEND
	v_cvt_f32_f16_sdwa v9, v4 dst_sel:DWORD dst_unused:UNUSED_PAD src0_sel:WORD_1
	v_cvt_f32_f16_e32 v8, v4
	v_pk_add_f32 v[2:3], v[10:11], 1.0 op_sel_hi:[1,0]
	v_cvt_f32_f16_sdwa v11, v5 dst_sel:DWORD dst_unused:UNUSED_PAD src0_sel:WORD_1
	v_cvt_f32_f16_e32 v10, v5
	;;#ASMSTART
	v_pk_mul_f32 v[20:21], v[20:21], v[2:3]
	;;#ASMEND
	v_pk_add_f32 v[2:3], v[12:13], 1.0 op_sel_hi:[1,0]
	;;#ASMSTART
	v_pk_mul_f32 v[24:25], v[24:25], v[2:3]
	;;#ASMEND
	v_pk_add_f32 v[2:3], v[8:9], 1.0 op_sel_hi:[1,0]
	;; [unrolled: 4-line block ×3, first 2 shown]
	;;#ASMSTART
	v_pk_mul_f32 v[18:19], v[6:7], v[2:3]
	;;#ASMEND
	s_or_b64 exec, exec, s[26:27]
	s_mov_b64 s[2:3], -1
	s_and_b64 vcc, exec, s[22:23]
	s_cbranch_vccz .LBB745_15
.LBB745_19:
	s_and_saveexec_b64 s[2:3], s[0:1]
	s_cbranch_execz .LBB745_21
; %bb.20:
	s_mul_hi_i32 s23, s25, s6
	s_mul_i32 s22, s25, s6
	s_waitcnt vmcnt(0)
	v_cvt_f16_f32_e32 v2, v26
	v_cvt_f16_f32_e32 v3, v30
	;; [unrolled: 1-line block ×8, first 2 shown]
	s_lshl_b64 s[22:23], s[22:23], 1
	s_add_u32 s28, s14, s22
	s_addc_u32 s7, s15, s23
	s_and_b32 s29, s7, 0xffff
	s_mov_b32 s31, 0x20000
	v_pack_b32_f16 v5, v5, v6
	v_pack_b32_f16 v4, v4, v7
	;; [unrolled: 1-line block ×4, first 2 shown]
	v_lshlrev_b32_e32 v6, 5, v0
	buffer_store_dwordx4 v[2:5], v6, s[28:31], 0 offen
	v_cvt_f16_f32_e32 v7, v19
	v_cvt_f16_f32_e32 v2, v20
	;; [unrolled: 1-line block ×8, first 2 shown]
	v_pack_b32_f16 v5, v5, v7
	v_pack_b32_f16 v4, v4, v8
	;; [unrolled: 1-line block ×4, first 2 shown]
	;;#ASMSTART
	s_nop 0
	;;#ASMEND
	buffer_store_dwordx4 v[2:5], v6, s[28:31], 16 offen
	;;#ASMSTART
	s_nop 0
	;;#ASMEND
.LBB745_21:
	s_or_b64 exec, exec, s[2:3]
	s_cbranch_execnz .LBB745_16
.LBB745_22:
	s_and_saveexec_b64 s[2:3], s[0:1]
	s_cbranch_execz .LBB745_24
; %bb.23:
	s_load_dwordx2 s[0:1], s[4:5], 0x10
	s_mul_hi_i32 s23, s24, s6
	s_mul_i32 s22, s24, s6
	s_waitcnt vmcnt(0)
	v_cvt_f16_f32_e32 v2, v26
	v_cvt_f16_f32_e32 v3, v30
	;; [unrolled: 1-line block ×8, first 2 shown]
	s_lshl_b64 s[22:23], s[22:23], 1
	s_waitcnt lgkmcnt(0)
	s_add_u32 s28, s0, s22
	s_addc_u32 s0, s1, s23
	s_mov_b32 s31, 0x20000
	s_and_b32 s29, s0, 0xffff
	v_pack_b32_f16 v5, v5, v6
	v_pack_b32_f16 v4, v4, v7
	;; [unrolled: 1-line block ×4, first 2 shown]
	v_lshlrev_b32_e32 v6, 5, v0
	buffer_store_dwordx4 v[2:5], v6, s[28:31], 0 offen
	v_cvt_f16_f32_e32 v7, v19
	v_cvt_f16_f32_e32 v2, v20
	;; [unrolled: 1-line block ×8, first 2 shown]
	v_pack_b32_f16 v5, v5, v7
	v_pack_b32_f16 v4, v4, v8
	;; [unrolled: 1-line block ×4, first 2 shown]
	;;#ASMSTART
	s_nop 0
	;;#ASMEND
	buffer_store_dwordx4 v[2:5], v6, s[28:31], 16 offen
	;;#ASMSTART
	s_nop 0
	;;#ASMEND
.LBB745_24:
	s_or_b64 exec, exec, s[2:3]
	s_cmp_lt_i32 s16, 1
	s_cbranch_scc1 .LBB745_17
.LBB745_25:
	s_load_dword s0, s[4:5], 0x94
	s_waitcnt lgkmcnt(0)
	s_cmp_lg_u32 s0, 1
	s_cbranch_scc1 .LBB745_17
; %bb.26:
	s_lshl_b32 s0, s16, 1
	s_add_i32 s0, s0, 2
	v_cmp_gt_u32_e32 vcc, s16, v1
	s_and_b32 s22, s0, -4
	v_mov_b32_e32 v18, 0
	v_lshlrev_b32_e32 v1, 5, v0
	s_waitcnt vmcnt(2)
	v_mov_b32_e32 v14, 0
	v_mov_b32_e32 v15, 0
	;; [unrolled: 1-line block ×8, first 2 shown]
	s_waitcnt vmcnt(1)
	v_mov_b32_e32 v6, 0
	v_mov_b32_e32 v7, 0
	;; [unrolled: 1-line block ×4, first 2 shown]
	s_waitcnt vmcnt(0)
	v_mov_b32_e32 v2, 0
	v_mov_b32_e32 v3, 0
	;; [unrolled: 1-line block ×4, first 2 shown]
	s_barrier
	s_and_saveexec_b64 s[0:1], vcc
	s_cbranch_execz .LBB745_28
; %bb.27:
	s_mul_hi_i32 s3, s18, s6
	s_mul_i32 s2, s18, s6
	s_and_b32 s21, s21, 0xffff
	s_lshl_b64 s[2:3], s[2:3], 1
	s_add_u32 s28, s10, s2
	s_mov_b32 s23, 0x20000
	s_addc_u32 s2, s11, s3
	s_and_b32 s29, s2, 0xffff
	s_mov_b32 s30, s22
	s_mov_b32 s31, s23
	buffer_load_dwordx4 v[14:17], v1, s[28:31], 0 offen
	buffer_load_dwordx4 v[10:13], v1, s[28:31], 16 offen
	;; [unrolled: 1-line block ×4, first 2 shown]
.LBB745_28:
	s_or_b64 exec, exec, s[0:1]
	v_mov_b32_e32 v19, 0
	v_mov_b32_e32 v32, 0
	;; [unrolled: 1-line block ×15, first 2 shown]
	s_and_saveexec_b64 s[0:1], vcc
	s_cbranch_execz .LBB745_30
; %bb.29:
	s_waitcnt vmcnt(3)
	v_cvt_f32_f16_sdwa v19, v14 dst_sel:DWORD dst_unused:UNUSED_PAD src0_sel:WORD_1
	v_cvt_f32_f16_e32 v18, v14
	v_cvt_f32_f16_sdwa v33, v15 dst_sel:DWORD dst_unused:UNUSED_PAD src0_sel:WORD_1
	v_cvt_f32_f16_e32 v32, v15
	;; [unrolled: 2-line block ×4, first 2 shown]
	s_waitcnt vmcnt(2)
	v_cvt_f32_f16_sdwa v27, v10 dst_sel:DWORD dst_unused:UNUSED_PAD src0_sel:WORD_1
	v_cvt_f32_f16_e32 v26, v10
	v_cvt_f32_f16_sdwa v25, v11 dst_sel:DWORD dst_unused:UNUSED_PAD src0_sel:WORD_1
	v_cvt_f32_f16_e32 v24, v11
	;; [unrolled: 2-line block ×4, first 2 shown]
.LBB745_30:
	s_or_b64 exec, exec, s[0:1]
	s_waitcnt vmcnt(2)
	v_mul_f32_e32 v10, v19, v19
	v_fmac_f32_e32 v10, v18, v18
	v_fmac_f32_e32 v10, v32, v32
	;; [unrolled: 1-line block ×15, first 2 shown]
	s_nop 1
	v_mov_b32_dpp v11, v10 quad_perm:[1,0,3,2] row_mask:0xf bank_mask:0xf
	v_add_f32_e32 v10, v10, v11
	s_nop 1
	v_mov_b32_dpp v11, v10 quad_perm:[2,3,0,1] row_mask:0xf bank_mask:0xf
	v_add_f32_e32 v10, v10, v11
	s_nop 1
	v_mov_b32_dpp v11, v10 row_half_mirror row_mask:0xf bank_mask:0xf
	v_add_f32_e32 v10, v10, v11
	s_nop 1
	v_mov_b32_dpp v11, v10 row_mirror row_mask:0xf bank_mask:0xf
	v_add_f32_e32 v10, v10, v11
	s_nop 1
	v_mov_b32_dpp v11, v10 row_bcast:15 row_mask:0xf bank_mask:0xf
	v_add_f32_e32 v10, v10, v11
	s_nop 1
	v_mov_b32_dpp v11, v10 row_bcast:31 row_mask:0xf bank_mask:0xf
	s_and_saveexec_b64 s[0:1], s[8:9]
	s_cbranch_execz .LBB745_32
; %bb.31:
	v_lshrrev_b32_e32 v0, 4, v0
	v_add_f32_e32 v10, v10, v11
	v_and_b32_e32 v0, 60, v0
	ds_write_b32 v0, v10
.LBB745_32:
	s_or_b64 exec, exec, s[0:1]
	s_waitcnt lgkmcnt(0)
	s_barrier
	ds_read_b32 v0, v34
	s_waitcnt lgkmcnt(0)
	s_nop 0
	v_mov_b32_dpp v10, v0 quad_perm:[1,0,3,2] row_mask:0xf bank_mask:0xf
	v_add_f32_e32 v0, v0, v10
	s_nop 1
	v_mov_b32_dpp v10, v0 quad_perm:[2,3,0,1] row_mask:0xf bank_mask:0xf
	s_and_saveexec_b64 s[0:1], vcc
	s_cbranch_execz .LBB745_17
; %bb.33:
	v_cvt_f32_u32_e32 v11, s16
	v_add_f32_e32 v0, v0, v10
	s_mov_b32 s23, 0x20000
	v_div_scale_f32 v10, s[0:1], v11, v11, v0
	v_rcp_f32_e32 v12, v10
	v_div_scale_f32 v13, vcc, v0, v11, v0
	s_mov_b32 s0, 0x800000
	v_fma_f32 v14, -v10, v12, 1.0
	v_fmac_f32_e32 v12, v14, v12
	v_mul_f32_e32 v14, v13, v12
	v_fma_f32 v15, -v10, v14, v13
	v_fmac_f32_e32 v14, v15, v12
	v_fma_f32 v10, -v10, v14, v13
	v_div_fmas_f32 v10, v10, v12, v14
	v_div_fixup_f32 v0, v10, v11, v0
	v_add_f32_e32 v0, s13, v0
	v_mul_f32_e32 v10, 0x4b800000, v0
	v_cmp_gt_f32_e32 vcc, s0, v0
	v_cndmask_b32_e32 v0, v0, v10, vcc
	v_rsq_f32_e32 v0, v0
	s_mul_hi_i32 s1, s25, s6
	s_mul_i32 s0, s25, s6
	s_lshl_b64 s[0:1], s[0:1], 1
	v_mul_f32_e32 v10, 0x45800000, v0
	v_cndmask_b32_e32 v10, v0, v10, vcc
	v_mov_b32_e32 v11, v10
	;;#ASMSTART
	v_pk_mul_f32 v[12:13], v[18:19], v[10:11]
	;;#ASMEND
	;;#ASMSTART
	v_pk_mul_f32 v[14:15], v[32:33], v[10:11]
	;;#ASMEND
	;;#ASMSTART
	v_pk_mul_f32 v[16:17], v[30:31], v[10:11]
	;;#ASMEND
	;;#ASMSTART
	v_pk_mul_f32 v[18:19], v[28:29], v[10:11]
	;;#ASMEND
	s_waitcnt vmcnt(1)
	v_cvt_f32_f16_sdwa v29, v6 dst_sel:DWORD dst_unused:UNUSED_PAD src0_sel:WORD_1
	v_cvt_f32_f16_e32 v28, v6
	v_cvt_f32_f16_sdwa v31, v7 dst_sel:DWORD dst_unused:UNUSED_PAD src0_sel:WORD_1
	v_cvt_f32_f16_e32 v30, v7
	;;#ASMSTART
	v_pk_mul_f32 v[26:27], v[26:27], v[10:11]
	;;#ASMEND
	;;#ASMSTART
	v_pk_mul_f32 v[24:25], v[24:25], v[10:11]
	;;#ASMEND
	;; [unrolled: 3-line block ×4, first 2 shown]
	v_cvt_f32_f16_sdwa v21, v8 dst_sel:DWORD dst_unused:UNUSED_PAD src0_sel:WORD_1
	v_cvt_f32_f16_e32 v20, v8
	v_pk_add_f32 v[10:11], v[28:29], 1.0 op_sel_hi:[1,0]
	;;#ASMSTART
	v_pk_mul_f32 v[10:11], v[12:13], v[10:11]
	;;#ASMEND
	v_pk_add_f32 v[12:13], v[30:31], 1.0 op_sel_hi:[1,0]
	v_cvt_f32_f16_sdwa v29, v9 dst_sel:DWORD dst_unused:UNUSED_PAD src0_sel:WORD_1
	v_cvt_f32_f16_e32 v28, v9
	;;#ASMSTART
	v_pk_mul_f32 v[8:9], v[14:15], v[12:13]
	;;#ASMEND
	v_pk_add_f32 v[12:13], v[20:21], 1.0 op_sel_hi:[1,0]
	;;#ASMSTART
	v_pk_mul_f32 v[12:13], v[16:17], v[12:13]
	;;#ASMEND
	s_waitcnt vmcnt(0)
	v_cvt_f32_f16_sdwa v17, v2 dst_sel:DWORD dst_unused:UNUSED_PAD src0_sel:WORD_1
	v_cvt_f32_f16_e32 v16, v2
	v_cvt_f32_f16_sdwa v21, v3 dst_sel:DWORD dst_unused:UNUSED_PAD src0_sel:WORD_1
	v_cvt_f32_f16_e32 v20, v3
	v_pk_add_f32 v[14:15], v[28:29], 1.0 op_sel_hi:[1,0]
	;;#ASMSTART
	v_pk_mul_f32 v[2:3], v[18:19], v[14:15]
	;;#ASMEND
	v_cvt_f32_f16_sdwa v19, v4 dst_sel:DWORD dst_unused:UNUSED_PAD src0_sel:WORD_1
	v_cvt_f32_f16_e32 v18, v4
	v_pk_add_f32 v[14:15], v[16:17], 1.0 op_sel_hi:[1,0]
	v_pk_add_f32 v[16:17], v[20:21], 1.0 op_sel_hi:[1,0]
	v_cvt_f32_f16_sdwa v21, v5 dst_sel:DWORD dst_unused:UNUSED_PAD src0_sel:WORD_1
	v_cvt_f32_f16_e32 v20, v5
	v_pk_add_f32 v[4:5], v[18:19], 1.0 op_sel_hi:[1,0]
	;;#ASMSTART
	v_pk_mul_f32 v[14:15], v[26:27], v[14:15]
	;;#ASMEND
	;;#ASMSTART
	v_pk_mul_f32 v[16:17], v[24:25], v[16:17]
	;;#ASMEND
	;; [unrolled: 3-line block ×3, first 2 shown]
	v_pk_add_f32 v[4:5], v[20:21], 1.0 op_sel_hi:[1,0]
	;;#ASMSTART
	v_pk_mul_f32 v[6:7], v[6:7], v[4:5]
	;;#ASMEND
	v_cvt_f16_f32_e32 v0, v10
	v_cvt_f16_f32_e32 v4, v11
	;; [unrolled: 1-line block ×8, first 2 shown]
	s_add_u32 s20, s14, s0
	s_addc_u32 s0, s15, s1
	s_and_b32 s21, s0, 0xffff
	v_pack_b32_f16 v2, v0, v4
	v_pack_b32_f16 v3, v5, v8
	;; [unrolled: 1-line block ×4, first 2 shown]
	buffer_store_dwordx4 v[2:5], v1, s[20:23], 0 offen
	v_cvt_f16_f32_e32 v0, v14
	v_cvt_f16_f32_e32 v2, v15
	v_cvt_f16_f32_e32 v3, v16
	v_cvt_f16_f32_e32 v4, v17
	v_cvt_f16_f32_e32 v5, v18
	v_cvt_f16_f32_e32 v8, v19
	v_cvt_f16_f32_e32 v6, v6
	v_cvt_f16_f32_e32 v7, v7
	v_pack_b32_f16 v2, v0, v2
	v_pack_b32_f16 v3, v3, v4
	;; [unrolled: 1-line block ×4, first 2 shown]
	;;#ASMSTART
	s_nop 0
	;;#ASMEND
	buffer_store_dwordx4 v[2:5], v1, s[20:23], 16 offen
	;;#ASMSTART
	s_nop 0
	;;#ASMEND
	s_endpgm
	.section	.rodata,"a",@progbits
	.p2align	6, 0x0
	.amdhsa_kernel _ZN5aiter35fused_qk_rmsnorm_group_quant_kernelIDF16_DB8_Li256ELi16ELi8ELb1ELb1ELb1ELb1ELb0ELb0EEEvPT0_PvPT_S6_S6_PKS5_S8_S8_S8_S8_ffiiiiiiiiiiiii
		.amdhsa_group_segment_fixed_size 32
		.amdhsa_private_segment_fixed_size 0
		.amdhsa_kernarg_size 400
		.amdhsa_user_sgpr_count 6
		.amdhsa_user_sgpr_private_segment_buffer 1
		.amdhsa_user_sgpr_dispatch_ptr 0
		.amdhsa_user_sgpr_queue_ptr 0
		.amdhsa_user_sgpr_kernarg_segment_ptr 1
		.amdhsa_user_sgpr_dispatch_id 0
		.amdhsa_user_sgpr_flat_scratch_init 0
		.amdhsa_user_sgpr_kernarg_preload_length 0
		.amdhsa_user_sgpr_kernarg_preload_offset 0
		.amdhsa_user_sgpr_private_segment_size 0
		.amdhsa_uses_dynamic_stack 0
		.amdhsa_system_sgpr_private_segment_wavefront_offset 0
		.amdhsa_system_sgpr_workgroup_id_x 1
		.amdhsa_system_sgpr_workgroup_id_y 1
		.amdhsa_system_sgpr_workgroup_id_z 0
		.amdhsa_system_sgpr_workgroup_info 0
		.amdhsa_system_vgpr_workitem_id 0
		.amdhsa_next_free_vgpr 49
		.amdhsa_next_free_sgpr 32
		.amdhsa_accum_offset 52
		.amdhsa_reserve_vcc 1
		.amdhsa_reserve_flat_scratch 0
		.amdhsa_float_round_mode_32 0
		.amdhsa_float_round_mode_16_64 0
		.amdhsa_float_denorm_mode_32 3
		.amdhsa_float_denorm_mode_16_64 3
		.amdhsa_dx10_clamp 1
		.amdhsa_ieee_mode 1
		.amdhsa_fp16_overflow 0
		.amdhsa_tg_split 0
		.amdhsa_exception_fp_ieee_invalid_op 0
		.amdhsa_exception_fp_denorm_src 0
		.amdhsa_exception_fp_ieee_div_zero 0
		.amdhsa_exception_fp_ieee_overflow 0
		.amdhsa_exception_fp_ieee_underflow 0
		.amdhsa_exception_fp_ieee_inexact 0
		.amdhsa_exception_int_div_zero 0
	.end_amdhsa_kernel
	.section	.text._ZN5aiter35fused_qk_rmsnorm_group_quant_kernelIDF16_DB8_Li256ELi16ELi8ELb1ELb1ELb1ELb1ELb0ELb0EEEvPT0_PvPT_S6_S6_PKS5_S8_S8_S8_S8_ffiiiiiiiiiiiii,"axG",@progbits,_ZN5aiter35fused_qk_rmsnorm_group_quant_kernelIDF16_DB8_Li256ELi16ELi8ELb1ELb1ELb1ELb1ELb0ELb0EEEvPT0_PvPT_S6_S6_PKS5_S8_S8_S8_S8_ffiiiiiiiiiiiii,comdat
.Lfunc_end745:
	.size	_ZN5aiter35fused_qk_rmsnorm_group_quant_kernelIDF16_DB8_Li256ELi16ELi8ELb1ELb1ELb1ELb1ELb0ELb0EEEvPT0_PvPT_S6_S6_PKS5_S8_S8_S8_S8_ffiiiiiiiiiiiii, .Lfunc_end745-_ZN5aiter35fused_qk_rmsnorm_group_quant_kernelIDF16_DB8_Li256ELi16ELi8ELb1ELb1ELb1ELb1ELb0ELb0EEEvPT0_PvPT_S6_S6_PKS5_S8_S8_S8_S8_ffiiiiiiiiiiiii
                                        ; -- End function
	.section	.AMDGPU.csdata,"",@progbits
; Kernel info:
; codeLenInByte = 3608
; NumSgprs: 36
; NumVgprs: 49
; NumAgprs: 0
; TotalNumVgprs: 49
; ScratchSize: 0
; MemoryBound: 0
; FloatMode: 240
; IeeeMode: 1
; LDSByteSize: 32 bytes/workgroup (compile time only)
; SGPRBlocks: 4
; VGPRBlocks: 6
; NumSGPRsForWavesPerEU: 36
; NumVGPRsForWavesPerEU: 49
; AccumOffset: 52
; Occupancy: 8
; WaveLimiterHint : 0
; COMPUTE_PGM_RSRC2:SCRATCH_EN: 0
; COMPUTE_PGM_RSRC2:USER_SGPR: 6
; COMPUTE_PGM_RSRC2:TRAP_HANDLER: 0
; COMPUTE_PGM_RSRC2:TGID_X_EN: 1
; COMPUTE_PGM_RSRC2:TGID_Y_EN: 1
; COMPUTE_PGM_RSRC2:TGID_Z_EN: 0
; COMPUTE_PGM_RSRC2:TIDIG_COMP_CNT: 0
; COMPUTE_PGM_RSRC3_GFX90A:ACCUM_OFFSET: 12
; COMPUTE_PGM_RSRC3_GFX90A:TG_SPLIT: 0
	.section	.text._ZN5aiter35fused_qk_rmsnorm_group_quant_kernelItDB8_Li256ELi16ELi8ELb1ELb1ELb1ELb1ELb0ELb0EEEvPT0_PvPT_S6_S6_PKS5_S8_S8_S8_S8_ffiiiiiiiiiiiii,"axG",@progbits,_ZN5aiter35fused_qk_rmsnorm_group_quant_kernelItDB8_Li256ELi16ELi8ELb1ELb1ELb1ELb1ELb0ELb0EEEvPT0_PvPT_S6_S6_PKS5_S8_S8_S8_S8_ffiiiiiiiiiiiii,comdat
	.protected	_ZN5aiter35fused_qk_rmsnorm_group_quant_kernelItDB8_Li256ELi16ELi8ELb1ELb1ELb1ELb1ELb0ELb0EEEvPT0_PvPT_S6_S6_PKS5_S8_S8_S8_S8_ffiiiiiiiiiiiii ; -- Begin function _ZN5aiter35fused_qk_rmsnorm_group_quant_kernelItDB8_Li256ELi16ELi8ELb1ELb1ELb1ELb1ELb0ELb0EEEvPT0_PvPT_S6_S6_PKS5_S8_S8_S8_S8_ffiiiiiiiiiiiii
	.globl	_ZN5aiter35fused_qk_rmsnorm_group_quant_kernelItDB8_Li256ELi16ELi8ELb1ELb1ELb1ELb1ELb0ELb0EEEvPT0_PvPT_S6_S6_PKS5_S8_S8_S8_S8_ffiiiiiiiiiiiii
	.p2align	8
	.type	_ZN5aiter35fused_qk_rmsnorm_group_quant_kernelItDB8_Li256ELi16ELi8ELb1ELb1ELb1ELb1ELb0ELb0EEEvPT0_PvPT_S6_S6_PKS5_S8_S8_S8_S8_ffiiiiiiiiiiiii,@function
_ZN5aiter35fused_qk_rmsnorm_group_quant_kernelItDB8_Li256ELi16ELi8ELb1ELb1ELb1ELb1ELb0ELb0EEEvPT0_PvPT_S6_S6_PKS5_S8_S8_S8_S8_ffiiiiiiiiiiiii: ; @_ZN5aiter35fused_qk_rmsnorm_group_quant_kernelItDB8_Li256ELi16ELi8ELb1ELb1ELb1ELb1ELb0ELb0EEEvPT0_PvPT_S6_S6_PKS5_S8_S8_S8_S8_ffiiiiiiiiiiiii
; %bb.0:
	s_load_dwordx8 s[12:19], s[4:5], 0x50
	s_waitcnt lgkmcnt(0)
	s_cmp_ge_i32 s6, s14
	s_cbranch_scc1 .LBB746_17
; %bb.1:
	s_cmp_lg_u32 s7, 0
	s_cselect_b64 s[22:23], -1, 0
	s_cmp_eq_u32 s7, 0
	s_cselect_b64 s[2:3], -1, 0
	s_and_b64 s[0:1], s[2:3], exec
	s_cselect_b32 s7, s15, s16
	s_load_dwordx2 s[10:11], s[4:5], 0x30
	s_load_dwordx2 s[20:21], s[4:5], 0x48
	s_add_i32 s0, s7, 1
	s_lshr_b32 s1, s0, 31
	s_add_i32 s0, s0, s1
	s_lshl_b32 s0, s0, 1
	v_lshlrev_b32_e32 v1, 4, v0
	s_and_b32 s30, s0, -4
	v_cmp_gt_i32_e64 s[0:1], s7, v1
	v_mov_b32_e32 v62, 0
	v_mov_b32_e32 v63, 0
	;; [unrolled: 1-line block ×16, first 2 shown]
	s_and_saveexec_b64 s[8:9], s[0:1]
	s_cbranch_execz .LBB746_3
; %bb.2:
	s_load_dwordx2 s[14:15], s[4:5], 0x28
	s_load_dwordx2 s[26:27], s[4:5], 0x40
	s_and_b64 s[24:25], s[2:3], exec
	s_cselect_b32 s17, s17, s18
	s_mov_b32 s31, 0x20000
	s_waitcnt lgkmcnt(0)
	s_cselect_b32 s25, s15, s11
	s_cselect_b32 s24, s14, s10
	s_mul_hi_i32 s15, s17, s6
	s_mul_i32 s14, s17, s6
	s_lshl_b64 s[14:15], s[14:15], 1
	s_add_u32 s24, s24, s14
	s_addc_u32 s17, s25, s15
	s_and_b64 s[14:15], s[2:3], exec
	s_cselect_b32 s28, s26, s20
	s_cselect_b32 s14, s27, s21
	s_and_b32 s25, s17, 0xffff
	s_mov_b32 s26, s30
	s_mov_b32 s27, s31
	v_lshlrev_b32_e32 v2, 5, v0
	s_and_b32 s29, s14, 0xffff
	buffer_load_dwordx4 v[66:69], v2, s[24:27], 0 offen
	buffer_load_dwordx4 v[70:73], v2, s[24:27], 16 offen
	buffer_load_dwordx4 v[62:65], v2, s[28:31], 0 offen
	buffer_load_dwordx4 v[58:61], v2, s[28:31], 16 offen
.LBB746_3:
	s_or_b64 exec, exec, s[8:9]
	s_load_dwordx4 s[24:27], s[4:5], 0x7c
	s_and_b64 vcc, exec, s[22:23]
	s_cbranch_vccz .LBB746_7
; %bb.4:
	v_mov_b32_e32 v75, 0
	v_mov_b32_e32 v74, 0
	;; [unrolled: 1-line block ×16, first 2 shown]
	s_and_saveexec_b64 s[8:9], s[0:1]
	s_cbranch_execz .LBB746_6
; %bb.5:
	s_waitcnt vmcnt(3)
	v_cvt_f32_u32_sdwa v2, v66 dst_sel:DWORD dst_unused:UNUSED_PAD src0_sel:WORD_0
	v_cvt_f32_u32_sdwa v3, v66 dst_sel:DWORD dst_unused:UNUSED_PAD src0_sel:WORD_1
	v_cvt_f32_u32_sdwa v6, v67 dst_sel:DWORD dst_unused:UNUSED_PAD src0_sel:WORD_0
	v_cvt_f32_u32_sdwa v7, v67 dst_sel:DWORD dst_unused:UNUSED_PAD src0_sel:WORD_1
	;; [unrolled: 2-line block ×4, first 2 shown]
	s_waitcnt vmcnt(2)
	v_cvt_f32_u32_sdwa v50, v70 dst_sel:DWORD dst_unused:UNUSED_PAD src0_sel:WORD_0
	v_cvt_f32_u32_sdwa v51, v70 dst_sel:DWORD dst_unused:UNUSED_PAD src0_sel:WORD_1
	v_cvt_f32_u32_sdwa v24, v71 dst_sel:DWORD dst_unused:UNUSED_PAD src0_sel:WORD_0
	v_cvt_f32_u32_sdwa v25, v71 dst_sel:DWORD dst_unused:UNUSED_PAD src0_sel:WORD_1
	;; [unrolled: 2-line block ×4, first 2 shown]
.LBB746_6:
	s_or_b64 exec, exec, s[8:9]
	s_cbranch_execz .LBB746_8
	s_branch .LBB746_11
.LBB746_7:
                                        ; implicit-def: $vgpr2_vgpr3_vgpr4_vgpr5_vgpr6_vgpr7_vgpr8_vgpr9_vgpr10_vgpr11_vgpr12_vgpr13_vgpr14_vgpr15_vgpr16_vgpr17
                                        ; implicit-def: $vgpr36_vgpr37_vgpr38_vgpr39_vgpr40_vgpr41_vgpr42_vgpr43_vgpr44_vgpr45_vgpr46_vgpr47_vgpr48_vgpr49_vgpr50_vgpr51
                                        ; implicit-def: $vgpr4_vgpr5_vgpr6_vgpr7_vgpr8_vgpr9_vgpr10_vgpr11_vgpr12_vgpr13_vgpr14_vgpr15_vgpr16_vgpr17_vgpr18_vgpr19
                                        ; implicit-def: $vgpr24_vgpr25_vgpr26_vgpr27_vgpr28_vgpr29_vgpr30_vgpr31_vgpr32_vgpr33_vgpr34_vgpr35_vgpr36_vgpr37_vgpr38_vgpr39
                                        ; implicit-def: $vgpr75
                                        ; implicit-def: $vgpr42_vgpr43_vgpr44_vgpr45_vgpr46_vgpr47_vgpr48_vgpr49_vgpr50_vgpr51_vgpr52_vgpr53_vgpr54_vgpr55_vgpr56_vgpr57
                                        ; implicit-def: $vgpr14_vgpr15_vgpr16_vgpr17_vgpr18_vgpr19_vgpr20_vgpr21_vgpr22_vgpr23_vgpr24_vgpr25_vgpr26_vgpr27_vgpr28_vgpr29
                                        ; implicit-def: $vgpr8_vgpr9_vgpr10_vgpr11_vgpr12_vgpr13_vgpr14_vgpr15_vgpr16_vgpr17_vgpr18_vgpr19_vgpr20_vgpr21_vgpr22_vgpr23
.LBB746_8:
	v_mov_b32_e32 v75, 0
	v_mov_b32_e32 v74, 0
	;; [unrolled: 1-line block ×16, first 2 shown]
	s_and_saveexec_b64 s[8:9], s[0:1]
	s_cbranch_execz .LBB746_10
; %bb.9:
	s_load_dwordx2 s[14:15], s[4:5], 0x38
	s_mul_hi_i32 s29, s19, s6
	s_mul_i32 s28, s19, s6
	s_lshl_b64 s[28:29], s[28:29], 1
	s_mov_b32 s31, 0x20000
	s_waitcnt lgkmcnt(0)
	s_add_u32 s28, s14, s28
	s_addc_u32 s14, s15, s29
	s_and_b32 s29, s14, 0xffff
	v_lshlrev_b32_e32 v38, 5, v0
	buffer_load_dwordx4 v[6:9], v38, s[28:31], 16 offen
	buffer_load_dwordx4 v[10:13], v38, s[28:31], 0 offen
	s_load_dwordx2 s[14:15], s[4:5], 0x20
	s_waitcnt vmcnt(5)
	v_cvt_f32_u32_sdwa v3, v66 dst_sel:DWORD dst_unused:UNUSED_PAD src0_sel:WORD_1
	v_cvt_f32_u32_sdwa v2, v66 dst_sel:DWORD dst_unused:UNUSED_PAD src0_sel:WORD_0
	v_cvt_f32_u32_sdwa v21, v67 dst_sel:DWORD dst_unused:UNUSED_PAD src0_sel:WORD_1
	v_cvt_f32_u32_sdwa v20, v67 dst_sel:DWORD dst_unused:UNUSED_PAD src0_sel:WORD_0
	;; [unrolled: 2-line block ×4, first 2 shown]
	s_waitcnt vmcnt(4)
	v_cvt_f32_u32_sdwa v5, v70 dst_sel:DWORD dst_unused:UNUSED_PAD src0_sel:WORD_1
	v_cvt_f32_u32_sdwa v4, v70 dst_sel:DWORD dst_unused:UNUSED_PAD src0_sel:WORD_0
	v_cvt_f32_u32_sdwa v15, v71 dst_sel:DWORD dst_unused:UNUSED_PAD src0_sel:WORD_1
	v_cvt_f32_u32_sdwa v14, v71 dst_sel:DWORD dst_unused:UNUSED_PAD src0_sel:WORD_0
	;; [unrolled: 2-line block ×3, first 2 shown]
	v_cvt_f32_u32_sdwa v18, v73 dst_sel:DWORD dst_unused:UNUSED_PAD src0_sel:WORD_0
	v_cvt_f32_u32_sdwa v19, v73 dst_sel:DWORD dst_unused:UNUSED_PAD src0_sel:WORD_1
	s_mul_hi_i32 s27, s26, s6
	s_mul_i32 s26, s26, s6
	s_lshl_b64 s[26:27], s[26:27], 1
	s_waitcnt lgkmcnt(0)
	s_add_u32 s28, s14, s26
	s_mov_b32 s17, 0x7060302
	s_addc_u32 s14, s15, s27
	s_and_b32 s29, s14, 0xffff
	s_waitcnt vmcnt(1)
	v_cvt_f32_u32_sdwa v27, v6 dst_sel:DWORD dst_unused:UNUSED_PAD src0_sel:WORD_1
	v_cvt_f32_u32_sdwa v26, v6 dst_sel:DWORD dst_unused:UNUSED_PAD src0_sel:WORD_0
	v_cvt_f32_u32_sdwa v29, v7 dst_sel:DWORD dst_unused:UNUSED_PAD src0_sel:WORD_1
	v_cvt_f32_u32_sdwa v28, v7 dst_sel:DWORD dst_unused:UNUSED_PAD src0_sel:WORD_0
	;; [unrolled: 2-line block ×3, first 2 shown]
	v_cvt_f32_u32_sdwa v34, v9 dst_sel:DWORD dst_unused:UNUSED_PAD src0_sel:WORD_0
	v_cvt_f32_u32_sdwa v35, v9 dst_sel:DWORD dst_unused:UNUSED_PAD src0_sel:WORD_1
	s_waitcnt vmcnt(0)
	v_cvt_f32_u32_sdwa v37, v10 dst_sel:DWORD dst_unused:UNUSED_PAD src0_sel:WORD_1
	v_cvt_f32_u32_sdwa v36, v10 dst_sel:DWORD dst_unused:UNUSED_PAD src0_sel:WORD_0
	v_cvt_f32_u32_sdwa v7, v12 dst_sel:DWORD dst_unused:UNUSED_PAD src0_sel:WORD_1
	v_cvt_f32_u32_sdwa v6, v12 dst_sel:DWORD dst_unused:UNUSED_PAD src0_sel:WORD_0
	;; [unrolled: 2-line block ×4, first 2 shown]
	v_pk_add_f32 v[40:41], v[22:23], v[6:7]
	v_pk_add_f32 v[30:31], v[24:25], v[8:9]
	;; [unrolled: 1-line block ×4, first 2 shown]
	v_perm_b32 v11, v31, v30, s17
	v_perm_b32 v10, v41, v40, s17
	;; [unrolled: 1-line block ×4, first 2 shown]
	v_pk_add_f32 v[74:75], v[18:19], v[34:35]
	v_pk_add_f32 v[20:21], v[16:17], v[32:33]
	;; [unrolled: 1-line block ×4, first 2 shown]
	buffer_store_dwordx4 v[8:11], v38, s[28:31], 0 offen
	;;#ASMSTART
	s_nop 0
	;;#ASMEND
	s_nop 0
	v_perm_b32 v11, v75, v74, s17
	v_perm_b32 v10, v21, v20, s17
	;; [unrolled: 1-line block ×4, first 2 shown]
	buffer_store_dwordx4 v[8:11], v38, s[28:31], 16 offen
	;;#ASMSTART
	s_nop 0
	;;#ASMEND
.LBB746_10:
	s_or_b64 exec, exec, s[8:9]
.LBB746_11:
	v_mul_f32_e32 v4, v3, v3
	v_fmac_f32_e32 v4, v2, v2
	v_fmac_f32_e32 v4, v6, v6
	;; [unrolled: 1-line block ×15, first 2 shown]
	s_nop 1
	v_mov_b32_dpp v5, v4 quad_perm:[1,0,3,2] row_mask:0xf bank_mask:0xf
	v_add_f32_e32 v4, v4, v5
	s_nop 1
	v_mov_b32_dpp v5, v4 quad_perm:[2,3,0,1] row_mask:0xf bank_mask:0xf
	v_add_f32_e32 v4, v4, v5
	s_nop 1
	v_mov_b32_dpp v5, v4 row_half_mirror row_mask:0xf bank_mask:0xf
	v_add_f32_e32 v4, v4, v5
	s_nop 1
	v_mov_b32_dpp v5, v4 row_mirror row_mask:0xf bank_mask:0xf
	v_add_f32_e32 v4, v4, v5
	s_nop 1
	v_mov_b32_dpp v5, v4 row_bcast:15 row_mask:0xf bank_mask:0xf
	v_add_f32_e32 v4, v4, v5
	v_and_b32_e32 v5, 63, v0
	v_cmp_eq_u32_e64 s[8:9], 63, v5
	s_nop 0
	v_mov_b32_dpp v5, v4 row_bcast:31 row_mask:0xf bank_mask:0xf
	s_and_saveexec_b64 s[14:15], s[8:9]
	s_cbranch_execz .LBB746_13
; %bb.12:
	v_add_f32_e32 v4, v4, v5
	v_lshrrev_b32_e32 v5, 4, v0
	v_and_b32_e32 v5, 60, v5
	ds_write_b32 v5, v4 offset:16
.LBB746_13:
	s_or_b64 exec, exec, s[14:15]
	v_and_b32_e32 v4, 3, v0
	v_lshlrev_b32_e32 v34, 2, v4
	s_waitcnt lgkmcnt(0)
	s_barrier
	ds_read_b32 v4, v34 offset:16
	s_load_dwordx2 s[14:15], s[4:5], 0x18
	s_waitcnt lgkmcnt(0)
	v_mov_b32_dpp v5, v4 quad_perm:[1,0,3,2] row_mask:0xf bank_mask:0xf
	v_add_f32_e32 v4, v4, v5
	s_nop 1
	v_mov_b32_dpp v5, v4 quad_perm:[2,3,0,1] row_mask:0xf bank_mask:0xf
	s_and_saveexec_b64 s[26:27], s[0:1]
	s_cbranch_execnz .LBB746_18
; %bb.14:
	s_or_b64 exec, exec, s[26:27]
	s_mov_b64 s[2:3], -1
	s_and_b64 vcc, exec, s[22:23]
	s_cbranch_vccnz .LBB746_19
.LBB746_15:
	s_andn2_b64 vcc, exec, s[2:3]
	s_cbranch_vccz .LBB746_22
.LBB746_16:
	s_cmp_lt_i32 s16, 1
	s_cbranch_scc0 .LBB746_25
.LBB746_17:
	s_endpgm
.LBB746_18:
	v_add_f32_e32 v4, v4, v5
	v_cvt_f32_u32_e32 v5, s7
	s_waitcnt vmcnt(1)
	v_cvt_f32_u32_sdwa v15, v62 dst_sel:DWORD dst_unused:UNUSED_PAD src0_sel:WORD_1
	v_cvt_f32_u32_sdwa v14, v62 dst_sel:DWORD dst_unused:UNUSED_PAD src0_sel:WORD_0
	v_cvt_f32_u32_sdwa v23, v65 dst_sel:DWORD dst_unused:UNUSED_PAD src0_sel:WORD_1
	v_div_scale_f32 v8, s[28:29], v5, v5, v4
	v_rcp_f32_e32 v9, v8
	v_pk_add_f32 v[14:15], v[14:15], 1.0 op_sel_hi:[1,0]
	v_cvt_f32_u32_sdwa v22, v65 dst_sel:DWORD dst_unused:UNUSED_PAD src0_sel:WORD_0
	s_waitcnt vmcnt(0)
	v_cvt_f32_u32_sdwa v27, v60 dst_sel:DWORD dst_unused:UNUSED_PAD src0_sel:WORD_1
	v_fma_f32 v10, -v8, v9, 1.0
	v_fmac_f32_e32 v9, v10, v9
	v_div_scale_f32 v10, vcc, v4, v5, v4
	v_mul_f32_e32 v11, v10, v9
	v_fma_f32 v12, -v8, v11, v10
	v_fmac_f32_e32 v11, v12, v9
	v_fma_f32 v8, -v8, v11, v10
	v_div_fmas_f32 v8, v8, v9, v11
	v_div_fixup_f32 v4, v8, v5, v4
	v_mov_b32_e32 v5, s13
	v_mov_b32_e32 v8, s12
	v_cndmask_b32_e64 v5, v5, v8, s[2:3]
	v_add_f32_e32 v4, v5, v4
	s_mov_b32 s2, 0x800000
	v_mul_f32_e32 v5, 0x4b800000, v4
	v_cmp_gt_f32_e32 vcc, s2, v4
	v_cndmask_b32_e32 v4, v4, v5, vcc
	v_rsq_f32_e32 v4, v4
	v_cvt_f32_u32_sdwa v26, v60 dst_sel:DWORD dst_unused:UNUSED_PAD src0_sel:WORD_0
	v_cvt_f32_u32_sdwa v29, v61 dst_sel:DWORD dst_unused:UNUSED_PAD src0_sel:WORD_1
	v_cvt_f32_u32_sdwa v28, v61 dst_sel:DWORD dst_unused:UNUSED_PAD src0_sel:WORD_0
	v_mul_f32_e32 v5, 0x45800000, v4
	v_cndmask_b32_e32 v4, v4, v5, vcc
	v_mov_b32_e32 v5, v4
	;;#ASMSTART
	v_pk_mul_f32 v[2:3], v[2:3], v[4:5]
	;;#ASMEND
	;;#ASMSTART
	v_pk_mul_f32 v[6:7], v[6:7], v[4:5]
	;;#ASMEND
	;; [unrolled: 3-line block ×9, first 2 shown]
	v_cvt_f32_u32_sdwa v15, v63 dst_sel:DWORD dst_unused:UNUSED_PAD src0_sel:WORD_1
	v_cvt_f32_u32_sdwa v14, v63 dst_sel:DWORD dst_unused:UNUSED_PAD src0_sel:WORD_0
	v_cvt_f32_u32_sdwa v21, v64 dst_sel:DWORD dst_unused:UNUSED_PAD src0_sel:WORD_1
	v_cvt_f32_u32_sdwa v20, v64 dst_sel:DWORD dst_unused:UNUSED_PAD src0_sel:WORD_0
	v_cvt_f32_u32_sdwa v25, v59 dst_sel:DWORD dst_unused:UNUSED_PAD src0_sel:WORD_1
	v_pk_add_f32 v[14:15], v[14:15], 1.0 op_sel_hi:[1,0]
	v_cvt_f32_u32_sdwa v24, v59 dst_sel:DWORD dst_unused:UNUSED_PAD src0_sel:WORD_0
	;;#ASMSTART
	v_pk_mul_f32 v[6:7], v[6:7], v[14:15]
	;;#ASMEND
	v_pk_add_f32 v[14:15], v[20:21], 1.0 op_sel_hi:[1,0]
	v_pk_add_f32 v[20:21], v[22:23], 1.0 op_sel_hi:[1,0]
	v_cvt_f32_u32_sdwa v23, v58 dst_sel:DWORD dst_unused:UNUSED_PAD src0_sel:WORD_1
	v_cvt_f32_u32_sdwa v22, v58 dst_sel:DWORD dst_unused:UNUSED_PAD src0_sel:WORD_0
	v_pk_add_f32 v[24:25], v[24:25], 1.0 op_sel_hi:[1,0]
	v_pk_add_f32 v[26:27], v[26:27], 1.0 op_sel_hi:[1,0]
	;; [unrolled: 1-line block ×4, first 2 shown]
	;;#ASMSTART
	v_pk_mul_f32 v[40:41], v[8:9], v[14:15]
	;;#ASMEND
	;;#ASMSTART
	v_pk_mul_f32 v[30:31], v[10:11], v[20:21]
	;;#ASMEND
	;; [unrolled: 3-line block ×6, first 2 shown]
	s_or_b64 exec, exec, s[26:27]
	s_mov_b64 s[2:3], -1
	s_and_b64 vcc, exec, s[22:23]
	s_cbranch_vccz .LBB746_15
.LBB746_19:
	s_and_saveexec_b64 s[2:3], s[0:1]
	s_cbranch_execz .LBB746_21
; %bb.20:
	s_mul_hi_i32 s23, s25, s6
	s_mul_i32 s22, s25, s6
	s_lshl_b64 s[22:23], s[22:23], 1
	s_add_u32 s28, s14, s22
	s_addc_u32 s7, s15, s23
	s_and_b32 s29, s7, 0xffff
	s_mov_b32 s7, 0x7060302
	s_mov_b32 s31, 0x20000
	v_perm_b32 v11, v31, v30, s7
	v_perm_b32 v10, v41, v40, s7
	;; [unrolled: 1-line block ×4, first 2 shown]
	v_lshlrev_b32_e32 v4, 5, v0
	buffer_store_dwordx4 v[8:11], v4, s[28:31], 0 offen
	;;#ASMSTART
	s_nop 0
	;;#ASMEND
	s_nop 0
	v_perm_b32 v11, v75, v74, s7
	v_perm_b32 v10, v21, v20, s7
	;; [unrolled: 1-line block ×4, first 2 shown]
	buffer_store_dwordx4 v[8:11], v4, s[28:31], 16 offen
	;;#ASMSTART
	s_nop 0
	;;#ASMEND
.LBB746_21:
	s_or_b64 exec, exec, s[2:3]
	s_cbranch_execnz .LBB746_16
.LBB746_22:
	s_and_saveexec_b64 s[2:3], s[0:1]
	s_cbranch_execz .LBB746_24
; %bb.23:
	s_load_dwordx2 s[0:1], s[4:5], 0x10
	s_mul_hi_i32 s23, s24, s6
	s_mul_i32 s22, s24, s6
	s_lshl_b64 s[22:23], s[22:23], 1
	s_mov_b32 s7, 0x7060302
	s_waitcnt lgkmcnt(0)
	s_add_u32 s28, s0, s22
	s_addc_u32 s0, s1, s23
	v_perm_b32 v9, v31, v30, s7
	v_perm_b32 v8, v41, v40, s7
	;; [unrolled: 1-line block ×4, first 2 shown]
	s_and_b32 s29, s0, 0xffff
	s_mov_b32 s31, 0x20000
	v_lshlrev_b32_e32 v10, 5, v0
	v_perm_b32 v5, v75, v74, s7
	v_perm_b32 v4, v21, v20, s7
	;; [unrolled: 1-line block ×4, first 2 shown]
	buffer_store_dwordx4 v[6:9], v10, s[28:31], 0 offen
	;;#ASMSTART
	s_nop 0
	;;#ASMEND
	buffer_store_dwordx4 v[2:5], v10, s[28:31], 16 offen
	;;#ASMSTART
	s_nop 0
	;;#ASMEND
.LBB746_24:
	s_or_b64 exec, exec, s[2:3]
	s_cmp_lt_i32 s16, 1
	s_cbranch_scc1 .LBB746_17
.LBB746_25:
	s_load_dword s0, s[4:5], 0x94
	s_waitcnt lgkmcnt(0)
	s_cmp_lg_u32 s0, 1
	s_cbranch_scc1 .LBB746_17
; %bb.26:
	s_lshl_b32 s0, s16, 1
	s_add_i32 s0, s0, 2
	v_cmp_gt_u32_e32 vcc, s16, v1
	s_and_b32 s22, s0, -4
	v_mov_b32_e32 v18, 0
	v_lshlrev_b32_e32 v1, 5, v0
	v_mov_b32_e32 v14, 0
	v_mov_b32_e32 v15, 0
	;; [unrolled: 1-line block ×16, first 2 shown]
	s_barrier
	s_and_saveexec_b64 s[0:1], vcc
	s_cbranch_execz .LBB746_28
; %bb.27:
	s_mul_hi_i32 s3, s18, s6
	s_mul_i32 s2, s18, s6
	s_and_b32 s21, s21, 0xffff
	s_lshl_b64 s[2:3], s[2:3], 1
	s_add_u32 s28, s10, s2
	s_mov_b32 s23, 0x20000
	s_addc_u32 s2, s11, s3
	s_and_b32 s29, s2, 0xffff
	s_mov_b32 s30, s22
	s_mov_b32 s31, s23
	buffer_load_dwordx4 v[14:17], v1, s[28:31], 0 offen
	buffer_load_dwordx4 v[10:13], v1, s[28:31], 16 offen
	;; [unrolled: 1-line block ×4, first 2 shown]
.LBB746_28:
	s_or_b64 exec, exec, s[0:1]
	v_mov_b32_e32 v19, 0
	v_mov_b32_e32 v32, 0
	;; [unrolled: 1-line block ×15, first 2 shown]
	s_and_saveexec_b64 s[0:1], vcc
	s_cbranch_execz .LBB746_30
; %bb.29:
	s_waitcnt vmcnt(3)
	v_cvt_f32_u32_sdwa v18, v14 dst_sel:DWORD dst_unused:UNUSED_PAD src0_sel:WORD_0
	v_cvt_f32_u32_sdwa v19, v14 dst_sel:DWORD dst_unused:UNUSED_PAD src0_sel:WORD_1
	v_cvt_f32_u32_sdwa v32, v15 dst_sel:DWORD dst_unused:UNUSED_PAD src0_sel:WORD_0
	v_cvt_f32_u32_sdwa v33, v15 dst_sel:DWORD dst_unused:UNUSED_PAD src0_sel:WORD_1
	;; [unrolled: 2-line block ×4, first 2 shown]
	s_waitcnt vmcnt(2)
	v_cvt_f32_u32_sdwa v26, v10 dst_sel:DWORD dst_unused:UNUSED_PAD src0_sel:WORD_0
	v_cvt_f32_u32_sdwa v27, v10 dst_sel:DWORD dst_unused:UNUSED_PAD src0_sel:WORD_1
	v_cvt_f32_u32_sdwa v24, v11 dst_sel:DWORD dst_unused:UNUSED_PAD src0_sel:WORD_0
	v_cvt_f32_u32_sdwa v25, v11 dst_sel:DWORD dst_unused:UNUSED_PAD src0_sel:WORD_1
	;; [unrolled: 2-line block ×4, first 2 shown]
.LBB746_30:
	s_or_b64 exec, exec, s[0:1]
	s_waitcnt vmcnt(2)
	v_mul_f32_e32 v10, v19, v19
	v_fmac_f32_e32 v10, v18, v18
	v_fmac_f32_e32 v10, v32, v32
	;; [unrolled: 1-line block ×15, first 2 shown]
	s_nop 1
	v_mov_b32_dpp v11, v10 quad_perm:[1,0,3,2] row_mask:0xf bank_mask:0xf
	v_add_f32_e32 v10, v10, v11
	s_nop 1
	v_mov_b32_dpp v11, v10 quad_perm:[2,3,0,1] row_mask:0xf bank_mask:0xf
	v_add_f32_e32 v10, v10, v11
	s_nop 1
	v_mov_b32_dpp v11, v10 row_half_mirror row_mask:0xf bank_mask:0xf
	v_add_f32_e32 v10, v10, v11
	s_nop 1
	v_mov_b32_dpp v11, v10 row_mirror row_mask:0xf bank_mask:0xf
	v_add_f32_e32 v10, v10, v11
	s_nop 1
	v_mov_b32_dpp v11, v10 row_bcast:15 row_mask:0xf bank_mask:0xf
	v_add_f32_e32 v10, v10, v11
	s_nop 1
	v_mov_b32_dpp v11, v10 row_bcast:31 row_mask:0xf bank_mask:0xf
	s_and_saveexec_b64 s[0:1], s[8:9]
	s_cbranch_execz .LBB746_32
; %bb.31:
	v_lshrrev_b32_e32 v0, 4, v0
	v_add_f32_e32 v10, v10, v11
	v_and_b32_e32 v0, 60, v0
	ds_write_b32 v0, v10
.LBB746_32:
	s_or_b64 exec, exec, s[0:1]
	s_waitcnt lgkmcnt(0)
	s_barrier
	ds_read_b32 v0, v34
	s_waitcnt lgkmcnt(0)
	s_nop 0
	v_mov_b32_dpp v10, v0 quad_perm:[1,0,3,2] row_mask:0xf bank_mask:0xf
	v_add_f32_e32 v0, v0, v10
	s_nop 1
	v_mov_b32_dpp v10, v0 quad_perm:[2,3,0,1] row_mask:0xf bank_mask:0xf
	s_and_saveexec_b64 s[0:1], vcc
	s_cbranch_execz .LBB746_17
; %bb.33:
	v_cvt_f32_u32_e32 v11, s16
	v_add_f32_e32 v0, v0, v10
	s_mov_b32 s23, 0x20000
	v_div_scale_f32 v10, s[0:1], v11, v11, v0
	v_rcp_f32_e32 v12, v10
	v_div_scale_f32 v13, vcc, v0, v11, v0
	s_mov_b32 s0, 0x800000
	v_fma_f32 v14, -v10, v12, 1.0
	v_fmac_f32_e32 v12, v14, v12
	v_mul_f32_e32 v14, v13, v12
	v_fma_f32 v15, -v10, v14, v13
	v_fmac_f32_e32 v14, v15, v12
	v_fma_f32 v10, -v10, v14, v13
	v_div_fmas_f32 v10, v10, v12, v14
	v_div_fixup_f32 v0, v10, v11, v0
	v_add_f32_e32 v0, s13, v0
	v_mul_f32_e32 v10, 0x4b800000, v0
	v_cmp_gt_f32_e32 vcc, s0, v0
	v_cndmask_b32_e32 v0, v0, v10, vcc
	v_rsq_f32_e32 v0, v0
	s_mul_hi_i32 s1, s25, s6
	s_mul_i32 s0, s25, s6
	s_lshl_b64 s[0:1], s[0:1], 1
	v_mul_f32_e32 v10, 0x45800000, v0
	v_cndmask_b32_e32 v10, v0, v10, vcc
	v_mov_b32_e32 v11, v10
	;;#ASMSTART
	v_pk_mul_f32 v[12:13], v[18:19], v[10:11]
	;;#ASMEND
	;;#ASMSTART
	v_pk_mul_f32 v[14:15], v[32:33], v[10:11]
	;;#ASMEND
	;; [unrolled: 3-line block ×4, first 2 shown]
	s_waitcnt vmcnt(1)
	v_cvt_f32_u32_sdwa v29, v6 dst_sel:DWORD dst_unused:UNUSED_PAD src0_sel:WORD_1
	v_cvt_f32_u32_sdwa v28, v6 dst_sel:DWORD dst_unused:UNUSED_PAD src0_sel:WORD_0
	v_cvt_f32_u32_sdwa v31, v7 dst_sel:DWORD dst_unused:UNUSED_PAD src0_sel:WORD_1
	v_cvt_f32_u32_sdwa v30, v7 dst_sel:DWORD dst_unused:UNUSED_PAD src0_sel:WORD_0
	;;#ASMSTART
	v_pk_mul_f32 v[26:27], v[26:27], v[10:11]
	;;#ASMEND
	;;#ASMSTART
	v_pk_mul_f32 v[24:25], v[24:25], v[10:11]
	;;#ASMEND
	;; [unrolled: 3-line block ×4, first 2 shown]
	v_cvt_f32_u32_sdwa v21, v8 dst_sel:DWORD dst_unused:UNUSED_PAD src0_sel:WORD_1
	v_cvt_f32_u32_sdwa v20, v8 dst_sel:DWORD dst_unused:UNUSED_PAD src0_sel:WORD_0
	v_pk_add_f32 v[10:11], v[28:29], 1.0 op_sel_hi:[1,0]
	;;#ASMSTART
	v_pk_mul_f32 v[10:11], v[12:13], v[10:11]
	;;#ASMEND
	v_pk_add_f32 v[12:13], v[30:31], 1.0 op_sel_hi:[1,0]
	v_cvt_f32_u32_sdwa v29, v9 dst_sel:DWORD dst_unused:UNUSED_PAD src0_sel:WORD_1
	v_cvt_f32_u32_sdwa v28, v9 dst_sel:DWORD dst_unused:UNUSED_PAD src0_sel:WORD_0
	;;#ASMSTART
	v_pk_mul_f32 v[8:9], v[14:15], v[12:13]
	;;#ASMEND
	v_pk_add_f32 v[12:13], v[20:21], 1.0 op_sel_hi:[1,0]
	;;#ASMSTART
	v_pk_mul_f32 v[12:13], v[16:17], v[12:13]
	;;#ASMEND
	s_waitcnt vmcnt(0)
	v_cvt_f32_u32_sdwa v17, v2 dst_sel:DWORD dst_unused:UNUSED_PAD src0_sel:WORD_1
	v_cvt_f32_u32_sdwa v16, v2 dst_sel:DWORD dst_unused:UNUSED_PAD src0_sel:WORD_0
	v_cvt_f32_u32_sdwa v21, v3 dst_sel:DWORD dst_unused:UNUSED_PAD src0_sel:WORD_1
	v_cvt_f32_u32_sdwa v20, v3 dst_sel:DWORD dst_unused:UNUSED_PAD src0_sel:WORD_0
	v_pk_add_f32 v[14:15], v[28:29], 1.0 op_sel_hi:[1,0]
	;;#ASMSTART
	v_pk_mul_f32 v[14:15], v[18:19], v[14:15]
	;;#ASMEND
	v_pk_add_f32 v[2:3], v[16:17], 1.0 op_sel_hi:[1,0]
	v_cvt_f32_u32_sdwa v19, v4 dst_sel:DWORD dst_unused:UNUSED_PAD src0_sel:WORD_1
	v_cvt_f32_u32_sdwa v18, v4 dst_sel:DWORD dst_unused:UNUSED_PAD src0_sel:WORD_0
	;;#ASMSTART
	v_pk_mul_f32 v[16:17], v[26:27], v[2:3]
	;;#ASMEND
	v_pk_add_f32 v[2:3], v[20:21], 1.0 op_sel_hi:[1,0]
	v_cvt_f32_u32_sdwa v21, v5 dst_sel:DWORD dst_unused:UNUSED_PAD src0_sel:WORD_1
	v_cvt_f32_u32_sdwa v20, v5 dst_sel:DWORD dst_unused:UNUSED_PAD src0_sel:WORD_0
	s_add_u32 s20, s14, s0
	;;#ASMSTART
	v_pk_mul_f32 v[24:25], v[24:25], v[2:3]
	;;#ASMEND
	v_pk_add_f32 v[2:3], v[18:19], 1.0 op_sel_hi:[1,0]
	s_addc_u32 s0, s15, s1
	;;#ASMSTART
	v_pk_mul_f32 v[18:19], v[22:23], v[2:3]
	;;#ASMEND
	v_pk_add_f32 v[2:3], v[20:21], 1.0 op_sel_hi:[1,0]
	s_and_b32 s21, s0, 0xffff
	s_mov_b32 s0, 0x7060302
	;;#ASMSTART
	v_pk_mul_f32 v[6:7], v[6:7], v[2:3]
	;;#ASMEND
	v_perm_b32 v2, v11, v10, s0
	v_perm_b32 v3, v9, v8, s0
	;; [unrolled: 1-line block ×4, first 2 shown]
	buffer_store_dwordx4 v[2:5], v1, s[20:23], 0 offen
	;;#ASMSTART
	s_nop 0
	;;#ASMEND
	s_nop 0
	v_perm_b32 v2, v17, v16, s0
	v_perm_b32 v3, v25, v24, s0
	;; [unrolled: 1-line block ×4, first 2 shown]
	buffer_store_dwordx4 v[2:5], v1, s[20:23], 16 offen
	;;#ASMSTART
	s_nop 0
	;;#ASMEND
	s_endpgm
	.section	.rodata,"a",@progbits
	.p2align	6, 0x0
	.amdhsa_kernel _ZN5aiter35fused_qk_rmsnorm_group_quant_kernelItDB8_Li256ELi16ELi8ELb1ELb1ELb1ELb1ELb0ELb0EEEvPT0_PvPT_S6_S6_PKS5_S8_S8_S8_S8_ffiiiiiiiiiiiii
		.amdhsa_group_segment_fixed_size 32
		.amdhsa_private_segment_fixed_size 0
		.amdhsa_kernarg_size 400
		.amdhsa_user_sgpr_count 6
		.amdhsa_user_sgpr_private_segment_buffer 1
		.amdhsa_user_sgpr_dispatch_ptr 0
		.amdhsa_user_sgpr_queue_ptr 0
		.amdhsa_user_sgpr_kernarg_segment_ptr 1
		.amdhsa_user_sgpr_dispatch_id 0
		.amdhsa_user_sgpr_flat_scratch_init 0
		.amdhsa_user_sgpr_kernarg_preload_length 0
		.amdhsa_user_sgpr_kernarg_preload_offset 0
		.amdhsa_user_sgpr_private_segment_size 0
		.amdhsa_uses_dynamic_stack 0
		.amdhsa_system_sgpr_private_segment_wavefront_offset 0
		.amdhsa_system_sgpr_workgroup_id_x 1
		.amdhsa_system_sgpr_workgroup_id_y 1
		.amdhsa_system_sgpr_workgroup_id_z 0
		.amdhsa_system_sgpr_workgroup_info 0
		.amdhsa_system_vgpr_workitem_id 0
		.amdhsa_next_free_vgpr 76
		.amdhsa_next_free_sgpr 32
		.amdhsa_accum_offset 76
		.amdhsa_reserve_vcc 1
		.amdhsa_reserve_flat_scratch 0
		.amdhsa_float_round_mode_32 0
		.amdhsa_float_round_mode_16_64 0
		.amdhsa_float_denorm_mode_32 3
		.amdhsa_float_denorm_mode_16_64 3
		.amdhsa_dx10_clamp 1
		.amdhsa_ieee_mode 1
		.amdhsa_fp16_overflow 0
		.amdhsa_tg_split 0
		.amdhsa_exception_fp_ieee_invalid_op 0
		.amdhsa_exception_fp_denorm_src 0
		.amdhsa_exception_fp_ieee_div_zero 0
		.amdhsa_exception_fp_ieee_overflow 0
		.amdhsa_exception_fp_ieee_underflow 0
		.amdhsa_exception_fp_ieee_inexact 0
		.amdhsa_exception_int_div_zero 0
	.end_amdhsa_kernel
	.section	.text._ZN5aiter35fused_qk_rmsnorm_group_quant_kernelItDB8_Li256ELi16ELi8ELb1ELb1ELb1ELb1ELb0ELb0EEEvPT0_PvPT_S6_S6_PKS5_S8_S8_S8_S8_ffiiiiiiiiiiiii,"axG",@progbits,_ZN5aiter35fused_qk_rmsnorm_group_quant_kernelItDB8_Li256ELi16ELi8ELb1ELb1ELb1ELb1ELb0ELb0EEEvPT0_PvPT_S6_S6_PKS5_S8_S8_S8_S8_ffiiiiiiiiiiiii,comdat
.Lfunc_end746:
	.size	_ZN5aiter35fused_qk_rmsnorm_group_quant_kernelItDB8_Li256ELi16ELi8ELb1ELb1ELb1ELb1ELb0ELb0EEEvPT0_PvPT_S6_S6_PKS5_S8_S8_S8_S8_ffiiiiiiiiiiiii, .Lfunc_end746-_ZN5aiter35fused_qk_rmsnorm_group_quant_kernelItDB8_Li256ELi16ELi8ELb1ELb1ELb1ELb1ELb0ELb0EEEvPT0_PvPT_S6_S6_PKS5_S8_S8_S8_S8_ffiiiiiiiiiiiii
                                        ; -- End function
	.section	.AMDGPU.csdata,"",@progbits
; Kernel info:
; codeLenInByte = 3568
; NumSgprs: 36
; NumVgprs: 76
; NumAgprs: 0
; TotalNumVgprs: 76
; ScratchSize: 0
; MemoryBound: 0
; FloatMode: 240
; IeeeMode: 1
; LDSByteSize: 32 bytes/workgroup (compile time only)
; SGPRBlocks: 4
; VGPRBlocks: 9
; NumSGPRsForWavesPerEU: 36
; NumVGPRsForWavesPerEU: 76
; AccumOffset: 76
; Occupancy: 6
; WaveLimiterHint : 0
; COMPUTE_PGM_RSRC2:SCRATCH_EN: 0
; COMPUTE_PGM_RSRC2:USER_SGPR: 6
; COMPUTE_PGM_RSRC2:TRAP_HANDLER: 0
; COMPUTE_PGM_RSRC2:TGID_X_EN: 1
; COMPUTE_PGM_RSRC2:TGID_Y_EN: 1
; COMPUTE_PGM_RSRC2:TGID_Z_EN: 0
; COMPUTE_PGM_RSRC2:TIDIG_COMP_CNT: 0
; COMPUTE_PGM_RSRC3_GFX90A:ACCUM_OFFSET: 18
; COMPUTE_PGM_RSRC3_GFX90A:TG_SPLIT: 0
	.section	.text._ZN5aiter35fused_qk_rmsnorm_group_quant_kernelIDF16_N4opus5fp4_tELi256ELi16ELi8ELb1ELb1ELb1ELb1ELb0ELb0EEEvPT0_PvPT_S7_S7_PKS6_S9_S9_S9_S9_ffiiiiiiiiiiiii,"axG",@progbits,_ZN5aiter35fused_qk_rmsnorm_group_quant_kernelIDF16_N4opus5fp4_tELi256ELi16ELi8ELb1ELb1ELb1ELb1ELb0ELb0EEEvPT0_PvPT_S7_S7_PKS6_S9_S9_S9_S9_ffiiiiiiiiiiiii,comdat
	.protected	_ZN5aiter35fused_qk_rmsnorm_group_quant_kernelIDF16_N4opus5fp4_tELi256ELi16ELi8ELb1ELb1ELb1ELb1ELb0ELb0EEEvPT0_PvPT_S7_S7_PKS6_S9_S9_S9_S9_ffiiiiiiiiiiiii ; -- Begin function _ZN5aiter35fused_qk_rmsnorm_group_quant_kernelIDF16_N4opus5fp4_tELi256ELi16ELi8ELb1ELb1ELb1ELb1ELb0ELb0EEEvPT0_PvPT_S7_S7_PKS6_S9_S9_S9_S9_ffiiiiiiiiiiiii
	.globl	_ZN5aiter35fused_qk_rmsnorm_group_quant_kernelIDF16_N4opus5fp4_tELi256ELi16ELi8ELb1ELb1ELb1ELb1ELb0ELb0EEEvPT0_PvPT_S7_S7_PKS6_S9_S9_S9_S9_ffiiiiiiiiiiiii
	.p2align	8
	.type	_ZN5aiter35fused_qk_rmsnorm_group_quant_kernelIDF16_N4opus5fp4_tELi256ELi16ELi8ELb1ELb1ELb1ELb1ELb0ELb0EEEvPT0_PvPT_S7_S7_PKS6_S9_S9_S9_S9_ffiiiiiiiiiiiii,@function
_ZN5aiter35fused_qk_rmsnorm_group_quant_kernelIDF16_N4opus5fp4_tELi256ELi16ELi8ELb1ELb1ELb1ELb1ELb0ELb0EEEvPT0_PvPT_S7_S7_PKS6_S9_S9_S9_S9_ffiiiiiiiiiiiii: ; @_ZN5aiter35fused_qk_rmsnorm_group_quant_kernelIDF16_N4opus5fp4_tELi256ELi16ELi8ELb1ELb1ELb1ELb1ELb0ELb0EEEvPT0_PvPT_S7_S7_PKS6_S9_S9_S9_S9_ffiiiiiiiiiiiii
; %bb.0:
	s_load_dwordx8 s[12:19], s[4:5], 0x50
	s_waitcnt lgkmcnt(0)
	s_cmp_ge_i32 s6, s14
	s_cbranch_scc1 .LBB747_17
; %bb.1:
	s_cmp_lg_u32 s7, 0
	s_cselect_b64 s[22:23], -1, 0
	s_cmp_eq_u32 s7, 0
	s_cselect_b64 s[2:3], -1, 0
	s_and_b64 s[0:1], s[2:3], exec
	s_cselect_b32 s7, s15, s16
	s_load_dwordx2 s[10:11], s[4:5], 0x30
	s_load_dwordx2 s[20:21], s[4:5], 0x48
	s_add_i32 s0, s7, 1
	s_lshr_b32 s1, s0, 31
	s_add_i32 s0, s0, s1
	s_lshl_b32 s0, s0, 1
	v_lshlrev_b32_e32 v1, 4, v0
	s_and_b32 s30, s0, -4
	v_cmp_gt_i32_e64 s[0:1], s7, v1
	v_mov_b32_e32 v6, 0
	v_mov_b32_e32 v7, 0
	;; [unrolled: 1-line block ×16, first 2 shown]
	s_and_saveexec_b64 s[8:9], s[0:1]
	s_cbranch_execz .LBB747_3
; %bb.2:
	s_load_dwordx2 s[14:15], s[4:5], 0x28
	s_load_dwordx2 s[26:27], s[4:5], 0x40
	s_and_b64 s[24:25], s[2:3], exec
	s_cselect_b32 s17, s17, s18
	s_mov_b32 s31, 0x20000
	s_waitcnt lgkmcnt(0)
	s_cselect_b32 s25, s15, s11
	s_cselect_b32 s24, s14, s10
	s_mul_hi_i32 s15, s17, s6
	s_mul_i32 s14, s17, s6
	s_lshl_b64 s[14:15], s[14:15], 1
	s_add_u32 s24, s24, s14
	s_addc_u32 s17, s25, s15
	s_and_b64 s[14:15], s[2:3], exec
	s_cselect_b32 s28, s26, s20
	s_cselect_b32 s14, s27, s21
	s_and_b32 s25, s17, 0xffff
	s_mov_b32 s26, s30
	s_mov_b32 s27, s31
	v_lshlrev_b32_e32 v18, 5, v0
	s_and_b32 s29, s14, 0xffff
	buffer_load_dwordx4 v[10:13], v18, s[24:27], 0 offen
	buffer_load_dwordx4 v[14:17], v18, s[24:27], 16 offen
	buffer_load_dwordx4 v[6:9], v18, s[28:31], 0 offen
	buffer_load_dwordx4 v[2:5], v18, s[28:31], 16 offen
.LBB747_3:
	s_or_b64 exec, exec, s[8:9]
	s_load_dwordx4 s[24:27], s[4:5], 0x7c
	s_and_b64 vcc, exec, s[22:23]
	s_cbranch_vccz .LBB747_7
; %bb.4:
	v_mov_b32_e32 v19, 0
	v_mov_b32_e32 v18, 0
	;; [unrolled: 1-line block ×16, first 2 shown]
	s_and_saveexec_b64 s[8:9], s[0:1]
	s_cbranch_execz .LBB747_6
; %bb.5:
	s_waitcnt vmcnt(3)
	v_cvt_f32_f16_sdwa v27, v10 dst_sel:DWORD dst_unused:UNUSED_PAD src0_sel:WORD_1
	v_cvt_f32_f16_e32 v26, v10
	v_cvt_f32_f16_sdwa v31, v11 dst_sel:DWORD dst_unused:UNUSED_PAD src0_sel:WORD_1
	v_cvt_f32_f16_e32 v30, v11
	;; [unrolled: 2-line block ×4, first 2 shown]
	s_waitcnt vmcnt(2)
	v_cvt_f32_f16_sdwa v21, v14 dst_sel:DWORD dst_unused:UNUSED_PAD src0_sel:WORD_1
	v_cvt_f32_f16_e32 v20, v14
	v_cvt_f32_f16_sdwa v25, v15 dst_sel:DWORD dst_unused:UNUSED_PAD src0_sel:WORD_1
	v_cvt_f32_f16_e32 v24, v15
	;; [unrolled: 2-line block ×4, first 2 shown]
.LBB747_6:
	s_or_b64 exec, exec, s[8:9]
	s_cbranch_execz .LBB747_8
	s_branch .LBB747_11
.LBB747_7:
                                        ; implicit-def: $vgpr19
                                        ; implicit-def: $vgpr23
                                        ; implicit-def: $vgpr25
                                        ; implicit-def: $vgpr21
                                        ; implicit-def: $vgpr33
                                        ; implicit-def: $vgpr29
                                        ; implicit-def: $vgpr31
                                        ; implicit-def: $vgpr27
.LBB747_8:
	v_mov_b32_e32 v19, 0
	v_mov_b32_e32 v18, 0
	;; [unrolled: 1-line block ×16, first 2 shown]
	s_and_saveexec_b64 s[8:9], s[0:1]
	s_cbranch_execz .LBB747_10
; %bb.9:
	s_load_dwordx2 s[14:15], s[4:5], 0x38
	s_mul_hi_i32 s29, s19, s6
	s_mul_i32 s28, s19, s6
	s_lshl_b64 s[28:29], s[28:29], 1
	s_mov_b32 s31, 0x20000
	s_waitcnt lgkmcnt(0)
	s_add_u32 s28, s14, s28
	s_addc_u32 s14, s15, s29
	s_and_b32 s29, s14, 0xffff
	v_lshlrev_b32_e32 v48, 5, v0
	buffer_load_dwordx4 v[18:21], v48, s[28:31], 16 offen
	buffer_load_dwordx4 v[22:25], v48, s[28:31], 0 offen
	s_waitcnt vmcnt(4)
	v_cvt_f32_f16_sdwa v27, v14 dst_sel:DWORD dst_unused:UNUSED_PAD src0_sel:WORD_1
	v_cvt_f32_f16_e32 v26, v14
	v_cvt_f32_f16_sdwa v29, v15 dst_sel:DWORD dst_unused:UNUSED_PAD src0_sel:WORD_1
	v_cvt_f32_f16_e32 v28, v15
	;; [unrolled: 2-line block ×8, first 2 shown]
	s_load_dwordx2 s[14:15], s[4:5], 0x20
	s_mul_hi_i32 s27, s26, s6
	s_mul_i32 s26, s26, s6
	s_lshl_b64 s[26:27], s[26:27], 1
	s_waitcnt lgkmcnt(0)
	s_add_u32 s28, s14, s26
	s_addc_u32 s14, s15, s27
	s_and_b32 s29, s14, 0xffff
	s_waitcnt vmcnt(1)
	v_cvt_f32_f16_e32 v12, v18
	v_cvt_f32_f16_sdwa v13, v18 dst_sel:DWORD dst_unused:UNUSED_PAD src0_sel:WORD_1
	v_cvt_f32_f16_e32 v18, v19
	v_cvt_f32_f16_sdwa v19, v19 dst_sel:DWORD dst_unused:UNUSED_PAD src0_sel:WORD_1
	;; [unrolled: 2-line block ×4, first 2 shown]
	s_waitcnt vmcnt(0)
	v_cvt_f32_f16_e32 v40, v22
	v_cvt_f32_f16_sdwa v41, v22 dst_sel:DWORD dst_unused:UNUSED_PAD src0_sel:WORD_1
	v_cvt_f32_f16_e32 v42, v23
	v_cvt_f32_f16_sdwa v43, v23 dst_sel:DWORD dst_unused:UNUSED_PAD src0_sel:WORD_1
	;; [unrolled: 2-line block ×4, first 2 shown]
	v_pk_add_f32 v[20:21], v[26:27], v[12:13]
	v_pk_add_f32 v[24:25], v[28:29], v[18:19]
	;; [unrolled: 1-line block ×8, first 2 shown]
	v_cvt_f16_f32_e32 v10, v27
	v_cvt_f16_f32_e32 v14, v26
	;; [unrolled: 1-line block ×16, first 2 shown]
	v_pack_b32_f16 v13, v17, v13
	v_pack_b32_f16 v12, v16, v12
	;; [unrolled: 1-line block ×8, first 2 shown]
	buffer_store_dwordx4 v[10:13], v48, s[28:31], 0 offen
	;;#ASMSTART
	s_nop 0
	;;#ASMEND
	buffer_store_dwordx4 v[14:17], v48, s[28:31], 16 offen
	;;#ASMSTART
	s_nop 0
	;;#ASMEND
.LBB747_10:
	s_or_b64 exec, exec, s[8:9]
.LBB747_11:
	s_waitcnt vmcnt(3)
	v_mul_f32_e32 v10, v27, v27
	v_fmac_f32_e32 v10, v26, v26
	v_fmac_f32_e32 v10, v30, v30
	;; [unrolled: 1-line block ×15, first 2 shown]
	v_and_b32_e32 v12, 63, v0
	v_cmp_eq_u32_e64 s[8:9], 63, v12
	v_mov_b32_dpp v11, v10 quad_perm:[1,0,3,2] row_mask:0xf bank_mask:0xf
	v_add_f32_e32 v10, v10, v11
	s_nop 1
	v_mov_b32_dpp v11, v10 quad_perm:[2,3,0,1] row_mask:0xf bank_mask:0xf
	v_add_f32_e32 v10, v10, v11
	s_nop 1
	v_mov_b32_dpp v11, v10 row_half_mirror row_mask:0xf bank_mask:0xf
	v_add_f32_e32 v10, v10, v11
	s_nop 1
	v_mov_b32_dpp v11, v10 row_mirror row_mask:0xf bank_mask:0xf
	v_add_f32_e32 v10, v10, v11
	s_nop 1
	v_mov_b32_dpp v11, v10 row_bcast:15 row_mask:0xf bank_mask:0xf
	v_add_f32_e32 v10, v10, v11
	s_nop 1
	v_mov_b32_dpp v11, v10 row_bcast:31 row_mask:0xf bank_mask:0xf
	s_and_saveexec_b64 s[14:15], s[8:9]
	s_cbranch_execz .LBB747_13
; %bb.12:
	v_add_f32_e32 v10, v10, v11
	v_lshrrev_b32_e32 v11, 4, v0
	v_and_b32_e32 v11, 60, v11
	ds_write_b32 v11, v10 offset:16
.LBB747_13:
	s_or_b64 exec, exec, s[14:15]
	v_and_b32_e32 v10, 3, v0
	v_lshlrev_b32_e32 v34, 2, v10
	s_waitcnt lgkmcnt(0)
	s_barrier
	ds_read_b32 v10, v34 offset:16
	s_load_dwordx2 s[14:15], s[4:5], 0x18
	s_waitcnt lgkmcnt(0)
	v_mov_b32_dpp v11, v10 quad_perm:[1,0,3,2] row_mask:0xf bank_mask:0xf
	v_add_f32_e32 v10, v10, v11
	s_nop 1
	v_mov_b32_dpp v11, v10 quad_perm:[2,3,0,1] row_mask:0xf bank_mask:0xf
	s_and_saveexec_b64 s[26:27], s[0:1]
	s_cbranch_execnz .LBB747_18
; %bb.14:
	s_or_b64 exec, exec, s[26:27]
	s_mov_b64 s[2:3], -1
	s_and_b64 vcc, exec, s[22:23]
	s_cbranch_vccnz .LBB747_19
.LBB747_15:
	s_andn2_b64 vcc, exec, s[2:3]
	s_cbranch_vccz .LBB747_22
.LBB747_16:
	s_cmp_lt_i32 s16, 1
	s_cbranch_scc0 .LBB747_25
.LBB747_17:
	s_endpgm
.LBB747_18:
	v_cvt_f32_u32_e32 v12, s7
	v_add_f32_e32 v10, v10, v11
	s_waitcnt vmcnt(2)
	v_mov_b32_e32 v14, s13
	v_mov_b32_e32 v15, s12
	v_div_scale_f32 v11, s[28:29], v12, v12, v10
	v_rcp_f32_e32 v13, v11
	v_cndmask_b32_e64 v14, v14, v15, s[2:3]
	s_mov_b32 s2, 0x800000
	v_fma_f32 v15, -v11, v13, 1.0
	v_fmac_f32_e32 v13, v15, v13
	v_div_scale_f32 v15, vcc, v10, v12, v10
	v_mul_f32_e32 v16, v15, v13
	v_fma_f32 v17, -v11, v16, v15
	v_fmac_f32_e32 v16, v17, v13
	v_fma_f32 v11, -v11, v16, v15
	v_div_fmas_f32 v11, v11, v13, v16
	v_div_fixup_f32 v10, v11, v12, v10
	v_add_f32_e32 v10, v14, v10
	v_mul_f32_e32 v11, 0x4b800000, v10
	v_cmp_gt_f32_e32 vcc, s2, v10
	v_cndmask_b32_e32 v10, v10, v11, vcc
	v_rsq_f32_e32 v10, v10
	v_mul_f32_e32 v11, 0x45800000, v10
	v_cndmask_b32_e32 v10, v10, v11, vcc
	v_mov_b32_e32 v11, v10
	;;#ASMSTART
	v_pk_mul_f32 v[12:13], v[26:27], v[10:11]
	;;#ASMEND
	s_waitcnt vmcnt(1)
	v_cvt_f32_f16_sdwa v27, v6 dst_sel:DWORD dst_unused:UNUSED_PAD src0_sel:WORD_1
	v_cvt_f32_f16_e32 v26, v6
	;;#ASMSTART
	v_pk_mul_f32 v[14:15], v[30:31], v[10:11]
	;;#ASMEND
	;;#ASMSTART
	v_pk_mul_f32 v[16:17], v[28:29], v[10:11]
	;;#ASMEND
	v_cvt_f32_f16_sdwa v29, v7 dst_sel:DWORD dst_unused:UNUSED_PAD src0_sel:WORD_1
	v_cvt_f32_f16_e32 v28, v7
	;;#ASMSTART
	v_pk_mul_f32 v[32:33], v[32:33], v[10:11]
	;;#ASMEND
	;;#ASMSTART
	v_pk_mul_f32 v[20:21], v[20:21], v[10:11]
	;;#ASMEND
	;; [unrolled: 3-line block ×5, first 2 shown]
	v_pk_add_f32 v[10:11], v[26:27], 1.0 op_sel_hi:[1,0]
	;;#ASMSTART
	v_pk_mul_f32 v[26:27], v[12:13], v[10:11]
	;;#ASMEND
	v_cvt_f32_f16_sdwa v13, v8 dst_sel:DWORD dst_unused:UNUSED_PAD src0_sel:WORD_1
	v_cvt_f32_f16_e32 v12, v8
	v_cvt_f32_f16_sdwa v19, v9 dst_sel:DWORD dst_unused:UNUSED_PAD src0_sel:WORD_1
	v_cvt_f32_f16_e32 v18, v9
	v_pk_add_f32 v[10:11], v[28:29], 1.0 op_sel_hi:[1,0]
	;;#ASMSTART
	v_pk_mul_f32 v[30:31], v[14:15], v[10:11]
	;;#ASMEND
	s_waitcnt vmcnt(0)
	v_cvt_f32_f16_sdwa v11, v2 dst_sel:DWORD dst_unused:UNUSED_PAD src0_sel:WORD_1
	v_cvt_f32_f16_e32 v10, v2
	v_pk_add_f32 v[8:9], v[12:13], 1.0 op_sel_hi:[1,0]
	;;#ASMSTART
	v_pk_mul_f32 v[28:29], v[16:17], v[8:9]
	;;#ASMEND
	v_pk_add_f32 v[8:9], v[18:19], 1.0 op_sel_hi:[1,0]
	v_cvt_f32_f16_sdwa v13, v3 dst_sel:DWORD dst_unused:UNUSED_PAD src0_sel:WORD_1
	v_cvt_f32_f16_e32 v12, v3
	;;#ASMSTART
	v_pk_mul_f32 v[32:33], v[32:33], v[8:9]
	;;#ASMEND
	v_cvt_f32_f16_sdwa v9, v4 dst_sel:DWORD dst_unused:UNUSED_PAD src0_sel:WORD_1
	v_cvt_f32_f16_e32 v8, v4
	v_pk_add_f32 v[2:3], v[10:11], 1.0 op_sel_hi:[1,0]
	v_cvt_f32_f16_sdwa v11, v5 dst_sel:DWORD dst_unused:UNUSED_PAD src0_sel:WORD_1
	v_cvt_f32_f16_e32 v10, v5
	;;#ASMSTART
	v_pk_mul_f32 v[20:21], v[20:21], v[2:3]
	;;#ASMEND
	v_pk_add_f32 v[2:3], v[12:13], 1.0 op_sel_hi:[1,0]
	;;#ASMSTART
	v_pk_mul_f32 v[24:25], v[24:25], v[2:3]
	;;#ASMEND
	v_pk_add_f32 v[2:3], v[8:9], 1.0 op_sel_hi:[1,0]
	;; [unrolled: 4-line block ×3, first 2 shown]
	;;#ASMSTART
	v_pk_mul_f32 v[18:19], v[6:7], v[2:3]
	;;#ASMEND
	s_or_b64 exec, exec, s[26:27]
	s_mov_b64 s[2:3], -1
	s_and_b64 vcc, exec, s[22:23]
	s_cbranch_vccz .LBB747_15
.LBB747_19:
	s_and_saveexec_b64 s[2:3], s[0:1]
	s_cbranch_execz .LBB747_21
; %bb.20:
	s_mul_hi_i32 s23, s25, s6
	s_mul_i32 s22, s25, s6
	s_waitcnt vmcnt(0)
	v_cvt_f16_f32_e32 v2, v26
	v_cvt_f16_f32_e32 v3, v30
	;; [unrolled: 1-line block ×8, first 2 shown]
	s_lshl_b64 s[22:23], s[22:23], 1
	s_add_u32 s28, s14, s22
	s_addc_u32 s7, s15, s23
	s_and_b32 s29, s7, 0xffff
	s_mov_b32 s31, 0x20000
	v_pack_b32_f16 v5, v5, v6
	v_pack_b32_f16 v4, v4, v7
	;; [unrolled: 1-line block ×4, first 2 shown]
	v_lshlrev_b32_e32 v6, 5, v0
	buffer_store_dwordx4 v[2:5], v6, s[28:31], 0 offen
	v_cvt_f16_f32_e32 v7, v19
	v_cvt_f16_f32_e32 v2, v20
	;; [unrolled: 1-line block ×8, first 2 shown]
	v_pack_b32_f16 v5, v5, v7
	v_pack_b32_f16 v4, v4, v8
	;; [unrolled: 1-line block ×4, first 2 shown]
	;;#ASMSTART
	s_nop 0
	;;#ASMEND
	buffer_store_dwordx4 v[2:5], v6, s[28:31], 16 offen
	;;#ASMSTART
	s_nop 0
	;;#ASMEND
.LBB747_21:
	s_or_b64 exec, exec, s[2:3]
	s_cbranch_execnz .LBB747_16
.LBB747_22:
	s_and_saveexec_b64 s[2:3], s[0:1]
	s_cbranch_execz .LBB747_24
; %bb.23:
	s_load_dwordx2 s[0:1], s[4:5], 0x10
	s_mul_hi_i32 s23, s24, s6
	s_mul_i32 s22, s24, s6
	s_waitcnt vmcnt(0)
	v_cvt_f16_f32_e32 v2, v26
	v_cvt_f16_f32_e32 v3, v30
	;; [unrolled: 1-line block ×8, first 2 shown]
	s_lshl_b64 s[22:23], s[22:23], 1
	s_waitcnt lgkmcnt(0)
	s_add_u32 s28, s0, s22
	s_addc_u32 s0, s1, s23
	s_mov_b32 s31, 0x20000
	s_and_b32 s29, s0, 0xffff
	v_pack_b32_f16 v5, v5, v6
	v_pack_b32_f16 v4, v4, v7
	;; [unrolled: 1-line block ×4, first 2 shown]
	v_lshlrev_b32_e32 v6, 5, v0
	buffer_store_dwordx4 v[2:5], v6, s[28:31], 0 offen
	v_cvt_f16_f32_e32 v7, v19
	v_cvt_f16_f32_e32 v2, v20
	v_cvt_f16_f32_e32 v3, v24
	v_cvt_f16_f32_e32 v4, v22
	v_cvt_f16_f32_e32 v5, v18
	v_cvt_f16_f32_e32 v8, v23
	v_cvt_f16_f32_e32 v9, v25
	v_cvt_f16_f32_e32 v10, v21
	v_pack_b32_f16 v5, v5, v7
	v_pack_b32_f16 v4, v4, v8
	;; [unrolled: 1-line block ×4, first 2 shown]
	;;#ASMSTART
	s_nop 0
	;;#ASMEND
	buffer_store_dwordx4 v[2:5], v6, s[28:31], 16 offen
	;;#ASMSTART
	s_nop 0
	;;#ASMEND
.LBB747_24:
	s_or_b64 exec, exec, s[2:3]
	s_cmp_lt_i32 s16, 1
	s_cbranch_scc1 .LBB747_17
.LBB747_25:
	s_load_dword s0, s[4:5], 0x94
	s_waitcnt lgkmcnt(0)
	s_cmp_lg_u32 s0, 1
	s_cbranch_scc1 .LBB747_17
; %bb.26:
	s_lshl_b32 s0, s16, 1
	s_add_i32 s0, s0, 2
	v_cmp_gt_u32_e32 vcc, s16, v1
	s_and_b32 s22, s0, -4
	v_mov_b32_e32 v18, 0
	v_lshlrev_b32_e32 v1, 5, v0
	s_waitcnt vmcnt(2)
	v_mov_b32_e32 v14, 0
	v_mov_b32_e32 v15, 0
	v_mov_b32_e32 v16, 0
	v_mov_b32_e32 v17, 0
	v_mov_b32_e32 v10, 0
	v_mov_b32_e32 v11, 0
	v_mov_b32_e32 v12, 0
	v_mov_b32_e32 v13, 0
	s_waitcnt vmcnt(1)
	v_mov_b32_e32 v6, 0
	v_mov_b32_e32 v7, 0
	;; [unrolled: 1-line block ×4, first 2 shown]
	s_waitcnt vmcnt(0)
	v_mov_b32_e32 v2, 0
	v_mov_b32_e32 v3, 0
	;; [unrolled: 1-line block ×4, first 2 shown]
	s_barrier
	s_and_saveexec_b64 s[0:1], vcc
	s_cbranch_execz .LBB747_28
; %bb.27:
	s_mul_hi_i32 s3, s18, s6
	s_mul_i32 s2, s18, s6
	s_and_b32 s21, s21, 0xffff
	s_lshl_b64 s[2:3], s[2:3], 1
	s_add_u32 s28, s10, s2
	s_mov_b32 s23, 0x20000
	s_addc_u32 s2, s11, s3
	s_and_b32 s29, s2, 0xffff
	s_mov_b32 s30, s22
	s_mov_b32 s31, s23
	buffer_load_dwordx4 v[14:17], v1, s[28:31], 0 offen
	buffer_load_dwordx4 v[10:13], v1, s[28:31], 16 offen
	;; [unrolled: 1-line block ×4, first 2 shown]
.LBB747_28:
	s_or_b64 exec, exec, s[0:1]
	v_mov_b32_e32 v19, 0
	v_mov_b32_e32 v32, 0
	v_mov_b32_e32 v33, 0
	v_mov_b32_e32 v30, 0
	v_mov_b32_e32 v31, 0
	v_mov_b32_e32 v28, 0
	v_mov_b32_e32 v29, 0
	v_mov_b32_e32 v26, 0
	v_mov_b32_e32 v27, 0
	v_mov_b32_e32 v24, 0
	v_mov_b32_e32 v25, 0
	v_mov_b32_e32 v22, 0
	v_mov_b32_e32 v23, 0
	v_mov_b32_e32 v20, 0
	v_mov_b32_e32 v21, 0
	s_and_saveexec_b64 s[0:1], vcc
	s_cbranch_execz .LBB747_30
; %bb.29:
	s_waitcnt vmcnt(3)
	v_cvt_f32_f16_sdwa v19, v14 dst_sel:DWORD dst_unused:UNUSED_PAD src0_sel:WORD_1
	v_cvt_f32_f16_e32 v18, v14
	v_cvt_f32_f16_sdwa v33, v15 dst_sel:DWORD dst_unused:UNUSED_PAD src0_sel:WORD_1
	v_cvt_f32_f16_e32 v32, v15
	;; [unrolled: 2-line block ×4, first 2 shown]
	s_waitcnt vmcnt(2)
	v_cvt_f32_f16_sdwa v27, v10 dst_sel:DWORD dst_unused:UNUSED_PAD src0_sel:WORD_1
	v_cvt_f32_f16_e32 v26, v10
	v_cvt_f32_f16_sdwa v25, v11 dst_sel:DWORD dst_unused:UNUSED_PAD src0_sel:WORD_1
	v_cvt_f32_f16_e32 v24, v11
	v_cvt_f32_f16_sdwa v23, v12 dst_sel:DWORD dst_unused:UNUSED_PAD src0_sel:WORD_1
	v_cvt_f32_f16_e32 v22, v12
	v_cvt_f32_f16_sdwa v21, v13 dst_sel:DWORD dst_unused:UNUSED_PAD src0_sel:WORD_1
	v_cvt_f32_f16_e32 v20, v13
.LBB747_30:
	s_or_b64 exec, exec, s[0:1]
	s_waitcnt vmcnt(2)
	v_mul_f32_e32 v10, v19, v19
	v_fmac_f32_e32 v10, v18, v18
	v_fmac_f32_e32 v10, v32, v32
	;; [unrolled: 1-line block ×15, first 2 shown]
	s_nop 1
	v_mov_b32_dpp v11, v10 quad_perm:[1,0,3,2] row_mask:0xf bank_mask:0xf
	v_add_f32_e32 v10, v10, v11
	s_nop 1
	v_mov_b32_dpp v11, v10 quad_perm:[2,3,0,1] row_mask:0xf bank_mask:0xf
	v_add_f32_e32 v10, v10, v11
	s_nop 1
	v_mov_b32_dpp v11, v10 row_half_mirror row_mask:0xf bank_mask:0xf
	v_add_f32_e32 v10, v10, v11
	s_nop 1
	v_mov_b32_dpp v11, v10 row_mirror row_mask:0xf bank_mask:0xf
	v_add_f32_e32 v10, v10, v11
	s_nop 1
	v_mov_b32_dpp v11, v10 row_bcast:15 row_mask:0xf bank_mask:0xf
	v_add_f32_e32 v10, v10, v11
	s_nop 1
	v_mov_b32_dpp v11, v10 row_bcast:31 row_mask:0xf bank_mask:0xf
	s_and_saveexec_b64 s[0:1], s[8:9]
	s_cbranch_execz .LBB747_32
; %bb.31:
	v_lshrrev_b32_e32 v0, 4, v0
	v_add_f32_e32 v10, v10, v11
	v_and_b32_e32 v0, 60, v0
	ds_write_b32 v0, v10
.LBB747_32:
	s_or_b64 exec, exec, s[0:1]
	s_waitcnt lgkmcnt(0)
	s_barrier
	ds_read_b32 v0, v34
	s_waitcnt lgkmcnt(0)
	s_nop 0
	v_mov_b32_dpp v10, v0 quad_perm:[1,0,3,2] row_mask:0xf bank_mask:0xf
	v_add_f32_e32 v0, v0, v10
	s_nop 1
	v_mov_b32_dpp v10, v0 quad_perm:[2,3,0,1] row_mask:0xf bank_mask:0xf
	s_and_saveexec_b64 s[0:1], vcc
	s_cbranch_execz .LBB747_17
; %bb.33:
	v_cvt_f32_u32_e32 v11, s16
	v_add_f32_e32 v0, v0, v10
	s_mov_b32 s23, 0x20000
	v_div_scale_f32 v10, s[0:1], v11, v11, v0
	v_rcp_f32_e32 v12, v10
	v_div_scale_f32 v13, vcc, v0, v11, v0
	s_mov_b32 s0, 0x800000
	v_fma_f32 v14, -v10, v12, 1.0
	v_fmac_f32_e32 v12, v14, v12
	v_mul_f32_e32 v14, v13, v12
	v_fma_f32 v15, -v10, v14, v13
	v_fmac_f32_e32 v14, v15, v12
	v_fma_f32 v10, -v10, v14, v13
	v_div_fmas_f32 v10, v10, v12, v14
	v_div_fixup_f32 v0, v10, v11, v0
	v_add_f32_e32 v0, s13, v0
	v_mul_f32_e32 v10, 0x4b800000, v0
	v_cmp_gt_f32_e32 vcc, s0, v0
	v_cndmask_b32_e32 v0, v0, v10, vcc
	v_rsq_f32_e32 v0, v0
	s_mul_hi_i32 s1, s25, s6
	s_mul_i32 s0, s25, s6
	s_lshl_b64 s[0:1], s[0:1], 1
	v_mul_f32_e32 v10, 0x45800000, v0
	v_cndmask_b32_e32 v10, v0, v10, vcc
	v_mov_b32_e32 v11, v10
	;;#ASMSTART
	v_pk_mul_f32 v[12:13], v[18:19], v[10:11]
	;;#ASMEND
	;;#ASMSTART
	v_pk_mul_f32 v[14:15], v[32:33], v[10:11]
	;;#ASMEND
	;; [unrolled: 3-line block ×4, first 2 shown]
	s_waitcnt vmcnt(1)
	v_cvt_f32_f16_sdwa v29, v6 dst_sel:DWORD dst_unused:UNUSED_PAD src0_sel:WORD_1
	v_cvt_f32_f16_e32 v28, v6
	v_cvt_f32_f16_sdwa v31, v7 dst_sel:DWORD dst_unused:UNUSED_PAD src0_sel:WORD_1
	v_cvt_f32_f16_e32 v30, v7
	;;#ASMSTART
	v_pk_mul_f32 v[26:27], v[26:27], v[10:11]
	;;#ASMEND
	;;#ASMSTART
	v_pk_mul_f32 v[24:25], v[24:25], v[10:11]
	;;#ASMEND
	;; [unrolled: 3-line block ×4, first 2 shown]
	v_cvt_f32_f16_sdwa v21, v8 dst_sel:DWORD dst_unused:UNUSED_PAD src0_sel:WORD_1
	v_cvt_f32_f16_e32 v20, v8
	v_pk_add_f32 v[10:11], v[28:29], 1.0 op_sel_hi:[1,0]
	;;#ASMSTART
	v_pk_mul_f32 v[10:11], v[12:13], v[10:11]
	;;#ASMEND
	v_pk_add_f32 v[12:13], v[30:31], 1.0 op_sel_hi:[1,0]
	v_cvt_f32_f16_sdwa v29, v9 dst_sel:DWORD dst_unused:UNUSED_PAD src0_sel:WORD_1
	v_cvt_f32_f16_e32 v28, v9
	;;#ASMSTART
	v_pk_mul_f32 v[8:9], v[14:15], v[12:13]
	;;#ASMEND
	v_pk_add_f32 v[12:13], v[20:21], 1.0 op_sel_hi:[1,0]
	;;#ASMSTART
	v_pk_mul_f32 v[12:13], v[16:17], v[12:13]
	;;#ASMEND
	s_waitcnt vmcnt(0)
	v_cvt_f32_f16_sdwa v17, v2 dst_sel:DWORD dst_unused:UNUSED_PAD src0_sel:WORD_1
	v_cvt_f32_f16_e32 v16, v2
	v_cvt_f32_f16_sdwa v21, v3 dst_sel:DWORD dst_unused:UNUSED_PAD src0_sel:WORD_1
	v_cvt_f32_f16_e32 v20, v3
	v_pk_add_f32 v[14:15], v[28:29], 1.0 op_sel_hi:[1,0]
	;;#ASMSTART
	v_pk_mul_f32 v[2:3], v[18:19], v[14:15]
	;;#ASMEND
	v_cvt_f32_f16_sdwa v19, v4 dst_sel:DWORD dst_unused:UNUSED_PAD src0_sel:WORD_1
	v_cvt_f32_f16_e32 v18, v4
	v_pk_add_f32 v[14:15], v[16:17], 1.0 op_sel_hi:[1,0]
	v_pk_add_f32 v[16:17], v[20:21], 1.0 op_sel_hi:[1,0]
	v_cvt_f32_f16_sdwa v21, v5 dst_sel:DWORD dst_unused:UNUSED_PAD src0_sel:WORD_1
	v_cvt_f32_f16_e32 v20, v5
	v_pk_add_f32 v[4:5], v[18:19], 1.0 op_sel_hi:[1,0]
	;;#ASMSTART
	v_pk_mul_f32 v[14:15], v[26:27], v[14:15]
	;;#ASMEND
	;;#ASMSTART
	v_pk_mul_f32 v[16:17], v[24:25], v[16:17]
	;;#ASMEND
	;; [unrolled: 3-line block ×3, first 2 shown]
	v_pk_add_f32 v[4:5], v[20:21], 1.0 op_sel_hi:[1,0]
	;;#ASMSTART
	v_pk_mul_f32 v[6:7], v[6:7], v[4:5]
	;;#ASMEND
	v_cvt_f16_f32_e32 v0, v10
	v_cvt_f16_f32_e32 v4, v11
	;; [unrolled: 1-line block ×8, first 2 shown]
	s_add_u32 s20, s14, s0
	s_addc_u32 s0, s15, s1
	s_and_b32 s21, s0, 0xffff
	v_pack_b32_f16 v2, v0, v4
	v_pack_b32_f16 v3, v5, v8
	v_pack_b32_f16 v4, v9, v10
	v_pack_b32_f16 v5, v11, v12
	buffer_store_dwordx4 v[2:5], v1, s[20:23], 0 offen
	v_cvt_f16_f32_e32 v0, v14
	v_cvt_f16_f32_e32 v2, v15
	;; [unrolled: 1-line block ×8, first 2 shown]
	v_pack_b32_f16 v2, v0, v2
	v_pack_b32_f16 v3, v3, v4
	;; [unrolled: 1-line block ×4, first 2 shown]
	;;#ASMSTART
	s_nop 0
	;;#ASMEND
	buffer_store_dwordx4 v[2:5], v1, s[20:23], 16 offen
	;;#ASMSTART
	s_nop 0
	;;#ASMEND
	s_endpgm
	.section	.rodata,"a",@progbits
	.p2align	6, 0x0
	.amdhsa_kernel _ZN5aiter35fused_qk_rmsnorm_group_quant_kernelIDF16_N4opus5fp4_tELi256ELi16ELi8ELb1ELb1ELb1ELb1ELb0ELb0EEEvPT0_PvPT_S7_S7_PKS6_S9_S9_S9_S9_ffiiiiiiiiiiiii
		.amdhsa_group_segment_fixed_size 32
		.amdhsa_private_segment_fixed_size 0
		.amdhsa_kernarg_size 400
		.amdhsa_user_sgpr_count 6
		.amdhsa_user_sgpr_private_segment_buffer 1
		.amdhsa_user_sgpr_dispatch_ptr 0
		.amdhsa_user_sgpr_queue_ptr 0
		.amdhsa_user_sgpr_kernarg_segment_ptr 1
		.amdhsa_user_sgpr_dispatch_id 0
		.amdhsa_user_sgpr_flat_scratch_init 0
		.amdhsa_user_sgpr_kernarg_preload_length 0
		.amdhsa_user_sgpr_kernarg_preload_offset 0
		.amdhsa_user_sgpr_private_segment_size 0
		.amdhsa_uses_dynamic_stack 0
		.amdhsa_system_sgpr_private_segment_wavefront_offset 0
		.amdhsa_system_sgpr_workgroup_id_x 1
		.amdhsa_system_sgpr_workgroup_id_y 1
		.amdhsa_system_sgpr_workgroup_id_z 0
		.amdhsa_system_sgpr_workgroup_info 0
		.amdhsa_system_vgpr_workitem_id 0
		.amdhsa_next_free_vgpr 49
		.amdhsa_next_free_sgpr 32
		.amdhsa_accum_offset 52
		.amdhsa_reserve_vcc 1
		.amdhsa_reserve_flat_scratch 0
		.amdhsa_float_round_mode_32 0
		.amdhsa_float_round_mode_16_64 0
		.amdhsa_float_denorm_mode_32 3
		.amdhsa_float_denorm_mode_16_64 3
		.amdhsa_dx10_clamp 1
		.amdhsa_ieee_mode 1
		.amdhsa_fp16_overflow 0
		.amdhsa_tg_split 0
		.amdhsa_exception_fp_ieee_invalid_op 0
		.amdhsa_exception_fp_denorm_src 0
		.amdhsa_exception_fp_ieee_div_zero 0
		.amdhsa_exception_fp_ieee_overflow 0
		.amdhsa_exception_fp_ieee_underflow 0
		.amdhsa_exception_fp_ieee_inexact 0
		.amdhsa_exception_int_div_zero 0
	.end_amdhsa_kernel
	.section	.text._ZN5aiter35fused_qk_rmsnorm_group_quant_kernelIDF16_N4opus5fp4_tELi256ELi16ELi8ELb1ELb1ELb1ELb1ELb0ELb0EEEvPT0_PvPT_S7_S7_PKS6_S9_S9_S9_S9_ffiiiiiiiiiiiii,"axG",@progbits,_ZN5aiter35fused_qk_rmsnorm_group_quant_kernelIDF16_N4opus5fp4_tELi256ELi16ELi8ELb1ELb1ELb1ELb1ELb0ELb0EEEvPT0_PvPT_S7_S7_PKS6_S9_S9_S9_S9_ffiiiiiiiiiiiii,comdat
.Lfunc_end747:
	.size	_ZN5aiter35fused_qk_rmsnorm_group_quant_kernelIDF16_N4opus5fp4_tELi256ELi16ELi8ELb1ELb1ELb1ELb1ELb0ELb0EEEvPT0_PvPT_S7_S7_PKS6_S9_S9_S9_S9_ffiiiiiiiiiiiii, .Lfunc_end747-_ZN5aiter35fused_qk_rmsnorm_group_quant_kernelIDF16_N4opus5fp4_tELi256ELi16ELi8ELb1ELb1ELb1ELb1ELb0ELb0EEEvPT0_PvPT_S7_S7_PKS6_S9_S9_S9_S9_ffiiiiiiiiiiiii
                                        ; -- End function
	.section	.AMDGPU.csdata,"",@progbits
; Kernel info:
; codeLenInByte = 3608
; NumSgprs: 36
; NumVgprs: 49
; NumAgprs: 0
; TotalNumVgprs: 49
; ScratchSize: 0
; MemoryBound: 0
; FloatMode: 240
; IeeeMode: 1
; LDSByteSize: 32 bytes/workgroup (compile time only)
; SGPRBlocks: 4
; VGPRBlocks: 6
; NumSGPRsForWavesPerEU: 36
; NumVGPRsForWavesPerEU: 49
; AccumOffset: 52
; Occupancy: 8
; WaveLimiterHint : 0
; COMPUTE_PGM_RSRC2:SCRATCH_EN: 0
; COMPUTE_PGM_RSRC2:USER_SGPR: 6
; COMPUTE_PGM_RSRC2:TRAP_HANDLER: 0
; COMPUTE_PGM_RSRC2:TGID_X_EN: 1
; COMPUTE_PGM_RSRC2:TGID_Y_EN: 1
; COMPUTE_PGM_RSRC2:TGID_Z_EN: 0
; COMPUTE_PGM_RSRC2:TIDIG_COMP_CNT: 0
; COMPUTE_PGM_RSRC3_GFX90A:ACCUM_OFFSET: 12
; COMPUTE_PGM_RSRC3_GFX90A:TG_SPLIT: 0
	.section	.text._ZN5aiter35fused_qk_rmsnorm_group_quant_kernelItN4opus5fp4_tELi256ELi16ELi8ELb1ELb1ELb1ELb1ELb0ELb0EEEvPT0_PvPT_S7_S7_PKS6_S9_S9_S9_S9_ffiiiiiiiiiiiii,"axG",@progbits,_ZN5aiter35fused_qk_rmsnorm_group_quant_kernelItN4opus5fp4_tELi256ELi16ELi8ELb1ELb1ELb1ELb1ELb0ELb0EEEvPT0_PvPT_S7_S7_PKS6_S9_S9_S9_S9_ffiiiiiiiiiiiii,comdat
	.protected	_ZN5aiter35fused_qk_rmsnorm_group_quant_kernelItN4opus5fp4_tELi256ELi16ELi8ELb1ELb1ELb1ELb1ELb0ELb0EEEvPT0_PvPT_S7_S7_PKS6_S9_S9_S9_S9_ffiiiiiiiiiiiii ; -- Begin function _ZN5aiter35fused_qk_rmsnorm_group_quant_kernelItN4opus5fp4_tELi256ELi16ELi8ELb1ELb1ELb1ELb1ELb0ELb0EEEvPT0_PvPT_S7_S7_PKS6_S9_S9_S9_S9_ffiiiiiiiiiiiii
	.globl	_ZN5aiter35fused_qk_rmsnorm_group_quant_kernelItN4opus5fp4_tELi256ELi16ELi8ELb1ELb1ELb1ELb1ELb0ELb0EEEvPT0_PvPT_S7_S7_PKS6_S9_S9_S9_S9_ffiiiiiiiiiiiii
	.p2align	8
	.type	_ZN5aiter35fused_qk_rmsnorm_group_quant_kernelItN4opus5fp4_tELi256ELi16ELi8ELb1ELb1ELb1ELb1ELb0ELb0EEEvPT0_PvPT_S7_S7_PKS6_S9_S9_S9_S9_ffiiiiiiiiiiiii,@function
_ZN5aiter35fused_qk_rmsnorm_group_quant_kernelItN4opus5fp4_tELi256ELi16ELi8ELb1ELb1ELb1ELb1ELb0ELb0EEEvPT0_PvPT_S7_S7_PKS6_S9_S9_S9_S9_ffiiiiiiiiiiiii: ; @_ZN5aiter35fused_qk_rmsnorm_group_quant_kernelItN4opus5fp4_tELi256ELi16ELi8ELb1ELb1ELb1ELb1ELb0ELb0EEEvPT0_PvPT_S7_S7_PKS6_S9_S9_S9_S9_ffiiiiiiiiiiiii
; %bb.0:
	s_load_dwordx8 s[12:19], s[4:5], 0x50
	s_waitcnt lgkmcnt(0)
	s_cmp_ge_i32 s6, s14
	s_cbranch_scc1 .LBB748_17
; %bb.1:
	s_cmp_lg_u32 s7, 0
	s_cselect_b64 s[22:23], -1, 0
	s_cmp_eq_u32 s7, 0
	s_cselect_b64 s[2:3], -1, 0
	s_and_b64 s[0:1], s[2:3], exec
	s_cselect_b32 s7, s15, s16
	s_load_dwordx2 s[10:11], s[4:5], 0x30
	s_load_dwordx2 s[20:21], s[4:5], 0x48
	s_add_i32 s0, s7, 1
	s_lshr_b32 s1, s0, 31
	s_add_i32 s0, s0, s1
	s_lshl_b32 s0, s0, 1
	v_lshlrev_b32_e32 v1, 4, v0
	s_and_b32 s30, s0, -4
	v_cmp_gt_i32_e64 s[0:1], s7, v1
	v_mov_b32_e32 v62, 0
	v_mov_b32_e32 v63, 0
	;; [unrolled: 1-line block ×16, first 2 shown]
	s_and_saveexec_b64 s[8:9], s[0:1]
	s_cbranch_execz .LBB748_3
; %bb.2:
	s_load_dwordx2 s[14:15], s[4:5], 0x28
	s_load_dwordx2 s[26:27], s[4:5], 0x40
	s_and_b64 s[24:25], s[2:3], exec
	s_cselect_b32 s17, s17, s18
	s_mov_b32 s31, 0x20000
	s_waitcnt lgkmcnt(0)
	s_cselect_b32 s25, s15, s11
	s_cselect_b32 s24, s14, s10
	s_mul_hi_i32 s15, s17, s6
	s_mul_i32 s14, s17, s6
	s_lshl_b64 s[14:15], s[14:15], 1
	s_add_u32 s24, s24, s14
	s_addc_u32 s17, s25, s15
	s_and_b64 s[14:15], s[2:3], exec
	s_cselect_b32 s28, s26, s20
	s_cselect_b32 s14, s27, s21
	s_and_b32 s25, s17, 0xffff
	s_mov_b32 s26, s30
	s_mov_b32 s27, s31
	v_lshlrev_b32_e32 v2, 5, v0
	s_and_b32 s29, s14, 0xffff
	buffer_load_dwordx4 v[66:69], v2, s[24:27], 0 offen
	buffer_load_dwordx4 v[70:73], v2, s[24:27], 16 offen
	;; [unrolled: 1-line block ×4, first 2 shown]
.LBB748_3:
	s_or_b64 exec, exec, s[8:9]
	s_load_dwordx4 s[24:27], s[4:5], 0x7c
	s_and_b64 vcc, exec, s[22:23]
	s_cbranch_vccz .LBB748_7
; %bb.4:
	v_mov_b32_e32 v75, 0
	v_mov_b32_e32 v74, 0
	;; [unrolled: 1-line block ×16, first 2 shown]
	s_and_saveexec_b64 s[8:9], s[0:1]
	s_cbranch_execz .LBB748_6
; %bb.5:
	s_waitcnt vmcnt(3)
	v_cvt_f32_u32_sdwa v2, v66 dst_sel:DWORD dst_unused:UNUSED_PAD src0_sel:WORD_0
	v_cvt_f32_u32_sdwa v3, v66 dst_sel:DWORD dst_unused:UNUSED_PAD src0_sel:WORD_1
	v_cvt_f32_u32_sdwa v6, v67 dst_sel:DWORD dst_unused:UNUSED_PAD src0_sel:WORD_0
	v_cvt_f32_u32_sdwa v7, v67 dst_sel:DWORD dst_unused:UNUSED_PAD src0_sel:WORD_1
	;; [unrolled: 2-line block ×4, first 2 shown]
	s_waitcnt vmcnt(2)
	v_cvt_f32_u32_sdwa v50, v70 dst_sel:DWORD dst_unused:UNUSED_PAD src0_sel:WORD_0
	v_cvt_f32_u32_sdwa v51, v70 dst_sel:DWORD dst_unused:UNUSED_PAD src0_sel:WORD_1
	v_cvt_f32_u32_sdwa v24, v71 dst_sel:DWORD dst_unused:UNUSED_PAD src0_sel:WORD_0
	v_cvt_f32_u32_sdwa v25, v71 dst_sel:DWORD dst_unused:UNUSED_PAD src0_sel:WORD_1
	;; [unrolled: 2-line block ×4, first 2 shown]
.LBB748_6:
	s_or_b64 exec, exec, s[8:9]
	s_cbranch_execz .LBB748_8
	s_branch .LBB748_11
.LBB748_7:
                                        ; implicit-def: $vgpr2_vgpr3_vgpr4_vgpr5_vgpr6_vgpr7_vgpr8_vgpr9_vgpr10_vgpr11_vgpr12_vgpr13_vgpr14_vgpr15_vgpr16_vgpr17
                                        ; implicit-def: $vgpr36_vgpr37_vgpr38_vgpr39_vgpr40_vgpr41_vgpr42_vgpr43_vgpr44_vgpr45_vgpr46_vgpr47_vgpr48_vgpr49_vgpr50_vgpr51
                                        ; implicit-def: $vgpr4_vgpr5_vgpr6_vgpr7_vgpr8_vgpr9_vgpr10_vgpr11_vgpr12_vgpr13_vgpr14_vgpr15_vgpr16_vgpr17_vgpr18_vgpr19
                                        ; implicit-def: $vgpr24_vgpr25_vgpr26_vgpr27_vgpr28_vgpr29_vgpr30_vgpr31_vgpr32_vgpr33_vgpr34_vgpr35_vgpr36_vgpr37_vgpr38_vgpr39
                                        ; implicit-def: $vgpr75
                                        ; implicit-def: $vgpr42_vgpr43_vgpr44_vgpr45_vgpr46_vgpr47_vgpr48_vgpr49_vgpr50_vgpr51_vgpr52_vgpr53_vgpr54_vgpr55_vgpr56_vgpr57
                                        ; implicit-def: $vgpr14_vgpr15_vgpr16_vgpr17_vgpr18_vgpr19_vgpr20_vgpr21_vgpr22_vgpr23_vgpr24_vgpr25_vgpr26_vgpr27_vgpr28_vgpr29
                                        ; implicit-def: $vgpr8_vgpr9_vgpr10_vgpr11_vgpr12_vgpr13_vgpr14_vgpr15_vgpr16_vgpr17_vgpr18_vgpr19_vgpr20_vgpr21_vgpr22_vgpr23
.LBB748_8:
	v_mov_b32_e32 v75, 0
	v_mov_b32_e32 v74, 0
	;; [unrolled: 1-line block ×16, first 2 shown]
	s_and_saveexec_b64 s[8:9], s[0:1]
	s_cbranch_execz .LBB748_10
; %bb.9:
	s_load_dwordx2 s[14:15], s[4:5], 0x38
	s_mul_hi_i32 s29, s19, s6
	s_mul_i32 s28, s19, s6
	s_lshl_b64 s[28:29], s[28:29], 1
	s_mov_b32 s31, 0x20000
	s_waitcnt lgkmcnt(0)
	s_add_u32 s28, s14, s28
	s_addc_u32 s14, s15, s29
	s_and_b32 s29, s14, 0xffff
	v_lshlrev_b32_e32 v38, 5, v0
	buffer_load_dwordx4 v[6:9], v38, s[28:31], 16 offen
	buffer_load_dwordx4 v[10:13], v38, s[28:31], 0 offen
	s_load_dwordx2 s[14:15], s[4:5], 0x20
	s_waitcnt vmcnt(5)
	v_cvt_f32_u32_sdwa v3, v66 dst_sel:DWORD dst_unused:UNUSED_PAD src0_sel:WORD_1
	v_cvt_f32_u32_sdwa v2, v66 dst_sel:DWORD dst_unused:UNUSED_PAD src0_sel:WORD_0
	v_cvt_f32_u32_sdwa v21, v67 dst_sel:DWORD dst_unused:UNUSED_PAD src0_sel:WORD_1
	v_cvt_f32_u32_sdwa v20, v67 dst_sel:DWORD dst_unused:UNUSED_PAD src0_sel:WORD_0
	;; [unrolled: 2-line block ×4, first 2 shown]
	s_waitcnt vmcnt(4)
	v_cvt_f32_u32_sdwa v5, v70 dst_sel:DWORD dst_unused:UNUSED_PAD src0_sel:WORD_1
	v_cvt_f32_u32_sdwa v4, v70 dst_sel:DWORD dst_unused:UNUSED_PAD src0_sel:WORD_0
	v_cvt_f32_u32_sdwa v15, v71 dst_sel:DWORD dst_unused:UNUSED_PAD src0_sel:WORD_1
	v_cvt_f32_u32_sdwa v14, v71 dst_sel:DWORD dst_unused:UNUSED_PAD src0_sel:WORD_0
	v_cvt_f32_u32_sdwa v17, v72 dst_sel:DWORD dst_unused:UNUSED_PAD src0_sel:WORD_1
	v_cvt_f32_u32_sdwa v16, v72 dst_sel:DWORD dst_unused:UNUSED_PAD src0_sel:WORD_0
	v_cvt_f32_u32_sdwa v18, v73 dst_sel:DWORD dst_unused:UNUSED_PAD src0_sel:WORD_0
	v_cvt_f32_u32_sdwa v19, v73 dst_sel:DWORD dst_unused:UNUSED_PAD src0_sel:WORD_1
	s_mul_hi_i32 s27, s26, s6
	s_mul_i32 s26, s26, s6
	s_lshl_b64 s[26:27], s[26:27], 1
	s_waitcnt lgkmcnt(0)
	s_add_u32 s28, s14, s26
	s_mov_b32 s17, 0x7060302
	s_addc_u32 s14, s15, s27
	s_and_b32 s29, s14, 0xffff
	s_waitcnt vmcnt(1)
	v_cvt_f32_u32_sdwa v27, v6 dst_sel:DWORD dst_unused:UNUSED_PAD src0_sel:WORD_1
	v_cvt_f32_u32_sdwa v26, v6 dst_sel:DWORD dst_unused:UNUSED_PAD src0_sel:WORD_0
	v_cvt_f32_u32_sdwa v29, v7 dst_sel:DWORD dst_unused:UNUSED_PAD src0_sel:WORD_1
	v_cvt_f32_u32_sdwa v28, v7 dst_sel:DWORD dst_unused:UNUSED_PAD src0_sel:WORD_0
	;; [unrolled: 2-line block ×3, first 2 shown]
	v_cvt_f32_u32_sdwa v34, v9 dst_sel:DWORD dst_unused:UNUSED_PAD src0_sel:WORD_0
	v_cvt_f32_u32_sdwa v35, v9 dst_sel:DWORD dst_unused:UNUSED_PAD src0_sel:WORD_1
	s_waitcnt vmcnt(0)
	v_cvt_f32_u32_sdwa v37, v10 dst_sel:DWORD dst_unused:UNUSED_PAD src0_sel:WORD_1
	v_cvt_f32_u32_sdwa v36, v10 dst_sel:DWORD dst_unused:UNUSED_PAD src0_sel:WORD_0
	v_cvt_f32_u32_sdwa v7, v12 dst_sel:DWORD dst_unused:UNUSED_PAD src0_sel:WORD_1
	v_cvt_f32_u32_sdwa v6, v12 dst_sel:DWORD dst_unused:UNUSED_PAD src0_sel:WORD_0
	;; [unrolled: 2-line block ×4, first 2 shown]
	v_pk_add_f32 v[40:41], v[22:23], v[6:7]
	v_pk_add_f32 v[30:31], v[24:25], v[8:9]
	;; [unrolled: 1-line block ×4, first 2 shown]
	v_perm_b32 v11, v31, v30, s17
	v_perm_b32 v10, v41, v40, s17
	;; [unrolled: 1-line block ×4, first 2 shown]
	v_pk_add_f32 v[74:75], v[18:19], v[34:35]
	v_pk_add_f32 v[20:21], v[16:17], v[32:33]
	;; [unrolled: 1-line block ×4, first 2 shown]
	buffer_store_dwordx4 v[8:11], v38, s[28:31], 0 offen
	;;#ASMSTART
	s_nop 0
	;;#ASMEND
	s_nop 0
	v_perm_b32 v11, v75, v74, s17
	v_perm_b32 v10, v21, v20, s17
	;; [unrolled: 1-line block ×4, first 2 shown]
	buffer_store_dwordx4 v[8:11], v38, s[28:31], 16 offen
	;;#ASMSTART
	s_nop 0
	;;#ASMEND
.LBB748_10:
	s_or_b64 exec, exec, s[8:9]
.LBB748_11:
	v_mul_f32_e32 v4, v3, v3
	v_fmac_f32_e32 v4, v2, v2
	v_fmac_f32_e32 v4, v6, v6
	;; [unrolled: 1-line block ×15, first 2 shown]
	s_nop 1
	v_mov_b32_dpp v5, v4 quad_perm:[1,0,3,2] row_mask:0xf bank_mask:0xf
	v_add_f32_e32 v4, v4, v5
	s_nop 1
	v_mov_b32_dpp v5, v4 quad_perm:[2,3,0,1] row_mask:0xf bank_mask:0xf
	v_add_f32_e32 v4, v4, v5
	s_nop 1
	v_mov_b32_dpp v5, v4 row_half_mirror row_mask:0xf bank_mask:0xf
	v_add_f32_e32 v4, v4, v5
	s_nop 1
	v_mov_b32_dpp v5, v4 row_mirror row_mask:0xf bank_mask:0xf
	v_add_f32_e32 v4, v4, v5
	s_nop 1
	v_mov_b32_dpp v5, v4 row_bcast:15 row_mask:0xf bank_mask:0xf
	v_add_f32_e32 v4, v4, v5
	v_and_b32_e32 v5, 63, v0
	v_cmp_eq_u32_e64 s[8:9], 63, v5
	s_nop 0
	v_mov_b32_dpp v5, v4 row_bcast:31 row_mask:0xf bank_mask:0xf
	s_and_saveexec_b64 s[14:15], s[8:9]
	s_cbranch_execz .LBB748_13
; %bb.12:
	v_add_f32_e32 v4, v4, v5
	v_lshrrev_b32_e32 v5, 4, v0
	v_and_b32_e32 v5, 60, v5
	ds_write_b32 v5, v4 offset:16
.LBB748_13:
	s_or_b64 exec, exec, s[14:15]
	v_and_b32_e32 v4, 3, v0
	v_lshlrev_b32_e32 v34, 2, v4
	s_waitcnt lgkmcnt(0)
	s_barrier
	ds_read_b32 v4, v34 offset:16
	s_load_dwordx2 s[14:15], s[4:5], 0x18
	s_waitcnt lgkmcnt(0)
	v_mov_b32_dpp v5, v4 quad_perm:[1,0,3,2] row_mask:0xf bank_mask:0xf
	v_add_f32_e32 v4, v4, v5
	s_nop 1
	v_mov_b32_dpp v5, v4 quad_perm:[2,3,0,1] row_mask:0xf bank_mask:0xf
	s_and_saveexec_b64 s[26:27], s[0:1]
	s_cbranch_execnz .LBB748_18
; %bb.14:
	s_or_b64 exec, exec, s[26:27]
	s_mov_b64 s[2:3], -1
	s_and_b64 vcc, exec, s[22:23]
	s_cbranch_vccnz .LBB748_19
.LBB748_15:
	s_andn2_b64 vcc, exec, s[2:3]
	s_cbranch_vccz .LBB748_22
.LBB748_16:
	s_cmp_lt_i32 s16, 1
	s_cbranch_scc0 .LBB748_25
.LBB748_17:
	s_endpgm
.LBB748_18:
	v_add_f32_e32 v4, v4, v5
	v_cvt_f32_u32_e32 v5, s7
	s_waitcnt vmcnt(1)
	v_cvt_f32_u32_sdwa v15, v62 dst_sel:DWORD dst_unused:UNUSED_PAD src0_sel:WORD_1
	v_cvt_f32_u32_sdwa v14, v62 dst_sel:DWORD dst_unused:UNUSED_PAD src0_sel:WORD_0
	v_cvt_f32_u32_sdwa v23, v65 dst_sel:DWORD dst_unused:UNUSED_PAD src0_sel:WORD_1
	v_div_scale_f32 v8, s[28:29], v5, v5, v4
	v_rcp_f32_e32 v9, v8
	v_pk_add_f32 v[14:15], v[14:15], 1.0 op_sel_hi:[1,0]
	v_cvt_f32_u32_sdwa v22, v65 dst_sel:DWORD dst_unused:UNUSED_PAD src0_sel:WORD_0
	s_waitcnt vmcnt(0)
	v_cvt_f32_u32_sdwa v27, v60 dst_sel:DWORD dst_unused:UNUSED_PAD src0_sel:WORD_1
	v_fma_f32 v10, -v8, v9, 1.0
	v_fmac_f32_e32 v9, v10, v9
	v_div_scale_f32 v10, vcc, v4, v5, v4
	v_mul_f32_e32 v11, v10, v9
	v_fma_f32 v12, -v8, v11, v10
	v_fmac_f32_e32 v11, v12, v9
	v_fma_f32 v8, -v8, v11, v10
	v_div_fmas_f32 v8, v8, v9, v11
	v_div_fixup_f32 v4, v8, v5, v4
	v_mov_b32_e32 v5, s13
	v_mov_b32_e32 v8, s12
	v_cndmask_b32_e64 v5, v5, v8, s[2:3]
	v_add_f32_e32 v4, v5, v4
	s_mov_b32 s2, 0x800000
	v_mul_f32_e32 v5, 0x4b800000, v4
	v_cmp_gt_f32_e32 vcc, s2, v4
	v_cndmask_b32_e32 v4, v4, v5, vcc
	v_rsq_f32_e32 v4, v4
	v_cvt_f32_u32_sdwa v26, v60 dst_sel:DWORD dst_unused:UNUSED_PAD src0_sel:WORD_0
	v_cvt_f32_u32_sdwa v29, v61 dst_sel:DWORD dst_unused:UNUSED_PAD src0_sel:WORD_1
	v_cvt_f32_u32_sdwa v28, v61 dst_sel:DWORD dst_unused:UNUSED_PAD src0_sel:WORD_0
	v_mul_f32_e32 v5, 0x45800000, v4
	v_cndmask_b32_e32 v4, v4, v5, vcc
	v_mov_b32_e32 v5, v4
	;;#ASMSTART
	v_pk_mul_f32 v[2:3], v[2:3], v[4:5]
	;;#ASMEND
	;;#ASMSTART
	v_pk_mul_f32 v[6:7], v[6:7], v[4:5]
	;;#ASMEND
	;; [unrolled: 3-line block ×9, first 2 shown]
	v_cvt_f32_u32_sdwa v15, v63 dst_sel:DWORD dst_unused:UNUSED_PAD src0_sel:WORD_1
	v_cvt_f32_u32_sdwa v14, v63 dst_sel:DWORD dst_unused:UNUSED_PAD src0_sel:WORD_0
	v_cvt_f32_u32_sdwa v21, v64 dst_sel:DWORD dst_unused:UNUSED_PAD src0_sel:WORD_1
	v_cvt_f32_u32_sdwa v20, v64 dst_sel:DWORD dst_unused:UNUSED_PAD src0_sel:WORD_0
	v_cvt_f32_u32_sdwa v25, v59 dst_sel:DWORD dst_unused:UNUSED_PAD src0_sel:WORD_1
	v_pk_add_f32 v[14:15], v[14:15], 1.0 op_sel_hi:[1,0]
	v_cvt_f32_u32_sdwa v24, v59 dst_sel:DWORD dst_unused:UNUSED_PAD src0_sel:WORD_0
	;;#ASMSTART
	v_pk_mul_f32 v[6:7], v[6:7], v[14:15]
	;;#ASMEND
	v_pk_add_f32 v[14:15], v[20:21], 1.0 op_sel_hi:[1,0]
	v_pk_add_f32 v[20:21], v[22:23], 1.0 op_sel_hi:[1,0]
	v_cvt_f32_u32_sdwa v23, v58 dst_sel:DWORD dst_unused:UNUSED_PAD src0_sel:WORD_1
	v_cvt_f32_u32_sdwa v22, v58 dst_sel:DWORD dst_unused:UNUSED_PAD src0_sel:WORD_0
	v_pk_add_f32 v[24:25], v[24:25], 1.0 op_sel_hi:[1,0]
	v_pk_add_f32 v[26:27], v[26:27], 1.0 op_sel_hi:[1,0]
	;; [unrolled: 1-line block ×4, first 2 shown]
	;;#ASMSTART
	v_pk_mul_f32 v[40:41], v[8:9], v[14:15]
	;;#ASMEND
	;;#ASMSTART
	v_pk_mul_f32 v[30:31], v[10:11], v[20:21]
	;;#ASMEND
	;; [unrolled: 3-line block ×6, first 2 shown]
	s_or_b64 exec, exec, s[26:27]
	s_mov_b64 s[2:3], -1
	s_and_b64 vcc, exec, s[22:23]
	s_cbranch_vccz .LBB748_15
.LBB748_19:
	s_and_saveexec_b64 s[2:3], s[0:1]
	s_cbranch_execz .LBB748_21
; %bb.20:
	s_mul_hi_i32 s23, s25, s6
	s_mul_i32 s22, s25, s6
	s_lshl_b64 s[22:23], s[22:23], 1
	s_add_u32 s28, s14, s22
	s_addc_u32 s7, s15, s23
	s_and_b32 s29, s7, 0xffff
	s_mov_b32 s7, 0x7060302
	s_mov_b32 s31, 0x20000
	v_perm_b32 v11, v31, v30, s7
	v_perm_b32 v10, v41, v40, s7
	;; [unrolled: 1-line block ×4, first 2 shown]
	v_lshlrev_b32_e32 v4, 5, v0
	buffer_store_dwordx4 v[8:11], v4, s[28:31], 0 offen
	;;#ASMSTART
	s_nop 0
	;;#ASMEND
	s_nop 0
	v_perm_b32 v11, v75, v74, s7
	v_perm_b32 v10, v21, v20, s7
	;; [unrolled: 1-line block ×4, first 2 shown]
	buffer_store_dwordx4 v[8:11], v4, s[28:31], 16 offen
	;;#ASMSTART
	s_nop 0
	;;#ASMEND
.LBB748_21:
	s_or_b64 exec, exec, s[2:3]
	s_cbranch_execnz .LBB748_16
.LBB748_22:
	s_and_saveexec_b64 s[2:3], s[0:1]
	s_cbranch_execz .LBB748_24
; %bb.23:
	s_load_dwordx2 s[0:1], s[4:5], 0x10
	s_mul_hi_i32 s23, s24, s6
	s_mul_i32 s22, s24, s6
	s_lshl_b64 s[22:23], s[22:23], 1
	s_mov_b32 s7, 0x7060302
	s_waitcnt lgkmcnt(0)
	s_add_u32 s28, s0, s22
	s_addc_u32 s0, s1, s23
	v_perm_b32 v9, v31, v30, s7
	v_perm_b32 v8, v41, v40, s7
	;; [unrolled: 1-line block ×4, first 2 shown]
	s_and_b32 s29, s0, 0xffff
	s_mov_b32 s31, 0x20000
	v_lshlrev_b32_e32 v10, 5, v0
	v_perm_b32 v5, v75, v74, s7
	v_perm_b32 v4, v21, v20, s7
	;; [unrolled: 1-line block ×4, first 2 shown]
	buffer_store_dwordx4 v[6:9], v10, s[28:31], 0 offen
	;;#ASMSTART
	s_nop 0
	;;#ASMEND
	buffer_store_dwordx4 v[2:5], v10, s[28:31], 16 offen
	;;#ASMSTART
	s_nop 0
	;;#ASMEND
.LBB748_24:
	s_or_b64 exec, exec, s[2:3]
	s_cmp_lt_i32 s16, 1
	s_cbranch_scc1 .LBB748_17
.LBB748_25:
	s_load_dword s0, s[4:5], 0x94
	s_waitcnt lgkmcnt(0)
	s_cmp_lg_u32 s0, 1
	s_cbranch_scc1 .LBB748_17
; %bb.26:
	s_lshl_b32 s0, s16, 1
	s_add_i32 s0, s0, 2
	v_cmp_gt_u32_e32 vcc, s16, v1
	s_and_b32 s22, s0, -4
	v_mov_b32_e32 v18, 0
	v_lshlrev_b32_e32 v1, 5, v0
	v_mov_b32_e32 v14, 0
	v_mov_b32_e32 v15, 0
	;; [unrolled: 1-line block ×16, first 2 shown]
	s_barrier
	s_and_saveexec_b64 s[0:1], vcc
	s_cbranch_execz .LBB748_28
; %bb.27:
	s_mul_hi_i32 s3, s18, s6
	s_mul_i32 s2, s18, s6
	s_and_b32 s21, s21, 0xffff
	s_lshl_b64 s[2:3], s[2:3], 1
	s_add_u32 s28, s10, s2
	s_mov_b32 s23, 0x20000
	s_addc_u32 s2, s11, s3
	s_and_b32 s29, s2, 0xffff
	s_mov_b32 s30, s22
	s_mov_b32 s31, s23
	buffer_load_dwordx4 v[14:17], v1, s[28:31], 0 offen
	buffer_load_dwordx4 v[10:13], v1, s[28:31], 16 offen
	;; [unrolled: 1-line block ×4, first 2 shown]
.LBB748_28:
	s_or_b64 exec, exec, s[0:1]
	v_mov_b32_e32 v19, 0
	v_mov_b32_e32 v32, 0
	v_mov_b32_e32 v33, 0
	v_mov_b32_e32 v30, 0
	v_mov_b32_e32 v31, 0
	v_mov_b32_e32 v28, 0
	v_mov_b32_e32 v29, 0
	v_mov_b32_e32 v26, 0
	v_mov_b32_e32 v27, 0
	v_mov_b32_e32 v24, 0
	v_mov_b32_e32 v25, 0
	v_mov_b32_e32 v22, 0
	v_mov_b32_e32 v23, 0
	v_mov_b32_e32 v20, 0
	v_mov_b32_e32 v21, 0
	s_and_saveexec_b64 s[0:1], vcc
	s_cbranch_execz .LBB748_30
; %bb.29:
	s_waitcnt vmcnt(3)
	v_cvt_f32_u32_sdwa v18, v14 dst_sel:DWORD dst_unused:UNUSED_PAD src0_sel:WORD_0
	v_cvt_f32_u32_sdwa v19, v14 dst_sel:DWORD dst_unused:UNUSED_PAD src0_sel:WORD_1
	v_cvt_f32_u32_sdwa v32, v15 dst_sel:DWORD dst_unused:UNUSED_PAD src0_sel:WORD_0
	v_cvt_f32_u32_sdwa v33, v15 dst_sel:DWORD dst_unused:UNUSED_PAD src0_sel:WORD_1
	;; [unrolled: 2-line block ×4, first 2 shown]
	s_waitcnt vmcnt(2)
	v_cvt_f32_u32_sdwa v26, v10 dst_sel:DWORD dst_unused:UNUSED_PAD src0_sel:WORD_0
	v_cvt_f32_u32_sdwa v27, v10 dst_sel:DWORD dst_unused:UNUSED_PAD src0_sel:WORD_1
	v_cvt_f32_u32_sdwa v24, v11 dst_sel:DWORD dst_unused:UNUSED_PAD src0_sel:WORD_0
	v_cvt_f32_u32_sdwa v25, v11 dst_sel:DWORD dst_unused:UNUSED_PAD src0_sel:WORD_1
	;; [unrolled: 2-line block ×4, first 2 shown]
.LBB748_30:
	s_or_b64 exec, exec, s[0:1]
	s_waitcnt vmcnt(2)
	v_mul_f32_e32 v10, v19, v19
	v_fmac_f32_e32 v10, v18, v18
	v_fmac_f32_e32 v10, v32, v32
	;; [unrolled: 1-line block ×15, first 2 shown]
	s_nop 1
	v_mov_b32_dpp v11, v10 quad_perm:[1,0,3,2] row_mask:0xf bank_mask:0xf
	v_add_f32_e32 v10, v10, v11
	s_nop 1
	v_mov_b32_dpp v11, v10 quad_perm:[2,3,0,1] row_mask:0xf bank_mask:0xf
	v_add_f32_e32 v10, v10, v11
	s_nop 1
	v_mov_b32_dpp v11, v10 row_half_mirror row_mask:0xf bank_mask:0xf
	v_add_f32_e32 v10, v10, v11
	s_nop 1
	v_mov_b32_dpp v11, v10 row_mirror row_mask:0xf bank_mask:0xf
	v_add_f32_e32 v10, v10, v11
	s_nop 1
	v_mov_b32_dpp v11, v10 row_bcast:15 row_mask:0xf bank_mask:0xf
	v_add_f32_e32 v10, v10, v11
	s_nop 1
	v_mov_b32_dpp v11, v10 row_bcast:31 row_mask:0xf bank_mask:0xf
	s_and_saveexec_b64 s[0:1], s[8:9]
	s_cbranch_execz .LBB748_32
; %bb.31:
	v_lshrrev_b32_e32 v0, 4, v0
	v_add_f32_e32 v10, v10, v11
	v_and_b32_e32 v0, 60, v0
	ds_write_b32 v0, v10
.LBB748_32:
	s_or_b64 exec, exec, s[0:1]
	s_waitcnt lgkmcnt(0)
	s_barrier
	ds_read_b32 v0, v34
	s_waitcnt lgkmcnt(0)
	s_nop 0
	v_mov_b32_dpp v10, v0 quad_perm:[1,0,3,2] row_mask:0xf bank_mask:0xf
	v_add_f32_e32 v0, v0, v10
	s_nop 1
	v_mov_b32_dpp v10, v0 quad_perm:[2,3,0,1] row_mask:0xf bank_mask:0xf
	s_and_saveexec_b64 s[0:1], vcc
	s_cbranch_execz .LBB748_17
; %bb.33:
	v_cvt_f32_u32_e32 v11, s16
	v_add_f32_e32 v0, v0, v10
	s_mov_b32 s23, 0x20000
	v_div_scale_f32 v10, s[0:1], v11, v11, v0
	v_rcp_f32_e32 v12, v10
	v_div_scale_f32 v13, vcc, v0, v11, v0
	s_mov_b32 s0, 0x800000
	v_fma_f32 v14, -v10, v12, 1.0
	v_fmac_f32_e32 v12, v14, v12
	v_mul_f32_e32 v14, v13, v12
	v_fma_f32 v15, -v10, v14, v13
	v_fmac_f32_e32 v14, v15, v12
	v_fma_f32 v10, -v10, v14, v13
	v_div_fmas_f32 v10, v10, v12, v14
	v_div_fixup_f32 v0, v10, v11, v0
	v_add_f32_e32 v0, s13, v0
	v_mul_f32_e32 v10, 0x4b800000, v0
	v_cmp_gt_f32_e32 vcc, s0, v0
	v_cndmask_b32_e32 v0, v0, v10, vcc
	v_rsq_f32_e32 v0, v0
	s_mul_hi_i32 s1, s25, s6
	s_mul_i32 s0, s25, s6
	s_lshl_b64 s[0:1], s[0:1], 1
	v_mul_f32_e32 v10, 0x45800000, v0
	v_cndmask_b32_e32 v10, v0, v10, vcc
	v_mov_b32_e32 v11, v10
	;;#ASMSTART
	v_pk_mul_f32 v[12:13], v[18:19], v[10:11]
	;;#ASMEND
	;;#ASMSTART
	v_pk_mul_f32 v[14:15], v[32:33], v[10:11]
	;;#ASMEND
	;; [unrolled: 3-line block ×4, first 2 shown]
	s_waitcnt vmcnt(1)
	v_cvt_f32_u32_sdwa v29, v6 dst_sel:DWORD dst_unused:UNUSED_PAD src0_sel:WORD_1
	v_cvt_f32_u32_sdwa v28, v6 dst_sel:DWORD dst_unused:UNUSED_PAD src0_sel:WORD_0
	v_cvt_f32_u32_sdwa v31, v7 dst_sel:DWORD dst_unused:UNUSED_PAD src0_sel:WORD_1
	v_cvt_f32_u32_sdwa v30, v7 dst_sel:DWORD dst_unused:UNUSED_PAD src0_sel:WORD_0
	;;#ASMSTART
	v_pk_mul_f32 v[26:27], v[26:27], v[10:11]
	;;#ASMEND
	;;#ASMSTART
	v_pk_mul_f32 v[24:25], v[24:25], v[10:11]
	;;#ASMEND
	;; [unrolled: 3-line block ×4, first 2 shown]
	v_cvt_f32_u32_sdwa v21, v8 dst_sel:DWORD dst_unused:UNUSED_PAD src0_sel:WORD_1
	v_cvt_f32_u32_sdwa v20, v8 dst_sel:DWORD dst_unused:UNUSED_PAD src0_sel:WORD_0
	v_pk_add_f32 v[10:11], v[28:29], 1.0 op_sel_hi:[1,0]
	;;#ASMSTART
	v_pk_mul_f32 v[10:11], v[12:13], v[10:11]
	;;#ASMEND
	v_pk_add_f32 v[12:13], v[30:31], 1.0 op_sel_hi:[1,0]
	v_cvt_f32_u32_sdwa v29, v9 dst_sel:DWORD dst_unused:UNUSED_PAD src0_sel:WORD_1
	v_cvt_f32_u32_sdwa v28, v9 dst_sel:DWORD dst_unused:UNUSED_PAD src0_sel:WORD_0
	;;#ASMSTART
	v_pk_mul_f32 v[8:9], v[14:15], v[12:13]
	;;#ASMEND
	v_pk_add_f32 v[12:13], v[20:21], 1.0 op_sel_hi:[1,0]
	;;#ASMSTART
	v_pk_mul_f32 v[12:13], v[16:17], v[12:13]
	;;#ASMEND
	s_waitcnt vmcnt(0)
	v_cvt_f32_u32_sdwa v17, v2 dst_sel:DWORD dst_unused:UNUSED_PAD src0_sel:WORD_1
	v_cvt_f32_u32_sdwa v16, v2 dst_sel:DWORD dst_unused:UNUSED_PAD src0_sel:WORD_0
	v_cvt_f32_u32_sdwa v21, v3 dst_sel:DWORD dst_unused:UNUSED_PAD src0_sel:WORD_1
	v_cvt_f32_u32_sdwa v20, v3 dst_sel:DWORD dst_unused:UNUSED_PAD src0_sel:WORD_0
	v_pk_add_f32 v[14:15], v[28:29], 1.0 op_sel_hi:[1,0]
	;;#ASMSTART
	v_pk_mul_f32 v[14:15], v[18:19], v[14:15]
	;;#ASMEND
	v_pk_add_f32 v[2:3], v[16:17], 1.0 op_sel_hi:[1,0]
	v_cvt_f32_u32_sdwa v19, v4 dst_sel:DWORD dst_unused:UNUSED_PAD src0_sel:WORD_1
	v_cvt_f32_u32_sdwa v18, v4 dst_sel:DWORD dst_unused:UNUSED_PAD src0_sel:WORD_0
	;;#ASMSTART
	v_pk_mul_f32 v[16:17], v[26:27], v[2:3]
	;;#ASMEND
	v_pk_add_f32 v[2:3], v[20:21], 1.0 op_sel_hi:[1,0]
	v_cvt_f32_u32_sdwa v21, v5 dst_sel:DWORD dst_unused:UNUSED_PAD src0_sel:WORD_1
	v_cvt_f32_u32_sdwa v20, v5 dst_sel:DWORD dst_unused:UNUSED_PAD src0_sel:WORD_0
	s_add_u32 s20, s14, s0
	;;#ASMSTART
	v_pk_mul_f32 v[24:25], v[24:25], v[2:3]
	;;#ASMEND
	v_pk_add_f32 v[2:3], v[18:19], 1.0 op_sel_hi:[1,0]
	s_addc_u32 s0, s15, s1
	;;#ASMSTART
	v_pk_mul_f32 v[18:19], v[22:23], v[2:3]
	;;#ASMEND
	v_pk_add_f32 v[2:3], v[20:21], 1.0 op_sel_hi:[1,0]
	s_and_b32 s21, s0, 0xffff
	s_mov_b32 s0, 0x7060302
	;;#ASMSTART
	v_pk_mul_f32 v[6:7], v[6:7], v[2:3]
	;;#ASMEND
	v_perm_b32 v2, v11, v10, s0
	v_perm_b32 v3, v9, v8, s0
	;; [unrolled: 1-line block ×4, first 2 shown]
	buffer_store_dwordx4 v[2:5], v1, s[20:23], 0 offen
	;;#ASMSTART
	s_nop 0
	;;#ASMEND
	s_nop 0
	v_perm_b32 v2, v17, v16, s0
	v_perm_b32 v3, v25, v24, s0
	;; [unrolled: 1-line block ×4, first 2 shown]
	buffer_store_dwordx4 v[2:5], v1, s[20:23], 16 offen
	;;#ASMSTART
	s_nop 0
	;;#ASMEND
	s_endpgm
	.section	.rodata,"a",@progbits
	.p2align	6, 0x0
	.amdhsa_kernel _ZN5aiter35fused_qk_rmsnorm_group_quant_kernelItN4opus5fp4_tELi256ELi16ELi8ELb1ELb1ELb1ELb1ELb0ELb0EEEvPT0_PvPT_S7_S7_PKS6_S9_S9_S9_S9_ffiiiiiiiiiiiii
		.amdhsa_group_segment_fixed_size 32
		.amdhsa_private_segment_fixed_size 0
		.amdhsa_kernarg_size 400
		.amdhsa_user_sgpr_count 6
		.amdhsa_user_sgpr_private_segment_buffer 1
		.amdhsa_user_sgpr_dispatch_ptr 0
		.amdhsa_user_sgpr_queue_ptr 0
		.amdhsa_user_sgpr_kernarg_segment_ptr 1
		.amdhsa_user_sgpr_dispatch_id 0
		.amdhsa_user_sgpr_flat_scratch_init 0
		.amdhsa_user_sgpr_kernarg_preload_length 0
		.amdhsa_user_sgpr_kernarg_preload_offset 0
		.amdhsa_user_sgpr_private_segment_size 0
		.amdhsa_uses_dynamic_stack 0
		.amdhsa_system_sgpr_private_segment_wavefront_offset 0
		.amdhsa_system_sgpr_workgroup_id_x 1
		.amdhsa_system_sgpr_workgroup_id_y 1
		.amdhsa_system_sgpr_workgroup_id_z 0
		.amdhsa_system_sgpr_workgroup_info 0
		.amdhsa_system_vgpr_workitem_id 0
		.amdhsa_next_free_vgpr 76
		.amdhsa_next_free_sgpr 32
		.amdhsa_accum_offset 76
		.amdhsa_reserve_vcc 1
		.amdhsa_reserve_flat_scratch 0
		.amdhsa_float_round_mode_32 0
		.amdhsa_float_round_mode_16_64 0
		.amdhsa_float_denorm_mode_32 3
		.amdhsa_float_denorm_mode_16_64 3
		.amdhsa_dx10_clamp 1
		.amdhsa_ieee_mode 1
		.amdhsa_fp16_overflow 0
		.amdhsa_tg_split 0
		.amdhsa_exception_fp_ieee_invalid_op 0
		.amdhsa_exception_fp_denorm_src 0
		.amdhsa_exception_fp_ieee_div_zero 0
		.amdhsa_exception_fp_ieee_overflow 0
		.amdhsa_exception_fp_ieee_underflow 0
		.amdhsa_exception_fp_ieee_inexact 0
		.amdhsa_exception_int_div_zero 0
	.end_amdhsa_kernel
	.section	.text._ZN5aiter35fused_qk_rmsnorm_group_quant_kernelItN4opus5fp4_tELi256ELi16ELi8ELb1ELb1ELb1ELb1ELb0ELb0EEEvPT0_PvPT_S7_S7_PKS6_S9_S9_S9_S9_ffiiiiiiiiiiiii,"axG",@progbits,_ZN5aiter35fused_qk_rmsnorm_group_quant_kernelItN4opus5fp4_tELi256ELi16ELi8ELb1ELb1ELb1ELb1ELb0ELb0EEEvPT0_PvPT_S7_S7_PKS6_S9_S9_S9_S9_ffiiiiiiiiiiiii,comdat
.Lfunc_end748:
	.size	_ZN5aiter35fused_qk_rmsnorm_group_quant_kernelItN4opus5fp4_tELi256ELi16ELi8ELb1ELb1ELb1ELb1ELb0ELb0EEEvPT0_PvPT_S7_S7_PKS6_S9_S9_S9_S9_ffiiiiiiiiiiiii, .Lfunc_end748-_ZN5aiter35fused_qk_rmsnorm_group_quant_kernelItN4opus5fp4_tELi256ELi16ELi8ELb1ELb1ELb1ELb1ELb0ELb0EEEvPT0_PvPT_S7_S7_PKS6_S9_S9_S9_S9_ffiiiiiiiiiiiii
                                        ; -- End function
	.section	.AMDGPU.csdata,"",@progbits
; Kernel info:
; codeLenInByte = 3568
; NumSgprs: 36
; NumVgprs: 76
; NumAgprs: 0
; TotalNumVgprs: 76
; ScratchSize: 0
; MemoryBound: 0
; FloatMode: 240
; IeeeMode: 1
; LDSByteSize: 32 bytes/workgroup (compile time only)
; SGPRBlocks: 4
; VGPRBlocks: 9
; NumSGPRsForWavesPerEU: 36
; NumVGPRsForWavesPerEU: 76
; AccumOffset: 76
; Occupancy: 6
; WaveLimiterHint : 0
; COMPUTE_PGM_RSRC2:SCRATCH_EN: 0
; COMPUTE_PGM_RSRC2:USER_SGPR: 6
; COMPUTE_PGM_RSRC2:TRAP_HANDLER: 0
; COMPUTE_PGM_RSRC2:TGID_X_EN: 1
; COMPUTE_PGM_RSRC2:TGID_Y_EN: 1
; COMPUTE_PGM_RSRC2:TGID_Z_EN: 0
; COMPUTE_PGM_RSRC2:TIDIG_COMP_CNT: 0
; COMPUTE_PGM_RSRC3_GFX90A:ACCUM_OFFSET: 18
; COMPUTE_PGM_RSRC3_GFX90A:TG_SPLIT: 0
	.section	.text._ZN5aiter35fused_qk_rmsnorm_group_quant_kernelIDF16_DB8_Li256ELi16ELi8ELb1ELb1ELb0ELb1ELb0ELb0EEEvPT0_PvPT_S6_S6_PKS5_S8_S8_S8_S8_ffiiiiiiiiiiiii,"axG",@progbits,_ZN5aiter35fused_qk_rmsnorm_group_quant_kernelIDF16_DB8_Li256ELi16ELi8ELb1ELb1ELb0ELb1ELb0ELb0EEEvPT0_PvPT_S6_S6_PKS5_S8_S8_S8_S8_ffiiiiiiiiiiiii,comdat
	.protected	_ZN5aiter35fused_qk_rmsnorm_group_quant_kernelIDF16_DB8_Li256ELi16ELi8ELb1ELb1ELb0ELb1ELb0ELb0EEEvPT0_PvPT_S6_S6_PKS5_S8_S8_S8_S8_ffiiiiiiiiiiiii ; -- Begin function _ZN5aiter35fused_qk_rmsnorm_group_quant_kernelIDF16_DB8_Li256ELi16ELi8ELb1ELb1ELb0ELb1ELb0ELb0EEEvPT0_PvPT_S6_S6_PKS5_S8_S8_S8_S8_ffiiiiiiiiiiiii
	.globl	_ZN5aiter35fused_qk_rmsnorm_group_quant_kernelIDF16_DB8_Li256ELi16ELi8ELb1ELb1ELb0ELb1ELb0ELb0EEEvPT0_PvPT_S6_S6_PKS5_S8_S8_S8_S8_ffiiiiiiiiiiiii
	.p2align	8
	.type	_ZN5aiter35fused_qk_rmsnorm_group_quant_kernelIDF16_DB8_Li256ELi16ELi8ELb1ELb1ELb0ELb1ELb0ELb0EEEvPT0_PvPT_S6_S6_PKS5_S8_S8_S8_S8_ffiiiiiiiiiiiii,@function
_ZN5aiter35fused_qk_rmsnorm_group_quant_kernelIDF16_DB8_Li256ELi16ELi8ELb1ELb1ELb0ELb1ELb0ELb0EEEvPT0_PvPT_S6_S6_PKS5_S8_S8_S8_S8_ffiiiiiiiiiiiii: ; @_ZN5aiter35fused_qk_rmsnorm_group_quant_kernelIDF16_DB8_Li256ELi16ELi8ELb1ELb1ELb0ELb1ELb0ELb0EEEvPT0_PvPT_S6_S6_PKS5_S8_S8_S8_S8_ffiiiiiiiiiiiii
; %bb.0:
	s_load_dwordx8 s[12:19], s[4:5], 0x50
	s_waitcnt lgkmcnt(0)
	s_cmp_ge_i32 s6, s14
	s_cbranch_scc1 .LBB749_17
; %bb.1:
	s_cmp_lg_u32 s7, 0
	s_cselect_b64 s[22:23], -1, 0
	s_cmp_eq_u32 s7, 0
	s_cselect_b64 s[2:3], -1, 0
	s_and_b64 s[0:1], s[2:3], exec
	s_cselect_b32 s7, s15, s16
	s_load_dwordx2 s[10:11], s[4:5], 0x30
	s_load_dwordx2 s[20:21], s[4:5], 0x48
	s_add_i32 s0, s7, 1
	s_lshr_b32 s1, s0, 31
	s_add_i32 s0, s0, s1
	s_lshl_b32 s0, s0, 1
	v_lshlrev_b32_e32 v1, 4, v0
	s_and_b32 s30, s0, -4
	v_cmp_gt_i32_e64 s[0:1], s7, v1
	v_mov_b32_e32 v6, 0
	v_mov_b32_e32 v7, 0
	;; [unrolled: 1-line block ×16, first 2 shown]
	s_and_saveexec_b64 s[8:9], s[0:1]
	s_cbranch_execz .LBB749_3
; %bb.2:
	s_load_dwordx2 s[14:15], s[4:5], 0x28
	s_load_dwordx2 s[26:27], s[4:5], 0x40
	s_and_b64 s[24:25], s[2:3], exec
	s_cselect_b32 s17, s17, s18
	s_mov_b32 s31, 0x20000
	s_waitcnt lgkmcnt(0)
	s_cselect_b32 s25, s15, s11
	s_cselect_b32 s24, s14, s10
	s_mul_hi_i32 s15, s17, s6
	s_mul_i32 s14, s17, s6
	s_lshl_b64 s[14:15], s[14:15], 1
	s_add_u32 s24, s24, s14
	s_addc_u32 s17, s25, s15
	s_and_b64 s[14:15], s[2:3], exec
	s_cselect_b32 s28, s26, s20
	s_cselect_b32 s14, s27, s21
	s_and_b32 s25, s17, 0xffff
	s_mov_b32 s26, s30
	s_mov_b32 s27, s31
	v_lshlrev_b32_e32 v18, 5, v0
	s_and_b32 s29, s14, 0xffff
	buffer_load_dwordx4 v[10:13], v18, s[24:27], 0 offen
	buffer_load_dwordx4 v[14:17], v18, s[24:27], 16 offen
	;; [unrolled: 1-line block ×4, first 2 shown]
.LBB749_3:
	s_or_b64 exec, exec, s[8:9]
	s_load_dwordx4 s[24:27], s[4:5], 0x7c
	s_and_b64 vcc, exec, s[22:23]
	s_cbranch_vccz .LBB749_7
; %bb.4:
	v_mov_b32_e32 v19, 0
	v_mov_b32_e32 v18, 0
	;; [unrolled: 1-line block ×16, first 2 shown]
	s_and_saveexec_b64 s[8:9], s[0:1]
	s_cbranch_execz .LBB749_6
; %bb.5:
	s_waitcnt vmcnt(3)
	v_cvt_f32_f16_sdwa v33, v10 dst_sel:DWORD dst_unused:UNUSED_PAD src0_sel:WORD_1
	v_cvt_f32_f16_e32 v32, v10
	v_cvt_f32_f16_sdwa v31, v11 dst_sel:DWORD dst_unused:UNUSED_PAD src0_sel:WORD_1
	v_cvt_f32_f16_e32 v30, v11
	v_cvt_f32_f16_sdwa v27, v12 dst_sel:DWORD dst_unused:UNUSED_PAD src0_sel:WORD_1
	v_cvt_f32_f16_e32 v26, v12
	v_cvt_f32_f16_sdwa v29, v13 dst_sel:DWORD dst_unused:UNUSED_PAD src0_sel:WORD_1
	v_cvt_f32_f16_e32 v28, v13
	s_waitcnt vmcnt(2)
	v_cvt_f32_f16_sdwa v25, v14 dst_sel:DWORD dst_unused:UNUSED_PAD src0_sel:WORD_1
	v_cvt_f32_f16_e32 v24, v14
	v_cvt_f32_f16_sdwa v23, v15 dst_sel:DWORD dst_unused:UNUSED_PAD src0_sel:WORD_1
	v_cvt_f32_f16_e32 v22, v15
	;; [unrolled: 2-line block ×4, first 2 shown]
.LBB749_6:
	s_or_b64 exec, exec, s[8:9]
	s_cbranch_execz .LBB749_8
	s_branch .LBB749_11
.LBB749_7:
                                        ; implicit-def: $vgpr19
                                        ; implicit-def: $vgpr21
                                        ; implicit-def: $vgpr23
                                        ; implicit-def: $vgpr25
                                        ; implicit-def: $vgpr29
                                        ; implicit-def: $vgpr27
                                        ; implicit-def: $vgpr31
                                        ; implicit-def: $vgpr33
.LBB749_8:
	v_mov_b32_e32 v19, 0
	v_mov_b32_e32 v18, 0
	;; [unrolled: 1-line block ×16, first 2 shown]
	s_and_saveexec_b64 s[8:9], s[0:1]
	s_cbranch_execz .LBB749_10
; %bb.9:
	s_load_dwordx2 s[14:15], s[4:5], 0x38
	s_mul_hi_i32 s29, s19, s6
	s_mul_i32 s28, s19, s6
	s_lshl_b64 s[28:29], s[28:29], 1
	s_mov_b32 s31, 0x20000
	s_waitcnt lgkmcnt(0)
	s_add_u32 s28, s14, s28
	s_addc_u32 s14, s15, s29
	s_and_b32 s29, s14, 0xffff
	v_lshlrev_b32_e32 v48, 5, v0
	buffer_load_dwordx4 v[18:21], v48, s[28:31], 16 offen
	buffer_load_dwordx4 v[22:25], v48, s[28:31], 0 offen
	s_waitcnt vmcnt(4)
	v_cvt_f32_f16_sdwa v27, v14 dst_sel:DWORD dst_unused:UNUSED_PAD src0_sel:WORD_1
	v_cvt_f32_f16_e32 v26, v14
	v_cvt_f32_f16_sdwa v29, v15 dst_sel:DWORD dst_unused:UNUSED_PAD src0_sel:WORD_1
	v_cvt_f32_f16_e32 v28, v15
	;; [unrolled: 2-line block ×8, first 2 shown]
	s_load_dwordx2 s[14:15], s[4:5], 0x20
	s_mul_hi_i32 s27, s26, s6
	s_mul_i32 s26, s26, s6
	s_lshl_b64 s[26:27], s[26:27], 1
	s_waitcnt lgkmcnt(0)
	s_add_u32 s28, s14, s26
	s_addc_u32 s14, s15, s27
	s_and_b32 s29, s14, 0xffff
	s_waitcnt vmcnt(1)
	v_cvt_f32_f16_e32 v12, v18
	v_cvt_f32_f16_sdwa v13, v18 dst_sel:DWORD dst_unused:UNUSED_PAD src0_sel:WORD_1
	v_cvt_f32_f16_e32 v18, v19
	v_cvt_f32_f16_sdwa v19, v19 dst_sel:DWORD dst_unused:UNUSED_PAD src0_sel:WORD_1
	;; [unrolled: 2-line block ×4, first 2 shown]
	s_waitcnt vmcnt(0)
	v_cvt_f32_f16_e32 v40, v22
	v_cvt_f32_f16_sdwa v41, v22 dst_sel:DWORD dst_unused:UNUSED_PAD src0_sel:WORD_1
	v_cvt_f32_f16_e32 v42, v23
	v_cvt_f32_f16_sdwa v43, v23 dst_sel:DWORD dst_unused:UNUSED_PAD src0_sel:WORD_1
	;; [unrolled: 2-line block ×4, first 2 shown]
	v_pk_add_f32 v[24:25], v[26:27], v[12:13]
	v_pk_add_f32 v[22:23], v[28:29], v[18:19]
	;; [unrolled: 1-line block ×8, first 2 shown]
	v_cvt_f16_f32_e32 v10, v33
	v_cvt_f16_f32_e32 v14, v32
	;; [unrolled: 1-line block ×16, first 2 shown]
	v_pack_b32_f16 v13, v17, v13
	v_pack_b32_f16 v12, v16, v12
	;; [unrolled: 1-line block ×8, first 2 shown]
	buffer_store_dwordx4 v[10:13], v48, s[28:31], 0 offen
	;;#ASMSTART
	s_nop 0
	;;#ASMEND
	buffer_store_dwordx4 v[14:17], v48, s[28:31], 16 offen
	;;#ASMSTART
	s_nop 0
	;;#ASMEND
.LBB749_10:
	s_or_b64 exec, exec, s[8:9]
.LBB749_11:
	s_waitcnt vmcnt(3)
	v_mul_f32_e32 v10, v33, v33
	v_fmac_f32_e32 v10, v32, v32
	v_fmac_f32_e32 v10, v30, v30
	;; [unrolled: 1-line block ×15, first 2 shown]
	v_and_b32_e32 v12, 63, v0
	v_cmp_eq_u32_e64 s[8:9], 63, v12
	v_mov_b32_dpp v11, v10 quad_perm:[1,0,3,2] row_mask:0xf bank_mask:0xf
	v_add_f32_e32 v10, v10, v11
	s_nop 1
	v_mov_b32_dpp v11, v10 quad_perm:[2,3,0,1] row_mask:0xf bank_mask:0xf
	v_add_f32_e32 v10, v10, v11
	s_nop 1
	v_mov_b32_dpp v11, v10 row_half_mirror row_mask:0xf bank_mask:0xf
	v_add_f32_e32 v10, v10, v11
	s_nop 1
	v_mov_b32_dpp v11, v10 row_mirror row_mask:0xf bank_mask:0xf
	v_add_f32_e32 v10, v10, v11
	s_nop 1
	v_mov_b32_dpp v11, v10 row_bcast:15 row_mask:0xf bank_mask:0xf
	v_add_f32_e32 v10, v10, v11
	s_nop 1
	v_mov_b32_dpp v11, v10 row_bcast:31 row_mask:0xf bank_mask:0xf
	s_and_saveexec_b64 s[14:15], s[8:9]
	s_cbranch_execz .LBB749_13
; %bb.12:
	v_add_f32_e32 v10, v10, v11
	v_lshrrev_b32_e32 v11, 4, v0
	v_and_b32_e32 v11, 60, v11
	ds_write_b32 v11, v10 offset:16
.LBB749_13:
	s_or_b64 exec, exec, s[14:15]
	v_and_b32_e32 v10, 3, v0
	v_lshlrev_b32_e32 v34, 2, v10
	s_waitcnt lgkmcnt(0)
	s_barrier
	ds_read_b32 v10, v34 offset:16
	s_load_dwordx2 s[14:15], s[4:5], 0x18
	s_waitcnt lgkmcnt(0)
	v_mov_b32_dpp v11, v10 quad_perm:[1,0,3,2] row_mask:0xf bank_mask:0xf
	v_add_f32_e32 v10, v10, v11
	s_nop 1
	v_mov_b32_dpp v11, v10 quad_perm:[2,3,0,1] row_mask:0xf bank_mask:0xf
	s_and_saveexec_b64 s[26:27], s[0:1]
	s_cbranch_execnz .LBB749_18
; %bb.14:
	s_or_b64 exec, exec, s[26:27]
	s_mov_b64 s[2:3], -1
	s_and_b64 vcc, exec, s[22:23]
	s_cbranch_vccnz .LBB749_19
.LBB749_15:
	s_andn2_b64 vcc, exec, s[2:3]
	s_cbranch_vccz .LBB749_22
.LBB749_16:
	s_cmp_lt_i32 s16, 1
	s_cbranch_scc0 .LBB749_25
.LBB749_17:
	s_endpgm
.LBB749_18:
	v_cvt_f32_u32_e32 v12, s7
	v_add_f32_e32 v10, v10, v11
	s_waitcnt vmcnt(2)
	v_mov_b32_e32 v14, s13
	v_mov_b32_e32 v15, s12
	v_div_scale_f32 v11, s[28:29], v12, v12, v10
	v_rcp_f32_e32 v13, v11
	v_cndmask_b32_e64 v14, v14, v15, s[2:3]
	s_mov_b32 s2, 0x800000
	s_waitcnt vmcnt(1)
	v_cvt_f32_f16_sdwa v37, v9 dst_sel:DWORD dst_unused:UNUSED_PAD src0_sel:WORD_1
	v_fma_f32 v15, -v11, v13, 1.0
	v_fmac_f32_e32 v13, v15, v13
	v_div_scale_f32 v15, vcc, v10, v12, v10
	v_mul_f32_e32 v16, v15, v13
	v_fma_f32 v17, -v11, v16, v15
	v_fmac_f32_e32 v16, v17, v13
	v_fma_f32 v11, -v11, v16, v15
	v_div_fmas_f32 v11, v11, v13, v16
	v_div_fixup_f32 v10, v11, v12, v10
	v_add_f32_e32 v10, v14, v10
	v_mul_f32_e32 v11, 0x4b800000, v10
	v_cmp_gt_f32_e32 vcc, s2, v10
	v_cndmask_b32_e32 v10, v10, v11, vcc
	v_rsq_f32_e32 v10, v10
	v_cvt_f32_f16_e32 v36, v9
	s_waitcnt vmcnt(0)
	v_cvt_f32_f16_sdwa v9, v3 dst_sel:DWORD dst_unused:UNUSED_PAD src0_sel:WORD_1
	v_mul_f32_e32 v11, 0x45800000, v10
	v_cndmask_b32_e32 v10, v10, v11, vcc
	v_mov_b32_e32 v11, v10
	;;#ASMSTART
	v_pk_mul_f32 v[12:13], v[32:33], v[10:11]
	;;#ASMEND
	;;#ASMSTART
	v_pk_mul_f32 v[14:15], v[30:31], v[10:11]
	;;#ASMEND
	;; [unrolled: 3-line block ×8, first 2 shown]
	v_cvt_f32_f16_sdwa v19, v6 dst_sel:DWORD dst_unused:UNUSED_PAD src0_sel:WORD_1
	v_cvt_f32_f16_e32 v18, v6
	v_cvt_f32_f16_sdwa v27, v7 dst_sel:DWORD dst_unused:UNUSED_PAD src0_sel:WORD_1
	v_cvt_f32_f16_e32 v26, v7
	;; [unrolled: 2-line block ×3, first 2 shown]
	;;#ASMSTART
	v_pk_mul_f32 v[32:33], v[12:13], v[18:19]
	;;#ASMEND
	;;#ASMSTART
	v_pk_mul_f32 v[30:31], v[14:15], v[26:27]
	;;#ASMEND
	;; [unrolled: 3-line block ×4, first 2 shown]
	v_cvt_f32_f16_sdwa v7, v2 dst_sel:DWORD dst_unused:UNUSED_PAD src0_sel:WORD_1
	v_cvt_f32_f16_e32 v6, v2
	v_cvt_f32_f16_e32 v8, v3
	v_cvt_f32_f16_sdwa v3, v4 dst_sel:DWORD dst_unused:UNUSED_PAD src0_sel:WORD_1
	v_cvt_f32_f16_e32 v2, v4
	v_cvt_f32_f16_sdwa v13, v5 dst_sel:DWORD dst_unused:UNUSED_PAD src0_sel:WORD_1
	v_cvt_f32_f16_e32 v12, v5
	;;#ASMSTART
	v_pk_mul_f32 v[24:25], v[24:25], v[6:7]
	;;#ASMEND
	;;#ASMSTART
	v_pk_mul_f32 v[22:23], v[22:23], v[8:9]
	;;#ASMEND
	;; [unrolled: 3-line block ×4, first 2 shown]
	s_or_b64 exec, exec, s[26:27]
	s_mov_b64 s[2:3], -1
	s_and_b64 vcc, exec, s[22:23]
	s_cbranch_vccz .LBB749_15
.LBB749_19:
	s_and_saveexec_b64 s[2:3], s[0:1]
	s_cbranch_execz .LBB749_21
; %bb.20:
	s_mul_hi_i32 s23, s25, s6
	s_mul_i32 s22, s25, s6
	s_waitcnt vmcnt(0)
	v_cvt_f16_f32_e32 v2, v32
	v_cvt_f16_f32_e32 v3, v30
	;; [unrolled: 1-line block ×8, first 2 shown]
	s_lshl_b64 s[22:23], s[22:23], 1
	s_add_u32 s28, s14, s22
	s_addc_u32 s7, s15, s23
	s_and_b32 s29, s7, 0xffff
	s_mov_b32 s31, 0x20000
	v_pack_b32_f16 v5, v5, v6
	v_pack_b32_f16 v4, v4, v7
	;; [unrolled: 1-line block ×4, first 2 shown]
	v_lshlrev_b32_e32 v6, 5, v0
	buffer_store_dwordx4 v[2:5], v6, s[28:31], 0 offen
	v_cvt_f16_f32_e32 v7, v19
	v_cvt_f16_f32_e32 v2, v24
	;; [unrolled: 1-line block ×8, first 2 shown]
	v_pack_b32_f16 v5, v5, v7
	v_pack_b32_f16 v4, v4, v8
	;; [unrolled: 1-line block ×4, first 2 shown]
	;;#ASMSTART
	s_nop 0
	;;#ASMEND
	buffer_store_dwordx4 v[2:5], v6, s[28:31], 16 offen
	;;#ASMSTART
	s_nop 0
	;;#ASMEND
.LBB749_21:
	s_or_b64 exec, exec, s[2:3]
	s_cbranch_execnz .LBB749_16
.LBB749_22:
	s_and_saveexec_b64 s[2:3], s[0:1]
	s_cbranch_execz .LBB749_24
; %bb.23:
	s_load_dwordx2 s[0:1], s[4:5], 0x10
	s_mul_hi_i32 s23, s24, s6
	s_mul_i32 s22, s24, s6
	s_waitcnt vmcnt(0)
	v_cvt_f16_f32_e32 v2, v32
	v_cvt_f16_f32_e32 v3, v30
	;; [unrolled: 1-line block ×8, first 2 shown]
	s_lshl_b64 s[22:23], s[22:23], 1
	s_waitcnt lgkmcnt(0)
	s_add_u32 s28, s0, s22
	s_addc_u32 s0, s1, s23
	s_mov_b32 s31, 0x20000
	s_and_b32 s29, s0, 0xffff
	v_pack_b32_f16 v5, v5, v6
	v_pack_b32_f16 v4, v4, v7
	;; [unrolled: 1-line block ×4, first 2 shown]
	v_lshlrev_b32_e32 v6, 5, v0
	buffer_store_dwordx4 v[2:5], v6, s[28:31], 0 offen
	v_cvt_f16_f32_e32 v7, v19
	v_cvt_f16_f32_e32 v2, v24
	;; [unrolled: 1-line block ×8, first 2 shown]
	v_pack_b32_f16 v5, v5, v7
	v_pack_b32_f16 v4, v4, v8
	;; [unrolled: 1-line block ×4, first 2 shown]
	;;#ASMSTART
	s_nop 0
	;;#ASMEND
	buffer_store_dwordx4 v[2:5], v6, s[28:31], 16 offen
	;;#ASMSTART
	s_nop 0
	;;#ASMEND
.LBB749_24:
	s_or_b64 exec, exec, s[2:3]
	s_cmp_lt_i32 s16, 1
	s_cbranch_scc1 .LBB749_17
.LBB749_25:
	s_load_dword s0, s[4:5], 0x94
	s_waitcnt lgkmcnt(0)
	s_cmp_lg_u32 s0, 1
	s_cbranch_scc1 .LBB749_17
; %bb.26:
	s_lshl_b32 s0, s16, 1
	s_add_i32 s0, s0, 2
	v_cmp_gt_u32_e32 vcc, s16, v1
	s_and_b32 s22, s0, -4
	v_mov_b32_e32 v18, 0
	v_lshlrev_b32_e32 v1, 5, v0
	s_waitcnt vmcnt(2)
	v_mov_b32_e32 v14, 0
	v_mov_b32_e32 v15, 0
	;; [unrolled: 1-line block ×8, first 2 shown]
	s_waitcnt vmcnt(1)
	v_mov_b32_e32 v6, 0
	v_mov_b32_e32 v7, 0
	;; [unrolled: 1-line block ×4, first 2 shown]
	s_waitcnt vmcnt(0)
	v_mov_b32_e32 v2, 0
	v_mov_b32_e32 v3, 0
	;; [unrolled: 1-line block ×4, first 2 shown]
	s_barrier
	s_and_saveexec_b64 s[0:1], vcc
	s_cbranch_execz .LBB749_28
; %bb.27:
	s_mul_hi_i32 s3, s18, s6
	s_mul_i32 s2, s18, s6
	s_and_b32 s21, s21, 0xffff
	s_lshl_b64 s[2:3], s[2:3], 1
	s_add_u32 s28, s10, s2
	s_mov_b32 s23, 0x20000
	s_addc_u32 s2, s11, s3
	s_and_b32 s29, s2, 0xffff
	s_mov_b32 s30, s22
	s_mov_b32 s31, s23
	buffer_load_dwordx4 v[14:17], v1, s[28:31], 0 offen
	buffer_load_dwordx4 v[10:13], v1, s[28:31], 16 offen
	;; [unrolled: 1-line block ×4, first 2 shown]
.LBB749_28:
	s_or_b64 exec, exec, s[0:1]
	v_mov_b32_e32 v19, 0
	v_mov_b32_e32 v32, 0
	;; [unrolled: 1-line block ×15, first 2 shown]
	s_and_saveexec_b64 s[0:1], vcc
	s_cbranch_execz .LBB749_30
; %bb.29:
	s_waitcnt vmcnt(3)
	v_cvt_f32_f16_sdwa v19, v14 dst_sel:DWORD dst_unused:UNUSED_PAD src0_sel:WORD_1
	v_cvt_f32_f16_e32 v18, v14
	v_cvt_f32_f16_sdwa v33, v15 dst_sel:DWORD dst_unused:UNUSED_PAD src0_sel:WORD_1
	v_cvt_f32_f16_e32 v32, v15
	;; [unrolled: 2-line block ×4, first 2 shown]
	s_waitcnt vmcnt(2)
	v_cvt_f32_f16_sdwa v27, v10 dst_sel:DWORD dst_unused:UNUSED_PAD src0_sel:WORD_1
	v_cvt_f32_f16_e32 v26, v10
	v_cvt_f32_f16_sdwa v25, v11 dst_sel:DWORD dst_unused:UNUSED_PAD src0_sel:WORD_1
	v_cvt_f32_f16_e32 v24, v11
	v_cvt_f32_f16_sdwa v23, v12 dst_sel:DWORD dst_unused:UNUSED_PAD src0_sel:WORD_1
	v_cvt_f32_f16_e32 v22, v12
	v_cvt_f32_f16_sdwa v21, v13 dst_sel:DWORD dst_unused:UNUSED_PAD src0_sel:WORD_1
	v_cvt_f32_f16_e32 v20, v13
.LBB749_30:
	s_or_b64 exec, exec, s[0:1]
	s_waitcnt vmcnt(2)
	v_mul_f32_e32 v10, v19, v19
	v_fmac_f32_e32 v10, v18, v18
	v_fmac_f32_e32 v10, v32, v32
	;; [unrolled: 1-line block ×15, first 2 shown]
	s_nop 1
	v_mov_b32_dpp v11, v10 quad_perm:[1,0,3,2] row_mask:0xf bank_mask:0xf
	v_add_f32_e32 v10, v10, v11
	s_nop 1
	v_mov_b32_dpp v11, v10 quad_perm:[2,3,0,1] row_mask:0xf bank_mask:0xf
	v_add_f32_e32 v10, v10, v11
	s_nop 1
	v_mov_b32_dpp v11, v10 row_half_mirror row_mask:0xf bank_mask:0xf
	v_add_f32_e32 v10, v10, v11
	s_nop 1
	v_mov_b32_dpp v11, v10 row_mirror row_mask:0xf bank_mask:0xf
	v_add_f32_e32 v10, v10, v11
	s_nop 1
	v_mov_b32_dpp v11, v10 row_bcast:15 row_mask:0xf bank_mask:0xf
	v_add_f32_e32 v10, v10, v11
	s_nop 1
	v_mov_b32_dpp v11, v10 row_bcast:31 row_mask:0xf bank_mask:0xf
	s_and_saveexec_b64 s[0:1], s[8:9]
	s_cbranch_execz .LBB749_32
; %bb.31:
	v_lshrrev_b32_e32 v0, 4, v0
	v_add_f32_e32 v10, v10, v11
	v_and_b32_e32 v0, 60, v0
	ds_write_b32 v0, v10
.LBB749_32:
	s_or_b64 exec, exec, s[0:1]
	s_waitcnt lgkmcnt(0)
	s_barrier
	ds_read_b32 v0, v34
	s_waitcnt lgkmcnt(0)
	s_nop 0
	v_mov_b32_dpp v10, v0 quad_perm:[1,0,3,2] row_mask:0xf bank_mask:0xf
	v_add_f32_e32 v0, v0, v10
	s_nop 1
	v_mov_b32_dpp v10, v0 quad_perm:[2,3,0,1] row_mask:0xf bank_mask:0xf
	s_and_saveexec_b64 s[0:1], vcc
	s_cbranch_execz .LBB749_17
; %bb.33:
	v_cvt_f32_u32_e32 v11, s16
	v_add_f32_e32 v0, v0, v10
	s_mov_b32 s23, 0x20000
	v_div_scale_f32 v10, s[0:1], v11, v11, v0
	v_rcp_f32_e32 v12, v10
	v_div_scale_f32 v13, vcc, v0, v11, v0
	s_mov_b32 s0, 0x800000
	v_fma_f32 v14, -v10, v12, 1.0
	v_fmac_f32_e32 v12, v14, v12
	v_mul_f32_e32 v14, v13, v12
	v_fma_f32 v15, -v10, v14, v13
	v_fmac_f32_e32 v14, v15, v12
	v_fma_f32 v10, -v10, v14, v13
	v_div_fmas_f32 v10, v10, v12, v14
	v_div_fixup_f32 v0, v10, v11, v0
	v_add_f32_e32 v0, s13, v0
	v_mul_f32_e32 v10, 0x4b800000, v0
	v_cmp_gt_f32_e32 vcc, s0, v0
	v_cndmask_b32_e32 v0, v0, v10, vcc
	v_rsq_f32_e32 v0, v0
	s_mul_hi_i32 s1, s25, s6
	s_mul_i32 s0, s25, s6
	s_lshl_b64 s[0:1], s[0:1], 1
	v_mul_f32_e32 v10, 0x45800000, v0
	v_cndmask_b32_e32 v10, v0, v10, vcc
	v_mov_b32_e32 v11, v10
	;;#ASMSTART
	v_pk_mul_f32 v[12:13], v[18:19], v[10:11]
	;;#ASMEND
	;;#ASMSTART
	v_pk_mul_f32 v[14:15], v[32:33], v[10:11]
	;;#ASMEND
	;; [unrolled: 3-line block ×8, first 2 shown]
	s_waitcnt vmcnt(1)
	v_cvt_f32_f16_sdwa v21, v6 dst_sel:DWORD dst_unused:UNUSED_PAD src0_sel:WORD_1
	v_cvt_f32_f16_e32 v20, v6
	v_cvt_f32_f16_sdwa v29, v7 dst_sel:DWORD dst_unused:UNUSED_PAD src0_sel:WORD_1
	v_cvt_f32_f16_e32 v28, v7
	;; [unrolled: 2-line block ×4, first 2 shown]
	;;#ASMSTART
	v_pk_mul_f32 v[8:9], v[12:13], v[20:21]
	;;#ASMEND
	;;#ASMSTART
	v_pk_mul_f32 v[12:13], v[14:15], v[28:29]
	;;#ASMEND
	;; [unrolled: 3-line block ×4, first 2 shown]
	s_waitcnt vmcnt(0)
	v_cvt_f32_f16_sdwa v17, v2 dst_sel:DWORD dst_unused:UNUSED_PAD src0_sel:WORD_1
	v_cvt_f32_f16_e32 v16, v2
	v_cvt_f32_f16_sdwa v19, v3 dst_sel:DWORD dst_unused:UNUSED_PAD src0_sel:WORD_1
	v_cvt_f32_f16_e32 v18, v3
	;; [unrolled: 2-line block ×4, first 2 shown]
	;;#ASMSTART
	v_pk_mul_f32 v[16:17], v[26:27], v[16:17]
	;;#ASMEND
	;;#ASMSTART
	v_pk_mul_f32 v[18:19], v[24:25], v[18:19]
	;;#ASMEND
	;; [unrolled: 3-line block ×3, first 2 shown]
	v_cvt_f16_f32_e32 v0, v8
	v_cvt_f16_f32_e32 v2, v9
	;; [unrolled: 1-line block ×8, first 2 shown]
	s_add_u32 s20, s14, s0
	s_addc_u32 s0, s15, s1
	s_and_b32 s21, s0, 0xffff
	v_pack_b32_f16 v2, v0, v2
	v_pack_b32_f16 v3, v3, v4
	;; [unrolled: 1-line block ×4, first 2 shown]
	;;#ASMSTART
	v_pk_mul_f32 v[10:11], v[10:11], v[20:21]
	;;#ASMEND
	buffer_store_dwordx4 v[2:5], v1, s[20:23], 0 offen
	v_cvt_f16_f32_e32 v0, v16
	v_cvt_f16_f32_e32 v2, v17
	;; [unrolled: 1-line block ×8, first 2 shown]
	v_pack_b32_f16 v2, v0, v2
	v_pack_b32_f16 v3, v3, v4
	v_pack_b32_f16 v4, v5, v6
	v_pack_b32_f16 v5, v7, v8
	;;#ASMSTART
	s_nop 0
	;;#ASMEND
	buffer_store_dwordx4 v[2:5], v1, s[20:23], 16 offen
	;;#ASMSTART
	s_nop 0
	;;#ASMEND
	s_endpgm
	.section	.rodata,"a",@progbits
	.p2align	6, 0x0
	.amdhsa_kernel _ZN5aiter35fused_qk_rmsnorm_group_quant_kernelIDF16_DB8_Li256ELi16ELi8ELb1ELb1ELb0ELb1ELb0ELb0EEEvPT0_PvPT_S6_S6_PKS5_S8_S8_S8_S8_ffiiiiiiiiiiiii
		.amdhsa_group_segment_fixed_size 32
		.amdhsa_private_segment_fixed_size 0
		.amdhsa_kernarg_size 400
		.amdhsa_user_sgpr_count 6
		.amdhsa_user_sgpr_private_segment_buffer 1
		.amdhsa_user_sgpr_dispatch_ptr 0
		.amdhsa_user_sgpr_queue_ptr 0
		.amdhsa_user_sgpr_kernarg_segment_ptr 1
		.amdhsa_user_sgpr_dispatch_id 0
		.amdhsa_user_sgpr_flat_scratch_init 0
		.amdhsa_user_sgpr_kernarg_preload_length 0
		.amdhsa_user_sgpr_kernarg_preload_offset 0
		.amdhsa_user_sgpr_private_segment_size 0
		.amdhsa_uses_dynamic_stack 0
		.amdhsa_system_sgpr_private_segment_wavefront_offset 0
		.amdhsa_system_sgpr_workgroup_id_x 1
		.amdhsa_system_sgpr_workgroup_id_y 1
		.amdhsa_system_sgpr_workgroup_id_z 0
		.amdhsa_system_sgpr_workgroup_info 0
		.amdhsa_system_vgpr_workitem_id 0
		.amdhsa_next_free_vgpr 49
		.amdhsa_next_free_sgpr 32
		.amdhsa_accum_offset 52
		.amdhsa_reserve_vcc 1
		.amdhsa_reserve_flat_scratch 0
		.amdhsa_float_round_mode_32 0
		.amdhsa_float_round_mode_16_64 0
		.amdhsa_float_denorm_mode_32 3
		.amdhsa_float_denorm_mode_16_64 3
		.amdhsa_dx10_clamp 1
		.amdhsa_ieee_mode 1
		.amdhsa_fp16_overflow 0
		.amdhsa_tg_split 0
		.amdhsa_exception_fp_ieee_invalid_op 0
		.amdhsa_exception_fp_denorm_src 0
		.amdhsa_exception_fp_ieee_div_zero 0
		.amdhsa_exception_fp_ieee_overflow 0
		.amdhsa_exception_fp_ieee_underflow 0
		.amdhsa_exception_fp_ieee_inexact 0
		.amdhsa_exception_int_div_zero 0
	.end_amdhsa_kernel
	.section	.text._ZN5aiter35fused_qk_rmsnorm_group_quant_kernelIDF16_DB8_Li256ELi16ELi8ELb1ELb1ELb0ELb1ELb0ELb0EEEvPT0_PvPT_S6_S6_PKS5_S8_S8_S8_S8_ffiiiiiiiiiiiii,"axG",@progbits,_ZN5aiter35fused_qk_rmsnorm_group_quant_kernelIDF16_DB8_Li256ELi16ELi8ELb1ELb1ELb0ELb1ELb0ELb0EEEvPT0_PvPT_S6_S6_PKS5_S8_S8_S8_S8_ffiiiiiiiiiiiii,comdat
.Lfunc_end749:
	.size	_ZN5aiter35fused_qk_rmsnorm_group_quant_kernelIDF16_DB8_Li256ELi16ELi8ELb1ELb1ELb0ELb1ELb0ELb0EEEvPT0_PvPT_S6_S6_PKS5_S8_S8_S8_S8_ffiiiiiiiiiiiii, .Lfunc_end749-_ZN5aiter35fused_qk_rmsnorm_group_quant_kernelIDF16_DB8_Li256ELi16ELi8ELb1ELb1ELb0ELb1ELb0ELb0EEEvPT0_PvPT_S6_S6_PKS5_S8_S8_S8_S8_ffiiiiiiiiiiiii
                                        ; -- End function
	.section	.AMDGPU.csdata,"",@progbits
; Kernel info:
; codeLenInByte = 3480
; NumSgprs: 36
; NumVgprs: 49
; NumAgprs: 0
; TotalNumVgprs: 49
; ScratchSize: 0
; MemoryBound: 0
; FloatMode: 240
; IeeeMode: 1
; LDSByteSize: 32 bytes/workgroup (compile time only)
; SGPRBlocks: 4
; VGPRBlocks: 6
; NumSGPRsForWavesPerEU: 36
; NumVGPRsForWavesPerEU: 49
; AccumOffset: 52
; Occupancy: 8
; WaveLimiterHint : 0
; COMPUTE_PGM_RSRC2:SCRATCH_EN: 0
; COMPUTE_PGM_RSRC2:USER_SGPR: 6
; COMPUTE_PGM_RSRC2:TRAP_HANDLER: 0
; COMPUTE_PGM_RSRC2:TGID_X_EN: 1
; COMPUTE_PGM_RSRC2:TGID_Y_EN: 1
; COMPUTE_PGM_RSRC2:TGID_Z_EN: 0
; COMPUTE_PGM_RSRC2:TIDIG_COMP_CNT: 0
; COMPUTE_PGM_RSRC3_GFX90A:ACCUM_OFFSET: 12
; COMPUTE_PGM_RSRC3_GFX90A:TG_SPLIT: 0
	.section	.text._ZN5aiter35fused_qk_rmsnorm_group_quant_kernelItDB8_Li256ELi16ELi8ELb1ELb1ELb0ELb1ELb0ELb0EEEvPT0_PvPT_S6_S6_PKS5_S8_S8_S8_S8_ffiiiiiiiiiiiii,"axG",@progbits,_ZN5aiter35fused_qk_rmsnorm_group_quant_kernelItDB8_Li256ELi16ELi8ELb1ELb1ELb0ELb1ELb0ELb0EEEvPT0_PvPT_S6_S6_PKS5_S8_S8_S8_S8_ffiiiiiiiiiiiii,comdat
	.protected	_ZN5aiter35fused_qk_rmsnorm_group_quant_kernelItDB8_Li256ELi16ELi8ELb1ELb1ELb0ELb1ELb0ELb0EEEvPT0_PvPT_S6_S6_PKS5_S8_S8_S8_S8_ffiiiiiiiiiiiii ; -- Begin function _ZN5aiter35fused_qk_rmsnorm_group_quant_kernelItDB8_Li256ELi16ELi8ELb1ELb1ELb0ELb1ELb0ELb0EEEvPT0_PvPT_S6_S6_PKS5_S8_S8_S8_S8_ffiiiiiiiiiiiii
	.globl	_ZN5aiter35fused_qk_rmsnorm_group_quant_kernelItDB8_Li256ELi16ELi8ELb1ELb1ELb0ELb1ELb0ELb0EEEvPT0_PvPT_S6_S6_PKS5_S8_S8_S8_S8_ffiiiiiiiiiiiii
	.p2align	8
	.type	_ZN5aiter35fused_qk_rmsnorm_group_quant_kernelItDB8_Li256ELi16ELi8ELb1ELb1ELb0ELb1ELb0ELb0EEEvPT0_PvPT_S6_S6_PKS5_S8_S8_S8_S8_ffiiiiiiiiiiiii,@function
_ZN5aiter35fused_qk_rmsnorm_group_quant_kernelItDB8_Li256ELi16ELi8ELb1ELb1ELb0ELb1ELb0ELb0EEEvPT0_PvPT_S6_S6_PKS5_S8_S8_S8_S8_ffiiiiiiiiiiiii: ; @_ZN5aiter35fused_qk_rmsnorm_group_quant_kernelItDB8_Li256ELi16ELi8ELb1ELb1ELb0ELb1ELb0ELb0EEEvPT0_PvPT_S6_S6_PKS5_S8_S8_S8_S8_ffiiiiiiiiiiiii
; %bb.0:
	s_load_dwordx8 s[12:19], s[4:5], 0x50
	s_waitcnt lgkmcnt(0)
	s_cmp_ge_i32 s6, s14
	s_cbranch_scc1 .LBB750_17
; %bb.1:
	s_cmp_lg_u32 s7, 0
	s_cselect_b64 s[22:23], -1, 0
	s_cmp_eq_u32 s7, 0
	s_cselect_b64 s[2:3], -1, 0
	s_and_b64 s[0:1], s[2:3], exec
	s_cselect_b32 s7, s15, s16
	s_load_dwordx2 s[10:11], s[4:5], 0x30
	s_load_dwordx2 s[20:21], s[4:5], 0x48
	s_add_i32 s0, s7, 1
	s_lshr_b32 s1, s0, 31
	s_add_i32 s0, s0, s1
	s_lshl_b32 s0, s0, 1
	v_lshlrev_b32_e32 v1, 4, v0
	s_and_b32 s30, s0, -4
	v_cmp_gt_i32_e64 s[0:1], s7, v1
	v_mov_b32_e32 v76, 0
	v_mov_b32_e32 v77, 0
	;; [unrolled: 1-line block ×16, first 2 shown]
	s_and_saveexec_b64 s[8:9], s[0:1]
	s_cbranch_execz .LBB750_3
; %bb.2:
	s_load_dwordx2 s[14:15], s[4:5], 0x28
	s_load_dwordx2 s[26:27], s[4:5], 0x40
	s_and_b64 s[24:25], s[2:3], exec
	s_cselect_b32 s17, s17, s18
	s_mov_b32 s31, 0x20000
	s_waitcnt lgkmcnt(0)
	s_cselect_b32 s25, s15, s11
	s_cselect_b32 s24, s14, s10
	s_mul_hi_i32 s15, s17, s6
	s_mul_i32 s14, s17, s6
	s_lshl_b64 s[14:15], s[14:15], 1
	s_add_u32 s24, s24, s14
	s_addc_u32 s17, s25, s15
	s_and_b64 s[14:15], s[2:3], exec
	s_cselect_b32 s28, s26, s20
	s_cselect_b32 s14, s27, s21
	s_and_b32 s25, s17, 0xffff
	s_mov_b32 s26, s30
	s_mov_b32 s27, s31
	v_lshlrev_b32_e32 v2, 5, v0
	s_and_b32 s29, s14, 0xffff
	buffer_load_dwordx4 v[80:83], v2, s[24:27], 0 offen
	buffer_load_dwordx4 v[84:87], v2, s[24:27], 16 offen
	;; [unrolled: 1-line block ×4, first 2 shown]
.LBB750_3:
	s_or_b64 exec, exec, s[8:9]
	s_load_dwordx4 s[24:27], s[4:5], 0x7c
	s_and_b64 vcc, exec, s[22:23]
	s_cbranch_vccz .LBB750_7
; %bb.4:
	v_mov_b32_e32 v89, 0
	v_mov_b32_e32 v88, 0
	;; [unrolled: 1-line block ×16, first 2 shown]
	s_and_saveexec_b64 s[8:9], s[0:1]
	s_cbranch_execz .LBB750_6
; %bb.5:
	s_waitcnt vmcnt(3)
	v_cvt_f32_u32_sdwa v18, v80 dst_sel:DWORD dst_unused:UNUSED_PAD src0_sel:WORD_0
	v_cvt_f32_u32_sdwa v19, v80 dst_sel:DWORD dst_unused:UNUSED_PAD src0_sel:WORD_1
	v_cvt_f32_u32_sdwa v4, v81 dst_sel:DWORD dst_unused:UNUSED_PAD src0_sel:WORD_0
	v_cvt_f32_u32_sdwa v5, v81 dst_sel:DWORD dst_unused:UNUSED_PAD src0_sel:WORD_1
	;; [unrolled: 2-line block ×4, first 2 shown]
	s_waitcnt vmcnt(2)
	v_cvt_f32_u32_sdwa v64, v84 dst_sel:DWORD dst_unused:UNUSED_PAD src0_sel:WORD_0
	v_cvt_f32_u32_sdwa v65, v84 dst_sel:DWORD dst_unused:UNUSED_PAD src0_sel:WORD_1
	v_cvt_f32_u32_sdwa v48, v85 dst_sel:DWORD dst_unused:UNUSED_PAD src0_sel:WORD_0
	v_cvt_f32_u32_sdwa v49, v85 dst_sel:DWORD dst_unused:UNUSED_PAD src0_sel:WORD_1
	v_cvt_f32_u32_sdwa v32, v86 dst_sel:DWORD dst_unused:UNUSED_PAD src0_sel:WORD_0
	v_cvt_f32_u32_sdwa v33, v86 dst_sel:DWORD dst_unused:UNUSED_PAD src0_sel:WORD_1
	v_cvt_f32_u32_sdwa v88, v87 dst_sel:DWORD dst_unused:UNUSED_PAD src0_sel:WORD_0
	v_cvt_f32_u32_sdwa v89, v87 dst_sel:DWORD dst_unused:UNUSED_PAD src0_sel:WORD_1
.LBB750_6:
	s_or_b64 exec, exec, s[8:9]
	s_cbranch_execz .LBB750_8
	s_branch .LBB750_11
.LBB750_7:
                                        ; implicit-def: $vgpr18_vgpr19_vgpr20_vgpr21_vgpr22_vgpr23_vgpr24_vgpr25_vgpr26_vgpr27_vgpr28_vgpr29_vgpr30_vgpr31_vgpr32_vgpr33
                                        ; implicit-def: $vgpr50_vgpr51_vgpr52_vgpr53_vgpr54_vgpr55_vgpr56_vgpr57_vgpr58_vgpr59_vgpr60_vgpr61_vgpr62_vgpr63_vgpr64_vgpr65
                                        ; implicit-def: $vgpr30_vgpr31_vgpr32_vgpr33_vgpr34_vgpr35_vgpr36_vgpr37_vgpr38_vgpr39_vgpr40_vgpr41_vgpr42_vgpr43_vgpr44_vgpr45
                                        ; implicit-def: $vgpr89
                                        ; implicit-def: $vgpr2_vgpr3_vgpr4_vgpr5_vgpr6_vgpr7_vgpr8_vgpr9_vgpr10_vgpr11_vgpr12_vgpr13_vgpr14_vgpr15_vgpr16_vgpr17
                                        ; implicit-def: $vgpr56_vgpr57_vgpr58_vgpr59_vgpr60_vgpr61_vgpr62_vgpr63_vgpr64_vgpr65_vgpr66_vgpr67_vgpr68_vgpr69_vgpr70_vgpr71
                                        ; implicit-def: $vgpr38_vgpr39_vgpr40_vgpr41_vgpr42_vgpr43_vgpr44_vgpr45_vgpr46_vgpr47_vgpr48_vgpr49_vgpr50_vgpr51_vgpr52_vgpr53
                                        ; implicit-def: $vgpr20_vgpr21_vgpr22_vgpr23_vgpr24_vgpr25_vgpr26_vgpr27_vgpr28_vgpr29_vgpr30_vgpr31_vgpr32_vgpr33_vgpr34_vgpr35
.LBB750_8:
	v_mov_b32_e32 v89, 0
	v_mov_b32_e32 v88, 0
	;; [unrolled: 1-line block ×16, first 2 shown]
	s_and_saveexec_b64 s[8:9], s[0:1]
	s_cbranch_execz .LBB750_10
; %bb.9:
	s_load_dwordx2 s[14:15], s[4:5], 0x38
	s_mul_hi_i32 s29, s19, s6
	s_mul_i32 s28, s19, s6
	s_lshl_b64 s[28:29], s[28:29], 1
	s_mov_b32 s31, 0x20000
	s_waitcnt lgkmcnt(0)
	s_add_u32 s28, s14, s28
	s_addc_u32 s14, s15, s29
	s_and_b32 s29, s14, 0xffff
	v_lshlrev_b32_e32 v38, 5, v0
	buffer_load_dwordx4 v[4:7], v38, s[28:31], 16 offen
	buffer_load_dwordx4 v[8:11], v38, s[28:31], 0 offen
	s_load_dwordx2 s[14:15], s[4:5], 0x20
	s_waitcnt vmcnt(5)
	v_cvt_f32_u32_sdwa v19, v80 dst_sel:DWORD dst_unused:UNUSED_PAD src0_sel:WORD_1
	v_cvt_f32_u32_sdwa v18, v80 dst_sel:DWORD dst_unused:UNUSED_PAD src0_sel:WORD_0
	v_cvt_f32_u32_sdwa v21, v81 dst_sel:DWORD dst_unused:UNUSED_PAD src0_sel:WORD_1
	v_cvt_f32_u32_sdwa v20, v81 dst_sel:DWORD dst_unused:UNUSED_PAD src0_sel:WORD_0
	v_cvt_f32_u32_sdwa v23, v82 dst_sel:DWORD dst_unused:UNUSED_PAD src0_sel:WORD_1
	v_cvt_f32_u32_sdwa v22, v82 dst_sel:DWORD dst_unused:UNUSED_PAD src0_sel:WORD_0
	v_cvt_f32_u32_sdwa v25, v83 dst_sel:DWORD dst_unused:UNUSED_PAD src0_sel:WORD_1
	v_cvt_f32_u32_sdwa v24, v83 dst_sel:DWORD dst_unused:UNUSED_PAD src0_sel:WORD_0
	s_waitcnt vmcnt(4)
	v_cvt_f32_u32_sdwa v3, v84 dst_sel:DWORD dst_unused:UNUSED_PAD src0_sel:WORD_1
	v_cvt_f32_u32_sdwa v2, v84 dst_sel:DWORD dst_unused:UNUSED_PAD src0_sel:WORD_0
	v_cvt_f32_u32_sdwa v13, v85 dst_sel:DWORD dst_unused:UNUSED_PAD src0_sel:WORD_1
	v_cvt_f32_u32_sdwa v12, v85 dst_sel:DWORD dst_unused:UNUSED_PAD src0_sel:WORD_0
	;; [unrolled: 2-line block ×3, first 2 shown]
	v_cvt_f32_u32_sdwa v16, v87 dst_sel:DWORD dst_unused:UNUSED_PAD src0_sel:WORD_0
	v_cvt_f32_u32_sdwa v17, v87 dst_sel:DWORD dst_unused:UNUSED_PAD src0_sel:WORD_1
	s_mul_hi_i32 s27, s26, s6
	s_mul_i32 s26, s26, s6
	s_lshl_b64 s[26:27], s[26:27], 1
	s_waitcnt lgkmcnt(0)
	s_add_u32 s28, s14, s26
	s_mov_b32 s17, 0x7060302
	s_addc_u32 s14, s15, s27
	s_and_b32 s29, s14, 0xffff
	s_waitcnt vmcnt(1)
	v_cvt_f32_u32_sdwa v27, v4 dst_sel:DWORD dst_unused:UNUSED_PAD src0_sel:WORD_1
	v_cvt_f32_u32_sdwa v26, v4 dst_sel:DWORD dst_unused:UNUSED_PAD src0_sel:WORD_0
	v_cvt_f32_u32_sdwa v29, v5 dst_sel:DWORD dst_unused:UNUSED_PAD src0_sel:WORD_1
	v_cvt_f32_u32_sdwa v28, v5 dst_sel:DWORD dst_unused:UNUSED_PAD src0_sel:WORD_0
	v_cvt_f32_u32_sdwa v31, v6 dst_sel:DWORD dst_unused:UNUSED_PAD src0_sel:WORD_1
	v_cvt_f32_u32_sdwa v30, v6 dst_sel:DWORD dst_unused:UNUSED_PAD src0_sel:WORD_0
	v_cvt_f32_u32_sdwa v32, v7 dst_sel:DWORD dst_unused:UNUSED_PAD src0_sel:WORD_0
	v_cvt_f32_u32_sdwa v33, v7 dst_sel:DWORD dst_unused:UNUSED_PAD src0_sel:WORD_1
	s_waitcnt vmcnt(0)
	v_cvt_f32_u32_sdwa v35, v8 dst_sel:DWORD dst_unused:UNUSED_PAD src0_sel:WORD_1
	v_cvt_f32_u32_sdwa v34, v8 dst_sel:DWORD dst_unused:UNUSED_PAD src0_sel:WORD_0
	v_cvt_f32_u32_sdwa v5, v10 dst_sel:DWORD dst_unused:UNUSED_PAD src0_sel:WORD_1
	v_cvt_f32_u32_sdwa v4, v10 dst_sel:DWORD dst_unused:UNUSED_PAD src0_sel:WORD_0
	;; [unrolled: 2-line block ×4, first 2 shown]
	v_pk_add_f32 v[54:55], v[22:23], v[4:5]
	v_pk_add_f32 v[36:37], v[24:25], v[6:7]
	;; [unrolled: 1-line block ×4, first 2 shown]
	v_perm_b32 v9, v37, v36, s17
	v_perm_b32 v8, v55, v54, s17
	;; [unrolled: 1-line block ×4, first 2 shown]
	v_pk_add_f32 v[88:89], v[16:17], v[32:33]
	v_pk_add_f32 v[32:33], v[14:15], v[30:31]
	;; [unrolled: 1-line block ×4, first 2 shown]
	buffer_store_dwordx4 v[6:9], v38, s[28:31], 0 offen
	;;#ASMSTART
	s_nop 0
	;;#ASMEND
	s_nop 0
	v_perm_b32 v9, v89, v88, s17
	v_perm_b32 v8, v33, v32, s17
	;; [unrolled: 1-line block ×4, first 2 shown]
	buffer_store_dwordx4 v[6:9], v38, s[28:31], 16 offen
	;;#ASMSTART
	s_nop 0
	;;#ASMEND
.LBB750_10:
	s_or_b64 exec, exec, s[8:9]
.LBB750_11:
	v_mul_f32_e32 v2, v19, v19
	v_fmac_f32_e32 v2, v18, v18
	v_fmac_f32_e32 v2, v4, v4
	;; [unrolled: 1-line block ×15, first 2 shown]
	s_nop 1
	v_mov_b32_dpp v3, v2 quad_perm:[1,0,3,2] row_mask:0xf bank_mask:0xf
	v_add_f32_e32 v2, v2, v3
	s_nop 1
	v_mov_b32_dpp v3, v2 quad_perm:[2,3,0,1] row_mask:0xf bank_mask:0xf
	v_add_f32_e32 v2, v2, v3
	s_nop 1
	v_mov_b32_dpp v3, v2 row_half_mirror row_mask:0xf bank_mask:0xf
	v_add_f32_e32 v2, v2, v3
	s_nop 1
	v_mov_b32_dpp v3, v2 row_mirror row_mask:0xf bank_mask:0xf
	v_add_f32_e32 v2, v2, v3
	s_nop 1
	v_mov_b32_dpp v3, v2 row_bcast:15 row_mask:0xf bank_mask:0xf
	v_add_f32_e32 v2, v2, v3
	v_and_b32_e32 v3, 63, v0
	v_cmp_eq_u32_e64 s[8:9], 63, v3
	s_nop 0
	v_mov_b32_dpp v3, v2 row_bcast:31 row_mask:0xf bank_mask:0xf
	s_and_saveexec_b64 s[14:15], s[8:9]
	s_cbranch_execz .LBB750_13
; %bb.12:
	v_add_f32_e32 v2, v2, v3
	v_lshrrev_b32_e32 v3, 4, v0
	v_and_b32_e32 v3, 60, v3
	ds_write_b32 v3, v2 offset:16
.LBB750_13:
	s_or_b64 exec, exec, s[14:15]
	v_and_b32_e32 v2, 3, v0
	v_lshlrev_b32_e32 v34, 2, v2
	s_waitcnt lgkmcnt(0)
	s_barrier
	ds_read_b32 v2, v34 offset:16
	s_load_dwordx2 s[14:15], s[4:5], 0x18
	s_waitcnt lgkmcnt(0)
	v_mov_b32_dpp v3, v2 quad_perm:[1,0,3,2] row_mask:0xf bank_mask:0xf
	v_add_f32_e32 v2, v2, v3
	s_nop 1
	v_mov_b32_dpp v3, v2 quad_perm:[2,3,0,1] row_mask:0xf bank_mask:0xf
	s_and_saveexec_b64 s[26:27], s[0:1]
	s_cbranch_execnz .LBB750_18
; %bb.14:
	s_or_b64 exec, exec, s[26:27]
	s_mov_b64 s[2:3], -1
	s_and_b64 vcc, exec, s[22:23]
	s_cbranch_vccnz .LBB750_19
.LBB750_15:
	s_andn2_b64 vcc, exec, s[2:3]
	s_cbranch_vccz .LBB750_22
.LBB750_16:
	s_cmp_lt_i32 s16, 1
	s_cbranch_scc0 .LBB750_25
.LBB750_17:
	s_endpgm
.LBB750_18:
	v_add_f32_e32 v2, v2, v3
	v_cvt_f32_u32_e32 v3, s7
	s_waitcnt vmcnt(1)
	v_cvt_f32_u32_sdwa v17, v76 dst_sel:DWORD dst_unused:UNUSED_PAD src0_sel:WORD_1
	v_cvt_f32_u32_sdwa v16, v76 dst_sel:DWORD dst_unused:UNUSED_PAD src0_sel:WORD_0
	v_cvt_f32_u32_sdwa v21, v77 dst_sel:DWORD dst_unused:UNUSED_PAD src0_sel:WORD_1
	v_div_scale_f32 v6, s[28:29], v3, v3, v2
	v_rcp_f32_e32 v7, v6
	v_cvt_f32_u32_sdwa v20, v77 dst_sel:DWORD dst_unused:UNUSED_PAD src0_sel:WORD_0
	s_waitcnt vmcnt(0)
	v_cvt_f32_u32_sdwa v25, v73 dst_sel:DWORD dst_unused:UNUSED_PAD src0_sel:WORD_1
	v_cvt_f32_u32_sdwa v24, v73 dst_sel:DWORD dst_unused:UNUSED_PAD src0_sel:WORD_0
	v_fma_f32 v8, -v6, v7, 1.0
	v_fmac_f32_e32 v7, v8, v7
	v_div_scale_f32 v8, vcc, v2, v3, v2
	v_mul_f32_e32 v9, v8, v7
	v_fma_f32 v10, -v6, v9, v8
	v_fmac_f32_e32 v9, v10, v7
	v_fma_f32 v6, -v6, v9, v8
	v_div_fmas_f32 v6, v6, v7, v9
	v_div_fixup_f32 v2, v6, v3, v2
	v_mov_b32_e32 v3, s13
	v_mov_b32_e32 v6, s12
	v_cndmask_b32_e64 v3, v3, v6, s[2:3]
	v_add_f32_e32 v2, v3, v2
	s_mov_b32 s2, 0x800000
	v_mul_f32_e32 v3, 0x4b800000, v2
	v_cmp_gt_f32_e32 vcc, s2, v2
	v_cndmask_b32_e32 v2, v2, v3, vcc
	v_rsq_f32_e32 v2, v2
	v_cvt_f32_u32_sdwa v27, v74 dst_sel:DWORD dst_unused:UNUSED_PAD src0_sel:WORD_1
	v_cvt_f32_u32_sdwa v26, v74 dst_sel:DWORD dst_unused:UNUSED_PAD src0_sel:WORD_0
	v_cvt_f32_u32_sdwa v29, v75 dst_sel:DWORD dst_unused:UNUSED_PAD src0_sel:WORD_1
	v_mul_f32_e32 v3, 0x45800000, v2
	v_cndmask_b32_e32 v2, v2, v3, vcc
	v_mov_b32_e32 v3, v2
	;;#ASMSTART
	v_pk_mul_f32 v[6:7], v[18:19], v[2:3]
	;;#ASMEND
	;;#ASMSTART
	v_pk_mul_f32 v[4:5], v[4:5], v[2:3]
	;;#ASMEND
	;; [unrolled: 3-line block ×10, first 2 shown]
	v_cvt_f32_u32_sdwa v7, v78 dst_sel:DWORD dst_unused:UNUSED_PAD src0_sel:WORD_1
	v_cvt_f32_u32_sdwa v6, v78 dst_sel:DWORD dst_unused:UNUSED_PAD src0_sel:WORD_0
	v_cvt_f32_u32_sdwa v17, v79 dst_sel:DWORD dst_unused:UNUSED_PAD src0_sel:WORD_1
	v_cvt_f32_u32_sdwa v16, v79 dst_sel:DWORD dst_unused:UNUSED_PAD src0_sel:WORD_0
	;; [unrolled: 2-line block ×3, first 2 shown]
	v_cvt_f32_u32_sdwa v28, v75 dst_sel:DWORD dst_unused:UNUSED_PAD src0_sel:WORD_0
	;;#ASMSTART
	v_pk_mul_f32 v[54:55], v[8:9], v[6:7]
	;;#ASMEND
	;;#ASMSTART
	v_pk_mul_f32 v[36:37], v[10:11], v[16:17]
	;;#ASMEND
	;; [unrolled: 3-line block ×6, first 2 shown]
	s_or_b64 exec, exec, s[26:27]
	s_mov_b64 s[2:3], -1
	s_and_b64 vcc, exec, s[22:23]
	s_cbranch_vccz .LBB750_15
.LBB750_19:
	s_and_saveexec_b64 s[2:3], s[0:1]
	s_cbranch_execz .LBB750_21
; %bb.20:
	s_mul_hi_i32 s23, s25, s6
	s_mul_i32 s22, s25, s6
	s_lshl_b64 s[22:23], s[22:23], 1
	s_add_u32 s28, s14, s22
	s_addc_u32 s7, s15, s23
	s_and_b32 s29, s7, 0xffff
	s_mov_b32 s7, 0x7060302
	s_mov_b32 s31, 0x20000
	v_perm_b32 v9, v37, v36, s7
	v_perm_b32 v8, v55, v54, s7
	;; [unrolled: 1-line block ×4, first 2 shown]
	v_lshlrev_b32_e32 v2, 5, v0
	buffer_store_dwordx4 v[6:9], v2, s[28:31], 0 offen
	;;#ASMSTART
	s_nop 0
	;;#ASMEND
	s_nop 0
	v_perm_b32 v9, v89, v88, s7
	v_perm_b32 v8, v33, v32, s7
	;; [unrolled: 1-line block ×4, first 2 shown]
	buffer_store_dwordx4 v[6:9], v2, s[28:31], 16 offen
	;;#ASMSTART
	s_nop 0
	;;#ASMEND
.LBB750_21:
	s_or_b64 exec, exec, s[2:3]
	s_cbranch_execnz .LBB750_16
.LBB750_22:
	s_and_saveexec_b64 s[2:3], s[0:1]
	s_cbranch_execz .LBB750_24
; %bb.23:
	s_load_dwordx2 s[0:1], s[4:5], 0x10
	s_mul_hi_i32 s23, s24, s6
	s_mul_i32 s22, s24, s6
	s_lshl_b64 s[22:23], s[22:23], 1
	s_mov_b32 s7, 0x7060302
	s_waitcnt lgkmcnt(0)
	s_add_u32 s28, s0, s22
	s_addc_u32 s0, s1, s23
	v_perm_b32 v7, v37, v36, s7
	v_perm_b32 v6, v55, v54, s7
	v_perm_b32 v5, v5, v4, s7
	v_perm_b32 v4, v19, v18, s7
	s_and_b32 s29, s0, 0xffff
	s_mov_b32 s31, 0x20000
	v_lshlrev_b32_e32 v8, 5, v0
	buffer_store_dwordx4 v[4:7], v8, s[28:31], 0 offen
	v_perm_b32 v3, v49, v48, s7
	v_perm_b32 v5, v89, v88, s7
	;; [unrolled: 1-line block ×4, first 2 shown]
	;;#ASMSTART
	s_nop 0
	;;#ASMEND
	buffer_store_dwordx4 v[2:5], v8, s[28:31], 16 offen
	;;#ASMSTART
	s_nop 0
	;;#ASMEND
.LBB750_24:
	s_or_b64 exec, exec, s[2:3]
	s_cmp_lt_i32 s16, 1
	s_cbranch_scc1 .LBB750_17
.LBB750_25:
	s_load_dword s0, s[4:5], 0x94
	s_waitcnt lgkmcnt(0)
	s_cmp_lg_u32 s0, 1
	s_cbranch_scc1 .LBB750_17
; %bb.26:
	s_lshl_b32 s0, s16, 1
	s_add_i32 s0, s0, 2
	v_cmp_gt_u32_e32 vcc, s16, v1
	s_and_b32 s22, s0, -4
	v_mov_b32_e32 v18, 0
	v_lshlrev_b32_e32 v1, 5, v0
	v_mov_b32_e32 v14, 0
	v_mov_b32_e32 v15, 0
	;; [unrolled: 1-line block ×16, first 2 shown]
	s_barrier
	s_and_saveexec_b64 s[0:1], vcc
	s_cbranch_execz .LBB750_28
; %bb.27:
	s_mul_hi_i32 s3, s18, s6
	s_mul_i32 s2, s18, s6
	s_and_b32 s21, s21, 0xffff
	s_lshl_b64 s[2:3], s[2:3], 1
	s_add_u32 s28, s10, s2
	s_mov_b32 s23, 0x20000
	s_addc_u32 s2, s11, s3
	s_and_b32 s29, s2, 0xffff
	s_mov_b32 s30, s22
	s_mov_b32 s31, s23
	buffer_load_dwordx4 v[14:17], v1, s[28:31], 0 offen
	buffer_load_dwordx4 v[10:13], v1, s[28:31], 16 offen
	;; [unrolled: 1-line block ×4, first 2 shown]
.LBB750_28:
	s_or_b64 exec, exec, s[0:1]
	v_mov_b32_e32 v19, 0
	v_mov_b32_e32 v32, 0
	;; [unrolled: 1-line block ×15, first 2 shown]
	s_and_saveexec_b64 s[0:1], vcc
	s_cbranch_execz .LBB750_30
; %bb.29:
	s_waitcnt vmcnt(3)
	v_cvt_f32_u32_sdwa v18, v14 dst_sel:DWORD dst_unused:UNUSED_PAD src0_sel:WORD_0
	v_cvt_f32_u32_sdwa v19, v14 dst_sel:DWORD dst_unused:UNUSED_PAD src0_sel:WORD_1
	v_cvt_f32_u32_sdwa v32, v15 dst_sel:DWORD dst_unused:UNUSED_PAD src0_sel:WORD_0
	v_cvt_f32_u32_sdwa v33, v15 dst_sel:DWORD dst_unused:UNUSED_PAD src0_sel:WORD_1
	;; [unrolled: 2-line block ×4, first 2 shown]
	s_waitcnt vmcnt(2)
	v_cvt_f32_u32_sdwa v26, v10 dst_sel:DWORD dst_unused:UNUSED_PAD src0_sel:WORD_0
	v_cvt_f32_u32_sdwa v27, v10 dst_sel:DWORD dst_unused:UNUSED_PAD src0_sel:WORD_1
	v_cvt_f32_u32_sdwa v24, v11 dst_sel:DWORD dst_unused:UNUSED_PAD src0_sel:WORD_0
	v_cvt_f32_u32_sdwa v25, v11 dst_sel:DWORD dst_unused:UNUSED_PAD src0_sel:WORD_1
	;; [unrolled: 2-line block ×4, first 2 shown]
.LBB750_30:
	s_or_b64 exec, exec, s[0:1]
	s_waitcnt vmcnt(2)
	v_mul_f32_e32 v10, v19, v19
	v_fmac_f32_e32 v10, v18, v18
	v_fmac_f32_e32 v10, v32, v32
	;; [unrolled: 1-line block ×15, first 2 shown]
	s_nop 1
	v_mov_b32_dpp v11, v10 quad_perm:[1,0,3,2] row_mask:0xf bank_mask:0xf
	v_add_f32_e32 v10, v10, v11
	s_nop 1
	v_mov_b32_dpp v11, v10 quad_perm:[2,3,0,1] row_mask:0xf bank_mask:0xf
	v_add_f32_e32 v10, v10, v11
	s_nop 1
	v_mov_b32_dpp v11, v10 row_half_mirror row_mask:0xf bank_mask:0xf
	v_add_f32_e32 v10, v10, v11
	s_nop 1
	v_mov_b32_dpp v11, v10 row_mirror row_mask:0xf bank_mask:0xf
	v_add_f32_e32 v10, v10, v11
	s_nop 1
	v_mov_b32_dpp v11, v10 row_bcast:15 row_mask:0xf bank_mask:0xf
	v_add_f32_e32 v10, v10, v11
	s_nop 1
	v_mov_b32_dpp v11, v10 row_bcast:31 row_mask:0xf bank_mask:0xf
	s_and_saveexec_b64 s[0:1], s[8:9]
	s_cbranch_execz .LBB750_32
; %bb.31:
	v_lshrrev_b32_e32 v0, 4, v0
	v_add_f32_e32 v10, v10, v11
	v_and_b32_e32 v0, 60, v0
	ds_write_b32 v0, v10
.LBB750_32:
	s_or_b64 exec, exec, s[0:1]
	s_waitcnt lgkmcnt(0)
	s_barrier
	ds_read_b32 v0, v34
	s_waitcnt lgkmcnt(0)
	s_nop 0
	v_mov_b32_dpp v10, v0 quad_perm:[1,0,3,2] row_mask:0xf bank_mask:0xf
	v_add_f32_e32 v0, v0, v10
	s_nop 1
	v_mov_b32_dpp v10, v0 quad_perm:[2,3,0,1] row_mask:0xf bank_mask:0xf
	s_and_saveexec_b64 s[0:1], vcc
	s_cbranch_execz .LBB750_17
; %bb.33:
	v_cvt_f32_u32_e32 v11, s16
	v_add_f32_e32 v0, v0, v10
	s_mov_b32 s23, 0x20000
	v_div_scale_f32 v10, s[0:1], v11, v11, v0
	v_rcp_f32_e32 v12, v10
	v_div_scale_f32 v13, vcc, v0, v11, v0
	s_mov_b32 s0, 0x800000
	v_fma_f32 v14, -v10, v12, 1.0
	v_fmac_f32_e32 v12, v14, v12
	v_mul_f32_e32 v14, v13, v12
	v_fma_f32 v15, -v10, v14, v13
	v_fmac_f32_e32 v14, v15, v12
	v_fma_f32 v10, -v10, v14, v13
	v_div_fmas_f32 v10, v10, v12, v14
	v_div_fixup_f32 v0, v10, v11, v0
	v_add_f32_e32 v0, s13, v0
	v_mul_f32_e32 v10, 0x4b800000, v0
	v_cmp_gt_f32_e32 vcc, s0, v0
	v_cndmask_b32_e32 v0, v0, v10, vcc
	v_rsq_f32_e32 v0, v0
	s_mul_hi_i32 s1, s25, s6
	s_mul_i32 s0, s25, s6
	s_lshl_b64 s[0:1], s[0:1], 1
	v_mul_f32_e32 v10, 0x45800000, v0
	v_cndmask_b32_e32 v10, v0, v10, vcc
	v_mov_b32_e32 v11, v10
	s_add_u32 s20, s14, s0
	;;#ASMSTART
	v_pk_mul_f32 v[12:13], v[18:19], v[10:11]
	;;#ASMEND
	;;#ASMSTART
	v_pk_mul_f32 v[14:15], v[32:33], v[10:11]
	;;#ASMEND
	;; [unrolled: 3-line block ×8, first 2 shown]
	s_waitcnt vmcnt(1)
	v_cvt_f32_u32_sdwa v21, v6 dst_sel:DWORD dst_unused:UNUSED_PAD src0_sel:WORD_1
	v_cvt_f32_u32_sdwa v20, v6 dst_sel:DWORD dst_unused:UNUSED_PAD src0_sel:WORD_0
	v_cvt_f32_u32_sdwa v29, v7 dst_sel:DWORD dst_unused:UNUSED_PAD src0_sel:WORD_1
	v_cvt_f32_u32_sdwa v28, v7 dst_sel:DWORD dst_unused:UNUSED_PAD src0_sel:WORD_0
	;; [unrolled: 2-line block ×3, first 2 shown]
	s_addc_u32 s0, s15, s1
	v_cvt_f32_u32_sdwa v31, v9 dst_sel:DWORD dst_unused:UNUSED_PAD src0_sel:WORD_1
	v_cvt_f32_u32_sdwa v30, v9 dst_sel:DWORD dst_unused:UNUSED_PAD src0_sel:WORD_0
	;;#ASMSTART
	v_pk_mul_f32 v[8:9], v[12:13], v[20:21]
	;;#ASMEND
	;;#ASMSTART
	v_pk_mul_f32 v[12:13], v[14:15], v[28:29]
	;;#ASMEND
	;; [unrolled: 3-line block ×4, first 2 shown]
	s_waitcnt vmcnt(0)
	v_cvt_f32_u32_sdwa v17, v2 dst_sel:DWORD dst_unused:UNUSED_PAD src0_sel:WORD_1
	v_cvt_f32_u32_sdwa v16, v2 dst_sel:DWORD dst_unused:UNUSED_PAD src0_sel:WORD_0
	v_cvt_f32_u32_sdwa v19, v3 dst_sel:DWORD dst_unused:UNUSED_PAD src0_sel:WORD_1
	v_cvt_f32_u32_sdwa v18, v3 dst_sel:DWORD dst_unused:UNUSED_PAD src0_sel:WORD_0
	;; [unrolled: 2-line block ×3, first 2 shown]
	s_and_b32 s21, s0, 0xffff
	s_mov_b32 s0, 0x7060302
	v_cvt_f32_u32_sdwa v21, v5 dst_sel:DWORD dst_unused:UNUSED_PAD src0_sel:WORD_1
	v_cvt_f32_u32_sdwa v20, v5 dst_sel:DWORD dst_unused:UNUSED_PAD src0_sel:WORD_0
	;;#ASMSTART
	v_pk_mul_f32 v[16:17], v[26:27], v[16:17]
	;;#ASMEND
	;;#ASMSTART
	v_pk_mul_f32 v[18:19], v[24:25], v[18:19]
	;;#ASMEND
	;; [unrolled: 3-line block ×3, first 2 shown]
	v_perm_b32 v2, v9, v8, s0
	v_perm_b32 v3, v13, v12, s0
	;; [unrolled: 1-line block ×4, first 2 shown]
	;;#ASMSTART
	v_pk_mul_f32 v[10:11], v[10:11], v[20:21]
	;;#ASMEND
	buffer_store_dwordx4 v[2:5], v1, s[20:23], 0 offen
	;;#ASMSTART
	s_nop 0
	;;#ASMEND
	s_nop 0
	v_perm_b32 v2, v17, v16, s0
	v_perm_b32 v3, v19, v18, s0
	;; [unrolled: 1-line block ×4, first 2 shown]
	buffer_store_dwordx4 v[2:5], v1, s[20:23], 16 offen
	;;#ASMSTART
	s_nop 0
	;;#ASMEND
	s_endpgm
	.section	.rodata,"a",@progbits
	.p2align	6, 0x0
	.amdhsa_kernel _ZN5aiter35fused_qk_rmsnorm_group_quant_kernelItDB8_Li256ELi16ELi8ELb1ELb1ELb0ELb1ELb0ELb0EEEvPT0_PvPT_S6_S6_PKS5_S8_S8_S8_S8_ffiiiiiiiiiiiii
		.amdhsa_group_segment_fixed_size 32
		.amdhsa_private_segment_fixed_size 0
		.amdhsa_kernarg_size 400
		.amdhsa_user_sgpr_count 6
		.amdhsa_user_sgpr_private_segment_buffer 1
		.amdhsa_user_sgpr_dispatch_ptr 0
		.amdhsa_user_sgpr_queue_ptr 0
		.amdhsa_user_sgpr_kernarg_segment_ptr 1
		.amdhsa_user_sgpr_dispatch_id 0
		.amdhsa_user_sgpr_flat_scratch_init 0
		.amdhsa_user_sgpr_kernarg_preload_length 0
		.amdhsa_user_sgpr_kernarg_preload_offset 0
		.amdhsa_user_sgpr_private_segment_size 0
		.amdhsa_uses_dynamic_stack 0
		.amdhsa_system_sgpr_private_segment_wavefront_offset 0
		.amdhsa_system_sgpr_workgroup_id_x 1
		.amdhsa_system_sgpr_workgroup_id_y 1
		.amdhsa_system_sgpr_workgroup_id_z 0
		.amdhsa_system_sgpr_workgroup_info 0
		.amdhsa_system_vgpr_workitem_id 0
		.amdhsa_next_free_vgpr 90
		.amdhsa_next_free_sgpr 32
		.amdhsa_accum_offset 92
		.amdhsa_reserve_vcc 1
		.amdhsa_reserve_flat_scratch 0
		.amdhsa_float_round_mode_32 0
		.amdhsa_float_round_mode_16_64 0
		.amdhsa_float_denorm_mode_32 3
		.amdhsa_float_denorm_mode_16_64 3
		.amdhsa_dx10_clamp 1
		.amdhsa_ieee_mode 1
		.amdhsa_fp16_overflow 0
		.amdhsa_tg_split 0
		.amdhsa_exception_fp_ieee_invalid_op 0
		.amdhsa_exception_fp_denorm_src 0
		.amdhsa_exception_fp_ieee_div_zero 0
		.amdhsa_exception_fp_ieee_overflow 0
		.amdhsa_exception_fp_ieee_underflow 0
		.amdhsa_exception_fp_ieee_inexact 0
		.amdhsa_exception_int_div_zero 0
	.end_amdhsa_kernel
	.section	.text._ZN5aiter35fused_qk_rmsnorm_group_quant_kernelItDB8_Li256ELi16ELi8ELb1ELb1ELb0ELb1ELb0ELb0EEEvPT0_PvPT_S6_S6_PKS5_S8_S8_S8_S8_ffiiiiiiiiiiiii,"axG",@progbits,_ZN5aiter35fused_qk_rmsnorm_group_quant_kernelItDB8_Li256ELi16ELi8ELb1ELb1ELb0ELb1ELb0ELb0EEEvPT0_PvPT_S6_S6_PKS5_S8_S8_S8_S8_ffiiiiiiiiiiiii,comdat
.Lfunc_end750:
	.size	_ZN5aiter35fused_qk_rmsnorm_group_quant_kernelItDB8_Li256ELi16ELi8ELb1ELb1ELb0ELb1ELb0ELb0EEEvPT0_PvPT_S6_S6_PKS5_S8_S8_S8_S8_ffiiiiiiiiiiiii, .Lfunc_end750-_ZN5aiter35fused_qk_rmsnorm_group_quant_kernelItDB8_Li256ELi16ELi8ELb1ELb1ELb0ELb1ELb0ELb0EEEvPT0_PvPT_S6_S6_PKS5_S8_S8_S8_S8_ffiiiiiiiiiiiii
                                        ; -- End function
	.section	.AMDGPU.csdata,"",@progbits
; Kernel info:
; codeLenInByte = 3440
; NumSgprs: 36
; NumVgprs: 90
; NumAgprs: 0
; TotalNumVgprs: 90
; ScratchSize: 0
; MemoryBound: 0
; FloatMode: 240
; IeeeMode: 1
; LDSByteSize: 32 bytes/workgroup (compile time only)
; SGPRBlocks: 4
; VGPRBlocks: 11
; NumSGPRsForWavesPerEU: 36
; NumVGPRsForWavesPerEU: 90
; AccumOffset: 92
; Occupancy: 5
; WaveLimiterHint : 0
; COMPUTE_PGM_RSRC2:SCRATCH_EN: 0
; COMPUTE_PGM_RSRC2:USER_SGPR: 6
; COMPUTE_PGM_RSRC2:TRAP_HANDLER: 0
; COMPUTE_PGM_RSRC2:TGID_X_EN: 1
; COMPUTE_PGM_RSRC2:TGID_Y_EN: 1
; COMPUTE_PGM_RSRC2:TGID_Z_EN: 0
; COMPUTE_PGM_RSRC2:TIDIG_COMP_CNT: 0
; COMPUTE_PGM_RSRC3_GFX90A:ACCUM_OFFSET: 22
; COMPUTE_PGM_RSRC3_GFX90A:TG_SPLIT: 0
	.section	.text._ZN5aiter35fused_qk_rmsnorm_group_quant_kernelIDF16_N4opus5fp4_tELi256ELi16ELi8ELb1ELb1ELb0ELb1ELb0ELb0EEEvPT0_PvPT_S7_S7_PKS6_S9_S9_S9_S9_ffiiiiiiiiiiiii,"axG",@progbits,_ZN5aiter35fused_qk_rmsnorm_group_quant_kernelIDF16_N4opus5fp4_tELi256ELi16ELi8ELb1ELb1ELb0ELb1ELb0ELb0EEEvPT0_PvPT_S7_S7_PKS6_S9_S9_S9_S9_ffiiiiiiiiiiiii,comdat
	.protected	_ZN5aiter35fused_qk_rmsnorm_group_quant_kernelIDF16_N4opus5fp4_tELi256ELi16ELi8ELb1ELb1ELb0ELb1ELb0ELb0EEEvPT0_PvPT_S7_S7_PKS6_S9_S9_S9_S9_ffiiiiiiiiiiiii ; -- Begin function _ZN5aiter35fused_qk_rmsnorm_group_quant_kernelIDF16_N4opus5fp4_tELi256ELi16ELi8ELb1ELb1ELb0ELb1ELb0ELb0EEEvPT0_PvPT_S7_S7_PKS6_S9_S9_S9_S9_ffiiiiiiiiiiiii
	.globl	_ZN5aiter35fused_qk_rmsnorm_group_quant_kernelIDF16_N4opus5fp4_tELi256ELi16ELi8ELb1ELb1ELb0ELb1ELb0ELb0EEEvPT0_PvPT_S7_S7_PKS6_S9_S9_S9_S9_ffiiiiiiiiiiiii
	.p2align	8
	.type	_ZN5aiter35fused_qk_rmsnorm_group_quant_kernelIDF16_N4opus5fp4_tELi256ELi16ELi8ELb1ELb1ELb0ELb1ELb0ELb0EEEvPT0_PvPT_S7_S7_PKS6_S9_S9_S9_S9_ffiiiiiiiiiiiii,@function
_ZN5aiter35fused_qk_rmsnorm_group_quant_kernelIDF16_N4opus5fp4_tELi256ELi16ELi8ELb1ELb1ELb0ELb1ELb0ELb0EEEvPT0_PvPT_S7_S7_PKS6_S9_S9_S9_S9_ffiiiiiiiiiiiii: ; @_ZN5aiter35fused_qk_rmsnorm_group_quant_kernelIDF16_N4opus5fp4_tELi256ELi16ELi8ELb1ELb1ELb0ELb1ELb0ELb0EEEvPT0_PvPT_S7_S7_PKS6_S9_S9_S9_S9_ffiiiiiiiiiiiii
; %bb.0:
	s_load_dwordx8 s[12:19], s[4:5], 0x50
	s_waitcnt lgkmcnt(0)
	s_cmp_ge_i32 s6, s14
	s_cbranch_scc1 .LBB751_17
; %bb.1:
	s_cmp_lg_u32 s7, 0
	s_cselect_b64 s[22:23], -1, 0
	s_cmp_eq_u32 s7, 0
	s_cselect_b64 s[2:3], -1, 0
	s_and_b64 s[0:1], s[2:3], exec
	s_cselect_b32 s7, s15, s16
	s_load_dwordx2 s[10:11], s[4:5], 0x30
	s_load_dwordx2 s[20:21], s[4:5], 0x48
	s_add_i32 s0, s7, 1
	s_lshr_b32 s1, s0, 31
	s_add_i32 s0, s0, s1
	s_lshl_b32 s0, s0, 1
	v_lshlrev_b32_e32 v1, 4, v0
	s_and_b32 s30, s0, -4
	v_cmp_gt_i32_e64 s[0:1], s7, v1
	v_mov_b32_e32 v6, 0
	v_mov_b32_e32 v7, 0
	v_mov_b32_e32 v8, 0
	v_mov_b32_e32 v9, 0
	v_mov_b32_e32 v2, 0
	v_mov_b32_e32 v3, 0
	v_mov_b32_e32 v4, 0
	v_mov_b32_e32 v5, 0
	v_mov_b32_e32 v10, 0
	v_mov_b32_e32 v11, 0
	v_mov_b32_e32 v12, 0
	v_mov_b32_e32 v13, 0
	v_mov_b32_e32 v14, 0
	v_mov_b32_e32 v15, 0
	v_mov_b32_e32 v16, 0
	v_mov_b32_e32 v17, 0
	s_and_saveexec_b64 s[8:9], s[0:1]
	s_cbranch_execz .LBB751_3
; %bb.2:
	s_load_dwordx2 s[14:15], s[4:5], 0x28
	s_load_dwordx2 s[26:27], s[4:5], 0x40
	s_and_b64 s[24:25], s[2:3], exec
	s_cselect_b32 s17, s17, s18
	s_mov_b32 s31, 0x20000
	s_waitcnt lgkmcnt(0)
	s_cselect_b32 s25, s15, s11
	s_cselect_b32 s24, s14, s10
	s_mul_hi_i32 s15, s17, s6
	s_mul_i32 s14, s17, s6
	s_lshl_b64 s[14:15], s[14:15], 1
	s_add_u32 s24, s24, s14
	s_addc_u32 s17, s25, s15
	s_and_b64 s[14:15], s[2:3], exec
	s_cselect_b32 s28, s26, s20
	s_cselect_b32 s14, s27, s21
	s_and_b32 s25, s17, 0xffff
	s_mov_b32 s26, s30
	s_mov_b32 s27, s31
	v_lshlrev_b32_e32 v18, 5, v0
	s_and_b32 s29, s14, 0xffff
	buffer_load_dwordx4 v[10:13], v18, s[24:27], 0 offen
	buffer_load_dwordx4 v[14:17], v18, s[24:27], 16 offen
	;; [unrolled: 1-line block ×4, first 2 shown]
.LBB751_3:
	s_or_b64 exec, exec, s[8:9]
	s_load_dwordx4 s[24:27], s[4:5], 0x7c
	s_and_b64 vcc, exec, s[22:23]
	s_cbranch_vccz .LBB751_7
; %bb.4:
	v_mov_b32_e32 v19, 0
	v_mov_b32_e32 v18, 0
	;; [unrolled: 1-line block ×16, first 2 shown]
	s_and_saveexec_b64 s[8:9], s[0:1]
	s_cbranch_execz .LBB751_6
; %bb.5:
	s_waitcnt vmcnt(3)
	v_cvt_f32_f16_sdwa v33, v10 dst_sel:DWORD dst_unused:UNUSED_PAD src0_sel:WORD_1
	v_cvt_f32_f16_e32 v32, v10
	v_cvt_f32_f16_sdwa v31, v11 dst_sel:DWORD dst_unused:UNUSED_PAD src0_sel:WORD_1
	v_cvt_f32_f16_e32 v30, v11
	;; [unrolled: 2-line block ×4, first 2 shown]
	s_waitcnt vmcnt(2)
	v_cvt_f32_f16_sdwa v25, v14 dst_sel:DWORD dst_unused:UNUSED_PAD src0_sel:WORD_1
	v_cvt_f32_f16_e32 v24, v14
	v_cvt_f32_f16_sdwa v23, v15 dst_sel:DWORD dst_unused:UNUSED_PAD src0_sel:WORD_1
	v_cvt_f32_f16_e32 v22, v15
	;; [unrolled: 2-line block ×4, first 2 shown]
.LBB751_6:
	s_or_b64 exec, exec, s[8:9]
	s_cbranch_execz .LBB751_8
	s_branch .LBB751_11
.LBB751_7:
                                        ; implicit-def: $vgpr19
                                        ; implicit-def: $vgpr21
                                        ; implicit-def: $vgpr23
                                        ; implicit-def: $vgpr25
                                        ; implicit-def: $vgpr29
                                        ; implicit-def: $vgpr27
                                        ; implicit-def: $vgpr31
                                        ; implicit-def: $vgpr33
.LBB751_8:
	v_mov_b32_e32 v19, 0
	v_mov_b32_e32 v18, 0
	;; [unrolled: 1-line block ×16, first 2 shown]
	s_and_saveexec_b64 s[8:9], s[0:1]
	s_cbranch_execz .LBB751_10
; %bb.9:
	s_load_dwordx2 s[14:15], s[4:5], 0x38
	s_mul_hi_i32 s29, s19, s6
	s_mul_i32 s28, s19, s6
	s_lshl_b64 s[28:29], s[28:29], 1
	s_mov_b32 s31, 0x20000
	s_waitcnt lgkmcnt(0)
	s_add_u32 s28, s14, s28
	s_addc_u32 s14, s15, s29
	s_and_b32 s29, s14, 0xffff
	v_lshlrev_b32_e32 v48, 5, v0
	buffer_load_dwordx4 v[18:21], v48, s[28:31], 16 offen
	buffer_load_dwordx4 v[22:25], v48, s[28:31], 0 offen
	s_waitcnt vmcnt(4)
	v_cvt_f32_f16_sdwa v27, v14 dst_sel:DWORD dst_unused:UNUSED_PAD src0_sel:WORD_1
	v_cvt_f32_f16_e32 v26, v14
	v_cvt_f32_f16_sdwa v29, v15 dst_sel:DWORD dst_unused:UNUSED_PAD src0_sel:WORD_1
	v_cvt_f32_f16_e32 v28, v15
	;; [unrolled: 2-line block ×8, first 2 shown]
	s_load_dwordx2 s[14:15], s[4:5], 0x20
	s_mul_hi_i32 s27, s26, s6
	s_mul_i32 s26, s26, s6
	s_lshl_b64 s[26:27], s[26:27], 1
	s_waitcnt lgkmcnt(0)
	s_add_u32 s28, s14, s26
	s_addc_u32 s14, s15, s27
	s_and_b32 s29, s14, 0xffff
	s_waitcnt vmcnt(1)
	v_cvt_f32_f16_e32 v12, v18
	v_cvt_f32_f16_sdwa v13, v18 dst_sel:DWORD dst_unused:UNUSED_PAD src0_sel:WORD_1
	v_cvt_f32_f16_e32 v18, v19
	v_cvt_f32_f16_sdwa v19, v19 dst_sel:DWORD dst_unused:UNUSED_PAD src0_sel:WORD_1
	;; [unrolled: 2-line block ×4, first 2 shown]
	s_waitcnt vmcnt(0)
	v_cvt_f32_f16_e32 v40, v22
	v_cvt_f32_f16_sdwa v41, v22 dst_sel:DWORD dst_unused:UNUSED_PAD src0_sel:WORD_1
	v_cvt_f32_f16_e32 v42, v23
	v_cvt_f32_f16_sdwa v43, v23 dst_sel:DWORD dst_unused:UNUSED_PAD src0_sel:WORD_1
	;; [unrolled: 2-line block ×4, first 2 shown]
	v_pk_add_f32 v[24:25], v[26:27], v[12:13]
	v_pk_add_f32 v[22:23], v[28:29], v[18:19]
	v_pk_add_f32 v[20:21], v[14:15], v[32:33]
	v_pk_add_f32 v[18:19], v[30:31], v[38:39]
	v_pk_add_f32 v[32:33], v[16:17], v[40:41]
	v_pk_add_f32 v[30:31], v[34:35], v[42:43]
	v_pk_add_f32 v[26:27], v[10:11], v[44:45]
	v_pk_add_f32 v[28:29], v[36:37], v[46:47]
	v_cvt_f16_f32_e32 v10, v33
	v_cvt_f16_f32_e32 v14, v32
	;; [unrolled: 1-line block ×16, first 2 shown]
	v_pack_b32_f16 v13, v17, v13
	v_pack_b32_f16 v12, v16, v12
	;; [unrolled: 1-line block ×8, first 2 shown]
	buffer_store_dwordx4 v[10:13], v48, s[28:31], 0 offen
	;;#ASMSTART
	s_nop 0
	;;#ASMEND
	buffer_store_dwordx4 v[14:17], v48, s[28:31], 16 offen
	;;#ASMSTART
	s_nop 0
	;;#ASMEND
.LBB751_10:
	s_or_b64 exec, exec, s[8:9]
.LBB751_11:
	s_waitcnt vmcnt(3)
	v_mul_f32_e32 v10, v33, v33
	v_fmac_f32_e32 v10, v32, v32
	v_fmac_f32_e32 v10, v30, v30
	v_fmac_f32_e32 v10, v31, v31
	v_fmac_f32_e32 v10, v26, v26
	v_fmac_f32_e32 v10, v27, v27
	v_fmac_f32_e32 v10, v28, v28
	v_fmac_f32_e32 v10, v29, v29
	v_fmac_f32_e32 v10, v24, v24
	v_fmac_f32_e32 v10, v25, v25
	v_fmac_f32_e32 v10, v22, v22
	v_fmac_f32_e32 v10, v23, v23
	v_fmac_f32_e32 v10, v20, v20
	v_fmac_f32_e32 v10, v21, v21
	v_fmac_f32_e32 v10, v18, v18
	v_fmac_f32_e32 v10, v19, v19
	v_and_b32_e32 v12, 63, v0
	v_cmp_eq_u32_e64 s[8:9], 63, v12
	v_mov_b32_dpp v11, v10 quad_perm:[1,0,3,2] row_mask:0xf bank_mask:0xf
	v_add_f32_e32 v10, v10, v11
	s_nop 1
	v_mov_b32_dpp v11, v10 quad_perm:[2,3,0,1] row_mask:0xf bank_mask:0xf
	v_add_f32_e32 v10, v10, v11
	s_nop 1
	v_mov_b32_dpp v11, v10 row_half_mirror row_mask:0xf bank_mask:0xf
	v_add_f32_e32 v10, v10, v11
	s_nop 1
	v_mov_b32_dpp v11, v10 row_mirror row_mask:0xf bank_mask:0xf
	v_add_f32_e32 v10, v10, v11
	s_nop 1
	v_mov_b32_dpp v11, v10 row_bcast:15 row_mask:0xf bank_mask:0xf
	v_add_f32_e32 v10, v10, v11
	s_nop 1
	v_mov_b32_dpp v11, v10 row_bcast:31 row_mask:0xf bank_mask:0xf
	s_and_saveexec_b64 s[14:15], s[8:9]
	s_cbranch_execz .LBB751_13
; %bb.12:
	v_add_f32_e32 v10, v10, v11
	v_lshrrev_b32_e32 v11, 4, v0
	v_and_b32_e32 v11, 60, v11
	ds_write_b32 v11, v10 offset:16
.LBB751_13:
	s_or_b64 exec, exec, s[14:15]
	v_and_b32_e32 v10, 3, v0
	v_lshlrev_b32_e32 v34, 2, v10
	s_waitcnt lgkmcnt(0)
	s_barrier
	ds_read_b32 v10, v34 offset:16
	s_load_dwordx2 s[14:15], s[4:5], 0x18
	s_waitcnt lgkmcnt(0)
	v_mov_b32_dpp v11, v10 quad_perm:[1,0,3,2] row_mask:0xf bank_mask:0xf
	v_add_f32_e32 v10, v10, v11
	s_nop 1
	v_mov_b32_dpp v11, v10 quad_perm:[2,3,0,1] row_mask:0xf bank_mask:0xf
	s_and_saveexec_b64 s[26:27], s[0:1]
	s_cbranch_execnz .LBB751_18
; %bb.14:
	s_or_b64 exec, exec, s[26:27]
	s_mov_b64 s[2:3], -1
	s_and_b64 vcc, exec, s[22:23]
	s_cbranch_vccnz .LBB751_19
.LBB751_15:
	s_andn2_b64 vcc, exec, s[2:3]
	s_cbranch_vccz .LBB751_22
.LBB751_16:
	s_cmp_lt_i32 s16, 1
	s_cbranch_scc0 .LBB751_25
.LBB751_17:
	s_endpgm
.LBB751_18:
	v_cvt_f32_u32_e32 v12, s7
	v_add_f32_e32 v10, v10, v11
	s_waitcnt vmcnt(2)
	v_mov_b32_e32 v14, s13
	v_mov_b32_e32 v15, s12
	v_div_scale_f32 v11, s[28:29], v12, v12, v10
	v_rcp_f32_e32 v13, v11
	v_cndmask_b32_e64 v14, v14, v15, s[2:3]
	s_mov_b32 s2, 0x800000
	s_waitcnt vmcnt(1)
	v_cvt_f32_f16_sdwa v37, v9 dst_sel:DWORD dst_unused:UNUSED_PAD src0_sel:WORD_1
	v_fma_f32 v15, -v11, v13, 1.0
	v_fmac_f32_e32 v13, v15, v13
	v_div_scale_f32 v15, vcc, v10, v12, v10
	v_mul_f32_e32 v16, v15, v13
	v_fma_f32 v17, -v11, v16, v15
	v_fmac_f32_e32 v16, v17, v13
	v_fma_f32 v11, -v11, v16, v15
	v_div_fmas_f32 v11, v11, v13, v16
	v_div_fixup_f32 v10, v11, v12, v10
	v_add_f32_e32 v10, v14, v10
	v_mul_f32_e32 v11, 0x4b800000, v10
	v_cmp_gt_f32_e32 vcc, s2, v10
	v_cndmask_b32_e32 v10, v10, v11, vcc
	v_rsq_f32_e32 v10, v10
	v_cvt_f32_f16_e32 v36, v9
	s_waitcnt vmcnt(0)
	v_cvt_f32_f16_sdwa v9, v3 dst_sel:DWORD dst_unused:UNUSED_PAD src0_sel:WORD_1
	v_mul_f32_e32 v11, 0x45800000, v10
	v_cndmask_b32_e32 v10, v10, v11, vcc
	v_mov_b32_e32 v11, v10
	;;#ASMSTART
	v_pk_mul_f32 v[12:13], v[32:33], v[10:11]
	;;#ASMEND
	;;#ASMSTART
	v_pk_mul_f32 v[14:15], v[30:31], v[10:11]
	;;#ASMEND
	;; [unrolled: 3-line block ×8, first 2 shown]
	v_cvt_f32_f16_sdwa v19, v6 dst_sel:DWORD dst_unused:UNUSED_PAD src0_sel:WORD_1
	v_cvt_f32_f16_e32 v18, v6
	v_cvt_f32_f16_sdwa v27, v7 dst_sel:DWORD dst_unused:UNUSED_PAD src0_sel:WORD_1
	v_cvt_f32_f16_e32 v26, v7
	;; [unrolled: 2-line block ×3, first 2 shown]
	;;#ASMSTART
	v_pk_mul_f32 v[32:33], v[12:13], v[18:19]
	;;#ASMEND
	;;#ASMSTART
	v_pk_mul_f32 v[30:31], v[14:15], v[26:27]
	;;#ASMEND
	;;#ASMSTART
	v_pk_mul_f32 v[26:27], v[16:17], v[6:7]
	;;#ASMEND
	;;#ASMSTART
	v_pk_mul_f32 v[28:29], v[28:29], v[36:37]
	;;#ASMEND
	v_cvt_f32_f16_sdwa v7, v2 dst_sel:DWORD dst_unused:UNUSED_PAD src0_sel:WORD_1
	v_cvt_f32_f16_e32 v6, v2
	v_cvt_f32_f16_e32 v8, v3
	v_cvt_f32_f16_sdwa v3, v4 dst_sel:DWORD dst_unused:UNUSED_PAD src0_sel:WORD_1
	v_cvt_f32_f16_e32 v2, v4
	v_cvt_f32_f16_sdwa v13, v5 dst_sel:DWORD dst_unused:UNUSED_PAD src0_sel:WORD_1
	v_cvt_f32_f16_e32 v12, v5
	;;#ASMSTART
	v_pk_mul_f32 v[24:25], v[24:25], v[6:7]
	;;#ASMEND
	;;#ASMSTART
	v_pk_mul_f32 v[22:23], v[22:23], v[8:9]
	;;#ASMEND
	;; [unrolled: 3-line block ×4, first 2 shown]
	s_or_b64 exec, exec, s[26:27]
	s_mov_b64 s[2:3], -1
	s_and_b64 vcc, exec, s[22:23]
	s_cbranch_vccz .LBB751_15
.LBB751_19:
	s_and_saveexec_b64 s[2:3], s[0:1]
	s_cbranch_execz .LBB751_21
; %bb.20:
	s_mul_hi_i32 s23, s25, s6
	s_mul_i32 s22, s25, s6
	s_waitcnt vmcnt(0)
	v_cvt_f16_f32_e32 v2, v32
	v_cvt_f16_f32_e32 v3, v30
	;; [unrolled: 1-line block ×8, first 2 shown]
	s_lshl_b64 s[22:23], s[22:23], 1
	s_add_u32 s28, s14, s22
	s_addc_u32 s7, s15, s23
	s_and_b32 s29, s7, 0xffff
	s_mov_b32 s31, 0x20000
	v_pack_b32_f16 v5, v5, v6
	v_pack_b32_f16 v4, v4, v7
	;; [unrolled: 1-line block ×4, first 2 shown]
	v_lshlrev_b32_e32 v6, 5, v0
	buffer_store_dwordx4 v[2:5], v6, s[28:31], 0 offen
	v_cvt_f16_f32_e32 v7, v19
	v_cvt_f16_f32_e32 v2, v24
	;; [unrolled: 1-line block ×8, first 2 shown]
	v_pack_b32_f16 v5, v5, v7
	v_pack_b32_f16 v4, v4, v8
	;; [unrolled: 1-line block ×4, first 2 shown]
	;;#ASMSTART
	s_nop 0
	;;#ASMEND
	buffer_store_dwordx4 v[2:5], v6, s[28:31], 16 offen
	;;#ASMSTART
	s_nop 0
	;;#ASMEND
.LBB751_21:
	s_or_b64 exec, exec, s[2:3]
	s_cbranch_execnz .LBB751_16
.LBB751_22:
	s_and_saveexec_b64 s[2:3], s[0:1]
	s_cbranch_execz .LBB751_24
; %bb.23:
	s_load_dwordx2 s[0:1], s[4:5], 0x10
	s_mul_hi_i32 s23, s24, s6
	s_mul_i32 s22, s24, s6
	s_waitcnt vmcnt(0)
	v_cvt_f16_f32_e32 v2, v32
	v_cvt_f16_f32_e32 v3, v30
	;; [unrolled: 1-line block ×8, first 2 shown]
	s_lshl_b64 s[22:23], s[22:23], 1
	s_waitcnt lgkmcnt(0)
	s_add_u32 s28, s0, s22
	s_addc_u32 s0, s1, s23
	s_mov_b32 s31, 0x20000
	s_and_b32 s29, s0, 0xffff
	v_pack_b32_f16 v5, v5, v6
	v_pack_b32_f16 v4, v4, v7
	;; [unrolled: 1-line block ×4, first 2 shown]
	v_lshlrev_b32_e32 v6, 5, v0
	buffer_store_dwordx4 v[2:5], v6, s[28:31], 0 offen
	v_cvt_f16_f32_e32 v7, v19
	v_cvt_f16_f32_e32 v2, v24
	;; [unrolled: 1-line block ×8, first 2 shown]
	v_pack_b32_f16 v5, v5, v7
	v_pack_b32_f16 v4, v4, v8
	;; [unrolled: 1-line block ×4, first 2 shown]
	;;#ASMSTART
	s_nop 0
	;;#ASMEND
	buffer_store_dwordx4 v[2:5], v6, s[28:31], 16 offen
	;;#ASMSTART
	s_nop 0
	;;#ASMEND
.LBB751_24:
	s_or_b64 exec, exec, s[2:3]
	s_cmp_lt_i32 s16, 1
	s_cbranch_scc1 .LBB751_17
.LBB751_25:
	s_load_dword s0, s[4:5], 0x94
	s_waitcnt lgkmcnt(0)
	s_cmp_lg_u32 s0, 1
	s_cbranch_scc1 .LBB751_17
; %bb.26:
	s_lshl_b32 s0, s16, 1
	s_add_i32 s0, s0, 2
	v_cmp_gt_u32_e32 vcc, s16, v1
	s_and_b32 s22, s0, -4
	v_mov_b32_e32 v18, 0
	v_lshlrev_b32_e32 v1, 5, v0
	s_waitcnt vmcnt(2)
	v_mov_b32_e32 v14, 0
	v_mov_b32_e32 v15, 0
	;; [unrolled: 1-line block ×8, first 2 shown]
	s_waitcnt vmcnt(1)
	v_mov_b32_e32 v6, 0
	v_mov_b32_e32 v7, 0
	;; [unrolled: 1-line block ×4, first 2 shown]
	s_waitcnt vmcnt(0)
	v_mov_b32_e32 v2, 0
	v_mov_b32_e32 v3, 0
	;; [unrolled: 1-line block ×4, first 2 shown]
	s_barrier
	s_and_saveexec_b64 s[0:1], vcc
	s_cbranch_execz .LBB751_28
; %bb.27:
	s_mul_hi_i32 s3, s18, s6
	s_mul_i32 s2, s18, s6
	s_and_b32 s21, s21, 0xffff
	s_lshl_b64 s[2:3], s[2:3], 1
	s_add_u32 s28, s10, s2
	s_mov_b32 s23, 0x20000
	s_addc_u32 s2, s11, s3
	s_and_b32 s29, s2, 0xffff
	s_mov_b32 s30, s22
	s_mov_b32 s31, s23
	buffer_load_dwordx4 v[14:17], v1, s[28:31], 0 offen
	buffer_load_dwordx4 v[10:13], v1, s[28:31], 16 offen
	buffer_load_dwordx4 v[6:9], v1, s[20:23], 0 offen
	buffer_load_dwordx4 v[2:5], v1, s[20:23], 16 offen
.LBB751_28:
	s_or_b64 exec, exec, s[0:1]
	v_mov_b32_e32 v19, 0
	v_mov_b32_e32 v32, 0
	;; [unrolled: 1-line block ×15, first 2 shown]
	s_and_saveexec_b64 s[0:1], vcc
	s_cbranch_execz .LBB751_30
; %bb.29:
	s_waitcnt vmcnt(3)
	v_cvt_f32_f16_sdwa v19, v14 dst_sel:DWORD dst_unused:UNUSED_PAD src0_sel:WORD_1
	v_cvt_f32_f16_e32 v18, v14
	v_cvt_f32_f16_sdwa v33, v15 dst_sel:DWORD dst_unused:UNUSED_PAD src0_sel:WORD_1
	v_cvt_f32_f16_e32 v32, v15
	;; [unrolled: 2-line block ×4, first 2 shown]
	s_waitcnt vmcnt(2)
	v_cvt_f32_f16_sdwa v27, v10 dst_sel:DWORD dst_unused:UNUSED_PAD src0_sel:WORD_1
	v_cvt_f32_f16_e32 v26, v10
	v_cvt_f32_f16_sdwa v25, v11 dst_sel:DWORD dst_unused:UNUSED_PAD src0_sel:WORD_1
	v_cvt_f32_f16_e32 v24, v11
	;; [unrolled: 2-line block ×4, first 2 shown]
.LBB751_30:
	s_or_b64 exec, exec, s[0:1]
	s_waitcnt vmcnt(2)
	v_mul_f32_e32 v10, v19, v19
	v_fmac_f32_e32 v10, v18, v18
	v_fmac_f32_e32 v10, v32, v32
	;; [unrolled: 1-line block ×15, first 2 shown]
	s_nop 1
	v_mov_b32_dpp v11, v10 quad_perm:[1,0,3,2] row_mask:0xf bank_mask:0xf
	v_add_f32_e32 v10, v10, v11
	s_nop 1
	v_mov_b32_dpp v11, v10 quad_perm:[2,3,0,1] row_mask:0xf bank_mask:0xf
	v_add_f32_e32 v10, v10, v11
	s_nop 1
	v_mov_b32_dpp v11, v10 row_half_mirror row_mask:0xf bank_mask:0xf
	v_add_f32_e32 v10, v10, v11
	s_nop 1
	v_mov_b32_dpp v11, v10 row_mirror row_mask:0xf bank_mask:0xf
	v_add_f32_e32 v10, v10, v11
	s_nop 1
	v_mov_b32_dpp v11, v10 row_bcast:15 row_mask:0xf bank_mask:0xf
	v_add_f32_e32 v10, v10, v11
	s_nop 1
	v_mov_b32_dpp v11, v10 row_bcast:31 row_mask:0xf bank_mask:0xf
	s_and_saveexec_b64 s[0:1], s[8:9]
	s_cbranch_execz .LBB751_32
; %bb.31:
	v_lshrrev_b32_e32 v0, 4, v0
	v_add_f32_e32 v10, v10, v11
	v_and_b32_e32 v0, 60, v0
	ds_write_b32 v0, v10
.LBB751_32:
	s_or_b64 exec, exec, s[0:1]
	s_waitcnt lgkmcnt(0)
	s_barrier
	ds_read_b32 v0, v34
	s_waitcnt lgkmcnt(0)
	s_nop 0
	v_mov_b32_dpp v10, v0 quad_perm:[1,0,3,2] row_mask:0xf bank_mask:0xf
	v_add_f32_e32 v0, v0, v10
	s_nop 1
	v_mov_b32_dpp v10, v0 quad_perm:[2,3,0,1] row_mask:0xf bank_mask:0xf
	s_and_saveexec_b64 s[0:1], vcc
	s_cbranch_execz .LBB751_17
; %bb.33:
	v_cvt_f32_u32_e32 v11, s16
	v_add_f32_e32 v0, v0, v10
	s_mov_b32 s23, 0x20000
	v_div_scale_f32 v10, s[0:1], v11, v11, v0
	v_rcp_f32_e32 v12, v10
	v_div_scale_f32 v13, vcc, v0, v11, v0
	s_mov_b32 s0, 0x800000
	v_fma_f32 v14, -v10, v12, 1.0
	v_fmac_f32_e32 v12, v14, v12
	v_mul_f32_e32 v14, v13, v12
	v_fma_f32 v15, -v10, v14, v13
	v_fmac_f32_e32 v14, v15, v12
	v_fma_f32 v10, -v10, v14, v13
	v_div_fmas_f32 v10, v10, v12, v14
	v_div_fixup_f32 v0, v10, v11, v0
	v_add_f32_e32 v0, s13, v0
	v_mul_f32_e32 v10, 0x4b800000, v0
	v_cmp_gt_f32_e32 vcc, s0, v0
	v_cndmask_b32_e32 v0, v0, v10, vcc
	v_rsq_f32_e32 v0, v0
	s_mul_hi_i32 s1, s25, s6
	s_mul_i32 s0, s25, s6
	s_lshl_b64 s[0:1], s[0:1], 1
	v_mul_f32_e32 v10, 0x45800000, v0
	v_cndmask_b32_e32 v10, v0, v10, vcc
	v_mov_b32_e32 v11, v10
	;;#ASMSTART
	v_pk_mul_f32 v[12:13], v[18:19], v[10:11]
	;;#ASMEND
	;;#ASMSTART
	v_pk_mul_f32 v[14:15], v[32:33], v[10:11]
	;;#ASMEND
	;; [unrolled: 3-line block ×8, first 2 shown]
	s_waitcnt vmcnt(1)
	v_cvt_f32_f16_sdwa v21, v6 dst_sel:DWORD dst_unused:UNUSED_PAD src0_sel:WORD_1
	v_cvt_f32_f16_e32 v20, v6
	v_cvt_f32_f16_sdwa v29, v7 dst_sel:DWORD dst_unused:UNUSED_PAD src0_sel:WORD_1
	v_cvt_f32_f16_e32 v28, v7
	;; [unrolled: 2-line block ×4, first 2 shown]
	;;#ASMSTART
	v_pk_mul_f32 v[8:9], v[12:13], v[20:21]
	;;#ASMEND
	;;#ASMSTART
	v_pk_mul_f32 v[12:13], v[14:15], v[28:29]
	;;#ASMEND
	;; [unrolled: 3-line block ×4, first 2 shown]
	s_waitcnt vmcnt(0)
	v_cvt_f32_f16_sdwa v17, v2 dst_sel:DWORD dst_unused:UNUSED_PAD src0_sel:WORD_1
	v_cvt_f32_f16_e32 v16, v2
	v_cvt_f32_f16_sdwa v19, v3 dst_sel:DWORD dst_unused:UNUSED_PAD src0_sel:WORD_1
	v_cvt_f32_f16_e32 v18, v3
	v_cvt_f32_f16_sdwa v3, v4 dst_sel:DWORD dst_unused:UNUSED_PAD src0_sel:WORD_1
	v_cvt_f32_f16_e32 v2, v4
	v_cvt_f32_f16_sdwa v21, v5 dst_sel:DWORD dst_unused:UNUSED_PAD src0_sel:WORD_1
	v_cvt_f32_f16_e32 v20, v5
	;;#ASMSTART
	v_pk_mul_f32 v[16:17], v[26:27], v[16:17]
	;;#ASMEND
	;;#ASMSTART
	v_pk_mul_f32 v[18:19], v[24:25], v[18:19]
	;;#ASMEND
	;; [unrolled: 3-line block ×3, first 2 shown]
	v_cvt_f16_f32_e32 v0, v8
	v_cvt_f16_f32_e32 v2, v9
	;; [unrolled: 1-line block ×8, first 2 shown]
	s_add_u32 s20, s14, s0
	s_addc_u32 s0, s15, s1
	s_and_b32 s21, s0, 0xffff
	v_pack_b32_f16 v2, v0, v2
	v_pack_b32_f16 v3, v3, v4
	;; [unrolled: 1-line block ×4, first 2 shown]
	;;#ASMSTART
	v_pk_mul_f32 v[10:11], v[10:11], v[20:21]
	;;#ASMEND
	buffer_store_dwordx4 v[2:5], v1, s[20:23], 0 offen
	v_cvt_f16_f32_e32 v0, v16
	v_cvt_f16_f32_e32 v2, v17
	;; [unrolled: 1-line block ×8, first 2 shown]
	v_pack_b32_f16 v2, v0, v2
	v_pack_b32_f16 v3, v3, v4
	;; [unrolled: 1-line block ×4, first 2 shown]
	;;#ASMSTART
	s_nop 0
	;;#ASMEND
	buffer_store_dwordx4 v[2:5], v1, s[20:23], 16 offen
	;;#ASMSTART
	s_nop 0
	;;#ASMEND
	s_endpgm
	.section	.rodata,"a",@progbits
	.p2align	6, 0x0
	.amdhsa_kernel _ZN5aiter35fused_qk_rmsnorm_group_quant_kernelIDF16_N4opus5fp4_tELi256ELi16ELi8ELb1ELb1ELb0ELb1ELb0ELb0EEEvPT0_PvPT_S7_S7_PKS6_S9_S9_S9_S9_ffiiiiiiiiiiiii
		.amdhsa_group_segment_fixed_size 32
		.amdhsa_private_segment_fixed_size 0
		.amdhsa_kernarg_size 400
		.amdhsa_user_sgpr_count 6
		.amdhsa_user_sgpr_private_segment_buffer 1
		.amdhsa_user_sgpr_dispatch_ptr 0
		.amdhsa_user_sgpr_queue_ptr 0
		.amdhsa_user_sgpr_kernarg_segment_ptr 1
		.amdhsa_user_sgpr_dispatch_id 0
		.amdhsa_user_sgpr_flat_scratch_init 0
		.amdhsa_user_sgpr_kernarg_preload_length 0
		.amdhsa_user_sgpr_kernarg_preload_offset 0
		.amdhsa_user_sgpr_private_segment_size 0
		.amdhsa_uses_dynamic_stack 0
		.amdhsa_system_sgpr_private_segment_wavefront_offset 0
		.amdhsa_system_sgpr_workgroup_id_x 1
		.amdhsa_system_sgpr_workgroup_id_y 1
		.amdhsa_system_sgpr_workgroup_id_z 0
		.amdhsa_system_sgpr_workgroup_info 0
		.amdhsa_system_vgpr_workitem_id 0
		.amdhsa_next_free_vgpr 49
		.amdhsa_next_free_sgpr 32
		.amdhsa_accum_offset 52
		.amdhsa_reserve_vcc 1
		.amdhsa_reserve_flat_scratch 0
		.amdhsa_float_round_mode_32 0
		.amdhsa_float_round_mode_16_64 0
		.amdhsa_float_denorm_mode_32 3
		.amdhsa_float_denorm_mode_16_64 3
		.amdhsa_dx10_clamp 1
		.amdhsa_ieee_mode 1
		.amdhsa_fp16_overflow 0
		.amdhsa_tg_split 0
		.amdhsa_exception_fp_ieee_invalid_op 0
		.amdhsa_exception_fp_denorm_src 0
		.amdhsa_exception_fp_ieee_div_zero 0
		.amdhsa_exception_fp_ieee_overflow 0
		.amdhsa_exception_fp_ieee_underflow 0
		.amdhsa_exception_fp_ieee_inexact 0
		.amdhsa_exception_int_div_zero 0
	.end_amdhsa_kernel
	.section	.text._ZN5aiter35fused_qk_rmsnorm_group_quant_kernelIDF16_N4opus5fp4_tELi256ELi16ELi8ELb1ELb1ELb0ELb1ELb0ELb0EEEvPT0_PvPT_S7_S7_PKS6_S9_S9_S9_S9_ffiiiiiiiiiiiii,"axG",@progbits,_ZN5aiter35fused_qk_rmsnorm_group_quant_kernelIDF16_N4opus5fp4_tELi256ELi16ELi8ELb1ELb1ELb0ELb1ELb0ELb0EEEvPT0_PvPT_S7_S7_PKS6_S9_S9_S9_S9_ffiiiiiiiiiiiii,comdat
.Lfunc_end751:
	.size	_ZN5aiter35fused_qk_rmsnorm_group_quant_kernelIDF16_N4opus5fp4_tELi256ELi16ELi8ELb1ELb1ELb0ELb1ELb0ELb0EEEvPT0_PvPT_S7_S7_PKS6_S9_S9_S9_S9_ffiiiiiiiiiiiii, .Lfunc_end751-_ZN5aiter35fused_qk_rmsnorm_group_quant_kernelIDF16_N4opus5fp4_tELi256ELi16ELi8ELb1ELb1ELb0ELb1ELb0ELb0EEEvPT0_PvPT_S7_S7_PKS6_S9_S9_S9_S9_ffiiiiiiiiiiiii
                                        ; -- End function
	.section	.AMDGPU.csdata,"",@progbits
; Kernel info:
; codeLenInByte = 3480
; NumSgprs: 36
; NumVgprs: 49
; NumAgprs: 0
; TotalNumVgprs: 49
; ScratchSize: 0
; MemoryBound: 0
; FloatMode: 240
; IeeeMode: 1
; LDSByteSize: 32 bytes/workgroup (compile time only)
; SGPRBlocks: 4
; VGPRBlocks: 6
; NumSGPRsForWavesPerEU: 36
; NumVGPRsForWavesPerEU: 49
; AccumOffset: 52
; Occupancy: 8
; WaveLimiterHint : 0
; COMPUTE_PGM_RSRC2:SCRATCH_EN: 0
; COMPUTE_PGM_RSRC2:USER_SGPR: 6
; COMPUTE_PGM_RSRC2:TRAP_HANDLER: 0
; COMPUTE_PGM_RSRC2:TGID_X_EN: 1
; COMPUTE_PGM_RSRC2:TGID_Y_EN: 1
; COMPUTE_PGM_RSRC2:TGID_Z_EN: 0
; COMPUTE_PGM_RSRC2:TIDIG_COMP_CNT: 0
; COMPUTE_PGM_RSRC3_GFX90A:ACCUM_OFFSET: 12
; COMPUTE_PGM_RSRC3_GFX90A:TG_SPLIT: 0
	.section	.text._ZN5aiter35fused_qk_rmsnorm_group_quant_kernelItN4opus5fp4_tELi256ELi16ELi8ELb1ELb1ELb0ELb1ELb0ELb0EEEvPT0_PvPT_S7_S7_PKS6_S9_S9_S9_S9_ffiiiiiiiiiiiii,"axG",@progbits,_ZN5aiter35fused_qk_rmsnorm_group_quant_kernelItN4opus5fp4_tELi256ELi16ELi8ELb1ELb1ELb0ELb1ELb0ELb0EEEvPT0_PvPT_S7_S7_PKS6_S9_S9_S9_S9_ffiiiiiiiiiiiii,comdat
	.protected	_ZN5aiter35fused_qk_rmsnorm_group_quant_kernelItN4opus5fp4_tELi256ELi16ELi8ELb1ELb1ELb0ELb1ELb0ELb0EEEvPT0_PvPT_S7_S7_PKS6_S9_S9_S9_S9_ffiiiiiiiiiiiii ; -- Begin function _ZN5aiter35fused_qk_rmsnorm_group_quant_kernelItN4opus5fp4_tELi256ELi16ELi8ELb1ELb1ELb0ELb1ELb0ELb0EEEvPT0_PvPT_S7_S7_PKS6_S9_S9_S9_S9_ffiiiiiiiiiiiii
	.globl	_ZN5aiter35fused_qk_rmsnorm_group_quant_kernelItN4opus5fp4_tELi256ELi16ELi8ELb1ELb1ELb0ELb1ELb0ELb0EEEvPT0_PvPT_S7_S7_PKS6_S9_S9_S9_S9_ffiiiiiiiiiiiii
	.p2align	8
	.type	_ZN5aiter35fused_qk_rmsnorm_group_quant_kernelItN4opus5fp4_tELi256ELi16ELi8ELb1ELb1ELb0ELb1ELb0ELb0EEEvPT0_PvPT_S7_S7_PKS6_S9_S9_S9_S9_ffiiiiiiiiiiiii,@function
_ZN5aiter35fused_qk_rmsnorm_group_quant_kernelItN4opus5fp4_tELi256ELi16ELi8ELb1ELb1ELb0ELb1ELb0ELb0EEEvPT0_PvPT_S7_S7_PKS6_S9_S9_S9_S9_ffiiiiiiiiiiiii: ; @_ZN5aiter35fused_qk_rmsnorm_group_quant_kernelItN4opus5fp4_tELi256ELi16ELi8ELb1ELb1ELb0ELb1ELb0ELb0EEEvPT0_PvPT_S7_S7_PKS6_S9_S9_S9_S9_ffiiiiiiiiiiiii
; %bb.0:
	s_load_dwordx8 s[12:19], s[4:5], 0x50
	s_waitcnt lgkmcnt(0)
	s_cmp_ge_i32 s6, s14
	s_cbranch_scc1 .LBB752_17
; %bb.1:
	s_cmp_lg_u32 s7, 0
	s_cselect_b64 s[22:23], -1, 0
	s_cmp_eq_u32 s7, 0
	s_cselect_b64 s[2:3], -1, 0
	s_and_b64 s[0:1], s[2:3], exec
	s_cselect_b32 s7, s15, s16
	s_load_dwordx2 s[10:11], s[4:5], 0x30
	s_load_dwordx2 s[20:21], s[4:5], 0x48
	s_add_i32 s0, s7, 1
	s_lshr_b32 s1, s0, 31
	s_add_i32 s0, s0, s1
	s_lshl_b32 s0, s0, 1
	v_lshlrev_b32_e32 v1, 4, v0
	s_and_b32 s30, s0, -4
	v_cmp_gt_i32_e64 s[0:1], s7, v1
	v_mov_b32_e32 v76, 0
	v_mov_b32_e32 v77, 0
	;; [unrolled: 1-line block ×16, first 2 shown]
	s_and_saveexec_b64 s[8:9], s[0:1]
	s_cbranch_execz .LBB752_3
; %bb.2:
	s_load_dwordx2 s[14:15], s[4:5], 0x28
	s_load_dwordx2 s[26:27], s[4:5], 0x40
	s_and_b64 s[24:25], s[2:3], exec
	s_cselect_b32 s17, s17, s18
	s_mov_b32 s31, 0x20000
	s_waitcnt lgkmcnt(0)
	s_cselect_b32 s25, s15, s11
	s_cselect_b32 s24, s14, s10
	s_mul_hi_i32 s15, s17, s6
	s_mul_i32 s14, s17, s6
	s_lshl_b64 s[14:15], s[14:15], 1
	s_add_u32 s24, s24, s14
	s_addc_u32 s17, s25, s15
	s_and_b64 s[14:15], s[2:3], exec
	s_cselect_b32 s28, s26, s20
	s_cselect_b32 s14, s27, s21
	s_and_b32 s25, s17, 0xffff
	s_mov_b32 s26, s30
	s_mov_b32 s27, s31
	v_lshlrev_b32_e32 v2, 5, v0
	s_and_b32 s29, s14, 0xffff
	buffer_load_dwordx4 v[80:83], v2, s[24:27], 0 offen
	buffer_load_dwordx4 v[84:87], v2, s[24:27], 16 offen
	buffer_load_dwordx4 v[76:79], v2, s[28:31], 0 offen
	buffer_load_dwordx4 v[72:75], v2, s[28:31], 16 offen
.LBB752_3:
	s_or_b64 exec, exec, s[8:9]
	s_load_dwordx4 s[24:27], s[4:5], 0x7c
	s_and_b64 vcc, exec, s[22:23]
	s_cbranch_vccz .LBB752_7
; %bb.4:
	v_mov_b32_e32 v89, 0
	v_mov_b32_e32 v88, 0
	;; [unrolled: 1-line block ×16, first 2 shown]
	s_and_saveexec_b64 s[8:9], s[0:1]
	s_cbranch_execz .LBB752_6
; %bb.5:
	s_waitcnt vmcnt(3)
	v_cvt_f32_u32_sdwa v18, v80 dst_sel:DWORD dst_unused:UNUSED_PAD src0_sel:WORD_0
	v_cvt_f32_u32_sdwa v19, v80 dst_sel:DWORD dst_unused:UNUSED_PAD src0_sel:WORD_1
	v_cvt_f32_u32_sdwa v4, v81 dst_sel:DWORD dst_unused:UNUSED_PAD src0_sel:WORD_0
	v_cvt_f32_u32_sdwa v5, v81 dst_sel:DWORD dst_unused:UNUSED_PAD src0_sel:WORD_1
	;; [unrolled: 2-line block ×4, first 2 shown]
	s_waitcnt vmcnt(2)
	v_cvt_f32_u32_sdwa v64, v84 dst_sel:DWORD dst_unused:UNUSED_PAD src0_sel:WORD_0
	v_cvt_f32_u32_sdwa v65, v84 dst_sel:DWORD dst_unused:UNUSED_PAD src0_sel:WORD_1
	v_cvt_f32_u32_sdwa v48, v85 dst_sel:DWORD dst_unused:UNUSED_PAD src0_sel:WORD_0
	v_cvt_f32_u32_sdwa v49, v85 dst_sel:DWORD dst_unused:UNUSED_PAD src0_sel:WORD_1
	;; [unrolled: 2-line block ×4, first 2 shown]
.LBB752_6:
	s_or_b64 exec, exec, s[8:9]
	s_cbranch_execz .LBB752_8
	s_branch .LBB752_11
.LBB752_7:
                                        ; implicit-def: $vgpr18_vgpr19_vgpr20_vgpr21_vgpr22_vgpr23_vgpr24_vgpr25_vgpr26_vgpr27_vgpr28_vgpr29_vgpr30_vgpr31_vgpr32_vgpr33
                                        ; implicit-def: $vgpr50_vgpr51_vgpr52_vgpr53_vgpr54_vgpr55_vgpr56_vgpr57_vgpr58_vgpr59_vgpr60_vgpr61_vgpr62_vgpr63_vgpr64_vgpr65
                                        ; implicit-def: $vgpr30_vgpr31_vgpr32_vgpr33_vgpr34_vgpr35_vgpr36_vgpr37_vgpr38_vgpr39_vgpr40_vgpr41_vgpr42_vgpr43_vgpr44_vgpr45
                                        ; implicit-def: $vgpr89
                                        ; implicit-def: $vgpr2_vgpr3_vgpr4_vgpr5_vgpr6_vgpr7_vgpr8_vgpr9_vgpr10_vgpr11_vgpr12_vgpr13_vgpr14_vgpr15_vgpr16_vgpr17
                                        ; implicit-def: $vgpr56_vgpr57_vgpr58_vgpr59_vgpr60_vgpr61_vgpr62_vgpr63_vgpr64_vgpr65_vgpr66_vgpr67_vgpr68_vgpr69_vgpr70_vgpr71
                                        ; implicit-def: $vgpr38_vgpr39_vgpr40_vgpr41_vgpr42_vgpr43_vgpr44_vgpr45_vgpr46_vgpr47_vgpr48_vgpr49_vgpr50_vgpr51_vgpr52_vgpr53
                                        ; implicit-def: $vgpr20_vgpr21_vgpr22_vgpr23_vgpr24_vgpr25_vgpr26_vgpr27_vgpr28_vgpr29_vgpr30_vgpr31_vgpr32_vgpr33_vgpr34_vgpr35
.LBB752_8:
	v_mov_b32_e32 v89, 0
	v_mov_b32_e32 v88, 0
	;; [unrolled: 1-line block ×16, first 2 shown]
	s_and_saveexec_b64 s[8:9], s[0:1]
	s_cbranch_execz .LBB752_10
; %bb.9:
	s_load_dwordx2 s[14:15], s[4:5], 0x38
	s_mul_hi_i32 s29, s19, s6
	s_mul_i32 s28, s19, s6
	s_lshl_b64 s[28:29], s[28:29], 1
	s_mov_b32 s31, 0x20000
	s_waitcnt lgkmcnt(0)
	s_add_u32 s28, s14, s28
	s_addc_u32 s14, s15, s29
	s_and_b32 s29, s14, 0xffff
	v_lshlrev_b32_e32 v38, 5, v0
	buffer_load_dwordx4 v[4:7], v38, s[28:31], 16 offen
	buffer_load_dwordx4 v[8:11], v38, s[28:31], 0 offen
	s_load_dwordx2 s[14:15], s[4:5], 0x20
	s_waitcnt vmcnt(5)
	v_cvt_f32_u32_sdwa v19, v80 dst_sel:DWORD dst_unused:UNUSED_PAD src0_sel:WORD_1
	v_cvt_f32_u32_sdwa v18, v80 dst_sel:DWORD dst_unused:UNUSED_PAD src0_sel:WORD_0
	v_cvt_f32_u32_sdwa v21, v81 dst_sel:DWORD dst_unused:UNUSED_PAD src0_sel:WORD_1
	v_cvt_f32_u32_sdwa v20, v81 dst_sel:DWORD dst_unused:UNUSED_PAD src0_sel:WORD_0
	;; [unrolled: 2-line block ×4, first 2 shown]
	s_waitcnt vmcnt(4)
	v_cvt_f32_u32_sdwa v3, v84 dst_sel:DWORD dst_unused:UNUSED_PAD src0_sel:WORD_1
	v_cvt_f32_u32_sdwa v2, v84 dst_sel:DWORD dst_unused:UNUSED_PAD src0_sel:WORD_0
	v_cvt_f32_u32_sdwa v13, v85 dst_sel:DWORD dst_unused:UNUSED_PAD src0_sel:WORD_1
	v_cvt_f32_u32_sdwa v12, v85 dst_sel:DWORD dst_unused:UNUSED_PAD src0_sel:WORD_0
	;; [unrolled: 2-line block ×3, first 2 shown]
	v_cvt_f32_u32_sdwa v16, v87 dst_sel:DWORD dst_unused:UNUSED_PAD src0_sel:WORD_0
	v_cvt_f32_u32_sdwa v17, v87 dst_sel:DWORD dst_unused:UNUSED_PAD src0_sel:WORD_1
	s_mul_hi_i32 s27, s26, s6
	s_mul_i32 s26, s26, s6
	s_lshl_b64 s[26:27], s[26:27], 1
	s_waitcnt lgkmcnt(0)
	s_add_u32 s28, s14, s26
	s_mov_b32 s17, 0x7060302
	s_addc_u32 s14, s15, s27
	s_and_b32 s29, s14, 0xffff
	s_waitcnt vmcnt(1)
	v_cvt_f32_u32_sdwa v27, v4 dst_sel:DWORD dst_unused:UNUSED_PAD src0_sel:WORD_1
	v_cvt_f32_u32_sdwa v26, v4 dst_sel:DWORD dst_unused:UNUSED_PAD src0_sel:WORD_0
	v_cvt_f32_u32_sdwa v29, v5 dst_sel:DWORD dst_unused:UNUSED_PAD src0_sel:WORD_1
	v_cvt_f32_u32_sdwa v28, v5 dst_sel:DWORD dst_unused:UNUSED_PAD src0_sel:WORD_0
	;; [unrolled: 2-line block ×3, first 2 shown]
	v_cvt_f32_u32_sdwa v32, v7 dst_sel:DWORD dst_unused:UNUSED_PAD src0_sel:WORD_0
	v_cvt_f32_u32_sdwa v33, v7 dst_sel:DWORD dst_unused:UNUSED_PAD src0_sel:WORD_1
	s_waitcnt vmcnt(0)
	v_cvt_f32_u32_sdwa v35, v8 dst_sel:DWORD dst_unused:UNUSED_PAD src0_sel:WORD_1
	v_cvt_f32_u32_sdwa v34, v8 dst_sel:DWORD dst_unused:UNUSED_PAD src0_sel:WORD_0
	v_cvt_f32_u32_sdwa v5, v10 dst_sel:DWORD dst_unused:UNUSED_PAD src0_sel:WORD_1
	v_cvt_f32_u32_sdwa v4, v10 dst_sel:DWORD dst_unused:UNUSED_PAD src0_sel:WORD_0
	;; [unrolled: 2-line block ×4, first 2 shown]
	v_pk_add_f32 v[54:55], v[22:23], v[4:5]
	v_pk_add_f32 v[36:37], v[24:25], v[6:7]
	;; [unrolled: 1-line block ×4, first 2 shown]
	v_perm_b32 v9, v37, v36, s17
	v_perm_b32 v8, v55, v54, s17
	;; [unrolled: 1-line block ×4, first 2 shown]
	v_pk_add_f32 v[88:89], v[16:17], v[32:33]
	v_pk_add_f32 v[32:33], v[14:15], v[30:31]
	;; [unrolled: 1-line block ×4, first 2 shown]
	buffer_store_dwordx4 v[6:9], v38, s[28:31], 0 offen
	;;#ASMSTART
	s_nop 0
	;;#ASMEND
	s_nop 0
	v_perm_b32 v9, v89, v88, s17
	v_perm_b32 v8, v33, v32, s17
	;; [unrolled: 1-line block ×4, first 2 shown]
	buffer_store_dwordx4 v[6:9], v38, s[28:31], 16 offen
	;;#ASMSTART
	s_nop 0
	;;#ASMEND
.LBB752_10:
	s_or_b64 exec, exec, s[8:9]
.LBB752_11:
	v_mul_f32_e32 v2, v19, v19
	v_fmac_f32_e32 v2, v18, v18
	v_fmac_f32_e32 v2, v4, v4
	v_fmac_f32_e32 v2, v5, v5
	v_fmac_f32_e32 v2, v54, v54
	v_fmac_f32_e32 v2, v55, v55
	v_fmac_f32_e32 v2, v36, v36
	v_fmac_f32_e32 v2, v37, v37
	v_fmac_f32_e32 v2, v64, v64
	v_fmac_f32_e32 v2, v65, v65
	v_fmac_f32_e32 v2, v48, v48
	v_fmac_f32_e32 v2, v49, v49
	v_fmac_f32_e32 v2, v32, v32
	v_fmac_f32_e32 v2, v33, v33
	v_fmac_f32_e32 v2, v88, v88
	v_fmac_f32_e32 v2, v89, v89
	s_nop 1
	v_mov_b32_dpp v3, v2 quad_perm:[1,0,3,2] row_mask:0xf bank_mask:0xf
	v_add_f32_e32 v2, v2, v3
	s_nop 1
	v_mov_b32_dpp v3, v2 quad_perm:[2,3,0,1] row_mask:0xf bank_mask:0xf
	v_add_f32_e32 v2, v2, v3
	s_nop 1
	v_mov_b32_dpp v3, v2 row_half_mirror row_mask:0xf bank_mask:0xf
	v_add_f32_e32 v2, v2, v3
	s_nop 1
	v_mov_b32_dpp v3, v2 row_mirror row_mask:0xf bank_mask:0xf
	v_add_f32_e32 v2, v2, v3
	s_nop 1
	v_mov_b32_dpp v3, v2 row_bcast:15 row_mask:0xf bank_mask:0xf
	v_add_f32_e32 v2, v2, v3
	v_and_b32_e32 v3, 63, v0
	v_cmp_eq_u32_e64 s[8:9], 63, v3
	s_nop 0
	v_mov_b32_dpp v3, v2 row_bcast:31 row_mask:0xf bank_mask:0xf
	s_and_saveexec_b64 s[14:15], s[8:9]
	s_cbranch_execz .LBB752_13
; %bb.12:
	v_add_f32_e32 v2, v2, v3
	v_lshrrev_b32_e32 v3, 4, v0
	v_and_b32_e32 v3, 60, v3
	ds_write_b32 v3, v2 offset:16
.LBB752_13:
	s_or_b64 exec, exec, s[14:15]
	v_and_b32_e32 v2, 3, v0
	v_lshlrev_b32_e32 v34, 2, v2
	s_waitcnt lgkmcnt(0)
	s_barrier
	ds_read_b32 v2, v34 offset:16
	s_load_dwordx2 s[14:15], s[4:5], 0x18
	s_waitcnt lgkmcnt(0)
	v_mov_b32_dpp v3, v2 quad_perm:[1,0,3,2] row_mask:0xf bank_mask:0xf
	v_add_f32_e32 v2, v2, v3
	s_nop 1
	v_mov_b32_dpp v3, v2 quad_perm:[2,3,0,1] row_mask:0xf bank_mask:0xf
	s_and_saveexec_b64 s[26:27], s[0:1]
	s_cbranch_execnz .LBB752_18
; %bb.14:
	s_or_b64 exec, exec, s[26:27]
	s_mov_b64 s[2:3], -1
	s_and_b64 vcc, exec, s[22:23]
	s_cbranch_vccnz .LBB752_19
.LBB752_15:
	s_andn2_b64 vcc, exec, s[2:3]
	s_cbranch_vccz .LBB752_22
.LBB752_16:
	s_cmp_lt_i32 s16, 1
	s_cbranch_scc0 .LBB752_25
.LBB752_17:
	s_endpgm
.LBB752_18:
	v_add_f32_e32 v2, v2, v3
	v_cvt_f32_u32_e32 v3, s7
	s_waitcnt vmcnt(1)
	v_cvt_f32_u32_sdwa v17, v76 dst_sel:DWORD dst_unused:UNUSED_PAD src0_sel:WORD_1
	v_cvt_f32_u32_sdwa v16, v76 dst_sel:DWORD dst_unused:UNUSED_PAD src0_sel:WORD_0
	v_cvt_f32_u32_sdwa v21, v77 dst_sel:DWORD dst_unused:UNUSED_PAD src0_sel:WORD_1
	v_div_scale_f32 v6, s[28:29], v3, v3, v2
	v_rcp_f32_e32 v7, v6
	v_cvt_f32_u32_sdwa v20, v77 dst_sel:DWORD dst_unused:UNUSED_PAD src0_sel:WORD_0
	s_waitcnt vmcnt(0)
	v_cvt_f32_u32_sdwa v25, v73 dst_sel:DWORD dst_unused:UNUSED_PAD src0_sel:WORD_1
	v_cvt_f32_u32_sdwa v24, v73 dst_sel:DWORD dst_unused:UNUSED_PAD src0_sel:WORD_0
	v_fma_f32 v8, -v6, v7, 1.0
	v_fmac_f32_e32 v7, v8, v7
	v_div_scale_f32 v8, vcc, v2, v3, v2
	v_mul_f32_e32 v9, v8, v7
	v_fma_f32 v10, -v6, v9, v8
	v_fmac_f32_e32 v9, v10, v7
	v_fma_f32 v6, -v6, v9, v8
	v_div_fmas_f32 v6, v6, v7, v9
	v_div_fixup_f32 v2, v6, v3, v2
	v_mov_b32_e32 v3, s13
	v_mov_b32_e32 v6, s12
	v_cndmask_b32_e64 v3, v3, v6, s[2:3]
	v_add_f32_e32 v2, v3, v2
	s_mov_b32 s2, 0x800000
	v_mul_f32_e32 v3, 0x4b800000, v2
	v_cmp_gt_f32_e32 vcc, s2, v2
	v_cndmask_b32_e32 v2, v2, v3, vcc
	v_rsq_f32_e32 v2, v2
	v_cvt_f32_u32_sdwa v27, v74 dst_sel:DWORD dst_unused:UNUSED_PAD src0_sel:WORD_1
	v_cvt_f32_u32_sdwa v26, v74 dst_sel:DWORD dst_unused:UNUSED_PAD src0_sel:WORD_0
	v_cvt_f32_u32_sdwa v29, v75 dst_sel:DWORD dst_unused:UNUSED_PAD src0_sel:WORD_1
	v_mul_f32_e32 v3, 0x45800000, v2
	v_cndmask_b32_e32 v2, v2, v3, vcc
	v_mov_b32_e32 v3, v2
	;;#ASMSTART
	v_pk_mul_f32 v[6:7], v[18:19], v[2:3]
	;;#ASMEND
	;;#ASMSTART
	v_pk_mul_f32 v[4:5], v[4:5], v[2:3]
	;;#ASMEND
	;; [unrolled: 3-line block ×10, first 2 shown]
	v_cvt_f32_u32_sdwa v7, v78 dst_sel:DWORD dst_unused:UNUSED_PAD src0_sel:WORD_1
	v_cvt_f32_u32_sdwa v6, v78 dst_sel:DWORD dst_unused:UNUSED_PAD src0_sel:WORD_0
	v_cvt_f32_u32_sdwa v17, v79 dst_sel:DWORD dst_unused:UNUSED_PAD src0_sel:WORD_1
	v_cvt_f32_u32_sdwa v16, v79 dst_sel:DWORD dst_unused:UNUSED_PAD src0_sel:WORD_0
	;; [unrolled: 2-line block ×3, first 2 shown]
	v_cvt_f32_u32_sdwa v28, v75 dst_sel:DWORD dst_unused:UNUSED_PAD src0_sel:WORD_0
	;;#ASMSTART
	v_pk_mul_f32 v[54:55], v[8:9], v[6:7]
	;;#ASMEND
	;;#ASMSTART
	v_pk_mul_f32 v[36:37], v[10:11], v[16:17]
	;;#ASMEND
	;; [unrolled: 3-line block ×6, first 2 shown]
	s_or_b64 exec, exec, s[26:27]
	s_mov_b64 s[2:3], -1
	s_and_b64 vcc, exec, s[22:23]
	s_cbranch_vccz .LBB752_15
.LBB752_19:
	s_and_saveexec_b64 s[2:3], s[0:1]
	s_cbranch_execz .LBB752_21
; %bb.20:
	s_mul_hi_i32 s23, s25, s6
	s_mul_i32 s22, s25, s6
	s_lshl_b64 s[22:23], s[22:23], 1
	s_add_u32 s28, s14, s22
	s_addc_u32 s7, s15, s23
	s_and_b32 s29, s7, 0xffff
	s_mov_b32 s7, 0x7060302
	s_mov_b32 s31, 0x20000
	v_perm_b32 v9, v37, v36, s7
	v_perm_b32 v8, v55, v54, s7
	;; [unrolled: 1-line block ×4, first 2 shown]
	v_lshlrev_b32_e32 v2, 5, v0
	buffer_store_dwordx4 v[6:9], v2, s[28:31], 0 offen
	;;#ASMSTART
	s_nop 0
	;;#ASMEND
	s_nop 0
	v_perm_b32 v9, v89, v88, s7
	v_perm_b32 v8, v33, v32, s7
	;; [unrolled: 1-line block ×4, first 2 shown]
	buffer_store_dwordx4 v[6:9], v2, s[28:31], 16 offen
	;;#ASMSTART
	s_nop 0
	;;#ASMEND
.LBB752_21:
	s_or_b64 exec, exec, s[2:3]
	s_cbranch_execnz .LBB752_16
.LBB752_22:
	s_and_saveexec_b64 s[2:3], s[0:1]
	s_cbranch_execz .LBB752_24
; %bb.23:
	s_load_dwordx2 s[0:1], s[4:5], 0x10
	s_mul_hi_i32 s23, s24, s6
	s_mul_i32 s22, s24, s6
	s_lshl_b64 s[22:23], s[22:23], 1
	s_mov_b32 s7, 0x7060302
	s_waitcnt lgkmcnt(0)
	s_add_u32 s28, s0, s22
	s_addc_u32 s0, s1, s23
	v_perm_b32 v7, v37, v36, s7
	v_perm_b32 v6, v55, v54, s7
	;; [unrolled: 1-line block ×4, first 2 shown]
	s_and_b32 s29, s0, 0xffff
	s_mov_b32 s31, 0x20000
	v_lshlrev_b32_e32 v8, 5, v0
	buffer_store_dwordx4 v[4:7], v8, s[28:31], 0 offen
	v_perm_b32 v3, v49, v48, s7
	v_perm_b32 v5, v89, v88, s7
	;; [unrolled: 1-line block ×4, first 2 shown]
	;;#ASMSTART
	s_nop 0
	;;#ASMEND
	buffer_store_dwordx4 v[2:5], v8, s[28:31], 16 offen
	;;#ASMSTART
	s_nop 0
	;;#ASMEND
.LBB752_24:
	s_or_b64 exec, exec, s[2:3]
	s_cmp_lt_i32 s16, 1
	s_cbranch_scc1 .LBB752_17
.LBB752_25:
	s_load_dword s0, s[4:5], 0x94
	s_waitcnt lgkmcnt(0)
	s_cmp_lg_u32 s0, 1
	s_cbranch_scc1 .LBB752_17
; %bb.26:
	s_lshl_b32 s0, s16, 1
	s_add_i32 s0, s0, 2
	v_cmp_gt_u32_e32 vcc, s16, v1
	s_and_b32 s22, s0, -4
	v_mov_b32_e32 v18, 0
	v_lshlrev_b32_e32 v1, 5, v0
	v_mov_b32_e32 v14, 0
	v_mov_b32_e32 v15, 0
	;; [unrolled: 1-line block ×16, first 2 shown]
	s_barrier
	s_and_saveexec_b64 s[0:1], vcc
	s_cbranch_execz .LBB752_28
; %bb.27:
	s_mul_hi_i32 s3, s18, s6
	s_mul_i32 s2, s18, s6
	s_and_b32 s21, s21, 0xffff
	s_lshl_b64 s[2:3], s[2:3], 1
	s_add_u32 s28, s10, s2
	s_mov_b32 s23, 0x20000
	s_addc_u32 s2, s11, s3
	s_and_b32 s29, s2, 0xffff
	s_mov_b32 s30, s22
	s_mov_b32 s31, s23
	buffer_load_dwordx4 v[14:17], v1, s[28:31], 0 offen
	buffer_load_dwordx4 v[10:13], v1, s[28:31], 16 offen
	;; [unrolled: 1-line block ×4, first 2 shown]
.LBB752_28:
	s_or_b64 exec, exec, s[0:1]
	v_mov_b32_e32 v19, 0
	v_mov_b32_e32 v32, 0
	;; [unrolled: 1-line block ×15, first 2 shown]
	s_and_saveexec_b64 s[0:1], vcc
	s_cbranch_execz .LBB752_30
; %bb.29:
	s_waitcnt vmcnt(3)
	v_cvt_f32_u32_sdwa v18, v14 dst_sel:DWORD dst_unused:UNUSED_PAD src0_sel:WORD_0
	v_cvt_f32_u32_sdwa v19, v14 dst_sel:DWORD dst_unused:UNUSED_PAD src0_sel:WORD_1
	v_cvt_f32_u32_sdwa v32, v15 dst_sel:DWORD dst_unused:UNUSED_PAD src0_sel:WORD_0
	v_cvt_f32_u32_sdwa v33, v15 dst_sel:DWORD dst_unused:UNUSED_PAD src0_sel:WORD_1
	;; [unrolled: 2-line block ×4, first 2 shown]
	s_waitcnt vmcnt(2)
	v_cvt_f32_u32_sdwa v26, v10 dst_sel:DWORD dst_unused:UNUSED_PAD src0_sel:WORD_0
	v_cvt_f32_u32_sdwa v27, v10 dst_sel:DWORD dst_unused:UNUSED_PAD src0_sel:WORD_1
	v_cvt_f32_u32_sdwa v24, v11 dst_sel:DWORD dst_unused:UNUSED_PAD src0_sel:WORD_0
	v_cvt_f32_u32_sdwa v25, v11 dst_sel:DWORD dst_unused:UNUSED_PAD src0_sel:WORD_1
	;; [unrolled: 2-line block ×4, first 2 shown]
.LBB752_30:
	s_or_b64 exec, exec, s[0:1]
	s_waitcnt vmcnt(2)
	v_mul_f32_e32 v10, v19, v19
	v_fmac_f32_e32 v10, v18, v18
	v_fmac_f32_e32 v10, v32, v32
	v_fmac_f32_e32 v10, v33, v33
	v_fmac_f32_e32 v10, v30, v30
	v_fmac_f32_e32 v10, v31, v31
	v_fmac_f32_e32 v10, v28, v28
	v_fmac_f32_e32 v10, v29, v29
	v_fmac_f32_e32 v10, v26, v26
	v_fmac_f32_e32 v10, v27, v27
	v_fmac_f32_e32 v10, v24, v24
	v_fmac_f32_e32 v10, v25, v25
	v_fmac_f32_e32 v10, v22, v22
	v_fmac_f32_e32 v10, v23, v23
	v_fmac_f32_e32 v10, v20, v20
	v_fmac_f32_e32 v10, v21, v21
	s_nop 1
	v_mov_b32_dpp v11, v10 quad_perm:[1,0,3,2] row_mask:0xf bank_mask:0xf
	v_add_f32_e32 v10, v10, v11
	s_nop 1
	v_mov_b32_dpp v11, v10 quad_perm:[2,3,0,1] row_mask:0xf bank_mask:0xf
	v_add_f32_e32 v10, v10, v11
	s_nop 1
	v_mov_b32_dpp v11, v10 row_half_mirror row_mask:0xf bank_mask:0xf
	v_add_f32_e32 v10, v10, v11
	s_nop 1
	v_mov_b32_dpp v11, v10 row_mirror row_mask:0xf bank_mask:0xf
	v_add_f32_e32 v10, v10, v11
	s_nop 1
	v_mov_b32_dpp v11, v10 row_bcast:15 row_mask:0xf bank_mask:0xf
	v_add_f32_e32 v10, v10, v11
	s_nop 1
	v_mov_b32_dpp v11, v10 row_bcast:31 row_mask:0xf bank_mask:0xf
	s_and_saveexec_b64 s[0:1], s[8:9]
	s_cbranch_execz .LBB752_32
; %bb.31:
	v_lshrrev_b32_e32 v0, 4, v0
	v_add_f32_e32 v10, v10, v11
	v_and_b32_e32 v0, 60, v0
	ds_write_b32 v0, v10
.LBB752_32:
	s_or_b64 exec, exec, s[0:1]
	s_waitcnt lgkmcnt(0)
	s_barrier
	ds_read_b32 v0, v34
	s_waitcnt lgkmcnt(0)
	s_nop 0
	v_mov_b32_dpp v10, v0 quad_perm:[1,0,3,2] row_mask:0xf bank_mask:0xf
	v_add_f32_e32 v0, v0, v10
	s_nop 1
	v_mov_b32_dpp v10, v0 quad_perm:[2,3,0,1] row_mask:0xf bank_mask:0xf
	s_and_saveexec_b64 s[0:1], vcc
	s_cbranch_execz .LBB752_17
; %bb.33:
	v_cvt_f32_u32_e32 v11, s16
	v_add_f32_e32 v0, v0, v10
	s_mov_b32 s23, 0x20000
	v_div_scale_f32 v10, s[0:1], v11, v11, v0
	v_rcp_f32_e32 v12, v10
	v_div_scale_f32 v13, vcc, v0, v11, v0
	s_mov_b32 s0, 0x800000
	v_fma_f32 v14, -v10, v12, 1.0
	v_fmac_f32_e32 v12, v14, v12
	v_mul_f32_e32 v14, v13, v12
	v_fma_f32 v15, -v10, v14, v13
	v_fmac_f32_e32 v14, v15, v12
	v_fma_f32 v10, -v10, v14, v13
	v_div_fmas_f32 v10, v10, v12, v14
	v_div_fixup_f32 v0, v10, v11, v0
	v_add_f32_e32 v0, s13, v0
	v_mul_f32_e32 v10, 0x4b800000, v0
	v_cmp_gt_f32_e32 vcc, s0, v0
	v_cndmask_b32_e32 v0, v0, v10, vcc
	v_rsq_f32_e32 v0, v0
	s_mul_hi_i32 s1, s25, s6
	s_mul_i32 s0, s25, s6
	s_lshl_b64 s[0:1], s[0:1], 1
	v_mul_f32_e32 v10, 0x45800000, v0
	v_cndmask_b32_e32 v10, v0, v10, vcc
	v_mov_b32_e32 v11, v10
	s_add_u32 s20, s14, s0
	;;#ASMSTART
	v_pk_mul_f32 v[12:13], v[18:19], v[10:11]
	;;#ASMEND
	;;#ASMSTART
	v_pk_mul_f32 v[14:15], v[32:33], v[10:11]
	;;#ASMEND
	;; [unrolled: 3-line block ×8, first 2 shown]
	s_waitcnt vmcnt(1)
	v_cvt_f32_u32_sdwa v21, v6 dst_sel:DWORD dst_unused:UNUSED_PAD src0_sel:WORD_1
	v_cvt_f32_u32_sdwa v20, v6 dst_sel:DWORD dst_unused:UNUSED_PAD src0_sel:WORD_0
	v_cvt_f32_u32_sdwa v29, v7 dst_sel:DWORD dst_unused:UNUSED_PAD src0_sel:WORD_1
	v_cvt_f32_u32_sdwa v28, v7 dst_sel:DWORD dst_unused:UNUSED_PAD src0_sel:WORD_0
	v_cvt_f32_u32_sdwa v7, v8 dst_sel:DWORD dst_unused:UNUSED_PAD src0_sel:WORD_1
	v_cvt_f32_u32_sdwa v6, v8 dst_sel:DWORD dst_unused:UNUSED_PAD src0_sel:WORD_0
	s_addc_u32 s0, s15, s1
	v_cvt_f32_u32_sdwa v31, v9 dst_sel:DWORD dst_unused:UNUSED_PAD src0_sel:WORD_1
	v_cvt_f32_u32_sdwa v30, v9 dst_sel:DWORD dst_unused:UNUSED_PAD src0_sel:WORD_0
	;;#ASMSTART
	v_pk_mul_f32 v[8:9], v[12:13], v[20:21]
	;;#ASMEND
	;;#ASMSTART
	v_pk_mul_f32 v[12:13], v[14:15], v[28:29]
	;;#ASMEND
	;; [unrolled: 3-line block ×4, first 2 shown]
	s_waitcnt vmcnt(0)
	v_cvt_f32_u32_sdwa v17, v2 dst_sel:DWORD dst_unused:UNUSED_PAD src0_sel:WORD_1
	v_cvt_f32_u32_sdwa v16, v2 dst_sel:DWORD dst_unused:UNUSED_PAD src0_sel:WORD_0
	v_cvt_f32_u32_sdwa v19, v3 dst_sel:DWORD dst_unused:UNUSED_PAD src0_sel:WORD_1
	v_cvt_f32_u32_sdwa v18, v3 dst_sel:DWORD dst_unused:UNUSED_PAD src0_sel:WORD_0
	v_cvt_f32_u32_sdwa v3, v4 dst_sel:DWORD dst_unused:UNUSED_PAD src0_sel:WORD_1
	v_cvt_f32_u32_sdwa v2, v4 dst_sel:DWORD dst_unused:UNUSED_PAD src0_sel:WORD_0
	s_and_b32 s21, s0, 0xffff
	s_mov_b32 s0, 0x7060302
	v_cvt_f32_u32_sdwa v21, v5 dst_sel:DWORD dst_unused:UNUSED_PAD src0_sel:WORD_1
	v_cvt_f32_u32_sdwa v20, v5 dst_sel:DWORD dst_unused:UNUSED_PAD src0_sel:WORD_0
	;;#ASMSTART
	v_pk_mul_f32 v[16:17], v[26:27], v[16:17]
	;;#ASMEND
	;;#ASMSTART
	v_pk_mul_f32 v[18:19], v[24:25], v[18:19]
	;;#ASMEND
	;;#ASMSTART
	v_pk_mul_f32 v[22:23], v[22:23], v[2:3]
	;;#ASMEND
	v_perm_b32 v2, v9, v8, s0
	v_perm_b32 v3, v13, v12, s0
	;; [unrolled: 1-line block ×4, first 2 shown]
	;;#ASMSTART
	v_pk_mul_f32 v[10:11], v[10:11], v[20:21]
	;;#ASMEND
	buffer_store_dwordx4 v[2:5], v1, s[20:23], 0 offen
	;;#ASMSTART
	s_nop 0
	;;#ASMEND
	s_nop 0
	v_perm_b32 v2, v17, v16, s0
	v_perm_b32 v3, v19, v18, s0
	;; [unrolled: 1-line block ×4, first 2 shown]
	buffer_store_dwordx4 v[2:5], v1, s[20:23], 16 offen
	;;#ASMSTART
	s_nop 0
	;;#ASMEND
	s_endpgm
	.section	.rodata,"a",@progbits
	.p2align	6, 0x0
	.amdhsa_kernel _ZN5aiter35fused_qk_rmsnorm_group_quant_kernelItN4opus5fp4_tELi256ELi16ELi8ELb1ELb1ELb0ELb1ELb0ELb0EEEvPT0_PvPT_S7_S7_PKS6_S9_S9_S9_S9_ffiiiiiiiiiiiii
		.amdhsa_group_segment_fixed_size 32
		.amdhsa_private_segment_fixed_size 0
		.amdhsa_kernarg_size 400
		.amdhsa_user_sgpr_count 6
		.amdhsa_user_sgpr_private_segment_buffer 1
		.amdhsa_user_sgpr_dispatch_ptr 0
		.amdhsa_user_sgpr_queue_ptr 0
		.amdhsa_user_sgpr_kernarg_segment_ptr 1
		.amdhsa_user_sgpr_dispatch_id 0
		.amdhsa_user_sgpr_flat_scratch_init 0
		.amdhsa_user_sgpr_kernarg_preload_length 0
		.amdhsa_user_sgpr_kernarg_preload_offset 0
		.amdhsa_user_sgpr_private_segment_size 0
		.amdhsa_uses_dynamic_stack 0
		.amdhsa_system_sgpr_private_segment_wavefront_offset 0
		.amdhsa_system_sgpr_workgroup_id_x 1
		.amdhsa_system_sgpr_workgroup_id_y 1
		.amdhsa_system_sgpr_workgroup_id_z 0
		.amdhsa_system_sgpr_workgroup_info 0
		.amdhsa_system_vgpr_workitem_id 0
		.amdhsa_next_free_vgpr 90
		.amdhsa_next_free_sgpr 32
		.amdhsa_accum_offset 92
		.amdhsa_reserve_vcc 1
		.amdhsa_reserve_flat_scratch 0
		.amdhsa_float_round_mode_32 0
		.amdhsa_float_round_mode_16_64 0
		.amdhsa_float_denorm_mode_32 3
		.amdhsa_float_denorm_mode_16_64 3
		.amdhsa_dx10_clamp 1
		.amdhsa_ieee_mode 1
		.amdhsa_fp16_overflow 0
		.amdhsa_tg_split 0
		.amdhsa_exception_fp_ieee_invalid_op 0
		.amdhsa_exception_fp_denorm_src 0
		.amdhsa_exception_fp_ieee_div_zero 0
		.amdhsa_exception_fp_ieee_overflow 0
		.amdhsa_exception_fp_ieee_underflow 0
		.amdhsa_exception_fp_ieee_inexact 0
		.amdhsa_exception_int_div_zero 0
	.end_amdhsa_kernel
	.section	.text._ZN5aiter35fused_qk_rmsnorm_group_quant_kernelItN4opus5fp4_tELi256ELi16ELi8ELb1ELb1ELb0ELb1ELb0ELb0EEEvPT0_PvPT_S7_S7_PKS6_S9_S9_S9_S9_ffiiiiiiiiiiiii,"axG",@progbits,_ZN5aiter35fused_qk_rmsnorm_group_quant_kernelItN4opus5fp4_tELi256ELi16ELi8ELb1ELb1ELb0ELb1ELb0ELb0EEEvPT0_PvPT_S7_S7_PKS6_S9_S9_S9_S9_ffiiiiiiiiiiiii,comdat
.Lfunc_end752:
	.size	_ZN5aiter35fused_qk_rmsnorm_group_quant_kernelItN4opus5fp4_tELi256ELi16ELi8ELb1ELb1ELb0ELb1ELb0ELb0EEEvPT0_PvPT_S7_S7_PKS6_S9_S9_S9_S9_ffiiiiiiiiiiiii, .Lfunc_end752-_ZN5aiter35fused_qk_rmsnorm_group_quant_kernelItN4opus5fp4_tELi256ELi16ELi8ELb1ELb1ELb0ELb1ELb0ELb0EEEvPT0_PvPT_S7_S7_PKS6_S9_S9_S9_S9_ffiiiiiiiiiiiii
                                        ; -- End function
	.section	.AMDGPU.csdata,"",@progbits
; Kernel info:
; codeLenInByte = 3440
; NumSgprs: 36
; NumVgprs: 90
; NumAgprs: 0
; TotalNumVgprs: 90
; ScratchSize: 0
; MemoryBound: 0
; FloatMode: 240
; IeeeMode: 1
; LDSByteSize: 32 bytes/workgroup (compile time only)
; SGPRBlocks: 4
; VGPRBlocks: 11
; NumSGPRsForWavesPerEU: 36
; NumVGPRsForWavesPerEU: 90
; AccumOffset: 92
; Occupancy: 5
; WaveLimiterHint : 0
; COMPUTE_PGM_RSRC2:SCRATCH_EN: 0
; COMPUTE_PGM_RSRC2:USER_SGPR: 6
; COMPUTE_PGM_RSRC2:TRAP_HANDLER: 0
; COMPUTE_PGM_RSRC2:TGID_X_EN: 1
; COMPUTE_PGM_RSRC2:TGID_Y_EN: 1
; COMPUTE_PGM_RSRC2:TGID_Z_EN: 0
; COMPUTE_PGM_RSRC2:TIDIG_COMP_CNT: 0
; COMPUTE_PGM_RSRC3_GFX90A:ACCUM_OFFSET: 22
; COMPUTE_PGM_RSRC3_GFX90A:TG_SPLIT: 0
	.section	.text._ZN5aiter35fused_qk_rmsnorm_group_quant_kernelIDF16_DB8_Li256ELi16ELi8ELb0ELb1ELb1ELb1ELb0ELb0EEEvPT0_PvPT_S6_S6_PKS5_S8_S8_S8_S8_ffiiiiiiiiiiiii,"axG",@progbits,_ZN5aiter35fused_qk_rmsnorm_group_quant_kernelIDF16_DB8_Li256ELi16ELi8ELb0ELb1ELb1ELb1ELb0ELb0EEEvPT0_PvPT_S6_S6_PKS5_S8_S8_S8_S8_ffiiiiiiiiiiiii,comdat
	.protected	_ZN5aiter35fused_qk_rmsnorm_group_quant_kernelIDF16_DB8_Li256ELi16ELi8ELb0ELb1ELb1ELb1ELb0ELb0EEEvPT0_PvPT_S6_S6_PKS5_S8_S8_S8_S8_ffiiiiiiiiiiiii ; -- Begin function _ZN5aiter35fused_qk_rmsnorm_group_quant_kernelIDF16_DB8_Li256ELi16ELi8ELb0ELb1ELb1ELb1ELb0ELb0EEEvPT0_PvPT_S6_S6_PKS5_S8_S8_S8_S8_ffiiiiiiiiiiiii
	.globl	_ZN5aiter35fused_qk_rmsnorm_group_quant_kernelIDF16_DB8_Li256ELi16ELi8ELb0ELb1ELb1ELb1ELb0ELb0EEEvPT0_PvPT_S6_S6_PKS5_S8_S8_S8_S8_ffiiiiiiiiiiiii
	.p2align	8
	.type	_ZN5aiter35fused_qk_rmsnorm_group_quant_kernelIDF16_DB8_Li256ELi16ELi8ELb0ELb1ELb1ELb1ELb0ELb0EEEvPT0_PvPT_S6_S6_PKS5_S8_S8_S8_S8_ffiiiiiiiiiiiii,@function
_ZN5aiter35fused_qk_rmsnorm_group_quant_kernelIDF16_DB8_Li256ELi16ELi8ELb0ELb1ELb1ELb1ELb0ELb0EEEvPT0_PvPT_S6_S6_PKS5_S8_S8_S8_S8_ffiiiiiiiiiiiii: ; @_ZN5aiter35fused_qk_rmsnorm_group_quant_kernelIDF16_DB8_Li256ELi16ELi8ELb0ELb1ELb1ELb1ELb0ELb0EEEvPT0_PvPT_S6_S6_PKS5_S8_S8_S8_S8_ffiiiiiiiiiiiii
; %bb.0:
	s_load_dwordx4 s[12:15], s[4:5], 0x50
	s_waitcnt lgkmcnt(0)
	s_cmp_ge_i32 s6, s14
	s_cbranch_scc1 .LBB753_12
; %bb.1:
	s_load_dwordx2 s[24:25], s[4:5], 0x30
	s_load_dwordx2 s[8:9], s[4:5], 0x48
	s_load_dwordx4 s[16:19], s[4:5], 0x60
	s_cmp_lg_u32 s7, 0
	s_cselect_b64 s[10:11], -1, 0
	s_cmp_eq_u32 s7, 0
	s_cselect_b64 vcc, -1, 0
	s_and_b64 s[0:1], vcc, exec
	s_waitcnt lgkmcnt(0)
	s_cselect_b32 s7, s15, s16
	s_add_i32 s0, s7, 1
	s_lshr_b32 s1, s0, 31
	s_add_i32 s0, s0, s1
	s_lshl_b32 s0, s0, 1
	v_lshlrev_b32_e32 v1, 4, v0
	s_and_b32 s22, s0, -4
	v_cmp_gt_i32_e64 s[2:3], s7, v1
	v_mov_b32_e32 v18, 0
	v_mov_b32_e32 v6, 0
	;; [unrolled: 1-line block ×17, first 2 shown]
	s_and_saveexec_b64 s[0:1], s[2:3]
	s_cbranch_execz .LBB753_3
; %bb.2:
	s_load_dwordx2 s[14:15], s[4:5], 0x28
	s_load_dwordx2 s[20:21], s[4:5], 0x40
	s_and_b64 s[26:27], vcc, exec
	s_cselect_b32 s17, s17, s18
	s_mov_b32 s30, s22
	s_waitcnt lgkmcnt(0)
	s_cselect_b32 s19, s15, s25
	s_cselect_b32 s23, s14, s24
	s_mul_hi_i32 s15, s17, s6
	s_mul_i32 s14, s17, s6
	s_lshl_b64 s[14:15], s[14:15], 1
	s_add_u32 s28, s23, s14
	s_addc_u32 s17, s19, s15
	s_and_b64 s[14:15], vcc, exec
	s_mov_b32 s23, 0x20000
	s_cselect_b32 s20, s20, s8
	s_cselect_b32 s14, s21, s9
	s_and_b32 s29, s17, 0xffff
	s_mov_b32 s31, s23
	v_lshlrev_b32_e32 v19, 5, v0
	s_and_b32 s21, s14, 0xffff
	buffer_load_dwordx4 v[14:17], v19, s[28:31], 0 offen
	buffer_load_dwordx4 v[10:13], v19, s[28:31], 16 offen
	buffer_load_dwordx4 v[6:9], v19, s[20:23], 0 offen
	buffer_load_dwordx4 v[2:5], v19, s[20:23], 16 offen
.LBB753_3:
	s_or_b64 exec, exec, s[0:1]
	v_mov_b32_e32 v19, 0
	v_mov_b32_e32 v22, 0
	;; [unrolled: 1-line block ×15, first 2 shown]
	s_and_saveexec_b64 s[0:1], s[2:3]
	s_cbranch_execz .LBB753_5
; %bb.4:
	s_waitcnt vmcnt(3)
	v_cvt_f32_f16_sdwa v19, v14 dst_sel:DWORD dst_unused:UNUSED_PAD src0_sel:WORD_1
	v_cvt_f32_f16_e32 v18, v14
	v_cvt_f32_f16_sdwa v23, v15 dst_sel:DWORD dst_unused:UNUSED_PAD src0_sel:WORD_1
	v_cvt_f32_f16_e32 v22, v15
	;; [unrolled: 2-line block ×4, first 2 shown]
	s_waitcnt vmcnt(2)
	v_cvt_f32_f16_sdwa v21, v10 dst_sel:DWORD dst_unused:UNUSED_PAD src0_sel:WORD_1
	v_cvt_f32_f16_e32 v20, v10
	v_cvt_f32_f16_sdwa v29, v11 dst_sel:DWORD dst_unused:UNUSED_PAD src0_sel:WORD_1
	v_cvt_f32_f16_e32 v28, v11
	;; [unrolled: 2-line block ×4, first 2 shown]
.LBB753_5:
	s_or_b64 exec, exec, s[0:1]
	s_waitcnt vmcnt(2)
	v_mul_f32_e32 v10, v19, v19
	v_fmac_f32_e32 v10, v18, v18
	v_fmac_f32_e32 v10, v22, v22
	;; [unrolled: 1-line block ×15, first 2 shown]
	v_and_b32_e32 v12, 63, v0
	v_cmp_eq_u32_e64 s[0:1], 63, v12
	v_mov_b32_dpp v11, v10 quad_perm:[1,0,3,2] row_mask:0xf bank_mask:0xf
	v_add_f32_e32 v10, v10, v11
	s_nop 1
	v_mov_b32_dpp v11, v10 quad_perm:[2,3,0,1] row_mask:0xf bank_mask:0xf
	v_add_f32_e32 v10, v10, v11
	s_nop 1
	v_mov_b32_dpp v11, v10 row_half_mirror row_mask:0xf bank_mask:0xf
	v_add_f32_e32 v10, v10, v11
	s_nop 1
	v_mov_b32_dpp v11, v10 row_mirror row_mask:0xf bank_mask:0xf
	v_add_f32_e32 v10, v10, v11
	s_nop 1
	v_mov_b32_dpp v11, v10 row_bcast:15 row_mask:0xf bank_mask:0xf
	v_add_f32_e32 v10, v10, v11
	s_nop 1
	v_mov_b32_dpp v11, v10 row_bcast:31 row_mask:0xf bank_mask:0xf
	s_and_saveexec_b64 s[14:15], s[0:1]
	s_cbranch_execz .LBB753_7
; %bb.6:
	v_add_f32_e32 v10, v10, v11
	v_lshrrev_b32_e32 v11, 4, v0
	v_and_b32_e32 v11, 60, v11
	ds_write_b32 v11, v10 offset:16
.LBB753_7:
	s_or_b64 exec, exec, s[14:15]
	v_and_b32_e32 v10, 3, v0
	v_lshlrev_b32_e32 v34, 2, v10
	s_waitcnt lgkmcnt(0)
	s_barrier
	ds_read_b32 v10, v34 offset:16
	s_load_dwordx2 s[14:15], s[4:5], 0x18
	s_waitcnt lgkmcnt(0)
	v_mov_b32_dpp v11, v10 quad_perm:[1,0,3,2] row_mask:0xf bank_mask:0xf
	v_add_f32_e32 v10, v10, v11
	s_nop 1
	v_mov_b32_dpp v11, v10 quad_perm:[2,3,0,1] row_mask:0xf bank_mask:0xf
	s_and_saveexec_b64 s[20:21], s[2:3]
	s_cbranch_execz .LBB753_9
; %bb.8:
	v_cvt_f32_u32_e32 v12, s7
	v_add_f32_e32 v10, v10, v11
	v_mov_b32_e32 v14, s13
	v_mov_b32_e32 v15, s12
	v_div_scale_f32 v11, s[26:27], v12, v12, v10
	v_rcp_f32_e32 v13, v11
	v_cndmask_b32_e32 v14, v14, v15, vcc
	s_mov_b32 s7, 0x800000
	v_fma_f32 v15, -v11, v13, 1.0
	v_fmac_f32_e32 v13, v15, v13
	v_div_scale_f32 v15, vcc, v10, v12, v10
	v_mul_f32_e32 v16, v15, v13
	v_fma_f32 v17, -v11, v16, v15
	v_fmac_f32_e32 v16, v17, v13
	v_fma_f32 v11, -v11, v16, v15
	v_div_fmas_f32 v11, v11, v13, v16
	v_div_fixup_f32 v10, v11, v12, v10
	v_add_f32_e32 v10, v14, v10
	v_mul_f32_e32 v11, 0x4b800000, v10
	v_cmp_gt_f32_e32 vcc, s7, v10
	v_cndmask_b32_e32 v10, v10, v11, vcc
	v_rsq_f32_e32 v10, v10
	v_mul_f32_e32 v11, 0x45800000, v10
	v_cndmask_b32_e32 v10, v10, v11, vcc
	v_mov_b32_e32 v11, v10
	;;#ASMSTART
	v_pk_mul_f32 v[12:13], v[18:19], v[10:11]
	;;#ASMEND
	s_waitcnt vmcnt(1)
	v_cvt_f32_f16_sdwa v19, v6 dst_sel:DWORD dst_unused:UNUSED_PAD src0_sel:WORD_1
	v_cvt_f32_f16_e32 v18, v6
	;;#ASMSTART
	v_pk_mul_f32 v[14:15], v[22:23], v[10:11]
	;;#ASMEND
	v_cvt_f32_f16_sdwa v23, v7 dst_sel:DWORD dst_unused:UNUSED_PAD src0_sel:WORD_1
	v_cvt_f32_f16_e32 v22, v7
	;;#ASMSTART
	v_pk_mul_f32 v[16:17], v[24:25], v[10:11]
	;;#ASMEND
	;;#ASMSTART
	v_pk_mul_f32 v[32:33], v[32:33], v[10:11]
	;;#ASMEND
	;;#ASMSTART
	v_pk_mul_f32 v[20:21], v[20:21], v[10:11]
	;;#ASMEND
	;;#ASMSTART
	v_pk_mul_f32 v[28:29], v[28:29], v[10:11]
	;;#ASMEND
	;;#ASMSTART
	v_pk_mul_f32 v[30:31], v[30:31], v[10:11]
	;;#ASMEND
	;;#ASMSTART
	v_pk_mul_f32 v[6:7], v[26:27], v[10:11]
	;;#ASMEND
	v_pk_add_f32 v[10:11], v[18:19], 1.0 op_sel_hi:[1,0]
	;;#ASMSTART
	v_pk_mul_f32 v[18:19], v[12:13], v[10:11]
	;;#ASMEND
	v_cvt_f32_f16_sdwa v13, v8 dst_sel:DWORD dst_unused:UNUSED_PAD src0_sel:WORD_1
	v_cvt_f32_f16_e32 v12, v8
	v_cvt_f32_f16_sdwa v27, v9 dst_sel:DWORD dst_unused:UNUSED_PAD src0_sel:WORD_1
	v_cvt_f32_f16_e32 v26, v9
	v_pk_add_f32 v[10:11], v[22:23], 1.0 op_sel_hi:[1,0]
	;;#ASMSTART
	v_pk_mul_f32 v[22:23], v[14:15], v[10:11]
	;;#ASMEND
	s_waitcnt vmcnt(0)
	v_cvt_f32_f16_sdwa v11, v2 dst_sel:DWORD dst_unused:UNUSED_PAD src0_sel:WORD_1
	v_cvt_f32_f16_e32 v10, v2
	v_pk_add_f32 v[8:9], v[12:13], 1.0 op_sel_hi:[1,0]
	;;#ASMSTART
	v_pk_mul_f32 v[24:25], v[16:17], v[8:9]
	;;#ASMEND
	v_pk_add_f32 v[8:9], v[26:27], 1.0 op_sel_hi:[1,0]
	v_cvt_f32_f16_sdwa v13, v3 dst_sel:DWORD dst_unused:UNUSED_PAD src0_sel:WORD_1
	v_cvt_f32_f16_e32 v12, v3
	;;#ASMSTART
	v_pk_mul_f32 v[32:33], v[32:33], v[8:9]
	;;#ASMEND
	v_cvt_f32_f16_sdwa v9, v4 dst_sel:DWORD dst_unused:UNUSED_PAD src0_sel:WORD_1
	v_cvt_f32_f16_e32 v8, v4
	v_pk_add_f32 v[2:3], v[10:11], 1.0 op_sel_hi:[1,0]
	v_cvt_f32_f16_sdwa v11, v5 dst_sel:DWORD dst_unused:UNUSED_PAD src0_sel:WORD_1
	v_cvt_f32_f16_e32 v10, v5
	;;#ASMSTART
	v_pk_mul_f32 v[20:21], v[20:21], v[2:3]
	;;#ASMEND
	v_pk_add_f32 v[2:3], v[12:13], 1.0 op_sel_hi:[1,0]
	;;#ASMSTART
	v_pk_mul_f32 v[28:29], v[28:29], v[2:3]
	;;#ASMEND
	v_pk_add_f32 v[2:3], v[8:9], 1.0 op_sel_hi:[1,0]
	;; [unrolled: 4-line block ×3, first 2 shown]
	;;#ASMSTART
	v_pk_mul_f32 v[26:27], v[6:7], v[2:3]
	;;#ASMEND
.LBB753_9:
	s_or_b64 exec, exec, s[20:21]
	s_load_dwordx2 s[26:27], s[4:5], 0x7c
	s_mov_b64 s[20:21], -1
	s_and_b64 vcc, exec, s[10:11]
	s_cbranch_vccnz .LBB753_13
; %bb.10:
	s_andn2_b64 vcc, exec, s[20:21]
	s_cbranch_vccz .LBB753_16
.LBB753_11:
	s_cmp_lt_i32 s16, 1
	s_cbranch_scc0 .LBB753_19
.LBB753_12:
	s_endpgm
.LBB753_13:
	s_and_saveexec_b64 s[10:11], s[2:3]
	s_cbranch_execz .LBB753_15
; %bb.14:
	s_waitcnt lgkmcnt(0)
	s_mul_hi_i32 s21, s27, s6
	s_mul_i32 s20, s27, s6
	s_waitcnt vmcnt(0)
	v_cvt_f16_f32_e32 v2, v18
	v_cvt_f16_f32_e32 v3, v22
	;; [unrolled: 1-line block ×8, first 2 shown]
	s_lshl_b64 s[20:21], s[20:21], 1
	s_add_u32 s20, s14, s20
	s_addc_u32 s7, s15, s21
	s_and_b32 s21, s7, 0xffff
	s_mov_b32 s23, 0x20000
	v_pack_b32_f16 v5, v5, v6
	v_pack_b32_f16 v4, v4, v7
	;; [unrolled: 1-line block ×4, first 2 shown]
	v_lshlrev_b32_e32 v6, 5, v0
	buffer_store_dwordx4 v[2:5], v6, s[20:23], 0 offen
	v_cvt_f16_f32_e32 v7, v27
	v_cvt_f16_f32_e32 v2, v20
	;; [unrolled: 1-line block ×8, first 2 shown]
	v_pack_b32_f16 v5, v5, v7
	v_pack_b32_f16 v4, v4, v8
	;; [unrolled: 1-line block ×4, first 2 shown]
	;;#ASMSTART
	s_nop 0
	;;#ASMEND
	buffer_store_dwordx4 v[2:5], v6, s[20:23], 16 offen
	;;#ASMSTART
	s_nop 0
	;;#ASMEND
.LBB753_15:
	s_or_b64 exec, exec, s[10:11]
	s_cbranch_execnz .LBB753_11
.LBB753_16:
	s_and_saveexec_b64 s[10:11], s[2:3]
	s_cbranch_execz .LBB753_18
; %bb.17:
	s_load_dwordx2 s[2:3], s[4:5], 0x10
	s_waitcnt lgkmcnt(0)
	s_mul_hi_i32 s21, s26, s6
	s_mul_i32 s20, s26, s6
	s_waitcnt vmcnt(0)
	v_cvt_f16_f32_e32 v2, v18
	v_cvt_f16_f32_e32 v3, v22
	;; [unrolled: 1-line block ×8, first 2 shown]
	s_lshl_b64 s[20:21], s[20:21], 1
	s_add_u32 s20, s2, s20
	s_addc_u32 s2, s3, s21
	s_mov_b32 s23, 0x20000
	s_and_b32 s21, s2, 0xffff
	v_pack_b32_f16 v5, v5, v6
	v_pack_b32_f16 v4, v4, v7
	;; [unrolled: 1-line block ×4, first 2 shown]
	v_lshlrev_b32_e32 v6, 5, v0
	buffer_store_dwordx4 v[2:5], v6, s[20:23], 0 offen
	v_cvt_f16_f32_e32 v7, v27
	v_cvt_f16_f32_e32 v2, v20
	;; [unrolled: 1-line block ×8, first 2 shown]
	v_pack_b32_f16 v5, v5, v7
	v_pack_b32_f16 v4, v4, v8
	v_pack_b32_f16 v3, v3, v9
	v_pack_b32_f16 v2, v2, v10
	;;#ASMSTART
	s_nop 0
	;;#ASMEND
	buffer_store_dwordx4 v[2:5], v6, s[20:23], 16 offen
	;;#ASMSTART
	s_nop 0
	;;#ASMEND
.LBB753_18:
	s_or_b64 exec, exec, s[10:11]
	s_cmp_lt_i32 s16, 1
	s_cbranch_scc1 .LBB753_12
.LBB753_19:
	s_load_dword s2, s[4:5], 0x94
	s_waitcnt lgkmcnt(0)
	s_cmp_lg_u32 s2, 1
	s_cbranch_scc1 .LBB753_12
; %bb.20:
	s_lshl_b32 s2, s16, 1
	s_add_i32 s2, s2, 2
	v_cmp_gt_u32_e32 vcc, s16, v1
	s_and_b32 s10, s2, -4
	v_mov_b32_e32 v18, 0
	v_lshlrev_b32_e32 v1, 5, v0
	v_mov_b32_e32 v14, 0
	v_mov_b32_e32 v15, 0
	;; [unrolled: 1-line block ×8, first 2 shown]
	s_waitcnt vmcnt(1)
	v_mov_b32_e32 v6, 0
	v_mov_b32_e32 v7, 0
	;; [unrolled: 1-line block ×4, first 2 shown]
	s_waitcnt vmcnt(0)
	v_mov_b32_e32 v2, 0
	v_mov_b32_e32 v3, 0
	;; [unrolled: 1-line block ×4, first 2 shown]
	s_barrier
	s_and_saveexec_b64 s[2:3], vcc
	s_cbranch_execz .LBB753_22
; %bb.21:
	s_mul_hi_i32 s5, s18, s6
	s_mul_i32 s4, s18, s6
	s_and_b32 s9, s9, 0xffff
	s_lshl_b64 s[4:5], s[4:5], 1
	s_add_u32 s20, s24, s4
	s_mov_b32 s11, 0x20000
	s_addc_u32 s4, s25, s5
	s_and_b32 s21, s4, 0xffff
	s_mov_b32 s22, s10
	s_mov_b32 s23, s11
	buffer_load_dwordx4 v[14:17], v1, s[20:23], 0 offen
	buffer_load_dwordx4 v[10:13], v1, s[20:23], 16 offen
	;; [unrolled: 1-line block ×4, first 2 shown]
.LBB753_22:
	s_or_b64 exec, exec, s[2:3]
	v_mov_b32_e32 v19, 0
	v_mov_b32_e32 v32, 0
	;; [unrolled: 1-line block ×15, first 2 shown]
	s_and_saveexec_b64 s[2:3], vcc
	s_cbranch_execz .LBB753_24
; %bb.23:
	s_waitcnt vmcnt(3)
	v_cvt_f32_f16_sdwa v19, v14 dst_sel:DWORD dst_unused:UNUSED_PAD src0_sel:WORD_1
	v_cvt_f32_f16_e32 v18, v14
	v_cvt_f32_f16_sdwa v33, v15 dst_sel:DWORD dst_unused:UNUSED_PAD src0_sel:WORD_1
	v_cvt_f32_f16_e32 v32, v15
	;; [unrolled: 2-line block ×4, first 2 shown]
	s_waitcnt vmcnt(2)
	v_cvt_f32_f16_sdwa v27, v10 dst_sel:DWORD dst_unused:UNUSED_PAD src0_sel:WORD_1
	v_cvt_f32_f16_e32 v26, v10
	v_cvt_f32_f16_sdwa v25, v11 dst_sel:DWORD dst_unused:UNUSED_PAD src0_sel:WORD_1
	v_cvt_f32_f16_e32 v24, v11
	;; [unrolled: 2-line block ×4, first 2 shown]
.LBB753_24:
	s_or_b64 exec, exec, s[2:3]
	s_waitcnt vmcnt(2)
	v_mul_f32_e32 v10, v19, v19
	v_fmac_f32_e32 v10, v18, v18
	v_fmac_f32_e32 v10, v32, v32
	;; [unrolled: 1-line block ×15, first 2 shown]
	s_nop 1
	v_mov_b32_dpp v11, v10 quad_perm:[1,0,3,2] row_mask:0xf bank_mask:0xf
	v_add_f32_e32 v10, v10, v11
	s_nop 1
	v_mov_b32_dpp v11, v10 quad_perm:[2,3,0,1] row_mask:0xf bank_mask:0xf
	v_add_f32_e32 v10, v10, v11
	s_nop 1
	v_mov_b32_dpp v11, v10 row_half_mirror row_mask:0xf bank_mask:0xf
	v_add_f32_e32 v10, v10, v11
	s_nop 1
	v_mov_b32_dpp v11, v10 row_mirror row_mask:0xf bank_mask:0xf
	v_add_f32_e32 v10, v10, v11
	s_nop 1
	v_mov_b32_dpp v11, v10 row_bcast:15 row_mask:0xf bank_mask:0xf
	v_add_f32_e32 v10, v10, v11
	s_nop 1
	v_mov_b32_dpp v11, v10 row_bcast:31 row_mask:0xf bank_mask:0xf
	s_and_saveexec_b64 s[2:3], s[0:1]
	s_cbranch_execz .LBB753_26
; %bb.25:
	v_lshrrev_b32_e32 v0, 4, v0
	v_add_f32_e32 v10, v10, v11
	v_and_b32_e32 v0, 60, v0
	ds_write_b32 v0, v10
.LBB753_26:
	s_or_b64 exec, exec, s[2:3]
	s_waitcnt lgkmcnt(0)
	s_barrier
	ds_read_b32 v0, v34
	s_waitcnt lgkmcnt(0)
	s_nop 0
	v_mov_b32_dpp v10, v0 quad_perm:[1,0,3,2] row_mask:0xf bank_mask:0xf
	v_add_f32_e32 v0, v0, v10
	s_nop 1
	v_mov_b32_dpp v10, v0 quad_perm:[2,3,0,1] row_mask:0xf bank_mask:0xf
	s_and_saveexec_b64 s[0:1], vcc
	s_cbranch_execz .LBB753_12
; %bb.27:
	v_cvt_f32_u32_e32 v11, s16
	v_add_f32_e32 v0, v0, v10
	s_mov_b32 s11, 0x20000
	v_div_scale_f32 v10, s[0:1], v11, v11, v0
	v_rcp_f32_e32 v12, v10
	v_div_scale_f32 v13, vcc, v0, v11, v0
	s_mov_b32 s0, 0x800000
	v_fma_f32 v14, -v10, v12, 1.0
	v_fmac_f32_e32 v12, v14, v12
	v_mul_f32_e32 v14, v13, v12
	v_fma_f32 v15, -v10, v14, v13
	v_fmac_f32_e32 v14, v15, v12
	v_fma_f32 v10, -v10, v14, v13
	v_div_fmas_f32 v10, v10, v12, v14
	v_div_fixup_f32 v0, v10, v11, v0
	v_add_f32_e32 v0, s13, v0
	v_mul_f32_e32 v10, 0x4b800000, v0
	v_cmp_gt_f32_e32 vcc, s0, v0
	v_cndmask_b32_e32 v0, v0, v10, vcc
	v_rsq_f32_e32 v0, v0
	s_mul_hi_i32 s1, s27, s6
	s_mul_i32 s0, s27, s6
	s_lshl_b64 s[0:1], s[0:1], 1
	v_mul_f32_e32 v10, 0x45800000, v0
	v_cndmask_b32_e32 v10, v0, v10, vcc
	v_mov_b32_e32 v11, v10
	;;#ASMSTART
	v_pk_mul_f32 v[12:13], v[18:19], v[10:11]
	;;#ASMEND
	;;#ASMSTART
	v_pk_mul_f32 v[14:15], v[32:33], v[10:11]
	;;#ASMEND
	;; [unrolled: 3-line block ×4, first 2 shown]
	s_waitcnt vmcnt(1)
	v_cvt_f32_f16_sdwa v29, v6 dst_sel:DWORD dst_unused:UNUSED_PAD src0_sel:WORD_1
	v_cvt_f32_f16_e32 v28, v6
	v_cvt_f32_f16_sdwa v31, v7 dst_sel:DWORD dst_unused:UNUSED_PAD src0_sel:WORD_1
	v_cvt_f32_f16_e32 v30, v7
	;;#ASMSTART
	v_pk_mul_f32 v[26:27], v[26:27], v[10:11]
	;;#ASMEND
	;;#ASMSTART
	v_pk_mul_f32 v[24:25], v[24:25], v[10:11]
	;;#ASMEND
	;; [unrolled: 3-line block ×4, first 2 shown]
	v_cvt_f32_f16_sdwa v21, v8 dst_sel:DWORD dst_unused:UNUSED_PAD src0_sel:WORD_1
	v_cvt_f32_f16_e32 v20, v8
	v_pk_add_f32 v[10:11], v[28:29], 1.0 op_sel_hi:[1,0]
	;;#ASMSTART
	v_pk_mul_f32 v[10:11], v[12:13], v[10:11]
	;;#ASMEND
	v_pk_add_f32 v[12:13], v[30:31], 1.0 op_sel_hi:[1,0]
	v_cvt_f32_f16_sdwa v29, v9 dst_sel:DWORD dst_unused:UNUSED_PAD src0_sel:WORD_1
	v_cvt_f32_f16_e32 v28, v9
	;;#ASMSTART
	v_pk_mul_f32 v[8:9], v[14:15], v[12:13]
	;;#ASMEND
	v_pk_add_f32 v[12:13], v[20:21], 1.0 op_sel_hi:[1,0]
	;;#ASMSTART
	v_pk_mul_f32 v[12:13], v[16:17], v[12:13]
	;;#ASMEND
	s_waitcnt vmcnt(0)
	v_cvt_f32_f16_sdwa v17, v2 dst_sel:DWORD dst_unused:UNUSED_PAD src0_sel:WORD_1
	v_cvt_f32_f16_e32 v16, v2
	v_cvt_f32_f16_sdwa v21, v3 dst_sel:DWORD dst_unused:UNUSED_PAD src0_sel:WORD_1
	v_cvt_f32_f16_e32 v20, v3
	v_pk_add_f32 v[14:15], v[28:29], 1.0 op_sel_hi:[1,0]
	;;#ASMSTART
	v_pk_mul_f32 v[2:3], v[18:19], v[14:15]
	;;#ASMEND
	v_cvt_f32_f16_sdwa v19, v4 dst_sel:DWORD dst_unused:UNUSED_PAD src0_sel:WORD_1
	v_cvt_f32_f16_e32 v18, v4
	v_pk_add_f32 v[14:15], v[16:17], 1.0 op_sel_hi:[1,0]
	v_pk_add_f32 v[16:17], v[20:21], 1.0 op_sel_hi:[1,0]
	v_cvt_f32_f16_sdwa v21, v5 dst_sel:DWORD dst_unused:UNUSED_PAD src0_sel:WORD_1
	v_cvt_f32_f16_e32 v20, v5
	v_pk_add_f32 v[4:5], v[18:19], 1.0 op_sel_hi:[1,0]
	;;#ASMSTART
	v_pk_mul_f32 v[14:15], v[26:27], v[14:15]
	;;#ASMEND
	;;#ASMSTART
	v_pk_mul_f32 v[16:17], v[24:25], v[16:17]
	;;#ASMEND
	;; [unrolled: 3-line block ×3, first 2 shown]
	v_pk_add_f32 v[4:5], v[20:21], 1.0 op_sel_hi:[1,0]
	;;#ASMSTART
	v_pk_mul_f32 v[6:7], v[6:7], v[4:5]
	;;#ASMEND
	v_cvt_f16_f32_e32 v0, v10
	v_cvt_f16_f32_e32 v4, v11
	;; [unrolled: 1-line block ×8, first 2 shown]
	s_add_u32 s8, s14, s0
	s_addc_u32 s0, s15, s1
	s_and_b32 s9, s0, 0xffff
	v_pack_b32_f16 v2, v0, v4
	v_pack_b32_f16 v3, v5, v8
	;; [unrolled: 1-line block ×4, first 2 shown]
	buffer_store_dwordx4 v[2:5], v1, s[8:11], 0 offen
	v_cvt_f16_f32_e32 v0, v14
	v_cvt_f16_f32_e32 v2, v15
	;; [unrolled: 1-line block ×8, first 2 shown]
	v_pack_b32_f16 v2, v0, v2
	v_pack_b32_f16 v3, v3, v4
	;; [unrolled: 1-line block ×4, first 2 shown]
	;;#ASMSTART
	s_nop 0
	;;#ASMEND
	buffer_store_dwordx4 v[2:5], v1, s[8:11], 16 offen
	;;#ASMSTART
	s_nop 0
	;;#ASMEND
	s_endpgm
	.section	.rodata,"a",@progbits
	.p2align	6, 0x0
	.amdhsa_kernel _ZN5aiter35fused_qk_rmsnorm_group_quant_kernelIDF16_DB8_Li256ELi16ELi8ELb0ELb1ELb1ELb1ELb0ELb0EEEvPT0_PvPT_S6_S6_PKS5_S8_S8_S8_S8_ffiiiiiiiiiiiii
		.amdhsa_group_segment_fixed_size 32
		.amdhsa_private_segment_fixed_size 0
		.amdhsa_kernarg_size 400
		.amdhsa_user_sgpr_count 6
		.amdhsa_user_sgpr_private_segment_buffer 1
		.amdhsa_user_sgpr_dispatch_ptr 0
		.amdhsa_user_sgpr_queue_ptr 0
		.amdhsa_user_sgpr_kernarg_segment_ptr 1
		.amdhsa_user_sgpr_dispatch_id 0
		.amdhsa_user_sgpr_flat_scratch_init 0
		.amdhsa_user_sgpr_kernarg_preload_length 0
		.amdhsa_user_sgpr_kernarg_preload_offset 0
		.amdhsa_user_sgpr_private_segment_size 0
		.amdhsa_uses_dynamic_stack 0
		.amdhsa_system_sgpr_private_segment_wavefront_offset 0
		.amdhsa_system_sgpr_workgroup_id_x 1
		.amdhsa_system_sgpr_workgroup_id_y 1
		.amdhsa_system_sgpr_workgroup_id_z 0
		.amdhsa_system_sgpr_workgroup_info 0
		.amdhsa_system_vgpr_workitem_id 0
		.amdhsa_next_free_vgpr 35
		.amdhsa_next_free_sgpr 32
		.amdhsa_accum_offset 36
		.amdhsa_reserve_vcc 1
		.amdhsa_reserve_flat_scratch 0
		.amdhsa_float_round_mode_32 0
		.amdhsa_float_round_mode_16_64 0
		.amdhsa_float_denorm_mode_32 3
		.amdhsa_float_denorm_mode_16_64 3
		.amdhsa_dx10_clamp 1
		.amdhsa_ieee_mode 1
		.amdhsa_fp16_overflow 0
		.amdhsa_tg_split 0
		.amdhsa_exception_fp_ieee_invalid_op 0
		.amdhsa_exception_fp_denorm_src 0
		.amdhsa_exception_fp_ieee_div_zero 0
		.amdhsa_exception_fp_ieee_overflow 0
		.amdhsa_exception_fp_ieee_underflow 0
		.amdhsa_exception_fp_ieee_inexact 0
		.amdhsa_exception_int_div_zero 0
	.end_amdhsa_kernel
	.section	.text._ZN5aiter35fused_qk_rmsnorm_group_quant_kernelIDF16_DB8_Li256ELi16ELi8ELb0ELb1ELb1ELb1ELb0ELb0EEEvPT0_PvPT_S6_S6_PKS5_S8_S8_S8_S8_ffiiiiiiiiiiiii,"axG",@progbits,_ZN5aiter35fused_qk_rmsnorm_group_quant_kernelIDF16_DB8_Li256ELi16ELi8ELb0ELb1ELb1ELb1ELb0ELb0EEEvPT0_PvPT_S6_S6_PKS5_S8_S8_S8_S8_ffiiiiiiiiiiiii,comdat
.Lfunc_end753:
	.size	_ZN5aiter35fused_qk_rmsnorm_group_quant_kernelIDF16_DB8_Li256ELi16ELi8ELb0ELb1ELb1ELb1ELb0ELb0EEEvPT0_PvPT_S6_S6_PKS5_S8_S8_S8_S8_ffiiiiiiiiiiiii, .Lfunc_end753-_ZN5aiter35fused_qk_rmsnorm_group_quant_kernelIDF16_DB8_Li256ELi16ELi8ELb0ELb1ELb1ELb1ELb0ELb0EEEvPT0_PvPT_S6_S6_PKS5_S8_S8_S8_S8_ffiiiiiiiiiiiii
                                        ; -- End function
	.section	.AMDGPU.csdata,"",@progbits
; Kernel info:
; codeLenInByte = 2968
; NumSgprs: 36
; NumVgprs: 35
; NumAgprs: 0
; TotalNumVgprs: 35
; ScratchSize: 0
; MemoryBound: 0
; FloatMode: 240
; IeeeMode: 1
; LDSByteSize: 32 bytes/workgroup (compile time only)
; SGPRBlocks: 4
; VGPRBlocks: 4
; NumSGPRsForWavesPerEU: 36
; NumVGPRsForWavesPerEU: 35
; AccumOffset: 36
; Occupancy: 8
; WaveLimiterHint : 0
; COMPUTE_PGM_RSRC2:SCRATCH_EN: 0
; COMPUTE_PGM_RSRC2:USER_SGPR: 6
; COMPUTE_PGM_RSRC2:TRAP_HANDLER: 0
; COMPUTE_PGM_RSRC2:TGID_X_EN: 1
; COMPUTE_PGM_RSRC2:TGID_Y_EN: 1
; COMPUTE_PGM_RSRC2:TGID_Z_EN: 0
; COMPUTE_PGM_RSRC2:TIDIG_COMP_CNT: 0
; COMPUTE_PGM_RSRC3_GFX90A:ACCUM_OFFSET: 8
; COMPUTE_PGM_RSRC3_GFX90A:TG_SPLIT: 0
	.section	.text._ZN5aiter35fused_qk_rmsnorm_group_quant_kernelItDB8_Li256ELi16ELi8ELb0ELb1ELb1ELb1ELb0ELb0EEEvPT0_PvPT_S6_S6_PKS5_S8_S8_S8_S8_ffiiiiiiiiiiiii,"axG",@progbits,_ZN5aiter35fused_qk_rmsnorm_group_quant_kernelItDB8_Li256ELi16ELi8ELb0ELb1ELb1ELb1ELb0ELb0EEEvPT0_PvPT_S6_S6_PKS5_S8_S8_S8_S8_ffiiiiiiiiiiiii,comdat
	.protected	_ZN5aiter35fused_qk_rmsnorm_group_quant_kernelItDB8_Li256ELi16ELi8ELb0ELb1ELb1ELb1ELb0ELb0EEEvPT0_PvPT_S6_S6_PKS5_S8_S8_S8_S8_ffiiiiiiiiiiiii ; -- Begin function _ZN5aiter35fused_qk_rmsnorm_group_quant_kernelItDB8_Li256ELi16ELi8ELb0ELb1ELb1ELb1ELb0ELb0EEEvPT0_PvPT_S6_S6_PKS5_S8_S8_S8_S8_ffiiiiiiiiiiiii
	.globl	_ZN5aiter35fused_qk_rmsnorm_group_quant_kernelItDB8_Li256ELi16ELi8ELb0ELb1ELb1ELb1ELb0ELb0EEEvPT0_PvPT_S6_S6_PKS5_S8_S8_S8_S8_ffiiiiiiiiiiiii
	.p2align	8
	.type	_ZN5aiter35fused_qk_rmsnorm_group_quant_kernelItDB8_Li256ELi16ELi8ELb0ELb1ELb1ELb1ELb0ELb0EEEvPT0_PvPT_S6_S6_PKS5_S8_S8_S8_S8_ffiiiiiiiiiiiii,@function
_ZN5aiter35fused_qk_rmsnorm_group_quant_kernelItDB8_Li256ELi16ELi8ELb0ELb1ELb1ELb1ELb0ELb0EEEvPT0_PvPT_S6_S6_PKS5_S8_S8_S8_S8_ffiiiiiiiiiiiii: ; @_ZN5aiter35fused_qk_rmsnorm_group_quant_kernelItDB8_Li256ELi16ELi8ELb0ELb1ELb1ELb1ELb0ELb0EEEvPT0_PvPT_S6_S6_PKS5_S8_S8_S8_S8_ffiiiiiiiiiiiii
; %bb.0:
	s_load_dwordx4 s[12:15], s[4:5], 0x50
	s_waitcnt lgkmcnt(0)
	s_cmp_ge_i32 s6, s14
	s_cbranch_scc1 .LBB754_12
; %bb.1:
	s_load_dwordx2 s[24:25], s[4:5], 0x30
	s_load_dwordx2 s[8:9], s[4:5], 0x48
	s_load_dwordx4 s[16:19], s[4:5], 0x60
	s_cmp_lg_u32 s7, 0
	s_cselect_b64 s[10:11], -1, 0
	s_cmp_eq_u32 s7, 0
	s_cselect_b64 vcc, -1, 0
	s_and_b64 s[0:1], vcc, exec
	s_waitcnt lgkmcnt(0)
	s_cselect_b32 s7, s15, s16
	s_add_i32 s0, s7, 1
	s_lshr_b32 s1, s0, 31
	s_add_i32 s0, s0, s1
	s_lshl_b32 s0, s0, 1
	v_lshlrev_b32_e32 v1, 4, v0
	s_and_b32 s22, s0, -4
	v_cmp_gt_i32_e64 s[2:3], s7, v1
	v_mov_b32_e32 v18, 0
	v_mov_b32_e32 v6, 0
	;; [unrolled: 1-line block ×17, first 2 shown]
	s_and_saveexec_b64 s[0:1], s[2:3]
	s_cbranch_execz .LBB754_3
; %bb.2:
	s_load_dwordx2 s[14:15], s[4:5], 0x28
	s_load_dwordx2 s[20:21], s[4:5], 0x40
	s_and_b64 s[26:27], vcc, exec
	s_cselect_b32 s17, s17, s18
	s_mov_b32 s30, s22
	s_waitcnt lgkmcnt(0)
	s_cselect_b32 s19, s15, s25
	s_cselect_b32 s23, s14, s24
	s_mul_hi_i32 s15, s17, s6
	s_mul_i32 s14, s17, s6
	s_lshl_b64 s[14:15], s[14:15], 1
	s_add_u32 s28, s23, s14
	s_addc_u32 s17, s19, s15
	s_and_b64 s[14:15], vcc, exec
	s_mov_b32 s23, 0x20000
	s_cselect_b32 s20, s20, s8
	s_cselect_b32 s14, s21, s9
	s_and_b32 s29, s17, 0xffff
	s_mov_b32 s31, s23
	v_lshlrev_b32_e32 v19, 5, v0
	s_and_b32 s21, s14, 0xffff
	buffer_load_dwordx4 v[14:17], v19, s[28:31], 0 offen
	buffer_load_dwordx4 v[10:13], v19, s[28:31], 16 offen
	;; [unrolled: 1-line block ×4, first 2 shown]
.LBB754_3:
	s_or_b64 exec, exec, s[0:1]
	v_mov_b32_e32 v19, 0
	v_mov_b32_e32 v20, 0
	;; [unrolled: 1-line block ×15, first 2 shown]
	s_and_saveexec_b64 s[0:1], s[2:3]
	s_cbranch_execz .LBB754_5
; %bb.4:
	s_waitcnt vmcnt(3)
	v_cvt_f32_u32_sdwa v18, v14 dst_sel:DWORD dst_unused:UNUSED_PAD src0_sel:WORD_0
	v_cvt_f32_u32_sdwa v19, v14 dst_sel:DWORD dst_unused:UNUSED_PAD src0_sel:WORD_1
	v_cvt_f32_u32_sdwa v20, v15 dst_sel:DWORD dst_unused:UNUSED_PAD src0_sel:WORD_0
	v_cvt_f32_u32_sdwa v21, v15 dst_sel:DWORD dst_unused:UNUSED_PAD src0_sel:WORD_1
	;; [unrolled: 2-line block ×4, first 2 shown]
	s_waitcnt vmcnt(2)
	v_cvt_f32_u32_sdwa v24, v10 dst_sel:DWORD dst_unused:UNUSED_PAD src0_sel:WORD_0
	v_cvt_f32_u32_sdwa v25, v10 dst_sel:DWORD dst_unused:UNUSED_PAD src0_sel:WORD_1
	v_cvt_f32_u32_sdwa v30, v11 dst_sel:DWORD dst_unused:UNUSED_PAD src0_sel:WORD_0
	v_cvt_f32_u32_sdwa v31, v11 dst_sel:DWORD dst_unused:UNUSED_PAD src0_sel:WORD_1
	;; [unrolled: 2-line block ×4, first 2 shown]
.LBB754_5:
	s_or_b64 exec, exec, s[0:1]
	s_waitcnt vmcnt(2)
	v_mul_f32_e32 v10, v19, v19
	v_fmac_f32_e32 v10, v18, v18
	v_fmac_f32_e32 v10, v20, v20
	;; [unrolled: 1-line block ×15, first 2 shown]
	v_and_b32_e32 v12, 63, v0
	v_cmp_eq_u32_e64 s[0:1], 63, v12
	v_mov_b32_dpp v11, v10 quad_perm:[1,0,3,2] row_mask:0xf bank_mask:0xf
	v_add_f32_e32 v10, v10, v11
	s_nop 1
	v_mov_b32_dpp v11, v10 quad_perm:[2,3,0,1] row_mask:0xf bank_mask:0xf
	v_add_f32_e32 v10, v10, v11
	s_nop 1
	v_mov_b32_dpp v11, v10 row_half_mirror row_mask:0xf bank_mask:0xf
	v_add_f32_e32 v10, v10, v11
	s_nop 1
	v_mov_b32_dpp v11, v10 row_mirror row_mask:0xf bank_mask:0xf
	v_add_f32_e32 v10, v10, v11
	s_nop 1
	v_mov_b32_dpp v11, v10 row_bcast:15 row_mask:0xf bank_mask:0xf
	v_add_f32_e32 v10, v10, v11
	s_nop 1
	v_mov_b32_dpp v11, v10 row_bcast:31 row_mask:0xf bank_mask:0xf
	s_and_saveexec_b64 s[14:15], s[0:1]
	s_cbranch_execz .LBB754_7
; %bb.6:
	v_add_f32_e32 v10, v10, v11
	v_lshrrev_b32_e32 v11, 4, v0
	v_and_b32_e32 v11, 60, v11
	ds_write_b32 v11, v10 offset:16
.LBB754_7:
	s_or_b64 exec, exec, s[14:15]
	v_and_b32_e32 v10, 3, v0
	v_lshlrev_b32_e32 v34, 2, v10
	s_waitcnt lgkmcnt(0)
	s_barrier
	ds_read_b32 v10, v34 offset:16
	s_load_dwordx2 s[14:15], s[4:5], 0x18
	s_waitcnt lgkmcnt(0)
	v_mov_b32_dpp v11, v10 quad_perm:[1,0,3,2] row_mask:0xf bank_mask:0xf
	v_add_f32_e32 v10, v10, v11
	s_nop 1
	v_mov_b32_dpp v11, v10 quad_perm:[2,3,0,1] row_mask:0xf bank_mask:0xf
	s_and_saveexec_b64 s[20:21], s[2:3]
	s_cbranch_execz .LBB754_9
; %bb.8:
	v_cvt_f32_u32_e32 v12, s7
	v_add_f32_e32 v10, v10, v11
	v_mov_b32_e32 v14, s13
	v_mov_b32_e32 v15, s12
	v_div_scale_f32 v11, s[26:27], v12, v12, v10
	v_rcp_f32_e32 v13, v11
	v_cndmask_b32_e32 v14, v14, v15, vcc
	s_mov_b32 s7, 0x800000
	v_fma_f32 v15, -v11, v13, 1.0
	v_fmac_f32_e32 v13, v15, v13
	v_div_scale_f32 v15, vcc, v10, v12, v10
	v_mul_f32_e32 v16, v15, v13
	v_fma_f32 v17, -v11, v16, v15
	v_fmac_f32_e32 v16, v17, v13
	v_fma_f32 v11, -v11, v16, v15
	v_div_fmas_f32 v11, v11, v13, v16
	v_div_fixup_f32 v10, v11, v12, v10
	v_add_f32_e32 v10, v14, v10
	v_mul_f32_e32 v11, 0x4b800000, v10
	v_cmp_gt_f32_e32 vcc, s7, v10
	v_cndmask_b32_e32 v10, v10, v11, vcc
	v_rsq_f32_e32 v10, v10
	v_mul_f32_e32 v11, 0x45800000, v10
	v_cndmask_b32_e32 v10, v10, v11, vcc
	v_mov_b32_e32 v11, v10
	;;#ASMSTART
	v_pk_mul_f32 v[12:13], v[18:19], v[10:11]
	;;#ASMEND
	s_waitcnt vmcnt(1)
	v_cvt_f32_u32_sdwa v19, v6 dst_sel:DWORD dst_unused:UNUSED_PAD src0_sel:WORD_1
	v_cvt_f32_u32_sdwa v18, v6 dst_sel:DWORD dst_unused:UNUSED_PAD src0_sel:WORD_0
	;;#ASMSTART
	v_pk_mul_f32 v[14:15], v[20:21], v[10:11]
	;;#ASMEND
	v_cvt_f32_u32_sdwa v21, v7 dst_sel:DWORD dst_unused:UNUSED_PAD src0_sel:WORD_1
	v_cvt_f32_u32_sdwa v20, v7 dst_sel:DWORD dst_unused:UNUSED_PAD src0_sel:WORD_0
	;;#ASMSTART
	v_pk_mul_f32 v[16:17], v[22:23], v[10:11]
	;;#ASMEND
	;;#ASMSTART
	v_pk_mul_f32 v[26:27], v[26:27], v[10:11]
	;;#ASMEND
	;; [unrolled: 3-line block ×6, first 2 shown]
	v_pk_add_f32 v[10:11], v[18:19], 1.0 op_sel_hi:[1,0]
	;;#ASMSTART
	v_pk_mul_f32 v[18:19], v[12:13], v[10:11]
	;;#ASMEND
	v_cvt_f32_u32_sdwa v13, v8 dst_sel:DWORD dst_unused:UNUSED_PAD src0_sel:WORD_1
	v_cvt_f32_u32_sdwa v12, v8 dst_sel:DWORD dst_unused:UNUSED_PAD src0_sel:WORD_0
	v_cvt_f32_u32_sdwa v29, v9 dst_sel:DWORD dst_unused:UNUSED_PAD src0_sel:WORD_1
	v_cvt_f32_u32_sdwa v28, v9 dst_sel:DWORD dst_unused:UNUSED_PAD src0_sel:WORD_0
	v_pk_add_f32 v[10:11], v[20:21], 1.0 op_sel_hi:[1,0]
	;;#ASMSTART
	v_pk_mul_f32 v[20:21], v[14:15], v[10:11]
	;;#ASMEND
	s_waitcnt vmcnt(0)
	v_cvt_f32_u32_sdwa v11, v2 dst_sel:DWORD dst_unused:UNUSED_PAD src0_sel:WORD_1
	v_cvt_f32_u32_sdwa v10, v2 dst_sel:DWORD dst_unused:UNUSED_PAD src0_sel:WORD_0
	v_pk_add_f32 v[8:9], v[12:13], 1.0 op_sel_hi:[1,0]
	;;#ASMSTART
	v_pk_mul_f32 v[22:23], v[16:17], v[8:9]
	;;#ASMEND
	v_pk_add_f32 v[8:9], v[28:29], 1.0 op_sel_hi:[1,0]
	v_cvt_f32_u32_sdwa v13, v3 dst_sel:DWORD dst_unused:UNUSED_PAD src0_sel:WORD_1
	v_cvt_f32_u32_sdwa v12, v3 dst_sel:DWORD dst_unused:UNUSED_PAD src0_sel:WORD_0
	;;#ASMSTART
	v_pk_mul_f32 v[26:27], v[26:27], v[8:9]
	;;#ASMEND
	v_cvt_f32_u32_sdwa v9, v4 dst_sel:DWORD dst_unused:UNUSED_PAD src0_sel:WORD_1
	v_cvt_f32_u32_sdwa v8, v4 dst_sel:DWORD dst_unused:UNUSED_PAD src0_sel:WORD_0
	v_pk_add_f32 v[2:3], v[10:11], 1.0 op_sel_hi:[1,0]
	v_cvt_f32_u32_sdwa v11, v5 dst_sel:DWORD dst_unused:UNUSED_PAD src0_sel:WORD_1
	v_cvt_f32_u32_sdwa v10, v5 dst_sel:DWORD dst_unused:UNUSED_PAD src0_sel:WORD_0
	;;#ASMSTART
	v_pk_mul_f32 v[24:25], v[24:25], v[2:3]
	;;#ASMEND
	v_pk_add_f32 v[2:3], v[12:13], 1.0 op_sel_hi:[1,0]
	;;#ASMSTART
	v_pk_mul_f32 v[30:31], v[30:31], v[2:3]
	;;#ASMEND
	v_pk_add_f32 v[2:3], v[8:9], 1.0 op_sel_hi:[1,0]
	;; [unrolled: 4-line block ×3, first 2 shown]
	;;#ASMSTART
	v_pk_mul_f32 v[28:29], v[6:7], v[2:3]
	;;#ASMEND
.LBB754_9:
	s_or_b64 exec, exec, s[20:21]
	s_load_dwordx2 s[26:27], s[4:5], 0x7c
	s_mov_b64 s[20:21], -1
	s_and_b64 vcc, exec, s[10:11]
	s_cbranch_vccnz .LBB754_13
; %bb.10:
	s_andn2_b64 vcc, exec, s[20:21]
	s_cbranch_vccz .LBB754_16
.LBB754_11:
	s_cmp_lt_i32 s16, 1
	s_cbranch_scc0 .LBB754_19
.LBB754_12:
	s_endpgm
.LBB754_13:
	s_and_saveexec_b64 s[10:11], s[2:3]
	s_cbranch_execz .LBB754_15
; %bb.14:
	s_waitcnt lgkmcnt(0)
	s_mul_hi_i32 s21, s27, s6
	s_mul_i32 s20, s27, s6
	s_lshl_b64 s[20:21], s[20:21], 1
	s_add_u32 s20, s14, s20
	s_addc_u32 s7, s15, s21
	s_and_b32 s21, s7, 0xffff
	s_mov_b32 s7, 0x7060302
	s_mov_b32 s23, 0x20000
	s_waitcnt vmcnt(0)
	v_perm_b32 v5, v27, v26, s7
	v_perm_b32 v4, v23, v22, s7
	;; [unrolled: 1-line block ×4, first 2 shown]
	v_lshlrev_b32_e32 v6, 5, v0
	buffer_store_dwordx4 v[2:5], v6, s[20:23], 0 offen
	;;#ASMSTART
	s_nop 0
	;;#ASMEND
	s_nop 0
	v_perm_b32 v5, v29, v28, s7
	v_perm_b32 v4, v33, v32, s7
	;; [unrolled: 1-line block ×4, first 2 shown]
	buffer_store_dwordx4 v[2:5], v6, s[20:23], 16 offen
	;;#ASMSTART
	s_nop 0
	;;#ASMEND
.LBB754_15:
	s_or_b64 exec, exec, s[10:11]
	s_cbranch_execnz .LBB754_11
.LBB754_16:
	s_and_saveexec_b64 s[10:11], s[2:3]
	s_cbranch_execz .LBB754_18
; %bb.17:
	s_load_dwordx2 s[2:3], s[4:5], 0x10
	s_waitcnt lgkmcnt(0)
	s_mul_hi_i32 s21, s26, s6
	s_mul_i32 s20, s26, s6
	s_lshl_b64 s[20:21], s[20:21], 1
	s_mov_b32 s23, 0x20000
	s_add_u32 s20, s2, s20
	s_addc_u32 s2, s3, s21
	s_and_b32 s21, s2, 0xffff
	s_mov_b32 s2, 0x7060302
	s_waitcnt vmcnt(0)
	v_perm_b32 v5, v27, v26, s2
	v_perm_b32 v4, v23, v22, s2
	;; [unrolled: 1-line block ×4, first 2 shown]
	v_lshlrev_b32_e32 v6, 5, v0
	buffer_store_dwordx4 v[2:5], v6, s[20:23], 0 offen
	;;#ASMSTART
	s_nop 0
	;;#ASMEND
	s_nop 0
	v_perm_b32 v5, v29, v28, s2
	v_perm_b32 v4, v33, v32, s2
	v_perm_b32 v3, v31, v30, s2
	v_perm_b32 v2, v25, v24, s2
	buffer_store_dwordx4 v[2:5], v6, s[20:23], 16 offen
	;;#ASMSTART
	s_nop 0
	;;#ASMEND
.LBB754_18:
	s_or_b64 exec, exec, s[10:11]
	s_cmp_lt_i32 s16, 1
	s_cbranch_scc1 .LBB754_12
.LBB754_19:
	s_load_dword s2, s[4:5], 0x94
	s_waitcnt lgkmcnt(0)
	s_cmp_lg_u32 s2, 1
	s_cbranch_scc1 .LBB754_12
; %bb.20:
	s_lshl_b32 s2, s16, 1
	s_add_i32 s2, s2, 2
	v_cmp_gt_u32_e32 vcc, s16, v1
	s_and_b32 s10, s2, -4
	v_mov_b32_e32 v18, 0
	v_lshlrev_b32_e32 v1, 5, v0
	v_mov_b32_e32 v14, 0
	v_mov_b32_e32 v15, 0
	;; [unrolled: 1-line block ×8, first 2 shown]
	s_waitcnt vmcnt(1)
	v_mov_b32_e32 v6, 0
	v_mov_b32_e32 v7, 0
	v_mov_b32_e32 v8, 0
	v_mov_b32_e32 v9, 0
	s_waitcnt vmcnt(0)
	v_mov_b32_e32 v2, 0
	v_mov_b32_e32 v3, 0
	;; [unrolled: 1-line block ×4, first 2 shown]
	s_barrier
	s_and_saveexec_b64 s[2:3], vcc
	s_cbranch_execz .LBB754_22
; %bb.21:
	s_mul_hi_i32 s5, s18, s6
	s_mul_i32 s4, s18, s6
	s_and_b32 s9, s9, 0xffff
	s_lshl_b64 s[4:5], s[4:5], 1
	s_add_u32 s20, s24, s4
	s_mov_b32 s11, 0x20000
	s_addc_u32 s4, s25, s5
	s_and_b32 s21, s4, 0xffff
	s_mov_b32 s22, s10
	s_mov_b32 s23, s11
	buffer_load_dwordx4 v[14:17], v1, s[20:23], 0 offen
	buffer_load_dwordx4 v[10:13], v1, s[20:23], 16 offen
	;; [unrolled: 1-line block ×4, first 2 shown]
.LBB754_22:
	s_or_b64 exec, exec, s[2:3]
	v_mov_b32_e32 v19, 0
	v_mov_b32_e32 v32, 0
	;; [unrolled: 1-line block ×15, first 2 shown]
	s_and_saveexec_b64 s[2:3], vcc
	s_cbranch_execz .LBB754_24
; %bb.23:
	s_waitcnt vmcnt(3)
	v_cvt_f32_u32_sdwa v18, v14 dst_sel:DWORD dst_unused:UNUSED_PAD src0_sel:WORD_0
	v_cvt_f32_u32_sdwa v19, v14 dst_sel:DWORD dst_unused:UNUSED_PAD src0_sel:WORD_1
	v_cvt_f32_u32_sdwa v32, v15 dst_sel:DWORD dst_unused:UNUSED_PAD src0_sel:WORD_0
	v_cvt_f32_u32_sdwa v33, v15 dst_sel:DWORD dst_unused:UNUSED_PAD src0_sel:WORD_1
	;; [unrolled: 2-line block ×4, first 2 shown]
	s_waitcnt vmcnt(2)
	v_cvt_f32_u32_sdwa v26, v10 dst_sel:DWORD dst_unused:UNUSED_PAD src0_sel:WORD_0
	v_cvt_f32_u32_sdwa v27, v10 dst_sel:DWORD dst_unused:UNUSED_PAD src0_sel:WORD_1
	v_cvt_f32_u32_sdwa v24, v11 dst_sel:DWORD dst_unused:UNUSED_PAD src0_sel:WORD_0
	v_cvt_f32_u32_sdwa v25, v11 dst_sel:DWORD dst_unused:UNUSED_PAD src0_sel:WORD_1
	v_cvt_f32_u32_sdwa v22, v12 dst_sel:DWORD dst_unused:UNUSED_PAD src0_sel:WORD_0
	v_cvt_f32_u32_sdwa v23, v12 dst_sel:DWORD dst_unused:UNUSED_PAD src0_sel:WORD_1
	v_cvt_f32_u32_sdwa v20, v13 dst_sel:DWORD dst_unused:UNUSED_PAD src0_sel:WORD_0
	v_cvt_f32_u32_sdwa v21, v13 dst_sel:DWORD dst_unused:UNUSED_PAD src0_sel:WORD_1
.LBB754_24:
	s_or_b64 exec, exec, s[2:3]
	s_waitcnt vmcnt(2)
	v_mul_f32_e32 v10, v19, v19
	v_fmac_f32_e32 v10, v18, v18
	v_fmac_f32_e32 v10, v32, v32
	;; [unrolled: 1-line block ×15, first 2 shown]
	s_nop 1
	v_mov_b32_dpp v11, v10 quad_perm:[1,0,3,2] row_mask:0xf bank_mask:0xf
	v_add_f32_e32 v10, v10, v11
	s_nop 1
	v_mov_b32_dpp v11, v10 quad_perm:[2,3,0,1] row_mask:0xf bank_mask:0xf
	v_add_f32_e32 v10, v10, v11
	s_nop 1
	v_mov_b32_dpp v11, v10 row_half_mirror row_mask:0xf bank_mask:0xf
	v_add_f32_e32 v10, v10, v11
	s_nop 1
	v_mov_b32_dpp v11, v10 row_mirror row_mask:0xf bank_mask:0xf
	v_add_f32_e32 v10, v10, v11
	s_nop 1
	v_mov_b32_dpp v11, v10 row_bcast:15 row_mask:0xf bank_mask:0xf
	v_add_f32_e32 v10, v10, v11
	s_nop 1
	v_mov_b32_dpp v11, v10 row_bcast:31 row_mask:0xf bank_mask:0xf
	s_and_saveexec_b64 s[2:3], s[0:1]
	s_cbranch_execz .LBB754_26
; %bb.25:
	v_lshrrev_b32_e32 v0, 4, v0
	v_add_f32_e32 v10, v10, v11
	v_and_b32_e32 v0, 60, v0
	ds_write_b32 v0, v10
.LBB754_26:
	s_or_b64 exec, exec, s[2:3]
	s_waitcnt lgkmcnt(0)
	s_barrier
	ds_read_b32 v0, v34
	s_waitcnt lgkmcnt(0)
	s_nop 0
	v_mov_b32_dpp v10, v0 quad_perm:[1,0,3,2] row_mask:0xf bank_mask:0xf
	v_add_f32_e32 v0, v0, v10
	s_nop 1
	v_mov_b32_dpp v10, v0 quad_perm:[2,3,0,1] row_mask:0xf bank_mask:0xf
	s_and_saveexec_b64 s[0:1], vcc
	s_cbranch_execz .LBB754_12
; %bb.27:
	v_cvt_f32_u32_e32 v11, s16
	v_add_f32_e32 v0, v0, v10
	s_mov_b32 s11, 0x20000
	v_div_scale_f32 v10, s[0:1], v11, v11, v0
	v_rcp_f32_e32 v12, v10
	v_div_scale_f32 v13, vcc, v0, v11, v0
	s_mov_b32 s0, 0x800000
	v_fma_f32 v14, -v10, v12, 1.0
	v_fmac_f32_e32 v12, v14, v12
	v_mul_f32_e32 v14, v13, v12
	v_fma_f32 v15, -v10, v14, v13
	v_fmac_f32_e32 v14, v15, v12
	v_fma_f32 v10, -v10, v14, v13
	v_div_fmas_f32 v10, v10, v12, v14
	v_div_fixup_f32 v0, v10, v11, v0
	v_add_f32_e32 v0, s13, v0
	v_mul_f32_e32 v10, 0x4b800000, v0
	v_cmp_gt_f32_e32 vcc, s0, v0
	v_cndmask_b32_e32 v0, v0, v10, vcc
	v_rsq_f32_e32 v0, v0
	s_mul_hi_i32 s1, s27, s6
	s_mul_i32 s0, s27, s6
	s_lshl_b64 s[0:1], s[0:1], 1
	v_mul_f32_e32 v10, 0x45800000, v0
	v_cndmask_b32_e32 v10, v0, v10, vcc
	v_mov_b32_e32 v11, v10
	;;#ASMSTART
	v_pk_mul_f32 v[12:13], v[18:19], v[10:11]
	;;#ASMEND
	;;#ASMSTART
	v_pk_mul_f32 v[14:15], v[32:33], v[10:11]
	;;#ASMEND
	;; [unrolled: 3-line block ×4, first 2 shown]
	s_waitcnt vmcnt(1)
	v_cvt_f32_u32_sdwa v29, v6 dst_sel:DWORD dst_unused:UNUSED_PAD src0_sel:WORD_1
	v_cvt_f32_u32_sdwa v28, v6 dst_sel:DWORD dst_unused:UNUSED_PAD src0_sel:WORD_0
	v_cvt_f32_u32_sdwa v31, v7 dst_sel:DWORD dst_unused:UNUSED_PAD src0_sel:WORD_1
	v_cvt_f32_u32_sdwa v30, v7 dst_sel:DWORD dst_unused:UNUSED_PAD src0_sel:WORD_0
	;;#ASMSTART
	v_pk_mul_f32 v[26:27], v[26:27], v[10:11]
	;;#ASMEND
	;;#ASMSTART
	v_pk_mul_f32 v[24:25], v[24:25], v[10:11]
	;;#ASMEND
	;; [unrolled: 3-line block ×4, first 2 shown]
	v_cvt_f32_u32_sdwa v21, v8 dst_sel:DWORD dst_unused:UNUSED_PAD src0_sel:WORD_1
	v_cvt_f32_u32_sdwa v20, v8 dst_sel:DWORD dst_unused:UNUSED_PAD src0_sel:WORD_0
	v_pk_add_f32 v[10:11], v[28:29], 1.0 op_sel_hi:[1,0]
	;;#ASMSTART
	v_pk_mul_f32 v[10:11], v[12:13], v[10:11]
	;;#ASMEND
	v_pk_add_f32 v[12:13], v[30:31], 1.0 op_sel_hi:[1,0]
	v_cvt_f32_u32_sdwa v29, v9 dst_sel:DWORD dst_unused:UNUSED_PAD src0_sel:WORD_1
	v_cvt_f32_u32_sdwa v28, v9 dst_sel:DWORD dst_unused:UNUSED_PAD src0_sel:WORD_0
	;;#ASMSTART
	v_pk_mul_f32 v[8:9], v[14:15], v[12:13]
	;;#ASMEND
	v_pk_add_f32 v[12:13], v[20:21], 1.0 op_sel_hi:[1,0]
	;;#ASMSTART
	v_pk_mul_f32 v[12:13], v[16:17], v[12:13]
	;;#ASMEND
	s_waitcnt vmcnt(0)
	v_cvt_f32_u32_sdwa v17, v2 dst_sel:DWORD dst_unused:UNUSED_PAD src0_sel:WORD_1
	v_cvt_f32_u32_sdwa v16, v2 dst_sel:DWORD dst_unused:UNUSED_PAD src0_sel:WORD_0
	v_cvt_f32_u32_sdwa v21, v3 dst_sel:DWORD dst_unused:UNUSED_PAD src0_sel:WORD_1
	v_cvt_f32_u32_sdwa v20, v3 dst_sel:DWORD dst_unused:UNUSED_PAD src0_sel:WORD_0
	v_pk_add_f32 v[14:15], v[28:29], 1.0 op_sel_hi:[1,0]
	;;#ASMSTART
	v_pk_mul_f32 v[14:15], v[18:19], v[14:15]
	;;#ASMEND
	v_pk_add_f32 v[2:3], v[16:17], 1.0 op_sel_hi:[1,0]
	v_cvt_f32_u32_sdwa v19, v4 dst_sel:DWORD dst_unused:UNUSED_PAD src0_sel:WORD_1
	v_cvt_f32_u32_sdwa v18, v4 dst_sel:DWORD dst_unused:UNUSED_PAD src0_sel:WORD_0
	;;#ASMSTART
	v_pk_mul_f32 v[16:17], v[26:27], v[2:3]
	;;#ASMEND
	v_pk_add_f32 v[2:3], v[20:21], 1.0 op_sel_hi:[1,0]
	v_cvt_f32_u32_sdwa v21, v5 dst_sel:DWORD dst_unused:UNUSED_PAD src0_sel:WORD_1
	v_cvt_f32_u32_sdwa v20, v5 dst_sel:DWORD dst_unused:UNUSED_PAD src0_sel:WORD_0
	s_add_u32 s8, s14, s0
	;;#ASMSTART
	v_pk_mul_f32 v[24:25], v[24:25], v[2:3]
	;;#ASMEND
	v_pk_add_f32 v[2:3], v[18:19], 1.0 op_sel_hi:[1,0]
	s_addc_u32 s0, s15, s1
	;;#ASMSTART
	v_pk_mul_f32 v[18:19], v[22:23], v[2:3]
	;;#ASMEND
	v_pk_add_f32 v[2:3], v[20:21], 1.0 op_sel_hi:[1,0]
	s_and_b32 s9, s0, 0xffff
	s_mov_b32 s0, 0x7060302
	;;#ASMSTART
	v_pk_mul_f32 v[6:7], v[6:7], v[2:3]
	;;#ASMEND
	v_perm_b32 v2, v11, v10, s0
	v_perm_b32 v3, v9, v8, s0
	v_perm_b32 v4, v13, v12, s0
	v_perm_b32 v5, v15, v14, s0
	buffer_store_dwordx4 v[2:5], v1, s[8:11], 0 offen
	;;#ASMSTART
	s_nop 0
	;;#ASMEND
	s_nop 0
	v_perm_b32 v2, v17, v16, s0
	v_perm_b32 v3, v25, v24, s0
	;; [unrolled: 1-line block ×4, first 2 shown]
	buffer_store_dwordx4 v[2:5], v1, s[8:11], 16 offen
	;;#ASMSTART
	s_nop 0
	;;#ASMEND
	s_endpgm
	.section	.rodata,"a",@progbits
	.p2align	6, 0x0
	.amdhsa_kernel _ZN5aiter35fused_qk_rmsnorm_group_quant_kernelItDB8_Li256ELi16ELi8ELb0ELb1ELb1ELb1ELb0ELb0EEEvPT0_PvPT_S6_S6_PKS5_S8_S8_S8_S8_ffiiiiiiiiiiiii
		.amdhsa_group_segment_fixed_size 32
		.amdhsa_private_segment_fixed_size 0
		.amdhsa_kernarg_size 400
		.amdhsa_user_sgpr_count 6
		.amdhsa_user_sgpr_private_segment_buffer 1
		.amdhsa_user_sgpr_dispatch_ptr 0
		.amdhsa_user_sgpr_queue_ptr 0
		.amdhsa_user_sgpr_kernarg_segment_ptr 1
		.amdhsa_user_sgpr_dispatch_id 0
		.amdhsa_user_sgpr_flat_scratch_init 0
		.amdhsa_user_sgpr_kernarg_preload_length 0
		.amdhsa_user_sgpr_kernarg_preload_offset 0
		.amdhsa_user_sgpr_private_segment_size 0
		.amdhsa_uses_dynamic_stack 0
		.amdhsa_system_sgpr_private_segment_wavefront_offset 0
		.amdhsa_system_sgpr_workgroup_id_x 1
		.amdhsa_system_sgpr_workgroup_id_y 1
		.amdhsa_system_sgpr_workgroup_id_z 0
		.amdhsa_system_sgpr_workgroup_info 0
		.amdhsa_system_vgpr_workitem_id 0
		.amdhsa_next_free_vgpr 35
		.amdhsa_next_free_sgpr 32
		.amdhsa_accum_offset 36
		.amdhsa_reserve_vcc 1
		.amdhsa_reserve_flat_scratch 0
		.amdhsa_float_round_mode_32 0
		.amdhsa_float_round_mode_16_64 0
		.amdhsa_float_denorm_mode_32 3
		.amdhsa_float_denorm_mode_16_64 3
		.amdhsa_dx10_clamp 1
		.amdhsa_ieee_mode 1
		.amdhsa_fp16_overflow 0
		.amdhsa_tg_split 0
		.amdhsa_exception_fp_ieee_invalid_op 0
		.amdhsa_exception_fp_denorm_src 0
		.amdhsa_exception_fp_ieee_div_zero 0
		.amdhsa_exception_fp_ieee_overflow 0
		.amdhsa_exception_fp_ieee_underflow 0
		.amdhsa_exception_fp_ieee_inexact 0
		.amdhsa_exception_int_div_zero 0
	.end_amdhsa_kernel
	.section	.text._ZN5aiter35fused_qk_rmsnorm_group_quant_kernelItDB8_Li256ELi16ELi8ELb0ELb1ELb1ELb1ELb0ELb0EEEvPT0_PvPT_S6_S6_PKS5_S8_S8_S8_S8_ffiiiiiiiiiiiii,"axG",@progbits,_ZN5aiter35fused_qk_rmsnorm_group_quant_kernelItDB8_Li256ELi16ELi8ELb0ELb1ELb1ELb1ELb0ELb0EEEvPT0_PvPT_S6_S6_PKS5_S8_S8_S8_S8_ffiiiiiiiiiiiii,comdat
.Lfunc_end754:
	.size	_ZN5aiter35fused_qk_rmsnorm_group_quant_kernelItDB8_Li256ELi16ELi8ELb0ELb1ELb1ELb1ELb0ELb0EEEvPT0_PvPT_S6_S6_PKS5_S8_S8_S8_S8_ffiiiiiiiiiiiii, .Lfunc_end754-_ZN5aiter35fused_qk_rmsnorm_group_quant_kernelItDB8_Li256ELi16ELi8ELb0ELb1ELb1ELb1ELb0ELb0EEEvPT0_PvPT_S6_S6_PKS5_S8_S8_S8_S8_ffiiiiiiiiiiiii
                                        ; -- End function
	.section	.AMDGPU.csdata,"",@progbits
; Kernel info:
; codeLenInByte = 2940
; NumSgprs: 36
; NumVgprs: 35
; NumAgprs: 0
; TotalNumVgprs: 35
; ScratchSize: 0
; MemoryBound: 0
; FloatMode: 240
; IeeeMode: 1
; LDSByteSize: 32 bytes/workgroup (compile time only)
; SGPRBlocks: 4
; VGPRBlocks: 4
; NumSGPRsForWavesPerEU: 36
; NumVGPRsForWavesPerEU: 35
; AccumOffset: 36
; Occupancy: 8
; WaveLimiterHint : 0
; COMPUTE_PGM_RSRC2:SCRATCH_EN: 0
; COMPUTE_PGM_RSRC2:USER_SGPR: 6
; COMPUTE_PGM_RSRC2:TRAP_HANDLER: 0
; COMPUTE_PGM_RSRC2:TGID_X_EN: 1
; COMPUTE_PGM_RSRC2:TGID_Y_EN: 1
; COMPUTE_PGM_RSRC2:TGID_Z_EN: 0
; COMPUTE_PGM_RSRC2:TIDIG_COMP_CNT: 0
; COMPUTE_PGM_RSRC3_GFX90A:ACCUM_OFFSET: 8
; COMPUTE_PGM_RSRC3_GFX90A:TG_SPLIT: 0
	.section	.text._ZN5aiter35fused_qk_rmsnorm_group_quant_kernelIDF16_N4opus5fp4_tELi256ELi16ELi8ELb0ELb1ELb1ELb1ELb0ELb0EEEvPT0_PvPT_S7_S7_PKS6_S9_S9_S9_S9_ffiiiiiiiiiiiii,"axG",@progbits,_ZN5aiter35fused_qk_rmsnorm_group_quant_kernelIDF16_N4opus5fp4_tELi256ELi16ELi8ELb0ELb1ELb1ELb1ELb0ELb0EEEvPT0_PvPT_S7_S7_PKS6_S9_S9_S9_S9_ffiiiiiiiiiiiii,comdat
	.protected	_ZN5aiter35fused_qk_rmsnorm_group_quant_kernelIDF16_N4opus5fp4_tELi256ELi16ELi8ELb0ELb1ELb1ELb1ELb0ELb0EEEvPT0_PvPT_S7_S7_PKS6_S9_S9_S9_S9_ffiiiiiiiiiiiii ; -- Begin function _ZN5aiter35fused_qk_rmsnorm_group_quant_kernelIDF16_N4opus5fp4_tELi256ELi16ELi8ELb0ELb1ELb1ELb1ELb0ELb0EEEvPT0_PvPT_S7_S7_PKS6_S9_S9_S9_S9_ffiiiiiiiiiiiii
	.globl	_ZN5aiter35fused_qk_rmsnorm_group_quant_kernelIDF16_N4opus5fp4_tELi256ELi16ELi8ELb0ELb1ELb1ELb1ELb0ELb0EEEvPT0_PvPT_S7_S7_PKS6_S9_S9_S9_S9_ffiiiiiiiiiiiii
	.p2align	8
	.type	_ZN5aiter35fused_qk_rmsnorm_group_quant_kernelIDF16_N4opus5fp4_tELi256ELi16ELi8ELb0ELb1ELb1ELb1ELb0ELb0EEEvPT0_PvPT_S7_S7_PKS6_S9_S9_S9_S9_ffiiiiiiiiiiiii,@function
_ZN5aiter35fused_qk_rmsnorm_group_quant_kernelIDF16_N4opus5fp4_tELi256ELi16ELi8ELb0ELb1ELb1ELb1ELb0ELb0EEEvPT0_PvPT_S7_S7_PKS6_S9_S9_S9_S9_ffiiiiiiiiiiiii: ; @_ZN5aiter35fused_qk_rmsnorm_group_quant_kernelIDF16_N4opus5fp4_tELi256ELi16ELi8ELb0ELb1ELb1ELb1ELb0ELb0EEEvPT0_PvPT_S7_S7_PKS6_S9_S9_S9_S9_ffiiiiiiiiiiiii
; %bb.0:
	s_load_dwordx4 s[12:15], s[4:5], 0x50
	s_waitcnt lgkmcnt(0)
	s_cmp_ge_i32 s6, s14
	s_cbranch_scc1 .LBB755_12
; %bb.1:
	s_load_dwordx2 s[24:25], s[4:5], 0x30
	s_load_dwordx2 s[8:9], s[4:5], 0x48
	s_load_dwordx4 s[16:19], s[4:5], 0x60
	s_cmp_lg_u32 s7, 0
	s_cselect_b64 s[10:11], -1, 0
	s_cmp_eq_u32 s7, 0
	s_cselect_b64 vcc, -1, 0
	s_and_b64 s[0:1], vcc, exec
	s_waitcnt lgkmcnt(0)
	s_cselect_b32 s7, s15, s16
	s_add_i32 s0, s7, 1
	s_lshr_b32 s1, s0, 31
	s_add_i32 s0, s0, s1
	s_lshl_b32 s0, s0, 1
	v_lshlrev_b32_e32 v1, 4, v0
	s_and_b32 s22, s0, -4
	v_cmp_gt_i32_e64 s[2:3], s7, v1
	v_mov_b32_e32 v18, 0
	v_mov_b32_e32 v6, 0
	;; [unrolled: 1-line block ×17, first 2 shown]
	s_and_saveexec_b64 s[0:1], s[2:3]
	s_cbranch_execz .LBB755_3
; %bb.2:
	s_load_dwordx2 s[14:15], s[4:5], 0x28
	s_load_dwordx2 s[20:21], s[4:5], 0x40
	s_and_b64 s[26:27], vcc, exec
	s_cselect_b32 s17, s17, s18
	s_mov_b32 s30, s22
	s_waitcnt lgkmcnt(0)
	s_cselect_b32 s19, s15, s25
	s_cselect_b32 s23, s14, s24
	s_mul_hi_i32 s15, s17, s6
	s_mul_i32 s14, s17, s6
	s_lshl_b64 s[14:15], s[14:15], 1
	s_add_u32 s28, s23, s14
	s_addc_u32 s17, s19, s15
	s_and_b64 s[14:15], vcc, exec
	s_mov_b32 s23, 0x20000
	s_cselect_b32 s20, s20, s8
	s_cselect_b32 s14, s21, s9
	s_and_b32 s29, s17, 0xffff
	s_mov_b32 s31, s23
	v_lshlrev_b32_e32 v19, 5, v0
	s_and_b32 s21, s14, 0xffff
	buffer_load_dwordx4 v[14:17], v19, s[28:31], 0 offen
	buffer_load_dwordx4 v[10:13], v19, s[28:31], 16 offen
	;; [unrolled: 1-line block ×4, first 2 shown]
.LBB755_3:
	s_or_b64 exec, exec, s[0:1]
	v_mov_b32_e32 v19, 0
	v_mov_b32_e32 v22, 0
	;; [unrolled: 1-line block ×15, first 2 shown]
	s_and_saveexec_b64 s[0:1], s[2:3]
	s_cbranch_execz .LBB755_5
; %bb.4:
	s_waitcnt vmcnt(3)
	v_cvt_f32_f16_sdwa v19, v14 dst_sel:DWORD dst_unused:UNUSED_PAD src0_sel:WORD_1
	v_cvt_f32_f16_e32 v18, v14
	v_cvt_f32_f16_sdwa v23, v15 dst_sel:DWORD dst_unused:UNUSED_PAD src0_sel:WORD_1
	v_cvt_f32_f16_e32 v22, v15
	;; [unrolled: 2-line block ×4, first 2 shown]
	s_waitcnt vmcnt(2)
	v_cvt_f32_f16_sdwa v21, v10 dst_sel:DWORD dst_unused:UNUSED_PAD src0_sel:WORD_1
	v_cvt_f32_f16_e32 v20, v10
	v_cvt_f32_f16_sdwa v29, v11 dst_sel:DWORD dst_unused:UNUSED_PAD src0_sel:WORD_1
	v_cvt_f32_f16_e32 v28, v11
	;; [unrolled: 2-line block ×4, first 2 shown]
.LBB755_5:
	s_or_b64 exec, exec, s[0:1]
	s_waitcnt vmcnt(2)
	v_mul_f32_e32 v10, v19, v19
	v_fmac_f32_e32 v10, v18, v18
	v_fmac_f32_e32 v10, v22, v22
	;; [unrolled: 1-line block ×15, first 2 shown]
	v_and_b32_e32 v12, 63, v0
	v_cmp_eq_u32_e64 s[0:1], 63, v12
	v_mov_b32_dpp v11, v10 quad_perm:[1,0,3,2] row_mask:0xf bank_mask:0xf
	v_add_f32_e32 v10, v10, v11
	s_nop 1
	v_mov_b32_dpp v11, v10 quad_perm:[2,3,0,1] row_mask:0xf bank_mask:0xf
	v_add_f32_e32 v10, v10, v11
	s_nop 1
	v_mov_b32_dpp v11, v10 row_half_mirror row_mask:0xf bank_mask:0xf
	v_add_f32_e32 v10, v10, v11
	s_nop 1
	v_mov_b32_dpp v11, v10 row_mirror row_mask:0xf bank_mask:0xf
	v_add_f32_e32 v10, v10, v11
	s_nop 1
	v_mov_b32_dpp v11, v10 row_bcast:15 row_mask:0xf bank_mask:0xf
	v_add_f32_e32 v10, v10, v11
	s_nop 1
	v_mov_b32_dpp v11, v10 row_bcast:31 row_mask:0xf bank_mask:0xf
	s_and_saveexec_b64 s[14:15], s[0:1]
	s_cbranch_execz .LBB755_7
; %bb.6:
	v_add_f32_e32 v10, v10, v11
	v_lshrrev_b32_e32 v11, 4, v0
	v_and_b32_e32 v11, 60, v11
	ds_write_b32 v11, v10 offset:16
.LBB755_7:
	s_or_b64 exec, exec, s[14:15]
	v_and_b32_e32 v10, 3, v0
	v_lshlrev_b32_e32 v34, 2, v10
	s_waitcnt lgkmcnt(0)
	s_barrier
	ds_read_b32 v10, v34 offset:16
	s_load_dwordx2 s[14:15], s[4:5], 0x18
	s_waitcnt lgkmcnt(0)
	v_mov_b32_dpp v11, v10 quad_perm:[1,0,3,2] row_mask:0xf bank_mask:0xf
	v_add_f32_e32 v10, v10, v11
	s_nop 1
	v_mov_b32_dpp v11, v10 quad_perm:[2,3,0,1] row_mask:0xf bank_mask:0xf
	s_and_saveexec_b64 s[20:21], s[2:3]
	s_cbranch_execz .LBB755_9
; %bb.8:
	v_cvt_f32_u32_e32 v12, s7
	v_add_f32_e32 v10, v10, v11
	v_mov_b32_e32 v14, s13
	v_mov_b32_e32 v15, s12
	v_div_scale_f32 v11, s[26:27], v12, v12, v10
	v_rcp_f32_e32 v13, v11
	v_cndmask_b32_e32 v14, v14, v15, vcc
	s_mov_b32 s7, 0x800000
	v_fma_f32 v15, -v11, v13, 1.0
	v_fmac_f32_e32 v13, v15, v13
	v_div_scale_f32 v15, vcc, v10, v12, v10
	v_mul_f32_e32 v16, v15, v13
	v_fma_f32 v17, -v11, v16, v15
	v_fmac_f32_e32 v16, v17, v13
	v_fma_f32 v11, -v11, v16, v15
	v_div_fmas_f32 v11, v11, v13, v16
	v_div_fixup_f32 v10, v11, v12, v10
	v_add_f32_e32 v10, v14, v10
	v_mul_f32_e32 v11, 0x4b800000, v10
	v_cmp_gt_f32_e32 vcc, s7, v10
	v_cndmask_b32_e32 v10, v10, v11, vcc
	v_rsq_f32_e32 v10, v10
	v_mul_f32_e32 v11, 0x45800000, v10
	v_cndmask_b32_e32 v10, v10, v11, vcc
	v_mov_b32_e32 v11, v10
	;;#ASMSTART
	v_pk_mul_f32 v[12:13], v[18:19], v[10:11]
	;;#ASMEND
	s_waitcnt vmcnt(1)
	v_cvt_f32_f16_sdwa v19, v6 dst_sel:DWORD dst_unused:UNUSED_PAD src0_sel:WORD_1
	v_cvt_f32_f16_e32 v18, v6
	;;#ASMSTART
	v_pk_mul_f32 v[14:15], v[22:23], v[10:11]
	;;#ASMEND
	v_cvt_f32_f16_sdwa v23, v7 dst_sel:DWORD dst_unused:UNUSED_PAD src0_sel:WORD_1
	v_cvt_f32_f16_e32 v22, v7
	;;#ASMSTART
	v_pk_mul_f32 v[16:17], v[24:25], v[10:11]
	;;#ASMEND
	;;#ASMSTART
	v_pk_mul_f32 v[32:33], v[32:33], v[10:11]
	;;#ASMEND
	;; [unrolled: 3-line block ×6, first 2 shown]
	v_pk_add_f32 v[10:11], v[18:19], 1.0 op_sel_hi:[1,0]
	;;#ASMSTART
	v_pk_mul_f32 v[18:19], v[12:13], v[10:11]
	;;#ASMEND
	v_cvt_f32_f16_sdwa v13, v8 dst_sel:DWORD dst_unused:UNUSED_PAD src0_sel:WORD_1
	v_cvt_f32_f16_e32 v12, v8
	v_cvt_f32_f16_sdwa v27, v9 dst_sel:DWORD dst_unused:UNUSED_PAD src0_sel:WORD_1
	v_cvt_f32_f16_e32 v26, v9
	v_pk_add_f32 v[10:11], v[22:23], 1.0 op_sel_hi:[1,0]
	;;#ASMSTART
	v_pk_mul_f32 v[22:23], v[14:15], v[10:11]
	;;#ASMEND
	s_waitcnt vmcnt(0)
	v_cvt_f32_f16_sdwa v11, v2 dst_sel:DWORD dst_unused:UNUSED_PAD src0_sel:WORD_1
	v_cvt_f32_f16_e32 v10, v2
	v_pk_add_f32 v[8:9], v[12:13], 1.0 op_sel_hi:[1,0]
	;;#ASMSTART
	v_pk_mul_f32 v[24:25], v[16:17], v[8:9]
	;;#ASMEND
	v_pk_add_f32 v[8:9], v[26:27], 1.0 op_sel_hi:[1,0]
	v_cvt_f32_f16_sdwa v13, v3 dst_sel:DWORD dst_unused:UNUSED_PAD src0_sel:WORD_1
	v_cvt_f32_f16_e32 v12, v3
	;;#ASMSTART
	v_pk_mul_f32 v[32:33], v[32:33], v[8:9]
	;;#ASMEND
	v_cvt_f32_f16_sdwa v9, v4 dst_sel:DWORD dst_unused:UNUSED_PAD src0_sel:WORD_1
	v_cvt_f32_f16_e32 v8, v4
	v_pk_add_f32 v[2:3], v[10:11], 1.0 op_sel_hi:[1,0]
	v_cvt_f32_f16_sdwa v11, v5 dst_sel:DWORD dst_unused:UNUSED_PAD src0_sel:WORD_1
	v_cvt_f32_f16_e32 v10, v5
	;;#ASMSTART
	v_pk_mul_f32 v[20:21], v[20:21], v[2:3]
	;;#ASMEND
	v_pk_add_f32 v[2:3], v[12:13], 1.0 op_sel_hi:[1,0]
	;;#ASMSTART
	v_pk_mul_f32 v[28:29], v[28:29], v[2:3]
	;;#ASMEND
	v_pk_add_f32 v[2:3], v[8:9], 1.0 op_sel_hi:[1,0]
	;; [unrolled: 4-line block ×3, first 2 shown]
	;;#ASMSTART
	v_pk_mul_f32 v[26:27], v[6:7], v[2:3]
	;;#ASMEND
.LBB755_9:
	s_or_b64 exec, exec, s[20:21]
	s_load_dwordx2 s[26:27], s[4:5], 0x7c
	s_mov_b64 s[20:21], -1
	s_and_b64 vcc, exec, s[10:11]
	s_cbranch_vccnz .LBB755_13
; %bb.10:
	s_andn2_b64 vcc, exec, s[20:21]
	s_cbranch_vccz .LBB755_16
.LBB755_11:
	s_cmp_lt_i32 s16, 1
	s_cbranch_scc0 .LBB755_19
.LBB755_12:
	s_endpgm
.LBB755_13:
	s_and_saveexec_b64 s[10:11], s[2:3]
	s_cbranch_execz .LBB755_15
; %bb.14:
	s_waitcnt lgkmcnt(0)
	s_mul_hi_i32 s21, s27, s6
	s_mul_i32 s20, s27, s6
	s_waitcnt vmcnt(0)
	v_cvt_f16_f32_e32 v2, v18
	v_cvt_f16_f32_e32 v3, v22
	;; [unrolled: 1-line block ×8, first 2 shown]
	s_lshl_b64 s[20:21], s[20:21], 1
	s_add_u32 s20, s14, s20
	s_addc_u32 s7, s15, s21
	s_and_b32 s21, s7, 0xffff
	s_mov_b32 s23, 0x20000
	v_pack_b32_f16 v5, v5, v6
	v_pack_b32_f16 v4, v4, v7
	;; [unrolled: 1-line block ×4, first 2 shown]
	v_lshlrev_b32_e32 v6, 5, v0
	buffer_store_dwordx4 v[2:5], v6, s[20:23], 0 offen
	v_cvt_f16_f32_e32 v7, v27
	v_cvt_f16_f32_e32 v2, v20
	;; [unrolled: 1-line block ×8, first 2 shown]
	v_pack_b32_f16 v5, v5, v7
	v_pack_b32_f16 v4, v4, v8
	;; [unrolled: 1-line block ×4, first 2 shown]
	;;#ASMSTART
	s_nop 0
	;;#ASMEND
	buffer_store_dwordx4 v[2:5], v6, s[20:23], 16 offen
	;;#ASMSTART
	s_nop 0
	;;#ASMEND
.LBB755_15:
	s_or_b64 exec, exec, s[10:11]
	s_cbranch_execnz .LBB755_11
.LBB755_16:
	s_and_saveexec_b64 s[10:11], s[2:3]
	s_cbranch_execz .LBB755_18
; %bb.17:
	s_load_dwordx2 s[2:3], s[4:5], 0x10
	s_waitcnt lgkmcnt(0)
	s_mul_hi_i32 s21, s26, s6
	s_mul_i32 s20, s26, s6
	s_waitcnt vmcnt(0)
	v_cvt_f16_f32_e32 v2, v18
	v_cvt_f16_f32_e32 v3, v22
	;; [unrolled: 1-line block ×8, first 2 shown]
	s_lshl_b64 s[20:21], s[20:21], 1
	s_add_u32 s20, s2, s20
	s_addc_u32 s2, s3, s21
	s_mov_b32 s23, 0x20000
	s_and_b32 s21, s2, 0xffff
	v_pack_b32_f16 v5, v5, v6
	v_pack_b32_f16 v4, v4, v7
	v_pack_b32_f16 v3, v3, v8
	v_pack_b32_f16 v2, v2, v9
	v_lshlrev_b32_e32 v6, 5, v0
	buffer_store_dwordx4 v[2:5], v6, s[20:23], 0 offen
	v_cvt_f16_f32_e32 v7, v27
	v_cvt_f16_f32_e32 v2, v20
	v_cvt_f16_f32_e32 v3, v28
	v_cvt_f16_f32_e32 v4, v30
	v_cvt_f16_f32_e32 v5, v26
	v_cvt_f16_f32_e32 v8, v31
	v_cvt_f16_f32_e32 v9, v29
	v_cvt_f16_f32_e32 v10, v21
	v_pack_b32_f16 v5, v5, v7
	v_pack_b32_f16 v4, v4, v8
	;; [unrolled: 1-line block ×4, first 2 shown]
	;;#ASMSTART
	s_nop 0
	;;#ASMEND
	buffer_store_dwordx4 v[2:5], v6, s[20:23], 16 offen
	;;#ASMSTART
	s_nop 0
	;;#ASMEND
.LBB755_18:
	s_or_b64 exec, exec, s[10:11]
	s_cmp_lt_i32 s16, 1
	s_cbranch_scc1 .LBB755_12
.LBB755_19:
	s_load_dword s2, s[4:5], 0x94
	s_waitcnt lgkmcnt(0)
	s_cmp_lg_u32 s2, 1
	s_cbranch_scc1 .LBB755_12
; %bb.20:
	s_lshl_b32 s2, s16, 1
	s_add_i32 s2, s2, 2
	v_cmp_gt_u32_e32 vcc, s16, v1
	s_and_b32 s10, s2, -4
	v_mov_b32_e32 v18, 0
	v_lshlrev_b32_e32 v1, 5, v0
	v_mov_b32_e32 v14, 0
	v_mov_b32_e32 v15, 0
	v_mov_b32_e32 v16, 0
	v_mov_b32_e32 v17, 0
	v_mov_b32_e32 v10, 0
	v_mov_b32_e32 v11, 0
	v_mov_b32_e32 v12, 0
	v_mov_b32_e32 v13, 0
	s_waitcnt vmcnt(1)
	v_mov_b32_e32 v6, 0
	v_mov_b32_e32 v7, 0
	;; [unrolled: 1-line block ×4, first 2 shown]
	s_waitcnt vmcnt(0)
	v_mov_b32_e32 v2, 0
	v_mov_b32_e32 v3, 0
	;; [unrolled: 1-line block ×4, first 2 shown]
	s_barrier
	s_and_saveexec_b64 s[2:3], vcc
	s_cbranch_execz .LBB755_22
; %bb.21:
	s_mul_hi_i32 s5, s18, s6
	s_mul_i32 s4, s18, s6
	s_and_b32 s9, s9, 0xffff
	s_lshl_b64 s[4:5], s[4:5], 1
	s_add_u32 s20, s24, s4
	s_mov_b32 s11, 0x20000
	s_addc_u32 s4, s25, s5
	s_and_b32 s21, s4, 0xffff
	s_mov_b32 s22, s10
	s_mov_b32 s23, s11
	buffer_load_dwordx4 v[14:17], v1, s[20:23], 0 offen
	buffer_load_dwordx4 v[10:13], v1, s[20:23], 16 offen
	;; [unrolled: 1-line block ×4, first 2 shown]
.LBB755_22:
	s_or_b64 exec, exec, s[2:3]
	v_mov_b32_e32 v19, 0
	v_mov_b32_e32 v32, 0
	;; [unrolled: 1-line block ×15, first 2 shown]
	s_and_saveexec_b64 s[2:3], vcc
	s_cbranch_execz .LBB755_24
; %bb.23:
	s_waitcnt vmcnt(3)
	v_cvt_f32_f16_sdwa v19, v14 dst_sel:DWORD dst_unused:UNUSED_PAD src0_sel:WORD_1
	v_cvt_f32_f16_e32 v18, v14
	v_cvt_f32_f16_sdwa v33, v15 dst_sel:DWORD dst_unused:UNUSED_PAD src0_sel:WORD_1
	v_cvt_f32_f16_e32 v32, v15
	;; [unrolled: 2-line block ×4, first 2 shown]
	s_waitcnt vmcnt(2)
	v_cvt_f32_f16_sdwa v27, v10 dst_sel:DWORD dst_unused:UNUSED_PAD src0_sel:WORD_1
	v_cvt_f32_f16_e32 v26, v10
	v_cvt_f32_f16_sdwa v25, v11 dst_sel:DWORD dst_unused:UNUSED_PAD src0_sel:WORD_1
	v_cvt_f32_f16_e32 v24, v11
	;; [unrolled: 2-line block ×4, first 2 shown]
.LBB755_24:
	s_or_b64 exec, exec, s[2:3]
	s_waitcnt vmcnt(2)
	v_mul_f32_e32 v10, v19, v19
	v_fmac_f32_e32 v10, v18, v18
	v_fmac_f32_e32 v10, v32, v32
	;; [unrolled: 1-line block ×15, first 2 shown]
	s_nop 1
	v_mov_b32_dpp v11, v10 quad_perm:[1,0,3,2] row_mask:0xf bank_mask:0xf
	v_add_f32_e32 v10, v10, v11
	s_nop 1
	v_mov_b32_dpp v11, v10 quad_perm:[2,3,0,1] row_mask:0xf bank_mask:0xf
	v_add_f32_e32 v10, v10, v11
	s_nop 1
	v_mov_b32_dpp v11, v10 row_half_mirror row_mask:0xf bank_mask:0xf
	v_add_f32_e32 v10, v10, v11
	s_nop 1
	v_mov_b32_dpp v11, v10 row_mirror row_mask:0xf bank_mask:0xf
	v_add_f32_e32 v10, v10, v11
	s_nop 1
	v_mov_b32_dpp v11, v10 row_bcast:15 row_mask:0xf bank_mask:0xf
	v_add_f32_e32 v10, v10, v11
	s_nop 1
	v_mov_b32_dpp v11, v10 row_bcast:31 row_mask:0xf bank_mask:0xf
	s_and_saveexec_b64 s[2:3], s[0:1]
	s_cbranch_execz .LBB755_26
; %bb.25:
	v_lshrrev_b32_e32 v0, 4, v0
	v_add_f32_e32 v10, v10, v11
	v_and_b32_e32 v0, 60, v0
	ds_write_b32 v0, v10
.LBB755_26:
	s_or_b64 exec, exec, s[2:3]
	s_waitcnt lgkmcnt(0)
	s_barrier
	ds_read_b32 v0, v34
	s_waitcnt lgkmcnt(0)
	s_nop 0
	v_mov_b32_dpp v10, v0 quad_perm:[1,0,3,2] row_mask:0xf bank_mask:0xf
	v_add_f32_e32 v0, v0, v10
	s_nop 1
	v_mov_b32_dpp v10, v0 quad_perm:[2,3,0,1] row_mask:0xf bank_mask:0xf
	s_and_saveexec_b64 s[0:1], vcc
	s_cbranch_execz .LBB755_12
; %bb.27:
	v_cvt_f32_u32_e32 v11, s16
	v_add_f32_e32 v0, v0, v10
	s_mov_b32 s11, 0x20000
	v_div_scale_f32 v10, s[0:1], v11, v11, v0
	v_rcp_f32_e32 v12, v10
	v_div_scale_f32 v13, vcc, v0, v11, v0
	s_mov_b32 s0, 0x800000
	v_fma_f32 v14, -v10, v12, 1.0
	v_fmac_f32_e32 v12, v14, v12
	v_mul_f32_e32 v14, v13, v12
	v_fma_f32 v15, -v10, v14, v13
	v_fmac_f32_e32 v14, v15, v12
	v_fma_f32 v10, -v10, v14, v13
	v_div_fmas_f32 v10, v10, v12, v14
	v_div_fixup_f32 v0, v10, v11, v0
	v_add_f32_e32 v0, s13, v0
	v_mul_f32_e32 v10, 0x4b800000, v0
	v_cmp_gt_f32_e32 vcc, s0, v0
	v_cndmask_b32_e32 v0, v0, v10, vcc
	v_rsq_f32_e32 v0, v0
	s_mul_hi_i32 s1, s27, s6
	s_mul_i32 s0, s27, s6
	s_lshl_b64 s[0:1], s[0:1], 1
	v_mul_f32_e32 v10, 0x45800000, v0
	v_cndmask_b32_e32 v10, v0, v10, vcc
	v_mov_b32_e32 v11, v10
	;;#ASMSTART
	v_pk_mul_f32 v[12:13], v[18:19], v[10:11]
	;;#ASMEND
	;;#ASMSTART
	v_pk_mul_f32 v[14:15], v[32:33], v[10:11]
	;;#ASMEND
	;; [unrolled: 3-line block ×4, first 2 shown]
	s_waitcnt vmcnt(1)
	v_cvt_f32_f16_sdwa v29, v6 dst_sel:DWORD dst_unused:UNUSED_PAD src0_sel:WORD_1
	v_cvt_f32_f16_e32 v28, v6
	v_cvt_f32_f16_sdwa v31, v7 dst_sel:DWORD dst_unused:UNUSED_PAD src0_sel:WORD_1
	v_cvt_f32_f16_e32 v30, v7
	;;#ASMSTART
	v_pk_mul_f32 v[26:27], v[26:27], v[10:11]
	;;#ASMEND
	;;#ASMSTART
	v_pk_mul_f32 v[24:25], v[24:25], v[10:11]
	;;#ASMEND
	;; [unrolled: 3-line block ×4, first 2 shown]
	v_cvt_f32_f16_sdwa v21, v8 dst_sel:DWORD dst_unused:UNUSED_PAD src0_sel:WORD_1
	v_cvt_f32_f16_e32 v20, v8
	v_pk_add_f32 v[10:11], v[28:29], 1.0 op_sel_hi:[1,0]
	;;#ASMSTART
	v_pk_mul_f32 v[10:11], v[12:13], v[10:11]
	;;#ASMEND
	v_pk_add_f32 v[12:13], v[30:31], 1.0 op_sel_hi:[1,0]
	v_cvt_f32_f16_sdwa v29, v9 dst_sel:DWORD dst_unused:UNUSED_PAD src0_sel:WORD_1
	v_cvt_f32_f16_e32 v28, v9
	;;#ASMSTART
	v_pk_mul_f32 v[8:9], v[14:15], v[12:13]
	;;#ASMEND
	v_pk_add_f32 v[12:13], v[20:21], 1.0 op_sel_hi:[1,0]
	;;#ASMSTART
	v_pk_mul_f32 v[12:13], v[16:17], v[12:13]
	;;#ASMEND
	s_waitcnt vmcnt(0)
	v_cvt_f32_f16_sdwa v17, v2 dst_sel:DWORD dst_unused:UNUSED_PAD src0_sel:WORD_1
	v_cvt_f32_f16_e32 v16, v2
	v_cvt_f32_f16_sdwa v21, v3 dst_sel:DWORD dst_unused:UNUSED_PAD src0_sel:WORD_1
	v_cvt_f32_f16_e32 v20, v3
	v_pk_add_f32 v[14:15], v[28:29], 1.0 op_sel_hi:[1,0]
	;;#ASMSTART
	v_pk_mul_f32 v[2:3], v[18:19], v[14:15]
	;;#ASMEND
	v_cvt_f32_f16_sdwa v19, v4 dst_sel:DWORD dst_unused:UNUSED_PAD src0_sel:WORD_1
	v_cvt_f32_f16_e32 v18, v4
	v_pk_add_f32 v[14:15], v[16:17], 1.0 op_sel_hi:[1,0]
	v_pk_add_f32 v[16:17], v[20:21], 1.0 op_sel_hi:[1,0]
	v_cvt_f32_f16_sdwa v21, v5 dst_sel:DWORD dst_unused:UNUSED_PAD src0_sel:WORD_1
	v_cvt_f32_f16_e32 v20, v5
	v_pk_add_f32 v[4:5], v[18:19], 1.0 op_sel_hi:[1,0]
	;;#ASMSTART
	v_pk_mul_f32 v[14:15], v[26:27], v[14:15]
	;;#ASMEND
	;;#ASMSTART
	v_pk_mul_f32 v[16:17], v[24:25], v[16:17]
	;;#ASMEND
	;; [unrolled: 3-line block ×3, first 2 shown]
	v_pk_add_f32 v[4:5], v[20:21], 1.0 op_sel_hi:[1,0]
	;;#ASMSTART
	v_pk_mul_f32 v[6:7], v[6:7], v[4:5]
	;;#ASMEND
	v_cvt_f16_f32_e32 v0, v10
	v_cvt_f16_f32_e32 v4, v11
	;; [unrolled: 1-line block ×8, first 2 shown]
	s_add_u32 s8, s14, s0
	s_addc_u32 s0, s15, s1
	s_and_b32 s9, s0, 0xffff
	v_pack_b32_f16 v2, v0, v4
	v_pack_b32_f16 v3, v5, v8
	;; [unrolled: 1-line block ×4, first 2 shown]
	buffer_store_dwordx4 v[2:5], v1, s[8:11], 0 offen
	v_cvt_f16_f32_e32 v0, v14
	v_cvt_f16_f32_e32 v2, v15
	v_cvt_f16_f32_e32 v3, v16
	v_cvt_f16_f32_e32 v4, v17
	v_cvt_f16_f32_e32 v5, v18
	v_cvt_f16_f32_e32 v8, v19
	v_cvt_f16_f32_e32 v6, v6
	v_cvt_f16_f32_e32 v7, v7
	v_pack_b32_f16 v2, v0, v2
	v_pack_b32_f16 v3, v3, v4
	;; [unrolled: 1-line block ×4, first 2 shown]
	;;#ASMSTART
	s_nop 0
	;;#ASMEND
	buffer_store_dwordx4 v[2:5], v1, s[8:11], 16 offen
	;;#ASMSTART
	s_nop 0
	;;#ASMEND
	s_endpgm
	.section	.rodata,"a",@progbits
	.p2align	6, 0x0
	.amdhsa_kernel _ZN5aiter35fused_qk_rmsnorm_group_quant_kernelIDF16_N4opus5fp4_tELi256ELi16ELi8ELb0ELb1ELb1ELb1ELb0ELb0EEEvPT0_PvPT_S7_S7_PKS6_S9_S9_S9_S9_ffiiiiiiiiiiiii
		.amdhsa_group_segment_fixed_size 32
		.amdhsa_private_segment_fixed_size 0
		.amdhsa_kernarg_size 400
		.amdhsa_user_sgpr_count 6
		.amdhsa_user_sgpr_private_segment_buffer 1
		.amdhsa_user_sgpr_dispatch_ptr 0
		.amdhsa_user_sgpr_queue_ptr 0
		.amdhsa_user_sgpr_kernarg_segment_ptr 1
		.amdhsa_user_sgpr_dispatch_id 0
		.amdhsa_user_sgpr_flat_scratch_init 0
		.amdhsa_user_sgpr_kernarg_preload_length 0
		.amdhsa_user_sgpr_kernarg_preload_offset 0
		.amdhsa_user_sgpr_private_segment_size 0
		.amdhsa_uses_dynamic_stack 0
		.amdhsa_system_sgpr_private_segment_wavefront_offset 0
		.amdhsa_system_sgpr_workgroup_id_x 1
		.amdhsa_system_sgpr_workgroup_id_y 1
		.amdhsa_system_sgpr_workgroup_id_z 0
		.amdhsa_system_sgpr_workgroup_info 0
		.amdhsa_system_vgpr_workitem_id 0
		.amdhsa_next_free_vgpr 35
		.amdhsa_next_free_sgpr 32
		.amdhsa_accum_offset 36
		.amdhsa_reserve_vcc 1
		.amdhsa_reserve_flat_scratch 0
		.amdhsa_float_round_mode_32 0
		.amdhsa_float_round_mode_16_64 0
		.amdhsa_float_denorm_mode_32 3
		.amdhsa_float_denorm_mode_16_64 3
		.amdhsa_dx10_clamp 1
		.amdhsa_ieee_mode 1
		.amdhsa_fp16_overflow 0
		.amdhsa_tg_split 0
		.amdhsa_exception_fp_ieee_invalid_op 0
		.amdhsa_exception_fp_denorm_src 0
		.amdhsa_exception_fp_ieee_div_zero 0
		.amdhsa_exception_fp_ieee_overflow 0
		.amdhsa_exception_fp_ieee_underflow 0
		.amdhsa_exception_fp_ieee_inexact 0
		.amdhsa_exception_int_div_zero 0
	.end_amdhsa_kernel
	.section	.text._ZN5aiter35fused_qk_rmsnorm_group_quant_kernelIDF16_N4opus5fp4_tELi256ELi16ELi8ELb0ELb1ELb1ELb1ELb0ELb0EEEvPT0_PvPT_S7_S7_PKS6_S9_S9_S9_S9_ffiiiiiiiiiiiii,"axG",@progbits,_ZN5aiter35fused_qk_rmsnorm_group_quant_kernelIDF16_N4opus5fp4_tELi256ELi16ELi8ELb0ELb1ELb1ELb1ELb0ELb0EEEvPT0_PvPT_S7_S7_PKS6_S9_S9_S9_S9_ffiiiiiiiiiiiii,comdat
.Lfunc_end755:
	.size	_ZN5aiter35fused_qk_rmsnorm_group_quant_kernelIDF16_N4opus5fp4_tELi256ELi16ELi8ELb0ELb1ELb1ELb1ELb0ELb0EEEvPT0_PvPT_S7_S7_PKS6_S9_S9_S9_S9_ffiiiiiiiiiiiii, .Lfunc_end755-_ZN5aiter35fused_qk_rmsnorm_group_quant_kernelIDF16_N4opus5fp4_tELi256ELi16ELi8ELb0ELb1ELb1ELb1ELb0ELb0EEEvPT0_PvPT_S7_S7_PKS6_S9_S9_S9_S9_ffiiiiiiiiiiiii
                                        ; -- End function
	.section	.AMDGPU.csdata,"",@progbits
; Kernel info:
; codeLenInByte = 2968
; NumSgprs: 36
; NumVgprs: 35
; NumAgprs: 0
; TotalNumVgprs: 35
; ScratchSize: 0
; MemoryBound: 0
; FloatMode: 240
; IeeeMode: 1
; LDSByteSize: 32 bytes/workgroup (compile time only)
; SGPRBlocks: 4
; VGPRBlocks: 4
; NumSGPRsForWavesPerEU: 36
; NumVGPRsForWavesPerEU: 35
; AccumOffset: 36
; Occupancy: 8
; WaveLimiterHint : 0
; COMPUTE_PGM_RSRC2:SCRATCH_EN: 0
; COMPUTE_PGM_RSRC2:USER_SGPR: 6
; COMPUTE_PGM_RSRC2:TRAP_HANDLER: 0
; COMPUTE_PGM_RSRC2:TGID_X_EN: 1
; COMPUTE_PGM_RSRC2:TGID_Y_EN: 1
; COMPUTE_PGM_RSRC2:TGID_Z_EN: 0
; COMPUTE_PGM_RSRC2:TIDIG_COMP_CNT: 0
; COMPUTE_PGM_RSRC3_GFX90A:ACCUM_OFFSET: 8
; COMPUTE_PGM_RSRC3_GFX90A:TG_SPLIT: 0
	.section	.text._ZN5aiter35fused_qk_rmsnorm_group_quant_kernelItN4opus5fp4_tELi256ELi16ELi8ELb0ELb1ELb1ELb1ELb0ELb0EEEvPT0_PvPT_S7_S7_PKS6_S9_S9_S9_S9_ffiiiiiiiiiiiii,"axG",@progbits,_ZN5aiter35fused_qk_rmsnorm_group_quant_kernelItN4opus5fp4_tELi256ELi16ELi8ELb0ELb1ELb1ELb1ELb0ELb0EEEvPT0_PvPT_S7_S7_PKS6_S9_S9_S9_S9_ffiiiiiiiiiiiii,comdat
	.protected	_ZN5aiter35fused_qk_rmsnorm_group_quant_kernelItN4opus5fp4_tELi256ELi16ELi8ELb0ELb1ELb1ELb1ELb0ELb0EEEvPT0_PvPT_S7_S7_PKS6_S9_S9_S9_S9_ffiiiiiiiiiiiii ; -- Begin function _ZN5aiter35fused_qk_rmsnorm_group_quant_kernelItN4opus5fp4_tELi256ELi16ELi8ELb0ELb1ELb1ELb1ELb0ELb0EEEvPT0_PvPT_S7_S7_PKS6_S9_S9_S9_S9_ffiiiiiiiiiiiii
	.globl	_ZN5aiter35fused_qk_rmsnorm_group_quant_kernelItN4opus5fp4_tELi256ELi16ELi8ELb0ELb1ELb1ELb1ELb0ELb0EEEvPT0_PvPT_S7_S7_PKS6_S9_S9_S9_S9_ffiiiiiiiiiiiii
	.p2align	8
	.type	_ZN5aiter35fused_qk_rmsnorm_group_quant_kernelItN4opus5fp4_tELi256ELi16ELi8ELb0ELb1ELb1ELb1ELb0ELb0EEEvPT0_PvPT_S7_S7_PKS6_S9_S9_S9_S9_ffiiiiiiiiiiiii,@function
_ZN5aiter35fused_qk_rmsnorm_group_quant_kernelItN4opus5fp4_tELi256ELi16ELi8ELb0ELb1ELb1ELb1ELb0ELb0EEEvPT0_PvPT_S7_S7_PKS6_S9_S9_S9_S9_ffiiiiiiiiiiiii: ; @_ZN5aiter35fused_qk_rmsnorm_group_quant_kernelItN4opus5fp4_tELi256ELi16ELi8ELb0ELb1ELb1ELb1ELb0ELb0EEEvPT0_PvPT_S7_S7_PKS6_S9_S9_S9_S9_ffiiiiiiiiiiiii
; %bb.0:
	s_load_dwordx4 s[12:15], s[4:5], 0x50
	s_waitcnt lgkmcnt(0)
	s_cmp_ge_i32 s6, s14
	s_cbranch_scc1 .LBB756_12
; %bb.1:
	s_load_dwordx2 s[24:25], s[4:5], 0x30
	s_load_dwordx2 s[8:9], s[4:5], 0x48
	s_load_dwordx4 s[16:19], s[4:5], 0x60
	s_cmp_lg_u32 s7, 0
	s_cselect_b64 s[10:11], -1, 0
	s_cmp_eq_u32 s7, 0
	s_cselect_b64 vcc, -1, 0
	s_and_b64 s[0:1], vcc, exec
	s_waitcnt lgkmcnt(0)
	s_cselect_b32 s7, s15, s16
	s_add_i32 s0, s7, 1
	s_lshr_b32 s1, s0, 31
	s_add_i32 s0, s0, s1
	s_lshl_b32 s0, s0, 1
	v_lshlrev_b32_e32 v1, 4, v0
	s_and_b32 s22, s0, -4
	v_cmp_gt_i32_e64 s[2:3], s7, v1
	v_mov_b32_e32 v18, 0
	v_mov_b32_e32 v6, 0
	;; [unrolled: 1-line block ×17, first 2 shown]
	s_and_saveexec_b64 s[0:1], s[2:3]
	s_cbranch_execz .LBB756_3
; %bb.2:
	s_load_dwordx2 s[14:15], s[4:5], 0x28
	s_load_dwordx2 s[20:21], s[4:5], 0x40
	s_and_b64 s[26:27], vcc, exec
	s_cselect_b32 s17, s17, s18
	s_mov_b32 s30, s22
	s_waitcnt lgkmcnt(0)
	s_cselect_b32 s19, s15, s25
	s_cselect_b32 s23, s14, s24
	s_mul_hi_i32 s15, s17, s6
	s_mul_i32 s14, s17, s6
	s_lshl_b64 s[14:15], s[14:15], 1
	s_add_u32 s28, s23, s14
	s_addc_u32 s17, s19, s15
	s_and_b64 s[14:15], vcc, exec
	s_mov_b32 s23, 0x20000
	s_cselect_b32 s20, s20, s8
	s_cselect_b32 s14, s21, s9
	s_and_b32 s29, s17, 0xffff
	s_mov_b32 s31, s23
	v_lshlrev_b32_e32 v19, 5, v0
	s_and_b32 s21, s14, 0xffff
	buffer_load_dwordx4 v[14:17], v19, s[28:31], 0 offen
	buffer_load_dwordx4 v[10:13], v19, s[28:31], 16 offen
	;; [unrolled: 1-line block ×4, first 2 shown]
.LBB756_3:
	s_or_b64 exec, exec, s[0:1]
	v_mov_b32_e32 v19, 0
	v_mov_b32_e32 v20, 0
	v_mov_b32_e32 v21, 0
	v_mov_b32_e32 v22, 0
	v_mov_b32_e32 v23, 0
	v_mov_b32_e32 v26, 0
	v_mov_b32_e32 v27, 0
	v_mov_b32_e32 v24, 0
	v_mov_b32_e32 v25, 0
	v_mov_b32_e32 v30, 0
	v_mov_b32_e32 v31, 0
	v_mov_b32_e32 v32, 0
	v_mov_b32_e32 v33, 0
	v_mov_b32_e32 v28, 0
	v_mov_b32_e32 v29, 0
	s_and_saveexec_b64 s[0:1], s[2:3]
	s_cbranch_execz .LBB756_5
; %bb.4:
	s_waitcnt vmcnt(3)
	v_cvt_f32_u32_sdwa v18, v14 dst_sel:DWORD dst_unused:UNUSED_PAD src0_sel:WORD_0
	v_cvt_f32_u32_sdwa v19, v14 dst_sel:DWORD dst_unused:UNUSED_PAD src0_sel:WORD_1
	v_cvt_f32_u32_sdwa v20, v15 dst_sel:DWORD dst_unused:UNUSED_PAD src0_sel:WORD_0
	v_cvt_f32_u32_sdwa v21, v15 dst_sel:DWORD dst_unused:UNUSED_PAD src0_sel:WORD_1
	;; [unrolled: 2-line block ×4, first 2 shown]
	s_waitcnt vmcnt(2)
	v_cvt_f32_u32_sdwa v24, v10 dst_sel:DWORD dst_unused:UNUSED_PAD src0_sel:WORD_0
	v_cvt_f32_u32_sdwa v25, v10 dst_sel:DWORD dst_unused:UNUSED_PAD src0_sel:WORD_1
	v_cvt_f32_u32_sdwa v30, v11 dst_sel:DWORD dst_unused:UNUSED_PAD src0_sel:WORD_0
	v_cvt_f32_u32_sdwa v31, v11 dst_sel:DWORD dst_unused:UNUSED_PAD src0_sel:WORD_1
	;; [unrolled: 2-line block ×4, first 2 shown]
.LBB756_5:
	s_or_b64 exec, exec, s[0:1]
	s_waitcnt vmcnt(2)
	v_mul_f32_e32 v10, v19, v19
	v_fmac_f32_e32 v10, v18, v18
	v_fmac_f32_e32 v10, v20, v20
	;; [unrolled: 1-line block ×15, first 2 shown]
	v_and_b32_e32 v12, 63, v0
	v_cmp_eq_u32_e64 s[0:1], 63, v12
	v_mov_b32_dpp v11, v10 quad_perm:[1,0,3,2] row_mask:0xf bank_mask:0xf
	v_add_f32_e32 v10, v10, v11
	s_nop 1
	v_mov_b32_dpp v11, v10 quad_perm:[2,3,0,1] row_mask:0xf bank_mask:0xf
	v_add_f32_e32 v10, v10, v11
	s_nop 1
	v_mov_b32_dpp v11, v10 row_half_mirror row_mask:0xf bank_mask:0xf
	v_add_f32_e32 v10, v10, v11
	s_nop 1
	v_mov_b32_dpp v11, v10 row_mirror row_mask:0xf bank_mask:0xf
	v_add_f32_e32 v10, v10, v11
	s_nop 1
	v_mov_b32_dpp v11, v10 row_bcast:15 row_mask:0xf bank_mask:0xf
	v_add_f32_e32 v10, v10, v11
	s_nop 1
	v_mov_b32_dpp v11, v10 row_bcast:31 row_mask:0xf bank_mask:0xf
	s_and_saveexec_b64 s[14:15], s[0:1]
	s_cbranch_execz .LBB756_7
; %bb.6:
	v_add_f32_e32 v10, v10, v11
	v_lshrrev_b32_e32 v11, 4, v0
	v_and_b32_e32 v11, 60, v11
	ds_write_b32 v11, v10 offset:16
.LBB756_7:
	s_or_b64 exec, exec, s[14:15]
	v_and_b32_e32 v10, 3, v0
	v_lshlrev_b32_e32 v34, 2, v10
	s_waitcnt lgkmcnt(0)
	s_barrier
	ds_read_b32 v10, v34 offset:16
	s_load_dwordx2 s[14:15], s[4:5], 0x18
	s_waitcnt lgkmcnt(0)
	v_mov_b32_dpp v11, v10 quad_perm:[1,0,3,2] row_mask:0xf bank_mask:0xf
	v_add_f32_e32 v10, v10, v11
	s_nop 1
	v_mov_b32_dpp v11, v10 quad_perm:[2,3,0,1] row_mask:0xf bank_mask:0xf
	s_and_saveexec_b64 s[20:21], s[2:3]
	s_cbranch_execz .LBB756_9
; %bb.8:
	v_cvt_f32_u32_e32 v12, s7
	v_add_f32_e32 v10, v10, v11
	v_mov_b32_e32 v14, s13
	v_mov_b32_e32 v15, s12
	v_div_scale_f32 v11, s[26:27], v12, v12, v10
	v_rcp_f32_e32 v13, v11
	v_cndmask_b32_e32 v14, v14, v15, vcc
	s_mov_b32 s7, 0x800000
	v_fma_f32 v15, -v11, v13, 1.0
	v_fmac_f32_e32 v13, v15, v13
	v_div_scale_f32 v15, vcc, v10, v12, v10
	v_mul_f32_e32 v16, v15, v13
	v_fma_f32 v17, -v11, v16, v15
	v_fmac_f32_e32 v16, v17, v13
	v_fma_f32 v11, -v11, v16, v15
	v_div_fmas_f32 v11, v11, v13, v16
	v_div_fixup_f32 v10, v11, v12, v10
	v_add_f32_e32 v10, v14, v10
	v_mul_f32_e32 v11, 0x4b800000, v10
	v_cmp_gt_f32_e32 vcc, s7, v10
	v_cndmask_b32_e32 v10, v10, v11, vcc
	v_rsq_f32_e32 v10, v10
	v_mul_f32_e32 v11, 0x45800000, v10
	v_cndmask_b32_e32 v10, v10, v11, vcc
	v_mov_b32_e32 v11, v10
	;;#ASMSTART
	v_pk_mul_f32 v[12:13], v[18:19], v[10:11]
	;;#ASMEND
	s_waitcnt vmcnt(1)
	v_cvt_f32_u32_sdwa v19, v6 dst_sel:DWORD dst_unused:UNUSED_PAD src0_sel:WORD_1
	v_cvt_f32_u32_sdwa v18, v6 dst_sel:DWORD dst_unused:UNUSED_PAD src0_sel:WORD_0
	;;#ASMSTART
	v_pk_mul_f32 v[14:15], v[20:21], v[10:11]
	;;#ASMEND
	v_cvt_f32_u32_sdwa v21, v7 dst_sel:DWORD dst_unused:UNUSED_PAD src0_sel:WORD_1
	v_cvt_f32_u32_sdwa v20, v7 dst_sel:DWORD dst_unused:UNUSED_PAD src0_sel:WORD_0
	;;#ASMSTART
	v_pk_mul_f32 v[16:17], v[22:23], v[10:11]
	;;#ASMEND
	;;#ASMSTART
	v_pk_mul_f32 v[26:27], v[26:27], v[10:11]
	;;#ASMEND
	;;#ASMSTART
	v_pk_mul_f32 v[24:25], v[24:25], v[10:11]
	;;#ASMEND
	;;#ASMSTART
	v_pk_mul_f32 v[30:31], v[30:31], v[10:11]
	;;#ASMEND
	;;#ASMSTART
	v_pk_mul_f32 v[32:33], v[32:33], v[10:11]
	;;#ASMEND
	;;#ASMSTART
	v_pk_mul_f32 v[6:7], v[28:29], v[10:11]
	;;#ASMEND
	v_pk_add_f32 v[10:11], v[18:19], 1.0 op_sel_hi:[1,0]
	;;#ASMSTART
	v_pk_mul_f32 v[18:19], v[12:13], v[10:11]
	;;#ASMEND
	v_cvt_f32_u32_sdwa v13, v8 dst_sel:DWORD dst_unused:UNUSED_PAD src0_sel:WORD_1
	v_cvt_f32_u32_sdwa v12, v8 dst_sel:DWORD dst_unused:UNUSED_PAD src0_sel:WORD_0
	v_cvt_f32_u32_sdwa v29, v9 dst_sel:DWORD dst_unused:UNUSED_PAD src0_sel:WORD_1
	v_cvt_f32_u32_sdwa v28, v9 dst_sel:DWORD dst_unused:UNUSED_PAD src0_sel:WORD_0
	v_pk_add_f32 v[10:11], v[20:21], 1.0 op_sel_hi:[1,0]
	;;#ASMSTART
	v_pk_mul_f32 v[20:21], v[14:15], v[10:11]
	;;#ASMEND
	s_waitcnt vmcnt(0)
	v_cvt_f32_u32_sdwa v11, v2 dst_sel:DWORD dst_unused:UNUSED_PAD src0_sel:WORD_1
	v_cvt_f32_u32_sdwa v10, v2 dst_sel:DWORD dst_unused:UNUSED_PAD src0_sel:WORD_0
	v_pk_add_f32 v[8:9], v[12:13], 1.0 op_sel_hi:[1,0]
	;;#ASMSTART
	v_pk_mul_f32 v[22:23], v[16:17], v[8:9]
	;;#ASMEND
	v_pk_add_f32 v[8:9], v[28:29], 1.0 op_sel_hi:[1,0]
	v_cvt_f32_u32_sdwa v13, v3 dst_sel:DWORD dst_unused:UNUSED_PAD src0_sel:WORD_1
	v_cvt_f32_u32_sdwa v12, v3 dst_sel:DWORD dst_unused:UNUSED_PAD src0_sel:WORD_0
	;;#ASMSTART
	v_pk_mul_f32 v[26:27], v[26:27], v[8:9]
	;;#ASMEND
	v_cvt_f32_u32_sdwa v9, v4 dst_sel:DWORD dst_unused:UNUSED_PAD src0_sel:WORD_1
	v_cvt_f32_u32_sdwa v8, v4 dst_sel:DWORD dst_unused:UNUSED_PAD src0_sel:WORD_0
	v_pk_add_f32 v[2:3], v[10:11], 1.0 op_sel_hi:[1,0]
	v_cvt_f32_u32_sdwa v11, v5 dst_sel:DWORD dst_unused:UNUSED_PAD src0_sel:WORD_1
	v_cvt_f32_u32_sdwa v10, v5 dst_sel:DWORD dst_unused:UNUSED_PAD src0_sel:WORD_0
	;;#ASMSTART
	v_pk_mul_f32 v[24:25], v[24:25], v[2:3]
	;;#ASMEND
	v_pk_add_f32 v[2:3], v[12:13], 1.0 op_sel_hi:[1,0]
	;;#ASMSTART
	v_pk_mul_f32 v[30:31], v[30:31], v[2:3]
	;;#ASMEND
	v_pk_add_f32 v[2:3], v[8:9], 1.0 op_sel_hi:[1,0]
	;;#ASMSTART
	v_pk_mul_f32 v[32:33], v[32:33], v[2:3]
	;;#ASMEND
	v_pk_add_f32 v[2:3], v[10:11], 1.0 op_sel_hi:[1,0]
	;;#ASMSTART
	v_pk_mul_f32 v[28:29], v[6:7], v[2:3]
	;;#ASMEND
.LBB756_9:
	s_or_b64 exec, exec, s[20:21]
	s_load_dwordx2 s[26:27], s[4:5], 0x7c
	s_mov_b64 s[20:21], -1
	s_and_b64 vcc, exec, s[10:11]
	s_cbranch_vccnz .LBB756_13
; %bb.10:
	s_andn2_b64 vcc, exec, s[20:21]
	s_cbranch_vccz .LBB756_16
.LBB756_11:
	s_cmp_lt_i32 s16, 1
	s_cbranch_scc0 .LBB756_19
.LBB756_12:
	s_endpgm
.LBB756_13:
	s_and_saveexec_b64 s[10:11], s[2:3]
	s_cbranch_execz .LBB756_15
; %bb.14:
	s_waitcnt lgkmcnt(0)
	s_mul_hi_i32 s21, s27, s6
	s_mul_i32 s20, s27, s6
	s_lshl_b64 s[20:21], s[20:21], 1
	s_add_u32 s20, s14, s20
	s_addc_u32 s7, s15, s21
	s_and_b32 s21, s7, 0xffff
	s_mov_b32 s7, 0x7060302
	s_mov_b32 s23, 0x20000
	s_waitcnt vmcnt(0)
	v_perm_b32 v5, v27, v26, s7
	v_perm_b32 v4, v23, v22, s7
	;; [unrolled: 1-line block ×4, first 2 shown]
	v_lshlrev_b32_e32 v6, 5, v0
	buffer_store_dwordx4 v[2:5], v6, s[20:23], 0 offen
	;;#ASMSTART
	s_nop 0
	;;#ASMEND
	s_nop 0
	v_perm_b32 v5, v29, v28, s7
	v_perm_b32 v4, v33, v32, s7
	;; [unrolled: 1-line block ×4, first 2 shown]
	buffer_store_dwordx4 v[2:5], v6, s[20:23], 16 offen
	;;#ASMSTART
	s_nop 0
	;;#ASMEND
.LBB756_15:
	s_or_b64 exec, exec, s[10:11]
	s_cbranch_execnz .LBB756_11
.LBB756_16:
	s_and_saveexec_b64 s[10:11], s[2:3]
	s_cbranch_execz .LBB756_18
; %bb.17:
	s_load_dwordx2 s[2:3], s[4:5], 0x10
	s_waitcnt lgkmcnt(0)
	s_mul_hi_i32 s21, s26, s6
	s_mul_i32 s20, s26, s6
	s_lshl_b64 s[20:21], s[20:21], 1
	s_mov_b32 s23, 0x20000
	s_add_u32 s20, s2, s20
	s_addc_u32 s2, s3, s21
	s_and_b32 s21, s2, 0xffff
	s_mov_b32 s2, 0x7060302
	s_waitcnt vmcnt(0)
	v_perm_b32 v5, v27, v26, s2
	v_perm_b32 v4, v23, v22, s2
	;; [unrolled: 1-line block ×4, first 2 shown]
	v_lshlrev_b32_e32 v6, 5, v0
	buffer_store_dwordx4 v[2:5], v6, s[20:23], 0 offen
	;;#ASMSTART
	s_nop 0
	;;#ASMEND
	s_nop 0
	v_perm_b32 v5, v29, v28, s2
	v_perm_b32 v4, v33, v32, s2
	;; [unrolled: 1-line block ×4, first 2 shown]
	buffer_store_dwordx4 v[2:5], v6, s[20:23], 16 offen
	;;#ASMSTART
	s_nop 0
	;;#ASMEND
.LBB756_18:
	s_or_b64 exec, exec, s[10:11]
	s_cmp_lt_i32 s16, 1
	s_cbranch_scc1 .LBB756_12
.LBB756_19:
	s_load_dword s2, s[4:5], 0x94
	s_waitcnt lgkmcnt(0)
	s_cmp_lg_u32 s2, 1
	s_cbranch_scc1 .LBB756_12
; %bb.20:
	s_lshl_b32 s2, s16, 1
	s_add_i32 s2, s2, 2
	v_cmp_gt_u32_e32 vcc, s16, v1
	s_and_b32 s10, s2, -4
	v_mov_b32_e32 v18, 0
	v_lshlrev_b32_e32 v1, 5, v0
	v_mov_b32_e32 v14, 0
	v_mov_b32_e32 v15, 0
	;; [unrolled: 1-line block ×8, first 2 shown]
	s_waitcnt vmcnt(1)
	v_mov_b32_e32 v6, 0
	v_mov_b32_e32 v7, 0
	v_mov_b32_e32 v8, 0
	v_mov_b32_e32 v9, 0
	s_waitcnt vmcnt(0)
	v_mov_b32_e32 v2, 0
	v_mov_b32_e32 v3, 0
	;; [unrolled: 1-line block ×4, first 2 shown]
	s_barrier
	s_and_saveexec_b64 s[2:3], vcc
	s_cbranch_execz .LBB756_22
; %bb.21:
	s_mul_hi_i32 s5, s18, s6
	s_mul_i32 s4, s18, s6
	s_and_b32 s9, s9, 0xffff
	s_lshl_b64 s[4:5], s[4:5], 1
	s_add_u32 s20, s24, s4
	s_mov_b32 s11, 0x20000
	s_addc_u32 s4, s25, s5
	s_and_b32 s21, s4, 0xffff
	s_mov_b32 s22, s10
	s_mov_b32 s23, s11
	buffer_load_dwordx4 v[14:17], v1, s[20:23], 0 offen
	buffer_load_dwordx4 v[10:13], v1, s[20:23], 16 offen
	;; [unrolled: 1-line block ×4, first 2 shown]
.LBB756_22:
	s_or_b64 exec, exec, s[2:3]
	v_mov_b32_e32 v19, 0
	v_mov_b32_e32 v32, 0
	;; [unrolled: 1-line block ×15, first 2 shown]
	s_and_saveexec_b64 s[2:3], vcc
	s_cbranch_execz .LBB756_24
; %bb.23:
	s_waitcnt vmcnt(3)
	v_cvt_f32_u32_sdwa v18, v14 dst_sel:DWORD dst_unused:UNUSED_PAD src0_sel:WORD_0
	v_cvt_f32_u32_sdwa v19, v14 dst_sel:DWORD dst_unused:UNUSED_PAD src0_sel:WORD_1
	v_cvt_f32_u32_sdwa v32, v15 dst_sel:DWORD dst_unused:UNUSED_PAD src0_sel:WORD_0
	v_cvt_f32_u32_sdwa v33, v15 dst_sel:DWORD dst_unused:UNUSED_PAD src0_sel:WORD_1
	;; [unrolled: 2-line block ×4, first 2 shown]
	s_waitcnt vmcnt(2)
	v_cvt_f32_u32_sdwa v26, v10 dst_sel:DWORD dst_unused:UNUSED_PAD src0_sel:WORD_0
	v_cvt_f32_u32_sdwa v27, v10 dst_sel:DWORD dst_unused:UNUSED_PAD src0_sel:WORD_1
	v_cvt_f32_u32_sdwa v24, v11 dst_sel:DWORD dst_unused:UNUSED_PAD src0_sel:WORD_0
	v_cvt_f32_u32_sdwa v25, v11 dst_sel:DWORD dst_unused:UNUSED_PAD src0_sel:WORD_1
	;; [unrolled: 2-line block ×4, first 2 shown]
.LBB756_24:
	s_or_b64 exec, exec, s[2:3]
	s_waitcnt vmcnt(2)
	v_mul_f32_e32 v10, v19, v19
	v_fmac_f32_e32 v10, v18, v18
	v_fmac_f32_e32 v10, v32, v32
	;; [unrolled: 1-line block ×15, first 2 shown]
	s_nop 1
	v_mov_b32_dpp v11, v10 quad_perm:[1,0,3,2] row_mask:0xf bank_mask:0xf
	v_add_f32_e32 v10, v10, v11
	s_nop 1
	v_mov_b32_dpp v11, v10 quad_perm:[2,3,0,1] row_mask:0xf bank_mask:0xf
	v_add_f32_e32 v10, v10, v11
	s_nop 1
	v_mov_b32_dpp v11, v10 row_half_mirror row_mask:0xf bank_mask:0xf
	v_add_f32_e32 v10, v10, v11
	s_nop 1
	v_mov_b32_dpp v11, v10 row_mirror row_mask:0xf bank_mask:0xf
	v_add_f32_e32 v10, v10, v11
	s_nop 1
	v_mov_b32_dpp v11, v10 row_bcast:15 row_mask:0xf bank_mask:0xf
	v_add_f32_e32 v10, v10, v11
	s_nop 1
	v_mov_b32_dpp v11, v10 row_bcast:31 row_mask:0xf bank_mask:0xf
	s_and_saveexec_b64 s[2:3], s[0:1]
	s_cbranch_execz .LBB756_26
; %bb.25:
	v_lshrrev_b32_e32 v0, 4, v0
	v_add_f32_e32 v10, v10, v11
	v_and_b32_e32 v0, 60, v0
	ds_write_b32 v0, v10
.LBB756_26:
	s_or_b64 exec, exec, s[2:3]
	s_waitcnt lgkmcnt(0)
	s_barrier
	ds_read_b32 v0, v34
	s_waitcnt lgkmcnt(0)
	s_nop 0
	v_mov_b32_dpp v10, v0 quad_perm:[1,0,3,2] row_mask:0xf bank_mask:0xf
	v_add_f32_e32 v0, v0, v10
	s_nop 1
	v_mov_b32_dpp v10, v0 quad_perm:[2,3,0,1] row_mask:0xf bank_mask:0xf
	s_and_saveexec_b64 s[0:1], vcc
	s_cbranch_execz .LBB756_12
; %bb.27:
	v_cvt_f32_u32_e32 v11, s16
	v_add_f32_e32 v0, v0, v10
	s_mov_b32 s11, 0x20000
	v_div_scale_f32 v10, s[0:1], v11, v11, v0
	v_rcp_f32_e32 v12, v10
	v_div_scale_f32 v13, vcc, v0, v11, v0
	s_mov_b32 s0, 0x800000
	v_fma_f32 v14, -v10, v12, 1.0
	v_fmac_f32_e32 v12, v14, v12
	v_mul_f32_e32 v14, v13, v12
	v_fma_f32 v15, -v10, v14, v13
	v_fmac_f32_e32 v14, v15, v12
	v_fma_f32 v10, -v10, v14, v13
	v_div_fmas_f32 v10, v10, v12, v14
	v_div_fixup_f32 v0, v10, v11, v0
	v_add_f32_e32 v0, s13, v0
	v_mul_f32_e32 v10, 0x4b800000, v0
	v_cmp_gt_f32_e32 vcc, s0, v0
	v_cndmask_b32_e32 v0, v0, v10, vcc
	v_rsq_f32_e32 v0, v0
	s_mul_hi_i32 s1, s27, s6
	s_mul_i32 s0, s27, s6
	s_lshl_b64 s[0:1], s[0:1], 1
	v_mul_f32_e32 v10, 0x45800000, v0
	v_cndmask_b32_e32 v10, v0, v10, vcc
	v_mov_b32_e32 v11, v10
	;;#ASMSTART
	v_pk_mul_f32 v[12:13], v[18:19], v[10:11]
	;;#ASMEND
	;;#ASMSTART
	v_pk_mul_f32 v[14:15], v[32:33], v[10:11]
	;;#ASMEND
	;; [unrolled: 3-line block ×4, first 2 shown]
	s_waitcnt vmcnt(1)
	v_cvt_f32_u32_sdwa v29, v6 dst_sel:DWORD dst_unused:UNUSED_PAD src0_sel:WORD_1
	v_cvt_f32_u32_sdwa v28, v6 dst_sel:DWORD dst_unused:UNUSED_PAD src0_sel:WORD_0
	v_cvt_f32_u32_sdwa v31, v7 dst_sel:DWORD dst_unused:UNUSED_PAD src0_sel:WORD_1
	v_cvt_f32_u32_sdwa v30, v7 dst_sel:DWORD dst_unused:UNUSED_PAD src0_sel:WORD_0
	;;#ASMSTART
	v_pk_mul_f32 v[26:27], v[26:27], v[10:11]
	;;#ASMEND
	;;#ASMSTART
	v_pk_mul_f32 v[24:25], v[24:25], v[10:11]
	;;#ASMEND
	;; [unrolled: 3-line block ×4, first 2 shown]
	v_cvt_f32_u32_sdwa v21, v8 dst_sel:DWORD dst_unused:UNUSED_PAD src0_sel:WORD_1
	v_cvt_f32_u32_sdwa v20, v8 dst_sel:DWORD dst_unused:UNUSED_PAD src0_sel:WORD_0
	v_pk_add_f32 v[10:11], v[28:29], 1.0 op_sel_hi:[1,0]
	;;#ASMSTART
	v_pk_mul_f32 v[10:11], v[12:13], v[10:11]
	;;#ASMEND
	v_pk_add_f32 v[12:13], v[30:31], 1.0 op_sel_hi:[1,0]
	v_cvt_f32_u32_sdwa v29, v9 dst_sel:DWORD dst_unused:UNUSED_PAD src0_sel:WORD_1
	v_cvt_f32_u32_sdwa v28, v9 dst_sel:DWORD dst_unused:UNUSED_PAD src0_sel:WORD_0
	;;#ASMSTART
	v_pk_mul_f32 v[8:9], v[14:15], v[12:13]
	;;#ASMEND
	v_pk_add_f32 v[12:13], v[20:21], 1.0 op_sel_hi:[1,0]
	;;#ASMSTART
	v_pk_mul_f32 v[12:13], v[16:17], v[12:13]
	;;#ASMEND
	s_waitcnt vmcnt(0)
	v_cvt_f32_u32_sdwa v17, v2 dst_sel:DWORD dst_unused:UNUSED_PAD src0_sel:WORD_1
	v_cvt_f32_u32_sdwa v16, v2 dst_sel:DWORD dst_unused:UNUSED_PAD src0_sel:WORD_0
	v_cvt_f32_u32_sdwa v21, v3 dst_sel:DWORD dst_unused:UNUSED_PAD src0_sel:WORD_1
	v_cvt_f32_u32_sdwa v20, v3 dst_sel:DWORD dst_unused:UNUSED_PAD src0_sel:WORD_0
	v_pk_add_f32 v[14:15], v[28:29], 1.0 op_sel_hi:[1,0]
	;;#ASMSTART
	v_pk_mul_f32 v[14:15], v[18:19], v[14:15]
	;;#ASMEND
	v_pk_add_f32 v[2:3], v[16:17], 1.0 op_sel_hi:[1,0]
	v_cvt_f32_u32_sdwa v19, v4 dst_sel:DWORD dst_unused:UNUSED_PAD src0_sel:WORD_1
	v_cvt_f32_u32_sdwa v18, v4 dst_sel:DWORD dst_unused:UNUSED_PAD src0_sel:WORD_0
	;;#ASMSTART
	v_pk_mul_f32 v[16:17], v[26:27], v[2:3]
	;;#ASMEND
	v_pk_add_f32 v[2:3], v[20:21], 1.0 op_sel_hi:[1,0]
	v_cvt_f32_u32_sdwa v21, v5 dst_sel:DWORD dst_unused:UNUSED_PAD src0_sel:WORD_1
	v_cvt_f32_u32_sdwa v20, v5 dst_sel:DWORD dst_unused:UNUSED_PAD src0_sel:WORD_0
	s_add_u32 s8, s14, s0
	;;#ASMSTART
	v_pk_mul_f32 v[24:25], v[24:25], v[2:3]
	;;#ASMEND
	v_pk_add_f32 v[2:3], v[18:19], 1.0 op_sel_hi:[1,0]
	s_addc_u32 s0, s15, s1
	;;#ASMSTART
	v_pk_mul_f32 v[18:19], v[22:23], v[2:3]
	;;#ASMEND
	v_pk_add_f32 v[2:3], v[20:21], 1.0 op_sel_hi:[1,0]
	s_and_b32 s9, s0, 0xffff
	s_mov_b32 s0, 0x7060302
	;;#ASMSTART
	v_pk_mul_f32 v[6:7], v[6:7], v[2:3]
	;;#ASMEND
	v_perm_b32 v2, v11, v10, s0
	v_perm_b32 v3, v9, v8, s0
	;; [unrolled: 1-line block ×4, first 2 shown]
	buffer_store_dwordx4 v[2:5], v1, s[8:11], 0 offen
	;;#ASMSTART
	s_nop 0
	;;#ASMEND
	s_nop 0
	v_perm_b32 v2, v17, v16, s0
	v_perm_b32 v3, v25, v24, s0
	;; [unrolled: 1-line block ×4, first 2 shown]
	buffer_store_dwordx4 v[2:5], v1, s[8:11], 16 offen
	;;#ASMSTART
	s_nop 0
	;;#ASMEND
	s_endpgm
	.section	.rodata,"a",@progbits
	.p2align	6, 0x0
	.amdhsa_kernel _ZN5aiter35fused_qk_rmsnorm_group_quant_kernelItN4opus5fp4_tELi256ELi16ELi8ELb0ELb1ELb1ELb1ELb0ELb0EEEvPT0_PvPT_S7_S7_PKS6_S9_S9_S9_S9_ffiiiiiiiiiiiii
		.amdhsa_group_segment_fixed_size 32
		.amdhsa_private_segment_fixed_size 0
		.amdhsa_kernarg_size 400
		.amdhsa_user_sgpr_count 6
		.amdhsa_user_sgpr_private_segment_buffer 1
		.amdhsa_user_sgpr_dispatch_ptr 0
		.amdhsa_user_sgpr_queue_ptr 0
		.amdhsa_user_sgpr_kernarg_segment_ptr 1
		.amdhsa_user_sgpr_dispatch_id 0
		.amdhsa_user_sgpr_flat_scratch_init 0
		.amdhsa_user_sgpr_kernarg_preload_length 0
		.amdhsa_user_sgpr_kernarg_preload_offset 0
		.amdhsa_user_sgpr_private_segment_size 0
		.amdhsa_uses_dynamic_stack 0
		.amdhsa_system_sgpr_private_segment_wavefront_offset 0
		.amdhsa_system_sgpr_workgroup_id_x 1
		.amdhsa_system_sgpr_workgroup_id_y 1
		.amdhsa_system_sgpr_workgroup_id_z 0
		.amdhsa_system_sgpr_workgroup_info 0
		.amdhsa_system_vgpr_workitem_id 0
		.amdhsa_next_free_vgpr 35
		.amdhsa_next_free_sgpr 32
		.amdhsa_accum_offset 36
		.amdhsa_reserve_vcc 1
		.amdhsa_reserve_flat_scratch 0
		.amdhsa_float_round_mode_32 0
		.amdhsa_float_round_mode_16_64 0
		.amdhsa_float_denorm_mode_32 3
		.amdhsa_float_denorm_mode_16_64 3
		.amdhsa_dx10_clamp 1
		.amdhsa_ieee_mode 1
		.amdhsa_fp16_overflow 0
		.amdhsa_tg_split 0
		.amdhsa_exception_fp_ieee_invalid_op 0
		.amdhsa_exception_fp_denorm_src 0
		.amdhsa_exception_fp_ieee_div_zero 0
		.amdhsa_exception_fp_ieee_overflow 0
		.amdhsa_exception_fp_ieee_underflow 0
		.amdhsa_exception_fp_ieee_inexact 0
		.amdhsa_exception_int_div_zero 0
	.end_amdhsa_kernel
	.section	.text._ZN5aiter35fused_qk_rmsnorm_group_quant_kernelItN4opus5fp4_tELi256ELi16ELi8ELb0ELb1ELb1ELb1ELb0ELb0EEEvPT0_PvPT_S7_S7_PKS6_S9_S9_S9_S9_ffiiiiiiiiiiiii,"axG",@progbits,_ZN5aiter35fused_qk_rmsnorm_group_quant_kernelItN4opus5fp4_tELi256ELi16ELi8ELb0ELb1ELb1ELb1ELb0ELb0EEEvPT0_PvPT_S7_S7_PKS6_S9_S9_S9_S9_ffiiiiiiiiiiiii,comdat
.Lfunc_end756:
	.size	_ZN5aiter35fused_qk_rmsnorm_group_quant_kernelItN4opus5fp4_tELi256ELi16ELi8ELb0ELb1ELb1ELb1ELb0ELb0EEEvPT0_PvPT_S7_S7_PKS6_S9_S9_S9_S9_ffiiiiiiiiiiiii, .Lfunc_end756-_ZN5aiter35fused_qk_rmsnorm_group_quant_kernelItN4opus5fp4_tELi256ELi16ELi8ELb0ELb1ELb1ELb1ELb0ELb0EEEvPT0_PvPT_S7_S7_PKS6_S9_S9_S9_S9_ffiiiiiiiiiiiii
                                        ; -- End function
	.section	.AMDGPU.csdata,"",@progbits
; Kernel info:
; codeLenInByte = 2940
; NumSgprs: 36
; NumVgprs: 35
; NumAgprs: 0
; TotalNumVgprs: 35
; ScratchSize: 0
; MemoryBound: 0
; FloatMode: 240
; IeeeMode: 1
; LDSByteSize: 32 bytes/workgroup (compile time only)
; SGPRBlocks: 4
; VGPRBlocks: 4
; NumSGPRsForWavesPerEU: 36
; NumVGPRsForWavesPerEU: 35
; AccumOffset: 36
; Occupancy: 8
; WaveLimiterHint : 0
; COMPUTE_PGM_RSRC2:SCRATCH_EN: 0
; COMPUTE_PGM_RSRC2:USER_SGPR: 6
; COMPUTE_PGM_RSRC2:TRAP_HANDLER: 0
; COMPUTE_PGM_RSRC2:TGID_X_EN: 1
; COMPUTE_PGM_RSRC2:TGID_Y_EN: 1
; COMPUTE_PGM_RSRC2:TGID_Z_EN: 0
; COMPUTE_PGM_RSRC2:TIDIG_COMP_CNT: 0
; COMPUTE_PGM_RSRC3_GFX90A:ACCUM_OFFSET: 8
; COMPUTE_PGM_RSRC3_GFX90A:TG_SPLIT: 0
	.section	.text._ZN5aiter35fused_qk_rmsnorm_group_quant_kernelIDF16_DB8_Li256ELi16ELi8ELb0ELb1ELb0ELb1ELb0ELb0EEEvPT0_PvPT_S6_S6_PKS5_S8_S8_S8_S8_ffiiiiiiiiiiiii,"axG",@progbits,_ZN5aiter35fused_qk_rmsnorm_group_quant_kernelIDF16_DB8_Li256ELi16ELi8ELb0ELb1ELb0ELb1ELb0ELb0EEEvPT0_PvPT_S6_S6_PKS5_S8_S8_S8_S8_ffiiiiiiiiiiiii,comdat
	.protected	_ZN5aiter35fused_qk_rmsnorm_group_quant_kernelIDF16_DB8_Li256ELi16ELi8ELb0ELb1ELb0ELb1ELb0ELb0EEEvPT0_PvPT_S6_S6_PKS5_S8_S8_S8_S8_ffiiiiiiiiiiiii ; -- Begin function _ZN5aiter35fused_qk_rmsnorm_group_quant_kernelIDF16_DB8_Li256ELi16ELi8ELb0ELb1ELb0ELb1ELb0ELb0EEEvPT0_PvPT_S6_S6_PKS5_S8_S8_S8_S8_ffiiiiiiiiiiiii
	.globl	_ZN5aiter35fused_qk_rmsnorm_group_quant_kernelIDF16_DB8_Li256ELi16ELi8ELb0ELb1ELb0ELb1ELb0ELb0EEEvPT0_PvPT_S6_S6_PKS5_S8_S8_S8_S8_ffiiiiiiiiiiiii
	.p2align	8
	.type	_ZN5aiter35fused_qk_rmsnorm_group_quant_kernelIDF16_DB8_Li256ELi16ELi8ELb0ELb1ELb0ELb1ELb0ELb0EEEvPT0_PvPT_S6_S6_PKS5_S8_S8_S8_S8_ffiiiiiiiiiiiii,@function
_ZN5aiter35fused_qk_rmsnorm_group_quant_kernelIDF16_DB8_Li256ELi16ELi8ELb0ELb1ELb0ELb1ELb0ELb0EEEvPT0_PvPT_S6_S6_PKS5_S8_S8_S8_S8_ffiiiiiiiiiiiii: ; @_ZN5aiter35fused_qk_rmsnorm_group_quant_kernelIDF16_DB8_Li256ELi16ELi8ELb0ELb1ELb0ELb1ELb0ELb0EEEvPT0_PvPT_S6_S6_PKS5_S8_S8_S8_S8_ffiiiiiiiiiiiii
; %bb.0:
	s_load_dwordx4 s[12:15], s[4:5], 0x50
	s_waitcnt lgkmcnt(0)
	s_cmp_ge_i32 s6, s14
	s_cbranch_scc1 .LBB757_12
; %bb.1:
	s_load_dwordx2 s[24:25], s[4:5], 0x30
	s_load_dwordx2 s[8:9], s[4:5], 0x48
	s_load_dwordx4 s[16:19], s[4:5], 0x60
	s_cmp_lg_u32 s7, 0
	s_cselect_b64 s[10:11], -1, 0
	s_cmp_eq_u32 s7, 0
	s_cselect_b64 vcc, -1, 0
	s_and_b64 s[0:1], vcc, exec
	s_waitcnt lgkmcnt(0)
	s_cselect_b32 s7, s15, s16
	s_add_i32 s0, s7, 1
	s_lshr_b32 s1, s0, 31
	s_add_i32 s0, s0, s1
	s_lshl_b32 s0, s0, 1
	v_lshlrev_b32_e32 v1, 4, v0
	s_and_b32 s22, s0, -4
	v_cmp_gt_i32_e64 s[2:3], s7, v1
	v_mov_b32_e32 v18, 0
	v_mov_b32_e32 v6, 0
	;; [unrolled: 1-line block ×17, first 2 shown]
	s_and_saveexec_b64 s[0:1], s[2:3]
	s_cbranch_execz .LBB757_3
; %bb.2:
	s_load_dwordx2 s[14:15], s[4:5], 0x28
	s_load_dwordx2 s[20:21], s[4:5], 0x40
	s_and_b64 s[26:27], vcc, exec
	s_cselect_b32 s17, s17, s18
	s_mov_b32 s30, s22
	s_waitcnt lgkmcnt(0)
	s_cselect_b32 s19, s15, s25
	s_cselect_b32 s23, s14, s24
	s_mul_hi_i32 s15, s17, s6
	s_mul_i32 s14, s17, s6
	s_lshl_b64 s[14:15], s[14:15], 1
	s_add_u32 s28, s23, s14
	s_addc_u32 s17, s19, s15
	s_and_b64 s[14:15], vcc, exec
	s_mov_b32 s23, 0x20000
	s_cselect_b32 s20, s20, s8
	s_cselect_b32 s14, s21, s9
	s_and_b32 s29, s17, 0xffff
	s_mov_b32 s31, s23
	v_lshlrev_b32_e32 v19, 5, v0
	s_and_b32 s21, s14, 0xffff
	buffer_load_dwordx4 v[14:17], v19, s[28:31], 0 offen
	buffer_load_dwordx4 v[10:13], v19, s[28:31], 16 offen
	;; [unrolled: 1-line block ×4, first 2 shown]
.LBB757_3:
	s_or_b64 exec, exec, s[0:1]
	v_mov_b32_e32 v19, 0
	v_mov_b32_e32 v20, 0
	;; [unrolled: 1-line block ×15, first 2 shown]
	s_and_saveexec_b64 s[0:1], s[2:3]
	s_cbranch_execz .LBB757_5
; %bb.4:
	s_waitcnt vmcnt(3)
	v_cvt_f32_f16_sdwa v19, v14 dst_sel:DWORD dst_unused:UNUSED_PAD src0_sel:WORD_1
	v_cvt_f32_f16_e32 v18, v14
	v_cvt_f32_f16_sdwa v21, v15 dst_sel:DWORD dst_unused:UNUSED_PAD src0_sel:WORD_1
	v_cvt_f32_f16_e32 v20, v15
	;; [unrolled: 2-line block ×4, first 2 shown]
	s_waitcnt vmcnt(2)
	v_cvt_f32_f16_sdwa v25, v10 dst_sel:DWORD dst_unused:UNUSED_PAD src0_sel:WORD_1
	v_cvt_f32_f16_e32 v24, v10
	v_cvt_f32_f16_sdwa v29, v11 dst_sel:DWORD dst_unused:UNUSED_PAD src0_sel:WORD_1
	v_cvt_f32_f16_e32 v28, v11
	;; [unrolled: 2-line block ×4, first 2 shown]
.LBB757_5:
	s_or_b64 exec, exec, s[0:1]
	s_waitcnt vmcnt(2)
	v_mul_f32_e32 v10, v19, v19
	v_fmac_f32_e32 v10, v18, v18
	v_fmac_f32_e32 v10, v20, v20
	;; [unrolled: 1-line block ×15, first 2 shown]
	v_and_b32_e32 v12, 63, v0
	v_cmp_eq_u32_e64 s[0:1], 63, v12
	v_mov_b32_dpp v11, v10 quad_perm:[1,0,3,2] row_mask:0xf bank_mask:0xf
	v_add_f32_e32 v10, v10, v11
	s_nop 1
	v_mov_b32_dpp v11, v10 quad_perm:[2,3,0,1] row_mask:0xf bank_mask:0xf
	v_add_f32_e32 v10, v10, v11
	s_nop 1
	v_mov_b32_dpp v11, v10 row_half_mirror row_mask:0xf bank_mask:0xf
	v_add_f32_e32 v10, v10, v11
	s_nop 1
	v_mov_b32_dpp v11, v10 row_mirror row_mask:0xf bank_mask:0xf
	v_add_f32_e32 v10, v10, v11
	s_nop 1
	v_mov_b32_dpp v11, v10 row_bcast:15 row_mask:0xf bank_mask:0xf
	v_add_f32_e32 v10, v10, v11
	s_nop 1
	v_mov_b32_dpp v11, v10 row_bcast:31 row_mask:0xf bank_mask:0xf
	s_and_saveexec_b64 s[14:15], s[0:1]
	s_cbranch_execz .LBB757_7
; %bb.6:
	v_add_f32_e32 v10, v10, v11
	v_lshrrev_b32_e32 v11, 4, v0
	v_and_b32_e32 v11, 60, v11
	ds_write_b32 v11, v10 offset:16
.LBB757_7:
	s_or_b64 exec, exec, s[14:15]
	v_and_b32_e32 v10, 3, v0
	v_lshlrev_b32_e32 v34, 2, v10
	s_waitcnt lgkmcnt(0)
	s_barrier
	ds_read_b32 v10, v34 offset:16
	s_load_dwordx2 s[14:15], s[4:5], 0x18
	s_waitcnt lgkmcnt(0)
	v_mov_b32_dpp v11, v10 quad_perm:[1,0,3,2] row_mask:0xf bank_mask:0xf
	v_add_f32_e32 v10, v10, v11
	s_nop 1
	v_mov_b32_dpp v11, v10 quad_perm:[2,3,0,1] row_mask:0xf bank_mask:0xf
	s_and_saveexec_b64 s[20:21], s[2:3]
	s_cbranch_execz .LBB757_9
; %bb.8:
	v_cvt_f32_u32_e32 v12, s7
	v_add_f32_e32 v10, v10, v11
	v_mov_b32_e32 v14, s13
	v_mov_b32_e32 v15, s12
	v_div_scale_f32 v11, s[26:27], v12, v12, v10
	v_rcp_f32_e32 v13, v11
	v_cndmask_b32_e32 v14, v14, v15, vcc
	s_mov_b32 s7, 0x800000
	v_fma_f32 v15, -v11, v13, 1.0
	v_fmac_f32_e32 v13, v15, v13
	v_div_scale_f32 v15, vcc, v10, v12, v10
	v_mul_f32_e32 v16, v15, v13
	v_fma_f32 v17, -v11, v16, v15
	v_fmac_f32_e32 v16, v17, v13
	v_fma_f32 v11, -v11, v16, v15
	v_div_fmas_f32 v11, v11, v13, v16
	v_div_fixup_f32 v10, v11, v12, v10
	v_add_f32_e32 v10, v14, v10
	v_mul_f32_e32 v11, 0x4b800000, v10
	v_cmp_gt_f32_e32 vcc, s7, v10
	v_cndmask_b32_e32 v10, v10, v11, vcc
	v_rsq_f32_e32 v10, v10
	v_mul_f32_e32 v11, 0x45800000, v10
	v_cndmask_b32_e32 v10, v10, v11, vcc
	v_mov_b32_e32 v11, v10
	;;#ASMSTART
	v_pk_mul_f32 v[12:13], v[18:19], v[10:11]
	;;#ASMEND
	;;#ASMSTART
	v_pk_mul_f32 v[14:15], v[20:21], v[10:11]
	;;#ASMEND
	;; [unrolled: 3-line block ×8, first 2 shown]
	s_waitcnt vmcnt(1)
	v_cvt_f32_f16_sdwa v19, v6 dst_sel:DWORD dst_unused:UNUSED_PAD src0_sel:WORD_1
	v_cvt_f32_f16_e32 v18, v6
	v_cvt_f32_f16_sdwa v21, v7 dst_sel:DWORD dst_unused:UNUSED_PAD src0_sel:WORD_1
	v_cvt_f32_f16_e32 v20, v7
	;; [unrolled: 2-line block ×4, first 2 shown]
	;;#ASMSTART
	v_pk_mul_f32 v[18:19], v[12:13], v[18:19]
	;;#ASMEND
	;;#ASMSTART
	v_pk_mul_f32 v[20:21], v[14:15], v[20:21]
	;;#ASMEND
	;; [unrolled: 3-line block ×4, first 2 shown]
	s_waitcnt vmcnt(0)
	v_cvt_f32_f16_sdwa v7, v2 dst_sel:DWORD dst_unused:UNUSED_PAD src0_sel:WORD_1
	v_cvt_f32_f16_e32 v6, v2
	v_cvt_f32_f16_sdwa v9, v3 dst_sel:DWORD dst_unused:UNUSED_PAD src0_sel:WORD_1
	v_cvt_f32_f16_e32 v8, v3
	;; [unrolled: 2-line block ×4, first 2 shown]
	;;#ASMSTART
	v_pk_mul_f32 v[24:25], v[24:25], v[6:7]
	;;#ASMEND
	;;#ASMSTART
	v_pk_mul_f32 v[28:29], v[28:29], v[8:9]
	;;#ASMEND
	;; [unrolled: 3-line block ×4, first 2 shown]
.LBB757_9:
	s_or_b64 exec, exec, s[20:21]
	s_load_dwordx2 s[26:27], s[4:5], 0x7c
	s_mov_b64 s[20:21], -1
	s_and_b64 vcc, exec, s[10:11]
	s_cbranch_vccnz .LBB757_13
; %bb.10:
	s_andn2_b64 vcc, exec, s[20:21]
	s_cbranch_vccz .LBB757_16
.LBB757_11:
	s_cmp_lt_i32 s16, 1
	s_cbranch_scc0 .LBB757_19
.LBB757_12:
	s_endpgm
.LBB757_13:
	s_and_saveexec_b64 s[10:11], s[2:3]
	s_cbranch_execz .LBB757_15
; %bb.14:
	s_waitcnt lgkmcnt(0)
	s_mul_hi_i32 s21, s27, s6
	s_mul_i32 s20, s27, s6
	s_waitcnt vmcnt(0)
	v_cvt_f16_f32_e32 v2, v18
	v_cvt_f16_f32_e32 v3, v20
	;; [unrolled: 1-line block ×8, first 2 shown]
	s_lshl_b64 s[20:21], s[20:21], 1
	s_add_u32 s20, s14, s20
	s_addc_u32 s7, s15, s21
	s_and_b32 s21, s7, 0xffff
	s_mov_b32 s23, 0x20000
	v_pack_b32_f16 v5, v5, v6
	v_pack_b32_f16 v4, v4, v7
	;; [unrolled: 1-line block ×4, first 2 shown]
	v_lshlrev_b32_e32 v6, 5, v0
	buffer_store_dwordx4 v[2:5], v6, s[20:23], 0 offen
	v_cvt_f16_f32_e32 v7, v33
	v_cvt_f16_f32_e32 v2, v24
	;; [unrolled: 1-line block ×8, first 2 shown]
	v_pack_b32_f16 v5, v5, v7
	v_pack_b32_f16 v4, v4, v8
	;; [unrolled: 1-line block ×4, first 2 shown]
	;;#ASMSTART
	s_nop 0
	;;#ASMEND
	buffer_store_dwordx4 v[2:5], v6, s[20:23], 16 offen
	;;#ASMSTART
	s_nop 0
	;;#ASMEND
.LBB757_15:
	s_or_b64 exec, exec, s[10:11]
	s_cbranch_execnz .LBB757_11
.LBB757_16:
	s_and_saveexec_b64 s[10:11], s[2:3]
	s_cbranch_execz .LBB757_18
; %bb.17:
	s_load_dwordx2 s[2:3], s[4:5], 0x10
	s_waitcnt lgkmcnt(0)
	s_mul_hi_i32 s21, s26, s6
	s_mul_i32 s20, s26, s6
	s_waitcnt vmcnt(0)
	v_cvt_f16_f32_e32 v2, v18
	v_cvt_f16_f32_e32 v3, v20
	;; [unrolled: 1-line block ×8, first 2 shown]
	s_lshl_b64 s[20:21], s[20:21], 1
	s_add_u32 s20, s2, s20
	s_addc_u32 s2, s3, s21
	s_mov_b32 s23, 0x20000
	s_and_b32 s21, s2, 0xffff
	v_pack_b32_f16 v5, v5, v6
	v_pack_b32_f16 v4, v4, v7
	v_pack_b32_f16 v3, v3, v8
	v_pack_b32_f16 v2, v2, v9
	v_lshlrev_b32_e32 v6, 5, v0
	buffer_store_dwordx4 v[2:5], v6, s[20:23], 0 offen
	v_cvt_f16_f32_e32 v7, v33
	v_cvt_f16_f32_e32 v2, v24
	v_cvt_f16_f32_e32 v3, v28
	v_cvt_f16_f32_e32 v4, v30
	v_cvt_f16_f32_e32 v5, v32
	v_cvt_f16_f32_e32 v8, v31
	v_cvt_f16_f32_e32 v9, v29
	v_cvt_f16_f32_e32 v10, v25
	v_pack_b32_f16 v5, v5, v7
	v_pack_b32_f16 v4, v4, v8
	;; [unrolled: 1-line block ×4, first 2 shown]
	;;#ASMSTART
	s_nop 0
	;;#ASMEND
	buffer_store_dwordx4 v[2:5], v6, s[20:23], 16 offen
	;;#ASMSTART
	s_nop 0
	;;#ASMEND
.LBB757_18:
	s_or_b64 exec, exec, s[10:11]
	s_cmp_lt_i32 s16, 1
	s_cbranch_scc1 .LBB757_12
.LBB757_19:
	s_load_dword s2, s[4:5], 0x94
	s_waitcnt lgkmcnt(0)
	s_cmp_lg_u32 s2, 1
	s_cbranch_scc1 .LBB757_12
; %bb.20:
	s_lshl_b32 s2, s16, 1
	s_add_i32 s2, s2, 2
	v_cmp_gt_u32_e32 vcc, s16, v1
	s_and_b32 s10, s2, -4
	v_mov_b32_e32 v18, 0
	v_lshlrev_b32_e32 v1, 5, v0
	v_mov_b32_e32 v14, 0
	v_mov_b32_e32 v15, 0
	;; [unrolled: 1-line block ×8, first 2 shown]
	s_waitcnt vmcnt(1)
	v_mov_b32_e32 v6, 0
	v_mov_b32_e32 v7, 0
	v_mov_b32_e32 v8, 0
	v_mov_b32_e32 v9, 0
	s_waitcnt vmcnt(0)
	v_mov_b32_e32 v2, 0
	v_mov_b32_e32 v3, 0
	;; [unrolled: 1-line block ×4, first 2 shown]
	s_barrier
	s_and_saveexec_b64 s[2:3], vcc
	s_cbranch_execz .LBB757_22
; %bb.21:
	s_mul_hi_i32 s5, s18, s6
	s_mul_i32 s4, s18, s6
	s_and_b32 s9, s9, 0xffff
	s_lshl_b64 s[4:5], s[4:5], 1
	s_add_u32 s20, s24, s4
	s_mov_b32 s11, 0x20000
	s_addc_u32 s4, s25, s5
	s_and_b32 s21, s4, 0xffff
	s_mov_b32 s22, s10
	s_mov_b32 s23, s11
	buffer_load_dwordx4 v[14:17], v1, s[20:23], 0 offen
	buffer_load_dwordx4 v[10:13], v1, s[20:23], 16 offen
	;; [unrolled: 1-line block ×4, first 2 shown]
.LBB757_22:
	s_or_b64 exec, exec, s[2:3]
	v_mov_b32_e32 v19, 0
	v_mov_b32_e32 v32, 0
	;; [unrolled: 1-line block ×15, first 2 shown]
	s_and_saveexec_b64 s[2:3], vcc
	s_cbranch_execz .LBB757_24
; %bb.23:
	s_waitcnt vmcnt(3)
	v_cvt_f32_f16_sdwa v19, v14 dst_sel:DWORD dst_unused:UNUSED_PAD src0_sel:WORD_1
	v_cvt_f32_f16_e32 v18, v14
	v_cvt_f32_f16_sdwa v33, v15 dst_sel:DWORD dst_unused:UNUSED_PAD src0_sel:WORD_1
	v_cvt_f32_f16_e32 v32, v15
	;; [unrolled: 2-line block ×4, first 2 shown]
	s_waitcnt vmcnt(2)
	v_cvt_f32_f16_sdwa v27, v10 dst_sel:DWORD dst_unused:UNUSED_PAD src0_sel:WORD_1
	v_cvt_f32_f16_e32 v26, v10
	v_cvt_f32_f16_sdwa v25, v11 dst_sel:DWORD dst_unused:UNUSED_PAD src0_sel:WORD_1
	v_cvt_f32_f16_e32 v24, v11
	;; [unrolled: 2-line block ×4, first 2 shown]
.LBB757_24:
	s_or_b64 exec, exec, s[2:3]
	s_waitcnt vmcnt(2)
	v_mul_f32_e32 v10, v19, v19
	v_fmac_f32_e32 v10, v18, v18
	v_fmac_f32_e32 v10, v32, v32
	;; [unrolled: 1-line block ×15, first 2 shown]
	s_nop 1
	v_mov_b32_dpp v11, v10 quad_perm:[1,0,3,2] row_mask:0xf bank_mask:0xf
	v_add_f32_e32 v10, v10, v11
	s_nop 1
	v_mov_b32_dpp v11, v10 quad_perm:[2,3,0,1] row_mask:0xf bank_mask:0xf
	v_add_f32_e32 v10, v10, v11
	s_nop 1
	v_mov_b32_dpp v11, v10 row_half_mirror row_mask:0xf bank_mask:0xf
	v_add_f32_e32 v10, v10, v11
	s_nop 1
	v_mov_b32_dpp v11, v10 row_mirror row_mask:0xf bank_mask:0xf
	v_add_f32_e32 v10, v10, v11
	s_nop 1
	v_mov_b32_dpp v11, v10 row_bcast:15 row_mask:0xf bank_mask:0xf
	v_add_f32_e32 v10, v10, v11
	s_nop 1
	v_mov_b32_dpp v11, v10 row_bcast:31 row_mask:0xf bank_mask:0xf
	s_and_saveexec_b64 s[2:3], s[0:1]
	s_cbranch_execz .LBB757_26
; %bb.25:
	v_lshrrev_b32_e32 v0, 4, v0
	v_add_f32_e32 v10, v10, v11
	v_and_b32_e32 v0, 60, v0
	ds_write_b32 v0, v10
.LBB757_26:
	s_or_b64 exec, exec, s[2:3]
	s_waitcnt lgkmcnt(0)
	s_barrier
	ds_read_b32 v0, v34
	s_waitcnt lgkmcnt(0)
	s_nop 0
	v_mov_b32_dpp v10, v0 quad_perm:[1,0,3,2] row_mask:0xf bank_mask:0xf
	v_add_f32_e32 v0, v0, v10
	s_nop 1
	v_mov_b32_dpp v10, v0 quad_perm:[2,3,0,1] row_mask:0xf bank_mask:0xf
	s_and_saveexec_b64 s[0:1], vcc
	s_cbranch_execz .LBB757_12
; %bb.27:
	v_cvt_f32_u32_e32 v11, s16
	v_add_f32_e32 v0, v0, v10
	s_mov_b32 s11, 0x20000
	v_div_scale_f32 v10, s[0:1], v11, v11, v0
	v_rcp_f32_e32 v12, v10
	v_div_scale_f32 v13, vcc, v0, v11, v0
	s_mov_b32 s0, 0x800000
	v_fma_f32 v14, -v10, v12, 1.0
	v_fmac_f32_e32 v12, v14, v12
	v_mul_f32_e32 v14, v13, v12
	v_fma_f32 v15, -v10, v14, v13
	v_fmac_f32_e32 v14, v15, v12
	v_fma_f32 v10, -v10, v14, v13
	v_div_fmas_f32 v10, v10, v12, v14
	v_div_fixup_f32 v0, v10, v11, v0
	v_add_f32_e32 v0, s13, v0
	v_mul_f32_e32 v10, 0x4b800000, v0
	v_cmp_gt_f32_e32 vcc, s0, v0
	v_cndmask_b32_e32 v0, v0, v10, vcc
	v_rsq_f32_e32 v0, v0
	s_mul_hi_i32 s1, s27, s6
	s_mul_i32 s0, s27, s6
	s_lshl_b64 s[0:1], s[0:1], 1
	v_mul_f32_e32 v10, 0x45800000, v0
	v_cndmask_b32_e32 v10, v0, v10, vcc
	v_mov_b32_e32 v11, v10
	;;#ASMSTART
	v_pk_mul_f32 v[12:13], v[18:19], v[10:11]
	;;#ASMEND
	;;#ASMSTART
	v_pk_mul_f32 v[14:15], v[32:33], v[10:11]
	;;#ASMEND
	;; [unrolled: 3-line block ×8, first 2 shown]
	s_waitcnt vmcnt(1)
	v_cvt_f32_f16_sdwa v21, v6 dst_sel:DWORD dst_unused:UNUSED_PAD src0_sel:WORD_1
	v_cvt_f32_f16_e32 v20, v6
	v_cvt_f32_f16_sdwa v29, v7 dst_sel:DWORD dst_unused:UNUSED_PAD src0_sel:WORD_1
	v_cvt_f32_f16_e32 v28, v7
	;; [unrolled: 2-line block ×4, first 2 shown]
	;;#ASMSTART
	v_pk_mul_f32 v[8:9], v[12:13], v[20:21]
	;;#ASMEND
	;;#ASMSTART
	v_pk_mul_f32 v[12:13], v[14:15], v[28:29]
	;;#ASMEND
	;; [unrolled: 3-line block ×4, first 2 shown]
	s_waitcnt vmcnt(0)
	v_cvt_f32_f16_sdwa v17, v2 dst_sel:DWORD dst_unused:UNUSED_PAD src0_sel:WORD_1
	v_cvt_f32_f16_e32 v16, v2
	v_cvt_f32_f16_sdwa v19, v3 dst_sel:DWORD dst_unused:UNUSED_PAD src0_sel:WORD_1
	v_cvt_f32_f16_e32 v18, v3
	;; [unrolled: 2-line block ×4, first 2 shown]
	;;#ASMSTART
	v_pk_mul_f32 v[16:17], v[26:27], v[16:17]
	;;#ASMEND
	;;#ASMSTART
	v_pk_mul_f32 v[18:19], v[24:25], v[18:19]
	;;#ASMEND
	;; [unrolled: 3-line block ×3, first 2 shown]
	v_cvt_f16_f32_e32 v0, v8
	v_cvt_f16_f32_e32 v2, v9
	;; [unrolled: 1-line block ×8, first 2 shown]
	s_add_u32 s8, s14, s0
	s_addc_u32 s0, s15, s1
	s_and_b32 s9, s0, 0xffff
	v_pack_b32_f16 v2, v0, v2
	v_pack_b32_f16 v3, v3, v4
	;; [unrolled: 1-line block ×4, first 2 shown]
	;;#ASMSTART
	v_pk_mul_f32 v[10:11], v[10:11], v[20:21]
	;;#ASMEND
	buffer_store_dwordx4 v[2:5], v1, s[8:11], 0 offen
	v_cvt_f16_f32_e32 v0, v16
	v_cvt_f16_f32_e32 v2, v17
	;; [unrolled: 1-line block ×8, first 2 shown]
	v_pack_b32_f16 v2, v0, v2
	v_pack_b32_f16 v3, v3, v4
	;; [unrolled: 1-line block ×4, first 2 shown]
	;;#ASMSTART
	s_nop 0
	;;#ASMEND
	buffer_store_dwordx4 v[2:5], v1, s[8:11], 16 offen
	;;#ASMSTART
	s_nop 0
	;;#ASMEND
	s_endpgm
	.section	.rodata,"a",@progbits
	.p2align	6, 0x0
	.amdhsa_kernel _ZN5aiter35fused_qk_rmsnorm_group_quant_kernelIDF16_DB8_Li256ELi16ELi8ELb0ELb1ELb0ELb1ELb0ELb0EEEvPT0_PvPT_S6_S6_PKS5_S8_S8_S8_S8_ffiiiiiiiiiiiii
		.amdhsa_group_segment_fixed_size 32
		.amdhsa_private_segment_fixed_size 0
		.amdhsa_kernarg_size 400
		.amdhsa_user_sgpr_count 6
		.amdhsa_user_sgpr_private_segment_buffer 1
		.amdhsa_user_sgpr_dispatch_ptr 0
		.amdhsa_user_sgpr_queue_ptr 0
		.amdhsa_user_sgpr_kernarg_segment_ptr 1
		.amdhsa_user_sgpr_dispatch_id 0
		.amdhsa_user_sgpr_flat_scratch_init 0
		.amdhsa_user_sgpr_kernarg_preload_length 0
		.amdhsa_user_sgpr_kernarg_preload_offset 0
		.amdhsa_user_sgpr_private_segment_size 0
		.amdhsa_uses_dynamic_stack 0
		.amdhsa_system_sgpr_private_segment_wavefront_offset 0
		.amdhsa_system_sgpr_workgroup_id_x 1
		.amdhsa_system_sgpr_workgroup_id_y 1
		.amdhsa_system_sgpr_workgroup_id_z 0
		.amdhsa_system_sgpr_workgroup_info 0
		.amdhsa_system_vgpr_workitem_id 0
		.amdhsa_next_free_vgpr 35
		.amdhsa_next_free_sgpr 32
		.amdhsa_accum_offset 36
		.amdhsa_reserve_vcc 1
		.amdhsa_reserve_flat_scratch 0
		.amdhsa_float_round_mode_32 0
		.amdhsa_float_round_mode_16_64 0
		.amdhsa_float_denorm_mode_32 3
		.amdhsa_float_denorm_mode_16_64 3
		.amdhsa_dx10_clamp 1
		.amdhsa_ieee_mode 1
		.amdhsa_fp16_overflow 0
		.amdhsa_tg_split 0
		.amdhsa_exception_fp_ieee_invalid_op 0
		.amdhsa_exception_fp_denorm_src 0
		.amdhsa_exception_fp_ieee_div_zero 0
		.amdhsa_exception_fp_ieee_overflow 0
		.amdhsa_exception_fp_ieee_underflow 0
		.amdhsa_exception_fp_ieee_inexact 0
		.amdhsa_exception_int_div_zero 0
	.end_amdhsa_kernel
	.section	.text._ZN5aiter35fused_qk_rmsnorm_group_quant_kernelIDF16_DB8_Li256ELi16ELi8ELb0ELb1ELb0ELb1ELb0ELb0EEEvPT0_PvPT_S6_S6_PKS5_S8_S8_S8_S8_ffiiiiiiiiiiiii,"axG",@progbits,_ZN5aiter35fused_qk_rmsnorm_group_quant_kernelIDF16_DB8_Li256ELi16ELi8ELb0ELb1ELb0ELb1ELb0ELb0EEEvPT0_PvPT_S6_S6_PKS5_S8_S8_S8_S8_ffiiiiiiiiiiiii,comdat
.Lfunc_end757:
	.size	_ZN5aiter35fused_qk_rmsnorm_group_quant_kernelIDF16_DB8_Li256ELi16ELi8ELb0ELb1ELb0ELb1ELb0ELb0EEEvPT0_PvPT_S6_S6_PKS5_S8_S8_S8_S8_ffiiiiiiiiiiiii, .Lfunc_end757-_ZN5aiter35fused_qk_rmsnorm_group_quant_kernelIDF16_DB8_Li256ELi16ELi8ELb0ELb1ELb0ELb1ELb0ELb0EEEvPT0_PvPT_S6_S6_PKS5_S8_S8_S8_S8_ffiiiiiiiiiiiii
                                        ; -- End function
	.section	.AMDGPU.csdata,"",@progbits
; Kernel info:
; codeLenInByte = 2840
; NumSgprs: 36
; NumVgprs: 35
; NumAgprs: 0
; TotalNumVgprs: 35
; ScratchSize: 0
; MemoryBound: 0
; FloatMode: 240
; IeeeMode: 1
; LDSByteSize: 32 bytes/workgroup (compile time only)
; SGPRBlocks: 4
; VGPRBlocks: 4
; NumSGPRsForWavesPerEU: 36
; NumVGPRsForWavesPerEU: 35
; AccumOffset: 36
; Occupancy: 8
; WaveLimiterHint : 0
; COMPUTE_PGM_RSRC2:SCRATCH_EN: 0
; COMPUTE_PGM_RSRC2:USER_SGPR: 6
; COMPUTE_PGM_RSRC2:TRAP_HANDLER: 0
; COMPUTE_PGM_RSRC2:TGID_X_EN: 1
; COMPUTE_PGM_RSRC2:TGID_Y_EN: 1
; COMPUTE_PGM_RSRC2:TGID_Z_EN: 0
; COMPUTE_PGM_RSRC2:TIDIG_COMP_CNT: 0
; COMPUTE_PGM_RSRC3_GFX90A:ACCUM_OFFSET: 8
; COMPUTE_PGM_RSRC3_GFX90A:TG_SPLIT: 0
	.section	.text._ZN5aiter35fused_qk_rmsnorm_group_quant_kernelItDB8_Li256ELi16ELi8ELb0ELb1ELb0ELb1ELb0ELb0EEEvPT0_PvPT_S6_S6_PKS5_S8_S8_S8_S8_ffiiiiiiiiiiiii,"axG",@progbits,_ZN5aiter35fused_qk_rmsnorm_group_quant_kernelItDB8_Li256ELi16ELi8ELb0ELb1ELb0ELb1ELb0ELb0EEEvPT0_PvPT_S6_S6_PKS5_S8_S8_S8_S8_ffiiiiiiiiiiiii,comdat
	.protected	_ZN5aiter35fused_qk_rmsnorm_group_quant_kernelItDB8_Li256ELi16ELi8ELb0ELb1ELb0ELb1ELb0ELb0EEEvPT0_PvPT_S6_S6_PKS5_S8_S8_S8_S8_ffiiiiiiiiiiiii ; -- Begin function _ZN5aiter35fused_qk_rmsnorm_group_quant_kernelItDB8_Li256ELi16ELi8ELb0ELb1ELb0ELb1ELb0ELb0EEEvPT0_PvPT_S6_S6_PKS5_S8_S8_S8_S8_ffiiiiiiiiiiiii
	.globl	_ZN5aiter35fused_qk_rmsnorm_group_quant_kernelItDB8_Li256ELi16ELi8ELb0ELb1ELb0ELb1ELb0ELb0EEEvPT0_PvPT_S6_S6_PKS5_S8_S8_S8_S8_ffiiiiiiiiiiiii
	.p2align	8
	.type	_ZN5aiter35fused_qk_rmsnorm_group_quant_kernelItDB8_Li256ELi16ELi8ELb0ELb1ELb0ELb1ELb0ELb0EEEvPT0_PvPT_S6_S6_PKS5_S8_S8_S8_S8_ffiiiiiiiiiiiii,@function
_ZN5aiter35fused_qk_rmsnorm_group_quant_kernelItDB8_Li256ELi16ELi8ELb0ELb1ELb0ELb1ELb0ELb0EEEvPT0_PvPT_S6_S6_PKS5_S8_S8_S8_S8_ffiiiiiiiiiiiii: ; @_ZN5aiter35fused_qk_rmsnorm_group_quant_kernelItDB8_Li256ELi16ELi8ELb0ELb1ELb0ELb1ELb0ELb0EEEvPT0_PvPT_S6_S6_PKS5_S8_S8_S8_S8_ffiiiiiiiiiiiii
; %bb.0:
	s_load_dwordx4 s[12:15], s[4:5], 0x50
	s_waitcnt lgkmcnt(0)
	s_cmp_ge_i32 s6, s14
	s_cbranch_scc1 .LBB758_12
; %bb.1:
	s_load_dwordx2 s[24:25], s[4:5], 0x30
	s_load_dwordx2 s[8:9], s[4:5], 0x48
	s_load_dwordx4 s[16:19], s[4:5], 0x60
	s_cmp_lg_u32 s7, 0
	s_cselect_b64 s[10:11], -1, 0
	s_cmp_eq_u32 s7, 0
	s_cselect_b64 vcc, -1, 0
	s_and_b64 s[0:1], vcc, exec
	s_waitcnt lgkmcnt(0)
	s_cselect_b32 s7, s15, s16
	s_add_i32 s0, s7, 1
	s_lshr_b32 s1, s0, 31
	s_add_i32 s0, s0, s1
	s_lshl_b32 s0, s0, 1
	v_lshlrev_b32_e32 v1, 4, v0
	s_and_b32 s22, s0, -4
	v_cmp_gt_i32_e64 s[2:3], s7, v1
	v_mov_b32_e32 v18, 0
	v_mov_b32_e32 v6, 0
	;; [unrolled: 1-line block ×17, first 2 shown]
	s_and_saveexec_b64 s[0:1], s[2:3]
	s_cbranch_execz .LBB758_3
; %bb.2:
	s_load_dwordx2 s[14:15], s[4:5], 0x28
	s_load_dwordx2 s[20:21], s[4:5], 0x40
	s_and_b64 s[26:27], vcc, exec
	s_cselect_b32 s17, s17, s18
	s_mov_b32 s30, s22
	s_waitcnt lgkmcnt(0)
	s_cselect_b32 s19, s15, s25
	s_cselect_b32 s23, s14, s24
	s_mul_hi_i32 s15, s17, s6
	s_mul_i32 s14, s17, s6
	s_lshl_b64 s[14:15], s[14:15], 1
	s_add_u32 s28, s23, s14
	s_addc_u32 s17, s19, s15
	s_and_b64 s[14:15], vcc, exec
	s_mov_b32 s23, 0x20000
	s_cselect_b32 s20, s20, s8
	s_cselect_b32 s14, s21, s9
	s_and_b32 s29, s17, 0xffff
	s_mov_b32 s31, s23
	v_lshlrev_b32_e32 v19, 5, v0
	s_and_b32 s21, s14, 0xffff
	buffer_load_dwordx4 v[14:17], v19, s[28:31], 0 offen
	buffer_load_dwordx4 v[10:13], v19, s[28:31], 16 offen
	;; [unrolled: 1-line block ×4, first 2 shown]
.LBB758_3:
	s_or_b64 exec, exec, s[0:1]
	v_mov_b32_e32 v19, 0
	v_mov_b32_e32 v20, 0
	;; [unrolled: 1-line block ×15, first 2 shown]
	s_and_saveexec_b64 s[0:1], s[2:3]
	s_cbranch_execz .LBB758_5
; %bb.4:
	s_waitcnt vmcnt(3)
	v_cvt_f32_u32_sdwa v18, v14 dst_sel:DWORD dst_unused:UNUSED_PAD src0_sel:WORD_0
	v_cvt_f32_u32_sdwa v19, v14 dst_sel:DWORD dst_unused:UNUSED_PAD src0_sel:WORD_1
	v_cvt_f32_u32_sdwa v20, v15 dst_sel:DWORD dst_unused:UNUSED_PAD src0_sel:WORD_0
	v_cvt_f32_u32_sdwa v21, v15 dst_sel:DWORD dst_unused:UNUSED_PAD src0_sel:WORD_1
	;; [unrolled: 2-line block ×4, first 2 shown]
	s_waitcnt vmcnt(2)
	v_cvt_f32_u32_sdwa v26, v10 dst_sel:DWORD dst_unused:UNUSED_PAD src0_sel:WORD_0
	v_cvt_f32_u32_sdwa v27, v10 dst_sel:DWORD dst_unused:UNUSED_PAD src0_sel:WORD_1
	v_cvt_f32_u32_sdwa v28, v11 dst_sel:DWORD dst_unused:UNUSED_PAD src0_sel:WORD_0
	v_cvt_f32_u32_sdwa v29, v11 dst_sel:DWORD dst_unused:UNUSED_PAD src0_sel:WORD_1
	;; [unrolled: 2-line block ×4, first 2 shown]
.LBB758_5:
	s_or_b64 exec, exec, s[0:1]
	s_waitcnt vmcnt(2)
	v_mul_f32_e32 v10, v19, v19
	v_fmac_f32_e32 v10, v18, v18
	v_fmac_f32_e32 v10, v20, v20
	;; [unrolled: 1-line block ×15, first 2 shown]
	v_and_b32_e32 v12, 63, v0
	v_cmp_eq_u32_e64 s[0:1], 63, v12
	v_mov_b32_dpp v11, v10 quad_perm:[1,0,3,2] row_mask:0xf bank_mask:0xf
	v_add_f32_e32 v10, v10, v11
	s_nop 1
	v_mov_b32_dpp v11, v10 quad_perm:[2,3,0,1] row_mask:0xf bank_mask:0xf
	v_add_f32_e32 v10, v10, v11
	s_nop 1
	v_mov_b32_dpp v11, v10 row_half_mirror row_mask:0xf bank_mask:0xf
	v_add_f32_e32 v10, v10, v11
	s_nop 1
	v_mov_b32_dpp v11, v10 row_mirror row_mask:0xf bank_mask:0xf
	v_add_f32_e32 v10, v10, v11
	s_nop 1
	v_mov_b32_dpp v11, v10 row_bcast:15 row_mask:0xf bank_mask:0xf
	v_add_f32_e32 v10, v10, v11
	s_nop 1
	v_mov_b32_dpp v11, v10 row_bcast:31 row_mask:0xf bank_mask:0xf
	s_and_saveexec_b64 s[14:15], s[0:1]
	s_cbranch_execz .LBB758_7
; %bb.6:
	v_add_f32_e32 v10, v10, v11
	v_lshrrev_b32_e32 v11, 4, v0
	v_and_b32_e32 v11, 60, v11
	ds_write_b32 v11, v10 offset:16
.LBB758_7:
	s_or_b64 exec, exec, s[14:15]
	v_and_b32_e32 v10, 3, v0
	v_lshlrev_b32_e32 v34, 2, v10
	s_waitcnt lgkmcnt(0)
	s_barrier
	ds_read_b32 v10, v34 offset:16
	s_load_dwordx2 s[14:15], s[4:5], 0x18
	s_waitcnt lgkmcnt(0)
	v_mov_b32_dpp v11, v10 quad_perm:[1,0,3,2] row_mask:0xf bank_mask:0xf
	v_add_f32_e32 v10, v10, v11
	s_nop 1
	v_mov_b32_dpp v11, v10 quad_perm:[2,3,0,1] row_mask:0xf bank_mask:0xf
	s_and_saveexec_b64 s[20:21], s[2:3]
	s_cbranch_execz .LBB758_9
; %bb.8:
	v_cvt_f32_u32_e32 v12, s7
	v_add_f32_e32 v10, v10, v11
	v_mov_b32_e32 v14, s13
	v_mov_b32_e32 v15, s12
	v_div_scale_f32 v11, s[26:27], v12, v12, v10
	v_rcp_f32_e32 v13, v11
	v_cndmask_b32_e32 v14, v14, v15, vcc
	s_mov_b32 s7, 0x800000
	v_fma_f32 v15, -v11, v13, 1.0
	v_fmac_f32_e32 v13, v15, v13
	v_div_scale_f32 v15, vcc, v10, v12, v10
	v_mul_f32_e32 v16, v15, v13
	v_fma_f32 v17, -v11, v16, v15
	v_fmac_f32_e32 v16, v17, v13
	v_fma_f32 v11, -v11, v16, v15
	v_div_fmas_f32 v11, v11, v13, v16
	v_div_fixup_f32 v10, v11, v12, v10
	v_add_f32_e32 v10, v14, v10
	v_mul_f32_e32 v11, 0x4b800000, v10
	v_cmp_gt_f32_e32 vcc, s7, v10
	v_cndmask_b32_e32 v10, v10, v11, vcc
	v_rsq_f32_e32 v10, v10
	v_mul_f32_e32 v11, 0x45800000, v10
	v_cndmask_b32_e32 v10, v10, v11, vcc
	v_mov_b32_e32 v11, v10
	;;#ASMSTART
	v_pk_mul_f32 v[12:13], v[18:19], v[10:11]
	;;#ASMEND
	;;#ASMSTART
	v_pk_mul_f32 v[14:15], v[20:21], v[10:11]
	;;#ASMEND
	;; [unrolled: 3-line block ×8, first 2 shown]
	s_waitcnt vmcnt(1)
	v_cvt_f32_u32_sdwa v19, v6 dst_sel:DWORD dst_unused:UNUSED_PAD src0_sel:WORD_1
	v_cvt_f32_u32_sdwa v18, v6 dst_sel:DWORD dst_unused:UNUSED_PAD src0_sel:WORD_0
	v_cvt_f32_u32_sdwa v21, v7 dst_sel:DWORD dst_unused:UNUSED_PAD src0_sel:WORD_1
	v_cvt_f32_u32_sdwa v20, v7 dst_sel:DWORD dst_unused:UNUSED_PAD src0_sel:WORD_0
	;; [unrolled: 2-line block ×4, first 2 shown]
	;;#ASMSTART
	v_pk_mul_f32 v[18:19], v[12:13], v[18:19]
	;;#ASMEND
	;;#ASMSTART
	v_pk_mul_f32 v[20:21], v[14:15], v[20:21]
	;;#ASMEND
	;; [unrolled: 3-line block ×4, first 2 shown]
	s_waitcnt vmcnt(0)
	v_cvt_f32_u32_sdwa v7, v2 dst_sel:DWORD dst_unused:UNUSED_PAD src0_sel:WORD_1
	v_cvt_f32_u32_sdwa v6, v2 dst_sel:DWORD dst_unused:UNUSED_PAD src0_sel:WORD_0
	v_cvt_f32_u32_sdwa v9, v3 dst_sel:DWORD dst_unused:UNUSED_PAD src0_sel:WORD_1
	v_cvt_f32_u32_sdwa v8, v3 dst_sel:DWORD dst_unused:UNUSED_PAD src0_sel:WORD_0
	;; [unrolled: 2-line block ×4, first 2 shown]
	;;#ASMSTART
	v_pk_mul_f32 v[26:27], v[26:27], v[6:7]
	;;#ASMEND
	;;#ASMSTART
	v_pk_mul_f32 v[28:29], v[28:29], v[8:9]
	;;#ASMEND
	;; [unrolled: 3-line block ×4, first 2 shown]
.LBB758_9:
	s_or_b64 exec, exec, s[20:21]
	s_load_dwordx2 s[26:27], s[4:5], 0x7c
	s_mov_b64 s[20:21], -1
	s_and_b64 vcc, exec, s[10:11]
	s_cbranch_vccnz .LBB758_13
; %bb.10:
	s_andn2_b64 vcc, exec, s[20:21]
	s_cbranch_vccz .LBB758_16
.LBB758_11:
	s_cmp_lt_i32 s16, 1
	s_cbranch_scc0 .LBB758_19
.LBB758_12:
	s_endpgm
.LBB758_13:
	s_and_saveexec_b64 s[10:11], s[2:3]
	s_cbranch_execz .LBB758_15
; %bb.14:
	s_waitcnt lgkmcnt(0)
	s_mul_hi_i32 s21, s27, s6
	s_mul_i32 s20, s27, s6
	s_lshl_b64 s[20:21], s[20:21], 1
	s_add_u32 s20, s14, s20
	s_addc_u32 s7, s15, s21
	s_and_b32 s21, s7, 0xffff
	s_mov_b32 s7, 0x7060302
	s_mov_b32 s23, 0x20000
	s_waitcnt vmcnt(0)
	v_perm_b32 v5, v25, v24, s7
	v_perm_b32 v4, v23, v22, s7
	;; [unrolled: 1-line block ×4, first 2 shown]
	v_lshlrev_b32_e32 v6, 5, v0
	buffer_store_dwordx4 v[2:5], v6, s[20:23], 0 offen
	;;#ASMSTART
	s_nop 0
	;;#ASMEND
	s_nop 0
	v_perm_b32 v5, v33, v32, s7
	v_perm_b32 v4, v31, v30, s7
	;; [unrolled: 1-line block ×4, first 2 shown]
	buffer_store_dwordx4 v[2:5], v6, s[20:23], 16 offen
	;;#ASMSTART
	s_nop 0
	;;#ASMEND
.LBB758_15:
	s_or_b64 exec, exec, s[10:11]
	s_cbranch_execnz .LBB758_11
.LBB758_16:
	s_and_saveexec_b64 s[10:11], s[2:3]
	s_cbranch_execz .LBB758_18
; %bb.17:
	s_load_dwordx2 s[2:3], s[4:5], 0x10
	s_waitcnt lgkmcnt(0)
	s_mul_hi_i32 s21, s26, s6
	s_mul_i32 s20, s26, s6
	s_lshl_b64 s[20:21], s[20:21], 1
	s_mov_b32 s23, 0x20000
	s_add_u32 s20, s2, s20
	s_addc_u32 s2, s3, s21
	s_and_b32 s21, s2, 0xffff
	s_mov_b32 s2, 0x7060302
	s_waitcnt vmcnt(0)
	v_perm_b32 v5, v25, v24, s2
	v_perm_b32 v4, v23, v22, s2
	;; [unrolled: 1-line block ×4, first 2 shown]
	v_lshlrev_b32_e32 v6, 5, v0
	buffer_store_dwordx4 v[2:5], v6, s[20:23], 0 offen
	;;#ASMSTART
	s_nop 0
	;;#ASMEND
	s_nop 0
	v_perm_b32 v5, v33, v32, s2
	v_perm_b32 v4, v31, v30, s2
	;; [unrolled: 1-line block ×4, first 2 shown]
	buffer_store_dwordx4 v[2:5], v6, s[20:23], 16 offen
	;;#ASMSTART
	s_nop 0
	;;#ASMEND
.LBB758_18:
	s_or_b64 exec, exec, s[10:11]
	s_cmp_lt_i32 s16, 1
	s_cbranch_scc1 .LBB758_12
.LBB758_19:
	s_load_dword s2, s[4:5], 0x94
	s_waitcnt lgkmcnt(0)
	s_cmp_lg_u32 s2, 1
	s_cbranch_scc1 .LBB758_12
; %bb.20:
	s_lshl_b32 s2, s16, 1
	s_add_i32 s2, s2, 2
	v_cmp_gt_u32_e32 vcc, s16, v1
	s_and_b32 s10, s2, -4
	v_mov_b32_e32 v18, 0
	v_lshlrev_b32_e32 v1, 5, v0
	v_mov_b32_e32 v14, 0
	v_mov_b32_e32 v15, 0
	v_mov_b32_e32 v16, 0
	v_mov_b32_e32 v17, 0
	v_mov_b32_e32 v10, 0
	v_mov_b32_e32 v11, 0
	v_mov_b32_e32 v12, 0
	v_mov_b32_e32 v13, 0
	s_waitcnt vmcnt(1)
	v_mov_b32_e32 v6, 0
	v_mov_b32_e32 v7, 0
	;; [unrolled: 1-line block ×4, first 2 shown]
	s_waitcnt vmcnt(0)
	v_mov_b32_e32 v2, 0
	v_mov_b32_e32 v3, 0
	;; [unrolled: 1-line block ×4, first 2 shown]
	s_barrier
	s_and_saveexec_b64 s[2:3], vcc
	s_cbranch_execz .LBB758_22
; %bb.21:
	s_mul_hi_i32 s5, s18, s6
	s_mul_i32 s4, s18, s6
	s_and_b32 s9, s9, 0xffff
	s_lshl_b64 s[4:5], s[4:5], 1
	s_add_u32 s20, s24, s4
	s_mov_b32 s11, 0x20000
	s_addc_u32 s4, s25, s5
	s_and_b32 s21, s4, 0xffff
	s_mov_b32 s22, s10
	s_mov_b32 s23, s11
	buffer_load_dwordx4 v[14:17], v1, s[20:23], 0 offen
	buffer_load_dwordx4 v[10:13], v1, s[20:23], 16 offen
	;; [unrolled: 1-line block ×4, first 2 shown]
.LBB758_22:
	s_or_b64 exec, exec, s[2:3]
	v_mov_b32_e32 v19, 0
	v_mov_b32_e32 v32, 0
	;; [unrolled: 1-line block ×15, first 2 shown]
	s_and_saveexec_b64 s[2:3], vcc
	s_cbranch_execz .LBB758_24
; %bb.23:
	s_waitcnt vmcnt(3)
	v_cvt_f32_u32_sdwa v18, v14 dst_sel:DWORD dst_unused:UNUSED_PAD src0_sel:WORD_0
	v_cvt_f32_u32_sdwa v19, v14 dst_sel:DWORD dst_unused:UNUSED_PAD src0_sel:WORD_1
	v_cvt_f32_u32_sdwa v32, v15 dst_sel:DWORD dst_unused:UNUSED_PAD src0_sel:WORD_0
	v_cvt_f32_u32_sdwa v33, v15 dst_sel:DWORD dst_unused:UNUSED_PAD src0_sel:WORD_1
	;; [unrolled: 2-line block ×4, first 2 shown]
	s_waitcnt vmcnt(2)
	v_cvt_f32_u32_sdwa v26, v10 dst_sel:DWORD dst_unused:UNUSED_PAD src0_sel:WORD_0
	v_cvt_f32_u32_sdwa v27, v10 dst_sel:DWORD dst_unused:UNUSED_PAD src0_sel:WORD_1
	v_cvt_f32_u32_sdwa v24, v11 dst_sel:DWORD dst_unused:UNUSED_PAD src0_sel:WORD_0
	v_cvt_f32_u32_sdwa v25, v11 dst_sel:DWORD dst_unused:UNUSED_PAD src0_sel:WORD_1
	;; [unrolled: 2-line block ×4, first 2 shown]
.LBB758_24:
	s_or_b64 exec, exec, s[2:3]
	s_waitcnt vmcnt(2)
	v_mul_f32_e32 v10, v19, v19
	v_fmac_f32_e32 v10, v18, v18
	v_fmac_f32_e32 v10, v32, v32
	;; [unrolled: 1-line block ×15, first 2 shown]
	s_nop 1
	v_mov_b32_dpp v11, v10 quad_perm:[1,0,3,2] row_mask:0xf bank_mask:0xf
	v_add_f32_e32 v10, v10, v11
	s_nop 1
	v_mov_b32_dpp v11, v10 quad_perm:[2,3,0,1] row_mask:0xf bank_mask:0xf
	v_add_f32_e32 v10, v10, v11
	s_nop 1
	v_mov_b32_dpp v11, v10 row_half_mirror row_mask:0xf bank_mask:0xf
	v_add_f32_e32 v10, v10, v11
	s_nop 1
	v_mov_b32_dpp v11, v10 row_mirror row_mask:0xf bank_mask:0xf
	v_add_f32_e32 v10, v10, v11
	s_nop 1
	v_mov_b32_dpp v11, v10 row_bcast:15 row_mask:0xf bank_mask:0xf
	v_add_f32_e32 v10, v10, v11
	s_nop 1
	v_mov_b32_dpp v11, v10 row_bcast:31 row_mask:0xf bank_mask:0xf
	s_and_saveexec_b64 s[2:3], s[0:1]
	s_cbranch_execz .LBB758_26
; %bb.25:
	v_lshrrev_b32_e32 v0, 4, v0
	v_add_f32_e32 v10, v10, v11
	v_and_b32_e32 v0, 60, v0
	ds_write_b32 v0, v10
.LBB758_26:
	s_or_b64 exec, exec, s[2:3]
	s_waitcnt lgkmcnt(0)
	s_barrier
	ds_read_b32 v0, v34
	s_waitcnt lgkmcnt(0)
	s_nop 0
	v_mov_b32_dpp v10, v0 quad_perm:[1,0,3,2] row_mask:0xf bank_mask:0xf
	v_add_f32_e32 v0, v0, v10
	s_nop 1
	v_mov_b32_dpp v10, v0 quad_perm:[2,3,0,1] row_mask:0xf bank_mask:0xf
	s_and_saveexec_b64 s[0:1], vcc
	s_cbranch_execz .LBB758_12
; %bb.27:
	v_cvt_f32_u32_e32 v11, s16
	v_add_f32_e32 v0, v0, v10
	s_mov_b32 s11, 0x20000
	v_div_scale_f32 v10, s[0:1], v11, v11, v0
	v_rcp_f32_e32 v12, v10
	v_div_scale_f32 v13, vcc, v0, v11, v0
	s_mov_b32 s0, 0x800000
	v_fma_f32 v14, -v10, v12, 1.0
	v_fmac_f32_e32 v12, v14, v12
	v_mul_f32_e32 v14, v13, v12
	v_fma_f32 v15, -v10, v14, v13
	v_fmac_f32_e32 v14, v15, v12
	v_fma_f32 v10, -v10, v14, v13
	v_div_fmas_f32 v10, v10, v12, v14
	v_div_fixup_f32 v0, v10, v11, v0
	v_add_f32_e32 v0, s13, v0
	v_mul_f32_e32 v10, 0x4b800000, v0
	v_cmp_gt_f32_e32 vcc, s0, v0
	v_cndmask_b32_e32 v0, v0, v10, vcc
	v_rsq_f32_e32 v0, v0
	s_mul_hi_i32 s1, s27, s6
	s_mul_i32 s0, s27, s6
	s_lshl_b64 s[0:1], s[0:1], 1
	v_mul_f32_e32 v10, 0x45800000, v0
	v_cndmask_b32_e32 v10, v0, v10, vcc
	v_mov_b32_e32 v11, v10
	s_add_u32 s8, s14, s0
	;;#ASMSTART
	v_pk_mul_f32 v[12:13], v[18:19], v[10:11]
	;;#ASMEND
	;;#ASMSTART
	v_pk_mul_f32 v[14:15], v[32:33], v[10:11]
	;;#ASMEND
	;; [unrolled: 3-line block ×8, first 2 shown]
	s_waitcnt vmcnt(1)
	v_cvt_f32_u32_sdwa v21, v6 dst_sel:DWORD dst_unused:UNUSED_PAD src0_sel:WORD_1
	v_cvt_f32_u32_sdwa v20, v6 dst_sel:DWORD dst_unused:UNUSED_PAD src0_sel:WORD_0
	v_cvt_f32_u32_sdwa v29, v7 dst_sel:DWORD dst_unused:UNUSED_PAD src0_sel:WORD_1
	v_cvt_f32_u32_sdwa v28, v7 dst_sel:DWORD dst_unused:UNUSED_PAD src0_sel:WORD_0
	;; [unrolled: 2-line block ×3, first 2 shown]
	s_addc_u32 s0, s15, s1
	v_cvt_f32_u32_sdwa v31, v9 dst_sel:DWORD dst_unused:UNUSED_PAD src0_sel:WORD_1
	v_cvt_f32_u32_sdwa v30, v9 dst_sel:DWORD dst_unused:UNUSED_PAD src0_sel:WORD_0
	;;#ASMSTART
	v_pk_mul_f32 v[8:9], v[12:13], v[20:21]
	;;#ASMEND
	;;#ASMSTART
	v_pk_mul_f32 v[12:13], v[14:15], v[28:29]
	;;#ASMEND
	;; [unrolled: 3-line block ×4, first 2 shown]
	s_waitcnt vmcnt(0)
	v_cvt_f32_u32_sdwa v17, v2 dst_sel:DWORD dst_unused:UNUSED_PAD src0_sel:WORD_1
	v_cvt_f32_u32_sdwa v16, v2 dst_sel:DWORD dst_unused:UNUSED_PAD src0_sel:WORD_0
	v_cvt_f32_u32_sdwa v19, v3 dst_sel:DWORD dst_unused:UNUSED_PAD src0_sel:WORD_1
	v_cvt_f32_u32_sdwa v18, v3 dst_sel:DWORD dst_unused:UNUSED_PAD src0_sel:WORD_0
	;; [unrolled: 2-line block ×3, first 2 shown]
	s_and_b32 s9, s0, 0xffff
	s_mov_b32 s0, 0x7060302
	v_cvt_f32_u32_sdwa v21, v5 dst_sel:DWORD dst_unused:UNUSED_PAD src0_sel:WORD_1
	v_cvt_f32_u32_sdwa v20, v5 dst_sel:DWORD dst_unused:UNUSED_PAD src0_sel:WORD_0
	;;#ASMSTART
	v_pk_mul_f32 v[16:17], v[26:27], v[16:17]
	;;#ASMEND
	;;#ASMSTART
	v_pk_mul_f32 v[18:19], v[24:25], v[18:19]
	;;#ASMEND
	;; [unrolled: 3-line block ×3, first 2 shown]
	v_perm_b32 v2, v9, v8, s0
	v_perm_b32 v3, v13, v12, s0
	;; [unrolled: 1-line block ×4, first 2 shown]
	;;#ASMSTART
	v_pk_mul_f32 v[10:11], v[10:11], v[20:21]
	;;#ASMEND
	buffer_store_dwordx4 v[2:5], v1, s[8:11], 0 offen
	;;#ASMSTART
	s_nop 0
	;;#ASMEND
	s_nop 0
	v_perm_b32 v2, v17, v16, s0
	v_perm_b32 v3, v19, v18, s0
	;; [unrolled: 1-line block ×4, first 2 shown]
	buffer_store_dwordx4 v[2:5], v1, s[8:11], 16 offen
	;;#ASMSTART
	s_nop 0
	;;#ASMEND
	s_endpgm
	.section	.rodata,"a",@progbits
	.p2align	6, 0x0
	.amdhsa_kernel _ZN5aiter35fused_qk_rmsnorm_group_quant_kernelItDB8_Li256ELi16ELi8ELb0ELb1ELb0ELb1ELb0ELb0EEEvPT0_PvPT_S6_S6_PKS5_S8_S8_S8_S8_ffiiiiiiiiiiiii
		.amdhsa_group_segment_fixed_size 32
		.amdhsa_private_segment_fixed_size 0
		.amdhsa_kernarg_size 400
		.amdhsa_user_sgpr_count 6
		.amdhsa_user_sgpr_private_segment_buffer 1
		.amdhsa_user_sgpr_dispatch_ptr 0
		.amdhsa_user_sgpr_queue_ptr 0
		.amdhsa_user_sgpr_kernarg_segment_ptr 1
		.amdhsa_user_sgpr_dispatch_id 0
		.amdhsa_user_sgpr_flat_scratch_init 0
		.amdhsa_user_sgpr_kernarg_preload_length 0
		.amdhsa_user_sgpr_kernarg_preload_offset 0
		.amdhsa_user_sgpr_private_segment_size 0
		.amdhsa_uses_dynamic_stack 0
		.amdhsa_system_sgpr_private_segment_wavefront_offset 0
		.amdhsa_system_sgpr_workgroup_id_x 1
		.amdhsa_system_sgpr_workgroup_id_y 1
		.amdhsa_system_sgpr_workgroup_id_z 0
		.amdhsa_system_sgpr_workgroup_info 0
		.amdhsa_system_vgpr_workitem_id 0
		.amdhsa_next_free_vgpr 35
		.amdhsa_next_free_sgpr 32
		.amdhsa_accum_offset 36
		.amdhsa_reserve_vcc 1
		.amdhsa_reserve_flat_scratch 0
		.amdhsa_float_round_mode_32 0
		.amdhsa_float_round_mode_16_64 0
		.amdhsa_float_denorm_mode_32 3
		.amdhsa_float_denorm_mode_16_64 3
		.amdhsa_dx10_clamp 1
		.amdhsa_ieee_mode 1
		.amdhsa_fp16_overflow 0
		.amdhsa_tg_split 0
		.amdhsa_exception_fp_ieee_invalid_op 0
		.amdhsa_exception_fp_denorm_src 0
		.amdhsa_exception_fp_ieee_div_zero 0
		.amdhsa_exception_fp_ieee_overflow 0
		.amdhsa_exception_fp_ieee_underflow 0
		.amdhsa_exception_fp_ieee_inexact 0
		.amdhsa_exception_int_div_zero 0
	.end_amdhsa_kernel
	.section	.text._ZN5aiter35fused_qk_rmsnorm_group_quant_kernelItDB8_Li256ELi16ELi8ELb0ELb1ELb0ELb1ELb0ELb0EEEvPT0_PvPT_S6_S6_PKS5_S8_S8_S8_S8_ffiiiiiiiiiiiii,"axG",@progbits,_ZN5aiter35fused_qk_rmsnorm_group_quant_kernelItDB8_Li256ELi16ELi8ELb0ELb1ELb0ELb1ELb0ELb0EEEvPT0_PvPT_S6_S6_PKS5_S8_S8_S8_S8_ffiiiiiiiiiiiii,comdat
.Lfunc_end758:
	.size	_ZN5aiter35fused_qk_rmsnorm_group_quant_kernelItDB8_Li256ELi16ELi8ELb0ELb1ELb0ELb1ELb0ELb0EEEvPT0_PvPT_S6_S6_PKS5_S8_S8_S8_S8_ffiiiiiiiiiiiii, .Lfunc_end758-_ZN5aiter35fused_qk_rmsnorm_group_quant_kernelItDB8_Li256ELi16ELi8ELb0ELb1ELb0ELb1ELb0ELb0EEEvPT0_PvPT_S6_S6_PKS5_S8_S8_S8_S8_ffiiiiiiiiiiiii
                                        ; -- End function
	.section	.AMDGPU.csdata,"",@progbits
; Kernel info:
; codeLenInByte = 2812
; NumSgprs: 36
; NumVgprs: 35
; NumAgprs: 0
; TotalNumVgprs: 35
; ScratchSize: 0
; MemoryBound: 0
; FloatMode: 240
; IeeeMode: 1
; LDSByteSize: 32 bytes/workgroup (compile time only)
; SGPRBlocks: 4
; VGPRBlocks: 4
; NumSGPRsForWavesPerEU: 36
; NumVGPRsForWavesPerEU: 35
; AccumOffset: 36
; Occupancy: 8
; WaveLimiterHint : 0
; COMPUTE_PGM_RSRC2:SCRATCH_EN: 0
; COMPUTE_PGM_RSRC2:USER_SGPR: 6
; COMPUTE_PGM_RSRC2:TRAP_HANDLER: 0
; COMPUTE_PGM_RSRC2:TGID_X_EN: 1
; COMPUTE_PGM_RSRC2:TGID_Y_EN: 1
; COMPUTE_PGM_RSRC2:TGID_Z_EN: 0
; COMPUTE_PGM_RSRC2:TIDIG_COMP_CNT: 0
; COMPUTE_PGM_RSRC3_GFX90A:ACCUM_OFFSET: 8
; COMPUTE_PGM_RSRC3_GFX90A:TG_SPLIT: 0
	.section	.text._ZN5aiter35fused_qk_rmsnorm_group_quant_kernelIDF16_N4opus5fp4_tELi256ELi16ELi8ELb0ELb1ELb0ELb1ELb0ELb0EEEvPT0_PvPT_S7_S7_PKS6_S9_S9_S9_S9_ffiiiiiiiiiiiii,"axG",@progbits,_ZN5aiter35fused_qk_rmsnorm_group_quant_kernelIDF16_N4opus5fp4_tELi256ELi16ELi8ELb0ELb1ELb0ELb1ELb0ELb0EEEvPT0_PvPT_S7_S7_PKS6_S9_S9_S9_S9_ffiiiiiiiiiiiii,comdat
	.protected	_ZN5aiter35fused_qk_rmsnorm_group_quant_kernelIDF16_N4opus5fp4_tELi256ELi16ELi8ELb0ELb1ELb0ELb1ELb0ELb0EEEvPT0_PvPT_S7_S7_PKS6_S9_S9_S9_S9_ffiiiiiiiiiiiii ; -- Begin function _ZN5aiter35fused_qk_rmsnorm_group_quant_kernelIDF16_N4opus5fp4_tELi256ELi16ELi8ELb0ELb1ELb0ELb1ELb0ELb0EEEvPT0_PvPT_S7_S7_PKS6_S9_S9_S9_S9_ffiiiiiiiiiiiii
	.globl	_ZN5aiter35fused_qk_rmsnorm_group_quant_kernelIDF16_N4opus5fp4_tELi256ELi16ELi8ELb0ELb1ELb0ELb1ELb0ELb0EEEvPT0_PvPT_S7_S7_PKS6_S9_S9_S9_S9_ffiiiiiiiiiiiii
	.p2align	8
	.type	_ZN5aiter35fused_qk_rmsnorm_group_quant_kernelIDF16_N4opus5fp4_tELi256ELi16ELi8ELb0ELb1ELb0ELb1ELb0ELb0EEEvPT0_PvPT_S7_S7_PKS6_S9_S9_S9_S9_ffiiiiiiiiiiiii,@function
_ZN5aiter35fused_qk_rmsnorm_group_quant_kernelIDF16_N4opus5fp4_tELi256ELi16ELi8ELb0ELb1ELb0ELb1ELb0ELb0EEEvPT0_PvPT_S7_S7_PKS6_S9_S9_S9_S9_ffiiiiiiiiiiiii: ; @_ZN5aiter35fused_qk_rmsnorm_group_quant_kernelIDF16_N4opus5fp4_tELi256ELi16ELi8ELb0ELb1ELb0ELb1ELb0ELb0EEEvPT0_PvPT_S7_S7_PKS6_S9_S9_S9_S9_ffiiiiiiiiiiiii
; %bb.0:
	s_load_dwordx4 s[12:15], s[4:5], 0x50
	s_waitcnt lgkmcnt(0)
	s_cmp_ge_i32 s6, s14
	s_cbranch_scc1 .LBB759_12
; %bb.1:
	s_load_dwordx2 s[24:25], s[4:5], 0x30
	s_load_dwordx2 s[8:9], s[4:5], 0x48
	s_load_dwordx4 s[16:19], s[4:5], 0x60
	s_cmp_lg_u32 s7, 0
	s_cselect_b64 s[10:11], -1, 0
	s_cmp_eq_u32 s7, 0
	s_cselect_b64 vcc, -1, 0
	s_and_b64 s[0:1], vcc, exec
	s_waitcnt lgkmcnt(0)
	s_cselect_b32 s7, s15, s16
	s_add_i32 s0, s7, 1
	s_lshr_b32 s1, s0, 31
	s_add_i32 s0, s0, s1
	s_lshl_b32 s0, s0, 1
	v_lshlrev_b32_e32 v1, 4, v0
	s_and_b32 s22, s0, -4
	v_cmp_gt_i32_e64 s[2:3], s7, v1
	v_mov_b32_e32 v18, 0
	v_mov_b32_e32 v6, 0
	;; [unrolled: 1-line block ×17, first 2 shown]
	s_and_saveexec_b64 s[0:1], s[2:3]
	s_cbranch_execz .LBB759_3
; %bb.2:
	s_load_dwordx2 s[14:15], s[4:5], 0x28
	s_load_dwordx2 s[20:21], s[4:5], 0x40
	s_and_b64 s[26:27], vcc, exec
	s_cselect_b32 s17, s17, s18
	s_mov_b32 s30, s22
	s_waitcnt lgkmcnt(0)
	s_cselect_b32 s19, s15, s25
	s_cselect_b32 s23, s14, s24
	s_mul_hi_i32 s15, s17, s6
	s_mul_i32 s14, s17, s6
	s_lshl_b64 s[14:15], s[14:15], 1
	s_add_u32 s28, s23, s14
	s_addc_u32 s17, s19, s15
	s_and_b64 s[14:15], vcc, exec
	s_mov_b32 s23, 0x20000
	s_cselect_b32 s20, s20, s8
	s_cselect_b32 s14, s21, s9
	s_and_b32 s29, s17, 0xffff
	s_mov_b32 s31, s23
	v_lshlrev_b32_e32 v19, 5, v0
	s_and_b32 s21, s14, 0xffff
	buffer_load_dwordx4 v[14:17], v19, s[28:31], 0 offen
	buffer_load_dwordx4 v[10:13], v19, s[28:31], 16 offen
	;; [unrolled: 1-line block ×4, first 2 shown]
.LBB759_3:
	s_or_b64 exec, exec, s[0:1]
	v_mov_b32_e32 v19, 0
	v_mov_b32_e32 v20, 0
	;; [unrolled: 1-line block ×15, first 2 shown]
	s_and_saveexec_b64 s[0:1], s[2:3]
	s_cbranch_execz .LBB759_5
; %bb.4:
	s_waitcnt vmcnt(3)
	v_cvt_f32_f16_sdwa v19, v14 dst_sel:DWORD dst_unused:UNUSED_PAD src0_sel:WORD_1
	v_cvt_f32_f16_e32 v18, v14
	v_cvt_f32_f16_sdwa v21, v15 dst_sel:DWORD dst_unused:UNUSED_PAD src0_sel:WORD_1
	v_cvt_f32_f16_e32 v20, v15
	v_cvt_f32_f16_sdwa v23, v16 dst_sel:DWORD dst_unused:UNUSED_PAD src0_sel:WORD_1
	v_cvt_f32_f16_e32 v22, v16
	v_cvt_f32_f16_sdwa v27, v17 dst_sel:DWORD dst_unused:UNUSED_PAD src0_sel:WORD_1
	v_cvt_f32_f16_e32 v26, v17
	s_waitcnt vmcnt(2)
	v_cvt_f32_f16_sdwa v25, v10 dst_sel:DWORD dst_unused:UNUSED_PAD src0_sel:WORD_1
	v_cvt_f32_f16_e32 v24, v10
	v_cvt_f32_f16_sdwa v29, v11 dst_sel:DWORD dst_unused:UNUSED_PAD src0_sel:WORD_1
	v_cvt_f32_f16_e32 v28, v11
	v_cvt_f32_f16_sdwa v31, v12 dst_sel:DWORD dst_unused:UNUSED_PAD src0_sel:WORD_1
	v_cvt_f32_f16_e32 v30, v12
	v_cvt_f32_f16_sdwa v33, v13 dst_sel:DWORD dst_unused:UNUSED_PAD src0_sel:WORD_1
	v_cvt_f32_f16_e32 v32, v13
.LBB759_5:
	s_or_b64 exec, exec, s[0:1]
	s_waitcnt vmcnt(2)
	v_mul_f32_e32 v10, v19, v19
	v_fmac_f32_e32 v10, v18, v18
	v_fmac_f32_e32 v10, v20, v20
	;; [unrolled: 1-line block ×15, first 2 shown]
	v_and_b32_e32 v12, 63, v0
	v_cmp_eq_u32_e64 s[0:1], 63, v12
	v_mov_b32_dpp v11, v10 quad_perm:[1,0,3,2] row_mask:0xf bank_mask:0xf
	v_add_f32_e32 v10, v10, v11
	s_nop 1
	v_mov_b32_dpp v11, v10 quad_perm:[2,3,0,1] row_mask:0xf bank_mask:0xf
	v_add_f32_e32 v10, v10, v11
	s_nop 1
	v_mov_b32_dpp v11, v10 row_half_mirror row_mask:0xf bank_mask:0xf
	v_add_f32_e32 v10, v10, v11
	s_nop 1
	v_mov_b32_dpp v11, v10 row_mirror row_mask:0xf bank_mask:0xf
	v_add_f32_e32 v10, v10, v11
	s_nop 1
	v_mov_b32_dpp v11, v10 row_bcast:15 row_mask:0xf bank_mask:0xf
	v_add_f32_e32 v10, v10, v11
	s_nop 1
	v_mov_b32_dpp v11, v10 row_bcast:31 row_mask:0xf bank_mask:0xf
	s_and_saveexec_b64 s[14:15], s[0:1]
	s_cbranch_execz .LBB759_7
; %bb.6:
	v_add_f32_e32 v10, v10, v11
	v_lshrrev_b32_e32 v11, 4, v0
	v_and_b32_e32 v11, 60, v11
	ds_write_b32 v11, v10 offset:16
.LBB759_7:
	s_or_b64 exec, exec, s[14:15]
	v_and_b32_e32 v10, 3, v0
	v_lshlrev_b32_e32 v34, 2, v10
	s_waitcnt lgkmcnt(0)
	s_barrier
	ds_read_b32 v10, v34 offset:16
	s_load_dwordx2 s[14:15], s[4:5], 0x18
	s_waitcnt lgkmcnt(0)
	v_mov_b32_dpp v11, v10 quad_perm:[1,0,3,2] row_mask:0xf bank_mask:0xf
	v_add_f32_e32 v10, v10, v11
	s_nop 1
	v_mov_b32_dpp v11, v10 quad_perm:[2,3,0,1] row_mask:0xf bank_mask:0xf
	s_and_saveexec_b64 s[20:21], s[2:3]
	s_cbranch_execz .LBB759_9
; %bb.8:
	v_cvt_f32_u32_e32 v12, s7
	v_add_f32_e32 v10, v10, v11
	v_mov_b32_e32 v14, s13
	v_mov_b32_e32 v15, s12
	v_div_scale_f32 v11, s[26:27], v12, v12, v10
	v_rcp_f32_e32 v13, v11
	v_cndmask_b32_e32 v14, v14, v15, vcc
	s_mov_b32 s7, 0x800000
	v_fma_f32 v15, -v11, v13, 1.0
	v_fmac_f32_e32 v13, v15, v13
	v_div_scale_f32 v15, vcc, v10, v12, v10
	v_mul_f32_e32 v16, v15, v13
	v_fma_f32 v17, -v11, v16, v15
	v_fmac_f32_e32 v16, v17, v13
	v_fma_f32 v11, -v11, v16, v15
	v_div_fmas_f32 v11, v11, v13, v16
	v_div_fixup_f32 v10, v11, v12, v10
	v_add_f32_e32 v10, v14, v10
	v_mul_f32_e32 v11, 0x4b800000, v10
	v_cmp_gt_f32_e32 vcc, s7, v10
	v_cndmask_b32_e32 v10, v10, v11, vcc
	v_rsq_f32_e32 v10, v10
	v_mul_f32_e32 v11, 0x45800000, v10
	v_cndmask_b32_e32 v10, v10, v11, vcc
	v_mov_b32_e32 v11, v10
	;;#ASMSTART
	v_pk_mul_f32 v[12:13], v[18:19], v[10:11]
	;;#ASMEND
	;;#ASMSTART
	v_pk_mul_f32 v[14:15], v[20:21], v[10:11]
	;;#ASMEND
	;; [unrolled: 3-line block ×8, first 2 shown]
	s_waitcnt vmcnt(1)
	v_cvt_f32_f16_sdwa v19, v6 dst_sel:DWORD dst_unused:UNUSED_PAD src0_sel:WORD_1
	v_cvt_f32_f16_e32 v18, v6
	v_cvt_f32_f16_sdwa v21, v7 dst_sel:DWORD dst_unused:UNUSED_PAD src0_sel:WORD_1
	v_cvt_f32_f16_e32 v20, v7
	;; [unrolled: 2-line block ×4, first 2 shown]
	;;#ASMSTART
	v_pk_mul_f32 v[18:19], v[12:13], v[18:19]
	;;#ASMEND
	;;#ASMSTART
	v_pk_mul_f32 v[20:21], v[14:15], v[20:21]
	;;#ASMEND
	;; [unrolled: 3-line block ×4, first 2 shown]
	s_waitcnt vmcnt(0)
	v_cvt_f32_f16_sdwa v7, v2 dst_sel:DWORD dst_unused:UNUSED_PAD src0_sel:WORD_1
	v_cvt_f32_f16_e32 v6, v2
	v_cvt_f32_f16_sdwa v9, v3 dst_sel:DWORD dst_unused:UNUSED_PAD src0_sel:WORD_1
	v_cvt_f32_f16_e32 v8, v3
	;; [unrolled: 2-line block ×4, first 2 shown]
	;;#ASMSTART
	v_pk_mul_f32 v[24:25], v[24:25], v[6:7]
	;;#ASMEND
	;;#ASMSTART
	v_pk_mul_f32 v[28:29], v[28:29], v[8:9]
	;;#ASMEND
	;; [unrolled: 3-line block ×4, first 2 shown]
.LBB759_9:
	s_or_b64 exec, exec, s[20:21]
	s_load_dwordx2 s[26:27], s[4:5], 0x7c
	s_mov_b64 s[20:21], -1
	s_and_b64 vcc, exec, s[10:11]
	s_cbranch_vccnz .LBB759_13
; %bb.10:
	s_andn2_b64 vcc, exec, s[20:21]
	s_cbranch_vccz .LBB759_16
.LBB759_11:
	s_cmp_lt_i32 s16, 1
	s_cbranch_scc0 .LBB759_19
.LBB759_12:
	s_endpgm
.LBB759_13:
	s_and_saveexec_b64 s[10:11], s[2:3]
	s_cbranch_execz .LBB759_15
; %bb.14:
	s_waitcnt lgkmcnt(0)
	s_mul_hi_i32 s21, s27, s6
	s_mul_i32 s20, s27, s6
	s_waitcnt vmcnt(0)
	v_cvt_f16_f32_e32 v2, v18
	v_cvt_f16_f32_e32 v3, v20
	;; [unrolled: 1-line block ×8, first 2 shown]
	s_lshl_b64 s[20:21], s[20:21], 1
	s_add_u32 s20, s14, s20
	s_addc_u32 s7, s15, s21
	s_and_b32 s21, s7, 0xffff
	s_mov_b32 s23, 0x20000
	v_pack_b32_f16 v5, v5, v6
	v_pack_b32_f16 v4, v4, v7
	;; [unrolled: 1-line block ×4, first 2 shown]
	v_lshlrev_b32_e32 v6, 5, v0
	buffer_store_dwordx4 v[2:5], v6, s[20:23], 0 offen
	v_cvt_f16_f32_e32 v7, v33
	v_cvt_f16_f32_e32 v2, v24
	;; [unrolled: 1-line block ×8, first 2 shown]
	v_pack_b32_f16 v5, v5, v7
	v_pack_b32_f16 v4, v4, v8
	;; [unrolled: 1-line block ×4, first 2 shown]
	;;#ASMSTART
	s_nop 0
	;;#ASMEND
	buffer_store_dwordx4 v[2:5], v6, s[20:23], 16 offen
	;;#ASMSTART
	s_nop 0
	;;#ASMEND
.LBB759_15:
	s_or_b64 exec, exec, s[10:11]
	s_cbranch_execnz .LBB759_11
.LBB759_16:
	s_and_saveexec_b64 s[10:11], s[2:3]
	s_cbranch_execz .LBB759_18
; %bb.17:
	s_load_dwordx2 s[2:3], s[4:5], 0x10
	s_waitcnt lgkmcnt(0)
	s_mul_hi_i32 s21, s26, s6
	s_mul_i32 s20, s26, s6
	s_waitcnt vmcnt(0)
	v_cvt_f16_f32_e32 v2, v18
	v_cvt_f16_f32_e32 v3, v20
	;; [unrolled: 1-line block ×8, first 2 shown]
	s_lshl_b64 s[20:21], s[20:21], 1
	s_add_u32 s20, s2, s20
	s_addc_u32 s2, s3, s21
	s_mov_b32 s23, 0x20000
	s_and_b32 s21, s2, 0xffff
	v_pack_b32_f16 v5, v5, v6
	v_pack_b32_f16 v4, v4, v7
	v_pack_b32_f16 v3, v3, v8
	v_pack_b32_f16 v2, v2, v9
	v_lshlrev_b32_e32 v6, 5, v0
	buffer_store_dwordx4 v[2:5], v6, s[20:23], 0 offen
	v_cvt_f16_f32_e32 v7, v33
	v_cvt_f16_f32_e32 v2, v24
	v_cvt_f16_f32_e32 v3, v28
	v_cvt_f16_f32_e32 v4, v30
	v_cvt_f16_f32_e32 v5, v32
	v_cvt_f16_f32_e32 v8, v31
	v_cvt_f16_f32_e32 v9, v29
	v_cvt_f16_f32_e32 v10, v25
	v_pack_b32_f16 v5, v5, v7
	v_pack_b32_f16 v4, v4, v8
	;; [unrolled: 1-line block ×4, first 2 shown]
	;;#ASMSTART
	s_nop 0
	;;#ASMEND
	buffer_store_dwordx4 v[2:5], v6, s[20:23], 16 offen
	;;#ASMSTART
	s_nop 0
	;;#ASMEND
.LBB759_18:
	s_or_b64 exec, exec, s[10:11]
	s_cmp_lt_i32 s16, 1
	s_cbranch_scc1 .LBB759_12
.LBB759_19:
	s_load_dword s2, s[4:5], 0x94
	s_waitcnt lgkmcnt(0)
	s_cmp_lg_u32 s2, 1
	s_cbranch_scc1 .LBB759_12
; %bb.20:
	s_lshl_b32 s2, s16, 1
	s_add_i32 s2, s2, 2
	v_cmp_gt_u32_e32 vcc, s16, v1
	s_and_b32 s10, s2, -4
	v_mov_b32_e32 v18, 0
	v_lshlrev_b32_e32 v1, 5, v0
	v_mov_b32_e32 v14, 0
	v_mov_b32_e32 v15, 0
	;; [unrolled: 1-line block ×8, first 2 shown]
	s_waitcnt vmcnt(1)
	v_mov_b32_e32 v6, 0
	v_mov_b32_e32 v7, 0
	;; [unrolled: 1-line block ×4, first 2 shown]
	s_waitcnt vmcnt(0)
	v_mov_b32_e32 v2, 0
	v_mov_b32_e32 v3, 0
	;; [unrolled: 1-line block ×4, first 2 shown]
	s_barrier
	s_and_saveexec_b64 s[2:3], vcc
	s_cbranch_execz .LBB759_22
; %bb.21:
	s_mul_hi_i32 s5, s18, s6
	s_mul_i32 s4, s18, s6
	s_and_b32 s9, s9, 0xffff
	s_lshl_b64 s[4:5], s[4:5], 1
	s_add_u32 s20, s24, s4
	s_mov_b32 s11, 0x20000
	s_addc_u32 s4, s25, s5
	s_and_b32 s21, s4, 0xffff
	s_mov_b32 s22, s10
	s_mov_b32 s23, s11
	buffer_load_dwordx4 v[14:17], v1, s[20:23], 0 offen
	buffer_load_dwordx4 v[10:13], v1, s[20:23], 16 offen
	;; [unrolled: 1-line block ×4, first 2 shown]
.LBB759_22:
	s_or_b64 exec, exec, s[2:3]
	v_mov_b32_e32 v19, 0
	v_mov_b32_e32 v32, 0
	;; [unrolled: 1-line block ×15, first 2 shown]
	s_and_saveexec_b64 s[2:3], vcc
	s_cbranch_execz .LBB759_24
; %bb.23:
	s_waitcnt vmcnt(3)
	v_cvt_f32_f16_sdwa v19, v14 dst_sel:DWORD dst_unused:UNUSED_PAD src0_sel:WORD_1
	v_cvt_f32_f16_e32 v18, v14
	v_cvt_f32_f16_sdwa v33, v15 dst_sel:DWORD dst_unused:UNUSED_PAD src0_sel:WORD_1
	v_cvt_f32_f16_e32 v32, v15
	;; [unrolled: 2-line block ×4, first 2 shown]
	s_waitcnt vmcnt(2)
	v_cvt_f32_f16_sdwa v27, v10 dst_sel:DWORD dst_unused:UNUSED_PAD src0_sel:WORD_1
	v_cvt_f32_f16_e32 v26, v10
	v_cvt_f32_f16_sdwa v25, v11 dst_sel:DWORD dst_unused:UNUSED_PAD src0_sel:WORD_1
	v_cvt_f32_f16_e32 v24, v11
	;; [unrolled: 2-line block ×4, first 2 shown]
.LBB759_24:
	s_or_b64 exec, exec, s[2:3]
	s_waitcnt vmcnt(2)
	v_mul_f32_e32 v10, v19, v19
	v_fmac_f32_e32 v10, v18, v18
	v_fmac_f32_e32 v10, v32, v32
	;; [unrolled: 1-line block ×15, first 2 shown]
	s_nop 1
	v_mov_b32_dpp v11, v10 quad_perm:[1,0,3,2] row_mask:0xf bank_mask:0xf
	v_add_f32_e32 v10, v10, v11
	s_nop 1
	v_mov_b32_dpp v11, v10 quad_perm:[2,3,0,1] row_mask:0xf bank_mask:0xf
	v_add_f32_e32 v10, v10, v11
	s_nop 1
	v_mov_b32_dpp v11, v10 row_half_mirror row_mask:0xf bank_mask:0xf
	v_add_f32_e32 v10, v10, v11
	s_nop 1
	v_mov_b32_dpp v11, v10 row_mirror row_mask:0xf bank_mask:0xf
	v_add_f32_e32 v10, v10, v11
	s_nop 1
	v_mov_b32_dpp v11, v10 row_bcast:15 row_mask:0xf bank_mask:0xf
	v_add_f32_e32 v10, v10, v11
	s_nop 1
	v_mov_b32_dpp v11, v10 row_bcast:31 row_mask:0xf bank_mask:0xf
	s_and_saveexec_b64 s[2:3], s[0:1]
	s_cbranch_execz .LBB759_26
; %bb.25:
	v_lshrrev_b32_e32 v0, 4, v0
	v_add_f32_e32 v10, v10, v11
	v_and_b32_e32 v0, 60, v0
	ds_write_b32 v0, v10
.LBB759_26:
	s_or_b64 exec, exec, s[2:3]
	s_waitcnt lgkmcnt(0)
	s_barrier
	ds_read_b32 v0, v34
	s_waitcnt lgkmcnt(0)
	s_nop 0
	v_mov_b32_dpp v10, v0 quad_perm:[1,0,3,2] row_mask:0xf bank_mask:0xf
	v_add_f32_e32 v0, v0, v10
	s_nop 1
	v_mov_b32_dpp v10, v0 quad_perm:[2,3,0,1] row_mask:0xf bank_mask:0xf
	s_and_saveexec_b64 s[0:1], vcc
	s_cbranch_execz .LBB759_12
; %bb.27:
	v_cvt_f32_u32_e32 v11, s16
	v_add_f32_e32 v0, v0, v10
	s_mov_b32 s11, 0x20000
	v_div_scale_f32 v10, s[0:1], v11, v11, v0
	v_rcp_f32_e32 v12, v10
	v_div_scale_f32 v13, vcc, v0, v11, v0
	s_mov_b32 s0, 0x800000
	v_fma_f32 v14, -v10, v12, 1.0
	v_fmac_f32_e32 v12, v14, v12
	v_mul_f32_e32 v14, v13, v12
	v_fma_f32 v15, -v10, v14, v13
	v_fmac_f32_e32 v14, v15, v12
	v_fma_f32 v10, -v10, v14, v13
	v_div_fmas_f32 v10, v10, v12, v14
	v_div_fixup_f32 v0, v10, v11, v0
	v_add_f32_e32 v0, s13, v0
	v_mul_f32_e32 v10, 0x4b800000, v0
	v_cmp_gt_f32_e32 vcc, s0, v0
	v_cndmask_b32_e32 v0, v0, v10, vcc
	v_rsq_f32_e32 v0, v0
	s_mul_hi_i32 s1, s27, s6
	s_mul_i32 s0, s27, s6
	s_lshl_b64 s[0:1], s[0:1], 1
	v_mul_f32_e32 v10, 0x45800000, v0
	v_cndmask_b32_e32 v10, v0, v10, vcc
	v_mov_b32_e32 v11, v10
	;;#ASMSTART
	v_pk_mul_f32 v[12:13], v[18:19], v[10:11]
	;;#ASMEND
	;;#ASMSTART
	v_pk_mul_f32 v[14:15], v[32:33], v[10:11]
	;;#ASMEND
	;; [unrolled: 3-line block ×8, first 2 shown]
	s_waitcnt vmcnt(1)
	v_cvt_f32_f16_sdwa v21, v6 dst_sel:DWORD dst_unused:UNUSED_PAD src0_sel:WORD_1
	v_cvt_f32_f16_e32 v20, v6
	v_cvt_f32_f16_sdwa v29, v7 dst_sel:DWORD dst_unused:UNUSED_PAD src0_sel:WORD_1
	v_cvt_f32_f16_e32 v28, v7
	;; [unrolled: 2-line block ×4, first 2 shown]
	;;#ASMSTART
	v_pk_mul_f32 v[8:9], v[12:13], v[20:21]
	;;#ASMEND
	;;#ASMSTART
	v_pk_mul_f32 v[12:13], v[14:15], v[28:29]
	;;#ASMEND
	;; [unrolled: 3-line block ×4, first 2 shown]
	s_waitcnt vmcnt(0)
	v_cvt_f32_f16_sdwa v17, v2 dst_sel:DWORD dst_unused:UNUSED_PAD src0_sel:WORD_1
	v_cvt_f32_f16_e32 v16, v2
	v_cvt_f32_f16_sdwa v19, v3 dst_sel:DWORD dst_unused:UNUSED_PAD src0_sel:WORD_1
	v_cvt_f32_f16_e32 v18, v3
	;; [unrolled: 2-line block ×4, first 2 shown]
	;;#ASMSTART
	v_pk_mul_f32 v[16:17], v[26:27], v[16:17]
	;;#ASMEND
	;;#ASMSTART
	v_pk_mul_f32 v[18:19], v[24:25], v[18:19]
	;;#ASMEND
	;; [unrolled: 3-line block ×3, first 2 shown]
	v_cvt_f16_f32_e32 v0, v8
	v_cvt_f16_f32_e32 v2, v9
	;; [unrolled: 1-line block ×8, first 2 shown]
	s_add_u32 s8, s14, s0
	s_addc_u32 s0, s15, s1
	s_and_b32 s9, s0, 0xffff
	v_pack_b32_f16 v2, v0, v2
	v_pack_b32_f16 v3, v3, v4
	;; [unrolled: 1-line block ×4, first 2 shown]
	;;#ASMSTART
	v_pk_mul_f32 v[10:11], v[10:11], v[20:21]
	;;#ASMEND
	buffer_store_dwordx4 v[2:5], v1, s[8:11], 0 offen
	v_cvt_f16_f32_e32 v0, v16
	v_cvt_f16_f32_e32 v2, v17
	;; [unrolled: 1-line block ×8, first 2 shown]
	v_pack_b32_f16 v2, v0, v2
	v_pack_b32_f16 v3, v3, v4
	;; [unrolled: 1-line block ×4, first 2 shown]
	;;#ASMSTART
	s_nop 0
	;;#ASMEND
	buffer_store_dwordx4 v[2:5], v1, s[8:11], 16 offen
	;;#ASMSTART
	s_nop 0
	;;#ASMEND
	s_endpgm
	.section	.rodata,"a",@progbits
	.p2align	6, 0x0
	.amdhsa_kernel _ZN5aiter35fused_qk_rmsnorm_group_quant_kernelIDF16_N4opus5fp4_tELi256ELi16ELi8ELb0ELb1ELb0ELb1ELb0ELb0EEEvPT0_PvPT_S7_S7_PKS6_S9_S9_S9_S9_ffiiiiiiiiiiiii
		.amdhsa_group_segment_fixed_size 32
		.amdhsa_private_segment_fixed_size 0
		.amdhsa_kernarg_size 400
		.amdhsa_user_sgpr_count 6
		.amdhsa_user_sgpr_private_segment_buffer 1
		.amdhsa_user_sgpr_dispatch_ptr 0
		.amdhsa_user_sgpr_queue_ptr 0
		.amdhsa_user_sgpr_kernarg_segment_ptr 1
		.amdhsa_user_sgpr_dispatch_id 0
		.amdhsa_user_sgpr_flat_scratch_init 0
		.amdhsa_user_sgpr_kernarg_preload_length 0
		.amdhsa_user_sgpr_kernarg_preload_offset 0
		.amdhsa_user_sgpr_private_segment_size 0
		.amdhsa_uses_dynamic_stack 0
		.amdhsa_system_sgpr_private_segment_wavefront_offset 0
		.amdhsa_system_sgpr_workgroup_id_x 1
		.amdhsa_system_sgpr_workgroup_id_y 1
		.amdhsa_system_sgpr_workgroup_id_z 0
		.amdhsa_system_sgpr_workgroup_info 0
		.amdhsa_system_vgpr_workitem_id 0
		.amdhsa_next_free_vgpr 35
		.amdhsa_next_free_sgpr 32
		.amdhsa_accum_offset 36
		.amdhsa_reserve_vcc 1
		.amdhsa_reserve_flat_scratch 0
		.amdhsa_float_round_mode_32 0
		.amdhsa_float_round_mode_16_64 0
		.amdhsa_float_denorm_mode_32 3
		.amdhsa_float_denorm_mode_16_64 3
		.amdhsa_dx10_clamp 1
		.amdhsa_ieee_mode 1
		.amdhsa_fp16_overflow 0
		.amdhsa_tg_split 0
		.amdhsa_exception_fp_ieee_invalid_op 0
		.amdhsa_exception_fp_denorm_src 0
		.amdhsa_exception_fp_ieee_div_zero 0
		.amdhsa_exception_fp_ieee_overflow 0
		.amdhsa_exception_fp_ieee_underflow 0
		.amdhsa_exception_fp_ieee_inexact 0
		.amdhsa_exception_int_div_zero 0
	.end_amdhsa_kernel
	.section	.text._ZN5aiter35fused_qk_rmsnorm_group_quant_kernelIDF16_N4opus5fp4_tELi256ELi16ELi8ELb0ELb1ELb0ELb1ELb0ELb0EEEvPT0_PvPT_S7_S7_PKS6_S9_S9_S9_S9_ffiiiiiiiiiiiii,"axG",@progbits,_ZN5aiter35fused_qk_rmsnorm_group_quant_kernelIDF16_N4opus5fp4_tELi256ELi16ELi8ELb0ELb1ELb0ELb1ELb0ELb0EEEvPT0_PvPT_S7_S7_PKS6_S9_S9_S9_S9_ffiiiiiiiiiiiii,comdat
.Lfunc_end759:
	.size	_ZN5aiter35fused_qk_rmsnorm_group_quant_kernelIDF16_N4opus5fp4_tELi256ELi16ELi8ELb0ELb1ELb0ELb1ELb0ELb0EEEvPT0_PvPT_S7_S7_PKS6_S9_S9_S9_S9_ffiiiiiiiiiiiii, .Lfunc_end759-_ZN5aiter35fused_qk_rmsnorm_group_quant_kernelIDF16_N4opus5fp4_tELi256ELi16ELi8ELb0ELb1ELb0ELb1ELb0ELb0EEEvPT0_PvPT_S7_S7_PKS6_S9_S9_S9_S9_ffiiiiiiiiiiiii
                                        ; -- End function
	.section	.AMDGPU.csdata,"",@progbits
; Kernel info:
; codeLenInByte = 2840
; NumSgprs: 36
; NumVgprs: 35
; NumAgprs: 0
; TotalNumVgprs: 35
; ScratchSize: 0
; MemoryBound: 0
; FloatMode: 240
; IeeeMode: 1
; LDSByteSize: 32 bytes/workgroup (compile time only)
; SGPRBlocks: 4
; VGPRBlocks: 4
; NumSGPRsForWavesPerEU: 36
; NumVGPRsForWavesPerEU: 35
; AccumOffset: 36
; Occupancy: 8
; WaveLimiterHint : 0
; COMPUTE_PGM_RSRC2:SCRATCH_EN: 0
; COMPUTE_PGM_RSRC2:USER_SGPR: 6
; COMPUTE_PGM_RSRC2:TRAP_HANDLER: 0
; COMPUTE_PGM_RSRC2:TGID_X_EN: 1
; COMPUTE_PGM_RSRC2:TGID_Y_EN: 1
; COMPUTE_PGM_RSRC2:TGID_Z_EN: 0
; COMPUTE_PGM_RSRC2:TIDIG_COMP_CNT: 0
; COMPUTE_PGM_RSRC3_GFX90A:ACCUM_OFFSET: 8
; COMPUTE_PGM_RSRC3_GFX90A:TG_SPLIT: 0
	.section	.text._ZN5aiter35fused_qk_rmsnorm_group_quant_kernelItN4opus5fp4_tELi256ELi16ELi8ELb0ELb1ELb0ELb1ELb0ELb0EEEvPT0_PvPT_S7_S7_PKS6_S9_S9_S9_S9_ffiiiiiiiiiiiii,"axG",@progbits,_ZN5aiter35fused_qk_rmsnorm_group_quant_kernelItN4opus5fp4_tELi256ELi16ELi8ELb0ELb1ELb0ELb1ELb0ELb0EEEvPT0_PvPT_S7_S7_PKS6_S9_S9_S9_S9_ffiiiiiiiiiiiii,comdat
	.protected	_ZN5aiter35fused_qk_rmsnorm_group_quant_kernelItN4opus5fp4_tELi256ELi16ELi8ELb0ELb1ELb0ELb1ELb0ELb0EEEvPT0_PvPT_S7_S7_PKS6_S9_S9_S9_S9_ffiiiiiiiiiiiii ; -- Begin function _ZN5aiter35fused_qk_rmsnorm_group_quant_kernelItN4opus5fp4_tELi256ELi16ELi8ELb0ELb1ELb0ELb1ELb0ELb0EEEvPT0_PvPT_S7_S7_PKS6_S9_S9_S9_S9_ffiiiiiiiiiiiii
	.globl	_ZN5aiter35fused_qk_rmsnorm_group_quant_kernelItN4opus5fp4_tELi256ELi16ELi8ELb0ELb1ELb0ELb1ELb0ELb0EEEvPT0_PvPT_S7_S7_PKS6_S9_S9_S9_S9_ffiiiiiiiiiiiii
	.p2align	8
	.type	_ZN5aiter35fused_qk_rmsnorm_group_quant_kernelItN4opus5fp4_tELi256ELi16ELi8ELb0ELb1ELb0ELb1ELb0ELb0EEEvPT0_PvPT_S7_S7_PKS6_S9_S9_S9_S9_ffiiiiiiiiiiiii,@function
_ZN5aiter35fused_qk_rmsnorm_group_quant_kernelItN4opus5fp4_tELi256ELi16ELi8ELb0ELb1ELb0ELb1ELb0ELb0EEEvPT0_PvPT_S7_S7_PKS6_S9_S9_S9_S9_ffiiiiiiiiiiiii: ; @_ZN5aiter35fused_qk_rmsnorm_group_quant_kernelItN4opus5fp4_tELi256ELi16ELi8ELb0ELb1ELb0ELb1ELb0ELb0EEEvPT0_PvPT_S7_S7_PKS6_S9_S9_S9_S9_ffiiiiiiiiiiiii
; %bb.0:
	s_load_dwordx4 s[12:15], s[4:5], 0x50
	s_waitcnt lgkmcnt(0)
	s_cmp_ge_i32 s6, s14
	s_cbranch_scc1 .LBB760_12
; %bb.1:
	s_load_dwordx2 s[24:25], s[4:5], 0x30
	s_load_dwordx2 s[8:9], s[4:5], 0x48
	s_load_dwordx4 s[16:19], s[4:5], 0x60
	s_cmp_lg_u32 s7, 0
	s_cselect_b64 s[10:11], -1, 0
	s_cmp_eq_u32 s7, 0
	s_cselect_b64 vcc, -1, 0
	s_and_b64 s[0:1], vcc, exec
	s_waitcnt lgkmcnt(0)
	s_cselect_b32 s7, s15, s16
	s_add_i32 s0, s7, 1
	s_lshr_b32 s1, s0, 31
	s_add_i32 s0, s0, s1
	s_lshl_b32 s0, s0, 1
	v_lshlrev_b32_e32 v1, 4, v0
	s_and_b32 s22, s0, -4
	v_cmp_gt_i32_e64 s[2:3], s7, v1
	v_mov_b32_e32 v18, 0
	v_mov_b32_e32 v6, 0
	;; [unrolled: 1-line block ×17, first 2 shown]
	s_and_saveexec_b64 s[0:1], s[2:3]
	s_cbranch_execz .LBB760_3
; %bb.2:
	s_load_dwordx2 s[14:15], s[4:5], 0x28
	s_load_dwordx2 s[20:21], s[4:5], 0x40
	s_and_b64 s[26:27], vcc, exec
	s_cselect_b32 s17, s17, s18
	s_mov_b32 s30, s22
	s_waitcnt lgkmcnt(0)
	s_cselect_b32 s19, s15, s25
	s_cselect_b32 s23, s14, s24
	s_mul_hi_i32 s15, s17, s6
	s_mul_i32 s14, s17, s6
	s_lshl_b64 s[14:15], s[14:15], 1
	s_add_u32 s28, s23, s14
	s_addc_u32 s17, s19, s15
	s_and_b64 s[14:15], vcc, exec
	s_mov_b32 s23, 0x20000
	s_cselect_b32 s20, s20, s8
	s_cselect_b32 s14, s21, s9
	s_and_b32 s29, s17, 0xffff
	s_mov_b32 s31, s23
	v_lshlrev_b32_e32 v19, 5, v0
	s_and_b32 s21, s14, 0xffff
	buffer_load_dwordx4 v[14:17], v19, s[28:31], 0 offen
	buffer_load_dwordx4 v[10:13], v19, s[28:31], 16 offen
	;; [unrolled: 1-line block ×4, first 2 shown]
.LBB760_3:
	s_or_b64 exec, exec, s[0:1]
	v_mov_b32_e32 v19, 0
	v_mov_b32_e32 v20, 0
	;; [unrolled: 1-line block ×15, first 2 shown]
	s_and_saveexec_b64 s[0:1], s[2:3]
	s_cbranch_execz .LBB760_5
; %bb.4:
	s_waitcnt vmcnt(3)
	v_cvt_f32_u32_sdwa v18, v14 dst_sel:DWORD dst_unused:UNUSED_PAD src0_sel:WORD_0
	v_cvt_f32_u32_sdwa v19, v14 dst_sel:DWORD dst_unused:UNUSED_PAD src0_sel:WORD_1
	v_cvt_f32_u32_sdwa v20, v15 dst_sel:DWORD dst_unused:UNUSED_PAD src0_sel:WORD_0
	v_cvt_f32_u32_sdwa v21, v15 dst_sel:DWORD dst_unused:UNUSED_PAD src0_sel:WORD_1
	;; [unrolled: 2-line block ×4, first 2 shown]
	s_waitcnt vmcnt(2)
	v_cvt_f32_u32_sdwa v26, v10 dst_sel:DWORD dst_unused:UNUSED_PAD src0_sel:WORD_0
	v_cvt_f32_u32_sdwa v27, v10 dst_sel:DWORD dst_unused:UNUSED_PAD src0_sel:WORD_1
	v_cvt_f32_u32_sdwa v28, v11 dst_sel:DWORD dst_unused:UNUSED_PAD src0_sel:WORD_0
	v_cvt_f32_u32_sdwa v29, v11 dst_sel:DWORD dst_unused:UNUSED_PAD src0_sel:WORD_1
	;; [unrolled: 2-line block ×4, first 2 shown]
.LBB760_5:
	s_or_b64 exec, exec, s[0:1]
	s_waitcnt vmcnt(2)
	v_mul_f32_e32 v10, v19, v19
	v_fmac_f32_e32 v10, v18, v18
	v_fmac_f32_e32 v10, v20, v20
	;; [unrolled: 1-line block ×15, first 2 shown]
	v_and_b32_e32 v12, 63, v0
	v_cmp_eq_u32_e64 s[0:1], 63, v12
	v_mov_b32_dpp v11, v10 quad_perm:[1,0,3,2] row_mask:0xf bank_mask:0xf
	v_add_f32_e32 v10, v10, v11
	s_nop 1
	v_mov_b32_dpp v11, v10 quad_perm:[2,3,0,1] row_mask:0xf bank_mask:0xf
	v_add_f32_e32 v10, v10, v11
	s_nop 1
	v_mov_b32_dpp v11, v10 row_half_mirror row_mask:0xf bank_mask:0xf
	v_add_f32_e32 v10, v10, v11
	s_nop 1
	v_mov_b32_dpp v11, v10 row_mirror row_mask:0xf bank_mask:0xf
	v_add_f32_e32 v10, v10, v11
	s_nop 1
	v_mov_b32_dpp v11, v10 row_bcast:15 row_mask:0xf bank_mask:0xf
	v_add_f32_e32 v10, v10, v11
	s_nop 1
	v_mov_b32_dpp v11, v10 row_bcast:31 row_mask:0xf bank_mask:0xf
	s_and_saveexec_b64 s[14:15], s[0:1]
	s_cbranch_execz .LBB760_7
; %bb.6:
	v_add_f32_e32 v10, v10, v11
	v_lshrrev_b32_e32 v11, 4, v0
	v_and_b32_e32 v11, 60, v11
	ds_write_b32 v11, v10 offset:16
.LBB760_7:
	s_or_b64 exec, exec, s[14:15]
	v_and_b32_e32 v10, 3, v0
	v_lshlrev_b32_e32 v34, 2, v10
	s_waitcnt lgkmcnt(0)
	s_barrier
	ds_read_b32 v10, v34 offset:16
	s_load_dwordx2 s[14:15], s[4:5], 0x18
	s_waitcnt lgkmcnt(0)
	v_mov_b32_dpp v11, v10 quad_perm:[1,0,3,2] row_mask:0xf bank_mask:0xf
	v_add_f32_e32 v10, v10, v11
	s_nop 1
	v_mov_b32_dpp v11, v10 quad_perm:[2,3,0,1] row_mask:0xf bank_mask:0xf
	s_and_saveexec_b64 s[20:21], s[2:3]
	s_cbranch_execz .LBB760_9
; %bb.8:
	v_cvt_f32_u32_e32 v12, s7
	v_add_f32_e32 v10, v10, v11
	v_mov_b32_e32 v14, s13
	v_mov_b32_e32 v15, s12
	v_div_scale_f32 v11, s[26:27], v12, v12, v10
	v_rcp_f32_e32 v13, v11
	v_cndmask_b32_e32 v14, v14, v15, vcc
	s_mov_b32 s7, 0x800000
	v_fma_f32 v15, -v11, v13, 1.0
	v_fmac_f32_e32 v13, v15, v13
	v_div_scale_f32 v15, vcc, v10, v12, v10
	v_mul_f32_e32 v16, v15, v13
	v_fma_f32 v17, -v11, v16, v15
	v_fmac_f32_e32 v16, v17, v13
	v_fma_f32 v11, -v11, v16, v15
	v_div_fmas_f32 v11, v11, v13, v16
	v_div_fixup_f32 v10, v11, v12, v10
	v_add_f32_e32 v10, v14, v10
	v_mul_f32_e32 v11, 0x4b800000, v10
	v_cmp_gt_f32_e32 vcc, s7, v10
	v_cndmask_b32_e32 v10, v10, v11, vcc
	v_rsq_f32_e32 v10, v10
	v_mul_f32_e32 v11, 0x45800000, v10
	v_cndmask_b32_e32 v10, v10, v11, vcc
	v_mov_b32_e32 v11, v10
	;;#ASMSTART
	v_pk_mul_f32 v[12:13], v[18:19], v[10:11]
	;;#ASMEND
	;;#ASMSTART
	v_pk_mul_f32 v[14:15], v[20:21], v[10:11]
	;;#ASMEND
	;; [unrolled: 3-line block ×8, first 2 shown]
	s_waitcnt vmcnt(1)
	v_cvt_f32_u32_sdwa v19, v6 dst_sel:DWORD dst_unused:UNUSED_PAD src0_sel:WORD_1
	v_cvt_f32_u32_sdwa v18, v6 dst_sel:DWORD dst_unused:UNUSED_PAD src0_sel:WORD_0
	v_cvt_f32_u32_sdwa v21, v7 dst_sel:DWORD dst_unused:UNUSED_PAD src0_sel:WORD_1
	v_cvt_f32_u32_sdwa v20, v7 dst_sel:DWORD dst_unused:UNUSED_PAD src0_sel:WORD_0
	;; [unrolled: 2-line block ×4, first 2 shown]
	;;#ASMSTART
	v_pk_mul_f32 v[18:19], v[12:13], v[18:19]
	;;#ASMEND
	;;#ASMSTART
	v_pk_mul_f32 v[20:21], v[14:15], v[20:21]
	;;#ASMEND
	;; [unrolled: 3-line block ×4, first 2 shown]
	s_waitcnt vmcnt(0)
	v_cvt_f32_u32_sdwa v7, v2 dst_sel:DWORD dst_unused:UNUSED_PAD src0_sel:WORD_1
	v_cvt_f32_u32_sdwa v6, v2 dst_sel:DWORD dst_unused:UNUSED_PAD src0_sel:WORD_0
	v_cvt_f32_u32_sdwa v9, v3 dst_sel:DWORD dst_unused:UNUSED_PAD src0_sel:WORD_1
	v_cvt_f32_u32_sdwa v8, v3 dst_sel:DWORD dst_unused:UNUSED_PAD src0_sel:WORD_0
	;; [unrolled: 2-line block ×4, first 2 shown]
	;;#ASMSTART
	v_pk_mul_f32 v[26:27], v[26:27], v[6:7]
	;;#ASMEND
	;;#ASMSTART
	v_pk_mul_f32 v[28:29], v[28:29], v[8:9]
	;;#ASMEND
	;; [unrolled: 3-line block ×4, first 2 shown]
.LBB760_9:
	s_or_b64 exec, exec, s[20:21]
	s_load_dwordx2 s[26:27], s[4:5], 0x7c
	s_mov_b64 s[20:21], -1
	s_and_b64 vcc, exec, s[10:11]
	s_cbranch_vccnz .LBB760_13
; %bb.10:
	s_andn2_b64 vcc, exec, s[20:21]
	s_cbranch_vccz .LBB760_16
.LBB760_11:
	s_cmp_lt_i32 s16, 1
	s_cbranch_scc0 .LBB760_19
.LBB760_12:
	s_endpgm
.LBB760_13:
	s_and_saveexec_b64 s[10:11], s[2:3]
	s_cbranch_execz .LBB760_15
; %bb.14:
	s_waitcnt lgkmcnt(0)
	s_mul_hi_i32 s21, s27, s6
	s_mul_i32 s20, s27, s6
	s_lshl_b64 s[20:21], s[20:21], 1
	s_add_u32 s20, s14, s20
	s_addc_u32 s7, s15, s21
	s_and_b32 s21, s7, 0xffff
	s_mov_b32 s7, 0x7060302
	s_mov_b32 s23, 0x20000
	s_waitcnt vmcnt(0)
	v_perm_b32 v5, v25, v24, s7
	v_perm_b32 v4, v23, v22, s7
	;; [unrolled: 1-line block ×4, first 2 shown]
	v_lshlrev_b32_e32 v6, 5, v0
	buffer_store_dwordx4 v[2:5], v6, s[20:23], 0 offen
	;;#ASMSTART
	s_nop 0
	;;#ASMEND
	s_nop 0
	v_perm_b32 v5, v33, v32, s7
	v_perm_b32 v4, v31, v30, s7
	;; [unrolled: 1-line block ×4, first 2 shown]
	buffer_store_dwordx4 v[2:5], v6, s[20:23], 16 offen
	;;#ASMSTART
	s_nop 0
	;;#ASMEND
.LBB760_15:
	s_or_b64 exec, exec, s[10:11]
	s_cbranch_execnz .LBB760_11
.LBB760_16:
	s_and_saveexec_b64 s[10:11], s[2:3]
	s_cbranch_execz .LBB760_18
; %bb.17:
	s_load_dwordx2 s[2:3], s[4:5], 0x10
	s_waitcnt lgkmcnt(0)
	s_mul_hi_i32 s21, s26, s6
	s_mul_i32 s20, s26, s6
	s_lshl_b64 s[20:21], s[20:21], 1
	s_mov_b32 s23, 0x20000
	s_add_u32 s20, s2, s20
	s_addc_u32 s2, s3, s21
	s_and_b32 s21, s2, 0xffff
	s_mov_b32 s2, 0x7060302
	s_waitcnt vmcnt(0)
	v_perm_b32 v5, v25, v24, s2
	v_perm_b32 v4, v23, v22, s2
	;; [unrolled: 1-line block ×4, first 2 shown]
	v_lshlrev_b32_e32 v6, 5, v0
	buffer_store_dwordx4 v[2:5], v6, s[20:23], 0 offen
	;;#ASMSTART
	s_nop 0
	;;#ASMEND
	s_nop 0
	v_perm_b32 v5, v33, v32, s2
	v_perm_b32 v4, v31, v30, s2
	;; [unrolled: 1-line block ×4, first 2 shown]
	buffer_store_dwordx4 v[2:5], v6, s[20:23], 16 offen
	;;#ASMSTART
	s_nop 0
	;;#ASMEND
.LBB760_18:
	s_or_b64 exec, exec, s[10:11]
	s_cmp_lt_i32 s16, 1
	s_cbranch_scc1 .LBB760_12
.LBB760_19:
	s_load_dword s2, s[4:5], 0x94
	s_waitcnt lgkmcnt(0)
	s_cmp_lg_u32 s2, 1
	s_cbranch_scc1 .LBB760_12
; %bb.20:
	s_lshl_b32 s2, s16, 1
	s_add_i32 s2, s2, 2
	v_cmp_gt_u32_e32 vcc, s16, v1
	s_and_b32 s10, s2, -4
	v_mov_b32_e32 v18, 0
	v_lshlrev_b32_e32 v1, 5, v0
	v_mov_b32_e32 v14, 0
	v_mov_b32_e32 v15, 0
	;; [unrolled: 1-line block ×8, first 2 shown]
	s_waitcnt vmcnt(1)
	v_mov_b32_e32 v6, 0
	v_mov_b32_e32 v7, 0
	;; [unrolled: 1-line block ×4, first 2 shown]
	s_waitcnt vmcnt(0)
	v_mov_b32_e32 v2, 0
	v_mov_b32_e32 v3, 0
	;; [unrolled: 1-line block ×4, first 2 shown]
	s_barrier
	s_and_saveexec_b64 s[2:3], vcc
	s_cbranch_execz .LBB760_22
; %bb.21:
	s_mul_hi_i32 s5, s18, s6
	s_mul_i32 s4, s18, s6
	s_and_b32 s9, s9, 0xffff
	s_lshl_b64 s[4:5], s[4:5], 1
	s_add_u32 s20, s24, s4
	s_mov_b32 s11, 0x20000
	s_addc_u32 s4, s25, s5
	s_and_b32 s21, s4, 0xffff
	s_mov_b32 s22, s10
	s_mov_b32 s23, s11
	buffer_load_dwordx4 v[14:17], v1, s[20:23], 0 offen
	buffer_load_dwordx4 v[10:13], v1, s[20:23], 16 offen
	;; [unrolled: 1-line block ×4, first 2 shown]
.LBB760_22:
	s_or_b64 exec, exec, s[2:3]
	v_mov_b32_e32 v19, 0
	v_mov_b32_e32 v32, 0
	;; [unrolled: 1-line block ×15, first 2 shown]
	s_and_saveexec_b64 s[2:3], vcc
	s_cbranch_execz .LBB760_24
; %bb.23:
	s_waitcnt vmcnt(3)
	v_cvt_f32_u32_sdwa v18, v14 dst_sel:DWORD dst_unused:UNUSED_PAD src0_sel:WORD_0
	v_cvt_f32_u32_sdwa v19, v14 dst_sel:DWORD dst_unused:UNUSED_PAD src0_sel:WORD_1
	v_cvt_f32_u32_sdwa v32, v15 dst_sel:DWORD dst_unused:UNUSED_PAD src0_sel:WORD_0
	v_cvt_f32_u32_sdwa v33, v15 dst_sel:DWORD dst_unused:UNUSED_PAD src0_sel:WORD_1
	v_cvt_f32_u32_sdwa v30, v16 dst_sel:DWORD dst_unused:UNUSED_PAD src0_sel:WORD_0
	v_cvt_f32_u32_sdwa v31, v16 dst_sel:DWORD dst_unused:UNUSED_PAD src0_sel:WORD_1
	v_cvt_f32_u32_sdwa v28, v17 dst_sel:DWORD dst_unused:UNUSED_PAD src0_sel:WORD_0
	v_cvt_f32_u32_sdwa v29, v17 dst_sel:DWORD dst_unused:UNUSED_PAD src0_sel:WORD_1
	s_waitcnt vmcnt(2)
	v_cvt_f32_u32_sdwa v26, v10 dst_sel:DWORD dst_unused:UNUSED_PAD src0_sel:WORD_0
	v_cvt_f32_u32_sdwa v27, v10 dst_sel:DWORD dst_unused:UNUSED_PAD src0_sel:WORD_1
	v_cvt_f32_u32_sdwa v24, v11 dst_sel:DWORD dst_unused:UNUSED_PAD src0_sel:WORD_0
	v_cvt_f32_u32_sdwa v25, v11 dst_sel:DWORD dst_unused:UNUSED_PAD src0_sel:WORD_1
	;; [unrolled: 2-line block ×4, first 2 shown]
.LBB760_24:
	s_or_b64 exec, exec, s[2:3]
	s_waitcnt vmcnt(2)
	v_mul_f32_e32 v10, v19, v19
	v_fmac_f32_e32 v10, v18, v18
	v_fmac_f32_e32 v10, v32, v32
	;; [unrolled: 1-line block ×15, first 2 shown]
	s_nop 1
	v_mov_b32_dpp v11, v10 quad_perm:[1,0,3,2] row_mask:0xf bank_mask:0xf
	v_add_f32_e32 v10, v10, v11
	s_nop 1
	v_mov_b32_dpp v11, v10 quad_perm:[2,3,0,1] row_mask:0xf bank_mask:0xf
	v_add_f32_e32 v10, v10, v11
	s_nop 1
	v_mov_b32_dpp v11, v10 row_half_mirror row_mask:0xf bank_mask:0xf
	v_add_f32_e32 v10, v10, v11
	s_nop 1
	v_mov_b32_dpp v11, v10 row_mirror row_mask:0xf bank_mask:0xf
	v_add_f32_e32 v10, v10, v11
	s_nop 1
	v_mov_b32_dpp v11, v10 row_bcast:15 row_mask:0xf bank_mask:0xf
	v_add_f32_e32 v10, v10, v11
	s_nop 1
	v_mov_b32_dpp v11, v10 row_bcast:31 row_mask:0xf bank_mask:0xf
	s_and_saveexec_b64 s[2:3], s[0:1]
	s_cbranch_execz .LBB760_26
; %bb.25:
	v_lshrrev_b32_e32 v0, 4, v0
	v_add_f32_e32 v10, v10, v11
	v_and_b32_e32 v0, 60, v0
	ds_write_b32 v0, v10
.LBB760_26:
	s_or_b64 exec, exec, s[2:3]
	s_waitcnt lgkmcnt(0)
	s_barrier
	ds_read_b32 v0, v34
	s_waitcnt lgkmcnt(0)
	s_nop 0
	v_mov_b32_dpp v10, v0 quad_perm:[1,0,3,2] row_mask:0xf bank_mask:0xf
	v_add_f32_e32 v0, v0, v10
	s_nop 1
	v_mov_b32_dpp v10, v0 quad_perm:[2,3,0,1] row_mask:0xf bank_mask:0xf
	s_and_saveexec_b64 s[0:1], vcc
	s_cbranch_execz .LBB760_12
; %bb.27:
	v_cvt_f32_u32_e32 v11, s16
	v_add_f32_e32 v0, v0, v10
	s_mov_b32 s11, 0x20000
	v_div_scale_f32 v10, s[0:1], v11, v11, v0
	v_rcp_f32_e32 v12, v10
	v_div_scale_f32 v13, vcc, v0, v11, v0
	s_mov_b32 s0, 0x800000
	v_fma_f32 v14, -v10, v12, 1.0
	v_fmac_f32_e32 v12, v14, v12
	v_mul_f32_e32 v14, v13, v12
	v_fma_f32 v15, -v10, v14, v13
	v_fmac_f32_e32 v14, v15, v12
	v_fma_f32 v10, -v10, v14, v13
	v_div_fmas_f32 v10, v10, v12, v14
	v_div_fixup_f32 v0, v10, v11, v0
	v_add_f32_e32 v0, s13, v0
	v_mul_f32_e32 v10, 0x4b800000, v0
	v_cmp_gt_f32_e32 vcc, s0, v0
	v_cndmask_b32_e32 v0, v0, v10, vcc
	v_rsq_f32_e32 v0, v0
	s_mul_hi_i32 s1, s27, s6
	s_mul_i32 s0, s27, s6
	s_lshl_b64 s[0:1], s[0:1], 1
	v_mul_f32_e32 v10, 0x45800000, v0
	v_cndmask_b32_e32 v10, v0, v10, vcc
	v_mov_b32_e32 v11, v10
	s_add_u32 s8, s14, s0
	;;#ASMSTART
	v_pk_mul_f32 v[12:13], v[18:19], v[10:11]
	;;#ASMEND
	;;#ASMSTART
	v_pk_mul_f32 v[14:15], v[32:33], v[10:11]
	;;#ASMEND
	;; [unrolled: 3-line block ×8, first 2 shown]
	s_waitcnt vmcnt(1)
	v_cvt_f32_u32_sdwa v21, v6 dst_sel:DWORD dst_unused:UNUSED_PAD src0_sel:WORD_1
	v_cvt_f32_u32_sdwa v20, v6 dst_sel:DWORD dst_unused:UNUSED_PAD src0_sel:WORD_0
	v_cvt_f32_u32_sdwa v29, v7 dst_sel:DWORD dst_unused:UNUSED_PAD src0_sel:WORD_1
	v_cvt_f32_u32_sdwa v28, v7 dst_sel:DWORD dst_unused:UNUSED_PAD src0_sel:WORD_0
	v_cvt_f32_u32_sdwa v7, v8 dst_sel:DWORD dst_unused:UNUSED_PAD src0_sel:WORD_1
	v_cvt_f32_u32_sdwa v6, v8 dst_sel:DWORD dst_unused:UNUSED_PAD src0_sel:WORD_0
	s_addc_u32 s0, s15, s1
	v_cvt_f32_u32_sdwa v31, v9 dst_sel:DWORD dst_unused:UNUSED_PAD src0_sel:WORD_1
	v_cvt_f32_u32_sdwa v30, v9 dst_sel:DWORD dst_unused:UNUSED_PAD src0_sel:WORD_0
	;;#ASMSTART
	v_pk_mul_f32 v[8:9], v[12:13], v[20:21]
	;;#ASMEND
	;;#ASMSTART
	v_pk_mul_f32 v[12:13], v[14:15], v[28:29]
	;;#ASMEND
	;; [unrolled: 3-line block ×4, first 2 shown]
	s_waitcnt vmcnt(0)
	v_cvt_f32_u32_sdwa v17, v2 dst_sel:DWORD dst_unused:UNUSED_PAD src0_sel:WORD_1
	v_cvt_f32_u32_sdwa v16, v2 dst_sel:DWORD dst_unused:UNUSED_PAD src0_sel:WORD_0
	v_cvt_f32_u32_sdwa v19, v3 dst_sel:DWORD dst_unused:UNUSED_PAD src0_sel:WORD_1
	v_cvt_f32_u32_sdwa v18, v3 dst_sel:DWORD dst_unused:UNUSED_PAD src0_sel:WORD_0
	;; [unrolled: 2-line block ×3, first 2 shown]
	s_and_b32 s9, s0, 0xffff
	s_mov_b32 s0, 0x7060302
	v_cvt_f32_u32_sdwa v21, v5 dst_sel:DWORD dst_unused:UNUSED_PAD src0_sel:WORD_1
	v_cvt_f32_u32_sdwa v20, v5 dst_sel:DWORD dst_unused:UNUSED_PAD src0_sel:WORD_0
	;;#ASMSTART
	v_pk_mul_f32 v[16:17], v[26:27], v[16:17]
	;;#ASMEND
	;;#ASMSTART
	v_pk_mul_f32 v[18:19], v[24:25], v[18:19]
	;;#ASMEND
	;; [unrolled: 3-line block ×3, first 2 shown]
	v_perm_b32 v2, v9, v8, s0
	v_perm_b32 v3, v13, v12, s0
	v_perm_b32 v4, v7, v6, s0
	v_perm_b32 v5, v15, v14, s0
	;;#ASMSTART
	v_pk_mul_f32 v[10:11], v[10:11], v[20:21]
	;;#ASMEND
	buffer_store_dwordx4 v[2:5], v1, s[8:11], 0 offen
	;;#ASMSTART
	s_nop 0
	;;#ASMEND
	s_nop 0
	v_perm_b32 v2, v17, v16, s0
	v_perm_b32 v3, v19, v18, s0
	v_perm_b32 v4, v23, v22, s0
	v_perm_b32 v5, v11, v10, s0
	buffer_store_dwordx4 v[2:5], v1, s[8:11], 16 offen
	;;#ASMSTART
	s_nop 0
	;;#ASMEND
	s_endpgm
	.section	.rodata,"a",@progbits
	.p2align	6, 0x0
	.amdhsa_kernel _ZN5aiter35fused_qk_rmsnorm_group_quant_kernelItN4opus5fp4_tELi256ELi16ELi8ELb0ELb1ELb0ELb1ELb0ELb0EEEvPT0_PvPT_S7_S7_PKS6_S9_S9_S9_S9_ffiiiiiiiiiiiii
		.amdhsa_group_segment_fixed_size 32
		.amdhsa_private_segment_fixed_size 0
		.amdhsa_kernarg_size 400
		.amdhsa_user_sgpr_count 6
		.amdhsa_user_sgpr_private_segment_buffer 1
		.amdhsa_user_sgpr_dispatch_ptr 0
		.amdhsa_user_sgpr_queue_ptr 0
		.amdhsa_user_sgpr_kernarg_segment_ptr 1
		.amdhsa_user_sgpr_dispatch_id 0
		.amdhsa_user_sgpr_flat_scratch_init 0
		.amdhsa_user_sgpr_kernarg_preload_length 0
		.amdhsa_user_sgpr_kernarg_preload_offset 0
		.amdhsa_user_sgpr_private_segment_size 0
		.amdhsa_uses_dynamic_stack 0
		.amdhsa_system_sgpr_private_segment_wavefront_offset 0
		.amdhsa_system_sgpr_workgroup_id_x 1
		.amdhsa_system_sgpr_workgroup_id_y 1
		.amdhsa_system_sgpr_workgroup_id_z 0
		.amdhsa_system_sgpr_workgroup_info 0
		.amdhsa_system_vgpr_workitem_id 0
		.amdhsa_next_free_vgpr 35
		.amdhsa_next_free_sgpr 32
		.amdhsa_accum_offset 36
		.amdhsa_reserve_vcc 1
		.amdhsa_reserve_flat_scratch 0
		.amdhsa_float_round_mode_32 0
		.amdhsa_float_round_mode_16_64 0
		.amdhsa_float_denorm_mode_32 3
		.amdhsa_float_denorm_mode_16_64 3
		.amdhsa_dx10_clamp 1
		.amdhsa_ieee_mode 1
		.amdhsa_fp16_overflow 0
		.amdhsa_tg_split 0
		.amdhsa_exception_fp_ieee_invalid_op 0
		.amdhsa_exception_fp_denorm_src 0
		.amdhsa_exception_fp_ieee_div_zero 0
		.amdhsa_exception_fp_ieee_overflow 0
		.amdhsa_exception_fp_ieee_underflow 0
		.amdhsa_exception_fp_ieee_inexact 0
		.amdhsa_exception_int_div_zero 0
	.end_amdhsa_kernel
	.section	.text._ZN5aiter35fused_qk_rmsnorm_group_quant_kernelItN4opus5fp4_tELi256ELi16ELi8ELb0ELb1ELb0ELb1ELb0ELb0EEEvPT0_PvPT_S7_S7_PKS6_S9_S9_S9_S9_ffiiiiiiiiiiiii,"axG",@progbits,_ZN5aiter35fused_qk_rmsnorm_group_quant_kernelItN4opus5fp4_tELi256ELi16ELi8ELb0ELb1ELb0ELb1ELb0ELb0EEEvPT0_PvPT_S7_S7_PKS6_S9_S9_S9_S9_ffiiiiiiiiiiiii,comdat
.Lfunc_end760:
	.size	_ZN5aiter35fused_qk_rmsnorm_group_quant_kernelItN4opus5fp4_tELi256ELi16ELi8ELb0ELb1ELb0ELb1ELb0ELb0EEEvPT0_PvPT_S7_S7_PKS6_S9_S9_S9_S9_ffiiiiiiiiiiiii, .Lfunc_end760-_ZN5aiter35fused_qk_rmsnorm_group_quant_kernelItN4opus5fp4_tELi256ELi16ELi8ELb0ELb1ELb0ELb1ELb0ELb0EEEvPT0_PvPT_S7_S7_PKS6_S9_S9_S9_S9_ffiiiiiiiiiiiii
                                        ; -- End function
	.section	.AMDGPU.csdata,"",@progbits
; Kernel info:
; codeLenInByte = 2812
; NumSgprs: 36
; NumVgprs: 35
; NumAgprs: 0
; TotalNumVgprs: 35
; ScratchSize: 0
; MemoryBound: 0
; FloatMode: 240
; IeeeMode: 1
; LDSByteSize: 32 bytes/workgroup (compile time only)
; SGPRBlocks: 4
; VGPRBlocks: 4
; NumSGPRsForWavesPerEU: 36
; NumVGPRsForWavesPerEU: 35
; AccumOffset: 36
; Occupancy: 8
; WaveLimiterHint : 0
; COMPUTE_PGM_RSRC2:SCRATCH_EN: 0
; COMPUTE_PGM_RSRC2:USER_SGPR: 6
; COMPUTE_PGM_RSRC2:TRAP_HANDLER: 0
; COMPUTE_PGM_RSRC2:TGID_X_EN: 1
; COMPUTE_PGM_RSRC2:TGID_Y_EN: 1
; COMPUTE_PGM_RSRC2:TGID_Z_EN: 0
; COMPUTE_PGM_RSRC2:TIDIG_COMP_CNT: 0
; COMPUTE_PGM_RSRC3_GFX90A:ACCUM_OFFSET: 8
; COMPUTE_PGM_RSRC3_GFX90A:TG_SPLIT: 0
	.section	.text._ZN5aiter35fused_qk_rmsnorm_group_quant_kernelIDF16_DB8_Li256ELi16ELi8ELb1ELb1ELb1ELb0ELb0ELb0EEEvPT0_PvPT_S6_S6_PKS5_S8_S8_S8_S8_ffiiiiiiiiiiiii,"axG",@progbits,_ZN5aiter35fused_qk_rmsnorm_group_quant_kernelIDF16_DB8_Li256ELi16ELi8ELb1ELb1ELb1ELb0ELb0ELb0EEEvPT0_PvPT_S6_S6_PKS5_S8_S8_S8_S8_ffiiiiiiiiiiiii,comdat
	.protected	_ZN5aiter35fused_qk_rmsnorm_group_quant_kernelIDF16_DB8_Li256ELi16ELi8ELb1ELb1ELb1ELb0ELb0ELb0EEEvPT0_PvPT_S6_S6_PKS5_S8_S8_S8_S8_ffiiiiiiiiiiiii ; -- Begin function _ZN5aiter35fused_qk_rmsnorm_group_quant_kernelIDF16_DB8_Li256ELi16ELi8ELb1ELb1ELb1ELb0ELb0ELb0EEEvPT0_PvPT_S6_S6_PKS5_S8_S8_S8_S8_ffiiiiiiiiiiiii
	.globl	_ZN5aiter35fused_qk_rmsnorm_group_quant_kernelIDF16_DB8_Li256ELi16ELi8ELb1ELb1ELb1ELb0ELb0ELb0EEEvPT0_PvPT_S6_S6_PKS5_S8_S8_S8_S8_ffiiiiiiiiiiiii
	.p2align	8
	.type	_ZN5aiter35fused_qk_rmsnorm_group_quant_kernelIDF16_DB8_Li256ELi16ELi8ELb1ELb1ELb1ELb0ELb0ELb0EEEvPT0_PvPT_S6_S6_PKS5_S8_S8_S8_S8_ffiiiiiiiiiiiii,@function
_ZN5aiter35fused_qk_rmsnorm_group_quant_kernelIDF16_DB8_Li256ELi16ELi8ELb1ELb1ELb1ELb0ELb0ELb0EEEvPT0_PvPT_S6_S6_PKS5_S8_S8_S8_S8_ffiiiiiiiiiiiii: ; @_ZN5aiter35fused_qk_rmsnorm_group_quant_kernelIDF16_DB8_Li256ELi16ELi8ELb1ELb1ELb1ELb0ELb0ELb0EEEvPT0_PvPT_S6_S6_PKS5_S8_S8_S8_S8_ffiiiiiiiiiiiii
; %bb.0:
	s_load_dwordx8 s[20:27], s[4:5], 0x50
	s_waitcnt lgkmcnt(0)
	s_cmp_ge_i32 s6, s22
	s_cbranch_scc1 .LBB761_17
; %bb.1:
	s_cmp_lg_u32 s7, 0
	s_cselect_b64 s[10:11], -1, 0
	s_cmp_eq_u32 s7, 0
	s_cselect_b64 s[8:9], -1, 0
	s_and_b64 s[0:1], s[8:9], exec
	s_load_dwordx2 s[28:29], s[4:5], 0x48
	s_load_dwordx2 s[34:35], s[4:5], 0x30
	s_load_dwordx8 s[12:19], s[4:5], 0x70
	s_cselect_b32 s7, s23, s24
	s_add_i32 s0, s7, 1
	s_lshr_b32 s1, s0, 31
	s_add_i32 s0, s0, s1
	s_lshl_b32 s0, s0, 1
	v_lshlrev_b32_e32 v1, 4, v0
	s_and_b32 s38, s0, -4
	v_cmp_gt_i32_e64 s[0:1], s7, v1
	v_mov_b32_e32 v76, 0
	v_mov_b32_e32 v77, 0
	;; [unrolled: 1-line block ×16, first 2 shown]
	s_and_saveexec_b64 s[2:3], s[0:1]
	s_cbranch_execz .LBB761_3
; %bb.2:
	s_waitcnt lgkmcnt(0)
	s_load_dwordx2 s[18:19], s[4:5], 0x28
	s_load_dwordx2 s[30:31], s[4:5], 0x40
	s_and_b64 s[36:37], s[8:9], exec
	s_cselect_b32 s22, s25, s26
	s_mov_b32 s39, 0x20000
	s_waitcnt lgkmcnt(0)
	s_cselect_b32 s25, s19, s35
	s_cselect_b32 s33, s18, s34
	s_mul_hi_i32 s19, s22, s6
	s_mul_i32 s18, s22, s6
	s_lshl_b64 s[18:19], s[18:19], 1
	s_add_u32 s40, s33, s18
	s_addc_u32 s22, s25, s19
	s_and_b64 s[18:19], s[8:9], exec
	s_cselect_b32 s36, s30, s28
	s_cselect_b32 s18, s31, s29
	s_and_b32 s41, s22, 0xffff
	s_mov_b32 s42, s38
	s_mov_b32 s43, s39
	v_lshlrev_b32_e32 v2, 5, v0
	s_and_b32 s37, s18, 0xffff
	buffer_load_dwordx4 v[80:83], v2, s[40:43], 0 offen
	buffer_load_dwordx4 v[84:87], v2, s[40:43], 16 offen
	;; [unrolled: 1-line block ×4, first 2 shown]
.LBB761_3:
	s_or_b64 exec, exec, s[2:3]
	s_and_b64 vcc, exec, s[10:11]
	s_cbranch_vccz .LBB761_7
; %bb.4:
	v_mov_b32_e32 v89, 0
	v_mov_b32_e32 v88, 0
	;; [unrolled: 1-line block ×16, first 2 shown]
	s_and_saveexec_b64 s[2:3], s[0:1]
	s_cbranch_execz .LBB761_6
; %bb.5:
	s_waitcnt vmcnt(3)
	v_cvt_f32_f16_sdwa v49, v80 dst_sel:DWORD dst_unused:UNUSED_PAD src0_sel:WORD_1
	v_cvt_f32_f16_e32 v48, v80
	v_cvt_f32_f16_sdwa v35, v81 dst_sel:DWORD dst_unused:UNUSED_PAD src0_sel:WORD_1
	v_cvt_f32_f16_e32 v34, v81
	;; [unrolled: 2-line block ×4, first 2 shown]
	s_waitcnt vmcnt(2)
	v_cvt_f32_f16_sdwa v65, v84 dst_sel:DWORD dst_unused:UNUSED_PAD src0_sel:WORD_1
	v_cvt_f32_f16_e32 v64, v84
	v_cvt_f32_f16_sdwa v19, v85 dst_sel:DWORD dst_unused:UNUSED_PAD src0_sel:WORD_1
	v_cvt_f32_f16_e32 v18, v85
	;; [unrolled: 2-line block ×4, first 2 shown]
.LBB761_6:
	s_or_b64 exec, exec, s[2:3]
	s_cbranch_execz .LBB761_8
	s_branch .LBB761_11
.LBB761_7:
                                        ; implicit-def: $vgpr32_vgpr33_vgpr34_vgpr35_vgpr36_vgpr37_vgpr38_vgpr39_vgpr40_vgpr41_vgpr42_vgpr43_vgpr44_vgpr45_vgpr46_vgpr47
                                        ; implicit-def: $vgpr48_vgpr49_vgpr50_vgpr51_vgpr52_vgpr53_vgpr54_vgpr55_vgpr56_vgpr57_vgpr58_vgpr59_vgpr60_vgpr61_vgpr62_vgpr63
                                        ; implicit-def: $vgpr18_vgpr19_vgpr20_vgpr21_vgpr22_vgpr23_vgpr24_vgpr25_vgpr26_vgpr27_vgpr28_vgpr29_vgpr30_vgpr31_vgpr32_vgpr33
                                        ; implicit-def: $vgpr50_vgpr51_vgpr52_vgpr53_vgpr54_vgpr55_vgpr56_vgpr57_vgpr58_vgpr59_vgpr60_vgpr61_vgpr62_vgpr63_vgpr64_vgpr65
                                        ; implicit-def: $vgpr89
                                        ; implicit-def: $vgpr8_vgpr9_vgpr10_vgpr11_vgpr12_vgpr13_vgpr14_vgpr15_vgpr16_vgpr17_vgpr18_vgpr19_vgpr20_vgpr21_vgpr22_vgpr23
                                        ; implicit-def: $vgpr56_vgpr57_vgpr58_vgpr59_vgpr60_vgpr61_vgpr62_vgpr63_vgpr64_vgpr65_vgpr66_vgpr67_vgpr68_vgpr69_vgpr70_vgpr71
                                        ; implicit-def: $vgpr2_vgpr3_vgpr4_vgpr5_vgpr6_vgpr7_vgpr8_vgpr9_vgpr10_vgpr11_vgpr12_vgpr13_vgpr14_vgpr15_vgpr16_vgpr17
.LBB761_8:
	v_mov_b32_e32 v89, 0
	v_mov_b32_e32 v88, 0
	;; [unrolled: 1-line block ×16, first 2 shown]
	s_and_saveexec_b64 s[2:3], s[0:1]
	s_cbranch_execz .LBB761_10
; %bb.9:
	s_waitcnt lgkmcnt(0)
	s_load_dwordx2 s[18:19], s[4:5], 0x38
	s_mul_hi_i32 s31, s27, s6
	s_mul_i32 s30, s27, s6
	s_lshl_b64 s[30:31], s[30:31], 1
	s_mov_b32 s39, 0x20000
	s_waitcnt lgkmcnt(0)
	s_add_u32 s36, s18, s30
	s_addc_u32 s18, s19, s31
	s_and_b32 s37, s18, 0xffff
	v_lshlrev_b32_e32 v38, 5, v0
	buffer_load_dwordx4 v[6:9], v38, s[36:39], 16 offen
	buffer_load_dwordx4 v[10:13], v38, s[36:39], 0 offen
	s_waitcnt vmcnt(5)
	v_cvt_f32_f16_sdwa v23, v82 dst_sel:DWORD dst_unused:UNUSED_PAD src0_sel:WORD_1
	v_cvt_f32_f16_e32 v22, v82
	v_cvt_f32_f16_sdwa v25, v83 dst_sel:DWORD dst_unused:UNUSED_PAD src0_sel:WORD_1
	v_cvt_f32_f16_e32 v24, v83
	;; [unrolled: 2-line block ×4, first 2 shown]
	s_load_dwordx2 s[18:19], s[4:5], 0x20
	s_waitcnt vmcnt(4)
	v_cvt_f32_f16_sdwa v3, v84 dst_sel:DWORD dst_unused:UNUSED_PAD src0_sel:WORD_1
	v_cvt_f32_f16_e32 v2, v84
	v_cvt_f32_f16_sdwa v5, v85 dst_sel:DWORD dst_unused:UNUSED_PAD src0_sel:WORD_1
	v_cvt_f32_f16_e32 v4, v85
	;; [unrolled: 2-line block ×4, first 2 shown]
	s_mul_hi_i32 s31, s17, s6
	s_mul_i32 s30, s17, s6
	s_lshl_b64 s[30:31], s[30:31], 1
	s_waitcnt lgkmcnt(0)
	s_add_u32 s36, s18, s30
	s_addc_u32 s17, s19, s31
	s_and_b32 s37, s17, 0xffff
	s_waitcnt vmcnt(1)
	v_cvt_f32_f16_e32 v26, v6
	v_cvt_f32_f16_sdwa v27, v6 dst_sel:DWORD dst_unused:UNUSED_PAD src0_sel:WORD_1
	v_cvt_f32_f16_e32 v28, v7
	v_cvt_f32_f16_sdwa v29, v7 dst_sel:DWORD dst_unused:UNUSED_PAD src0_sel:WORD_1
	;; [unrolled: 2-line block ×4, first 2 shown]
	s_waitcnt vmcnt(0)
	v_cvt_f32_f16_e32 v6, v12
	v_cvt_f32_f16_sdwa v7, v12 dst_sel:DWORD dst_unused:UNUSED_PAD src0_sel:WORD_1
	v_cvt_f32_f16_e32 v8, v13
	v_cvt_f32_f16_sdwa v9, v13 dst_sel:DWORD dst_unused:UNUSED_PAD src0_sel:WORD_1
	;; [unrolled: 2-line block ×4, first 2 shown]
	v_pk_add_f32 v[54:55], v[22:23], v[6:7]
	v_pk_add_f32 v[24:25], v[24:25], v[8:9]
	v_cvt_f16_f32_e32 v6, v55
	v_cvt_f16_f32_e32 v7, v25
	;; [unrolled: 1-line block ×4, first 2 shown]
	v_pk_add_f32 v[34:35], v[20:21], v[10:11]
	v_pk_add_f32 v[48:49], v[18:19], v[36:37]
	v_pack_b32_f16 v9, v8, v7
	v_pack_b32_f16 v8, v12, v6
	v_cvt_f16_f32_e32 v6, v35
	v_cvt_f16_f32_e32 v7, v34
	;; [unrolled: 1-line block ×3, first 2 shown]
	v_pk_add_f32 v[88:89], v[16:17], v[32:33]
	v_pk_add_f32 v[14:15], v[14:15], v[30:31]
	v_pack_b32_f16 v7, v7, v6
	v_cvt_f16_f32_e32 v6, v49
	v_pk_add_f32 v[18:19], v[4:5], v[28:29]
	v_pk_add_f32 v[64:65], v[2:3], v[26:27]
	v_cvt_f16_f32_e32 v4, v18
	v_pack_b32_f16 v6, v10, v6
	buffer_store_dwordx4 v[6:9], v38, s[36:39], 0 offen
	v_cvt_f16_f32_e32 v5, v19
	v_cvt_f16_f32_e32 v6, v14
	;; [unrolled: 1-line block ×7, first 2 shown]
	v_pack_b32_f16 v7, v7, v8
	v_pack_b32_f16 v6, v6, v9
	;; [unrolled: 1-line block ×4, first 2 shown]
	;;#ASMSTART
	s_nop 0
	;;#ASMEND
	buffer_store_dwordx4 v[4:7], v38, s[36:39], 16 offen
	;;#ASMSTART
	s_nop 0
	;;#ASMEND
.LBB761_10:
	s_or_b64 exec, exec, s[2:3]
.LBB761_11:
	v_mul_f32_e32 v2, v49, v49
	v_fmac_f32_e32 v2, v48, v48
	v_fmac_f32_e32 v2, v34, v34
	;; [unrolled: 1-line block ×15, first 2 shown]
	s_nop 1
	v_mov_b32_dpp v3, v2 quad_perm:[1,0,3,2] row_mask:0xf bank_mask:0xf
	v_add_f32_e32 v2, v2, v3
	s_nop 1
	v_mov_b32_dpp v3, v2 quad_perm:[2,3,0,1] row_mask:0xf bank_mask:0xf
	v_add_f32_e32 v2, v2, v3
	s_nop 1
	v_mov_b32_dpp v3, v2 row_half_mirror row_mask:0xf bank_mask:0xf
	v_add_f32_e32 v2, v2, v3
	s_nop 1
	v_mov_b32_dpp v3, v2 row_mirror row_mask:0xf bank_mask:0xf
	v_add_f32_e32 v2, v2, v3
	s_nop 1
	v_mov_b32_dpp v3, v2 row_bcast:15 row_mask:0xf bank_mask:0xf
	v_add_f32_e32 v2, v2, v3
	v_and_b32_e32 v3, 63, v0
	v_cmp_eq_u32_e64 s[2:3], 63, v3
	s_nop 0
	v_mov_b32_dpp v3, v2 row_bcast:31 row_mask:0xf bank_mask:0xf
	s_waitcnt lgkmcnt(0)
	s_and_saveexec_b64 s[18:19], s[2:3]
	s_cbranch_execz .LBB761_13
; %bb.12:
	v_add_f32_e32 v2, v2, v3
	v_lshrrev_b32_e32 v3, 4, v0
	v_and_b32_e32 v3, 60, v3
	ds_write_b32 v3, v2 offset:16
.LBB761_13:
	s_or_b64 exec, exec, s[18:19]
	v_and_b32_e32 v2, 3, v0
	v_lshlrev_b32_e32 v36, 2, v2
	s_waitcnt lgkmcnt(0)
	s_barrier
	ds_read_b32 v2, v36 offset:16
	s_load_dwordx2 s[18:19], s[4:5], 0x18
	s_waitcnt lgkmcnt(0)
	v_mov_b32_dpp v3, v2 quad_perm:[1,0,3,2] row_mask:0xf bank_mask:0xf
	v_add_f32_e32 v2, v2, v3
	s_nop 1
	v_mov_b32_dpp v3, v2 quad_perm:[2,3,0,1] row_mask:0xf bank_mask:0xf
	s_and_saveexec_b64 s[30:31], s[0:1]
	s_cbranch_execnz .LBB761_18
; %bb.14:
	s_or_b64 exec, exec, s[30:31]
	s_mov_b64 s[8:9], -1
	s_and_b64 vcc, exec, s[10:11]
	s_cbranch_vccnz .LBB761_19
.LBB761_15:
	s_andn2_b64 vcc, exec, s[8:9]
	s_cbranch_vccz .LBB761_22
.LBB761_16:
	s_cmp_lt_i32 s24, 1
	s_cbranch_scc0 .LBB761_31
.LBB761_17:
	s_endpgm
.LBB761_18:
	v_add_f32_e32 v2, v2, v3
	v_cvt_f32_u32_e32 v3, s7
	s_mov_b32 s7, 0x800000
	s_waitcnt vmcnt(1)
	v_cvt_f32_f16_sdwa v17, v76 dst_sel:DWORD dst_unused:UNUSED_PAD src0_sel:WORD_1
	v_cvt_f32_f16_e32 v16, v76
	v_div_scale_f32 v4, s[36:37], v3, v3, v2
	v_rcp_f32_e32 v5, v4
	v_pk_add_f32 v[16:17], v[16:17], 1.0 op_sel_hi:[1,0]
	v_cvt_f32_f16_sdwa v21, v79 dst_sel:DWORD dst_unused:UNUSED_PAD src0_sel:WORD_1
	v_cvt_f32_f16_e32 v20, v79
	v_fma_f32 v6, -v4, v5, 1.0
	v_fmac_f32_e32 v5, v6, v5
	v_div_scale_f32 v6, vcc, v2, v3, v2
	v_mul_f32_e32 v7, v6, v5
	v_fma_f32 v8, -v4, v7, v6
	v_fmac_f32_e32 v7, v8, v5
	v_fma_f32 v4, -v4, v7, v6
	v_div_fmas_f32 v4, v4, v5, v7
	v_div_fixup_f32 v2, v4, v3, v2
	v_mov_b32_e32 v3, s21
	v_mov_b32_e32 v4, s20
	v_cndmask_b32_e64 v3, v3, v4, s[8:9]
	v_add_f32_e32 v2, v3, v2
	v_mul_f32_e32 v3, 0x4b800000, v2
	v_cmp_gt_f32_e32 vcc, s7, v2
	v_cndmask_b32_e32 v2, v2, v3, vcc
	v_rsq_f32_e32 v2, v2
	s_waitcnt vmcnt(0)
	v_cvt_f32_f16_sdwa v23, v74 dst_sel:DWORD dst_unused:UNUSED_PAD src0_sel:WORD_1
	v_cvt_f32_f16_e32 v22, v74
	v_mul_f32_e32 v3, 0x45800000, v2
	v_cndmask_b32_e32 v2, v2, v3, vcc
	v_mov_b32_e32 v3, v2
	;;#ASMSTART
	v_pk_mul_f32 v[4:5], v[48:49], v[2:3]
	;;#ASMEND
	;;#ASMSTART
	v_pk_mul_f32 v[6:7], v[34:35], v[2:3]
	;;#ASMEND
	;; [unrolled: 3-line block ×9, first 2 shown]
	v_cvt_f32_f16_sdwa v5, v77 dst_sel:DWORD dst_unused:UNUSED_PAD src0_sel:WORD_1
	v_cvt_f32_f16_e32 v4, v77
	v_cvt_f32_f16_sdwa v17, v78 dst_sel:DWORD dst_unused:UNUSED_PAD src0_sel:WORD_1
	v_cvt_f32_f16_e32 v16, v78
	v_cvt_f32_f16_sdwa v25, v75 dst_sel:DWORD dst_unused:UNUSED_PAD src0_sel:WORD_1
	v_pk_add_f32 v[4:5], v[4:5], 1.0 op_sel_hi:[1,0]
	;;#ASMSTART
	v_pk_mul_f32 v[34:35], v[6:7], v[4:5]
	;;#ASMEND
	v_pk_add_f32 v[4:5], v[16:17], 1.0 op_sel_hi:[1,0]
	v_pk_add_f32 v[6:7], v[20:21], 1.0 op_sel_hi:[1,0]
	v_cvt_f32_f16_sdwa v17, v72 dst_sel:DWORD dst_unused:UNUSED_PAD src0_sel:WORD_1
	v_cvt_f32_f16_e32 v16, v72
	v_cvt_f32_f16_sdwa v21, v73 dst_sel:DWORD dst_unused:UNUSED_PAD src0_sel:WORD_1
	v_cvt_f32_f16_e32 v20, v73
	v_cvt_f32_f16_e32 v24, v75
	v_pk_add_f32 v[16:17], v[16:17], 1.0 op_sel_hi:[1,0]
	v_pk_add_f32 v[22:23], v[22:23], 1.0 op_sel_hi:[1,0]
	;; [unrolled: 1-line block ×4, first 2 shown]
	;;#ASMSTART
	v_pk_mul_f32 v[54:55], v[8:9], v[4:5]
	;;#ASMEND
	;;#ASMSTART
	v_pk_mul_f32 v[24:25], v[10:11], v[6:7]
	;;#ASMEND
	;; [unrolled: 3-line block ×6, first 2 shown]
	s_or_b64 exec, exec, s[30:31]
	s_mov_b64 s[8:9], -1
	s_and_b64 vcc, exec, s[10:11]
	s_cbranch_vccz .LBB761_15
.LBB761_19:
	s_and_saveexec_b64 s[8:9], s[0:1]
	s_cbranch_execz .LBB761_21
; %bb.20:
	v_cvt_f16_f32_e32 v2, v54
	v_cvt_f16_f32_e32 v3, v24
	v_cvt_f16_f32_e32 v4, v25
	v_cvt_f16_f32_e32 v6, v55
	s_mul_hi_i32 s11, s16, s6
	s_mul_i32 s10, s16, s6
	v_pack_b32_f16 v5, v3, v4
	v_pack_b32_f16 v4, v2, v6
	v_cvt_f16_f32_e32 v2, v34
	v_cvt_f16_f32_e32 v3, v35
	;; [unrolled: 1-line block ×3, first 2 shown]
	s_lshl_b64 s[10:11], s[10:11], 1
	s_add_u32 s36, s18, s10
	v_pack_b32_f16 v3, v2, v3
	v_cvt_f16_f32_e32 v2, v48
	s_addc_u32 s7, s19, s11
	s_and_b32 s37, s7, 0xffff
	s_mov_b32 s39, 0x20000
	v_pack_b32_f16 v2, v2, v6
	v_lshlrev_b32_e32 v6, 5, v0
	buffer_store_dwordx4 v[2:5], v6, s[36:39], 0 offen
	v_cvt_f16_f32_e32 v7, v15
	v_cvt_f16_f32_e32 v2, v14
	;; [unrolled: 1-line block ×4, first 2 shown]
	;;#ASMSTART
	s_nop 0
	;;#ASMEND
	v_pack_b32_f16 v5, v3, v4
	v_pack_b32_f16 v4, v2, v7
	v_cvt_f16_f32_e32 v2, v18
	v_cvt_f16_f32_e32 v3, v19
	;; [unrolled: 1-line block ×3, first 2 shown]
	v_pack_b32_f16 v3, v2, v3
	v_cvt_f16_f32_e32 v2, v64
	v_pack_b32_f16 v2, v2, v7
	buffer_store_dwordx4 v[2:5], v6, s[36:39], 16 offen
	;;#ASMSTART
	s_nop 0
	;;#ASMEND
.LBB761_21:
	s_or_b64 exec, exec, s[8:9]
	s_cbranch_execnz .LBB761_16
.LBB761_22:
	v_mov_b32_e32 v2, 0
	s_and_saveexec_b64 s[8:9], s[0:1]
	s_cbranch_execz .LBB761_24
; %bb.23:
	v_cvt_f16_f32_e32 v2, v54
	v_cvt_f16_f32_e32 v3, v24
	;; [unrolled: 1-line block ×4, first 2 shown]
	s_load_dwordx2 s[10:11], s[4:5], 0x10
	s_mul_hi_i32 s31, s15, s6
	v_pack_b32_f16 v5, v3, v4
	v_pack_b32_f16 v4, v2, v6
	v_cvt_f16_f32_e32 v2, v34
	v_cvt_f16_f32_e32 v3, v35
	;; [unrolled: 1-line block ×3, first 2 shown]
	s_mul_i32 s30, s15, s6
	s_lshl_b64 s[30:31], s[30:31], 1
	v_pack_b32_f16 v3, v2, v3
	v_cvt_f16_f32_e32 v2, v48
	s_waitcnt lgkmcnt(0)
	s_add_u32 s36, s10, s30
	s_addc_u32 s7, s11, s31
	s_and_b32 s37, s7, 0xffff
	v_pack_b32_f16 v2, v2, v6
	s_mov_b32 s39, 0x20000
	v_lshlrev_b32_e32 v6, 5, v0
	buffer_store_dwordx4 v[2:5], v6, s[36:39], 0 offen
	v_cvt_f16_f32_e32 v7, v15
	v_cvt_f16_f32_e32 v2, v14
	;; [unrolled: 1-line block ×4, first 2 shown]
	;;#ASMSTART
	s_nop 0
	;;#ASMEND
	v_pack_b32_f16 v5, v3, v4
	v_pack_b32_f16 v4, v2, v7
	v_cvt_f16_f32_e32 v2, v18
	v_cvt_f16_f32_e32 v3, v19
	;; [unrolled: 1-line block ×3, first 2 shown]
	v_pack_b32_f16 v3, v2, v3
	v_cvt_f16_f32_e32 v2, v64
	v_pack_b32_f16 v2, v2, v7
	buffer_store_dwordx4 v[2:5], v6, s[36:39], 16 offen
	;;#ASMSTART
	s_nop 0
	;;#ASMEND
	s_nop 0
	v_mov_b32_e32 v2, 0x2edbe6ff
.LBB761_24:
	s_or_b64 exec, exec, s[8:9]
	s_and_saveexec_b64 s[8:9], s[0:1]
	s_cbranch_execz .LBB761_26
; %bb.25:
	v_and_b32_e32 v3, 0x7fffffff, v48
	v_and_b32_e32 v4, 0x7fffffff, v49
	;;#ASMSTART
	v_max3_f32 v2, v2, v3, v4

	;;#ASMEND
	v_and_b32_e32 v3, 0x7fffffff, v34
	v_and_b32_e32 v4, 0x7fffffff, v35
	;;#ASMSTART
	v_max3_f32 v2, v2, v3, v4

	;;#ASMEND
	;; [unrolled: 6-line block ×8, first 2 shown]
.LBB761_26:
	s_or_b64 exec, exec, s[8:9]
	;;#ASMSTART
	v_max_f32 v3, v2, v2 quad_perm:[1,0,3,2] row_mask:0xf bank_mask:0xf bound_ctrl:1
	;;#ASMEND
	;;#ASMSTART
	v_max_f32 v2, v3, v3 quad_perm:[2,3,0,1] row_mask:0xf bank_mask:0xf bound_ctrl:1
	;;#ASMEND
	;;#ASMSTART
	v_max_f32 v3, v2, v2 row_half_mirror row_mask:0xf bank_mask:0xf bound_ctrl:1
	;;#ASMEND
	v_mul_f32_e32 v2, 0x3b124925, v3
	v_and_b32_e32 v3, 7, v0
	v_cmp_eq_u32_e32 vcc, 0, v3
	v_cmp_gt_i32_e64 s[8:9], s23, v1
	s_and_b64 s[10:11], vcc, s[8:9]
	s_and_saveexec_b64 s[8:9], s[10:11]
	s_cbranch_execz .LBB761_28
; %bb.27:
	s_load_dwordx2 s[10:11], s[4:5], 0x8
	v_lshrrev_b32_e32 v3, 3, v0
	s_mul_hi_i32 s31, s13, s6
	s_mul_i32 s30, s13, s6
	v_mad_i64_i32 v[4:5], s[14:15], s14, v3, 0
	s_lshl_b64 s[14:15], s[30:31], 2
	s_waitcnt lgkmcnt(0)
	s_add_u32 s7, s10, s14
	s_addc_u32 s10, s11, s15
	v_lshlrev_b64 v[4:5], 2, v[4:5]
	v_mov_b32_e32 v3, s10
	v_add_co_u32_e32 v4, vcc, s7, v4
	v_addc_co_u32_e32 v5, vcc, v3, v5, vcc
	global_store_dword v[4:5], v2, off
.LBB761_28:
	s_or_b64 exec, exec, s[8:9]
	;;#ASMSTART
	v_rcp_f32 v2, v2
	;;#ASMEND
	s_and_saveexec_b64 s[14:15], s[0:1]
	s_cbranch_execz .LBB761_30
; %bb.29:
	v_mov_b32_e32 v3, v2
	;;#ASMSTART
	v_pk_mul_f32 v[4:5], v[48:49], v[2:3]
	;;#ASMEND
	v_mov_b32_e32 v10, 0xc3e00000
	v_mov_b32_e32 v11, 0x43e00000
	;;#ASMSTART
	v_med3_f32 v4, v4, v10, v11
v_med3_f32 v5, v5, v10, v11
v_cvt_pk_fp8_f32 v6, v4, v5
	;;#ASMEND
	;;#ASMSTART
	v_pk_mul_f32 v[4:5], v[34:35], v[2:3]
	;;#ASMEND
	;;#ASMSTART
	v_med3_f32 v4, v4, v10, v11
v_med3_f32 v5, v5, v10, v11
v_cvt_pk_fp8_f32 v7, v4, v5
	;;#ASMEND
	;;#ASMSTART
	v_pk_mul_f32 v[4:5], v[54:55], v[2:3]
	;;#ASMEND
	;; [unrolled: 8-line block ×3, first 2 shown]
	;;#ASMSTART
	v_med3_f32 v4, v4, v10, v11
v_med3_f32 v5, v5, v10, v11
v_cvt_pk_fp8_f32 v9, v4, v5
	;;#ASMEND
	s_mov_b32 s0, 0x5040100
	v_perm_b32 v4, v7, v6, s0
	s_mov_b32 s0, 0x1060504
	v_perm_b32 v4, v4, v7, s0
	s_load_dwordx2 s[0:1], s[4:5], 0x0
	s_mov_b32 s7, 0x1000504
	;;#ASMSTART
	v_pk_mul_f32 v[6:7], v[64:65], v[2:3]
	;;#ASMEND
	v_perm_b32 v5, v8, v9, s7
	s_mul_i32 s8, s12, s6
	;;#ASMSTART
	v_med3_f32 v6, v6, v10, v11
v_med3_f32 v7, v7, v10, v11
v_cvt_pk_fp8_f32 v8, v6, v7
	;;#ASMEND
	s_mul_hi_i32 s9, s12, s6
	s_waitcnt lgkmcnt(0)
	s_add_u32 s8, s0, s8
	;;#ASMSTART
	v_pk_mul_f32 v[6:7], v[18:19], v[2:3]
	;;#ASMEND
	s_addc_u32 s0, s1, s9
	s_add_i32 s1, s23, 3
	;;#ASMSTART
	v_med3_f32 v6, v6, v10, v11
v_med3_f32 v7, v7, v10, v11
v_cvt_pk_fp8_f32 v9, v6, v7
	;;#ASMEND
	s_ashr_i32 s9, s1, 31
	v_perm_b32 v6, v8, v9, s7
	;;#ASMSTART
	v_pk_mul_f32 v[8:9], v[14:15], v[2:3]
	;;#ASMEND
	v_mov_b32_e32 v7, v9
	s_lshr_b32 s9, s9, 30
	;;#ASMSTART
	v_med3_f32 v8, v8, v10, v11
v_med3_f32 v7, v7, v10, v11
v_cvt_pk_fp8_f32 v9, v8, v7
	;;#ASMEND
	;;#ASMSTART
	v_pk_mul_f32 v[2:3], v[88:89], v[2:3]
	;;#ASMEND
	s_add_i32 s1, s1, s9
	;;#ASMSTART
	v_med3_f32 v2, v2, v10, v11
v_med3_f32 v3, v3, v10, v11
v_cvt_pk_fp8_f32 v7, v2, v3
	;;#ASMEND
	s_and_b32 s10, s1, -4
	s_and_b32 s9, s0, 0xffff
	s_mov_b32 s11, 0x20000
	v_perm_b32 v7, v9, v7, s7
	buffer_store_dwordx4 v[4:7], v1, s[8:11], 0 offen
	;;#ASMSTART
	s_nop 0
	;;#ASMEND
.LBB761_30:
	s_or_b64 exec, exec, s[14:15]
	s_cmp_lt_i32 s24, 1
	s_cbranch_scc1 .LBB761_17
.LBB761_31:
	s_load_dword s0, s[4:5], 0x94
	s_waitcnt lgkmcnt(0)
	s_cmp_lg_u32 s0, 1
	s_cbranch_scc1 .LBB761_17
; %bb.32:
	s_lshl_b32 s0, s24, 1
	s_add_i32 s0, s0, 2
	v_cmp_gt_u32_e32 vcc, s24, v1
	s_and_b32 s30, s0, -4
	v_mov_b32_e32 v18, 0
	v_lshlrev_b32_e32 v1, 5, v0
	v_mov_b32_e32 v14, 0
	v_mov_b32_e32 v15, 0
	;; [unrolled: 1-line block ×16, first 2 shown]
	s_barrier
	s_and_saveexec_b64 s[0:1], vcc
	s_cbranch_execz .LBB761_34
; %bb.33:
	s_mul_hi_i32 s5, s26, s6
	s_mul_i32 s4, s26, s6
	s_and_b32 s29, s29, 0xffff
	s_lshl_b64 s[4:5], s[4:5], 1
	s_add_u32 s8, s34, s4
	s_mov_b32 s31, 0x20000
	s_addc_u32 s4, s35, s5
	s_and_b32 s9, s4, 0xffff
	s_mov_b32 s10, s30
	s_mov_b32 s11, s31
	buffer_load_dwordx4 v[14:17], v1, s[8:11], 0 offen
	buffer_load_dwordx4 v[10:13], v1, s[8:11], 16 offen
	;; [unrolled: 1-line block ×4, first 2 shown]
.LBB761_34:
	s_or_b64 exec, exec, s[0:1]
	v_mov_b32_e32 v19, 0
	v_mov_b32_e32 v32, 0
	;; [unrolled: 1-line block ×15, first 2 shown]
	s_and_saveexec_b64 s[0:1], vcc
	s_cbranch_execz .LBB761_36
; %bb.35:
	s_waitcnt vmcnt(3)
	v_cvt_f32_f16_sdwa v19, v14 dst_sel:DWORD dst_unused:UNUSED_PAD src0_sel:WORD_1
	v_cvt_f32_f16_e32 v18, v14
	v_cvt_f32_f16_sdwa v33, v15 dst_sel:DWORD dst_unused:UNUSED_PAD src0_sel:WORD_1
	v_cvt_f32_f16_e32 v32, v15
	;; [unrolled: 2-line block ×4, first 2 shown]
	s_waitcnt vmcnt(2)
	v_cvt_f32_f16_sdwa v27, v10 dst_sel:DWORD dst_unused:UNUSED_PAD src0_sel:WORD_1
	v_cvt_f32_f16_e32 v26, v10
	v_cvt_f32_f16_sdwa v25, v11 dst_sel:DWORD dst_unused:UNUSED_PAD src0_sel:WORD_1
	v_cvt_f32_f16_e32 v24, v11
	;; [unrolled: 2-line block ×4, first 2 shown]
.LBB761_36:
	s_or_b64 exec, exec, s[0:1]
	s_waitcnt vmcnt(2)
	v_mul_f32_e32 v10, v19, v19
	v_fmac_f32_e32 v10, v18, v18
	v_fmac_f32_e32 v10, v32, v32
	;; [unrolled: 1-line block ×15, first 2 shown]
	s_nop 1
	v_mov_b32_dpp v11, v10 quad_perm:[1,0,3,2] row_mask:0xf bank_mask:0xf
	v_add_f32_e32 v10, v10, v11
	s_nop 1
	v_mov_b32_dpp v11, v10 quad_perm:[2,3,0,1] row_mask:0xf bank_mask:0xf
	v_add_f32_e32 v10, v10, v11
	s_nop 1
	v_mov_b32_dpp v11, v10 row_half_mirror row_mask:0xf bank_mask:0xf
	v_add_f32_e32 v10, v10, v11
	s_nop 1
	v_mov_b32_dpp v11, v10 row_mirror row_mask:0xf bank_mask:0xf
	v_add_f32_e32 v10, v10, v11
	s_nop 1
	v_mov_b32_dpp v11, v10 row_bcast:15 row_mask:0xf bank_mask:0xf
	v_add_f32_e32 v10, v10, v11
	s_nop 1
	v_mov_b32_dpp v11, v10 row_bcast:31 row_mask:0xf bank_mask:0xf
	s_and_saveexec_b64 s[0:1], s[2:3]
	s_cbranch_execz .LBB761_38
; %bb.37:
	v_lshrrev_b32_e32 v0, 4, v0
	v_add_f32_e32 v10, v10, v11
	v_and_b32_e32 v0, 60, v0
	ds_write_b32 v0, v10
.LBB761_38:
	s_or_b64 exec, exec, s[0:1]
	s_waitcnt lgkmcnt(0)
	s_barrier
	ds_read_b32 v0, v36
	s_waitcnt lgkmcnt(0)
	s_nop 0
	v_mov_b32_dpp v10, v0 quad_perm:[1,0,3,2] row_mask:0xf bank_mask:0xf
	v_add_f32_e32 v0, v0, v10
	s_nop 1
	v_mov_b32_dpp v10, v0 quad_perm:[2,3,0,1] row_mask:0xf bank_mask:0xf
	s_and_saveexec_b64 s[0:1], vcc
	s_cbranch_execz .LBB761_17
; %bb.39:
	v_cvt_f32_u32_e32 v11, s24
	v_add_f32_e32 v0, v0, v10
	s_mov_b32 s31, 0x20000
	v_div_scale_f32 v10, s[0:1], v11, v11, v0
	v_rcp_f32_e32 v12, v10
	v_div_scale_f32 v13, vcc, v0, v11, v0
	s_mov_b32 s0, 0x800000
	v_fma_f32 v14, -v10, v12, 1.0
	v_fmac_f32_e32 v12, v14, v12
	v_mul_f32_e32 v14, v13, v12
	v_fma_f32 v15, -v10, v14, v13
	v_fmac_f32_e32 v14, v15, v12
	v_fma_f32 v10, -v10, v14, v13
	v_div_fmas_f32 v10, v10, v12, v14
	v_div_fixup_f32 v0, v10, v11, v0
	v_add_f32_e32 v0, s21, v0
	v_mul_f32_e32 v10, 0x4b800000, v0
	v_cmp_gt_f32_e32 vcc, s0, v0
	v_cndmask_b32_e32 v0, v0, v10, vcc
	v_rsq_f32_e32 v0, v0
	s_mul_hi_i32 s1, s16, s6
	s_mul_i32 s0, s16, s6
	s_lshl_b64 s[0:1], s[0:1], 1
	v_mul_f32_e32 v10, 0x45800000, v0
	v_cndmask_b32_e32 v10, v0, v10, vcc
	v_mov_b32_e32 v11, v10
	;;#ASMSTART
	v_pk_mul_f32 v[12:13], v[18:19], v[10:11]
	;;#ASMEND
	;;#ASMSTART
	v_pk_mul_f32 v[14:15], v[32:33], v[10:11]
	;;#ASMEND
	;; [unrolled: 3-line block ×4, first 2 shown]
	s_waitcnt vmcnt(1)
	v_cvt_f32_f16_sdwa v29, v6 dst_sel:DWORD dst_unused:UNUSED_PAD src0_sel:WORD_1
	v_cvt_f32_f16_e32 v28, v6
	v_cvt_f32_f16_sdwa v31, v7 dst_sel:DWORD dst_unused:UNUSED_PAD src0_sel:WORD_1
	v_cvt_f32_f16_e32 v30, v7
	;;#ASMSTART
	v_pk_mul_f32 v[26:27], v[26:27], v[10:11]
	;;#ASMEND
	;;#ASMSTART
	v_pk_mul_f32 v[24:25], v[24:25], v[10:11]
	;;#ASMEND
	;; [unrolled: 3-line block ×4, first 2 shown]
	v_cvt_f32_f16_sdwa v21, v8 dst_sel:DWORD dst_unused:UNUSED_PAD src0_sel:WORD_1
	v_cvt_f32_f16_e32 v20, v8
	v_pk_add_f32 v[10:11], v[28:29], 1.0 op_sel_hi:[1,0]
	;;#ASMSTART
	v_pk_mul_f32 v[10:11], v[12:13], v[10:11]
	;;#ASMEND
	v_pk_add_f32 v[12:13], v[30:31], 1.0 op_sel_hi:[1,0]
	v_cvt_f32_f16_sdwa v29, v9 dst_sel:DWORD dst_unused:UNUSED_PAD src0_sel:WORD_1
	v_cvt_f32_f16_e32 v28, v9
	;;#ASMSTART
	v_pk_mul_f32 v[8:9], v[14:15], v[12:13]
	;;#ASMEND
	v_pk_add_f32 v[12:13], v[20:21], 1.0 op_sel_hi:[1,0]
	;;#ASMSTART
	v_pk_mul_f32 v[12:13], v[16:17], v[12:13]
	;;#ASMEND
	s_waitcnt vmcnt(0)
	v_cvt_f32_f16_sdwa v17, v2 dst_sel:DWORD dst_unused:UNUSED_PAD src0_sel:WORD_1
	v_cvt_f32_f16_e32 v16, v2
	v_cvt_f32_f16_sdwa v21, v3 dst_sel:DWORD dst_unused:UNUSED_PAD src0_sel:WORD_1
	v_cvt_f32_f16_e32 v20, v3
	v_pk_add_f32 v[14:15], v[28:29], 1.0 op_sel_hi:[1,0]
	;;#ASMSTART
	v_pk_mul_f32 v[2:3], v[18:19], v[14:15]
	;;#ASMEND
	v_cvt_f32_f16_sdwa v19, v4 dst_sel:DWORD dst_unused:UNUSED_PAD src0_sel:WORD_1
	v_cvt_f32_f16_e32 v18, v4
	v_pk_add_f32 v[14:15], v[16:17], 1.0 op_sel_hi:[1,0]
	v_pk_add_f32 v[16:17], v[20:21], 1.0 op_sel_hi:[1,0]
	v_cvt_f32_f16_sdwa v21, v5 dst_sel:DWORD dst_unused:UNUSED_PAD src0_sel:WORD_1
	v_cvt_f32_f16_e32 v20, v5
	v_pk_add_f32 v[4:5], v[18:19], 1.0 op_sel_hi:[1,0]
	;;#ASMSTART
	v_pk_mul_f32 v[14:15], v[26:27], v[14:15]
	;;#ASMEND
	;;#ASMSTART
	v_pk_mul_f32 v[16:17], v[24:25], v[16:17]
	;;#ASMEND
	;; [unrolled: 3-line block ×3, first 2 shown]
	v_pk_add_f32 v[4:5], v[20:21], 1.0 op_sel_hi:[1,0]
	;;#ASMSTART
	v_pk_mul_f32 v[6:7], v[6:7], v[4:5]
	;;#ASMEND
	v_cvt_f16_f32_e32 v0, v10
	v_cvt_f16_f32_e32 v4, v11
	;; [unrolled: 1-line block ×8, first 2 shown]
	s_add_u32 s28, s18, s0
	s_addc_u32 s0, s19, s1
	s_and_b32 s29, s0, 0xffff
	v_pack_b32_f16 v2, v0, v4
	v_pack_b32_f16 v3, v5, v8
	;; [unrolled: 1-line block ×4, first 2 shown]
	buffer_store_dwordx4 v[2:5], v1, s[28:31], 0 offen
	v_cvt_f16_f32_e32 v0, v14
	v_cvt_f16_f32_e32 v2, v15
	;; [unrolled: 1-line block ×8, first 2 shown]
	v_pack_b32_f16 v2, v0, v2
	v_pack_b32_f16 v3, v3, v4
	;; [unrolled: 1-line block ×4, first 2 shown]
	;;#ASMSTART
	s_nop 0
	;;#ASMEND
	buffer_store_dwordx4 v[2:5], v1, s[28:31], 16 offen
	;;#ASMSTART
	s_nop 0
	;;#ASMEND
	s_endpgm
	.section	.rodata,"a",@progbits
	.p2align	6, 0x0
	.amdhsa_kernel _ZN5aiter35fused_qk_rmsnorm_group_quant_kernelIDF16_DB8_Li256ELi16ELi8ELb1ELb1ELb1ELb0ELb0ELb0EEEvPT0_PvPT_S6_S6_PKS5_S8_S8_S8_S8_ffiiiiiiiiiiiii
		.amdhsa_group_segment_fixed_size 32
		.amdhsa_private_segment_fixed_size 0
		.amdhsa_kernarg_size 400
		.amdhsa_user_sgpr_count 6
		.amdhsa_user_sgpr_private_segment_buffer 1
		.amdhsa_user_sgpr_dispatch_ptr 0
		.amdhsa_user_sgpr_queue_ptr 0
		.amdhsa_user_sgpr_kernarg_segment_ptr 1
		.amdhsa_user_sgpr_dispatch_id 0
		.amdhsa_user_sgpr_flat_scratch_init 0
		.amdhsa_user_sgpr_kernarg_preload_length 0
		.amdhsa_user_sgpr_kernarg_preload_offset 0
		.amdhsa_user_sgpr_private_segment_size 0
		.amdhsa_uses_dynamic_stack 0
		.amdhsa_system_sgpr_private_segment_wavefront_offset 0
		.amdhsa_system_sgpr_workgroup_id_x 1
		.amdhsa_system_sgpr_workgroup_id_y 1
		.amdhsa_system_sgpr_workgroup_id_z 0
		.amdhsa_system_sgpr_workgroup_info 0
		.amdhsa_system_vgpr_workitem_id 0
		.amdhsa_next_free_vgpr 90
		.amdhsa_next_free_sgpr 44
		.amdhsa_accum_offset 92
		.amdhsa_reserve_vcc 1
		.amdhsa_reserve_flat_scratch 0
		.amdhsa_float_round_mode_32 0
		.amdhsa_float_round_mode_16_64 0
		.amdhsa_float_denorm_mode_32 3
		.amdhsa_float_denorm_mode_16_64 3
		.amdhsa_dx10_clamp 1
		.amdhsa_ieee_mode 1
		.amdhsa_fp16_overflow 0
		.amdhsa_tg_split 0
		.amdhsa_exception_fp_ieee_invalid_op 0
		.amdhsa_exception_fp_denorm_src 0
		.amdhsa_exception_fp_ieee_div_zero 0
		.amdhsa_exception_fp_ieee_overflow 0
		.amdhsa_exception_fp_ieee_underflow 0
		.amdhsa_exception_fp_ieee_inexact 0
		.amdhsa_exception_int_div_zero 0
	.end_amdhsa_kernel
	.section	.text._ZN5aiter35fused_qk_rmsnorm_group_quant_kernelIDF16_DB8_Li256ELi16ELi8ELb1ELb1ELb1ELb0ELb0ELb0EEEvPT0_PvPT_S6_S6_PKS5_S8_S8_S8_S8_ffiiiiiiiiiiiii,"axG",@progbits,_ZN5aiter35fused_qk_rmsnorm_group_quant_kernelIDF16_DB8_Li256ELi16ELi8ELb1ELb1ELb1ELb0ELb0ELb0EEEvPT0_PvPT_S6_S6_PKS5_S8_S8_S8_S8_ffiiiiiiiiiiiii,comdat
.Lfunc_end761:
	.size	_ZN5aiter35fused_qk_rmsnorm_group_quant_kernelIDF16_DB8_Li256ELi16ELi8ELb1ELb1ELb1ELb0ELb0ELb0EEEvPT0_PvPT_S6_S6_PKS5_S8_S8_S8_S8_ffiiiiiiiiiiiii, .Lfunc_end761-_ZN5aiter35fused_qk_rmsnorm_group_quant_kernelIDF16_DB8_Li256ELi16ELi8ELb1ELb1ELb1ELb0ELb0ELb0EEEvPT0_PvPT_S6_S6_PKS5_S8_S8_S8_S8_ffiiiiiiiiiiiii
                                        ; -- End function
	.section	.AMDGPU.csdata,"",@progbits
; Kernel info:
; codeLenInByte = 4400
; NumSgprs: 48
; NumVgprs: 90
; NumAgprs: 0
; TotalNumVgprs: 90
; ScratchSize: 0
; MemoryBound: 0
; FloatMode: 240
; IeeeMode: 1
; LDSByteSize: 32 bytes/workgroup (compile time only)
; SGPRBlocks: 5
; VGPRBlocks: 11
; NumSGPRsForWavesPerEU: 48
; NumVGPRsForWavesPerEU: 90
; AccumOffset: 92
; Occupancy: 5
; WaveLimiterHint : 0
; COMPUTE_PGM_RSRC2:SCRATCH_EN: 0
; COMPUTE_PGM_RSRC2:USER_SGPR: 6
; COMPUTE_PGM_RSRC2:TRAP_HANDLER: 0
; COMPUTE_PGM_RSRC2:TGID_X_EN: 1
; COMPUTE_PGM_RSRC2:TGID_Y_EN: 1
; COMPUTE_PGM_RSRC2:TGID_Z_EN: 0
; COMPUTE_PGM_RSRC2:TIDIG_COMP_CNT: 0
; COMPUTE_PGM_RSRC3_GFX90A:ACCUM_OFFSET: 22
; COMPUTE_PGM_RSRC3_GFX90A:TG_SPLIT: 0
	.section	.text._ZN5aiter35fused_qk_rmsnorm_group_quant_kernelItDB8_Li256ELi16ELi8ELb1ELb1ELb1ELb0ELb0ELb0EEEvPT0_PvPT_S6_S6_PKS5_S8_S8_S8_S8_ffiiiiiiiiiiiii,"axG",@progbits,_ZN5aiter35fused_qk_rmsnorm_group_quant_kernelItDB8_Li256ELi16ELi8ELb1ELb1ELb1ELb0ELb0ELb0EEEvPT0_PvPT_S6_S6_PKS5_S8_S8_S8_S8_ffiiiiiiiiiiiii,comdat
	.protected	_ZN5aiter35fused_qk_rmsnorm_group_quant_kernelItDB8_Li256ELi16ELi8ELb1ELb1ELb1ELb0ELb0ELb0EEEvPT0_PvPT_S6_S6_PKS5_S8_S8_S8_S8_ffiiiiiiiiiiiii ; -- Begin function _ZN5aiter35fused_qk_rmsnorm_group_quant_kernelItDB8_Li256ELi16ELi8ELb1ELb1ELb1ELb0ELb0ELb0EEEvPT0_PvPT_S6_S6_PKS5_S8_S8_S8_S8_ffiiiiiiiiiiiii
	.globl	_ZN5aiter35fused_qk_rmsnorm_group_quant_kernelItDB8_Li256ELi16ELi8ELb1ELb1ELb1ELb0ELb0ELb0EEEvPT0_PvPT_S6_S6_PKS5_S8_S8_S8_S8_ffiiiiiiiiiiiii
	.p2align	8
	.type	_ZN5aiter35fused_qk_rmsnorm_group_quant_kernelItDB8_Li256ELi16ELi8ELb1ELb1ELb1ELb0ELb0ELb0EEEvPT0_PvPT_S6_S6_PKS5_S8_S8_S8_S8_ffiiiiiiiiiiiii,@function
_ZN5aiter35fused_qk_rmsnorm_group_quant_kernelItDB8_Li256ELi16ELi8ELb1ELb1ELb1ELb0ELb0ELb0EEEvPT0_PvPT_S6_S6_PKS5_S8_S8_S8_S8_ffiiiiiiiiiiiii: ; @_ZN5aiter35fused_qk_rmsnorm_group_quant_kernelItDB8_Li256ELi16ELi8ELb1ELb1ELb1ELb0ELb0ELb0EEEvPT0_PvPT_S6_S6_PKS5_S8_S8_S8_S8_ffiiiiiiiiiiiii
; %bb.0:
	s_load_dwordx8 s[20:27], s[4:5], 0x50
	s_waitcnt lgkmcnt(0)
	s_cmp_ge_i32 s6, s22
	s_cbranch_scc1 .LBB762_17
; %bb.1:
	s_cmp_lg_u32 s7, 0
	s_cselect_b64 s[10:11], -1, 0
	s_cmp_eq_u32 s7, 0
	s_cselect_b64 s[8:9], -1, 0
	s_and_b64 s[0:1], s[8:9], exec
	s_load_dwordx2 s[28:29], s[4:5], 0x48
	s_load_dwordx2 s[34:35], s[4:5], 0x30
	s_load_dwordx8 s[12:19], s[4:5], 0x70
	s_cselect_b32 s7, s23, s24
	s_add_i32 s0, s7, 1
	s_lshr_b32 s1, s0, 31
	s_add_i32 s0, s0, s1
	s_lshl_b32 s0, s0, 1
	v_lshlrev_b32_e32 v1, 4, v0
	s_and_b32 s38, s0, -4
	v_cmp_gt_i32_e64 s[0:1], s7, v1
	v_mov_b32_e32 v74, 0
	v_mov_b32_e32 v75, 0
	;; [unrolled: 1-line block ×16, first 2 shown]
	s_and_saveexec_b64 s[2:3], s[0:1]
	s_cbranch_execz .LBB762_3
; %bb.2:
	s_waitcnt lgkmcnt(0)
	s_load_dwordx2 s[18:19], s[4:5], 0x28
	s_load_dwordx2 s[30:31], s[4:5], 0x40
	s_and_b64 s[36:37], s[8:9], exec
	s_cselect_b32 s22, s25, s26
	s_mov_b32 s39, 0x20000
	s_waitcnt lgkmcnt(0)
	s_cselect_b32 s25, s19, s35
	s_cselect_b32 s33, s18, s34
	s_mul_hi_i32 s19, s22, s6
	s_mul_i32 s18, s22, s6
	s_lshl_b64 s[18:19], s[18:19], 1
	s_add_u32 s40, s33, s18
	s_addc_u32 s22, s25, s19
	s_and_b64 s[18:19], s[8:9], exec
	s_cselect_b32 s36, s30, s28
	s_cselect_b32 s18, s31, s29
	s_and_b32 s41, s22, 0xffff
	s_mov_b32 s42, s38
	s_mov_b32 s43, s39
	v_lshlrev_b32_e32 v2, 5, v0
	s_and_b32 s37, s18, 0xffff
	buffer_load_dwordx4 v[78:81], v2, s[40:43], 0 offen
	buffer_load_dwordx4 v[82:85], v2, s[40:43], 16 offen
	;; [unrolled: 1-line block ×4, first 2 shown]
.LBB762_3:
	s_or_b64 exec, exec, s[2:3]
	s_and_b64 vcc, exec, s[10:11]
	s_cbranch_vccz .LBB762_7
; %bb.4:
	v_mov_b32_e32 v87, 0
	v_mov_b32_e32 v86, 0
	;; [unrolled: 1-line block ×16, first 2 shown]
	s_and_saveexec_b64 s[2:3], s[0:1]
	s_cbranch_execz .LBB762_6
; %bb.5:
	s_waitcnt vmcnt(3)
	v_cvt_f32_u32_sdwa v52, v78 dst_sel:DWORD dst_unused:UNUSED_PAD src0_sel:WORD_0
	v_cvt_f32_u32_sdwa v53, v78 dst_sel:DWORD dst_unused:UNUSED_PAD src0_sel:WORD_1
	v_cvt_f32_u32_sdwa v34, v79 dst_sel:DWORD dst_unused:UNUSED_PAD src0_sel:WORD_0
	v_cvt_f32_u32_sdwa v35, v79 dst_sel:DWORD dst_unused:UNUSED_PAD src0_sel:WORD_1
	;; [unrolled: 2-line block ×4, first 2 shown]
	s_waitcnt vmcnt(2)
	v_cvt_f32_u32_sdwa v44, v82 dst_sel:DWORD dst_unused:UNUSED_PAD src0_sel:WORD_0
	v_cvt_f32_u32_sdwa v45, v82 dst_sel:DWORD dst_unused:UNUSED_PAD src0_sel:WORD_1
	v_cvt_f32_u32_sdwa v18, v83 dst_sel:DWORD dst_unused:UNUSED_PAD src0_sel:WORD_0
	v_cvt_f32_u32_sdwa v19, v83 dst_sel:DWORD dst_unused:UNUSED_PAD src0_sel:WORD_1
	;; [unrolled: 2-line block ×4, first 2 shown]
.LBB762_6:
	s_or_b64 exec, exec, s[2:3]
	s_cbranch_execz .LBB762_8
	s_branch .LBB762_11
.LBB762_7:
                                        ; implicit-def: $vgpr32_vgpr33_vgpr34_vgpr35_vgpr36_vgpr37_vgpr38_vgpr39_vgpr40_vgpr41_vgpr42_vgpr43_vgpr44_vgpr45_vgpr46_vgpr47
                                        ; implicit-def: $vgpr18_vgpr19_vgpr20_vgpr21_vgpr22_vgpr23_vgpr24_vgpr25_vgpr26_vgpr27_vgpr28_vgpr29_vgpr30_vgpr31_vgpr32_vgpr33
                                        ; implicit-def: $vgpr52_vgpr53_vgpr54_vgpr55_vgpr56_vgpr57_vgpr58_vgpr59_vgpr60_vgpr61_vgpr62_vgpr63_vgpr64_vgpr65_vgpr66_vgpr67
                                        ; implicit-def: $vgpr87
                                        ; implicit-def: $vgpr54_vgpr55_vgpr56_vgpr57_vgpr58_vgpr59_vgpr60_vgpr61_vgpr62_vgpr63_vgpr64_vgpr65_vgpr66_vgpr67_vgpr68_vgpr69
                                        ; implicit-def: $vgpr8_vgpr9_vgpr10_vgpr11_vgpr12_vgpr13_vgpr14_vgpr15_vgpr16_vgpr17_vgpr18_vgpr19_vgpr20_vgpr21_vgpr22_vgpr23
                                        ; implicit-def: $vgpr36_vgpr37_vgpr38_vgpr39_vgpr40_vgpr41_vgpr42_vgpr43_vgpr44_vgpr45_vgpr46_vgpr47_vgpr48_vgpr49_vgpr50_vgpr51
                                        ; implicit-def: $vgpr2_vgpr3_vgpr4_vgpr5_vgpr6_vgpr7_vgpr8_vgpr9_vgpr10_vgpr11_vgpr12_vgpr13_vgpr14_vgpr15_vgpr16_vgpr17
.LBB762_8:
	v_mov_b32_e32 v87, 0
	v_mov_b32_e32 v86, 0
	;; [unrolled: 1-line block ×16, first 2 shown]
	s_and_saveexec_b64 s[2:3], s[0:1]
	s_cbranch_execz .LBB762_10
; %bb.9:
	s_waitcnt lgkmcnt(0)
	s_load_dwordx2 s[18:19], s[4:5], 0x38
	s_mul_hi_i32 s31, s27, s6
	s_mul_i32 s30, s27, s6
	s_lshl_b64 s[30:31], s[30:31], 1
	s_mov_b32 s39, 0x20000
	s_waitcnt lgkmcnt(0)
	s_add_u32 s36, s18, s30
	s_addc_u32 s18, s19, s31
	s_and_b32 s37, s18, 0xffff
	v_lshlrev_b32_e32 v38, 5, v0
	buffer_load_dwordx4 v[4:7], v38, s[36:39], 16 offen
	buffer_load_dwordx4 v[8:11], v38, s[36:39], 0 offen
	s_load_dwordx2 s[18:19], s[4:5], 0x20
	s_waitcnt vmcnt(5)
	v_cvt_f32_u32_sdwa v19, v78 dst_sel:DWORD dst_unused:UNUSED_PAD src0_sel:WORD_1
	v_cvt_f32_u32_sdwa v18, v78 dst_sel:DWORD dst_unused:UNUSED_PAD src0_sel:WORD_0
	v_cvt_f32_u32_sdwa v21, v79 dst_sel:DWORD dst_unused:UNUSED_PAD src0_sel:WORD_1
	v_cvt_f32_u32_sdwa v20, v79 dst_sel:DWORD dst_unused:UNUSED_PAD src0_sel:WORD_0
	;; [unrolled: 2-line block ×4, first 2 shown]
	s_waitcnt vmcnt(4)
	v_cvt_f32_u32_sdwa v3, v82 dst_sel:DWORD dst_unused:UNUSED_PAD src0_sel:WORD_1
	v_cvt_f32_u32_sdwa v2, v82 dst_sel:DWORD dst_unused:UNUSED_PAD src0_sel:WORD_0
	v_cvt_f32_u32_sdwa v13, v83 dst_sel:DWORD dst_unused:UNUSED_PAD src0_sel:WORD_1
	v_cvt_f32_u32_sdwa v12, v83 dst_sel:DWORD dst_unused:UNUSED_PAD src0_sel:WORD_0
	v_cvt_f32_u32_sdwa v15, v84 dst_sel:DWORD dst_unused:UNUSED_PAD src0_sel:WORD_1
	v_cvt_f32_u32_sdwa v14, v84 dst_sel:DWORD dst_unused:UNUSED_PAD src0_sel:WORD_0
	v_cvt_f32_u32_sdwa v16, v85 dst_sel:DWORD dst_unused:UNUSED_PAD src0_sel:WORD_0
	v_cvt_f32_u32_sdwa v17, v85 dst_sel:DWORD dst_unused:UNUSED_PAD src0_sel:WORD_1
	s_mul_hi_i32 s31, s17, s6
	s_mul_i32 s30, s17, s6
	s_lshl_b64 s[30:31], s[30:31], 1
	s_waitcnt lgkmcnt(0)
	s_add_u32 s36, s18, s30
	s_mov_b32 s17, 0x7060302
	s_addc_u32 s18, s19, s31
	s_and_b32 s37, s18, 0xffff
	s_waitcnt vmcnt(1)
	v_cvt_f32_u32_sdwa v27, v4 dst_sel:DWORD dst_unused:UNUSED_PAD src0_sel:WORD_1
	v_cvt_f32_u32_sdwa v26, v4 dst_sel:DWORD dst_unused:UNUSED_PAD src0_sel:WORD_0
	v_cvt_f32_u32_sdwa v29, v5 dst_sel:DWORD dst_unused:UNUSED_PAD src0_sel:WORD_1
	v_cvt_f32_u32_sdwa v28, v5 dst_sel:DWORD dst_unused:UNUSED_PAD src0_sel:WORD_0
	;; [unrolled: 2-line block ×3, first 2 shown]
	v_cvt_f32_u32_sdwa v32, v7 dst_sel:DWORD dst_unused:UNUSED_PAD src0_sel:WORD_0
	v_cvt_f32_u32_sdwa v33, v7 dst_sel:DWORD dst_unused:UNUSED_PAD src0_sel:WORD_1
	s_waitcnt vmcnt(0)
	v_cvt_f32_u32_sdwa v37, v8 dst_sel:DWORD dst_unused:UNUSED_PAD src0_sel:WORD_1
	v_cvt_f32_u32_sdwa v36, v8 dst_sel:DWORD dst_unused:UNUSED_PAD src0_sel:WORD_0
	v_cvt_f32_u32_sdwa v5, v10 dst_sel:DWORD dst_unused:UNUSED_PAD src0_sel:WORD_1
	v_cvt_f32_u32_sdwa v4, v10 dst_sel:DWORD dst_unused:UNUSED_PAD src0_sel:WORD_0
	v_cvt_f32_u32_sdwa v7, v11 dst_sel:DWORD dst_unused:UNUSED_PAD src0_sel:WORD_1
	v_cvt_f32_u32_sdwa v6, v11 dst_sel:DWORD dst_unused:UNUSED_PAD src0_sel:WORD_0
	v_cvt_f32_u32_sdwa v11, v9 dst_sel:DWORD dst_unused:UNUSED_PAD src0_sel:WORD_1
	v_cvt_f32_u32_sdwa v10, v9 dst_sel:DWORD dst_unused:UNUSED_PAD src0_sel:WORD_0
	v_pk_add_f32 v[58:59], v[22:23], v[4:5]
	v_pk_add_f32 v[24:25], v[24:25], v[6:7]
	;; [unrolled: 1-line block ×4, first 2 shown]
	v_perm_b32 v7, v25, v24, s17
	v_perm_b32 v6, v59, v58, s17
	;; [unrolled: 1-line block ×4, first 2 shown]
	v_pk_add_f32 v[86:87], v[16:17], v[32:33]
	v_pk_add_f32 v[14:15], v[14:15], v[30:31]
	;; [unrolled: 1-line block ×4, first 2 shown]
	buffer_store_dwordx4 v[4:7], v38, s[36:39], 0 offen
	;;#ASMSTART
	s_nop 0
	;;#ASMEND
	s_nop 0
	v_perm_b32 v7, v87, v86, s17
	v_perm_b32 v6, v15, v14, s17
	;; [unrolled: 1-line block ×4, first 2 shown]
	buffer_store_dwordx4 v[4:7], v38, s[36:39], 16 offen
	;;#ASMSTART
	s_nop 0
	;;#ASMEND
.LBB762_10:
	s_or_b64 exec, exec, s[2:3]
.LBB762_11:
	v_mul_f32_e32 v2, v53, v53
	v_fmac_f32_e32 v2, v52, v52
	v_fmac_f32_e32 v2, v34, v34
	;; [unrolled: 1-line block ×15, first 2 shown]
	s_nop 1
	v_mov_b32_dpp v3, v2 quad_perm:[1,0,3,2] row_mask:0xf bank_mask:0xf
	v_add_f32_e32 v2, v2, v3
	s_nop 1
	v_mov_b32_dpp v3, v2 quad_perm:[2,3,0,1] row_mask:0xf bank_mask:0xf
	v_add_f32_e32 v2, v2, v3
	s_nop 1
	v_mov_b32_dpp v3, v2 row_half_mirror row_mask:0xf bank_mask:0xf
	v_add_f32_e32 v2, v2, v3
	s_nop 1
	v_mov_b32_dpp v3, v2 row_mirror row_mask:0xf bank_mask:0xf
	v_add_f32_e32 v2, v2, v3
	s_nop 1
	v_mov_b32_dpp v3, v2 row_bcast:15 row_mask:0xf bank_mask:0xf
	v_add_f32_e32 v2, v2, v3
	v_and_b32_e32 v3, 63, v0
	v_cmp_eq_u32_e64 s[2:3], 63, v3
	s_nop 0
	v_mov_b32_dpp v3, v2 row_bcast:31 row_mask:0xf bank_mask:0xf
	s_waitcnt lgkmcnt(0)
	s_and_saveexec_b64 s[18:19], s[2:3]
	s_cbranch_execz .LBB762_13
; %bb.12:
	v_add_f32_e32 v2, v2, v3
	v_lshrrev_b32_e32 v3, 4, v0
	v_and_b32_e32 v3, 60, v3
	ds_write_b32 v3, v2 offset:16
.LBB762_13:
	s_or_b64 exec, exec, s[18:19]
	v_and_b32_e32 v2, 3, v0
	v_lshlrev_b32_e32 v36, 2, v2
	s_waitcnt lgkmcnt(0)
	s_barrier
	ds_read_b32 v2, v36 offset:16
	s_load_dwordx2 s[18:19], s[4:5], 0x18
	s_waitcnt lgkmcnt(0)
	v_mov_b32_dpp v3, v2 quad_perm:[1,0,3,2] row_mask:0xf bank_mask:0xf
	v_add_f32_e32 v2, v2, v3
	s_nop 1
	v_mov_b32_dpp v3, v2 quad_perm:[2,3,0,1] row_mask:0xf bank_mask:0xf
	s_and_saveexec_b64 s[30:31], s[0:1]
	s_cbranch_execnz .LBB762_18
; %bb.14:
	s_or_b64 exec, exec, s[30:31]
	s_mov_b64 s[8:9], -1
	s_and_b64 vcc, exec, s[10:11]
	s_cbranch_vccnz .LBB762_19
.LBB762_15:
	s_andn2_b64 vcc, exec, s[8:9]
	s_cbranch_vccz .LBB762_22
.LBB762_16:
	s_cmp_lt_i32 s24, 1
	s_cbranch_scc0 .LBB762_31
.LBB762_17:
	s_endpgm
.LBB762_18:
	v_add_f32_e32 v2, v2, v3
	v_cvt_f32_u32_e32 v3, s7
	s_mov_b32 s7, 0x800000
	s_waitcnt vmcnt(1)
	v_cvt_f32_u32_sdwa v17, v74 dst_sel:DWORD dst_unused:UNUSED_PAD src0_sel:WORD_1
	v_cvt_f32_u32_sdwa v16, v74 dst_sel:DWORD dst_unused:UNUSED_PAD src0_sel:WORD_0
	v_div_scale_f32 v4, s[36:37], v3, v3, v2
	v_rcp_f32_e32 v5, v4
	v_pk_add_f32 v[16:17], v[16:17], 1.0 op_sel_hi:[1,0]
	v_cvt_f32_u32_sdwa v21, v77 dst_sel:DWORD dst_unused:UNUSED_PAD src0_sel:WORD_1
	v_cvt_f32_u32_sdwa v20, v77 dst_sel:DWORD dst_unused:UNUSED_PAD src0_sel:WORD_0
	v_fma_f32 v6, -v4, v5, 1.0
	v_fmac_f32_e32 v5, v6, v5
	v_div_scale_f32 v6, vcc, v2, v3, v2
	v_mul_f32_e32 v7, v6, v5
	v_fma_f32 v8, -v4, v7, v6
	v_fmac_f32_e32 v7, v8, v5
	v_fma_f32 v4, -v4, v7, v6
	v_div_fmas_f32 v4, v4, v5, v7
	v_div_fixup_f32 v2, v4, v3, v2
	v_mov_b32_e32 v3, s21
	v_mov_b32_e32 v4, s20
	v_cndmask_b32_e64 v3, v3, v4, s[8:9]
	v_add_f32_e32 v2, v3, v2
	v_mul_f32_e32 v3, 0x4b800000, v2
	v_cmp_gt_f32_e32 vcc, s7, v2
	v_cndmask_b32_e32 v2, v2, v3, vcc
	v_rsq_f32_e32 v2, v2
	s_waitcnt vmcnt(0)
	v_cvt_f32_u32_sdwa v23, v72 dst_sel:DWORD dst_unused:UNUSED_PAD src0_sel:WORD_1
	v_cvt_f32_u32_sdwa v22, v72 dst_sel:DWORD dst_unused:UNUSED_PAD src0_sel:WORD_0
	v_mul_f32_e32 v3, 0x45800000, v2
	v_cndmask_b32_e32 v2, v2, v3, vcc
	v_mov_b32_e32 v3, v2
	;;#ASMSTART
	v_pk_mul_f32 v[4:5], v[52:53], v[2:3]
	;;#ASMEND
	;;#ASMSTART
	v_pk_mul_f32 v[6:7], v[34:35], v[2:3]
	;;#ASMEND
	;; [unrolled: 3-line block ×9, first 2 shown]
	v_cvt_f32_u32_sdwa v5, v75 dst_sel:DWORD dst_unused:UNUSED_PAD src0_sel:WORD_1
	v_cvt_f32_u32_sdwa v4, v75 dst_sel:DWORD dst_unused:UNUSED_PAD src0_sel:WORD_0
	v_cvt_f32_u32_sdwa v17, v76 dst_sel:DWORD dst_unused:UNUSED_PAD src0_sel:WORD_1
	v_cvt_f32_u32_sdwa v16, v76 dst_sel:DWORD dst_unused:UNUSED_PAD src0_sel:WORD_0
	v_cvt_f32_u32_sdwa v25, v73 dst_sel:DWORD dst_unused:UNUSED_PAD src0_sel:WORD_1
	v_pk_add_f32 v[4:5], v[4:5], 1.0 op_sel_hi:[1,0]
	;;#ASMSTART
	v_pk_mul_f32 v[34:35], v[6:7], v[4:5]
	;;#ASMEND
	v_pk_add_f32 v[4:5], v[16:17], 1.0 op_sel_hi:[1,0]
	v_pk_add_f32 v[6:7], v[20:21], 1.0 op_sel_hi:[1,0]
	v_cvt_f32_u32_sdwa v17, v70 dst_sel:DWORD dst_unused:UNUSED_PAD src0_sel:WORD_1
	v_cvt_f32_u32_sdwa v16, v70 dst_sel:DWORD dst_unused:UNUSED_PAD src0_sel:WORD_0
	v_cvt_f32_u32_sdwa v21, v71 dst_sel:DWORD dst_unused:UNUSED_PAD src0_sel:WORD_1
	v_cvt_f32_u32_sdwa v20, v71 dst_sel:DWORD dst_unused:UNUSED_PAD src0_sel:WORD_0
	v_cvt_f32_u32_sdwa v24, v73 dst_sel:DWORD dst_unused:UNUSED_PAD src0_sel:WORD_0
	v_pk_add_f32 v[16:17], v[16:17], 1.0 op_sel_hi:[1,0]
	v_pk_add_f32 v[22:23], v[22:23], 1.0 op_sel_hi:[1,0]
	;; [unrolled: 1-line block ×4, first 2 shown]
	;;#ASMSTART
	v_pk_mul_f32 v[58:59], v[8:9], v[4:5]
	;;#ASMEND
	;;#ASMSTART
	v_pk_mul_f32 v[24:25], v[10:11], v[6:7]
	;;#ASMEND
	;; [unrolled: 3-line block ×6, first 2 shown]
	s_or_b64 exec, exec, s[30:31]
	s_mov_b64 s[8:9], -1
	s_and_b64 vcc, exec, s[10:11]
	s_cbranch_vccz .LBB762_15
.LBB762_19:
	s_and_saveexec_b64 s[8:9], s[0:1]
	s_cbranch_execz .LBB762_21
; %bb.20:
	s_mul_hi_i32 s11, s16, s6
	s_mul_i32 s10, s16, s6
	s_lshl_b64 s[10:11], s[10:11], 1
	s_add_u32 s36, s18, s10
	s_addc_u32 s7, s19, s11
	s_and_b32 s37, s7, 0xffff
	s_mov_b32 s7, 0x7060302
	s_mov_b32 s39, 0x20000
	v_perm_b32 v5, v25, v24, s7
	v_perm_b32 v4, v59, v58, s7
	;; [unrolled: 1-line block ×4, first 2 shown]
	v_lshlrev_b32_e32 v6, 5, v0
	buffer_store_dwordx4 v[2:5], v6, s[36:39], 0 offen
	;;#ASMSTART
	s_nop 0
	;;#ASMEND
	s_nop 0
	v_perm_b32 v5, v87, v86, s7
	v_perm_b32 v4, v15, v14, s7
	;; [unrolled: 1-line block ×4, first 2 shown]
	buffer_store_dwordx4 v[2:5], v6, s[36:39], 16 offen
	;;#ASMSTART
	s_nop 0
	;;#ASMEND
.LBB762_21:
	s_or_b64 exec, exec, s[8:9]
	s_cbranch_execnz .LBB762_16
.LBB762_22:
	v_mov_b32_e32 v2, 0
	s_and_saveexec_b64 s[8:9], s[0:1]
	s_cbranch_execz .LBB762_24
; %bb.23:
	s_load_dwordx2 s[10:11], s[4:5], 0x10
	s_mul_hi_i32 s31, s15, s6
	s_mul_i32 s30, s15, s6
	s_lshl_b64 s[30:31], s[30:31], 1
	s_mov_b32 s39, 0x20000
	s_waitcnt lgkmcnt(0)
	s_add_u32 s36, s10, s30
	s_addc_u32 s7, s11, s31
	s_and_b32 s37, s7, 0xffff
	s_mov_b32 s7, 0x7060302
	v_perm_b32 v5, v25, v24, s7
	v_perm_b32 v4, v59, v58, s7
	;; [unrolled: 1-line block ×4, first 2 shown]
	v_lshlrev_b32_e32 v6, 5, v0
	buffer_store_dwordx4 v[2:5], v6, s[36:39], 0 offen
	;;#ASMSTART
	s_nop 0
	;;#ASMEND
	s_nop 0
	v_perm_b32 v5, v87, v86, s7
	v_perm_b32 v4, v15, v14, s7
	;; [unrolled: 1-line block ×4, first 2 shown]
	buffer_store_dwordx4 v[2:5], v6, s[36:39], 16 offen
	;;#ASMSTART
	s_nop 0
	;;#ASMEND
	s_nop 0
	v_mov_b32_e32 v2, 0x2edbe6ff
.LBB762_24:
	s_or_b64 exec, exec, s[8:9]
	s_and_saveexec_b64 s[8:9], s[0:1]
	s_cbranch_execz .LBB762_26
; %bb.25:
	v_and_b32_e32 v3, 0x7fffffff, v52
	v_and_b32_e32 v4, 0x7fffffff, v53
	;;#ASMSTART
	v_max3_f32 v2, v2, v3, v4

	;;#ASMEND
	v_and_b32_e32 v3, 0x7fffffff, v34
	v_and_b32_e32 v4, 0x7fffffff, v35
	;;#ASMSTART
	v_max3_f32 v2, v2, v3, v4

	;;#ASMEND
	;; [unrolled: 6-line block ×8, first 2 shown]
.LBB762_26:
	s_or_b64 exec, exec, s[8:9]
	;;#ASMSTART
	v_max_f32 v3, v2, v2 quad_perm:[1,0,3,2] row_mask:0xf bank_mask:0xf bound_ctrl:1
	;;#ASMEND
	;;#ASMSTART
	v_max_f32 v2, v3, v3 quad_perm:[2,3,0,1] row_mask:0xf bank_mask:0xf bound_ctrl:1
	;;#ASMEND
	;;#ASMSTART
	v_max_f32 v3, v2, v2 row_half_mirror row_mask:0xf bank_mask:0xf bound_ctrl:1
	;;#ASMEND
	v_mul_f32_e32 v2, 0x3b124925, v3
	v_and_b32_e32 v3, 7, v0
	v_cmp_eq_u32_e32 vcc, 0, v3
	v_cmp_gt_i32_e64 s[8:9], s23, v1
	s_and_b64 s[10:11], vcc, s[8:9]
	s_and_saveexec_b64 s[8:9], s[10:11]
	s_cbranch_execz .LBB762_28
; %bb.27:
	s_load_dwordx2 s[10:11], s[4:5], 0x8
	v_lshrrev_b32_e32 v3, 3, v0
	s_mul_hi_i32 s31, s13, s6
	s_mul_i32 s30, s13, s6
	v_mad_i64_i32 v[4:5], s[14:15], s14, v3, 0
	s_lshl_b64 s[14:15], s[30:31], 2
	s_waitcnt lgkmcnt(0)
	s_add_u32 s7, s10, s14
	s_addc_u32 s10, s11, s15
	v_lshlrev_b64 v[4:5], 2, v[4:5]
	v_mov_b32_e32 v3, s10
	v_add_co_u32_e32 v4, vcc, s7, v4
	v_addc_co_u32_e32 v5, vcc, v3, v5, vcc
	global_store_dword v[4:5], v2, off
.LBB762_28:
	s_or_b64 exec, exec, s[8:9]
	;;#ASMSTART
	v_rcp_f32 v2, v2
	;;#ASMEND
	s_and_saveexec_b64 s[14:15], s[0:1]
	s_cbranch_execz .LBB762_30
; %bb.29:
	v_mov_b32_e32 v3, v2
	;;#ASMSTART
	v_pk_mul_f32 v[4:5], v[52:53], v[2:3]
	;;#ASMEND
	v_mov_b32_e32 v10, 0xc3e00000
	v_mov_b32_e32 v11, 0x43e00000
	;;#ASMSTART
	v_med3_f32 v4, v4, v10, v11
v_med3_f32 v5, v5, v10, v11
v_cvt_pk_fp8_f32 v6, v4, v5
	;;#ASMEND
	;;#ASMSTART
	v_pk_mul_f32 v[4:5], v[34:35], v[2:3]
	;;#ASMEND
	;;#ASMSTART
	v_med3_f32 v4, v4, v10, v11
v_med3_f32 v5, v5, v10, v11
v_cvt_pk_fp8_f32 v7, v4, v5
	;;#ASMEND
	;;#ASMSTART
	v_pk_mul_f32 v[4:5], v[58:59], v[2:3]
	;;#ASMEND
	;; [unrolled: 8-line block ×3, first 2 shown]
	;;#ASMSTART
	v_med3_f32 v4, v4, v10, v11
v_med3_f32 v5, v5, v10, v11
v_cvt_pk_fp8_f32 v9, v4, v5
	;;#ASMEND
	s_mov_b32 s0, 0x5040100
	v_perm_b32 v4, v7, v6, s0
	s_mov_b32 s0, 0x1060504
	v_perm_b32 v4, v4, v7, s0
	s_load_dwordx2 s[0:1], s[4:5], 0x0
	s_mov_b32 s7, 0x1000504
	;;#ASMSTART
	v_pk_mul_f32 v[6:7], v[44:45], v[2:3]
	;;#ASMEND
	v_perm_b32 v5, v8, v9, s7
	s_mul_i32 s8, s12, s6
	;;#ASMSTART
	v_med3_f32 v6, v6, v10, v11
v_med3_f32 v7, v7, v10, v11
v_cvt_pk_fp8_f32 v8, v6, v7
	;;#ASMEND
	s_mul_hi_i32 s9, s12, s6
	s_waitcnt lgkmcnt(0)
	s_add_u32 s8, s0, s8
	;;#ASMSTART
	v_pk_mul_f32 v[6:7], v[18:19], v[2:3]
	;;#ASMEND
	s_addc_u32 s0, s1, s9
	s_add_i32 s1, s23, 3
	;;#ASMSTART
	v_med3_f32 v6, v6, v10, v11
v_med3_f32 v7, v7, v10, v11
v_cvt_pk_fp8_f32 v9, v6, v7
	;;#ASMEND
	s_ashr_i32 s9, s1, 31
	v_perm_b32 v6, v8, v9, s7
	;;#ASMSTART
	v_pk_mul_f32 v[8:9], v[14:15], v[2:3]
	;;#ASMEND
	v_mov_b32_e32 v7, v9
	s_lshr_b32 s9, s9, 30
	;;#ASMSTART
	v_med3_f32 v8, v8, v10, v11
v_med3_f32 v7, v7, v10, v11
v_cvt_pk_fp8_f32 v9, v8, v7
	;;#ASMEND
	;;#ASMSTART
	v_pk_mul_f32 v[2:3], v[86:87], v[2:3]
	;;#ASMEND
	s_add_i32 s1, s1, s9
	;;#ASMSTART
	v_med3_f32 v2, v2, v10, v11
v_med3_f32 v3, v3, v10, v11
v_cvt_pk_fp8_f32 v7, v2, v3
	;;#ASMEND
	s_and_b32 s10, s1, -4
	s_and_b32 s9, s0, 0xffff
	s_mov_b32 s11, 0x20000
	v_perm_b32 v7, v9, v7, s7
	buffer_store_dwordx4 v[4:7], v1, s[8:11], 0 offen
	;;#ASMSTART
	s_nop 0
	;;#ASMEND
.LBB762_30:
	s_or_b64 exec, exec, s[14:15]
	s_cmp_lt_i32 s24, 1
	s_cbranch_scc1 .LBB762_17
.LBB762_31:
	s_load_dword s0, s[4:5], 0x94
	s_waitcnt lgkmcnt(0)
	s_cmp_lg_u32 s0, 1
	s_cbranch_scc1 .LBB762_17
; %bb.32:
	s_lshl_b32 s0, s24, 1
	s_add_i32 s0, s0, 2
	v_cmp_gt_u32_e32 vcc, s24, v1
	s_and_b32 s30, s0, -4
	v_mov_b32_e32 v18, 0
	v_lshlrev_b32_e32 v1, 5, v0
	v_mov_b32_e32 v14, 0
	v_mov_b32_e32 v15, 0
	;; [unrolled: 1-line block ×16, first 2 shown]
	s_barrier
	s_and_saveexec_b64 s[0:1], vcc
	s_cbranch_execz .LBB762_34
; %bb.33:
	s_mul_hi_i32 s5, s26, s6
	s_mul_i32 s4, s26, s6
	s_and_b32 s29, s29, 0xffff
	s_lshl_b64 s[4:5], s[4:5], 1
	s_add_u32 s8, s34, s4
	s_mov_b32 s31, 0x20000
	s_addc_u32 s4, s35, s5
	s_and_b32 s9, s4, 0xffff
	s_mov_b32 s10, s30
	s_mov_b32 s11, s31
	buffer_load_dwordx4 v[14:17], v1, s[8:11], 0 offen
	buffer_load_dwordx4 v[10:13], v1, s[8:11], 16 offen
	;; [unrolled: 1-line block ×4, first 2 shown]
.LBB762_34:
	s_or_b64 exec, exec, s[0:1]
	v_mov_b32_e32 v19, 0
	v_mov_b32_e32 v32, 0
	;; [unrolled: 1-line block ×15, first 2 shown]
	s_and_saveexec_b64 s[0:1], vcc
	s_cbranch_execz .LBB762_36
; %bb.35:
	s_waitcnt vmcnt(3)
	v_cvt_f32_u32_sdwa v18, v14 dst_sel:DWORD dst_unused:UNUSED_PAD src0_sel:WORD_0
	v_cvt_f32_u32_sdwa v19, v14 dst_sel:DWORD dst_unused:UNUSED_PAD src0_sel:WORD_1
	v_cvt_f32_u32_sdwa v32, v15 dst_sel:DWORD dst_unused:UNUSED_PAD src0_sel:WORD_0
	v_cvt_f32_u32_sdwa v33, v15 dst_sel:DWORD dst_unused:UNUSED_PAD src0_sel:WORD_1
	;; [unrolled: 2-line block ×4, first 2 shown]
	s_waitcnt vmcnt(2)
	v_cvt_f32_u32_sdwa v26, v10 dst_sel:DWORD dst_unused:UNUSED_PAD src0_sel:WORD_0
	v_cvt_f32_u32_sdwa v27, v10 dst_sel:DWORD dst_unused:UNUSED_PAD src0_sel:WORD_1
	v_cvt_f32_u32_sdwa v24, v11 dst_sel:DWORD dst_unused:UNUSED_PAD src0_sel:WORD_0
	v_cvt_f32_u32_sdwa v25, v11 dst_sel:DWORD dst_unused:UNUSED_PAD src0_sel:WORD_1
	;; [unrolled: 2-line block ×4, first 2 shown]
.LBB762_36:
	s_or_b64 exec, exec, s[0:1]
	s_waitcnt vmcnt(2)
	v_mul_f32_e32 v10, v19, v19
	v_fmac_f32_e32 v10, v18, v18
	v_fmac_f32_e32 v10, v32, v32
	;; [unrolled: 1-line block ×15, first 2 shown]
	s_nop 1
	v_mov_b32_dpp v11, v10 quad_perm:[1,0,3,2] row_mask:0xf bank_mask:0xf
	v_add_f32_e32 v10, v10, v11
	s_nop 1
	v_mov_b32_dpp v11, v10 quad_perm:[2,3,0,1] row_mask:0xf bank_mask:0xf
	v_add_f32_e32 v10, v10, v11
	s_nop 1
	v_mov_b32_dpp v11, v10 row_half_mirror row_mask:0xf bank_mask:0xf
	v_add_f32_e32 v10, v10, v11
	s_nop 1
	v_mov_b32_dpp v11, v10 row_mirror row_mask:0xf bank_mask:0xf
	v_add_f32_e32 v10, v10, v11
	s_nop 1
	v_mov_b32_dpp v11, v10 row_bcast:15 row_mask:0xf bank_mask:0xf
	v_add_f32_e32 v10, v10, v11
	s_nop 1
	v_mov_b32_dpp v11, v10 row_bcast:31 row_mask:0xf bank_mask:0xf
	s_and_saveexec_b64 s[0:1], s[2:3]
	s_cbranch_execz .LBB762_38
; %bb.37:
	v_lshrrev_b32_e32 v0, 4, v0
	v_add_f32_e32 v10, v10, v11
	v_and_b32_e32 v0, 60, v0
	ds_write_b32 v0, v10
.LBB762_38:
	s_or_b64 exec, exec, s[0:1]
	s_waitcnt lgkmcnt(0)
	s_barrier
	ds_read_b32 v0, v36
	s_waitcnt lgkmcnt(0)
	s_nop 0
	v_mov_b32_dpp v10, v0 quad_perm:[1,0,3,2] row_mask:0xf bank_mask:0xf
	v_add_f32_e32 v0, v0, v10
	s_nop 1
	v_mov_b32_dpp v10, v0 quad_perm:[2,3,0,1] row_mask:0xf bank_mask:0xf
	s_and_saveexec_b64 s[0:1], vcc
	s_cbranch_execz .LBB762_17
; %bb.39:
	v_cvt_f32_u32_e32 v11, s24
	v_add_f32_e32 v0, v0, v10
	s_mov_b32 s31, 0x20000
	v_div_scale_f32 v10, s[0:1], v11, v11, v0
	v_rcp_f32_e32 v12, v10
	v_div_scale_f32 v13, vcc, v0, v11, v0
	s_mov_b32 s0, 0x800000
	v_fma_f32 v14, -v10, v12, 1.0
	v_fmac_f32_e32 v12, v14, v12
	v_mul_f32_e32 v14, v13, v12
	v_fma_f32 v15, -v10, v14, v13
	v_fmac_f32_e32 v14, v15, v12
	v_fma_f32 v10, -v10, v14, v13
	v_div_fmas_f32 v10, v10, v12, v14
	v_div_fixup_f32 v0, v10, v11, v0
	v_add_f32_e32 v0, s21, v0
	v_mul_f32_e32 v10, 0x4b800000, v0
	v_cmp_gt_f32_e32 vcc, s0, v0
	v_cndmask_b32_e32 v0, v0, v10, vcc
	v_rsq_f32_e32 v0, v0
	s_mul_hi_i32 s1, s16, s6
	s_mul_i32 s0, s16, s6
	s_lshl_b64 s[0:1], s[0:1], 1
	v_mul_f32_e32 v10, 0x45800000, v0
	v_cndmask_b32_e32 v10, v0, v10, vcc
	v_mov_b32_e32 v11, v10
	;;#ASMSTART
	v_pk_mul_f32 v[12:13], v[18:19], v[10:11]
	;;#ASMEND
	;;#ASMSTART
	v_pk_mul_f32 v[14:15], v[32:33], v[10:11]
	;;#ASMEND
	;; [unrolled: 3-line block ×4, first 2 shown]
	s_waitcnt vmcnt(1)
	v_cvt_f32_u32_sdwa v29, v6 dst_sel:DWORD dst_unused:UNUSED_PAD src0_sel:WORD_1
	v_cvt_f32_u32_sdwa v28, v6 dst_sel:DWORD dst_unused:UNUSED_PAD src0_sel:WORD_0
	v_cvt_f32_u32_sdwa v31, v7 dst_sel:DWORD dst_unused:UNUSED_PAD src0_sel:WORD_1
	v_cvt_f32_u32_sdwa v30, v7 dst_sel:DWORD dst_unused:UNUSED_PAD src0_sel:WORD_0
	;;#ASMSTART
	v_pk_mul_f32 v[26:27], v[26:27], v[10:11]
	;;#ASMEND
	;;#ASMSTART
	v_pk_mul_f32 v[24:25], v[24:25], v[10:11]
	;;#ASMEND
	;; [unrolled: 3-line block ×4, first 2 shown]
	v_cvt_f32_u32_sdwa v21, v8 dst_sel:DWORD dst_unused:UNUSED_PAD src0_sel:WORD_1
	v_cvt_f32_u32_sdwa v20, v8 dst_sel:DWORD dst_unused:UNUSED_PAD src0_sel:WORD_0
	v_pk_add_f32 v[10:11], v[28:29], 1.0 op_sel_hi:[1,0]
	;;#ASMSTART
	v_pk_mul_f32 v[10:11], v[12:13], v[10:11]
	;;#ASMEND
	v_pk_add_f32 v[12:13], v[30:31], 1.0 op_sel_hi:[1,0]
	v_cvt_f32_u32_sdwa v29, v9 dst_sel:DWORD dst_unused:UNUSED_PAD src0_sel:WORD_1
	v_cvt_f32_u32_sdwa v28, v9 dst_sel:DWORD dst_unused:UNUSED_PAD src0_sel:WORD_0
	;;#ASMSTART
	v_pk_mul_f32 v[8:9], v[14:15], v[12:13]
	;;#ASMEND
	v_pk_add_f32 v[12:13], v[20:21], 1.0 op_sel_hi:[1,0]
	;;#ASMSTART
	v_pk_mul_f32 v[12:13], v[16:17], v[12:13]
	;;#ASMEND
	s_waitcnt vmcnt(0)
	v_cvt_f32_u32_sdwa v17, v2 dst_sel:DWORD dst_unused:UNUSED_PAD src0_sel:WORD_1
	v_cvt_f32_u32_sdwa v16, v2 dst_sel:DWORD dst_unused:UNUSED_PAD src0_sel:WORD_0
	v_cvt_f32_u32_sdwa v21, v3 dst_sel:DWORD dst_unused:UNUSED_PAD src0_sel:WORD_1
	v_cvt_f32_u32_sdwa v20, v3 dst_sel:DWORD dst_unused:UNUSED_PAD src0_sel:WORD_0
	v_pk_add_f32 v[14:15], v[28:29], 1.0 op_sel_hi:[1,0]
	;;#ASMSTART
	v_pk_mul_f32 v[14:15], v[18:19], v[14:15]
	;;#ASMEND
	v_pk_add_f32 v[2:3], v[16:17], 1.0 op_sel_hi:[1,0]
	v_cvt_f32_u32_sdwa v19, v4 dst_sel:DWORD dst_unused:UNUSED_PAD src0_sel:WORD_1
	v_cvt_f32_u32_sdwa v18, v4 dst_sel:DWORD dst_unused:UNUSED_PAD src0_sel:WORD_0
	;;#ASMSTART
	v_pk_mul_f32 v[16:17], v[26:27], v[2:3]
	;;#ASMEND
	v_pk_add_f32 v[2:3], v[20:21], 1.0 op_sel_hi:[1,0]
	v_cvt_f32_u32_sdwa v21, v5 dst_sel:DWORD dst_unused:UNUSED_PAD src0_sel:WORD_1
	v_cvt_f32_u32_sdwa v20, v5 dst_sel:DWORD dst_unused:UNUSED_PAD src0_sel:WORD_0
	s_add_u32 s28, s18, s0
	;;#ASMSTART
	v_pk_mul_f32 v[24:25], v[24:25], v[2:3]
	;;#ASMEND
	v_pk_add_f32 v[2:3], v[18:19], 1.0 op_sel_hi:[1,0]
	s_addc_u32 s0, s19, s1
	;;#ASMSTART
	v_pk_mul_f32 v[18:19], v[22:23], v[2:3]
	;;#ASMEND
	v_pk_add_f32 v[2:3], v[20:21], 1.0 op_sel_hi:[1,0]
	s_and_b32 s29, s0, 0xffff
	s_mov_b32 s0, 0x7060302
	;;#ASMSTART
	v_pk_mul_f32 v[6:7], v[6:7], v[2:3]
	;;#ASMEND
	v_perm_b32 v2, v11, v10, s0
	v_perm_b32 v3, v9, v8, s0
	;; [unrolled: 1-line block ×4, first 2 shown]
	buffer_store_dwordx4 v[2:5], v1, s[28:31], 0 offen
	;;#ASMSTART
	s_nop 0
	;;#ASMEND
	s_nop 0
	v_perm_b32 v2, v17, v16, s0
	v_perm_b32 v3, v25, v24, s0
	;; [unrolled: 1-line block ×4, first 2 shown]
	buffer_store_dwordx4 v[2:5], v1, s[28:31], 16 offen
	;;#ASMSTART
	s_nop 0
	;;#ASMEND
	s_endpgm
	.section	.rodata,"a",@progbits
	.p2align	6, 0x0
	.amdhsa_kernel _ZN5aiter35fused_qk_rmsnorm_group_quant_kernelItDB8_Li256ELi16ELi8ELb1ELb1ELb1ELb0ELb0ELb0EEEvPT0_PvPT_S6_S6_PKS5_S8_S8_S8_S8_ffiiiiiiiiiiiii
		.amdhsa_group_segment_fixed_size 32
		.amdhsa_private_segment_fixed_size 0
		.amdhsa_kernarg_size 400
		.amdhsa_user_sgpr_count 6
		.amdhsa_user_sgpr_private_segment_buffer 1
		.amdhsa_user_sgpr_dispatch_ptr 0
		.amdhsa_user_sgpr_queue_ptr 0
		.amdhsa_user_sgpr_kernarg_segment_ptr 1
		.amdhsa_user_sgpr_dispatch_id 0
		.amdhsa_user_sgpr_flat_scratch_init 0
		.amdhsa_user_sgpr_kernarg_preload_length 0
		.amdhsa_user_sgpr_kernarg_preload_offset 0
		.amdhsa_user_sgpr_private_segment_size 0
		.amdhsa_uses_dynamic_stack 0
		.amdhsa_system_sgpr_private_segment_wavefront_offset 0
		.amdhsa_system_sgpr_workgroup_id_x 1
		.amdhsa_system_sgpr_workgroup_id_y 1
		.amdhsa_system_sgpr_workgroup_id_z 0
		.amdhsa_system_sgpr_workgroup_info 0
		.amdhsa_system_vgpr_workitem_id 0
		.amdhsa_next_free_vgpr 88
		.amdhsa_next_free_sgpr 44
		.amdhsa_accum_offset 88
		.amdhsa_reserve_vcc 1
		.amdhsa_reserve_flat_scratch 0
		.amdhsa_float_round_mode_32 0
		.amdhsa_float_round_mode_16_64 0
		.amdhsa_float_denorm_mode_32 3
		.amdhsa_float_denorm_mode_16_64 3
		.amdhsa_dx10_clamp 1
		.amdhsa_ieee_mode 1
		.amdhsa_fp16_overflow 0
		.amdhsa_tg_split 0
		.amdhsa_exception_fp_ieee_invalid_op 0
		.amdhsa_exception_fp_denorm_src 0
		.amdhsa_exception_fp_ieee_div_zero 0
		.amdhsa_exception_fp_ieee_overflow 0
		.amdhsa_exception_fp_ieee_underflow 0
		.amdhsa_exception_fp_ieee_inexact 0
		.amdhsa_exception_int_div_zero 0
	.end_amdhsa_kernel
	.section	.text._ZN5aiter35fused_qk_rmsnorm_group_quant_kernelItDB8_Li256ELi16ELi8ELb1ELb1ELb1ELb0ELb0ELb0EEEvPT0_PvPT_S6_S6_PKS5_S8_S8_S8_S8_ffiiiiiiiiiiiii,"axG",@progbits,_ZN5aiter35fused_qk_rmsnorm_group_quant_kernelItDB8_Li256ELi16ELi8ELb1ELb1ELb1ELb0ELb0ELb0EEEvPT0_PvPT_S6_S6_PKS5_S8_S8_S8_S8_ffiiiiiiiiiiiii,comdat
.Lfunc_end762:
	.size	_ZN5aiter35fused_qk_rmsnorm_group_quant_kernelItDB8_Li256ELi16ELi8ELb1ELb1ELb1ELb0ELb0ELb0EEEvPT0_PvPT_S6_S6_PKS5_S8_S8_S8_S8_ffiiiiiiiiiiiii, .Lfunc_end762-_ZN5aiter35fused_qk_rmsnorm_group_quant_kernelItDB8_Li256ELi16ELi8ELb1ELb1ELb1ELb0ELb0ELb0EEEvPT0_PvPT_S6_S6_PKS5_S8_S8_S8_S8_ffiiiiiiiiiiiii
                                        ; -- End function
	.section	.AMDGPU.csdata,"",@progbits
; Kernel info:
; codeLenInByte = 4384
; NumSgprs: 48
; NumVgprs: 88
; NumAgprs: 0
; TotalNumVgprs: 88
; ScratchSize: 0
; MemoryBound: 0
; FloatMode: 240
; IeeeMode: 1
; LDSByteSize: 32 bytes/workgroup (compile time only)
; SGPRBlocks: 5
; VGPRBlocks: 10
; NumSGPRsForWavesPerEU: 48
; NumVGPRsForWavesPerEU: 88
; AccumOffset: 88
; Occupancy: 5
; WaveLimiterHint : 0
; COMPUTE_PGM_RSRC2:SCRATCH_EN: 0
; COMPUTE_PGM_RSRC2:USER_SGPR: 6
; COMPUTE_PGM_RSRC2:TRAP_HANDLER: 0
; COMPUTE_PGM_RSRC2:TGID_X_EN: 1
; COMPUTE_PGM_RSRC2:TGID_Y_EN: 1
; COMPUTE_PGM_RSRC2:TGID_Z_EN: 0
; COMPUTE_PGM_RSRC2:TIDIG_COMP_CNT: 0
; COMPUTE_PGM_RSRC3_GFX90A:ACCUM_OFFSET: 21
; COMPUTE_PGM_RSRC3_GFX90A:TG_SPLIT: 0
	.section	.text._ZN5aiter35fused_qk_rmsnorm_group_quant_kernelIDF16_N4opus5fp4_tELi256ELi16ELi8ELb1ELb1ELb1ELb0ELb0ELb0EEEvPT0_PvPT_S7_S7_PKS6_S9_S9_S9_S9_ffiiiiiiiiiiiii,"axG",@progbits,_ZN5aiter35fused_qk_rmsnorm_group_quant_kernelIDF16_N4opus5fp4_tELi256ELi16ELi8ELb1ELb1ELb1ELb0ELb0ELb0EEEvPT0_PvPT_S7_S7_PKS6_S9_S9_S9_S9_ffiiiiiiiiiiiii,comdat
	.protected	_ZN5aiter35fused_qk_rmsnorm_group_quant_kernelIDF16_N4opus5fp4_tELi256ELi16ELi8ELb1ELb1ELb1ELb0ELb0ELb0EEEvPT0_PvPT_S7_S7_PKS6_S9_S9_S9_S9_ffiiiiiiiiiiiii ; -- Begin function _ZN5aiter35fused_qk_rmsnorm_group_quant_kernelIDF16_N4opus5fp4_tELi256ELi16ELi8ELb1ELb1ELb1ELb0ELb0ELb0EEEvPT0_PvPT_S7_S7_PKS6_S9_S9_S9_S9_ffiiiiiiiiiiiii
	.globl	_ZN5aiter35fused_qk_rmsnorm_group_quant_kernelIDF16_N4opus5fp4_tELi256ELi16ELi8ELb1ELb1ELb1ELb0ELb0ELb0EEEvPT0_PvPT_S7_S7_PKS6_S9_S9_S9_S9_ffiiiiiiiiiiiii
	.p2align	8
	.type	_ZN5aiter35fused_qk_rmsnorm_group_quant_kernelIDF16_N4opus5fp4_tELi256ELi16ELi8ELb1ELb1ELb1ELb0ELb0ELb0EEEvPT0_PvPT_S7_S7_PKS6_S9_S9_S9_S9_ffiiiiiiiiiiiii,@function
_ZN5aiter35fused_qk_rmsnorm_group_quant_kernelIDF16_N4opus5fp4_tELi256ELi16ELi8ELb1ELb1ELb1ELb0ELb0ELb0EEEvPT0_PvPT_S7_S7_PKS6_S9_S9_S9_S9_ffiiiiiiiiiiiii: ; @_ZN5aiter35fused_qk_rmsnorm_group_quant_kernelIDF16_N4opus5fp4_tELi256ELi16ELi8ELb1ELb1ELb1ELb0ELb0ELb0EEEvPT0_PvPT_S7_S7_PKS6_S9_S9_S9_S9_ffiiiiiiiiiiiii
; %bb.0:
	s_load_dwordx8 s[20:27], s[4:5], 0x50
	s_waitcnt lgkmcnt(0)
	s_cmp_ge_i32 s6, s22
	s_cbranch_scc1 .LBB763_17
; %bb.1:
	s_cmp_lg_u32 s7, 0
	s_cselect_b64 s[30:31], -1, 0
	s_cmp_eq_u32 s7, 0
	s_cselect_b64 s[8:9], -1, 0
	s_and_b64 s[0:1], s[8:9], exec
	s_load_dwordx2 s[28:29], s[4:5], 0x48
	s_load_dwordx2 s[10:11], s[4:5], 0x30
	s_load_dwordx8 s[12:19], s[4:5], 0x70
	s_cselect_b32 s7, s23, s24
	s_add_i32 s0, s7, 1
	s_lshr_b32 s1, s0, 31
	s_add_i32 s0, s0, s1
	s_lshl_b32 s0, s0, 1
	v_lshlrev_b32_e32 v1, 4, v0
	s_and_b32 s38, s0, -4
	v_cmp_gt_i32_e64 s[0:1], s7, v1
	v_mov_b32_e32 v6, 0
	v_mov_b32_e32 v7, 0
	;; [unrolled: 1-line block ×16, first 2 shown]
	s_and_saveexec_b64 s[2:3], s[0:1]
	s_cbranch_execz .LBB763_3
; %bb.2:
	s_waitcnt lgkmcnt(0)
	s_load_dwordx2 s[18:19], s[4:5], 0x28
	s_load_dwordx2 s[34:35], s[4:5], 0x40
	s_and_b64 s[36:37], s[8:9], exec
	s_cselect_b32 s22, s25, s26
	s_mov_b32 s39, 0x20000
	s_waitcnt lgkmcnt(0)
	s_cselect_b32 s25, s19, s11
	s_cselect_b32 s33, s18, s10
	s_mul_hi_i32 s19, s22, s6
	s_mul_i32 s18, s22, s6
	s_lshl_b64 s[18:19], s[18:19], 1
	s_add_u32 s40, s33, s18
	s_addc_u32 s22, s25, s19
	s_and_b64 s[18:19], s[8:9], exec
	s_cselect_b32 s36, s34, s28
	s_cselect_b32 s18, s35, s29
	s_and_b32 s41, s22, 0xffff
	s_mov_b32 s42, s38
	s_mov_b32 s43, s39
	v_lshlrev_b32_e32 v18, 5, v0
	s_and_b32 s37, s18, 0xffff
	buffer_load_dwordx4 v[10:13], v18, s[40:43], 0 offen
	buffer_load_dwordx4 v[14:17], v18, s[40:43], 16 offen
	;; [unrolled: 1-line block ×4, first 2 shown]
.LBB763_3:
	s_or_b64 exec, exec, s[2:3]
	s_and_b64 vcc, exec, s[30:31]
	s_cbranch_vccz .LBB763_7
; %bb.4:
	v_mov_b32_e32 v19, 0
	v_mov_b32_e32 v18, 0
	;; [unrolled: 1-line block ×16, first 2 shown]
	s_and_saveexec_b64 s[2:3], s[0:1]
	s_cbranch_execz .LBB763_6
; %bb.5:
	s_waitcnt vmcnt(3)
	v_cvt_f32_f16_sdwa v29, v10 dst_sel:DWORD dst_unused:UNUSED_PAD src0_sel:WORD_1
	v_cvt_f32_f16_e32 v28, v10
	v_cvt_f32_f16_sdwa v33, v11 dst_sel:DWORD dst_unused:UNUSED_PAD src0_sel:WORD_1
	v_cvt_f32_f16_e32 v32, v11
	;; [unrolled: 2-line block ×4, first 2 shown]
	s_waitcnt vmcnt(2)
	v_cvt_f32_f16_sdwa v23, v14 dst_sel:DWORD dst_unused:UNUSED_PAD src0_sel:WORD_1
	v_cvt_f32_f16_e32 v22, v14
	v_cvt_f32_f16_sdwa v25, v15 dst_sel:DWORD dst_unused:UNUSED_PAD src0_sel:WORD_1
	v_cvt_f32_f16_e32 v24, v15
	;; [unrolled: 2-line block ×4, first 2 shown]
.LBB763_6:
	s_or_b64 exec, exec, s[2:3]
	s_cbranch_execz .LBB763_8
	s_branch .LBB763_11
.LBB763_7:
                                        ; implicit-def: $vgpr19
                                        ; implicit-def: $vgpr21
                                        ; implicit-def: $vgpr25
                                        ; implicit-def: $vgpr23
                                        ; implicit-def: $vgpr31
                                        ; implicit-def: $vgpr27
                                        ; implicit-def: $vgpr33
                                        ; implicit-def: $vgpr29
.LBB763_8:
	v_mov_b32_e32 v19, 0
	v_mov_b32_e32 v18, 0
	v_mov_b32_e32 v21, 0
	v_mov_b32_e32 v20, 0
	v_mov_b32_e32 v25, 0
	v_mov_b32_e32 v24, 0
	v_mov_b32_e32 v23, 0
	v_mov_b32_e32 v22, 0
	v_mov_b32_e32 v31, 0
	v_mov_b32_e32 v30, 0
	v_mov_b32_e32 v27, 0
	v_mov_b32_e32 v26, 0
	v_mov_b32_e32 v33, 0
	v_mov_b32_e32 v32, 0
	v_mov_b32_e32 v29, 0
	v_mov_b32_e32 v28, 0
	s_and_saveexec_b64 s[2:3], s[0:1]
	s_cbranch_execz .LBB763_10
; %bb.9:
	s_waitcnt lgkmcnt(0)
	s_load_dwordx2 s[18:19], s[4:5], 0x38
	s_mul_hi_i32 s35, s27, s6
	s_mul_i32 s34, s27, s6
	s_lshl_b64 s[34:35], s[34:35], 1
	s_mov_b32 s39, 0x20000
	s_waitcnt lgkmcnt(0)
	s_add_u32 s36, s18, s34
	s_addc_u32 s18, s19, s35
	s_and_b32 s37, s18, 0xffff
	v_lshlrev_b32_e32 v48, 5, v0
	buffer_load_dwordx4 v[18:21], v48, s[36:39], 16 offen
	buffer_load_dwordx4 v[22:25], v48, s[36:39], 0 offen
	s_waitcnt vmcnt(4)
	v_cvt_f32_f16_sdwa v27, v14 dst_sel:DWORD dst_unused:UNUSED_PAD src0_sel:WORD_1
	v_cvt_f32_f16_e32 v26, v14
	v_cvt_f32_f16_sdwa v29, v15 dst_sel:DWORD dst_unused:UNUSED_PAD src0_sel:WORD_1
	v_cvt_f32_f16_e32 v28, v15
	v_cvt_f32_f16_sdwa v15, v16 dst_sel:DWORD dst_unused:UNUSED_PAD src0_sel:WORD_1
	v_cvt_f32_f16_e32 v14, v16
	v_cvt_f32_f16_sdwa v31, v17 dst_sel:DWORD dst_unused:UNUSED_PAD src0_sel:WORD_1
	v_cvt_f32_f16_e32 v30, v17
	v_cvt_f32_f16_sdwa v17, v10 dst_sel:DWORD dst_unused:UNUSED_PAD src0_sel:WORD_1
	v_cvt_f32_f16_e32 v16, v10
	v_cvt_f32_f16_sdwa v33, v11 dst_sel:DWORD dst_unused:UNUSED_PAD src0_sel:WORD_1
	v_cvt_f32_f16_e32 v32, v11
	v_cvt_f32_f16_sdwa v11, v12 dst_sel:DWORD dst_unused:UNUSED_PAD src0_sel:WORD_1
	v_cvt_f32_f16_e32 v10, v12
	v_cvt_f32_f16_sdwa v35, v13 dst_sel:DWORD dst_unused:UNUSED_PAD src0_sel:WORD_1
	v_cvt_f32_f16_e32 v34, v13
	s_load_dwordx2 s[18:19], s[4:5], 0x20
	s_mul_hi_i32 s35, s17, s6
	s_mul_i32 s34, s17, s6
	s_lshl_b64 s[34:35], s[34:35], 1
	s_waitcnt lgkmcnt(0)
	s_add_u32 s36, s18, s34
	s_addc_u32 s17, s19, s35
	s_and_b32 s37, s17, 0xffff
	s_waitcnt vmcnt(1)
	v_cvt_f32_f16_e32 v12, v18
	v_cvt_f32_f16_sdwa v13, v18 dst_sel:DWORD dst_unused:UNUSED_PAD src0_sel:WORD_1
	v_cvt_f32_f16_e32 v18, v19
	v_cvt_f32_f16_sdwa v19, v19 dst_sel:DWORD dst_unused:UNUSED_PAD src0_sel:WORD_1
	;; [unrolled: 2-line block ×4, first 2 shown]
	s_waitcnt vmcnt(0)
	v_cvt_f32_f16_e32 v40, v22
	v_cvt_f32_f16_sdwa v41, v22 dst_sel:DWORD dst_unused:UNUSED_PAD src0_sel:WORD_1
	v_cvt_f32_f16_e32 v42, v23
	v_cvt_f32_f16_sdwa v43, v23 dst_sel:DWORD dst_unused:UNUSED_PAD src0_sel:WORD_1
	;; [unrolled: 2-line block ×4, first 2 shown]
	v_pk_add_f32 v[22:23], v[26:27], v[12:13]
	v_pk_add_f32 v[24:25], v[28:29], v[18:19]
	;; [unrolled: 1-line block ×8, first 2 shown]
	v_cvt_f16_f32_e32 v10, v29
	v_cvt_f16_f32_e32 v14, v28
	;; [unrolled: 1-line block ×16, first 2 shown]
	v_pack_b32_f16 v13, v17, v13
	v_pack_b32_f16 v12, v16, v12
	;; [unrolled: 1-line block ×8, first 2 shown]
	buffer_store_dwordx4 v[10:13], v48, s[36:39], 0 offen
	;;#ASMSTART
	s_nop 0
	;;#ASMEND
	buffer_store_dwordx4 v[14:17], v48, s[36:39], 16 offen
	;;#ASMSTART
	s_nop 0
	;;#ASMEND
.LBB763_10:
	s_or_b64 exec, exec, s[2:3]
.LBB763_11:
	s_waitcnt vmcnt(3)
	v_mul_f32_e32 v10, v29, v29
	v_fmac_f32_e32 v10, v28, v28
	v_fmac_f32_e32 v10, v32, v32
	;; [unrolled: 1-line block ×15, first 2 shown]
	v_and_b32_e32 v12, 63, v0
	v_cmp_eq_u32_e64 s[2:3], 63, v12
	v_mov_b32_dpp v11, v10 quad_perm:[1,0,3,2] row_mask:0xf bank_mask:0xf
	v_add_f32_e32 v10, v10, v11
	s_nop 1
	v_mov_b32_dpp v11, v10 quad_perm:[2,3,0,1] row_mask:0xf bank_mask:0xf
	v_add_f32_e32 v10, v10, v11
	s_nop 1
	v_mov_b32_dpp v11, v10 row_half_mirror row_mask:0xf bank_mask:0xf
	v_add_f32_e32 v10, v10, v11
	s_nop 1
	v_mov_b32_dpp v11, v10 row_mirror row_mask:0xf bank_mask:0xf
	v_add_f32_e32 v10, v10, v11
	s_nop 1
	v_mov_b32_dpp v11, v10 row_bcast:15 row_mask:0xf bank_mask:0xf
	v_add_f32_e32 v10, v10, v11
	s_nop 1
	v_mov_b32_dpp v11, v10 row_bcast:31 row_mask:0xf bank_mask:0xf
	s_waitcnt lgkmcnt(0)
	s_and_saveexec_b64 s[18:19], s[2:3]
	s_cbranch_execz .LBB763_13
; %bb.12:
	v_add_f32_e32 v10, v10, v11
	v_lshrrev_b32_e32 v11, 4, v0
	v_and_b32_e32 v11, 60, v11
	ds_write_b32 v11, v10 offset:16
.LBB763_13:
	s_or_b64 exec, exec, s[18:19]
	v_and_b32_e32 v10, 3, v0
	v_lshlrev_b32_e32 v34, 2, v10
	s_waitcnt lgkmcnt(0)
	s_barrier
	ds_read_b32 v10, v34 offset:16
	s_load_dwordx2 s[18:19], s[4:5], 0x18
	s_waitcnt lgkmcnt(0)
	v_mov_b32_dpp v11, v10 quad_perm:[1,0,3,2] row_mask:0xf bank_mask:0xf
	v_add_f32_e32 v10, v10, v11
	s_nop 1
	v_mov_b32_dpp v11, v10 quad_perm:[2,3,0,1] row_mask:0xf bank_mask:0xf
	s_and_saveexec_b64 s[34:35], s[0:1]
	s_cbranch_execnz .LBB763_18
; %bb.14:
	s_or_b64 exec, exec, s[34:35]
	s_mov_b64 s[8:9], -1
	s_and_b64 vcc, exec, s[30:31]
	s_cbranch_vccnz .LBB763_19
.LBB763_15:
	s_andn2_b64 vcc, exec, s[8:9]
	s_cbranch_vccz .LBB763_22
.LBB763_16:
	s_cmp_lt_i32 s24, 1
	s_cbranch_scc0 .LBB763_31
.LBB763_17:
	s_endpgm
.LBB763_18:
	v_cvt_f32_u32_e32 v12, s7
	v_add_f32_e32 v10, v10, v11
	s_waitcnt vmcnt(2)
	v_mov_b32_e32 v14, s21
	v_mov_b32_e32 v15, s20
	v_div_scale_f32 v11, s[36:37], v12, v12, v10
	v_rcp_f32_e32 v13, v11
	v_cndmask_b32_e64 v14, v14, v15, s[8:9]
	s_mov_b32 s7, 0x800000
	v_fma_f32 v15, -v11, v13, 1.0
	v_fmac_f32_e32 v13, v15, v13
	v_div_scale_f32 v15, vcc, v10, v12, v10
	v_mul_f32_e32 v16, v15, v13
	v_fma_f32 v17, -v11, v16, v15
	v_fmac_f32_e32 v16, v17, v13
	v_fma_f32 v11, -v11, v16, v15
	v_div_fmas_f32 v11, v11, v13, v16
	v_div_fixup_f32 v10, v11, v12, v10
	v_add_f32_e32 v10, v14, v10
	v_mul_f32_e32 v11, 0x4b800000, v10
	v_cmp_gt_f32_e32 vcc, s7, v10
	v_cndmask_b32_e32 v10, v10, v11, vcc
	v_rsq_f32_e32 v10, v10
	v_mul_f32_e32 v11, 0x45800000, v10
	v_cndmask_b32_e32 v10, v10, v11, vcc
	v_mov_b32_e32 v11, v10
	;;#ASMSTART
	v_pk_mul_f32 v[12:13], v[28:29], v[10:11]
	;;#ASMEND
	;;#ASMSTART
	v_pk_mul_f32 v[14:15], v[32:33], v[10:11]
	;;#ASMEND
	;; [unrolled: 3-line block ×3, first 2 shown]
	s_waitcnt vmcnt(1)
	v_cvt_f32_f16_sdwa v27, v6 dst_sel:DWORD dst_unused:UNUSED_PAD src0_sel:WORD_1
	v_cvt_f32_f16_e32 v26, v6
	v_cvt_f32_f16_sdwa v33, v7 dst_sel:DWORD dst_unused:UNUSED_PAD src0_sel:WORD_1
	v_cvt_f32_f16_e32 v32, v7
	;;#ASMSTART
	v_pk_mul_f32 v[30:31], v[30:31], v[10:11]
	;;#ASMEND
	;;#ASMSTART
	v_pk_mul_f32 v[22:23], v[22:23], v[10:11]
	;;#ASMEND
	;; [unrolled: 3-line block ×5, first 2 shown]
	v_pk_add_f32 v[10:11], v[26:27], 1.0 op_sel_hi:[1,0]
	;;#ASMSTART
	v_pk_mul_f32 v[28:29], v[12:13], v[10:11]
	;;#ASMEND
	v_cvt_f32_f16_sdwa v13, v8 dst_sel:DWORD dst_unused:UNUSED_PAD src0_sel:WORD_1
	v_cvt_f32_f16_e32 v12, v8
	v_cvt_f32_f16_sdwa v19, v9 dst_sel:DWORD dst_unused:UNUSED_PAD src0_sel:WORD_1
	v_cvt_f32_f16_e32 v18, v9
	v_pk_add_f32 v[10:11], v[32:33], 1.0 op_sel_hi:[1,0]
	;;#ASMSTART
	v_pk_mul_f32 v[32:33], v[14:15], v[10:11]
	;;#ASMEND
	s_waitcnt vmcnt(0)
	v_cvt_f32_f16_sdwa v11, v2 dst_sel:DWORD dst_unused:UNUSED_PAD src0_sel:WORD_1
	v_cvt_f32_f16_e32 v10, v2
	v_pk_add_f32 v[8:9], v[12:13], 1.0 op_sel_hi:[1,0]
	;;#ASMSTART
	v_pk_mul_f32 v[26:27], v[16:17], v[8:9]
	;;#ASMEND
	v_pk_add_f32 v[8:9], v[18:19], 1.0 op_sel_hi:[1,0]
	v_cvt_f32_f16_sdwa v13, v3 dst_sel:DWORD dst_unused:UNUSED_PAD src0_sel:WORD_1
	v_cvt_f32_f16_e32 v12, v3
	;;#ASMSTART
	v_pk_mul_f32 v[30:31], v[30:31], v[8:9]
	;;#ASMEND
	v_cvt_f32_f16_sdwa v9, v4 dst_sel:DWORD dst_unused:UNUSED_PAD src0_sel:WORD_1
	v_cvt_f32_f16_e32 v8, v4
	v_pk_add_f32 v[2:3], v[10:11], 1.0 op_sel_hi:[1,0]
	v_cvt_f32_f16_sdwa v11, v5 dst_sel:DWORD dst_unused:UNUSED_PAD src0_sel:WORD_1
	v_cvt_f32_f16_e32 v10, v5
	;;#ASMSTART
	v_pk_mul_f32 v[22:23], v[22:23], v[2:3]
	;;#ASMEND
	v_pk_add_f32 v[2:3], v[12:13], 1.0 op_sel_hi:[1,0]
	;;#ASMSTART
	v_pk_mul_f32 v[24:25], v[24:25], v[2:3]
	;;#ASMEND
	v_pk_add_f32 v[2:3], v[8:9], 1.0 op_sel_hi:[1,0]
	;; [unrolled: 4-line block ×3, first 2 shown]
	;;#ASMSTART
	v_pk_mul_f32 v[18:19], v[6:7], v[2:3]
	;;#ASMEND
	s_or_b64 exec, exec, s[34:35]
	s_mov_b64 s[8:9], -1
	s_and_b64 vcc, exec, s[30:31]
	s_cbranch_vccz .LBB763_15
.LBB763_19:
	s_and_saveexec_b64 s[8:9], s[0:1]
	s_cbranch_execz .LBB763_21
; %bb.20:
	s_mul_hi_i32 s31, s16, s6
	s_mul_i32 s30, s16, s6
	s_waitcnt vmcnt(0)
	v_cvt_f16_f32_e32 v2, v28
	v_cvt_f16_f32_e32 v3, v32
	;; [unrolled: 1-line block ×8, first 2 shown]
	s_lshl_b64 s[30:31], s[30:31], 1
	s_add_u32 s36, s18, s30
	s_addc_u32 s7, s19, s31
	s_and_b32 s37, s7, 0xffff
	s_mov_b32 s39, 0x20000
	v_pack_b32_f16 v5, v5, v6
	v_pack_b32_f16 v4, v4, v7
	;; [unrolled: 1-line block ×4, first 2 shown]
	v_lshlrev_b32_e32 v6, 5, v0
	buffer_store_dwordx4 v[2:5], v6, s[36:39], 0 offen
	v_cvt_f16_f32_e32 v7, v19
	v_cvt_f16_f32_e32 v2, v22
	;; [unrolled: 1-line block ×8, first 2 shown]
	v_pack_b32_f16 v5, v5, v7
	v_pack_b32_f16 v4, v4, v8
	;; [unrolled: 1-line block ×4, first 2 shown]
	;;#ASMSTART
	s_nop 0
	;;#ASMEND
	buffer_store_dwordx4 v[2:5], v6, s[36:39], 16 offen
	;;#ASMSTART
	s_nop 0
	;;#ASMEND
.LBB763_21:
	s_or_b64 exec, exec, s[8:9]
	s_cbranch_execnz .LBB763_16
.LBB763_22:
	s_waitcnt vmcnt(0)
	v_mov_b32_e32 v2, 0
	s_and_saveexec_b64 s[8:9], s[0:1]
	s_cbranch_execz .LBB763_24
; %bb.23:
	s_load_dwordx2 s[30:31], s[4:5], 0x10
	s_mul_hi_i32 s35, s15, s6
	s_mul_i32 s34, s15, s6
	v_cvt_f16_f32_e32 v2, v28
	v_cvt_f16_f32_e32 v3, v32
	;; [unrolled: 1-line block ×8, first 2 shown]
	s_lshl_b64 s[34:35], s[34:35], 1
	s_waitcnt lgkmcnt(0)
	s_add_u32 s36, s30, s34
	s_addc_u32 s7, s31, s35
	s_mov_b32 s39, 0x20000
	s_and_b32 s37, s7, 0xffff
	v_pack_b32_f16 v5, v5, v6
	v_pack_b32_f16 v4, v4, v7
	;; [unrolled: 1-line block ×4, first 2 shown]
	v_lshlrev_b32_e32 v6, 5, v0
	buffer_store_dwordx4 v[2:5], v6, s[36:39], 0 offen
	v_cvt_f16_f32_e32 v7, v19
	v_cvt_f16_f32_e32 v2, v22
	;; [unrolled: 1-line block ×8, first 2 shown]
	v_pack_b32_f16 v5, v5, v7
	v_pack_b32_f16 v4, v4, v8
	;; [unrolled: 1-line block ×4, first 2 shown]
	;;#ASMSTART
	s_nop 0
	;;#ASMEND
	buffer_store_dwordx4 v[2:5], v6, s[36:39], 16 offen
	;;#ASMSTART
	s_nop 0
	;;#ASMEND
	s_nop 0
	v_mov_b32_e32 v2, 0x2edbe6ff
.LBB763_24:
	s_or_b64 exec, exec, s[8:9]
	s_and_saveexec_b64 s[8:9], s[0:1]
	s_cbranch_execz .LBB763_26
; %bb.25:
	v_and_b32_e32 v3, 0x7fffffff, v28
	v_and_b32_e32 v4, 0x7fffffff, v29
	;;#ASMSTART
	v_max3_f32 v2, v2, v3, v4

	;;#ASMEND
	v_and_b32_e32 v3, 0x7fffffff, v32
	v_and_b32_e32 v4, 0x7fffffff, v33
	;;#ASMSTART
	v_max3_f32 v2, v2, v3, v4

	;;#ASMEND
	;; [unrolled: 6-line block ×8, first 2 shown]
.LBB763_26:
	s_or_b64 exec, exec, s[8:9]
	;;#ASMSTART
	v_max_f32 v3, v2, v2 quad_perm:[1,0,3,2] row_mask:0xf bank_mask:0xf bound_ctrl:1
	;;#ASMEND
	;;#ASMSTART
	v_max_f32 v4, v3, v3 quad_perm:[2,3,0,1] row_mask:0xf bank_mask:0xf bound_ctrl:1
	;;#ASMEND
	v_and_b32_e32 v3, 7, v0
	v_cmp_eq_u32_e32 vcc, 0, v3
	v_cmp_gt_i32_e64 s[8:9], s23, v1
	s_and_b64 s[30:31], vcc, s[8:9]
	;;#ASMSTART
	v_max_f32 v2, v4, v4 row_half_mirror row_mask:0xf bank_mask:0xf bound_ctrl:1
	;;#ASMEND
	s_and_saveexec_b64 s[8:9], s[30:31]
	s_cbranch_execz .LBB763_28
; %bb.27:
	s_load_dwordx2 s[30:31], s[4:5], 0x8
	v_mul_f32_e32 v2, 0x3e2aaaab, v2
	v_lshrrev_b32_e32 v3, 23, v2
	v_and_b32_e32 v4, 0x7f800000, v2
	v_and_b32_e32 v2, 0x7fffff, v2
	v_cmp_ne_u32_e32 vcc, 0, v2
	s_mul_hi_i32 s15, s13, s6
	s_mul_i32 s13, s13, s6
	s_mov_b32 s7, 0x7f800000
	v_addc_co_u32_e32 v2, vcc, 0, v3, vcc
	s_waitcnt lgkmcnt(0)
	s_add_u32 s30, s30, s13
	v_cmp_ne_u32_e32 vcc, s7, v4
	s_addc_u32 s31, s31, s15
	v_lshrrev_b32_e32 v5, 3, v0
	v_cndmask_b32_e32 v4, -1, v2, vcc
	v_pk_mov_b32 v[2:3], s[30:31], s[30:31] op_sel:[0,1]
	v_mad_i64_i32 v[2:3], s[14:15], s14, v5, v[2:3]
	global_store_byte v[2:3], v4, off
.LBB763_28:
	s_or_b64 exec, exec, s[8:9]
	s_and_saveexec_b64 s[8:9], s[0:1]
	s_cbranch_execz .LBB763_30
; %bb.29:
	s_load_dwordx2 s[0:1], s[4:5], 0x0
	s_mul_hi_i32 s7, s12, s6
	s_mul_i32 s12, s12, s6
	v_mov_b32_e32 v2, 0
	v_lshlrev_b32_e32 v4, 3, v0
	s_waitcnt lgkmcnt(0)
	s_add_u32 s12, s0, s12
	s_addc_u32 s0, s1, s7
	s_lshr_b32 s1, s23, 31
	s_add_i32 s1, s23, s1
	s_ashr_i32 s1, s1, 1
	s_add_i32 s1, s1, 3
	s_ashr_i32 s7, s1, 31
	s_lshr_b32 s7, s7, 30
	s_add_i32 s1, s1, s7
	s_and_b32 s14, s1, -4
	s_and_b32 s13, s0, 0xffff
	s_mov_b32 s15, 0x20000
	v_mov_b32_e32 v3, v2
	buffer_store_dwordx2 v[2:3], v4, s[12:15], 0 offen
	;;#ASMSTART
	s_nop 0
	;;#ASMEND
.LBB763_30:
	s_or_b64 exec, exec, s[8:9]
	s_cmp_lt_i32 s24, 1
	s_cbranch_scc1 .LBB763_17
.LBB763_31:
	s_load_dword s0, s[4:5], 0x94
	s_waitcnt lgkmcnt(0)
	s_cmp_lg_u32 s0, 1
	s_cbranch_scc1 .LBB763_17
; %bb.32:
	s_lshl_b32 s0, s24, 1
	s_add_i32 s0, s0, 2
	v_cmp_gt_u32_e32 vcc, s24, v1
	s_and_b32 s30, s0, -4
	v_mov_b32_e32 v18, 0
	v_lshlrev_b32_e32 v1, 5, v0
	s_waitcnt vmcnt(2)
	v_mov_b32_e32 v14, 0
	v_mov_b32_e32 v15, 0
	;; [unrolled: 1-line block ×8, first 2 shown]
	s_waitcnt vmcnt(1)
	v_mov_b32_e32 v6, 0
	v_mov_b32_e32 v7, 0
	v_mov_b32_e32 v8, 0
	v_mov_b32_e32 v9, 0
	s_waitcnt vmcnt(0)
	v_mov_b32_e32 v2, 0
	v_mov_b32_e32 v3, 0
	;; [unrolled: 1-line block ×4, first 2 shown]
	s_barrier
	s_and_saveexec_b64 s[0:1], vcc
	s_cbranch_execz .LBB763_34
; %bb.33:
	s_mul_hi_i32 s5, s26, s6
	s_mul_i32 s4, s26, s6
	s_and_b32 s29, s29, 0xffff
	s_lshl_b64 s[4:5], s[4:5], 1
	s_add_u32 s8, s10, s4
	s_mov_b32 s31, 0x20000
	s_addc_u32 s4, s11, s5
	s_and_b32 s9, s4, 0xffff
	s_mov_b32 s10, s30
	s_mov_b32 s11, s31
	buffer_load_dwordx4 v[14:17], v1, s[8:11], 0 offen
	buffer_load_dwordx4 v[10:13], v1, s[8:11], 16 offen
	;; [unrolled: 1-line block ×4, first 2 shown]
.LBB763_34:
	s_or_b64 exec, exec, s[0:1]
	v_mov_b32_e32 v19, 0
	v_mov_b32_e32 v32, 0
	;; [unrolled: 1-line block ×15, first 2 shown]
	s_and_saveexec_b64 s[0:1], vcc
	s_cbranch_execz .LBB763_36
; %bb.35:
	s_waitcnt vmcnt(3)
	v_cvt_f32_f16_sdwa v19, v14 dst_sel:DWORD dst_unused:UNUSED_PAD src0_sel:WORD_1
	v_cvt_f32_f16_e32 v18, v14
	v_cvt_f32_f16_sdwa v33, v15 dst_sel:DWORD dst_unused:UNUSED_PAD src0_sel:WORD_1
	v_cvt_f32_f16_e32 v32, v15
	;; [unrolled: 2-line block ×4, first 2 shown]
	s_waitcnt vmcnt(2)
	v_cvt_f32_f16_sdwa v27, v10 dst_sel:DWORD dst_unused:UNUSED_PAD src0_sel:WORD_1
	v_cvt_f32_f16_e32 v26, v10
	v_cvt_f32_f16_sdwa v25, v11 dst_sel:DWORD dst_unused:UNUSED_PAD src0_sel:WORD_1
	v_cvt_f32_f16_e32 v24, v11
	;; [unrolled: 2-line block ×4, first 2 shown]
.LBB763_36:
	s_or_b64 exec, exec, s[0:1]
	s_waitcnt vmcnt(2)
	v_mul_f32_e32 v10, v19, v19
	v_fmac_f32_e32 v10, v18, v18
	v_fmac_f32_e32 v10, v32, v32
	;; [unrolled: 1-line block ×15, first 2 shown]
	s_nop 1
	v_mov_b32_dpp v11, v10 quad_perm:[1,0,3,2] row_mask:0xf bank_mask:0xf
	v_add_f32_e32 v10, v10, v11
	s_nop 1
	v_mov_b32_dpp v11, v10 quad_perm:[2,3,0,1] row_mask:0xf bank_mask:0xf
	v_add_f32_e32 v10, v10, v11
	s_nop 1
	v_mov_b32_dpp v11, v10 row_half_mirror row_mask:0xf bank_mask:0xf
	v_add_f32_e32 v10, v10, v11
	s_nop 1
	v_mov_b32_dpp v11, v10 row_mirror row_mask:0xf bank_mask:0xf
	v_add_f32_e32 v10, v10, v11
	s_nop 1
	v_mov_b32_dpp v11, v10 row_bcast:15 row_mask:0xf bank_mask:0xf
	v_add_f32_e32 v10, v10, v11
	s_nop 1
	v_mov_b32_dpp v11, v10 row_bcast:31 row_mask:0xf bank_mask:0xf
	s_and_saveexec_b64 s[0:1], s[2:3]
	s_cbranch_execz .LBB763_38
; %bb.37:
	v_lshrrev_b32_e32 v0, 4, v0
	v_add_f32_e32 v10, v10, v11
	v_and_b32_e32 v0, 60, v0
	ds_write_b32 v0, v10
.LBB763_38:
	s_or_b64 exec, exec, s[0:1]
	s_waitcnt lgkmcnt(0)
	s_barrier
	ds_read_b32 v0, v34
	s_waitcnt lgkmcnt(0)
	s_nop 0
	v_mov_b32_dpp v10, v0 quad_perm:[1,0,3,2] row_mask:0xf bank_mask:0xf
	v_add_f32_e32 v0, v0, v10
	s_nop 1
	v_mov_b32_dpp v10, v0 quad_perm:[2,3,0,1] row_mask:0xf bank_mask:0xf
	s_and_saveexec_b64 s[0:1], vcc
	s_cbranch_execz .LBB763_17
; %bb.39:
	v_cvt_f32_u32_e32 v11, s24
	v_add_f32_e32 v0, v0, v10
	s_mov_b32 s31, 0x20000
	v_div_scale_f32 v10, s[0:1], v11, v11, v0
	v_rcp_f32_e32 v12, v10
	v_div_scale_f32 v13, vcc, v0, v11, v0
	s_mov_b32 s0, 0x800000
	v_fma_f32 v14, -v10, v12, 1.0
	v_fmac_f32_e32 v12, v14, v12
	v_mul_f32_e32 v14, v13, v12
	v_fma_f32 v15, -v10, v14, v13
	v_fmac_f32_e32 v14, v15, v12
	v_fma_f32 v10, -v10, v14, v13
	v_div_fmas_f32 v10, v10, v12, v14
	v_div_fixup_f32 v0, v10, v11, v0
	v_add_f32_e32 v0, s21, v0
	v_mul_f32_e32 v10, 0x4b800000, v0
	v_cmp_gt_f32_e32 vcc, s0, v0
	v_cndmask_b32_e32 v0, v0, v10, vcc
	v_rsq_f32_e32 v0, v0
	s_mul_hi_i32 s1, s16, s6
	s_mul_i32 s0, s16, s6
	s_lshl_b64 s[0:1], s[0:1], 1
	v_mul_f32_e32 v10, 0x45800000, v0
	v_cndmask_b32_e32 v10, v0, v10, vcc
	v_mov_b32_e32 v11, v10
	;;#ASMSTART
	v_pk_mul_f32 v[12:13], v[18:19], v[10:11]
	;;#ASMEND
	;;#ASMSTART
	v_pk_mul_f32 v[14:15], v[32:33], v[10:11]
	;;#ASMEND
	;; [unrolled: 3-line block ×4, first 2 shown]
	s_waitcnt vmcnt(1)
	v_cvt_f32_f16_sdwa v29, v6 dst_sel:DWORD dst_unused:UNUSED_PAD src0_sel:WORD_1
	v_cvt_f32_f16_e32 v28, v6
	v_cvt_f32_f16_sdwa v31, v7 dst_sel:DWORD dst_unused:UNUSED_PAD src0_sel:WORD_1
	v_cvt_f32_f16_e32 v30, v7
	;;#ASMSTART
	v_pk_mul_f32 v[26:27], v[26:27], v[10:11]
	;;#ASMEND
	;;#ASMSTART
	v_pk_mul_f32 v[24:25], v[24:25], v[10:11]
	;;#ASMEND
	;; [unrolled: 3-line block ×4, first 2 shown]
	v_cvt_f32_f16_sdwa v21, v8 dst_sel:DWORD dst_unused:UNUSED_PAD src0_sel:WORD_1
	v_cvt_f32_f16_e32 v20, v8
	v_pk_add_f32 v[10:11], v[28:29], 1.0 op_sel_hi:[1,0]
	;;#ASMSTART
	v_pk_mul_f32 v[10:11], v[12:13], v[10:11]
	;;#ASMEND
	v_pk_add_f32 v[12:13], v[30:31], 1.0 op_sel_hi:[1,0]
	v_cvt_f32_f16_sdwa v29, v9 dst_sel:DWORD dst_unused:UNUSED_PAD src0_sel:WORD_1
	v_cvt_f32_f16_e32 v28, v9
	;;#ASMSTART
	v_pk_mul_f32 v[8:9], v[14:15], v[12:13]
	;;#ASMEND
	v_pk_add_f32 v[12:13], v[20:21], 1.0 op_sel_hi:[1,0]
	;;#ASMSTART
	v_pk_mul_f32 v[12:13], v[16:17], v[12:13]
	;;#ASMEND
	s_waitcnt vmcnt(0)
	v_cvt_f32_f16_sdwa v17, v2 dst_sel:DWORD dst_unused:UNUSED_PAD src0_sel:WORD_1
	v_cvt_f32_f16_e32 v16, v2
	v_cvt_f32_f16_sdwa v21, v3 dst_sel:DWORD dst_unused:UNUSED_PAD src0_sel:WORD_1
	v_cvt_f32_f16_e32 v20, v3
	v_pk_add_f32 v[14:15], v[28:29], 1.0 op_sel_hi:[1,0]
	;;#ASMSTART
	v_pk_mul_f32 v[2:3], v[18:19], v[14:15]
	;;#ASMEND
	v_cvt_f32_f16_sdwa v19, v4 dst_sel:DWORD dst_unused:UNUSED_PAD src0_sel:WORD_1
	v_cvt_f32_f16_e32 v18, v4
	v_pk_add_f32 v[14:15], v[16:17], 1.0 op_sel_hi:[1,0]
	v_pk_add_f32 v[16:17], v[20:21], 1.0 op_sel_hi:[1,0]
	v_cvt_f32_f16_sdwa v21, v5 dst_sel:DWORD dst_unused:UNUSED_PAD src0_sel:WORD_1
	v_cvt_f32_f16_e32 v20, v5
	v_pk_add_f32 v[4:5], v[18:19], 1.0 op_sel_hi:[1,0]
	;;#ASMSTART
	v_pk_mul_f32 v[14:15], v[26:27], v[14:15]
	;;#ASMEND
	;;#ASMSTART
	v_pk_mul_f32 v[16:17], v[24:25], v[16:17]
	;;#ASMEND
	;; [unrolled: 3-line block ×3, first 2 shown]
	v_pk_add_f32 v[4:5], v[20:21], 1.0 op_sel_hi:[1,0]
	;;#ASMSTART
	v_pk_mul_f32 v[6:7], v[6:7], v[4:5]
	;;#ASMEND
	v_cvt_f16_f32_e32 v0, v10
	v_cvt_f16_f32_e32 v4, v11
	v_cvt_f16_f32_e32 v5, v8
	v_cvt_f16_f32_e32 v8, v9
	v_cvt_f16_f32_e32 v9, v12
	v_cvt_f16_f32_e32 v10, v13
	v_cvt_f16_f32_e32 v11, v2
	v_cvt_f16_f32_e32 v12, v3
	s_add_u32 s28, s18, s0
	s_addc_u32 s0, s19, s1
	s_and_b32 s29, s0, 0xffff
	v_pack_b32_f16 v2, v0, v4
	v_pack_b32_f16 v3, v5, v8
	;; [unrolled: 1-line block ×4, first 2 shown]
	buffer_store_dwordx4 v[2:5], v1, s[28:31], 0 offen
	v_cvt_f16_f32_e32 v0, v14
	v_cvt_f16_f32_e32 v2, v15
	;; [unrolled: 1-line block ×8, first 2 shown]
	v_pack_b32_f16 v2, v0, v2
	v_pack_b32_f16 v3, v3, v4
	;; [unrolled: 1-line block ×4, first 2 shown]
	;;#ASMSTART
	s_nop 0
	;;#ASMEND
	buffer_store_dwordx4 v[2:5], v1, s[28:31], 16 offen
	;;#ASMSTART
	s_nop 0
	;;#ASMEND
	s_endpgm
	.section	.rodata,"a",@progbits
	.p2align	6, 0x0
	.amdhsa_kernel _ZN5aiter35fused_qk_rmsnorm_group_quant_kernelIDF16_N4opus5fp4_tELi256ELi16ELi8ELb1ELb1ELb1ELb0ELb0ELb0EEEvPT0_PvPT_S7_S7_PKS6_S9_S9_S9_S9_ffiiiiiiiiiiiii
		.amdhsa_group_segment_fixed_size 32
		.amdhsa_private_segment_fixed_size 0
		.amdhsa_kernarg_size 400
		.amdhsa_user_sgpr_count 6
		.amdhsa_user_sgpr_private_segment_buffer 1
		.amdhsa_user_sgpr_dispatch_ptr 0
		.amdhsa_user_sgpr_queue_ptr 0
		.amdhsa_user_sgpr_kernarg_segment_ptr 1
		.amdhsa_user_sgpr_dispatch_id 0
		.amdhsa_user_sgpr_flat_scratch_init 0
		.amdhsa_user_sgpr_kernarg_preload_length 0
		.amdhsa_user_sgpr_kernarg_preload_offset 0
		.amdhsa_user_sgpr_private_segment_size 0
		.amdhsa_uses_dynamic_stack 0
		.amdhsa_system_sgpr_private_segment_wavefront_offset 0
		.amdhsa_system_sgpr_workgroup_id_x 1
		.amdhsa_system_sgpr_workgroup_id_y 1
		.amdhsa_system_sgpr_workgroup_id_z 0
		.amdhsa_system_sgpr_workgroup_info 0
		.amdhsa_system_vgpr_workitem_id 0
		.amdhsa_next_free_vgpr 49
		.amdhsa_next_free_sgpr 44
		.amdhsa_accum_offset 52
		.amdhsa_reserve_vcc 1
		.amdhsa_reserve_flat_scratch 0
		.amdhsa_float_round_mode_32 0
		.amdhsa_float_round_mode_16_64 0
		.amdhsa_float_denorm_mode_32 3
		.amdhsa_float_denorm_mode_16_64 3
		.amdhsa_dx10_clamp 1
		.amdhsa_ieee_mode 1
		.amdhsa_fp16_overflow 0
		.amdhsa_tg_split 0
		.amdhsa_exception_fp_ieee_invalid_op 0
		.amdhsa_exception_fp_denorm_src 0
		.amdhsa_exception_fp_ieee_div_zero 0
		.amdhsa_exception_fp_ieee_overflow 0
		.amdhsa_exception_fp_ieee_underflow 0
		.amdhsa_exception_fp_ieee_inexact 0
		.amdhsa_exception_int_div_zero 0
	.end_amdhsa_kernel
	.section	.text._ZN5aiter35fused_qk_rmsnorm_group_quant_kernelIDF16_N4opus5fp4_tELi256ELi16ELi8ELb1ELb1ELb1ELb0ELb0ELb0EEEvPT0_PvPT_S7_S7_PKS6_S9_S9_S9_S9_ffiiiiiiiiiiiii,"axG",@progbits,_ZN5aiter35fused_qk_rmsnorm_group_quant_kernelIDF16_N4opus5fp4_tELi256ELi16ELi8ELb1ELb1ELb1ELb0ELb0ELb0EEEvPT0_PvPT_S7_S7_PKS6_S9_S9_S9_S9_ffiiiiiiiiiiiii,comdat
.Lfunc_end763:
	.size	_ZN5aiter35fused_qk_rmsnorm_group_quant_kernelIDF16_N4opus5fp4_tELi256ELi16ELi8ELb1ELb1ELb1ELb0ELb0ELb0EEEvPT0_PvPT_S7_S7_PKS6_S9_S9_S9_S9_ffiiiiiiiiiiiii, .Lfunc_end763-_ZN5aiter35fused_qk_rmsnorm_group_quant_kernelIDF16_N4opus5fp4_tELi256ELi16ELi8ELb1ELb1ELb1ELb0ELb0ELb0EEEvPT0_PvPT_S7_S7_PKS6_S9_S9_S9_S9_ffiiiiiiiiiiiii
                                        ; -- End function
	.section	.AMDGPU.csdata,"",@progbits
; Kernel info:
; codeLenInByte = 4120
; NumSgprs: 48
; NumVgprs: 49
; NumAgprs: 0
; TotalNumVgprs: 49
; ScratchSize: 0
; MemoryBound: 0
; FloatMode: 240
; IeeeMode: 1
; LDSByteSize: 32 bytes/workgroup (compile time only)
; SGPRBlocks: 5
; VGPRBlocks: 6
; NumSGPRsForWavesPerEU: 48
; NumVGPRsForWavesPerEU: 49
; AccumOffset: 52
; Occupancy: 8
; WaveLimiterHint : 0
; COMPUTE_PGM_RSRC2:SCRATCH_EN: 0
; COMPUTE_PGM_RSRC2:USER_SGPR: 6
; COMPUTE_PGM_RSRC2:TRAP_HANDLER: 0
; COMPUTE_PGM_RSRC2:TGID_X_EN: 1
; COMPUTE_PGM_RSRC2:TGID_Y_EN: 1
; COMPUTE_PGM_RSRC2:TGID_Z_EN: 0
; COMPUTE_PGM_RSRC2:TIDIG_COMP_CNT: 0
; COMPUTE_PGM_RSRC3_GFX90A:ACCUM_OFFSET: 12
; COMPUTE_PGM_RSRC3_GFX90A:TG_SPLIT: 0
	.section	.text._ZN5aiter35fused_qk_rmsnorm_group_quant_kernelItN4opus5fp4_tELi256ELi16ELi8ELb1ELb1ELb1ELb0ELb0ELb0EEEvPT0_PvPT_S7_S7_PKS6_S9_S9_S9_S9_ffiiiiiiiiiiiii,"axG",@progbits,_ZN5aiter35fused_qk_rmsnorm_group_quant_kernelItN4opus5fp4_tELi256ELi16ELi8ELb1ELb1ELb1ELb0ELb0ELb0EEEvPT0_PvPT_S7_S7_PKS6_S9_S9_S9_S9_ffiiiiiiiiiiiii,comdat
	.protected	_ZN5aiter35fused_qk_rmsnorm_group_quant_kernelItN4opus5fp4_tELi256ELi16ELi8ELb1ELb1ELb1ELb0ELb0ELb0EEEvPT0_PvPT_S7_S7_PKS6_S9_S9_S9_S9_ffiiiiiiiiiiiii ; -- Begin function _ZN5aiter35fused_qk_rmsnorm_group_quant_kernelItN4opus5fp4_tELi256ELi16ELi8ELb1ELb1ELb1ELb0ELb0ELb0EEEvPT0_PvPT_S7_S7_PKS6_S9_S9_S9_S9_ffiiiiiiiiiiiii
	.globl	_ZN5aiter35fused_qk_rmsnorm_group_quant_kernelItN4opus5fp4_tELi256ELi16ELi8ELb1ELb1ELb1ELb0ELb0ELb0EEEvPT0_PvPT_S7_S7_PKS6_S9_S9_S9_S9_ffiiiiiiiiiiiii
	.p2align	8
	.type	_ZN5aiter35fused_qk_rmsnorm_group_quant_kernelItN4opus5fp4_tELi256ELi16ELi8ELb1ELb1ELb1ELb0ELb0ELb0EEEvPT0_PvPT_S7_S7_PKS6_S9_S9_S9_S9_ffiiiiiiiiiiiii,@function
_ZN5aiter35fused_qk_rmsnorm_group_quant_kernelItN4opus5fp4_tELi256ELi16ELi8ELb1ELb1ELb1ELb0ELb0ELb0EEEvPT0_PvPT_S7_S7_PKS6_S9_S9_S9_S9_ffiiiiiiiiiiiii: ; @_ZN5aiter35fused_qk_rmsnorm_group_quant_kernelItN4opus5fp4_tELi256ELi16ELi8ELb1ELb1ELb1ELb0ELb0ELb0EEEvPT0_PvPT_S7_S7_PKS6_S9_S9_S9_S9_ffiiiiiiiiiiiii
; %bb.0:
	s_load_dwordx8 s[20:27], s[4:5], 0x50
	s_waitcnt lgkmcnt(0)
	s_cmp_ge_i32 s6, s22
	s_cbranch_scc1 .LBB764_17
; %bb.1:
	s_load_dwordx2 s[28:29], s[4:5], 0x48
	s_load_dwordx2 s[10:11], s[4:5], 0x30
	s_load_dwordx8 s[12:19], s[4:5], 0x70
	s_cmp_lg_u32 s7, 0
	s_waitcnt lgkmcnt(0)
	s_cselect_b64 s[18:19], -1, 0
	s_cmp_eq_u32 s7, 0
	s_cselect_b64 s[8:9], -1, 0
	s_and_b64 s[0:1], s[8:9], exec
	s_cselect_b32 s7, s23, s24
	s_add_i32 s0, s7, 1
	s_lshr_b32 s1, s0, 31
	s_add_i32 s0, s0, s1
	s_lshl_b32 s0, s0, 1
	v_lshlrev_b32_e32 v1, 4, v0
	s_and_b32 s38, s0, -4
	v_cmp_gt_i32_e64 s[0:1], s7, v1
	v_mov_b32_e32 v62, 0
	v_mov_b32_e32 v63, 0
	v_mov_b32_e32 v64, 0
	v_mov_b32_e32 v65, 0
	v_mov_b32_e32 v58, 0
	v_mov_b32_e32 v59, 0
	v_mov_b32_e32 v60, 0
	v_mov_b32_e32 v61, 0
	v_mov_b32_e32 v66, 0
	v_mov_b32_e32 v67, 0
	v_mov_b32_e32 v68, 0
	v_mov_b32_e32 v69, 0
	v_mov_b32_e32 v70, 0
	v_mov_b32_e32 v71, 0
	v_mov_b32_e32 v72, 0
	v_mov_b32_e32 v73, 0
	s_and_saveexec_b64 s[2:3], s[0:1]
	s_cbranch_execz .LBB764_3
; %bb.2:
	s_load_dwordx2 s[30:31], s[4:5], 0x28
	s_load_dwordx2 s[34:35], s[4:5], 0x40
	s_and_b64 s[36:37], s[8:9], exec
	s_cselect_b32 s22, s25, s26
	s_mov_b32 s39, 0x20000
	s_waitcnt lgkmcnt(0)
	s_cselect_b32 s25, s31, s11
	s_cselect_b32 s33, s30, s10
	s_mul_hi_i32 s31, s22, s6
	s_mul_i32 s30, s22, s6
	s_lshl_b64 s[30:31], s[30:31], 1
	s_add_u32 s40, s33, s30
	s_addc_u32 s22, s25, s31
	s_and_b64 s[30:31], s[8:9], exec
	s_cselect_b32 s36, s34, s28
	s_cselect_b32 s25, s35, s29
	s_and_b32 s41, s22, 0xffff
	s_mov_b32 s42, s38
	s_mov_b32 s43, s39
	v_lshlrev_b32_e32 v2, 5, v0
	s_and_b32 s37, s25, 0xffff
	buffer_load_dwordx4 v[66:69], v2, s[40:43], 0 offen
	buffer_load_dwordx4 v[70:73], v2, s[40:43], 16 offen
	;; [unrolled: 1-line block ×4, first 2 shown]
.LBB764_3:
	s_or_b64 exec, exec, s[2:3]
	s_and_b64 vcc, exec, s[18:19]
	s_cbranch_vccz .LBB764_7
; %bb.4:
	v_mov_b32_e32 v75, 0
	v_mov_b32_e32 v74, 0
	;; [unrolled: 1-line block ×16, first 2 shown]
	s_and_saveexec_b64 s[2:3], s[0:1]
	s_cbranch_execz .LBB764_6
; %bb.5:
	s_waitcnt vmcnt(3)
	v_cvt_f32_u32_sdwa v2, v66 dst_sel:DWORD dst_unused:UNUSED_PAD src0_sel:WORD_0
	v_cvt_f32_u32_sdwa v3, v66 dst_sel:DWORD dst_unused:UNUSED_PAD src0_sel:WORD_1
	v_cvt_f32_u32_sdwa v6, v67 dst_sel:DWORD dst_unused:UNUSED_PAD src0_sel:WORD_0
	v_cvt_f32_u32_sdwa v7, v67 dst_sel:DWORD dst_unused:UNUSED_PAD src0_sel:WORD_1
	;; [unrolled: 2-line block ×4, first 2 shown]
	s_waitcnt vmcnt(2)
	v_cvt_f32_u32_sdwa v50, v70 dst_sel:DWORD dst_unused:UNUSED_PAD src0_sel:WORD_0
	v_cvt_f32_u32_sdwa v51, v70 dst_sel:DWORD dst_unused:UNUSED_PAD src0_sel:WORD_1
	v_cvt_f32_u32_sdwa v24, v71 dst_sel:DWORD dst_unused:UNUSED_PAD src0_sel:WORD_0
	v_cvt_f32_u32_sdwa v25, v71 dst_sel:DWORD dst_unused:UNUSED_PAD src0_sel:WORD_1
	;; [unrolled: 2-line block ×4, first 2 shown]
.LBB764_6:
	s_or_b64 exec, exec, s[2:3]
	s_cbranch_execz .LBB764_8
	s_branch .LBB764_11
.LBB764_7:
                                        ; implicit-def: $vgpr2_vgpr3_vgpr4_vgpr5_vgpr6_vgpr7_vgpr8_vgpr9_vgpr10_vgpr11_vgpr12_vgpr13_vgpr14_vgpr15_vgpr16_vgpr17
                                        ; implicit-def: $vgpr36_vgpr37_vgpr38_vgpr39_vgpr40_vgpr41_vgpr42_vgpr43_vgpr44_vgpr45_vgpr46_vgpr47_vgpr48_vgpr49_vgpr50_vgpr51
                                        ; implicit-def: $vgpr4_vgpr5_vgpr6_vgpr7_vgpr8_vgpr9_vgpr10_vgpr11_vgpr12_vgpr13_vgpr14_vgpr15_vgpr16_vgpr17_vgpr18_vgpr19
                                        ; implicit-def: $vgpr24_vgpr25_vgpr26_vgpr27_vgpr28_vgpr29_vgpr30_vgpr31_vgpr32_vgpr33_vgpr34_vgpr35_vgpr36_vgpr37_vgpr38_vgpr39
                                        ; implicit-def: $vgpr75
                                        ; implicit-def: $vgpr42_vgpr43_vgpr44_vgpr45_vgpr46_vgpr47_vgpr48_vgpr49_vgpr50_vgpr51_vgpr52_vgpr53_vgpr54_vgpr55_vgpr56_vgpr57
                                        ; implicit-def: $vgpr14_vgpr15_vgpr16_vgpr17_vgpr18_vgpr19_vgpr20_vgpr21_vgpr22_vgpr23_vgpr24_vgpr25_vgpr26_vgpr27_vgpr28_vgpr29
                                        ; implicit-def: $vgpr8_vgpr9_vgpr10_vgpr11_vgpr12_vgpr13_vgpr14_vgpr15_vgpr16_vgpr17_vgpr18_vgpr19_vgpr20_vgpr21_vgpr22_vgpr23
.LBB764_8:
	v_mov_b32_e32 v75, 0
	v_mov_b32_e32 v74, 0
	;; [unrolled: 1-line block ×16, first 2 shown]
	s_and_saveexec_b64 s[2:3], s[0:1]
	s_cbranch_execz .LBB764_10
; %bb.9:
	s_load_dwordx2 s[30:31], s[4:5], 0x38
	s_mul_hi_i32 s35, s27, s6
	s_mul_i32 s34, s27, s6
	s_lshl_b64 s[34:35], s[34:35], 1
	s_mov_b32 s39, 0x20000
	s_waitcnt lgkmcnt(0)
	s_add_u32 s36, s30, s34
	s_addc_u32 s22, s31, s35
	s_and_b32 s37, s22, 0xffff
	v_lshlrev_b32_e32 v38, 5, v0
	buffer_load_dwordx4 v[6:9], v38, s[36:39], 16 offen
	buffer_load_dwordx4 v[10:13], v38, s[36:39], 0 offen
	s_load_dwordx2 s[30:31], s[4:5], 0x20
	s_waitcnt vmcnt(5)
	v_cvt_f32_u32_sdwa v3, v66 dst_sel:DWORD dst_unused:UNUSED_PAD src0_sel:WORD_1
	v_cvt_f32_u32_sdwa v2, v66 dst_sel:DWORD dst_unused:UNUSED_PAD src0_sel:WORD_0
	v_cvt_f32_u32_sdwa v21, v67 dst_sel:DWORD dst_unused:UNUSED_PAD src0_sel:WORD_1
	v_cvt_f32_u32_sdwa v20, v67 dst_sel:DWORD dst_unused:UNUSED_PAD src0_sel:WORD_0
	;; [unrolled: 2-line block ×4, first 2 shown]
	s_waitcnt vmcnt(4)
	v_cvt_f32_u32_sdwa v5, v70 dst_sel:DWORD dst_unused:UNUSED_PAD src0_sel:WORD_1
	v_cvt_f32_u32_sdwa v4, v70 dst_sel:DWORD dst_unused:UNUSED_PAD src0_sel:WORD_0
	v_cvt_f32_u32_sdwa v15, v71 dst_sel:DWORD dst_unused:UNUSED_PAD src0_sel:WORD_1
	v_cvt_f32_u32_sdwa v14, v71 dst_sel:DWORD dst_unused:UNUSED_PAD src0_sel:WORD_0
	v_cvt_f32_u32_sdwa v17, v72 dst_sel:DWORD dst_unused:UNUSED_PAD src0_sel:WORD_1
	v_cvt_f32_u32_sdwa v16, v72 dst_sel:DWORD dst_unused:UNUSED_PAD src0_sel:WORD_0
	v_cvt_f32_u32_sdwa v18, v73 dst_sel:DWORD dst_unused:UNUSED_PAD src0_sel:WORD_0
	v_cvt_f32_u32_sdwa v19, v73 dst_sel:DWORD dst_unused:UNUSED_PAD src0_sel:WORD_1
	s_mul_hi_i32 s35, s17, s6
	s_mul_i32 s34, s17, s6
	s_lshl_b64 s[34:35], s[34:35], 1
	s_waitcnt lgkmcnt(0)
	s_add_u32 s36, s30, s34
	s_mov_b32 s17, 0x7060302
	s_addc_u32 s22, s31, s35
	s_and_b32 s37, s22, 0xffff
	s_waitcnt vmcnt(1)
	v_cvt_f32_u32_sdwa v27, v6 dst_sel:DWORD dst_unused:UNUSED_PAD src0_sel:WORD_1
	v_cvt_f32_u32_sdwa v26, v6 dst_sel:DWORD dst_unused:UNUSED_PAD src0_sel:WORD_0
	v_cvt_f32_u32_sdwa v29, v7 dst_sel:DWORD dst_unused:UNUSED_PAD src0_sel:WORD_1
	v_cvt_f32_u32_sdwa v28, v7 dst_sel:DWORD dst_unused:UNUSED_PAD src0_sel:WORD_0
	;; [unrolled: 2-line block ×3, first 2 shown]
	v_cvt_f32_u32_sdwa v34, v9 dst_sel:DWORD dst_unused:UNUSED_PAD src0_sel:WORD_0
	v_cvt_f32_u32_sdwa v35, v9 dst_sel:DWORD dst_unused:UNUSED_PAD src0_sel:WORD_1
	s_waitcnt vmcnt(0)
	v_cvt_f32_u32_sdwa v37, v10 dst_sel:DWORD dst_unused:UNUSED_PAD src0_sel:WORD_1
	v_cvt_f32_u32_sdwa v36, v10 dst_sel:DWORD dst_unused:UNUSED_PAD src0_sel:WORD_0
	v_cvt_f32_u32_sdwa v7, v12 dst_sel:DWORD dst_unused:UNUSED_PAD src0_sel:WORD_1
	v_cvt_f32_u32_sdwa v6, v12 dst_sel:DWORD dst_unused:UNUSED_PAD src0_sel:WORD_0
	;; [unrolled: 2-line block ×4, first 2 shown]
	v_pk_add_f32 v[40:41], v[22:23], v[6:7]
	v_pk_add_f32 v[30:31], v[24:25], v[8:9]
	;; [unrolled: 1-line block ×4, first 2 shown]
	v_perm_b32 v11, v31, v30, s17
	v_perm_b32 v10, v41, v40, s17
	;; [unrolled: 1-line block ×4, first 2 shown]
	v_pk_add_f32 v[74:75], v[18:19], v[34:35]
	v_pk_add_f32 v[20:21], v[16:17], v[32:33]
	;; [unrolled: 1-line block ×4, first 2 shown]
	buffer_store_dwordx4 v[8:11], v38, s[36:39], 0 offen
	;;#ASMSTART
	s_nop 0
	;;#ASMEND
	s_nop 0
	v_perm_b32 v11, v75, v74, s17
	v_perm_b32 v10, v21, v20, s17
	;; [unrolled: 1-line block ×4, first 2 shown]
	buffer_store_dwordx4 v[8:11], v38, s[36:39], 16 offen
	;;#ASMSTART
	s_nop 0
	;;#ASMEND
.LBB764_10:
	s_or_b64 exec, exec, s[2:3]
.LBB764_11:
	v_mul_f32_e32 v4, v3, v3
	v_fmac_f32_e32 v4, v2, v2
	v_fmac_f32_e32 v4, v6, v6
	;; [unrolled: 1-line block ×15, first 2 shown]
	s_nop 1
	v_mov_b32_dpp v5, v4 quad_perm:[1,0,3,2] row_mask:0xf bank_mask:0xf
	v_add_f32_e32 v4, v4, v5
	s_nop 1
	v_mov_b32_dpp v5, v4 quad_perm:[2,3,0,1] row_mask:0xf bank_mask:0xf
	v_add_f32_e32 v4, v4, v5
	s_nop 1
	v_mov_b32_dpp v5, v4 row_half_mirror row_mask:0xf bank_mask:0xf
	v_add_f32_e32 v4, v4, v5
	s_nop 1
	v_mov_b32_dpp v5, v4 row_mirror row_mask:0xf bank_mask:0xf
	v_add_f32_e32 v4, v4, v5
	s_nop 1
	v_mov_b32_dpp v5, v4 row_bcast:15 row_mask:0xf bank_mask:0xf
	v_add_f32_e32 v4, v4, v5
	v_and_b32_e32 v5, 63, v0
	v_cmp_eq_u32_e64 s[2:3], 63, v5
	s_nop 0
	v_mov_b32_dpp v5, v4 row_bcast:31 row_mask:0xf bank_mask:0xf
	s_and_saveexec_b64 s[30:31], s[2:3]
	s_cbranch_execz .LBB764_13
; %bb.12:
	v_add_f32_e32 v4, v4, v5
	v_lshrrev_b32_e32 v5, 4, v0
	v_and_b32_e32 v5, 60, v5
	ds_write_b32 v5, v4 offset:16
.LBB764_13:
	s_or_b64 exec, exec, s[30:31]
	v_and_b32_e32 v4, 3, v0
	v_lshlrev_b32_e32 v34, 2, v4
	s_waitcnt lgkmcnt(0)
	s_barrier
	ds_read_b32 v4, v34 offset:16
	s_load_dwordx2 s[34:35], s[4:5], 0x18
	s_waitcnt lgkmcnt(0)
	v_mov_b32_dpp v5, v4 quad_perm:[1,0,3,2] row_mask:0xf bank_mask:0xf
	v_add_f32_e32 v4, v4, v5
	s_nop 1
	v_mov_b32_dpp v5, v4 quad_perm:[2,3,0,1] row_mask:0xf bank_mask:0xf
	s_and_saveexec_b64 s[30:31], s[0:1]
	s_cbranch_execnz .LBB764_18
; %bb.14:
	s_or_b64 exec, exec, s[30:31]
	s_mov_b64 s[8:9], -1
	s_and_b64 vcc, exec, s[18:19]
	s_cbranch_vccnz .LBB764_19
.LBB764_15:
	s_andn2_b64 vcc, exec, s[8:9]
	s_cbranch_vccz .LBB764_22
.LBB764_16:
	s_cmp_lt_i32 s24, 1
	s_cbranch_scc0 .LBB764_31
.LBB764_17:
	s_endpgm
.LBB764_18:
	v_add_f32_e32 v4, v4, v5
	v_cvt_f32_u32_e32 v5, s7
	s_mov_b32 s7, 0x800000
	s_waitcnt vmcnt(1)
	v_cvt_f32_u32_sdwa v15, v62 dst_sel:DWORD dst_unused:UNUSED_PAD src0_sel:WORD_1
	v_cvt_f32_u32_sdwa v14, v62 dst_sel:DWORD dst_unused:UNUSED_PAD src0_sel:WORD_0
	v_div_scale_f32 v8, s[36:37], v5, v5, v4
	v_rcp_f32_e32 v9, v8
	v_pk_add_f32 v[14:15], v[14:15], 1.0 op_sel_hi:[1,0]
	v_cvt_f32_u32_sdwa v23, v65 dst_sel:DWORD dst_unused:UNUSED_PAD src0_sel:WORD_1
	v_cvt_f32_u32_sdwa v22, v65 dst_sel:DWORD dst_unused:UNUSED_PAD src0_sel:WORD_0
	v_fma_f32 v10, -v8, v9, 1.0
	v_fmac_f32_e32 v9, v10, v9
	v_div_scale_f32 v10, vcc, v4, v5, v4
	v_mul_f32_e32 v11, v10, v9
	v_fma_f32 v12, -v8, v11, v10
	v_fmac_f32_e32 v11, v12, v9
	v_fma_f32 v8, -v8, v11, v10
	v_div_fmas_f32 v8, v8, v9, v11
	v_div_fixup_f32 v4, v8, v5, v4
	v_mov_b32_e32 v5, s21
	v_mov_b32_e32 v8, s20
	v_cndmask_b32_e64 v5, v5, v8, s[8:9]
	v_add_f32_e32 v4, v5, v4
	v_mul_f32_e32 v5, 0x4b800000, v4
	v_cmp_gt_f32_e32 vcc, s7, v4
	v_cndmask_b32_e32 v4, v4, v5, vcc
	v_rsq_f32_e32 v4, v4
	s_waitcnt vmcnt(0)
	v_cvt_f32_u32_sdwa v27, v60 dst_sel:DWORD dst_unused:UNUSED_PAD src0_sel:WORD_1
	v_cvt_f32_u32_sdwa v26, v60 dst_sel:DWORD dst_unused:UNUSED_PAD src0_sel:WORD_0
	v_cvt_f32_u32_sdwa v29, v61 dst_sel:DWORD dst_unused:UNUSED_PAD src0_sel:WORD_1
	v_mul_f32_e32 v5, 0x45800000, v4
	v_cndmask_b32_e32 v4, v4, v5, vcc
	v_mov_b32_e32 v5, v4
	;;#ASMSTART
	v_pk_mul_f32 v[2:3], v[2:3], v[4:5]
	;;#ASMEND
	;;#ASMSTART
	v_pk_mul_f32 v[6:7], v[6:7], v[4:5]
	;;#ASMEND
	;; [unrolled: 3-line block ×9, first 2 shown]
	v_cvt_f32_u32_sdwa v15, v63 dst_sel:DWORD dst_unused:UNUSED_PAD src0_sel:WORD_1
	v_cvt_f32_u32_sdwa v14, v63 dst_sel:DWORD dst_unused:UNUSED_PAD src0_sel:WORD_0
	v_cvt_f32_u32_sdwa v21, v64 dst_sel:DWORD dst_unused:UNUSED_PAD src0_sel:WORD_1
	v_cvt_f32_u32_sdwa v20, v64 dst_sel:DWORD dst_unused:UNUSED_PAD src0_sel:WORD_0
	v_cvt_f32_u32_sdwa v25, v59 dst_sel:DWORD dst_unused:UNUSED_PAD src0_sel:WORD_1
	v_pk_add_f32 v[14:15], v[14:15], 1.0 op_sel_hi:[1,0]
	v_cvt_f32_u32_sdwa v24, v59 dst_sel:DWORD dst_unused:UNUSED_PAD src0_sel:WORD_0
	;;#ASMSTART
	v_pk_mul_f32 v[6:7], v[6:7], v[14:15]
	;;#ASMEND
	v_pk_add_f32 v[14:15], v[20:21], 1.0 op_sel_hi:[1,0]
	v_pk_add_f32 v[20:21], v[22:23], 1.0 op_sel_hi:[1,0]
	v_cvt_f32_u32_sdwa v23, v58 dst_sel:DWORD dst_unused:UNUSED_PAD src0_sel:WORD_1
	v_cvt_f32_u32_sdwa v22, v58 dst_sel:DWORD dst_unused:UNUSED_PAD src0_sel:WORD_0
	v_cvt_f32_u32_sdwa v28, v61 dst_sel:DWORD dst_unused:UNUSED_PAD src0_sel:WORD_0
	v_pk_add_f32 v[24:25], v[24:25], 1.0 op_sel_hi:[1,0]
	v_pk_add_f32 v[26:27], v[26:27], 1.0 op_sel_hi:[1,0]
	;; [unrolled: 1-line block ×4, first 2 shown]
	;;#ASMSTART
	v_pk_mul_f32 v[40:41], v[8:9], v[14:15]
	;;#ASMEND
	;;#ASMSTART
	v_pk_mul_f32 v[30:31], v[10:11], v[20:21]
	;;#ASMEND
	;;#ASMSTART
	v_pk_mul_f32 v[50:51], v[12:13], v[22:23]
	;;#ASMEND
	;;#ASMSTART
	v_pk_mul_f32 v[24:25], v[16:17], v[24:25]
	;;#ASMEND
	;;#ASMSTART
	v_pk_mul_f32 v[20:21], v[18:19], v[26:27]
	;;#ASMEND
	;;#ASMSTART
	v_pk_mul_f32 v[74:75], v[4:5], v[28:29]
	;;#ASMEND
	s_or_b64 exec, exec, s[30:31]
	s_mov_b64 s[8:9], -1
	s_and_b64 vcc, exec, s[18:19]
	s_cbranch_vccz .LBB764_15
.LBB764_19:
	s_and_saveexec_b64 s[8:9], s[0:1]
	s_cbranch_execz .LBB764_21
; %bb.20:
	s_mul_hi_i32 s19, s16, s6
	s_mul_i32 s18, s16, s6
	s_lshl_b64 s[18:19], s[18:19], 1
	s_add_u32 s36, s34, s18
	s_addc_u32 s7, s35, s19
	s_and_b32 s37, s7, 0xffff
	s_mov_b32 s7, 0x7060302
	s_mov_b32 s39, 0x20000
	v_perm_b32 v11, v31, v30, s7
	v_perm_b32 v10, v41, v40, s7
	;; [unrolled: 1-line block ×4, first 2 shown]
	v_lshlrev_b32_e32 v4, 5, v0
	buffer_store_dwordx4 v[8:11], v4, s[36:39], 0 offen
	;;#ASMSTART
	s_nop 0
	;;#ASMEND
	s_nop 0
	v_perm_b32 v11, v75, v74, s7
	v_perm_b32 v10, v21, v20, s7
	;; [unrolled: 1-line block ×4, first 2 shown]
	buffer_store_dwordx4 v[8:11], v4, s[36:39], 16 offen
	;;#ASMSTART
	s_nop 0
	;;#ASMEND
.LBB764_21:
	s_or_b64 exec, exec, s[8:9]
	s_cbranch_execnz .LBB764_16
.LBB764_22:
	v_mov_b32_e32 v4, 0
	s_and_saveexec_b64 s[8:9], s[0:1]
	s_cbranch_execz .LBB764_24
; %bb.23:
	s_load_dwordx2 s[18:19], s[4:5], 0x10
	s_mul_hi_i32 s31, s15, s6
	s_mul_i32 s30, s15, s6
	s_lshl_b64 s[30:31], s[30:31], 1
	s_mov_b32 s39, 0x20000
	s_waitcnt lgkmcnt(0)
	s_add_u32 s36, s18, s30
	s_addc_u32 s7, s19, s31
	s_and_b32 s37, s7, 0xffff
	s_mov_b32 s7, 0x7060302
	v_perm_b32 v11, v31, v30, s7
	v_perm_b32 v10, v41, v40, s7
	;; [unrolled: 1-line block ×4, first 2 shown]
	v_lshlrev_b32_e32 v4, 5, v0
	buffer_store_dwordx4 v[8:11], v4, s[36:39], 0 offen
	;;#ASMSTART
	s_nop 0
	;;#ASMEND
	s_nop 0
	v_perm_b32 v11, v75, v74, s7
	v_perm_b32 v10, v21, v20, s7
	;; [unrolled: 1-line block ×4, first 2 shown]
	buffer_store_dwordx4 v[8:11], v4, s[36:39], 16 offen
	v_mov_b32_e32 v4, 0x2edbe6ff
	;;#ASMSTART
	s_nop 0
	;;#ASMEND
.LBB764_24:
	s_or_b64 exec, exec, s[8:9]
	s_and_saveexec_b64 s[8:9], s[0:1]
	s_cbranch_execz .LBB764_26
; %bb.25:
	v_and_b32_e32 v2, 0x7fffffff, v2
	v_and_b32_e32 v3, 0x7fffffff, v3
	;;#ASMSTART
	v_max3_f32 v2, v4, v2, v3

	;;#ASMEND
	v_and_b32_e32 v5, 0x7fffffff, v6
	v_and_b32_e32 v6, 0x7fffffff, v7
	;;#ASMSTART
	v_max3_f32 v2, v2, v5, v6

	;;#ASMEND
	;; [unrolled: 6-line block ×8, first 2 shown]
.LBB764_26:
	s_or_b64 exec, exec, s[8:9]
	;;#ASMSTART
	v_max_f32 v2, v4, v4 quad_perm:[1,0,3,2] row_mask:0xf bank_mask:0xf bound_ctrl:1
	;;#ASMEND
	;;#ASMSTART
	v_max_f32 v3, v2, v2 quad_perm:[2,3,0,1] row_mask:0xf bank_mask:0xf bound_ctrl:1
	;;#ASMEND
	;;#ASMSTART
	v_max_f32 v2, v3, v3 row_half_mirror row_mask:0xf bank_mask:0xf bound_ctrl:1
	;;#ASMEND
	v_and_b32_e32 v3, 7, v0
	v_cmp_eq_u32_e32 vcc, 0, v3
	v_cmp_gt_i32_e64 s[8:9], s23, v1
	s_and_b64 s[18:19], vcc, s[8:9]
	s_and_saveexec_b64 s[8:9], s[18:19]
	s_cbranch_execz .LBB764_28
; %bb.27:
	s_load_dwordx2 s[18:19], s[4:5], 0x8
	v_mul_f32_e32 v2, 0x3e2aaaab, v2
	v_lshrrev_b32_e32 v3, 23, v2
	v_and_b32_e32 v4, 0x7f800000, v2
	v_and_b32_e32 v2, 0x7fffff, v2
	v_cmp_ne_u32_e32 vcc, 0, v2
	s_mul_hi_i32 s15, s13, s6
	s_mul_i32 s13, s13, s6
	s_mov_b32 s7, 0x7f800000
	v_addc_co_u32_e32 v2, vcc, 0, v3, vcc
	s_waitcnt lgkmcnt(0)
	s_add_u32 s18, s18, s13
	v_cmp_ne_u32_e32 vcc, s7, v4
	s_addc_u32 s19, s19, s15
	v_lshrrev_b32_e32 v5, 3, v0
	v_cndmask_b32_e32 v4, -1, v2, vcc
	v_pk_mov_b32 v[2:3], s[18:19], s[18:19] op_sel:[0,1]
	v_mad_i64_i32 v[2:3], s[14:15], s14, v5, v[2:3]
	global_store_byte v[2:3], v4, off
.LBB764_28:
	s_or_b64 exec, exec, s[8:9]
	s_and_saveexec_b64 s[8:9], s[0:1]
	s_cbranch_execz .LBB764_30
; %bb.29:
	s_load_dwordx2 s[0:1], s[4:5], 0x0
	s_mul_hi_i32 s7, s12, s6
	s_mul_i32 s12, s12, s6
	v_mov_b32_e32 v2, 0
	v_lshlrev_b32_e32 v4, 3, v0
	s_waitcnt lgkmcnt(0)
	s_add_u32 s12, s0, s12
	s_addc_u32 s0, s1, s7
	s_lshr_b32 s1, s23, 31
	s_add_i32 s1, s23, s1
	s_ashr_i32 s1, s1, 1
	s_add_i32 s1, s1, 3
	s_ashr_i32 s7, s1, 31
	s_lshr_b32 s7, s7, 30
	s_add_i32 s1, s1, s7
	s_and_b32 s14, s1, -4
	s_and_b32 s13, s0, 0xffff
	s_mov_b32 s15, 0x20000
	v_mov_b32_e32 v3, v2
	buffer_store_dwordx2 v[2:3], v4, s[12:15], 0 offen
	;;#ASMSTART
	s_nop 0
	;;#ASMEND
.LBB764_30:
	s_or_b64 exec, exec, s[8:9]
	s_cmp_lt_i32 s24, 1
	s_cbranch_scc1 .LBB764_17
.LBB764_31:
	s_load_dword s0, s[4:5], 0x94
	s_waitcnt lgkmcnt(0)
	s_cmp_lg_u32 s0, 1
	s_cbranch_scc1 .LBB764_17
; %bb.32:
	s_lshl_b32 s0, s24, 1
	s_add_i32 s0, s0, 2
	v_cmp_gt_u32_e32 vcc, s24, v1
	s_and_b32 s30, s0, -4
	v_mov_b32_e32 v18, 0
	v_lshlrev_b32_e32 v1, 5, v0
	v_mov_b32_e32 v14, 0
	v_mov_b32_e32 v15, 0
	;; [unrolled: 1-line block ×16, first 2 shown]
	s_barrier
	s_and_saveexec_b64 s[0:1], vcc
	s_cbranch_execz .LBB764_34
; %bb.33:
	s_mul_hi_i32 s5, s26, s6
	s_mul_i32 s4, s26, s6
	s_and_b32 s29, s29, 0xffff
	s_lshl_b64 s[4:5], s[4:5], 1
	s_add_u32 s8, s10, s4
	s_mov_b32 s31, 0x20000
	s_addc_u32 s4, s11, s5
	s_and_b32 s9, s4, 0xffff
	s_mov_b32 s10, s30
	s_mov_b32 s11, s31
	buffer_load_dwordx4 v[14:17], v1, s[8:11], 0 offen
	buffer_load_dwordx4 v[10:13], v1, s[8:11], 16 offen
	;; [unrolled: 1-line block ×4, first 2 shown]
.LBB764_34:
	s_or_b64 exec, exec, s[0:1]
	v_mov_b32_e32 v19, 0
	v_mov_b32_e32 v32, 0
	;; [unrolled: 1-line block ×15, first 2 shown]
	s_and_saveexec_b64 s[0:1], vcc
	s_cbranch_execz .LBB764_36
; %bb.35:
	s_waitcnt vmcnt(3)
	v_cvt_f32_u32_sdwa v18, v14 dst_sel:DWORD dst_unused:UNUSED_PAD src0_sel:WORD_0
	v_cvt_f32_u32_sdwa v19, v14 dst_sel:DWORD dst_unused:UNUSED_PAD src0_sel:WORD_1
	v_cvt_f32_u32_sdwa v32, v15 dst_sel:DWORD dst_unused:UNUSED_PAD src0_sel:WORD_0
	v_cvt_f32_u32_sdwa v33, v15 dst_sel:DWORD dst_unused:UNUSED_PAD src0_sel:WORD_1
	;; [unrolled: 2-line block ×4, first 2 shown]
	s_waitcnt vmcnt(2)
	v_cvt_f32_u32_sdwa v26, v10 dst_sel:DWORD dst_unused:UNUSED_PAD src0_sel:WORD_0
	v_cvt_f32_u32_sdwa v27, v10 dst_sel:DWORD dst_unused:UNUSED_PAD src0_sel:WORD_1
	v_cvt_f32_u32_sdwa v24, v11 dst_sel:DWORD dst_unused:UNUSED_PAD src0_sel:WORD_0
	v_cvt_f32_u32_sdwa v25, v11 dst_sel:DWORD dst_unused:UNUSED_PAD src0_sel:WORD_1
	;; [unrolled: 2-line block ×4, first 2 shown]
.LBB764_36:
	s_or_b64 exec, exec, s[0:1]
	s_waitcnt vmcnt(2)
	v_mul_f32_e32 v10, v19, v19
	v_fmac_f32_e32 v10, v18, v18
	v_fmac_f32_e32 v10, v32, v32
	v_fmac_f32_e32 v10, v33, v33
	v_fmac_f32_e32 v10, v30, v30
	v_fmac_f32_e32 v10, v31, v31
	v_fmac_f32_e32 v10, v28, v28
	v_fmac_f32_e32 v10, v29, v29
	v_fmac_f32_e32 v10, v26, v26
	v_fmac_f32_e32 v10, v27, v27
	v_fmac_f32_e32 v10, v24, v24
	v_fmac_f32_e32 v10, v25, v25
	v_fmac_f32_e32 v10, v22, v22
	v_fmac_f32_e32 v10, v23, v23
	v_fmac_f32_e32 v10, v20, v20
	v_fmac_f32_e32 v10, v21, v21
	s_nop 1
	v_mov_b32_dpp v11, v10 quad_perm:[1,0,3,2] row_mask:0xf bank_mask:0xf
	v_add_f32_e32 v10, v10, v11
	s_nop 1
	v_mov_b32_dpp v11, v10 quad_perm:[2,3,0,1] row_mask:0xf bank_mask:0xf
	v_add_f32_e32 v10, v10, v11
	s_nop 1
	v_mov_b32_dpp v11, v10 row_half_mirror row_mask:0xf bank_mask:0xf
	v_add_f32_e32 v10, v10, v11
	s_nop 1
	v_mov_b32_dpp v11, v10 row_mirror row_mask:0xf bank_mask:0xf
	v_add_f32_e32 v10, v10, v11
	s_nop 1
	v_mov_b32_dpp v11, v10 row_bcast:15 row_mask:0xf bank_mask:0xf
	v_add_f32_e32 v10, v10, v11
	s_nop 1
	v_mov_b32_dpp v11, v10 row_bcast:31 row_mask:0xf bank_mask:0xf
	s_and_saveexec_b64 s[0:1], s[2:3]
	s_cbranch_execz .LBB764_38
; %bb.37:
	v_lshrrev_b32_e32 v0, 4, v0
	v_add_f32_e32 v10, v10, v11
	v_and_b32_e32 v0, 60, v0
	ds_write_b32 v0, v10
.LBB764_38:
	s_or_b64 exec, exec, s[0:1]
	s_waitcnt lgkmcnt(0)
	s_barrier
	ds_read_b32 v0, v34
	s_waitcnt lgkmcnt(0)
	s_nop 0
	v_mov_b32_dpp v10, v0 quad_perm:[1,0,3,2] row_mask:0xf bank_mask:0xf
	v_add_f32_e32 v0, v0, v10
	s_nop 1
	v_mov_b32_dpp v10, v0 quad_perm:[2,3,0,1] row_mask:0xf bank_mask:0xf
	s_and_saveexec_b64 s[0:1], vcc
	s_cbranch_execz .LBB764_17
; %bb.39:
	v_cvt_f32_u32_e32 v11, s24
	v_add_f32_e32 v0, v0, v10
	s_mov_b32 s31, 0x20000
	v_div_scale_f32 v10, s[0:1], v11, v11, v0
	v_rcp_f32_e32 v12, v10
	v_div_scale_f32 v13, vcc, v0, v11, v0
	s_mov_b32 s0, 0x800000
	v_fma_f32 v14, -v10, v12, 1.0
	v_fmac_f32_e32 v12, v14, v12
	v_mul_f32_e32 v14, v13, v12
	v_fma_f32 v15, -v10, v14, v13
	v_fmac_f32_e32 v14, v15, v12
	v_fma_f32 v10, -v10, v14, v13
	v_div_fmas_f32 v10, v10, v12, v14
	v_div_fixup_f32 v0, v10, v11, v0
	v_add_f32_e32 v0, s21, v0
	v_mul_f32_e32 v10, 0x4b800000, v0
	v_cmp_gt_f32_e32 vcc, s0, v0
	v_cndmask_b32_e32 v0, v0, v10, vcc
	v_rsq_f32_e32 v0, v0
	s_mul_hi_i32 s1, s16, s6
	s_mul_i32 s0, s16, s6
	s_lshl_b64 s[0:1], s[0:1], 1
	v_mul_f32_e32 v10, 0x45800000, v0
	v_cndmask_b32_e32 v10, v0, v10, vcc
	v_mov_b32_e32 v11, v10
	;;#ASMSTART
	v_pk_mul_f32 v[12:13], v[18:19], v[10:11]
	;;#ASMEND
	;;#ASMSTART
	v_pk_mul_f32 v[14:15], v[32:33], v[10:11]
	;;#ASMEND
	;; [unrolled: 3-line block ×4, first 2 shown]
	s_waitcnt vmcnt(1)
	v_cvt_f32_u32_sdwa v29, v6 dst_sel:DWORD dst_unused:UNUSED_PAD src0_sel:WORD_1
	v_cvt_f32_u32_sdwa v28, v6 dst_sel:DWORD dst_unused:UNUSED_PAD src0_sel:WORD_0
	v_cvt_f32_u32_sdwa v31, v7 dst_sel:DWORD dst_unused:UNUSED_PAD src0_sel:WORD_1
	v_cvt_f32_u32_sdwa v30, v7 dst_sel:DWORD dst_unused:UNUSED_PAD src0_sel:WORD_0
	;;#ASMSTART
	v_pk_mul_f32 v[26:27], v[26:27], v[10:11]
	;;#ASMEND
	;;#ASMSTART
	v_pk_mul_f32 v[24:25], v[24:25], v[10:11]
	;;#ASMEND
	;; [unrolled: 3-line block ×4, first 2 shown]
	v_cvt_f32_u32_sdwa v21, v8 dst_sel:DWORD dst_unused:UNUSED_PAD src0_sel:WORD_1
	v_cvt_f32_u32_sdwa v20, v8 dst_sel:DWORD dst_unused:UNUSED_PAD src0_sel:WORD_0
	v_pk_add_f32 v[10:11], v[28:29], 1.0 op_sel_hi:[1,0]
	;;#ASMSTART
	v_pk_mul_f32 v[10:11], v[12:13], v[10:11]
	;;#ASMEND
	v_pk_add_f32 v[12:13], v[30:31], 1.0 op_sel_hi:[1,0]
	v_cvt_f32_u32_sdwa v29, v9 dst_sel:DWORD dst_unused:UNUSED_PAD src0_sel:WORD_1
	v_cvt_f32_u32_sdwa v28, v9 dst_sel:DWORD dst_unused:UNUSED_PAD src0_sel:WORD_0
	;;#ASMSTART
	v_pk_mul_f32 v[8:9], v[14:15], v[12:13]
	;;#ASMEND
	v_pk_add_f32 v[12:13], v[20:21], 1.0 op_sel_hi:[1,0]
	;;#ASMSTART
	v_pk_mul_f32 v[12:13], v[16:17], v[12:13]
	;;#ASMEND
	s_waitcnt vmcnt(0)
	v_cvt_f32_u32_sdwa v17, v2 dst_sel:DWORD dst_unused:UNUSED_PAD src0_sel:WORD_1
	v_cvt_f32_u32_sdwa v16, v2 dst_sel:DWORD dst_unused:UNUSED_PAD src0_sel:WORD_0
	v_cvt_f32_u32_sdwa v21, v3 dst_sel:DWORD dst_unused:UNUSED_PAD src0_sel:WORD_1
	v_cvt_f32_u32_sdwa v20, v3 dst_sel:DWORD dst_unused:UNUSED_PAD src0_sel:WORD_0
	v_pk_add_f32 v[14:15], v[28:29], 1.0 op_sel_hi:[1,0]
	;;#ASMSTART
	v_pk_mul_f32 v[14:15], v[18:19], v[14:15]
	;;#ASMEND
	v_pk_add_f32 v[2:3], v[16:17], 1.0 op_sel_hi:[1,0]
	v_cvt_f32_u32_sdwa v19, v4 dst_sel:DWORD dst_unused:UNUSED_PAD src0_sel:WORD_1
	v_cvt_f32_u32_sdwa v18, v4 dst_sel:DWORD dst_unused:UNUSED_PAD src0_sel:WORD_0
	;;#ASMSTART
	v_pk_mul_f32 v[16:17], v[26:27], v[2:3]
	;;#ASMEND
	v_pk_add_f32 v[2:3], v[20:21], 1.0 op_sel_hi:[1,0]
	v_cvt_f32_u32_sdwa v21, v5 dst_sel:DWORD dst_unused:UNUSED_PAD src0_sel:WORD_1
	v_cvt_f32_u32_sdwa v20, v5 dst_sel:DWORD dst_unused:UNUSED_PAD src0_sel:WORD_0
	s_add_u32 s28, s34, s0
	;;#ASMSTART
	v_pk_mul_f32 v[24:25], v[24:25], v[2:3]
	;;#ASMEND
	v_pk_add_f32 v[2:3], v[18:19], 1.0 op_sel_hi:[1,0]
	s_addc_u32 s0, s35, s1
	;;#ASMSTART
	v_pk_mul_f32 v[18:19], v[22:23], v[2:3]
	;;#ASMEND
	v_pk_add_f32 v[2:3], v[20:21], 1.0 op_sel_hi:[1,0]
	s_and_b32 s29, s0, 0xffff
	s_mov_b32 s0, 0x7060302
	;;#ASMSTART
	v_pk_mul_f32 v[6:7], v[6:7], v[2:3]
	;;#ASMEND
	v_perm_b32 v2, v11, v10, s0
	v_perm_b32 v3, v9, v8, s0
	;; [unrolled: 1-line block ×4, first 2 shown]
	buffer_store_dwordx4 v[2:5], v1, s[28:31], 0 offen
	;;#ASMSTART
	s_nop 0
	;;#ASMEND
	s_nop 0
	v_perm_b32 v2, v17, v16, s0
	v_perm_b32 v3, v25, v24, s0
	;; [unrolled: 1-line block ×4, first 2 shown]
	buffer_store_dwordx4 v[2:5], v1, s[28:31], 16 offen
	;;#ASMSTART
	s_nop 0
	;;#ASMEND
	s_endpgm
	.section	.rodata,"a",@progbits
	.p2align	6, 0x0
	.amdhsa_kernel _ZN5aiter35fused_qk_rmsnorm_group_quant_kernelItN4opus5fp4_tELi256ELi16ELi8ELb1ELb1ELb1ELb0ELb0ELb0EEEvPT0_PvPT_S7_S7_PKS6_S9_S9_S9_S9_ffiiiiiiiiiiiii
		.amdhsa_group_segment_fixed_size 32
		.amdhsa_private_segment_fixed_size 0
		.amdhsa_kernarg_size 400
		.amdhsa_user_sgpr_count 6
		.amdhsa_user_sgpr_private_segment_buffer 1
		.amdhsa_user_sgpr_dispatch_ptr 0
		.amdhsa_user_sgpr_queue_ptr 0
		.amdhsa_user_sgpr_kernarg_segment_ptr 1
		.amdhsa_user_sgpr_dispatch_id 0
		.amdhsa_user_sgpr_flat_scratch_init 0
		.amdhsa_user_sgpr_kernarg_preload_length 0
		.amdhsa_user_sgpr_kernarg_preload_offset 0
		.amdhsa_user_sgpr_private_segment_size 0
		.amdhsa_uses_dynamic_stack 0
		.amdhsa_system_sgpr_private_segment_wavefront_offset 0
		.amdhsa_system_sgpr_workgroup_id_x 1
		.amdhsa_system_sgpr_workgroup_id_y 1
		.amdhsa_system_sgpr_workgroup_id_z 0
		.amdhsa_system_sgpr_workgroup_info 0
		.amdhsa_system_vgpr_workitem_id 0
		.amdhsa_next_free_vgpr 76
		.amdhsa_next_free_sgpr 44
		.amdhsa_accum_offset 76
		.amdhsa_reserve_vcc 1
		.amdhsa_reserve_flat_scratch 0
		.amdhsa_float_round_mode_32 0
		.amdhsa_float_round_mode_16_64 0
		.amdhsa_float_denorm_mode_32 3
		.amdhsa_float_denorm_mode_16_64 3
		.amdhsa_dx10_clamp 1
		.amdhsa_ieee_mode 1
		.amdhsa_fp16_overflow 0
		.amdhsa_tg_split 0
		.amdhsa_exception_fp_ieee_invalid_op 0
		.amdhsa_exception_fp_denorm_src 0
		.amdhsa_exception_fp_ieee_div_zero 0
		.amdhsa_exception_fp_ieee_overflow 0
		.amdhsa_exception_fp_ieee_underflow 0
		.amdhsa_exception_fp_ieee_inexact 0
		.amdhsa_exception_int_div_zero 0
	.end_amdhsa_kernel
	.section	.text._ZN5aiter35fused_qk_rmsnorm_group_quant_kernelItN4opus5fp4_tELi256ELi16ELi8ELb1ELb1ELb1ELb0ELb0ELb0EEEvPT0_PvPT_S7_S7_PKS6_S9_S9_S9_S9_ffiiiiiiiiiiiii,"axG",@progbits,_ZN5aiter35fused_qk_rmsnorm_group_quant_kernelItN4opus5fp4_tELi256ELi16ELi8ELb1ELb1ELb1ELb0ELb0ELb0EEEvPT0_PvPT_S7_S7_PKS6_S9_S9_S9_S9_ffiiiiiiiiiiiii,comdat
.Lfunc_end764:
	.size	_ZN5aiter35fused_qk_rmsnorm_group_quant_kernelItN4opus5fp4_tELi256ELi16ELi8ELb1ELb1ELb1ELb0ELb0ELb0EEEvPT0_PvPT_S7_S7_PKS6_S9_S9_S9_S9_ffiiiiiiiiiiiii, .Lfunc_end764-_ZN5aiter35fused_qk_rmsnorm_group_quant_kernelItN4opus5fp4_tELi256ELi16ELi8ELb1ELb1ELb1ELb0ELb0ELb0EEEvPT0_PvPT_S7_S7_PKS6_S9_S9_S9_S9_ffiiiiiiiiiiiii
                                        ; -- End function
	.section	.AMDGPU.csdata,"",@progbits
; Kernel info:
; codeLenInByte = 4072
; NumSgprs: 48
; NumVgprs: 76
; NumAgprs: 0
; TotalNumVgprs: 76
; ScratchSize: 0
; MemoryBound: 0
; FloatMode: 240
; IeeeMode: 1
; LDSByteSize: 32 bytes/workgroup (compile time only)
; SGPRBlocks: 5
; VGPRBlocks: 9
; NumSGPRsForWavesPerEU: 48
; NumVGPRsForWavesPerEU: 76
; AccumOffset: 76
; Occupancy: 6
; WaveLimiterHint : 0
; COMPUTE_PGM_RSRC2:SCRATCH_EN: 0
; COMPUTE_PGM_RSRC2:USER_SGPR: 6
; COMPUTE_PGM_RSRC2:TRAP_HANDLER: 0
; COMPUTE_PGM_RSRC2:TGID_X_EN: 1
; COMPUTE_PGM_RSRC2:TGID_Y_EN: 1
; COMPUTE_PGM_RSRC2:TGID_Z_EN: 0
; COMPUTE_PGM_RSRC2:TIDIG_COMP_CNT: 0
; COMPUTE_PGM_RSRC3_GFX90A:ACCUM_OFFSET: 18
; COMPUTE_PGM_RSRC3_GFX90A:TG_SPLIT: 0
	.section	.text._ZN5aiter35fused_qk_rmsnorm_group_quant_kernelIDF16_DB8_Li256ELi16ELi8ELb1ELb1ELb0ELb0ELb0ELb0EEEvPT0_PvPT_S6_S6_PKS5_S8_S8_S8_S8_ffiiiiiiiiiiiii,"axG",@progbits,_ZN5aiter35fused_qk_rmsnorm_group_quant_kernelIDF16_DB8_Li256ELi16ELi8ELb1ELb1ELb0ELb0ELb0ELb0EEEvPT0_PvPT_S6_S6_PKS5_S8_S8_S8_S8_ffiiiiiiiiiiiii,comdat
	.protected	_ZN5aiter35fused_qk_rmsnorm_group_quant_kernelIDF16_DB8_Li256ELi16ELi8ELb1ELb1ELb0ELb0ELb0ELb0EEEvPT0_PvPT_S6_S6_PKS5_S8_S8_S8_S8_ffiiiiiiiiiiiii ; -- Begin function _ZN5aiter35fused_qk_rmsnorm_group_quant_kernelIDF16_DB8_Li256ELi16ELi8ELb1ELb1ELb0ELb0ELb0ELb0EEEvPT0_PvPT_S6_S6_PKS5_S8_S8_S8_S8_ffiiiiiiiiiiiii
	.globl	_ZN5aiter35fused_qk_rmsnorm_group_quant_kernelIDF16_DB8_Li256ELi16ELi8ELb1ELb1ELb0ELb0ELb0ELb0EEEvPT0_PvPT_S6_S6_PKS5_S8_S8_S8_S8_ffiiiiiiiiiiiii
	.p2align	8
	.type	_ZN5aiter35fused_qk_rmsnorm_group_quant_kernelIDF16_DB8_Li256ELi16ELi8ELb1ELb1ELb0ELb0ELb0ELb0EEEvPT0_PvPT_S6_S6_PKS5_S8_S8_S8_S8_ffiiiiiiiiiiiii,@function
_ZN5aiter35fused_qk_rmsnorm_group_quant_kernelIDF16_DB8_Li256ELi16ELi8ELb1ELb1ELb0ELb0ELb0ELb0EEEvPT0_PvPT_S6_S6_PKS5_S8_S8_S8_S8_ffiiiiiiiiiiiii: ; @_ZN5aiter35fused_qk_rmsnorm_group_quant_kernelIDF16_DB8_Li256ELi16ELi8ELb1ELb1ELb0ELb0ELb0ELb0EEEvPT0_PvPT_S6_S6_PKS5_S8_S8_S8_S8_ffiiiiiiiiiiiii
; %bb.0:
	s_load_dwordx8 s[20:27], s[4:5], 0x50
	s_waitcnt lgkmcnt(0)
	s_cmp_ge_i32 s6, s22
	s_cbranch_scc1 .LBB765_17
; %bb.1:
	s_cmp_lg_u32 s7, 0
	s_cselect_b64 s[10:11], -1, 0
	s_cmp_eq_u32 s7, 0
	s_cselect_b64 s[8:9], -1, 0
	s_and_b64 s[0:1], s[8:9], exec
	s_load_dwordx2 s[28:29], s[4:5], 0x48
	s_load_dwordx2 s[34:35], s[4:5], 0x30
	s_load_dwordx8 s[12:19], s[4:5], 0x70
	s_cselect_b32 s7, s23, s24
	s_add_i32 s0, s7, 1
	s_lshr_b32 s1, s0, 31
	s_add_i32 s0, s0, s1
	s_lshl_b32 s0, s0, 1
	v_lshlrev_b32_e32 v1, 4, v0
	s_and_b32 s38, s0, -4
	v_cmp_gt_i32_e64 s[0:1], s7, v1
	v_mov_b32_e32 v80, 0
	v_mov_b32_e32 v81, 0
	;; [unrolled: 1-line block ×16, first 2 shown]
	s_and_saveexec_b64 s[2:3], s[0:1]
	s_cbranch_execz .LBB765_3
; %bb.2:
	s_waitcnt lgkmcnt(0)
	s_load_dwordx2 s[18:19], s[4:5], 0x28
	s_load_dwordx2 s[30:31], s[4:5], 0x40
	s_and_b64 s[36:37], s[8:9], exec
	s_cselect_b32 s22, s25, s26
	s_mov_b32 s39, 0x20000
	s_waitcnt lgkmcnt(0)
	s_cselect_b32 s25, s19, s35
	s_cselect_b32 s33, s18, s34
	s_mul_hi_i32 s19, s22, s6
	s_mul_i32 s18, s22, s6
	s_lshl_b64 s[18:19], s[18:19], 1
	s_add_u32 s40, s33, s18
	s_addc_u32 s22, s25, s19
	s_and_b64 s[18:19], s[8:9], exec
	s_cselect_b32 s36, s30, s28
	s_cselect_b32 s18, s31, s29
	s_and_b32 s41, s22, 0xffff
	s_mov_b32 s42, s38
	s_mov_b32 s43, s39
	v_lshlrev_b32_e32 v2, 5, v0
	s_and_b32 s37, s18, 0xffff
	buffer_load_dwordx4 v[84:87], v2, s[40:43], 0 offen
	buffer_load_dwordx4 v[88:91], v2, s[40:43], 16 offen
	buffer_load_dwordx4 v[80:83], v2, s[36:39], 0 offen
	buffer_load_dwordx4 v[76:79], v2, s[36:39], 16 offen
.LBB765_3:
	s_or_b64 exec, exec, s[2:3]
	s_and_b64 vcc, exec, s[10:11]
	s_cbranch_vccz .LBB765_7
; %bb.4:
	v_mov_b32_e32 v93, 0
	v_mov_b32_e32 v92, 0
	;; [unrolled: 1-line block ×16, first 2 shown]
	s_and_saveexec_b64 s[2:3], s[0:1]
	s_cbranch_execz .LBB765_6
; %bb.5:
	s_waitcnt vmcnt(3)
	v_cvt_f32_f16_sdwa v59, v84 dst_sel:DWORD dst_unused:UNUSED_PAD src0_sel:WORD_1
	v_cvt_f32_f16_e32 v58, v84
	v_cvt_f32_f16_sdwa v29, v85 dst_sel:DWORD dst_unused:UNUSED_PAD src0_sel:WORD_1
	v_cvt_f32_f16_e32 v28, v85
	;; [unrolled: 2-line block ×4, first 2 shown]
	s_waitcnt vmcnt(2)
	v_cvt_f32_f16_sdwa v69, v88 dst_sel:DWORD dst_unused:UNUSED_PAD src0_sel:WORD_1
	v_cvt_f32_f16_e32 v68, v88
	v_cvt_f32_f16_sdwa v41, v89 dst_sel:DWORD dst_unused:UNUSED_PAD src0_sel:WORD_1
	v_cvt_f32_f16_e32 v40, v89
	v_cvt_f32_f16_sdwa v15, v90 dst_sel:DWORD dst_unused:UNUSED_PAD src0_sel:WORD_1
	v_cvt_f32_f16_e32 v14, v90
	v_cvt_f32_f16_sdwa v93, v91 dst_sel:DWORD dst_unused:UNUSED_PAD src0_sel:WORD_1
	v_cvt_f32_f16_e32 v92, v91
.LBB765_6:
	s_or_b64 exec, exec, s[2:3]
	s_cbranch_execz .LBB765_8
	s_branch .LBB765_11
.LBB765_7:
                                        ; implicit-def: $vgpr26_vgpr27_vgpr28_vgpr29_vgpr30_vgpr31_vgpr32_vgpr33_vgpr34_vgpr35_vgpr36_vgpr37_vgpr38_vgpr39_vgpr40_vgpr41
                                        ; implicit-def: $vgpr58_vgpr59_vgpr60_vgpr61_vgpr62_vgpr63_vgpr64_vgpr65_vgpr66_vgpr67_vgpr68_vgpr69_vgpr70_vgpr71_vgpr72_vgpr73
                                        ; implicit-def: $vgpr42_vgpr43_vgpr44_vgpr45_vgpr46_vgpr47_vgpr48_vgpr49_vgpr50_vgpr51_vgpr52_vgpr53_vgpr54_vgpr55_vgpr56_vgpr57
                                        ; implicit-def: $vgpr12_vgpr13_vgpr14_vgpr15_vgpr16_vgpr17_vgpr18_vgpr19_vgpr20_vgpr21_vgpr22_vgpr23_vgpr24_vgpr25_vgpr26_vgpr27
                                        ; implicit-def: $vgpr93
                                        ; implicit-def: $vgpr60_vgpr61_vgpr62_vgpr63_vgpr64_vgpr65_vgpr66_vgpr67_vgpr68_vgpr69_vgpr70_vgpr71_vgpr72_vgpr73_vgpr74_vgpr75
                                        ; implicit-def: $vgpr30_vgpr31_vgpr32_vgpr33_vgpr34_vgpr35_vgpr36_vgpr37_vgpr38_vgpr39_vgpr40_vgpr41_vgpr42_vgpr43_vgpr44_vgpr45
                                        ; implicit-def: $vgpr2_vgpr3_vgpr4_vgpr5_vgpr6_vgpr7_vgpr8_vgpr9_vgpr10_vgpr11_vgpr12_vgpr13_vgpr14_vgpr15_vgpr16_vgpr17
.LBB765_8:
	v_mov_b32_e32 v93, 0
	v_mov_b32_e32 v92, 0
	;; [unrolled: 1-line block ×16, first 2 shown]
	s_and_saveexec_b64 s[2:3], s[0:1]
	s_cbranch_execz .LBB765_10
; %bb.9:
	s_waitcnt lgkmcnt(0)
	s_load_dwordx2 s[18:19], s[4:5], 0x38
	s_mul_hi_i32 s31, s27, s6
	s_mul_i32 s30, s27, s6
	s_lshl_b64 s[30:31], s[30:31], 1
	s_mov_b32 s39, 0x20000
	s_waitcnt lgkmcnt(0)
	s_add_u32 s36, s18, s30
	s_addc_u32 s18, s19, s31
	s_and_b32 s37, s18, 0xffff
	v_lshlrev_b32_e32 v38, 5, v0
	buffer_load_dwordx4 v[6:9], v38, s[36:39], 16 offen
	buffer_load_dwordx4 v[10:13], v38, s[36:39], 0 offen
	s_waitcnt vmcnt(5)
	v_cvt_f32_f16_sdwa v19, v86 dst_sel:DWORD dst_unused:UNUSED_PAD src0_sel:WORD_1
	v_cvt_f32_f16_e32 v18, v86
	v_cvt_f32_f16_sdwa v25, v87 dst_sel:DWORD dst_unused:UNUSED_PAD src0_sel:WORD_1
	v_cvt_f32_f16_e32 v24, v87
	;; [unrolled: 2-line block ×4, first 2 shown]
	s_load_dwordx2 s[18:19], s[4:5], 0x20
	s_waitcnt vmcnt(4)
	v_cvt_f32_f16_sdwa v3, v88 dst_sel:DWORD dst_unused:UNUSED_PAD src0_sel:WORD_1
	v_cvt_f32_f16_e32 v2, v88
	v_cvt_f32_f16_sdwa v5, v89 dst_sel:DWORD dst_unused:UNUSED_PAD src0_sel:WORD_1
	v_cvt_f32_f16_e32 v4, v89
	;; [unrolled: 2-line block ×4, first 2 shown]
	s_mul_hi_i32 s31, s17, s6
	s_mul_i32 s30, s17, s6
	s_lshl_b64 s[30:31], s[30:31], 1
	s_waitcnt lgkmcnt(0)
	s_add_u32 s36, s18, s30
	s_addc_u32 s17, s19, s31
	s_and_b32 s37, s17, 0xffff
	s_waitcnt vmcnt(1)
	v_cvt_f32_f16_e32 v26, v6
	v_cvt_f32_f16_sdwa v27, v6 dst_sel:DWORD dst_unused:UNUSED_PAD src0_sel:WORD_1
	v_cvt_f32_f16_e32 v30, v7
	v_cvt_f32_f16_sdwa v31, v7 dst_sel:DWORD dst_unused:UNUSED_PAD src0_sel:WORD_1
	;; [unrolled: 2-line block ×4, first 2 shown]
	s_waitcnt vmcnt(0)
	v_cvt_f32_f16_e32 v6, v12
	v_cvt_f32_f16_sdwa v7, v12 dst_sel:DWORD dst_unused:UNUSED_PAD src0_sel:WORD_1
	v_cvt_f32_f16_e32 v8, v13
	v_cvt_f32_f16_sdwa v9, v13 dst_sel:DWORD dst_unused:UNUSED_PAD src0_sel:WORD_1
	v_cvt_f32_f16_e32 v36, v10
	v_cvt_f32_f16_sdwa v37, v10 dst_sel:DWORD dst_unused:UNUSED_PAD src0_sel:WORD_1
	v_cvt_f32_f16_e32 v10, v11
	v_cvt_f32_f16_sdwa v11, v11 dst_sel:DWORD dst_unused:UNUSED_PAD src0_sel:WORD_1
	v_pk_add_f32 v[46:47], v[18:19], v[6:7]
	v_pk_add_f32 v[18:19], v[24:25], v[8:9]
	v_cvt_f16_f32_e32 v6, v47
	v_cvt_f16_f32_e32 v7, v19
	;; [unrolled: 1-line block ×4, first 2 shown]
	v_pk_add_f32 v[28:29], v[22:23], v[10:11]
	v_pk_add_f32 v[58:59], v[20:21], v[36:37]
	v_pack_b32_f16 v9, v8, v7
	v_pack_b32_f16 v8, v12, v6
	v_cvt_f16_f32_e32 v6, v29
	v_cvt_f16_f32_e32 v7, v28
	;; [unrolled: 1-line block ×3, first 2 shown]
	v_pk_add_f32 v[92:93], v[16:17], v[34:35]
	v_pk_add_f32 v[14:15], v[14:15], v[32:33]
	v_pack_b32_f16 v7, v7, v6
	v_cvt_f16_f32_e32 v6, v59
	v_pk_add_f32 v[40:41], v[4:5], v[30:31]
	v_pk_add_f32 v[68:69], v[2:3], v[26:27]
	v_cvt_f16_f32_e32 v4, v40
	v_pack_b32_f16 v6, v10, v6
	buffer_store_dwordx4 v[6:9], v38, s[36:39], 0 offen
	v_cvt_f16_f32_e32 v5, v41
	v_cvt_f16_f32_e32 v6, v14
	;; [unrolled: 1-line block ×7, first 2 shown]
	v_pack_b32_f16 v7, v7, v8
	v_pack_b32_f16 v6, v6, v9
	;; [unrolled: 1-line block ×4, first 2 shown]
	;;#ASMSTART
	s_nop 0
	;;#ASMEND
	buffer_store_dwordx4 v[4:7], v38, s[36:39], 16 offen
	;;#ASMSTART
	s_nop 0
	;;#ASMEND
.LBB765_10:
	s_or_b64 exec, exec, s[2:3]
.LBB765_11:
	v_mul_f32_e32 v2, v59, v59
	v_fmac_f32_e32 v2, v58, v58
	v_fmac_f32_e32 v2, v28, v28
	;; [unrolled: 1-line block ×15, first 2 shown]
	s_nop 1
	v_mov_b32_dpp v3, v2 quad_perm:[1,0,3,2] row_mask:0xf bank_mask:0xf
	v_add_f32_e32 v2, v2, v3
	s_nop 1
	v_mov_b32_dpp v3, v2 quad_perm:[2,3,0,1] row_mask:0xf bank_mask:0xf
	v_add_f32_e32 v2, v2, v3
	s_nop 1
	v_mov_b32_dpp v3, v2 row_half_mirror row_mask:0xf bank_mask:0xf
	v_add_f32_e32 v2, v2, v3
	s_nop 1
	v_mov_b32_dpp v3, v2 row_mirror row_mask:0xf bank_mask:0xf
	v_add_f32_e32 v2, v2, v3
	s_nop 1
	v_mov_b32_dpp v3, v2 row_bcast:15 row_mask:0xf bank_mask:0xf
	v_add_f32_e32 v2, v2, v3
	v_and_b32_e32 v3, 63, v0
	v_cmp_eq_u32_e64 s[2:3], 63, v3
	s_nop 0
	v_mov_b32_dpp v3, v2 row_bcast:31 row_mask:0xf bank_mask:0xf
	s_waitcnt lgkmcnt(0)
	s_and_saveexec_b64 s[18:19], s[2:3]
	s_cbranch_execz .LBB765_13
; %bb.12:
	v_add_f32_e32 v2, v2, v3
	v_lshrrev_b32_e32 v3, 4, v0
	v_and_b32_e32 v3, 60, v3
	ds_write_b32 v3, v2 offset:16
.LBB765_13:
	s_or_b64 exec, exec, s[18:19]
	v_and_b32_e32 v2, 3, v0
	v_lshlrev_b32_e32 v34, 2, v2
	s_waitcnt lgkmcnt(0)
	s_barrier
	ds_read_b32 v2, v34 offset:16
	s_load_dwordx2 s[18:19], s[4:5], 0x18
	s_waitcnt lgkmcnt(0)
	v_mov_b32_dpp v3, v2 quad_perm:[1,0,3,2] row_mask:0xf bank_mask:0xf
	v_add_f32_e32 v2, v2, v3
	s_nop 1
	v_mov_b32_dpp v3, v2 quad_perm:[2,3,0,1] row_mask:0xf bank_mask:0xf
	s_and_saveexec_b64 s[30:31], s[0:1]
	s_cbranch_execnz .LBB765_18
; %bb.14:
	s_or_b64 exec, exec, s[30:31]
	s_mov_b64 s[8:9], -1
	s_and_b64 vcc, exec, s[10:11]
	s_cbranch_vccnz .LBB765_19
.LBB765_15:
	s_andn2_b64 vcc, exec, s[8:9]
	s_cbranch_vccz .LBB765_22
.LBB765_16:
	s_cmp_lt_i32 s24, 1
	s_cbranch_scc0 .LBB765_31
.LBB765_17:
	s_endpgm
.LBB765_18:
	v_add_f32_e32 v2, v2, v3
	v_cvt_f32_u32_e32 v3, s7
	s_mov_b32 s7, 0x800000
	s_waitcnt vmcnt(1)
	v_cvt_f32_f16_sdwa v21, v81 dst_sel:DWORD dst_unused:UNUSED_PAD src0_sel:WORD_1
	v_cvt_f32_f16_e32 v20, v81
	v_div_scale_f32 v4, s[36:37], v3, v3, v2
	v_rcp_f32_e32 v5, v4
	s_waitcnt vmcnt(0)
	v_cvt_f32_f16_sdwa v23, v77 dst_sel:DWORD dst_unused:UNUSED_PAD src0_sel:WORD_1
	v_cvt_f32_f16_e32 v22, v77
	v_cvt_f32_f16_sdwa v25, v78 dst_sel:DWORD dst_unused:UNUSED_PAD src0_sel:WORD_1
	v_fma_f32 v6, -v4, v5, 1.0
	v_fmac_f32_e32 v5, v6, v5
	v_div_scale_f32 v6, vcc, v2, v3, v2
	v_mul_f32_e32 v7, v6, v5
	v_fma_f32 v8, -v4, v7, v6
	v_fmac_f32_e32 v7, v8, v5
	v_fma_f32 v4, -v4, v7, v6
	v_div_fmas_f32 v4, v4, v5, v7
	v_div_fixup_f32 v2, v4, v3, v2
	v_mov_b32_e32 v3, s21
	v_mov_b32_e32 v4, s20
	v_cndmask_b32_e64 v3, v3, v4, s[8:9]
	v_add_f32_e32 v2, v3, v2
	v_mul_f32_e32 v3, 0x4b800000, v2
	v_cmp_gt_f32_e32 vcc, s7, v2
	v_cndmask_b32_e32 v2, v2, v3, vcc
	v_rsq_f32_e32 v2, v2
	v_cvt_f32_f16_e32 v24, v78
	v_cvt_f32_f16_sdwa v27, v79 dst_sel:DWORD dst_unused:UNUSED_PAD src0_sel:WORD_1
	v_cvt_f32_f16_e32 v26, v79
	v_mul_f32_e32 v3, 0x45800000, v2
	v_cndmask_b32_e32 v2, v2, v3, vcc
	v_mov_b32_e32 v3, v2
	;;#ASMSTART
	v_pk_mul_f32 v[4:5], v[58:59], v[2:3]
	;;#ASMEND
	;;#ASMSTART
	v_pk_mul_f32 v[6:7], v[28:29], v[2:3]
	;;#ASMEND
	;; [unrolled: 3-line block ×6, first 2 shown]
	v_cvt_f32_f16_sdwa v19, v80 dst_sel:DWORD dst_unused:UNUSED_PAD src0_sel:WORD_1
	v_cvt_f32_f16_e32 v18, v80
	;;#ASMSTART
	v_pk_mul_f32 v[14:15], v[14:15], v[2:3]
	;;#ASMEND
	;;#ASMSTART
	v_pk_mul_f32 v[2:3], v[92:93], v[2:3]
	;;#ASMEND
	;;#ASMSTART
	v_pk_mul_f32 v[58:59], v[4:5], v[18:19]
	;;#ASMEND
	;;#ASMSTART
	v_pk_mul_f32 v[28:29], v[6:7], v[20:21]
	;;#ASMEND
	v_cvt_f32_f16_sdwa v5, v82 dst_sel:DWORD dst_unused:UNUSED_PAD src0_sel:WORD_1
	v_cvt_f32_f16_e32 v4, v82
	v_cvt_f32_f16_sdwa v7, v83 dst_sel:DWORD dst_unused:UNUSED_PAD src0_sel:WORD_1
	v_cvt_f32_f16_e32 v6, v83
	;; [unrolled: 2-line block ×3, first 2 shown]
	;;#ASMSTART
	v_pk_mul_f32 v[46:47], v[8:9], v[4:5]
	;;#ASMEND
	;;#ASMSTART
	v_pk_mul_f32 v[18:19], v[10:11], v[6:7]
	;;#ASMEND
	;; [unrolled: 3-line block ×6, first 2 shown]
	s_or_b64 exec, exec, s[30:31]
	s_mov_b64 s[8:9], -1
	s_and_b64 vcc, exec, s[10:11]
	s_cbranch_vccz .LBB765_15
.LBB765_19:
	s_and_saveexec_b64 s[8:9], s[0:1]
	s_cbranch_execz .LBB765_21
; %bb.20:
	v_cvt_f16_f32_e32 v2, v46
	v_cvt_f16_f32_e32 v3, v18
	;; [unrolled: 1-line block ×4, first 2 shown]
	s_mul_hi_i32 s11, s16, s6
	s_mul_i32 s10, s16, s6
	v_pack_b32_f16 v5, v3, v4
	v_pack_b32_f16 v4, v2, v6
	v_cvt_f16_f32_e32 v2, v28
	v_cvt_f16_f32_e32 v3, v29
	;; [unrolled: 1-line block ×3, first 2 shown]
	s_lshl_b64 s[10:11], s[10:11], 1
	s_add_u32 s36, s18, s10
	v_pack_b32_f16 v3, v2, v3
	v_cvt_f16_f32_e32 v2, v58
	s_addc_u32 s7, s19, s11
	s_and_b32 s37, s7, 0xffff
	s_mov_b32 s39, 0x20000
	v_pack_b32_f16 v2, v2, v6
	v_lshlrev_b32_e32 v6, 5, v0
	buffer_store_dwordx4 v[2:5], v6, s[36:39], 0 offen
	v_cvt_f16_f32_e32 v7, v15
	v_cvt_f16_f32_e32 v2, v14
	;; [unrolled: 1-line block ×4, first 2 shown]
	;;#ASMSTART
	s_nop 0
	;;#ASMEND
	v_pack_b32_f16 v5, v3, v4
	v_pack_b32_f16 v4, v2, v7
	v_cvt_f16_f32_e32 v2, v40
	v_cvt_f16_f32_e32 v3, v41
	;; [unrolled: 1-line block ×3, first 2 shown]
	v_pack_b32_f16 v3, v2, v3
	v_cvt_f16_f32_e32 v2, v68
	v_pack_b32_f16 v2, v2, v7
	buffer_store_dwordx4 v[2:5], v6, s[36:39], 16 offen
	;;#ASMSTART
	s_nop 0
	;;#ASMEND
.LBB765_21:
	s_or_b64 exec, exec, s[8:9]
	s_cbranch_execnz .LBB765_16
.LBB765_22:
	v_mov_b32_e32 v2, 0
	s_and_saveexec_b64 s[8:9], s[0:1]
	s_cbranch_execz .LBB765_24
; %bb.23:
	v_cvt_f16_f32_e32 v2, v46
	v_cvt_f16_f32_e32 v3, v18
	;; [unrolled: 1-line block ×4, first 2 shown]
	s_load_dwordx2 s[10:11], s[4:5], 0x10
	s_mul_hi_i32 s31, s15, s6
	v_pack_b32_f16 v5, v3, v4
	v_pack_b32_f16 v4, v2, v6
	v_cvt_f16_f32_e32 v2, v28
	v_cvt_f16_f32_e32 v3, v29
	;; [unrolled: 1-line block ×3, first 2 shown]
	s_mul_i32 s30, s15, s6
	s_lshl_b64 s[30:31], s[30:31], 1
	v_pack_b32_f16 v3, v2, v3
	v_cvt_f16_f32_e32 v2, v58
	s_waitcnt lgkmcnt(0)
	s_add_u32 s36, s10, s30
	s_addc_u32 s7, s11, s31
	s_and_b32 s37, s7, 0xffff
	v_pack_b32_f16 v2, v2, v6
	s_mov_b32 s39, 0x20000
	v_lshlrev_b32_e32 v6, 5, v0
	buffer_store_dwordx4 v[2:5], v6, s[36:39], 0 offen
	v_cvt_f16_f32_e32 v7, v15
	v_cvt_f16_f32_e32 v2, v14
	v_cvt_f16_f32_e32 v3, v92
	v_cvt_f16_f32_e32 v4, v93
	;;#ASMSTART
	s_nop 0
	;;#ASMEND
	v_pack_b32_f16 v5, v3, v4
	v_pack_b32_f16 v4, v2, v7
	v_cvt_f16_f32_e32 v2, v40
	v_cvt_f16_f32_e32 v3, v41
	;; [unrolled: 1-line block ×3, first 2 shown]
	v_pack_b32_f16 v3, v2, v3
	v_cvt_f16_f32_e32 v2, v68
	v_pack_b32_f16 v2, v2, v7
	buffer_store_dwordx4 v[2:5], v6, s[36:39], 16 offen
	;;#ASMSTART
	s_nop 0
	;;#ASMEND
	s_nop 0
	v_mov_b32_e32 v2, 0x2edbe6ff
.LBB765_24:
	s_or_b64 exec, exec, s[8:9]
	s_and_saveexec_b64 s[8:9], s[0:1]
	s_cbranch_execz .LBB765_26
; %bb.25:
	v_and_b32_e32 v3, 0x7fffffff, v58
	v_and_b32_e32 v4, 0x7fffffff, v59
	;;#ASMSTART
	v_max3_f32 v2, v2, v3, v4

	;;#ASMEND
	v_and_b32_e32 v3, 0x7fffffff, v28
	v_and_b32_e32 v4, 0x7fffffff, v29
	;;#ASMSTART
	v_max3_f32 v2, v2, v3, v4

	;;#ASMEND
	;; [unrolled: 6-line block ×8, first 2 shown]
.LBB765_26:
	s_or_b64 exec, exec, s[8:9]
	;;#ASMSTART
	v_max_f32 v3, v2, v2 quad_perm:[1,0,3,2] row_mask:0xf bank_mask:0xf bound_ctrl:1
	;;#ASMEND
	;;#ASMSTART
	v_max_f32 v2, v3, v3 quad_perm:[2,3,0,1] row_mask:0xf bank_mask:0xf bound_ctrl:1
	;;#ASMEND
	;;#ASMSTART
	v_max_f32 v3, v2, v2 row_half_mirror row_mask:0xf bank_mask:0xf bound_ctrl:1
	;;#ASMEND
	v_mul_f32_e32 v2, 0x3b124925, v3
	v_and_b32_e32 v3, 7, v0
	v_cmp_eq_u32_e32 vcc, 0, v3
	v_cmp_gt_i32_e64 s[8:9], s23, v1
	s_and_b64 s[10:11], vcc, s[8:9]
	s_and_saveexec_b64 s[8:9], s[10:11]
	s_cbranch_execz .LBB765_28
; %bb.27:
	s_load_dwordx2 s[10:11], s[4:5], 0x8
	v_lshrrev_b32_e32 v3, 3, v0
	s_mul_hi_i32 s31, s13, s6
	s_mul_i32 s30, s13, s6
	v_mad_i64_i32 v[4:5], s[14:15], s14, v3, 0
	s_lshl_b64 s[14:15], s[30:31], 2
	s_waitcnt lgkmcnt(0)
	s_add_u32 s7, s10, s14
	s_addc_u32 s10, s11, s15
	v_lshlrev_b64 v[4:5], 2, v[4:5]
	v_mov_b32_e32 v3, s10
	v_add_co_u32_e32 v4, vcc, s7, v4
	v_addc_co_u32_e32 v5, vcc, v3, v5, vcc
	global_store_dword v[4:5], v2, off
.LBB765_28:
	s_or_b64 exec, exec, s[8:9]
	;;#ASMSTART
	v_rcp_f32 v2, v2
	;;#ASMEND
	s_and_saveexec_b64 s[14:15], s[0:1]
	s_cbranch_execz .LBB765_30
; %bb.29:
	v_mov_b32_e32 v3, v2
	;;#ASMSTART
	v_pk_mul_f32 v[4:5], v[58:59], v[2:3]
	;;#ASMEND
	v_mov_b32_e32 v10, 0xc3e00000
	v_mov_b32_e32 v11, 0x43e00000
	;;#ASMSTART
	v_med3_f32 v4, v4, v10, v11
v_med3_f32 v5, v5, v10, v11
v_cvt_pk_fp8_f32 v6, v4, v5
	;;#ASMEND
	;;#ASMSTART
	v_pk_mul_f32 v[4:5], v[28:29], v[2:3]
	;;#ASMEND
	;;#ASMSTART
	v_med3_f32 v4, v4, v10, v11
v_med3_f32 v5, v5, v10, v11
v_cvt_pk_fp8_f32 v7, v4, v5
	;;#ASMEND
	;;#ASMSTART
	v_pk_mul_f32 v[4:5], v[46:47], v[2:3]
	;;#ASMEND
	;; [unrolled: 8-line block ×3, first 2 shown]
	;;#ASMSTART
	v_med3_f32 v4, v4, v10, v11
v_med3_f32 v5, v5, v10, v11
v_cvt_pk_fp8_f32 v9, v4, v5
	;;#ASMEND
	s_mov_b32 s0, 0x5040100
	v_perm_b32 v4, v7, v6, s0
	s_mov_b32 s0, 0x1060504
	v_perm_b32 v4, v4, v7, s0
	s_load_dwordx2 s[0:1], s[4:5], 0x0
	s_mov_b32 s7, 0x1000504
	;;#ASMSTART
	v_pk_mul_f32 v[6:7], v[68:69], v[2:3]
	;;#ASMEND
	v_perm_b32 v5, v8, v9, s7
	s_mul_i32 s8, s12, s6
	;;#ASMSTART
	v_med3_f32 v6, v6, v10, v11
v_med3_f32 v7, v7, v10, v11
v_cvt_pk_fp8_f32 v8, v6, v7
	;;#ASMEND
	s_mul_hi_i32 s9, s12, s6
	s_waitcnt lgkmcnt(0)
	s_add_u32 s8, s0, s8
	;;#ASMSTART
	v_pk_mul_f32 v[6:7], v[40:41], v[2:3]
	;;#ASMEND
	s_addc_u32 s0, s1, s9
	s_add_i32 s1, s23, 3
	;;#ASMSTART
	v_med3_f32 v6, v6, v10, v11
v_med3_f32 v7, v7, v10, v11
v_cvt_pk_fp8_f32 v9, v6, v7
	;;#ASMEND
	s_ashr_i32 s9, s1, 31
	v_perm_b32 v6, v8, v9, s7
	;;#ASMSTART
	v_pk_mul_f32 v[8:9], v[14:15], v[2:3]
	;;#ASMEND
	v_mov_b32_e32 v7, v9
	s_lshr_b32 s9, s9, 30
	;;#ASMSTART
	v_med3_f32 v8, v8, v10, v11
v_med3_f32 v7, v7, v10, v11
v_cvt_pk_fp8_f32 v9, v8, v7
	;;#ASMEND
	;;#ASMSTART
	v_pk_mul_f32 v[2:3], v[92:93], v[2:3]
	;;#ASMEND
	s_add_i32 s1, s1, s9
	;;#ASMSTART
	v_med3_f32 v2, v2, v10, v11
v_med3_f32 v3, v3, v10, v11
v_cvt_pk_fp8_f32 v7, v2, v3
	;;#ASMEND
	s_and_b32 s10, s1, -4
	s_and_b32 s9, s0, 0xffff
	s_mov_b32 s11, 0x20000
	v_perm_b32 v7, v9, v7, s7
	buffer_store_dwordx4 v[4:7], v1, s[8:11], 0 offen
	;;#ASMSTART
	s_nop 0
	;;#ASMEND
.LBB765_30:
	s_or_b64 exec, exec, s[14:15]
	s_cmp_lt_i32 s24, 1
	s_cbranch_scc1 .LBB765_17
.LBB765_31:
	s_load_dword s0, s[4:5], 0x94
	s_waitcnt lgkmcnt(0)
	s_cmp_lg_u32 s0, 1
	s_cbranch_scc1 .LBB765_17
; %bb.32:
	s_lshl_b32 s0, s24, 1
	s_add_i32 s0, s0, 2
	v_cmp_gt_u32_e32 vcc, s24, v1
	s_and_b32 s30, s0, -4
	v_mov_b32_e32 v18, 0
	v_lshlrev_b32_e32 v1, 5, v0
	v_mov_b32_e32 v14, 0
	v_mov_b32_e32 v15, 0
	;; [unrolled: 1-line block ×16, first 2 shown]
	s_barrier
	s_and_saveexec_b64 s[0:1], vcc
	s_cbranch_execz .LBB765_34
; %bb.33:
	s_mul_hi_i32 s5, s26, s6
	s_mul_i32 s4, s26, s6
	s_and_b32 s29, s29, 0xffff
	s_lshl_b64 s[4:5], s[4:5], 1
	s_add_u32 s8, s34, s4
	s_mov_b32 s31, 0x20000
	s_addc_u32 s4, s35, s5
	s_and_b32 s9, s4, 0xffff
	s_mov_b32 s10, s30
	s_mov_b32 s11, s31
	buffer_load_dwordx4 v[14:17], v1, s[8:11], 0 offen
	buffer_load_dwordx4 v[10:13], v1, s[8:11], 16 offen
	;; [unrolled: 1-line block ×4, first 2 shown]
.LBB765_34:
	s_or_b64 exec, exec, s[0:1]
	v_mov_b32_e32 v19, 0
	v_mov_b32_e32 v32, 0
	;; [unrolled: 1-line block ×15, first 2 shown]
	s_and_saveexec_b64 s[0:1], vcc
	s_cbranch_execz .LBB765_36
; %bb.35:
	s_waitcnt vmcnt(3)
	v_cvt_f32_f16_sdwa v19, v14 dst_sel:DWORD dst_unused:UNUSED_PAD src0_sel:WORD_1
	v_cvt_f32_f16_e32 v18, v14
	v_cvt_f32_f16_sdwa v33, v15 dst_sel:DWORD dst_unused:UNUSED_PAD src0_sel:WORD_1
	v_cvt_f32_f16_e32 v32, v15
	;; [unrolled: 2-line block ×4, first 2 shown]
	s_waitcnt vmcnt(2)
	v_cvt_f32_f16_sdwa v27, v10 dst_sel:DWORD dst_unused:UNUSED_PAD src0_sel:WORD_1
	v_cvt_f32_f16_e32 v26, v10
	v_cvt_f32_f16_sdwa v25, v11 dst_sel:DWORD dst_unused:UNUSED_PAD src0_sel:WORD_1
	v_cvt_f32_f16_e32 v24, v11
	;; [unrolled: 2-line block ×4, first 2 shown]
.LBB765_36:
	s_or_b64 exec, exec, s[0:1]
	s_waitcnt vmcnt(2)
	v_mul_f32_e32 v10, v19, v19
	v_fmac_f32_e32 v10, v18, v18
	v_fmac_f32_e32 v10, v32, v32
	;; [unrolled: 1-line block ×15, first 2 shown]
	s_nop 1
	v_mov_b32_dpp v11, v10 quad_perm:[1,0,3,2] row_mask:0xf bank_mask:0xf
	v_add_f32_e32 v10, v10, v11
	s_nop 1
	v_mov_b32_dpp v11, v10 quad_perm:[2,3,0,1] row_mask:0xf bank_mask:0xf
	v_add_f32_e32 v10, v10, v11
	s_nop 1
	v_mov_b32_dpp v11, v10 row_half_mirror row_mask:0xf bank_mask:0xf
	v_add_f32_e32 v10, v10, v11
	s_nop 1
	v_mov_b32_dpp v11, v10 row_mirror row_mask:0xf bank_mask:0xf
	v_add_f32_e32 v10, v10, v11
	s_nop 1
	v_mov_b32_dpp v11, v10 row_bcast:15 row_mask:0xf bank_mask:0xf
	v_add_f32_e32 v10, v10, v11
	s_nop 1
	v_mov_b32_dpp v11, v10 row_bcast:31 row_mask:0xf bank_mask:0xf
	s_and_saveexec_b64 s[0:1], s[2:3]
	s_cbranch_execz .LBB765_38
; %bb.37:
	v_lshrrev_b32_e32 v0, 4, v0
	v_add_f32_e32 v10, v10, v11
	v_and_b32_e32 v0, 60, v0
	ds_write_b32 v0, v10
.LBB765_38:
	s_or_b64 exec, exec, s[0:1]
	s_waitcnt lgkmcnt(0)
	s_barrier
	ds_read_b32 v0, v34
	s_waitcnt lgkmcnt(0)
	s_nop 0
	v_mov_b32_dpp v10, v0 quad_perm:[1,0,3,2] row_mask:0xf bank_mask:0xf
	v_add_f32_e32 v0, v0, v10
	s_nop 1
	v_mov_b32_dpp v10, v0 quad_perm:[2,3,0,1] row_mask:0xf bank_mask:0xf
	s_and_saveexec_b64 s[0:1], vcc
	s_cbranch_execz .LBB765_17
; %bb.39:
	v_cvt_f32_u32_e32 v11, s24
	v_add_f32_e32 v0, v0, v10
	s_mov_b32 s31, 0x20000
	v_div_scale_f32 v10, s[0:1], v11, v11, v0
	v_rcp_f32_e32 v12, v10
	v_div_scale_f32 v13, vcc, v0, v11, v0
	s_mov_b32 s0, 0x800000
	v_fma_f32 v14, -v10, v12, 1.0
	v_fmac_f32_e32 v12, v14, v12
	v_mul_f32_e32 v14, v13, v12
	v_fma_f32 v15, -v10, v14, v13
	v_fmac_f32_e32 v14, v15, v12
	v_fma_f32 v10, -v10, v14, v13
	v_div_fmas_f32 v10, v10, v12, v14
	v_div_fixup_f32 v0, v10, v11, v0
	v_add_f32_e32 v0, s21, v0
	v_mul_f32_e32 v10, 0x4b800000, v0
	v_cmp_gt_f32_e32 vcc, s0, v0
	v_cndmask_b32_e32 v0, v0, v10, vcc
	v_rsq_f32_e32 v0, v0
	s_mul_hi_i32 s1, s16, s6
	s_mul_i32 s0, s16, s6
	s_lshl_b64 s[0:1], s[0:1], 1
	v_mul_f32_e32 v10, 0x45800000, v0
	v_cndmask_b32_e32 v10, v0, v10, vcc
	v_mov_b32_e32 v11, v10
	;;#ASMSTART
	v_pk_mul_f32 v[12:13], v[18:19], v[10:11]
	;;#ASMEND
	;;#ASMSTART
	v_pk_mul_f32 v[14:15], v[32:33], v[10:11]
	;;#ASMEND
	;; [unrolled: 3-line block ×8, first 2 shown]
	s_waitcnt vmcnt(1)
	v_cvt_f32_f16_sdwa v21, v6 dst_sel:DWORD dst_unused:UNUSED_PAD src0_sel:WORD_1
	v_cvt_f32_f16_e32 v20, v6
	v_cvt_f32_f16_sdwa v29, v7 dst_sel:DWORD dst_unused:UNUSED_PAD src0_sel:WORD_1
	v_cvt_f32_f16_e32 v28, v7
	;; [unrolled: 2-line block ×4, first 2 shown]
	;;#ASMSTART
	v_pk_mul_f32 v[8:9], v[12:13], v[20:21]
	;;#ASMEND
	;;#ASMSTART
	v_pk_mul_f32 v[12:13], v[14:15], v[28:29]
	;;#ASMEND
	;; [unrolled: 3-line block ×4, first 2 shown]
	s_waitcnt vmcnt(0)
	v_cvt_f32_f16_sdwa v17, v2 dst_sel:DWORD dst_unused:UNUSED_PAD src0_sel:WORD_1
	v_cvt_f32_f16_e32 v16, v2
	v_cvt_f32_f16_sdwa v19, v3 dst_sel:DWORD dst_unused:UNUSED_PAD src0_sel:WORD_1
	v_cvt_f32_f16_e32 v18, v3
	;; [unrolled: 2-line block ×4, first 2 shown]
	;;#ASMSTART
	v_pk_mul_f32 v[16:17], v[26:27], v[16:17]
	;;#ASMEND
	;;#ASMSTART
	v_pk_mul_f32 v[18:19], v[24:25], v[18:19]
	;;#ASMEND
	;; [unrolled: 3-line block ×3, first 2 shown]
	v_cvt_f16_f32_e32 v0, v8
	v_cvt_f16_f32_e32 v2, v9
	;; [unrolled: 1-line block ×8, first 2 shown]
	s_add_u32 s28, s18, s0
	s_addc_u32 s0, s19, s1
	s_and_b32 s29, s0, 0xffff
	v_pack_b32_f16 v2, v0, v2
	v_pack_b32_f16 v3, v3, v4
	;; [unrolled: 1-line block ×4, first 2 shown]
	;;#ASMSTART
	v_pk_mul_f32 v[10:11], v[10:11], v[20:21]
	;;#ASMEND
	buffer_store_dwordx4 v[2:5], v1, s[28:31], 0 offen
	v_cvt_f16_f32_e32 v0, v16
	v_cvt_f16_f32_e32 v2, v17
	;; [unrolled: 1-line block ×8, first 2 shown]
	v_pack_b32_f16 v2, v0, v2
	v_pack_b32_f16 v3, v3, v4
	v_pack_b32_f16 v4, v5, v6
	v_pack_b32_f16 v5, v7, v8
	;;#ASMSTART
	s_nop 0
	;;#ASMEND
	buffer_store_dwordx4 v[2:5], v1, s[28:31], 16 offen
	;;#ASMSTART
	s_nop 0
	;;#ASMEND
	s_endpgm
	.section	.rodata,"a",@progbits
	.p2align	6, 0x0
	.amdhsa_kernel _ZN5aiter35fused_qk_rmsnorm_group_quant_kernelIDF16_DB8_Li256ELi16ELi8ELb1ELb1ELb0ELb0ELb0ELb0EEEvPT0_PvPT_S6_S6_PKS5_S8_S8_S8_S8_ffiiiiiiiiiiiii
		.amdhsa_group_segment_fixed_size 32
		.amdhsa_private_segment_fixed_size 0
		.amdhsa_kernarg_size 400
		.amdhsa_user_sgpr_count 6
		.amdhsa_user_sgpr_private_segment_buffer 1
		.amdhsa_user_sgpr_dispatch_ptr 0
		.amdhsa_user_sgpr_queue_ptr 0
		.amdhsa_user_sgpr_kernarg_segment_ptr 1
		.amdhsa_user_sgpr_dispatch_id 0
		.amdhsa_user_sgpr_flat_scratch_init 0
		.amdhsa_user_sgpr_kernarg_preload_length 0
		.amdhsa_user_sgpr_kernarg_preload_offset 0
		.amdhsa_user_sgpr_private_segment_size 0
		.amdhsa_uses_dynamic_stack 0
		.amdhsa_system_sgpr_private_segment_wavefront_offset 0
		.amdhsa_system_sgpr_workgroup_id_x 1
		.amdhsa_system_sgpr_workgroup_id_y 1
		.amdhsa_system_sgpr_workgroup_id_z 0
		.amdhsa_system_sgpr_workgroup_info 0
		.amdhsa_system_vgpr_workitem_id 0
		.amdhsa_next_free_vgpr 94
		.amdhsa_next_free_sgpr 44
		.amdhsa_accum_offset 96
		.amdhsa_reserve_vcc 1
		.amdhsa_reserve_flat_scratch 0
		.amdhsa_float_round_mode_32 0
		.amdhsa_float_round_mode_16_64 0
		.amdhsa_float_denorm_mode_32 3
		.amdhsa_float_denorm_mode_16_64 3
		.amdhsa_dx10_clamp 1
		.amdhsa_ieee_mode 1
		.amdhsa_fp16_overflow 0
		.amdhsa_tg_split 0
		.amdhsa_exception_fp_ieee_invalid_op 0
		.amdhsa_exception_fp_denorm_src 0
		.amdhsa_exception_fp_ieee_div_zero 0
		.amdhsa_exception_fp_ieee_overflow 0
		.amdhsa_exception_fp_ieee_underflow 0
		.amdhsa_exception_fp_ieee_inexact 0
		.amdhsa_exception_int_div_zero 0
	.end_amdhsa_kernel
	.section	.text._ZN5aiter35fused_qk_rmsnorm_group_quant_kernelIDF16_DB8_Li256ELi16ELi8ELb1ELb1ELb0ELb0ELb0ELb0EEEvPT0_PvPT_S6_S6_PKS5_S8_S8_S8_S8_ffiiiiiiiiiiiii,"axG",@progbits,_ZN5aiter35fused_qk_rmsnorm_group_quant_kernelIDF16_DB8_Li256ELi16ELi8ELb1ELb1ELb0ELb0ELb0ELb0EEEvPT0_PvPT_S6_S6_PKS5_S8_S8_S8_S8_ffiiiiiiiiiiiii,comdat
.Lfunc_end765:
	.size	_ZN5aiter35fused_qk_rmsnorm_group_quant_kernelIDF16_DB8_Li256ELi16ELi8ELb1ELb1ELb0ELb0ELb0ELb0EEEvPT0_PvPT_S6_S6_PKS5_S8_S8_S8_S8_ffiiiiiiiiiiiii, .Lfunc_end765-_ZN5aiter35fused_qk_rmsnorm_group_quant_kernelIDF16_DB8_Li256ELi16ELi8ELb1ELb1ELb0ELb0ELb0ELb0EEEvPT0_PvPT_S6_S6_PKS5_S8_S8_S8_S8_ffiiiiiiiiiiiii
                                        ; -- End function
	.section	.AMDGPU.csdata,"",@progbits
; Kernel info:
; codeLenInByte = 4272
; NumSgprs: 48
; NumVgprs: 94
; NumAgprs: 0
; TotalNumVgprs: 94
; ScratchSize: 0
; MemoryBound: 0
; FloatMode: 240
; IeeeMode: 1
; LDSByteSize: 32 bytes/workgroup (compile time only)
; SGPRBlocks: 5
; VGPRBlocks: 11
; NumSGPRsForWavesPerEU: 48
; NumVGPRsForWavesPerEU: 94
; AccumOffset: 96
; Occupancy: 5
; WaveLimiterHint : 0
; COMPUTE_PGM_RSRC2:SCRATCH_EN: 0
; COMPUTE_PGM_RSRC2:USER_SGPR: 6
; COMPUTE_PGM_RSRC2:TRAP_HANDLER: 0
; COMPUTE_PGM_RSRC2:TGID_X_EN: 1
; COMPUTE_PGM_RSRC2:TGID_Y_EN: 1
; COMPUTE_PGM_RSRC2:TGID_Z_EN: 0
; COMPUTE_PGM_RSRC2:TIDIG_COMP_CNT: 0
; COMPUTE_PGM_RSRC3_GFX90A:ACCUM_OFFSET: 23
; COMPUTE_PGM_RSRC3_GFX90A:TG_SPLIT: 0
	.section	.text._ZN5aiter35fused_qk_rmsnorm_group_quant_kernelItDB8_Li256ELi16ELi8ELb1ELb1ELb0ELb0ELb0ELb0EEEvPT0_PvPT_S6_S6_PKS5_S8_S8_S8_S8_ffiiiiiiiiiiiii,"axG",@progbits,_ZN5aiter35fused_qk_rmsnorm_group_quant_kernelItDB8_Li256ELi16ELi8ELb1ELb1ELb0ELb0ELb0ELb0EEEvPT0_PvPT_S6_S6_PKS5_S8_S8_S8_S8_ffiiiiiiiiiiiii,comdat
	.protected	_ZN5aiter35fused_qk_rmsnorm_group_quant_kernelItDB8_Li256ELi16ELi8ELb1ELb1ELb0ELb0ELb0ELb0EEEvPT0_PvPT_S6_S6_PKS5_S8_S8_S8_S8_ffiiiiiiiiiiiii ; -- Begin function _ZN5aiter35fused_qk_rmsnorm_group_quant_kernelItDB8_Li256ELi16ELi8ELb1ELb1ELb0ELb0ELb0ELb0EEEvPT0_PvPT_S6_S6_PKS5_S8_S8_S8_S8_ffiiiiiiiiiiiii
	.globl	_ZN5aiter35fused_qk_rmsnorm_group_quant_kernelItDB8_Li256ELi16ELi8ELb1ELb1ELb0ELb0ELb0ELb0EEEvPT0_PvPT_S6_S6_PKS5_S8_S8_S8_S8_ffiiiiiiiiiiiii
	.p2align	8
	.type	_ZN5aiter35fused_qk_rmsnorm_group_quant_kernelItDB8_Li256ELi16ELi8ELb1ELb1ELb0ELb0ELb0ELb0EEEvPT0_PvPT_S6_S6_PKS5_S8_S8_S8_S8_ffiiiiiiiiiiiii,@function
_ZN5aiter35fused_qk_rmsnorm_group_quant_kernelItDB8_Li256ELi16ELi8ELb1ELb1ELb0ELb0ELb0ELb0EEEvPT0_PvPT_S6_S6_PKS5_S8_S8_S8_S8_ffiiiiiiiiiiiii: ; @_ZN5aiter35fused_qk_rmsnorm_group_quant_kernelItDB8_Li256ELi16ELi8ELb1ELb1ELb0ELb0ELb0ELb0EEEvPT0_PvPT_S6_S6_PKS5_S8_S8_S8_S8_ffiiiiiiiiiiiii
; %bb.0:
	s_load_dwordx8 s[20:27], s[4:5], 0x50
	s_waitcnt lgkmcnt(0)
	s_cmp_ge_i32 s6, s22
	s_cbranch_scc1 .LBB766_17
; %bb.1:
	s_cmp_lg_u32 s7, 0
	s_cselect_b64 s[10:11], -1, 0
	s_cmp_eq_u32 s7, 0
	s_cselect_b64 s[8:9], -1, 0
	s_and_b64 s[0:1], s[8:9], exec
	s_load_dwordx2 s[28:29], s[4:5], 0x48
	s_load_dwordx2 s[34:35], s[4:5], 0x30
	s_load_dwordx8 s[12:19], s[4:5], 0x70
	s_cselect_b32 s7, s23, s24
	s_add_i32 s0, s7, 1
	s_lshr_b32 s1, s0, 31
	s_add_i32 s0, s0, s1
	s_lshl_b32 s0, s0, 1
	v_lshlrev_b32_e32 v1, 4, v0
	s_and_b32 s38, s0, -4
	v_cmp_gt_i32_e64 s[0:1], s7, v1
	v_mov_b32_e32 v82, 0
	v_mov_b32_e32 v83, 0
	;; [unrolled: 1-line block ×16, first 2 shown]
	s_and_saveexec_b64 s[2:3], s[0:1]
	s_cbranch_execz .LBB766_3
; %bb.2:
	s_waitcnt lgkmcnt(0)
	s_load_dwordx2 s[18:19], s[4:5], 0x28
	s_load_dwordx2 s[30:31], s[4:5], 0x40
	s_and_b64 s[36:37], s[8:9], exec
	s_cselect_b32 s22, s25, s26
	s_mov_b32 s39, 0x20000
	s_waitcnt lgkmcnt(0)
	s_cselect_b32 s25, s19, s35
	s_cselect_b32 s33, s18, s34
	s_mul_hi_i32 s19, s22, s6
	s_mul_i32 s18, s22, s6
	s_lshl_b64 s[18:19], s[18:19], 1
	s_add_u32 s40, s33, s18
	s_addc_u32 s22, s25, s19
	s_and_b64 s[18:19], s[8:9], exec
	s_cselect_b32 s36, s30, s28
	s_cselect_b32 s18, s31, s29
	s_and_b32 s41, s22, 0xffff
	s_mov_b32 s42, s38
	s_mov_b32 s43, s39
	v_lshlrev_b32_e32 v2, 5, v0
	s_and_b32 s37, s18, 0xffff
	buffer_load_dwordx4 v[86:89], v2, s[40:43], 0 offen
	buffer_load_dwordx4 v[90:93], v2, s[40:43], 16 offen
	;; [unrolled: 1-line block ×4, first 2 shown]
.LBB766_3:
	s_or_b64 exec, exec, s[2:3]
	s_and_b64 vcc, exec, s[10:11]
	s_cbranch_vccz .LBB766_7
; %bb.4:
	v_mov_b32_e32 v95, 0
	v_mov_b32_e32 v94, 0
	;; [unrolled: 1-line block ×16, first 2 shown]
	s_and_saveexec_b64 s[2:3], s[0:1]
	s_cbranch_execz .LBB766_6
; %bb.5:
	s_waitcnt vmcnt(3)
	v_cvt_f32_u32_sdwa v62, v86 dst_sel:DWORD dst_unused:UNUSED_PAD src0_sel:WORD_0
	v_cvt_f32_u32_sdwa v63, v86 dst_sel:DWORD dst_unused:UNUSED_PAD src0_sel:WORD_1
	v_cvt_f32_u32_sdwa v24, v87 dst_sel:DWORD dst_unused:UNUSED_PAD src0_sel:WORD_0
	v_cvt_f32_u32_sdwa v25, v87 dst_sel:DWORD dst_unused:UNUSED_PAD src0_sel:WORD_1
	;; [unrolled: 2-line block ×4, first 2 shown]
	s_waitcnt vmcnt(2)
	v_cvt_f32_u32_sdwa v42, v90 dst_sel:DWORD dst_unused:UNUSED_PAD src0_sel:WORD_0
	v_cvt_f32_u32_sdwa v43, v90 dst_sel:DWORD dst_unused:UNUSED_PAD src0_sel:WORD_1
	v_cvt_f32_u32_sdwa v18, v91 dst_sel:DWORD dst_unused:UNUSED_PAD src0_sel:WORD_0
	v_cvt_f32_u32_sdwa v19, v91 dst_sel:DWORD dst_unused:UNUSED_PAD src0_sel:WORD_1
	v_cvt_f32_u32_sdwa v14, v92 dst_sel:DWORD dst_unused:UNUSED_PAD src0_sel:WORD_0
	v_cvt_f32_u32_sdwa v15, v92 dst_sel:DWORD dst_unused:UNUSED_PAD src0_sel:WORD_1
	v_cvt_f32_u32_sdwa v94, v93 dst_sel:DWORD dst_unused:UNUSED_PAD src0_sel:WORD_0
	v_cvt_f32_u32_sdwa v95, v93 dst_sel:DWORD dst_unused:UNUSED_PAD src0_sel:WORD_1
.LBB766_6:
	s_or_b64 exec, exec, s[2:3]
	s_cbranch_execz .LBB766_8
	s_branch .LBB766_11
.LBB766_7:
                                        ; implicit-def: $vgpr22_vgpr23_vgpr24_vgpr25_vgpr26_vgpr27_vgpr28_vgpr29_vgpr30_vgpr31_vgpr32_vgpr33_vgpr34_vgpr35_vgpr36_vgpr37
                                        ; implicit-def: $vgpr46_vgpr47_vgpr48_vgpr49_vgpr50_vgpr51_vgpr52_vgpr53_vgpr54_vgpr55_vgpr56_vgpr57_vgpr58_vgpr59_vgpr60_vgpr61
                                        ; implicit-def: $vgpr26_vgpr27_vgpr28_vgpr29_vgpr30_vgpr31_vgpr32_vgpr33_vgpr34_vgpr35_vgpr36_vgpr37_vgpr38_vgpr39_vgpr40_vgpr41
                                        ; implicit-def: $vgpr8_vgpr9_vgpr10_vgpr11_vgpr12_vgpr13_vgpr14_vgpr15_vgpr16_vgpr17_vgpr18_vgpr19_vgpr20_vgpr21_vgpr22_vgpr23
                                        ; implicit-def: $vgpr95
                                        ; implicit-def: $vgpr62_vgpr63_vgpr64_vgpr65_vgpr66_vgpr67_vgpr68_vgpr69_vgpr70_vgpr71_vgpr72_vgpr73_vgpr74_vgpr75_vgpr76_vgpr77
                                        ; implicit-def: $vgpr34_vgpr35_vgpr36_vgpr37_vgpr38_vgpr39_vgpr40_vgpr41_vgpr42_vgpr43_vgpr44_vgpr45_vgpr46_vgpr47_vgpr48_vgpr49
                                        ; implicit-def: $vgpr2_vgpr3_vgpr4_vgpr5_vgpr6_vgpr7_vgpr8_vgpr9_vgpr10_vgpr11_vgpr12_vgpr13_vgpr14_vgpr15_vgpr16_vgpr17
.LBB766_8:
	v_mov_b32_e32 v95, 0
	v_mov_b32_e32 v94, 0
	v_mov_b32_e32 v15, 0
	v_mov_b32_e32 v14, 0
	v_mov_b32_e32 v19, 0
	v_mov_b32_e32 v18, 0
	v_mov_b32_e32 v43, 0
	v_mov_b32_e32 v42, 0
	v_mov_b32_e32 v33, 0
	v_mov_b32_e32 v32, 0
	v_mov_b32_e32 v51, 0
	v_mov_b32_e32 v50, 0
	v_mov_b32_e32 v25, 0
	v_mov_b32_e32 v24, 0
	v_mov_b32_e32 v63, 0
	v_mov_b32_e32 v62, 0
	s_and_saveexec_b64 s[2:3], s[0:1]
	s_cbranch_execz .LBB766_10
; %bb.9:
	s_waitcnt lgkmcnt(0)
	s_load_dwordx2 s[18:19], s[4:5], 0x38
	s_mul_hi_i32 s31, s27, s6
	s_mul_i32 s30, s27, s6
	s_lshl_b64 s[30:31], s[30:31], 1
	s_mov_b32 s39, 0x20000
	s_waitcnt lgkmcnt(0)
	s_add_u32 s36, s18, s30
	s_addc_u32 s18, s19, s31
	s_and_b32 s37, s18, 0xffff
	v_lshlrev_b32_e32 v38, 5, v0
	buffer_load_dwordx4 v[4:7], v38, s[36:39], 16 offen
	buffer_load_dwordx4 v[8:11], v38, s[36:39], 0 offen
	s_load_dwordx2 s[18:19], s[4:5], 0x20
	s_waitcnt vmcnt(5)
	v_cvt_f32_u32_sdwa v19, v86 dst_sel:DWORD dst_unused:UNUSED_PAD src0_sel:WORD_1
	v_cvt_f32_u32_sdwa v18, v86 dst_sel:DWORD dst_unused:UNUSED_PAD src0_sel:WORD_0
	v_cvt_f32_u32_sdwa v21, v87 dst_sel:DWORD dst_unused:UNUSED_PAD src0_sel:WORD_1
	v_cvt_f32_u32_sdwa v20, v87 dst_sel:DWORD dst_unused:UNUSED_PAD src0_sel:WORD_0
	;; [unrolled: 2-line block ×4, first 2 shown]
	s_waitcnt vmcnt(4)
	v_cvt_f32_u32_sdwa v3, v90 dst_sel:DWORD dst_unused:UNUSED_PAD src0_sel:WORD_1
	v_cvt_f32_u32_sdwa v2, v90 dst_sel:DWORD dst_unused:UNUSED_PAD src0_sel:WORD_0
	v_cvt_f32_u32_sdwa v13, v91 dst_sel:DWORD dst_unused:UNUSED_PAD src0_sel:WORD_1
	v_cvt_f32_u32_sdwa v12, v91 dst_sel:DWORD dst_unused:UNUSED_PAD src0_sel:WORD_0
	;; [unrolled: 2-line block ×3, first 2 shown]
	v_cvt_f32_u32_sdwa v16, v93 dst_sel:DWORD dst_unused:UNUSED_PAD src0_sel:WORD_0
	v_cvt_f32_u32_sdwa v17, v93 dst_sel:DWORD dst_unused:UNUSED_PAD src0_sel:WORD_1
	s_mul_hi_i32 s31, s17, s6
	s_mul_i32 s30, s17, s6
	s_lshl_b64 s[30:31], s[30:31], 1
	s_waitcnt lgkmcnt(0)
	s_add_u32 s36, s18, s30
	s_mov_b32 s17, 0x7060302
	s_addc_u32 s18, s19, s31
	s_and_b32 s37, s18, 0xffff
	s_waitcnt vmcnt(1)
	v_cvt_f32_u32_sdwa v27, v4 dst_sel:DWORD dst_unused:UNUSED_PAD src0_sel:WORD_1
	v_cvt_f32_u32_sdwa v26, v4 dst_sel:DWORD dst_unused:UNUSED_PAD src0_sel:WORD_0
	v_cvt_f32_u32_sdwa v29, v5 dst_sel:DWORD dst_unused:UNUSED_PAD src0_sel:WORD_1
	v_cvt_f32_u32_sdwa v28, v5 dst_sel:DWORD dst_unused:UNUSED_PAD src0_sel:WORD_0
	;; [unrolled: 2-line block ×3, first 2 shown]
	v_cvt_f32_u32_sdwa v34, v7 dst_sel:DWORD dst_unused:UNUSED_PAD src0_sel:WORD_0
	v_cvt_f32_u32_sdwa v35, v7 dst_sel:DWORD dst_unused:UNUSED_PAD src0_sel:WORD_1
	s_waitcnt vmcnt(0)
	v_cvt_f32_u32_sdwa v37, v8 dst_sel:DWORD dst_unused:UNUSED_PAD src0_sel:WORD_1
	v_cvt_f32_u32_sdwa v36, v8 dst_sel:DWORD dst_unused:UNUSED_PAD src0_sel:WORD_0
	v_cvt_f32_u32_sdwa v5, v10 dst_sel:DWORD dst_unused:UNUSED_PAD src0_sel:WORD_1
	v_cvt_f32_u32_sdwa v4, v10 dst_sel:DWORD dst_unused:UNUSED_PAD src0_sel:WORD_0
	;; [unrolled: 2-line block ×4, first 2 shown]
	v_pk_add_f32 v[50:51], v[22:23], v[4:5]
	v_pk_add_f32 v[32:33], v[24:25], v[6:7]
	v_pk_add_f32 v[62:63], v[18:19], v[36:37]
	v_pk_add_f32 v[24:25], v[20:21], v[10:11]
	v_perm_b32 v7, v33, v32, s17
	v_perm_b32 v6, v51, v50, s17
	;; [unrolled: 1-line block ×4, first 2 shown]
	v_pk_add_f32 v[94:95], v[16:17], v[34:35]
	v_pk_add_f32 v[14:15], v[14:15], v[30:31]
	;; [unrolled: 1-line block ×4, first 2 shown]
	buffer_store_dwordx4 v[4:7], v38, s[36:39], 0 offen
	;;#ASMSTART
	s_nop 0
	;;#ASMEND
	s_nop 0
	v_perm_b32 v7, v95, v94, s17
	v_perm_b32 v6, v15, v14, s17
	;; [unrolled: 1-line block ×4, first 2 shown]
	buffer_store_dwordx4 v[4:7], v38, s[36:39], 16 offen
	;;#ASMSTART
	s_nop 0
	;;#ASMEND
.LBB766_10:
	s_or_b64 exec, exec, s[2:3]
.LBB766_11:
	v_mul_f32_e32 v2, v63, v63
	v_fmac_f32_e32 v2, v62, v62
	v_fmac_f32_e32 v2, v24, v24
	;; [unrolled: 1-line block ×15, first 2 shown]
	s_nop 1
	v_mov_b32_dpp v3, v2 quad_perm:[1,0,3,2] row_mask:0xf bank_mask:0xf
	v_add_f32_e32 v2, v2, v3
	s_nop 1
	v_mov_b32_dpp v3, v2 quad_perm:[2,3,0,1] row_mask:0xf bank_mask:0xf
	v_add_f32_e32 v2, v2, v3
	s_nop 1
	v_mov_b32_dpp v3, v2 row_half_mirror row_mask:0xf bank_mask:0xf
	v_add_f32_e32 v2, v2, v3
	s_nop 1
	v_mov_b32_dpp v3, v2 row_mirror row_mask:0xf bank_mask:0xf
	v_add_f32_e32 v2, v2, v3
	s_nop 1
	v_mov_b32_dpp v3, v2 row_bcast:15 row_mask:0xf bank_mask:0xf
	v_add_f32_e32 v2, v2, v3
	v_and_b32_e32 v3, 63, v0
	v_cmp_eq_u32_e64 s[2:3], 63, v3
	s_nop 0
	v_mov_b32_dpp v3, v2 row_bcast:31 row_mask:0xf bank_mask:0xf
	s_waitcnt lgkmcnt(0)
	s_and_saveexec_b64 s[18:19], s[2:3]
	s_cbranch_execz .LBB766_13
; %bb.12:
	v_add_f32_e32 v2, v2, v3
	v_lshrrev_b32_e32 v3, 4, v0
	v_and_b32_e32 v3, 60, v3
	ds_write_b32 v3, v2 offset:16
.LBB766_13:
	s_or_b64 exec, exec, s[18:19]
	v_and_b32_e32 v2, 3, v0
	v_lshlrev_b32_e32 v34, 2, v2
	s_waitcnt lgkmcnt(0)
	s_barrier
	ds_read_b32 v2, v34 offset:16
	s_load_dwordx2 s[18:19], s[4:5], 0x18
	s_waitcnt lgkmcnt(0)
	v_mov_b32_dpp v3, v2 quad_perm:[1,0,3,2] row_mask:0xf bank_mask:0xf
	v_add_f32_e32 v2, v2, v3
	s_nop 1
	v_mov_b32_dpp v3, v2 quad_perm:[2,3,0,1] row_mask:0xf bank_mask:0xf
	s_and_saveexec_b64 s[30:31], s[0:1]
	s_cbranch_execnz .LBB766_18
; %bb.14:
	s_or_b64 exec, exec, s[30:31]
	s_mov_b64 s[8:9], -1
	s_and_b64 vcc, exec, s[10:11]
	s_cbranch_vccnz .LBB766_19
.LBB766_15:
	s_andn2_b64 vcc, exec, s[8:9]
	s_cbranch_vccz .LBB766_22
.LBB766_16:
	s_cmp_lt_i32 s24, 1
	s_cbranch_scc0 .LBB766_31
.LBB766_17:
	s_endpgm
.LBB766_18:
	v_add_f32_e32 v2, v2, v3
	v_cvt_f32_u32_e32 v3, s7
	s_mov_b32 s7, 0x800000
	s_waitcnt vmcnt(1)
	v_cvt_f32_u32_sdwa v21, v83 dst_sel:DWORD dst_unused:UNUSED_PAD src0_sel:WORD_1
	v_cvt_f32_u32_sdwa v20, v83 dst_sel:DWORD dst_unused:UNUSED_PAD src0_sel:WORD_0
	v_div_scale_f32 v4, s[36:37], v3, v3, v2
	v_rcp_f32_e32 v5, v4
	s_waitcnt vmcnt(0)
	v_cvt_f32_u32_sdwa v23, v80 dst_sel:DWORD dst_unused:UNUSED_PAD src0_sel:WORD_1
	v_cvt_f32_u32_sdwa v22, v80 dst_sel:DWORD dst_unused:UNUSED_PAD src0_sel:WORD_0
	v_cvt_f32_u32_sdwa v27, v81 dst_sel:DWORD dst_unused:UNUSED_PAD src0_sel:WORD_1
	v_fma_f32 v6, -v4, v5, 1.0
	v_fmac_f32_e32 v5, v6, v5
	v_div_scale_f32 v6, vcc, v2, v3, v2
	v_mul_f32_e32 v7, v6, v5
	v_fma_f32 v8, -v4, v7, v6
	v_fmac_f32_e32 v7, v8, v5
	v_fma_f32 v4, -v4, v7, v6
	v_div_fmas_f32 v4, v4, v5, v7
	v_div_fixup_f32 v2, v4, v3, v2
	v_mov_b32_e32 v3, s21
	v_mov_b32_e32 v4, s20
	v_cndmask_b32_e64 v3, v3, v4, s[8:9]
	v_add_f32_e32 v2, v3, v2
	v_mul_f32_e32 v3, 0x4b800000, v2
	v_cmp_gt_f32_e32 vcc, s7, v2
	v_cndmask_b32_e32 v2, v2, v3, vcc
	v_rsq_f32_e32 v2, v2
	v_cvt_f32_u32_sdwa v26, v81 dst_sel:DWORD dst_unused:UNUSED_PAD src0_sel:WORD_0
	v_mul_f32_e32 v3, 0x45800000, v2
	v_cndmask_b32_e32 v2, v2, v3, vcc
	v_mov_b32_e32 v3, v2
	;;#ASMSTART
	v_pk_mul_f32 v[4:5], v[62:63], v[2:3]
	;;#ASMEND
	;;#ASMSTART
	v_pk_mul_f32 v[6:7], v[24:25], v[2:3]
	;;#ASMEND
	;; [unrolled: 3-line block ×6, first 2 shown]
	v_cvt_f32_u32_sdwa v19, v82 dst_sel:DWORD dst_unused:UNUSED_PAD src0_sel:WORD_1
	v_cvt_f32_u32_sdwa v18, v82 dst_sel:DWORD dst_unused:UNUSED_PAD src0_sel:WORD_0
	;;#ASMSTART
	v_pk_mul_f32 v[14:15], v[14:15], v[2:3]
	;;#ASMEND
	;;#ASMSTART
	v_pk_mul_f32 v[2:3], v[94:95], v[2:3]
	;;#ASMEND
	;; [unrolled: 3-line block ×3, first 2 shown]
	v_cvt_f32_u32_sdwa v19, v78 dst_sel:DWORD dst_unused:UNUSED_PAD src0_sel:WORD_1
	v_cvt_f32_u32_sdwa v18, v78 dst_sel:DWORD dst_unused:UNUSED_PAD src0_sel:WORD_0
	;;#ASMSTART
	v_pk_mul_f32 v[24:25], v[6:7], v[20:21]
	;;#ASMEND
	v_cvt_f32_u32_sdwa v5, v84 dst_sel:DWORD dst_unused:UNUSED_PAD src0_sel:WORD_1
	v_cvt_f32_u32_sdwa v4, v84 dst_sel:DWORD dst_unused:UNUSED_PAD src0_sel:WORD_0
	v_cvt_f32_u32_sdwa v7, v85 dst_sel:DWORD dst_unused:UNUSED_PAD src0_sel:WORD_1
	v_cvt_f32_u32_sdwa v6, v85 dst_sel:DWORD dst_unused:UNUSED_PAD src0_sel:WORD_0
	v_cvt_f32_u32_sdwa v21, v79 dst_sel:DWORD dst_unused:UNUSED_PAD src0_sel:WORD_1
	v_cvt_f32_u32_sdwa v20, v79 dst_sel:DWORD dst_unused:UNUSED_PAD src0_sel:WORD_0
	;;#ASMSTART
	v_pk_mul_f32 v[50:51], v[8:9], v[4:5]
	;;#ASMEND
	;;#ASMSTART
	v_pk_mul_f32 v[32:33], v[10:11], v[6:7]
	;;#ASMEND
	;; [unrolled: 3-line block ×6, first 2 shown]
	s_or_b64 exec, exec, s[30:31]
	s_mov_b64 s[8:9], -1
	s_and_b64 vcc, exec, s[10:11]
	s_cbranch_vccz .LBB766_15
.LBB766_19:
	s_and_saveexec_b64 s[8:9], s[0:1]
	s_cbranch_execz .LBB766_21
; %bb.20:
	s_mul_hi_i32 s11, s16, s6
	s_mul_i32 s10, s16, s6
	s_lshl_b64 s[10:11], s[10:11], 1
	s_add_u32 s36, s18, s10
	s_addc_u32 s7, s19, s11
	s_and_b32 s37, s7, 0xffff
	s_mov_b32 s7, 0x7060302
	s_mov_b32 s39, 0x20000
	v_perm_b32 v5, v33, v32, s7
	v_perm_b32 v4, v51, v50, s7
	;; [unrolled: 1-line block ×4, first 2 shown]
	v_lshlrev_b32_e32 v6, 5, v0
	buffer_store_dwordx4 v[2:5], v6, s[36:39], 0 offen
	;;#ASMSTART
	s_nop 0
	;;#ASMEND
	s_nop 0
	v_perm_b32 v5, v95, v94, s7
	v_perm_b32 v4, v15, v14, s7
	;; [unrolled: 1-line block ×4, first 2 shown]
	buffer_store_dwordx4 v[2:5], v6, s[36:39], 16 offen
	;;#ASMSTART
	s_nop 0
	;;#ASMEND
.LBB766_21:
	s_or_b64 exec, exec, s[8:9]
	s_cbranch_execnz .LBB766_16
.LBB766_22:
	v_mov_b32_e32 v2, 0
	s_and_saveexec_b64 s[8:9], s[0:1]
	s_cbranch_execz .LBB766_24
; %bb.23:
	s_load_dwordx2 s[10:11], s[4:5], 0x10
	s_mul_hi_i32 s31, s15, s6
	s_mul_i32 s30, s15, s6
	s_lshl_b64 s[30:31], s[30:31], 1
	s_mov_b32 s39, 0x20000
	s_waitcnt lgkmcnt(0)
	s_add_u32 s36, s10, s30
	s_addc_u32 s7, s11, s31
	s_and_b32 s37, s7, 0xffff
	s_mov_b32 s7, 0x7060302
	v_perm_b32 v5, v33, v32, s7
	v_perm_b32 v4, v51, v50, s7
	;; [unrolled: 1-line block ×4, first 2 shown]
	v_lshlrev_b32_e32 v6, 5, v0
	buffer_store_dwordx4 v[2:5], v6, s[36:39], 0 offen
	;;#ASMSTART
	s_nop 0
	;;#ASMEND
	s_nop 0
	v_perm_b32 v5, v95, v94, s7
	v_perm_b32 v4, v15, v14, s7
	;; [unrolled: 1-line block ×4, first 2 shown]
	buffer_store_dwordx4 v[2:5], v6, s[36:39], 16 offen
	;;#ASMSTART
	s_nop 0
	;;#ASMEND
	s_nop 0
	v_mov_b32_e32 v2, 0x2edbe6ff
.LBB766_24:
	s_or_b64 exec, exec, s[8:9]
	s_and_saveexec_b64 s[8:9], s[0:1]
	s_cbranch_execz .LBB766_26
; %bb.25:
	v_and_b32_e32 v3, 0x7fffffff, v62
	v_and_b32_e32 v4, 0x7fffffff, v63
	;;#ASMSTART
	v_max3_f32 v2, v2, v3, v4

	;;#ASMEND
	v_and_b32_e32 v3, 0x7fffffff, v24
	v_and_b32_e32 v4, 0x7fffffff, v25
	;;#ASMSTART
	v_max3_f32 v2, v2, v3, v4

	;;#ASMEND
	;; [unrolled: 6-line block ×8, first 2 shown]
.LBB766_26:
	s_or_b64 exec, exec, s[8:9]
	;;#ASMSTART
	v_max_f32 v3, v2, v2 quad_perm:[1,0,3,2] row_mask:0xf bank_mask:0xf bound_ctrl:1
	;;#ASMEND
	;;#ASMSTART
	v_max_f32 v2, v3, v3 quad_perm:[2,3,0,1] row_mask:0xf bank_mask:0xf bound_ctrl:1
	;;#ASMEND
	;;#ASMSTART
	v_max_f32 v3, v2, v2 row_half_mirror row_mask:0xf bank_mask:0xf bound_ctrl:1
	;;#ASMEND
	v_mul_f32_e32 v2, 0x3b124925, v3
	v_and_b32_e32 v3, 7, v0
	v_cmp_eq_u32_e32 vcc, 0, v3
	v_cmp_gt_i32_e64 s[8:9], s23, v1
	s_and_b64 s[10:11], vcc, s[8:9]
	s_and_saveexec_b64 s[8:9], s[10:11]
	s_cbranch_execz .LBB766_28
; %bb.27:
	s_load_dwordx2 s[10:11], s[4:5], 0x8
	v_lshrrev_b32_e32 v3, 3, v0
	s_mul_hi_i32 s31, s13, s6
	s_mul_i32 s30, s13, s6
	v_mad_i64_i32 v[4:5], s[14:15], s14, v3, 0
	s_lshl_b64 s[14:15], s[30:31], 2
	s_waitcnt lgkmcnt(0)
	s_add_u32 s7, s10, s14
	s_addc_u32 s10, s11, s15
	v_lshlrev_b64 v[4:5], 2, v[4:5]
	v_mov_b32_e32 v3, s10
	v_add_co_u32_e32 v4, vcc, s7, v4
	v_addc_co_u32_e32 v5, vcc, v3, v5, vcc
	global_store_dword v[4:5], v2, off
.LBB766_28:
	s_or_b64 exec, exec, s[8:9]
	;;#ASMSTART
	v_rcp_f32 v2, v2
	;;#ASMEND
	s_and_saveexec_b64 s[14:15], s[0:1]
	s_cbranch_execz .LBB766_30
; %bb.29:
	v_mov_b32_e32 v3, v2
	;;#ASMSTART
	v_pk_mul_f32 v[4:5], v[62:63], v[2:3]
	;;#ASMEND
	v_mov_b32_e32 v10, 0xc3e00000
	v_mov_b32_e32 v11, 0x43e00000
	;;#ASMSTART
	v_med3_f32 v4, v4, v10, v11
v_med3_f32 v5, v5, v10, v11
v_cvt_pk_fp8_f32 v6, v4, v5
	;;#ASMEND
	;;#ASMSTART
	v_pk_mul_f32 v[4:5], v[24:25], v[2:3]
	;;#ASMEND
	;;#ASMSTART
	v_med3_f32 v4, v4, v10, v11
v_med3_f32 v5, v5, v10, v11
v_cvt_pk_fp8_f32 v7, v4, v5
	;;#ASMEND
	;;#ASMSTART
	v_pk_mul_f32 v[4:5], v[50:51], v[2:3]
	;;#ASMEND
	;; [unrolled: 8-line block ×3, first 2 shown]
	;;#ASMSTART
	v_med3_f32 v4, v4, v10, v11
v_med3_f32 v5, v5, v10, v11
v_cvt_pk_fp8_f32 v9, v4, v5
	;;#ASMEND
	s_mov_b32 s0, 0x5040100
	v_perm_b32 v4, v7, v6, s0
	s_mov_b32 s0, 0x1060504
	v_perm_b32 v4, v4, v7, s0
	s_load_dwordx2 s[0:1], s[4:5], 0x0
	s_mov_b32 s7, 0x1000504
	;;#ASMSTART
	v_pk_mul_f32 v[6:7], v[42:43], v[2:3]
	;;#ASMEND
	v_perm_b32 v5, v8, v9, s7
	s_mul_i32 s8, s12, s6
	;;#ASMSTART
	v_med3_f32 v6, v6, v10, v11
v_med3_f32 v7, v7, v10, v11
v_cvt_pk_fp8_f32 v8, v6, v7
	;;#ASMEND
	s_mul_hi_i32 s9, s12, s6
	s_waitcnt lgkmcnt(0)
	s_add_u32 s8, s0, s8
	;;#ASMSTART
	v_pk_mul_f32 v[6:7], v[18:19], v[2:3]
	;;#ASMEND
	s_addc_u32 s0, s1, s9
	s_add_i32 s1, s23, 3
	;;#ASMSTART
	v_med3_f32 v6, v6, v10, v11
v_med3_f32 v7, v7, v10, v11
v_cvt_pk_fp8_f32 v9, v6, v7
	;;#ASMEND
	s_ashr_i32 s9, s1, 31
	v_perm_b32 v6, v8, v9, s7
	;;#ASMSTART
	v_pk_mul_f32 v[8:9], v[14:15], v[2:3]
	;;#ASMEND
	v_mov_b32_e32 v7, v9
	s_lshr_b32 s9, s9, 30
	;;#ASMSTART
	v_med3_f32 v8, v8, v10, v11
v_med3_f32 v7, v7, v10, v11
v_cvt_pk_fp8_f32 v9, v8, v7
	;;#ASMEND
	;;#ASMSTART
	v_pk_mul_f32 v[2:3], v[94:95], v[2:3]
	;;#ASMEND
	s_add_i32 s1, s1, s9
	;;#ASMSTART
	v_med3_f32 v2, v2, v10, v11
v_med3_f32 v3, v3, v10, v11
v_cvt_pk_fp8_f32 v7, v2, v3
	;;#ASMEND
	s_and_b32 s10, s1, -4
	s_and_b32 s9, s0, 0xffff
	s_mov_b32 s11, 0x20000
	v_perm_b32 v7, v9, v7, s7
	buffer_store_dwordx4 v[4:7], v1, s[8:11], 0 offen
	;;#ASMSTART
	s_nop 0
	;;#ASMEND
.LBB766_30:
	s_or_b64 exec, exec, s[14:15]
	s_cmp_lt_i32 s24, 1
	s_cbranch_scc1 .LBB766_17
.LBB766_31:
	s_load_dword s0, s[4:5], 0x94
	s_waitcnt lgkmcnt(0)
	s_cmp_lg_u32 s0, 1
	s_cbranch_scc1 .LBB766_17
; %bb.32:
	s_lshl_b32 s0, s24, 1
	s_add_i32 s0, s0, 2
	v_cmp_gt_u32_e32 vcc, s24, v1
	s_and_b32 s30, s0, -4
	v_mov_b32_e32 v18, 0
	v_lshlrev_b32_e32 v1, 5, v0
	v_mov_b32_e32 v14, 0
	v_mov_b32_e32 v15, 0
	;; [unrolled: 1-line block ×16, first 2 shown]
	s_barrier
	s_and_saveexec_b64 s[0:1], vcc
	s_cbranch_execz .LBB766_34
; %bb.33:
	s_mul_hi_i32 s5, s26, s6
	s_mul_i32 s4, s26, s6
	s_and_b32 s29, s29, 0xffff
	s_lshl_b64 s[4:5], s[4:5], 1
	s_add_u32 s8, s34, s4
	s_mov_b32 s31, 0x20000
	s_addc_u32 s4, s35, s5
	s_and_b32 s9, s4, 0xffff
	s_mov_b32 s10, s30
	s_mov_b32 s11, s31
	buffer_load_dwordx4 v[14:17], v1, s[8:11], 0 offen
	buffer_load_dwordx4 v[10:13], v1, s[8:11], 16 offen
	;; [unrolled: 1-line block ×4, first 2 shown]
.LBB766_34:
	s_or_b64 exec, exec, s[0:1]
	v_mov_b32_e32 v19, 0
	v_mov_b32_e32 v32, 0
	v_mov_b32_e32 v33, 0
	v_mov_b32_e32 v30, 0
	v_mov_b32_e32 v31, 0
	v_mov_b32_e32 v28, 0
	v_mov_b32_e32 v29, 0
	v_mov_b32_e32 v26, 0
	v_mov_b32_e32 v27, 0
	v_mov_b32_e32 v24, 0
	v_mov_b32_e32 v25, 0
	v_mov_b32_e32 v22, 0
	v_mov_b32_e32 v23, 0
	v_mov_b32_e32 v20, 0
	v_mov_b32_e32 v21, 0
	s_and_saveexec_b64 s[0:1], vcc
	s_cbranch_execz .LBB766_36
; %bb.35:
	s_waitcnt vmcnt(3)
	v_cvt_f32_u32_sdwa v18, v14 dst_sel:DWORD dst_unused:UNUSED_PAD src0_sel:WORD_0
	v_cvt_f32_u32_sdwa v19, v14 dst_sel:DWORD dst_unused:UNUSED_PAD src0_sel:WORD_1
	v_cvt_f32_u32_sdwa v32, v15 dst_sel:DWORD dst_unused:UNUSED_PAD src0_sel:WORD_0
	v_cvt_f32_u32_sdwa v33, v15 dst_sel:DWORD dst_unused:UNUSED_PAD src0_sel:WORD_1
	;; [unrolled: 2-line block ×4, first 2 shown]
	s_waitcnt vmcnt(2)
	v_cvt_f32_u32_sdwa v26, v10 dst_sel:DWORD dst_unused:UNUSED_PAD src0_sel:WORD_0
	v_cvt_f32_u32_sdwa v27, v10 dst_sel:DWORD dst_unused:UNUSED_PAD src0_sel:WORD_1
	v_cvt_f32_u32_sdwa v24, v11 dst_sel:DWORD dst_unused:UNUSED_PAD src0_sel:WORD_0
	v_cvt_f32_u32_sdwa v25, v11 dst_sel:DWORD dst_unused:UNUSED_PAD src0_sel:WORD_1
	;; [unrolled: 2-line block ×4, first 2 shown]
.LBB766_36:
	s_or_b64 exec, exec, s[0:1]
	s_waitcnt vmcnt(2)
	v_mul_f32_e32 v10, v19, v19
	v_fmac_f32_e32 v10, v18, v18
	v_fmac_f32_e32 v10, v32, v32
	v_fmac_f32_e32 v10, v33, v33
	v_fmac_f32_e32 v10, v30, v30
	v_fmac_f32_e32 v10, v31, v31
	v_fmac_f32_e32 v10, v28, v28
	v_fmac_f32_e32 v10, v29, v29
	v_fmac_f32_e32 v10, v26, v26
	v_fmac_f32_e32 v10, v27, v27
	v_fmac_f32_e32 v10, v24, v24
	v_fmac_f32_e32 v10, v25, v25
	v_fmac_f32_e32 v10, v22, v22
	v_fmac_f32_e32 v10, v23, v23
	v_fmac_f32_e32 v10, v20, v20
	v_fmac_f32_e32 v10, v21, v21
	s_nop 1
	v_mov_b32_dpp v11, v10 quad_perm:[1,0,3,2] row_mask:0xf bank_mask:0xf
	v_add_f32_e32 v10, v10, v11
	s_nop 1
	v_mov_b32_dpp v11, v10 quad_perm:[2,3,0,1] row_mask:0xf bank_mask:0xf
	v_add_f32_e32 v10, v10, v11
	s_nop 1
	v_mov_b32_dpp v11, v10 row_half_mirror row_mask:0xf bank_mask:0xf
	v_add_f32_e32 v10, v10, v11
	s_nop 1
	v_mov_b32_dpp v11, v10 row_mirror row_mask:0xf bank_mask:0xf
	v_add_f32_e32 v10, v10, v11
	s_nop 1
	v_mov_b32_dpp v11, v10 row_bcast:15 row_mask:0xf bank_mask:0xf
	v_add_f32_e32 v10, v10, v11
	s_nop 1
	v_mov_b32_dpp v11, v10 row_bcast:31 row_mask:0xf bank_mask:0xf
	s_and_saveexec_b64 s[0:1], s[2:3]
	s_cbranch_execz .LBB766_38
; %bb.37:
	v_lshrrev_b32_e32 v0, 4, v0
	v_add_f32_e32 v10, v10, v11
	v_and_b32_e32 v0, 60, v0
	ds_write_b32 v0, v10
.LBB766_38:
	s_or_b64 exec, exec, s[0:1]
	s_waitcnt lgkmcnt(0)
	s_barrier
	ds_read_b32 v0, v34
	s_waitcnt lgkmcnt(0)
	s_nop 0
	v_mov_b32_dpp v10, v0 quad_perm:[1,0,3,2] row_mask:0xf bank_mask:0xf
	v_add_f32_e32 v0, v0, v10
	s_nop 1
	v_mov_b32_dpp v10, v0 quad_perm:[2,3,0,1] row_mask:0xf bank_mask:0xf
	s_and_saveexec_b64 s[0:1], vcc
	s_cbranch_execz .LBB766_17
; %bb.39:
	v_cvt_f32_u32_e32 v11, s24
	v_add_f32_e32 v0, v0, v10
	s_mov_b32 s31, 0x20000
	v_div_scale_f32 v10, s[0:1], v11, v11, v0
	v_rcp_f32_e32 v12, v10
	v_div_scale_f32 v13, vcc, v0, v11, v0
	s_mov_b32 s0, 0x800000
	v_fma_f32 v14, -v10, v12, 1.0
	v_fmac_f32_e32 v12, v14, v12
	v_mul_f32_e32 v14, v13, v12
	v_fma_f32 v15, -v10, v14, v13
	v_fmac_f32_e32 v14, v15, v12
	v_fma_f32 v10, -v10, v14, v13
	v_div_fmas_f32 v10, v10, v12, v14
	v_div_fixup_f32 v0, v10, v11, v0
	v_add_f32_e32 v0, s21, v0
	v_mul_f32_e32 v10, 0x4b800000, v0
	v_cmp_gt_f32_e32 vcc, s0, v0
	v_cndmask_b32_e32 v0, v0, v10, vcc
	v_rsq_f32_e32 v0, v0
	s_mul_hi_i32 s1, s16, s6
	s_mul_i32 s0, s16, s6
	s_lshl_b64 s[0:1], s[0:1], 1
	v_mul_f32_e32 v10, 0x45800000, v0
	v_cndmask_b32_e32 v10, v0, v10, vcc
	v_mov_b32_e32 v11, v10
	s_add_u32 s28, s18, s0
	;;#ASMSTART
	v_pk_mul_f32 v[12:13], v[18:19], v[10:11]
	;;#ASMEND
	;;#ASMSTART
	v_pk_mul_f32 v[14:15], v[32:33], v[10:11]
	;;#ASMEND
	;; [unrolled: 3-line block ×8, first 2 shown]
	s_waitcnt vmcnt(1)
	v_cvt_f32_u32_sdwa v21, v6 dst_sel:DWORD dst_unused:UNUSED_PAD src0_sel:WORD_1
	v_cvt_f32_u32_sdwa v20, v6 dst_sel:DWORD dst_unused:UNUSED_PAD src0_sel:WORD_0
	v_cvt_f32_u32_sdwa v29, v7 dst_sel:DWORD dst_unused:UNUSED_PAD src0_sel:WORD_1
	v_cvt_f32_u32_sdwa v28, v7 dst_sel:DWORD dst_unused:UNUSED_PAD src0_sel:WORD_0
	;; [unrolled: 2-line block ×3, first 2 shown]
	s_addc_u32 s0, s19, s1
	v_cvt_f32_u32_sdwa v31, v9 dst_sel:DWORD dst_unused:UNUSED_PAD src0_sel:WORD_1
	v_cvt_f32_u32_sdwa v30, v9 dst_sel:DWORD dst_unused:UNUSED_PAD src0_sel:WORD_0
	;;#ASMSTART
	v_pk_mul_f32 v[8:9], v[12:13], v[20:21]
	;;#ASMEND
	;;#ASMSTART
	v_pk_mul_f32 v[12:13], v[14:15], v[28:29]
	;;#ASMEND
	;; [unrolled: 3-line block ×4, first 2 shown]
	s_waitcnt vmcnt(0)
	v_cvt_f32_u32_sdwa v17, v2 dst_sel:DWORD dst_unused:UNUSED_PAD src0_sel:WORD_1
	v_cvt_f32_u32_sdwa v16, v2 dst_sel:DWORD dst_unused:UNUSED_PAD src0_sel:WORD_0
	v_cvt_f32_u32_sdwa v19, v3 dst_sel:DWORD dst_unused:UNUSED_PAD src0_sel:WORD_1
	v_cvt_f32_u32_sdwa v18, v3 dst_sel:DWORD dst_unused:UNUSED_PAD src0_sel:WORD_0
	v_cvt_f32_u32_sdwa v3, v4 dst_sel:DWORD dst_unused:UNUSED_PAD src0_sel:WORD_1
	v_cvt_f32_u32_sdwa v2, v4 dst_sel:DWORD dst_unused:UNUSED_PAD src0_sel:WORD_0
	s_and_b32 s29, s0, 0xffff
	s_mov_b32 s0, 0x7060302
	v_cvt_f32_u32_sdwa v21, v5 dst_sel:DWORD dst_unused:UNUSED_PAD src0_sel:WORD_1
	v_cvt_f32_u32_sdwa v20, v5 dst_sel:DWORD dst_unused:UNUSED_PAD src0_sel:WORD_0
	;;#ASMSTART
	v_pk_mul_f32 v[16:17], v[26:27], v[16:17]
	;;#ASMEND
	;;#ASMSTART
	v_pk_mul_f32 v[18:19], v[24:25], v[18:19]
	;;#ASMEND
	;; [unrolled: 3-line block ×3, first 2 shown]
	v_perm_b32 v2, v9, v8, s0
	v_perm_b32 v3, v13, v12, s0
	;; [unrolled: 1-line block ×4, first 2 shown]
	;;#ASMSTART
	v_pk_mul_f32 v[10:11], v[10:11], v[20:21]
	;;#ASMEND
	buffer_store_dwordx4 v[2:5], v1, s[28:31], 0 offen
	;;#ASMSTART
	s_nop 0
	;;#ASMEND
	s_nop 0
	v_perm_b32 v2, v17, v16, s0
	v_perm_b32 v3, v19, v18, s0
	;; [unrolled: 1-line block ×4, first 2 shown]
	buffer_store_dwordx4 v[2:5], v1, s[28:31], 16 offen
	;;#ASMSTART
	s_nop 0
	;;#ASMEND
	s_endpgm
	.section	.rodata,"a",@progbits
	.p2align	6, 0x0
	.amdhsa_kernel _ZN5aiter35fused_qk_rmsnorm_group_quant_kernelItDB8_Li256ELi16ELi8ELb1ELb1ELb0ELb0ELb0ELb0EEEvPT0_PvPT_S6_S6_PKS5_S8_S8_S8_S8_ffiiiiiiiiiiiii
		.amdhsa_group_segment_fixed_size 32
		.amdhsa_private_segment_fixed_size 0
		.amdhsa_kernarg_size 400
		.amdhsa_user_sgpr_count 6
		.amdhsa_user_sgpr_private_segment_buffer 1
		.amdhsa_user_sgpr_dispatch_ptr 0
		.amdhsa_user_sgpr_queue_ptr 0
		.amdhsa_user_sgpr_kernarg_segment_ptr 1
		.amdhsa_user_sgpr_dispatch_id 0
		.amdhsa_user_sgpr_flat_scratch_init 0
		.amdhsa_user_sgpr_kernarg_preload_length 0
		.amdhsa_user_sgpr_kernarg_preload_offset 0
		.amdhsa_user_sgpr_private_segment_size 0
		.amdhsa_uses_dynamic_stack 0
		.amdhsa_system_sgpr_private_segment_wavefront_offset 0
		.amdhsa_system_sgpr_workgroup_id_x 1
		.amdhsa_system_sgpr_workgroup_id_y 1
		.amdhsa_system_sgpr_workgroup_id_z 0
		.amdhsa_system_sgpr_workgroup_info 0
		.amdhsa_system_vgpr_workitem_id 0
		.amdhsa_next_free_vgpr 96
		.amdhsa_next_free_sgpr 44
		.amdhsa_accum_offset 96
		.amdhsa_reserve_vcc 1
		.amdhsa_reserve_flat_scratch 0
		.amdhsa_float_round_mode_32 0
		.amdhsa_float_round_mode_16_64 0
		.amdhsa_float_denorm_mode_32 3
		.amdhsa_float_denorm_mode_16_64 3
		.amdhsa_dx10_clamp 1
		.amdhsa_ieee_mode 1
		.amdhsa_fp16_overflow 0
		.amdhsa_tg_split 0
		.amdhsa_exception_fp_ieee_invalid_op 0
		.amdhsa_exception_fp_denorm_src 0
		.amdhsa_exception_fp_ieee_div_zero 0
		.amdhsa_exception_fp_ieee_overflow 0
		.amdhsa_exception_fp_ieee_underflow 0
		.amdhsa_exception_fp_ieee_inexact 0
		.amdhsa_exception_int_div_zero 0
	.end_amdhsa_kernel
	.section	.text._ZN5aiter35fused_qk_rmsnorm_group_quant_kernelItDB8_Li256ELi16ELi8ELb1ELb1ELb0ELb0ELb0ELb0EEEvPT0_PvPT_S6_S6_PKS5_S8_S8_S8_S8_ffiiiiiiiiiiiii,"axG",@progbits,_ZN5aiter35fused_qk_rmsnorm_group_quant_kernelItDB8_Li256ELi16ELi8ELb1ELb1ELb0ELb0ELb0ELb0EEEvPT0_PvPT_S6_S6_PKS5_S8_S8_S8_S8_ffiiiiiiiiiiiii,comdat
.Lfunc_end766:
	.size	_ZN5aiter35fused_qk_rmsnorm_group_quant_kernelItDB8_Li256ELi16ELi8ELb1ELb1ELb0ELb0ELb0ELb0EEEvPT0_PvPT_S6_S6_PKS5_S8_S8_S8_S8_ffiiiiiiiiiiiii, .Lfunc_end766-_ZN5aiter35fused_qk_rmsnorm_group_quant_kernelItDB8_Li256ELi16ELi8ELb1ELb1ELb0ELb0ELb0ELb0EEEvPT0_PvPT_S6_S6_PKS5_S8_S8_S8_S8_ffiiiiiiiiiiiii
                                        ; -- End function
	.section	.AMDGPU.csdata,"",@progbits
; Kernel info:
; codeLenInByte = 4256
; NumSgprs: 48
; NumVgprs: 96
; NumAgprs: 0
; TotalNumVgprs: 96
; ScratchSize: 0
; MemoryBound: 0
; FloatMode: 240
; IeeeMode: 1
; LDSByteSize: 32 bytes/workgroup (compile time only)
; SGPRBlocks: 5
; VGPRBlocks: 11
; NumSGPRsForWavesPerEU: 48
; NumVGPRsForWavesPerEU: 96
; AccumOffset: 96
; Occupancy: 5
; WaveLimiterHint : 0
; COMPUTE_PGM_RSRC2:SCRATCH_EN: 0
; COMPUTE_PGM_RSRC2:USER_SGPR: 6
; COMPUTE_PGM_RSRC2:TRAP_HANDLER: 0
; COMPUTE_PGM_RSRC2:TGID_X_EN: 1
; COMPUTE_PGM_RSRC2:TGID_Y_EN: 1
; COMPUTE_PGM_RSRC2:TGID_Z_EN: 0
; COMPUTE_PGM_RSRC2:TIDIG_COMP_CNT: 0
; COMPUTE_PGM_RSRC3_GFX90A:ACCUM_OFFSET: 23
; COMPUTE_PGM_RSRC3_GFX90A:TG_SPLIT: 0
	.section	.text._ZN5aiter35fused_qk_rmsnorm_group_quant_kernelIDF16_N4opus5fp4_tELi256ELi16ELi8ELb1ELb1ELb0ELb0ELb0ELb0EEEvPT0_PvPT_S7_S7_PKS6_S9_S9_S9_S9_ffiiiiiiiiiiiii,"axG",@progbits,_ZN5aiter35fused_qk_rmsnorm_group_quant_kernelIDF16_N4opus5fp4_tELi256ELi16ELi8ELb1ELb1ELb0ELb0ELb0ELb0EEEvPT0_PvPT_S7_S7_PKS6_S9_S9_S9_S9_ffiiiiiiiiiiiii,comdat
	.protected	_ZN5aiter35fused_qk_rmsnorm_group_quant_kernelIDF16_N4opus5fp4_tELi256ELi16ELi8ELb1ELb1ELb0ELb0ELb0ELb0EEEvPT0_PvPT_S7_S7_PKS6_S9_S9_S9_S9_ffiiiiiiiiiiiii ; -- Begin function _ZN5aiter35fused_qk_rmsnorm_group_quant_kernelIDF16_N4opus5fp4_tELi256ELi16ELi8ELb1ELb1ELb0ELb0ELb0ELb0EEEvPT0_PvPT_S7_S7_PKS6_S9_S9_S9_S9_ffiiiiiiiiiiiii
	.globl	_ZN5aiter35fused_qk_rmsnorm_group_quant_kernelIDF16_N4opus5fp4_tELi256ELi16ELi8ELb1ELb1ELb0ELb0ELb0ELb0EEEvPT0_PvPT_S7_S7_PKS6_S9_S9_S9_S9_ffiiiiiiiiiiiii
	.p2align	8
	.type	_ZN5aiter35fused_qk_rmsnorm_group_quant_kernelIDF16_N4opus5fp4_tELi256ELi16ELi8ELb1ELb1ELb0ELb0ELb0ELb0EEEvPT0_PvPT_S7_S7_PKS6_S9_S9_S9_S9_ffiiiiiiiiiiiii,@function
_ZN5aiter35fused_qk_rmsnorm_group_quant_kernelIDF16_N4opus5fp4_tELi256ELi16ELi8ELb1ELb1ELb0ELb0ELb0ELb0EEEvPT0_PvPT_S7_S7_PKS6_S9_S9_S9_S9_ffiiiiiiiiiiiii: ; @_ZN5aiter35fused_qk_rmsnorm_group_quant_kernelIDF16_N4opus5fp4_tELi256ELi16ELi8ELb1ELb1ELb0ELb0ELb0ELb0EEEvPT0_PvPT_S7_S7_PKS6_S9_S9_S9_S9_ffiiiiiiiiiiiii
; %bb.0:
	s_load_dwordx8 s[20:27], s[4:5], 0x50
	s_waitcnt lgkmcnt(0)
	s_cmp_ge_i32 s6, s22
	s_cbranch_scc1 .LBB767_17
; %bb.1:
	s_cmp_lg_u32 s7, 0
	s_cselect_b64 s[30:31], -1, 0
	s_cmp_eq_u32 s7, 0
	s_cselect_b64 s[8:9], -1, 0
	s_and_b64 s[0:1], s[8:9], exec
	s_load_dwordx2 s[28:29], s[4:5], 0x48
	s_load_dwordx2 s[10:11], s[4:5], 0x30
	s_load_dwordx8 s[12:19], s[4:5], 0x70
	s_cselect_b32 s7, s23, s24
	s_add_i32 s0, s7, 1
	s_lshr_b32 s1, s0, 31
	s_add_i32 s0, s0, s1
	s_lshl_b32 s0, s0, 1
	v_lshlrev_b32_e32 v1, 4, v0
	s_and_b32 s38, s0, -4
	v_cmp_gt_i32_e64 s[0:1], s7, v1
	v_mov_b32_e32 v6, 0
	v_mov_b32_e32 v7, 0
	;; [unrolled: 1-line block ×16, first 2 shown]
	s_and_saveexec_b64 s[2:3], s[0:1]
	s_cbranch_execz .LBB767_3
; %bb.2:
	s_waitcnt lgkmcnt(0)
	s_load_dwordx2 s[18:19], s[4:5], 0x28
	s_load_dwordx2 s[34:35], s[4:5], 0x40
	s_and_b64 s[36:37], s[8:9], exec
	s_cselect_b32 s22, s25, s26
	s_mov_b32 s39, 0x20000
	s_waitcnt lgkmcnt(0)
	s_cselect_b32 s25, s19, s11
	s_cselect_b32 s33, s18, s10
	s_mul_hi_i32 s19, s22, s6
	s_mul_i32 s18, s22, s6
	s_lshl_b64 s[18:19], s[18:19], 1
	s_add_u32 s40, s33, s18
	s_addc_u32 s22, s25, s19
	s_and_b64 s[18:19], s[8:9], exec
	s_cselect_b32 s36, s34, s28
	s_cselect_b32 s18, s35, s29
	s_and_b32 s41, s22, 0xffff
	s_mov_b32 s42, s38
	s_mov_b32 s43, s39
	v_lshlrev_b32_e32 v18, 5, v0
	s_and_b32 s37, s18, 0xffff
	buffer_load_dwordx4 v[10:13], v18, s[40:43], 0 offen
	buffer_load_dwordx4 v[14:17], v18, s[40:43], 16 offen
	;; [unrolled: 1-line block ×4, first 2 shown]
.LBB767_3:
	s_or_b64 exec, exec, s[2:3]
	s_and_b64 vcc, exec, s[30:31]
	s_cbranch_vccz .LBB767_7
; %bb.4:
	v_mov_b32_e32 v19, 0
	v_mov_b32_e32 v18, 0
	;; [unrolled: 1-line block ×16, first 2 shown]
	s_and_saveexec_b64 s[2:3], s[0:1]
	s_cbranch_execz .LBB767_6
; %bb.5:
	s_waitcnt vmcnt(3)
	v_cvt_f32_f16_sdwa v33, v10 dst_sel:DWORD dst_unused:UNUSED_PAD src0_sel:WORD_1
	v_cvt_f32_f16_e32 v32, v10
	v_cvt_f32_f16_sdwa v31, v11 dst_sel:DWORD dst_unused:UNUSED_PAD src0_sel:WORD_1
	v_cvt_f32_f16_e32 v30, v11
	v_cvt_f32_f16_sdwa v29, v12 dst_sel:DWORD dst_unused:UNUSED_PAD src0_sel:WORD_1
	v_cvt_f32_f16_e32 v28, v12
	v_cvt_f32_f16_sdwa v25, v13 dst_sel:DWORD dst_unused:UNUSED_PAD src0_sel:WORD_1
	v_cvt_f32_f16_e32 v24, v13
	s_waitcnt vmcnt(2)
	v_cvt_f32_f16_sdwa v27, v14 dst_sel:DWORD dst_unused:UNUSED_PAD src0_sel:WORD_1
	v_cvt_f32_f16_e32 v26, v14
	v_cvt_f32_f16_sdwa v23, v15 dst_sel:DWORD dst_unused:UNUSED_PAD src0_sel:WORD_1
	v_cvt_f32_f16_e32 v22, v15
	;; [unrolled: 2-line block ×4, first 2 shown]
.LBB767_6:
	s_or_b64 exec, exec, s[2:3]
	s_cbranch_execz .LBB767_8
	s_branch .LBB767_11
.LBB767_7:
                                        ; implicit-def: $vgpr19
                                        ; implicit-def: $vgpr21
                                        ; implicit-def: $vgpr23
                                        ; implicit-def: $vgpr27
                                        ; implicit-def: $vgpr25
                                        ; implicit-def: $vgpr29
                                        ; implicit-def: $vgpr31
                                        ; implicit-def: $vgpr33
.LBB767_8:
	v_mov_b32_e32 v19, 0
	v_mov_b32_e32 v18, 0
	;; [unrolled: 1-line block ×16, first 2 shown]
	s_and_saveexec_b64 s[2:3], s[0:1]
	s_cbranch_execz .LBB767_10
; %bb.9:
	s_waitcnt lgkmcnt(0)
	s_load_dwordx2 s[18:19], s[4:5], 0x38
	s_mul_hi_i32 s35, s27, s6
	s_mul_i32 s34, s27, s6
	s_lshl_b64 s[34:35], s[34:35], 1
	s_mov_b32 s39, 0x20000
	s_waitcnt lgkmcnt(0)
	s_add_u32 s36, s18, s34
	s_addc_u32 s18, s19, s35
	s_and_b32 s37, s18, 0xffff
	v_lshlrev_b32_e32 v46, 5, v0
	buffer_load_dwordx4 v[18:21], v46, s[36:39], 16 offen
	buffer_load_dwordx4 v[22:25], v46, s[36:39], 0 offen
	s_waitcnt vmcnt(4)
	v_cvt_f32_f16_sdwa v27, v14 dst_sel:DWORD dst_unused:UNUSED_PAD src0_sel:WORD_1
	v_cvt_f32_f16_e32 v26, v14
	v_cvt_f32_f16_sdwa v29, v15 dst_sel:DWORD dst_unused:UNUSED_PAD src0_sel:WORD_1
	v_cvt_f32_f16_e32 v28, v15
	;; [unrolled: 2-line block ×8, first 2 shown]
	s_load_dwordx2 s[18:19], s[4:5], 0x20
	s_mul_hi_i32 s35, s17, s6
	s_mul_i32 s34, s17, s6
	s_lshl_b64 s[34:35], s[34:35], 1
	s_waitcnt lgkmcnt(0)
	s_add_u32 s36, s18, s34
	s_addc_u32 s17, s19, s35
	s_and_b32 s37, s17, 0xffff
	s_waitcnt vmcnt(1)
	v_cvt_f32_f16_e32 v12, v18
	v_cvt_f32_f16_sdwa v13, v18 dst_sel:DWORD dst_unused:UNUSED_PAD src0_sel:WORD_1
	v_cvt_f32_f16_e32 v18, v19
	v_cvt_f32_f16_sdwa v19, v19 dst_sel:DWORD dst_unused:UNUSED_PAD src0_sel:WORD_1
	;; [unrolled: 2-line block ×4, first 2 shown]
	s_waitcnt vmcnt(0)
	v_cvt_f32_f16_e32 v40, v22
	v_cvt_f32_f16_sdwa v41, v22 dst_sel:DWORD dst_unused:UNUSED_PAD src0_sel:WORD_1
	v_cvt_f32_f16_e32 v42, v23
	v_cvt_f32_f16_sdwa v43, v23 dst_sel:DWORD dst_unused:UNUSED_PAD src0_sel:WORD_1
	;; [unrolled: 2-line block ×4, first 2 shown]
	v_pk_add_f32 v[26:27], v[26:27], v[12:13]
	v_pk_add_f32 v[22:23], v[28:29], v[18:19]
	;; [unrolled: 1-line block ×8, first 2 shown]
	v_cvt_f16_f32_e32 v10, v33
	v_cvt_f16_f32_e32 v14, v32
	;; [unrolled: 1-line block ×16, first 2 shown]
	v_pack_b32_f16 v13, v17, v13
	v_pack_b32_f16 v12, v16, v12
	;; [unrolled: 1-line block ×8, first 2 shown]
	buffer_store_dwordx4 v[10:13], v46, s[36:39], 0 offen
	;;#ASMSTART
	s_nop 0
	;;#ASMEND
	buffer_store_dwordx4 v[14:17], v46, s[36:39], 16 offen
	;;#ASMSTART
	s_nop 0
	;;#ASMEND
.LBB767_10:
	s_or_b64 exec, exec, s[2:3]
.LBB767_11:
	s_waitcnt vmcnt(3)
	v_mul_f32_e32 v10, v33, v33
	v_fmac_f32_e32 v10, v32, v32
	v_fmac_f32_e32 v10, v30, v30
	;; [unrolled: 1-line block ×15, first 2 shown]
	v_and_b32_e32 v12, 63, v0
	v_cmp_eq_u32_e64 s[2:3], 63, v12
	v_mov_b32_dpp v11, v10 quad_perm:[1,0,3,2] row_mask:0xf bank_mask:0xf
	v_add_f32_e32 v10, v10, v11
	s_nop 1
	v_mov_b32_dpp v11, v10 quad_perm:[2,3,0,1] row_mask:0xf bank_mask:0xf
	v_add_f32_e32 v10, v10, v11
	s_nop 1
	v_mov_b32_dpp v11, v10 row_half_mirror row_mask:0xf bank_mask:0xf
	v_add_f32_e32 v10, v10, v11
	s_nop 1
	v_mov_b32_dpp v11, v10 row_mirror row_mask:0xf bank_mask:0xf
	v_add_f32_e32 v10, v10, v11
	s_nop 1
	v_mov_b32_dpp v11, v10 row_bcast:15 row_mask:0xf bank_mask:0xf
	v_add_f32_e32 v10, v10, v11
	s_nop 1
	v_mov_b32_dpp v11, v10 row_bcast:31 row_mask:0xf bank_mask:0xf
	s_waitcnt lgkmcnt(0)
	s_and_saveexec_b64 s[18:19], s[2:3]
	s_cbranch_execz .LBB767_13
; %bb.12:
	v_add_f32_e32 v10, v10, v11
	v_lshrrev_b32_e32 v11, 4, v0
	v_and_b32_e32 v11, 60, v11
	ds_write_b32 v11, v10 offset:16
.LBB767_13:
	s_or_b64 exec, exec, s[18:19]
	v_and_b32_e32 v10, 3, v0
	v_lshlrev_b32_e32 v34, 2, v10
	s_waitcnt lgkmcnt(0)
	s_barrier
	ds_read_b32 v10, v34 offset:16
	s_load_dwordx2 s[18:19], s[4:5], 0x18
	s_waitcnt lgkmcnt(0)
	v_mov_b32_dpp v11, v10 quad_perm:[1,0,3,2] row_mask:0xf bank_mask:0xf
	v_add_f32_e32 v10, v10, v11
	s_nop 1
	v_mov_b32_dpp v11, v10 quad_perm:[2,3,0,1] row_mask:0xf bank_mask:0xf
	s_and_saveexec_b64 s[34:35], s[0:1]
	s_cbranch_execnz .LBB767_18
; %bb.14:
	s_or_b64 exec, exec, s[34:35]
	s_mov_b64 s[8:9], -1
	s_and_b64 vcc, exec, s[30:31]
	s_cbranch_vccnz .LBB767_19
.LBB767_15:
	s_andn2_b64 vcc, exec, s[8:9]
	s_cbranch_vccz .LBB767_22
.LBB767_16:
	s_cmp_lt_i32 s24, 1
	s_cbranch_scc0 .LBB767_31
.LBB767_17:
	s_endpgm
.LBB767_18:
	v_cvt_f32_u32_e32 v12, s7
	v_add_f32_e32 v10, v10, v11
	s_waitcnt vmcnt(2)
	v_mov_b32_e32 v14, s21
	v_mov_b32_e32 v15, s20
	v_div_scale_f32 v11, s[36:37], v12, v12, v10
	v_rcp_f32_e32 v13, v11
	v_cndmask_b32_e64 v14, v14, v15, s[8:9]
	s_mov_b32 s7, 0x800000
	s_waitcnt vmcnt(1)
	v_cvt_f32_f16_sdwa v37, v9 dst_sel:DWORD dst_unused:UNUSED_PAD src0_sel:WORD_1
	v_fma_f32 v15, -v11, v13, 1.0
	v_fmac_f32_e32 v13, v15, v13
	v_div_scale_f32 v15, vcc, v10, v12, v10
	v_mul_f32_e32 v16, v15, v13
	v_fma_f32 v17, -v11, v16, v15
	v_fmac_f32_e32 v16, v17, v13
	v_fma_f32 v11, -v11, v16, v15
	v_div_fmas_f32 v11, v11, v13, v16
	v_div_fixup_f32 v10, v11, v12, v10
	v_add_f32_e32 v10, v14, v10
	v_mul_f32_e32 v11, 0x4b800000, v10
	v_cmp_gt_f32_e32 vcc, s7, v10
	v_cndmask_b32_e32 v10, v10, v11, vcc
	v_rsq_f32_e32 v10, v10
	v_cvt_f32_f16_e32 v36, v9
	s_waitcnt vmcnt(0)
	v_cvt_f32_f16_sdwa v9, v3 dst_sel:DWORD dst_unused:UNUSED_PAD src0_sel:WORD_1
	v_mul_f32_e32 v11, 0x45800000, v10
	v_cndmask_b32_e32 v10, v10, v11, vcc
	v_mov_b32_e32 v11, v10
	;;#ASMSTART
	v_pk_mul_f32 v[12:13], v[32:33], v[10:11]
	;;#ASMEND
	;;#ASMSTART
	v_pk_mul_f32 v[14:15], v[30:31], v[10:11]
	;;#ASMEND
	;; [unrolled: 3-line block ×8, first 2 shown]
	v_cvt_f32_f16_sdwa v19, v6 dst_sel:DWORD dst_unused:UNUSED_PAD src0_sel:WORD_1
	v_cvt_f32_f16_e32 v18, v6
	v_cvt_f32_f16_sdwa v29, v7 dst_sel:DWORD dst_unused:UNUSED_PAD src0_sel:WORD_1
	v_cvt_f32_f16_e32 v28, v7
	;; [unrolled: 2-line block ×3, first 2 shown]
	;;#ASMSTART
	v_pk_mul_f32 v[32:33], v[12:13], v[18:19]
	;;#ASMEND
	;;#ASMSTART
	v_pk_mul_f32 v[30:31], v[14:15], v[28:29]
	;;#ASMEND
	;; [unrolled: 3-line block ×4, first 2 shown]
	v_cvt_f32_f16_sdwa v7, v2 dst_sel:DWORD dst_unused:UNUSED_PAD src0_sel:WORD_1
	v_cvt_f32_f16_e32 v6, v2
	v_cvt_f32_f16_e32 v8, v3
	v_cvt_f32_f16_sdwa v3, v4 dst_sel:DWORD dst_unused:UNUSED_PAD src0_sel:WORD_1
	v_cvt_f32_f16_e32 v2, v4
	v_cvt_f32_f16_sdwa v13, v5 dst_sel:DWORD dst_unused:UNUSED_PAD src0_sel:WORD_1
	v_cvt_f32_f16_e32 v12, v5
	;;#ASMSTART
	v_pk_mul_f32 v[26:27], v[26:27], v[6:7]
	;;#ASMEND
	;;#ASMSTART
	v_pk_mul_f32 v[22:23], v[22:23], v[8:9]
	;;#ASMEND
	;; [unrolled: 3-line block ×4, first 2 shown]
	s_or_b64 exec, exec, s[34:35]
	s_mov_b64 s[8:9], -1
	s_and_b64 vcc, exec, s[30:31]
	s_cbranch_vccz .LBB767_15
.LBB767_19:
	s_and_saveexec_b64 s[8:9], s[0:1]
	s_cbranch_execz .LBB767_21
; %bb.20:
	s_mul_hi_i32 s31, s16, s6
	s_mul_i32 s30, s16, s6
	s_waitcnt vmcnt(0)
	v_cvt_f16_f32_e32 v2, v32
	v_cvt_f16_f32_e32 v3, v30
	;; [unrolled: 1-line block ×8, first 2 shown]
	s_lshl_b64 s[30:31], s[30:31], 1
	s_add_u32 s36, s18, s30
	s_addc_u32 s7, s19, s31
	s_and_b32 s37, s7, 0xffff
	s_mov_b32 s39, 0x20000
	v_pack_b32_f16 v5, v5, v6
	v_pack_b32_f16 v4, v4, v7
	;; [unrolled: 1-line block ×4, first 2 shown]
	v_lshlrev_b32_e32 v6, 5, v0
	buffer_store_dwordx4 v[2:5], v6, s[36:39], 0 offen
	v_cvt_f16_f32_e32 v7, v19
	v_cvt_f16_f32_e32 v2, v26
	;; [unrolled: 1-line block ×8, first 2 shown]
	v_pack_b32_f16 v5, v5, v7
	v_pack_b32_f16 v4, v4, v8
	;; [unrolled: 1-line block ×4, first 2 shown]
	;;#ASMSTART
	s_nop 0
	;;#ASMEND
	buffer_store_dwordx4 v[2:5], v6, s[36:39], 16 offen
	;;#ASMSTART
	s_nop 0
	;;#ASMEND
.LBB767_21:
	s_or_b64 exec, exec, s[8:9]
	s_cbranch_execnz .LBB767_16
.LBB767_22:
	s_waitcnt vmcnt(0)
	v_mov_b32_e32 v2, 0
	s_and_saveexec_b64 s[8:9], s[0:1]
	s_cbranch_execz .LBB767_24
; %bb.23:
	s_load_dwordx2 s[30:31], s[4:5], 0x10
	s_mul_hi_i32 s35, s15, s6
	s_mul_i32 s34, s15, s6
	v_cvt_f16_f32_e32 v2, v32
	v_cvt_f16_f32_e32 v3, v30
	;; [unrolled: 1-line block ×8, first 2 shown]
	s_lshl_b64 s[34:35], s[34:35], 1
	s_waitcnt lgkmcnt(0)
	s_add_u32 s36, s30, s34
	s_addc_u32 s7, s31, s35
	s_mov_b32 s39, 0x20000
	s_and_b32 s37, s7, 0xffff
	v_pack_b32_f16 v5, v5, v6
	v_pack_b32_f16 v4, v4, v7
	;; [unrolled: 1-line block ×4, first 2 shown]
	v_lshlrev_b32_e32 v6, 5, v0
	buffer_store_dwordx4 v[2:5], v6, s[36:39], 0 offen
	v_cvt_f16_f32_e32 v7, v19
	v_cvt_f16_f32_e32 v2, v26
	;; [unrolled: 1-line block ×8, first 2 shown]
	v_pack_b32_f16 v5, v5, v7
	v_pack_b32_f16 v4, v4, v8
	;; [unrolled: 1-line block ×4, first 2 shown]
	;;#ASMSTART
	s_nop 0
	;;#ASMEND
	buffer_store_dwordx4 v[2:5], v6, s[36:39], 16 offen
	;;#ASMSTART
	s_nop 0
	;;#ASMEND
	s_nop 0
	v_mov_b32_e32 v2, 0x2edbe6ff
.LBB767_24:
	s_or_b64 exec, exec, s[8:9]
	s_and_saveexec_b64 s[8:9], s[0:1]
	s_cbranch_execz .LBB767_26
; %bb.25:
	v_and_b32_e32 v3, 0x7fffffff, v32
	v_and_b32_e32 v4, 0x7fffffff, v33
	;;#ASMSTART
	v_max3_f32 v2, v2, v3, v4

	;;#ASMEND
	v_and_b32_e32 v3, 0x7fffffff, v30
	v_and_b32_e32 v4, 0x7fffffff, v31
	;;#ASMSTART
	v_max3_f32 v2, v2, v3, v4

	;;#ASMEND
	;; [unrolled: 6-line block ×8, first 2 shown]
.LBB767_26:
	s_or_b64 exec, exec, s[8:9]
	;;#ASMSTART
	v_max_f32 v3, v2, v2 quad_perm:[1,0,3,2] row_mask:0xf bank_mask:0xf bound_ctrl:1
	;;#ASMEND
	;;#ASMSTART
	v_max_f32 v4, v3, v3 quad_perm:[2,3,0,1] row_mask:0xf bank_mask:0xf bound_ctrl:1
	;;#ASMEND
	v_and_b32_e32 v3, 7, v0
	v_cmp_eq_u32_e32 vcc, 0, v3
	v_cmp_gt_i32_e64 s[8:9], s23, v1
	s_and_b64 s[30:31], vcc, s[8:9]
	;;#ASMSTART
	v_max_f32 v2, v4, v4 row_half_mirror row_mask:0xf bank_mask:0xf bound_ctrl:1
	;;#ASMEND
	s_and_saveexec_b64 s[8:9], s[30:31]
	s_cbranch_execz .LBB767_28
; %bb.27:
	s_load_dwordx2 s[30:31], s[4:5], 0x8
	v_mul_f32_e32 v2, 0x3e2aaaab, v2
	v_lshrrev_b32_e32 v3, 23, v2
	v_and_b32_e32 v4, 0x7f800000, v2
	v_and_b32_e32 v2, 0x7fffff, v2
	v_cmp_ne_u32_e32 vcc, 0, v2
	s_mul_hi_i32 s15, s13, s6
	s_mul_i32 s13, s13, s6
	s_mov_b32 s7, 0x7f800000
	v_addc_co_u32_e32 v2, vcc, 0, v3, vcc
	s_waitcnt lgkmcnt(0)
	s_add_u32 s30, s30, s13
	v_cmp_ne_u32_e32 vcc, s7, v4
	s_addc_u32 s31, s31, s15
	v_lshrrev_b32_e32 v5, 3, v0
	v_cndmask_b32_e32 v4, -1, v2, vcc
	v_pk_mov_b32 v[2:3], s[30:31], s[30:31] op_sel:[0,1]
	v_mad_i64_i32 v[2:3], s[14:15], s14, v5, v[2:3]
	global_store_byte v[2:3], v4, off
.LBB767_28:
	s_or_b64 exec, exec, s[8:9]
	s_and_saveexec_b64 s[8:9], s[0:1]
	s_cbranch_execz .LBB767_30
; %bb.29:
	s_load_dwordx2 s[0:1], s[4:5], 0x0
	s_mul_hi_i32 s7, s12, s6
	s_mul_i32 s12, s12, s6
	v_mov_b32_e32 v2, 0
	v_lshlrev_b32_e32 v4, 3, v0
	s_waitcnt lgkmcnt(0)
	s_add_u32 s12, s0, s12
	s_addc_u32 s0, s1, s7
	s_lshr_b32 s1, s23, 31
	s_add_i32 s1, s23, s1
	s_ashr_i32 s1, s1, 1
	s_add_i32 s1, s1, 3
	s_ashr_i32 s7, s1, 31
	s_lshr_b32 s7, s7, 30
	s_add_i32 s1, s1, s7
	s_and_b32 s14, s1, -4
	s_and_b32 s13, s0, 0xffff
	s_mov_b32 s15, 0x20000
	v_mov_b32_e32 v3, v2
	buffer_store_dwordx2 v[2:3], v4, s[12:15], 0 offen
	;;#ASMSTART
	s_nop 0
	;;#ASMEND
.LBB767_30:
	s_or_b64 exec, exec, s[8:9]
	s_cmp_lt_i32 s24, 1
	s_cbranch_scc1 .LBB767_17
.LBB767_31:
	s_load_dword s0, s[4:5], 0x94
	s_waitcnt lgkmcnt(0)
	s_cmp_lg_u32 s0, 1
	s_cbranch_scc1 .LBB767_17
; %bb.32:
	s_lshl_b32 s0, s24, 1
	s_add_i32 s0, s0, 2
	v_cmp_gt_u32_e32 vcc, s24, v1
	s_and_b32 s30, s0, -4
	v_mov_b32_e32 v18, 0
	v_lshlrev_b32_e32 v1, 5, v0
	s_waitcnt vmcnt(2)
	v_mov_b32_e32 v14, 0
	v_mov_b32_e32 v15, 0
	;; [unrolled: 1-line block ×8, first 2 shown]
	s_waitcnt vmcnt(1)
	v_mov_b32_e32 v6, 0
	v_mov_b32_e32 v7, 0
	;; [unrolled: 1-line block ×4, first 2 shown]
	s_waitcnt vmcnt(0)
	v_mov_b32_e32 v2, 0
	v_mov_b32_e32 v3, 0
	;; [unrolled: 1-line block ×4, first 2 shown]
	s_barrier
	s_and_saveexec_b64 s[0:1], vcc
	s_cbranch_execz .LBB767_34
; %bb.33:
	s_mul_hi_i32 s5, s26, s6
	s_mul_i32 s4, s26, s6
	s_and_b32 s29, s29, 0xffff
	s_lshl_b64 s[4:5], s[4:5], 1
	s_add_u32 s8, s10, s4
	s_mov_b32 s31, 0x20000
	s_addc_u32 s4, s11, s5
	s_and_b32 s9, s4, 0xffff
	s_mov_b32 s10, s30
	s_mov_b32 s11, s31
	buffer_load_dwordx4 v[14:17], v1, s[8:11], 0 offen
	buffer_load_dwordx4 v[10:13], v1, s[8:11], 16 offen
	;; [unrolled: 1-line block ×4, first 2 shown]
.LBB767_34:
	s_or_b64 exec, exec, s[0:1]
	v_mov_b32_e32 v19, 0
	v_mov_b32_e32 v32, 0
	;; [unrolled: 1-line block ×15, first 2 shown]
	s_and_saveexec_b64 s[0:1], vcc
	s_cbranch_execz .LBB767_36
; %bb.35:
	s_waitcnt vmcnt(3)
	v_cvt_f32_f16_sdwa v19, v14 dst_sel:DWORD dst_unused:UNUSED_PAD src0_sel:WORD_1
	v_cvt_f32_f16_e32 v18, v14
	v_cvt_f32_f16_sdwa v33, v15 dst_sel:DWORD dst_unused:UNUSED_PAD src0_sel:WORD_1
	v_cvt_f32_f16_e32 v32, v15
	;; [unrolled: 2-line block ×4, first 2 shown]
	s_waitcnt vmcnt(2)
	v_cvt_f32_f16_sdwa v27, v10 dst_sel:DWORD dst_unused:UNUSED_PAD src0_sel:WORD_1
	v_cvt_f32_f16_e32 v26, v10
	v_cvt_f32_f16_sdwa v25, v11 dst_sel:DWORD dst_unused:UNUSED_PAD src0_sel:WORD_1
	v_cvt_f32_f16_e32 v24, v11
	;; [unrolled: 2-line block ×4, first 2 shown]
.LBB767_36:
	s_or_b64 exec, exec, s[0:1]
	s_waitcnt vmcnt(2)
	v_mul_f32_e32 v10, v19, v19
	v_fmac_f32_e32 v10, v18, v18
	v_fmac_f32_e32 v10, v32, v32
	;; [unrolled: 1-line block ×15, first 2 shown]
	s_nop 1
	v_mov_b32_dpp v11, v10 quad_perm:[1,0,3,2] row_mask:0xf bank_mask:0xf
	v_add_f32_e32 v10, v10, v11
	s_nop 1
	v_mov_b32_dpp v11, v10 quad_perm:[2,3,0,1] row_mask:0xf bank_mask:0xf
	v_add_f32_e32 v10, v10, v11
	s_nop 1
	v_mov_b32_dpp v11, v10 row_half_mirror row_mask:0xf bank_mask:0xf
	v_add_f32_e32 v10, v10, v11
	s_nop 1
	v_mov_b32_dpp v11, v10 row_mirror row_mask:0xf bank_mask:0xf
	v_add_f32_e32 v10, v10, v11
	s_nop 1
	v_mov_b32_dpp v11, v10 row_bcast:15 row_mask:0xf bank_mask:0xf
	v_add_f32_e32 v10, v10, v11
	s_nop 1
	v_mov_b32_dpp v11, v10 row_bcast:31 row_mask:0xf bank_mask:0xf
	s_and_saveexec_b64 s[0:1], s[2:3]
	s_cbranch_execz .LBB767_38
; %bb.37:
	v_lshrrev_b32_e32 v0, 4, v0
	v_add_f32_e32 v10, v10, v11
	v_and_b32_e32 v0, 60, v0
	ds_write_b32 v0, v10
.LBB767_38:
	s_or_b64 exec, exec, s[0:1]
	s_waitcnt lgkmcnt(0)
	s_barrier
	ds_read_b32 v0, v34
	s_waitcnt lgkmcnt(0)
	s_nop 0
	v_mov_b32_dpp v10, v0 quad_perm:[1,0,3,2] row_mask:0xf bank_mask:0xf
	v_add_f32_e32 v0, v0, v10
	s_nop 1
	v_mov_b32_dpp v10, v0 quad_perm:[2,3,0,1] row_mask:0xf bank_mask:0xf
	s_and_saveexec_b64 s[0:1], vcc
	s_cbranch_execz .LBB767_17
; %bb.39:
	v_cvt_f32_u32_e32 v11, s24
	v_add_f32_e32 v0, v0, v10
	s_mov_b32 s31, 0x20000
	v_div_scale_f32 v10, s[0:1], v11, v11, v0
	v_rcp_f32_e32 v12, v10
	v_div_scale_f32 v13, vcc, v0, v11, v0
	s_mov_b32 s0, 0x800000
	v_fma_f32 v14, -v10, v12, 1.0
	v_fmac_f32_e32 v12, v14, v12
	v_mul_f32_e32 v14, v13, v12
	v_fma_f32 v15, -v10, v14, v13
	v_fmac_f32_e32 v14, v15, v12
	v_fma_f32 v10, -v10, v14, v13
	v_div_fmas_f32 v10, v10, v12, v14
	v_div_fixup_f32 v0, v10, v11, v0
	v_add_f32_e32 v0, s21, v0
	v_mul_f32_e32 v10, 0x4b800000, v0
	v_cmp_gt_f32_e32 vcc, s0, v0
	v_cndmask_b32_e32 v0, v0, v10, vcc
	v_rsq_f32_e32 v0, v0
	s_mul_hi_i32 s1, s16, s6
	s_mul_i32 s0, s16, s6
	s_lshl_b64 s[0:1], s[0:1], 1
	v_mul_f32_e32 v10, 0x45800000, v0
	v_cndmask_b32_e32 v10, v0, v10, vcc
	v_mov_b32_e32 v11, v10
	;;#ASMSTART
	v_pk_mul_f32 v[12:13], v[18:19], v[10:11]
	;;#ASMEND
	;;#ASMSTART
	v_pk_mul_f32 v[14:15], v[32:33], v[10:11]
	;;#ASMEND
	;; [unrolled: 3-line block ×8, first 2 shown]
	s_waitcnt vmcnt(1)
	v_cvt_f32_f16_sdwa v21, v6 dst_sel:DWORD dst_unused:UNUSED_PAD src0_sel:WORD_1
	v_cvt_f32_f16_e32 v20, v6
	v_cvt_f32_f16_sdwa v29, v7 dst_sel:DWORD dst_unused:UNUSED_PAD src0_sel:WORD_1
	v_cvt_f32_f16_e32 v28, v7
	;; [unrolled: 2-line block ×4, first 2 shown]
	;;#ASMSTART
	v_pk_mul_f32 v[8:9], v[12:13], v[20:21]
	;;#ASMEND
	;;#ASMSTART
	v_pk_mul_f32 v[12:13], v[14:15], v[28:29]
	;;#ASMEND
	;; [unrolled: 3-line block ×4, first 2 shown]
	s_waitcnt vmcnt(0)
	v_cvt_f32_f16_sdwa v17, v2 dst_sel:DWORD dst_unused:UNUSED_PAD src0_sel:WORD_1
	v_cvt_f32_f16_e32 v16, v2
	v_cvt_f32_f16_sdwa v19, v3 dst_sel:DWORD dst_unused:UNUSED_PAD src0_sel:WORD_1
	v_cvt_f32_f16_e32 v18, v3
	v_cvt_f32_f16_sdwa v3, v4 dst_sel:DWORD dst_unused:UNUSED_PAD src0_sel:WORD_1
	v_cvt_f32_f16_e32 v2, v4
	v_cvt_f32_f16_sdwa v21, v5 dst_sel:DWORD dst_unused:UNUSED_PAD src0_sel:WORD_1
	v_cvt_f32_f16_e32 v20, v5
	;;#ASMSTART
	v_pk_mul_f32 v[16:17], v[26:27], v[16:17]
	;;#ASMEND
	;;#ASMSTART
	v_pk_mul_f32 v[18:19], v[24:25], v[18:19]
	;;#ASMEND
	;; [unrolled: 3-line block ×3, first 2 shown]
	v_cvt_f16_f32_e32 v0, v8
	v_cvt_f16_f32_e32 v2, v9
	;; [unrolled: 1-line block ×8, first 2 shown]
	s_add_u32 s28, s18, s0
	s_addc_u32 s0, s19, s1
	s_and_b32 s29, s0, 0xffff
	v_pack_b32_f16 v2, v0, v2
	v_pack_b32_f16 v3, v3, v4
	;; [unrolled: 1-line block ×4, first 2 shown]
	;;#ASMSTART
	v_pk_mul_f32 v[10:11], v[10:11], v[20:21]
	;;#ASMEND
	buffer_store_dwordx4 v[2:5], v1, s[28:31], 0 offen
	v_cvt_f16_f32_e32 v0, v16
	v_cvt_f16_f32_e32 v2, v17
	;; [unrolled: 1-line block ×8, first 2 shown]
	v_pack_b32_f16 v2, v0, v2
	v_pack_b32_f16 v3, v3, v4
	;; [unrolled: 1-line block ×4, first 2 shown]
	;;#ASMSTART
	s_nop 0
	;;#ASMEND
	buffer_store_dwordx4 v[2:5], v1, s[28:31], 16 offen
	;;#ASMSTART
	s_nop 0
	;;#ASMEND
	s_endpgm
	.section	.rodata,"a",@progbits
	.p2align	6, 0x0
	.amdhsa_kernel _ZN5aiter35fused_qk_rmsnorm_group_quant_kernelIDF16_N4opus5fp4_tELi256ELi16ELi8ELb1ELb1ELb0ELb0ELb0ELb0EEEvPT0_PvPT_S7_S7_PKS6_S9_S9_S9_S9_ffiiiiiiiiiiiii
		.amdhsa_group_segment_fixed_size 32
		.amdhsa_private_segment_fixed_size 0
		.amdhsa_kernarg_size 400
		.amdhsa_user_sgpr_count 6
		.amdhsa_user_sgpr_private_segment_buffer 1
		.amdhsa_user_sgpr_dispatch_ptr 0
		.amdhsa_user_sgpr_queue_ptr 0
		.amdhsa_user_sgpr_kernarg_segment_ptr 1
		.amdhsa_user_sgpr_dispatch_id 0
		.amdhsa_user_sgpr_flat_scratch_init 0
		.amdhsa_user_sgpr_kernarg_preload_length 0
		.amdhsa_user_sgpr_kernarg_preload_offset 0
		.amdhsa_user_sgpr_private_segment_size 0
		.amdhsa_uses_dynamic_stack 0
		.amdhsa_system_sgpr_private_segment_wavefront_offset 0
		.amdhsa_system_sgpr_workgroup_id_x 1
		.amdhsa_system_sgpr_workgroup_id_y 1
		.amdhsa_system_sgpr_workgroup_id_z 0
		.amdhsa_system_sgpr_workgroup_info 0
		.amdhsa_system_vgpr_workitem_id 0
		.amdhsa_next_free_vgpr 47
		.amdhsa_next_free_sgpr 44
		.amdhsa_accum_offset 48
		.amdhsa_reserve_vcc 1
		.amdhsa_reserve_flat_scratch 0
		.amdhsa_float_round_mode_32 0
		.amdhsa_float_round_mode_16_64 0
		.amdhsa_float_denorm_mode_32 3
		.amdhsa_float_denorm_mode_16_64 3
		.amdhsa_dx10_clamp 1
		.amdhsa_ieee_mode 1
		.amdhsa_fp16_overflow 0
		.amdhsa_tg_split 0
		.amdhsa_exception_fp_ieee_invalid_op 0
		.amdhsa_exception_fp_denorm_src 0
		.amdhsa_exception_fp_ieee_div_zero 0
		.amdhsa_exception_fp_ieee_overflow 0
		.amdhsa_exception_fp_ieee_underflow 0
		.amdhsa_exception_fp_ieee_inexact 0
		.amdhsa_exception_int_div_zero 0
	.end_amdhsa_kernel
	.section	.text._ZN5aiter35fused_qk_rmsnorm_group_quant_kernelIDF16_N4opus5fp4_tELi256ELi16ELi8ELb1ELb1ELb0ELb0ELb0ELb0EEEvPT0_PvPT_S7_S7_PKS6_S9_S9_S9_S9_ffiiiiiiiiiiiii,"axG",@progbits,_ZN5aiter35fused_qk_rmsnorm_group_quant_kernelIDF16_N4opus5fp4_tELi256ELi16ELi8ELb1ELb1ELb0ELb0ELb0ELb0EEEvPT0_PvPT_S7_S7_PKS6_S9_S9_S9_S9_ffiiiiiiiiiiiii,comdat
.Lfunc_end767:
	.size	_ZN5aiter35fused_qk_rmsnorm_group_quant_kernelIDF16_N4opus5fp4_tELi256ELi16ELi8ELb1ELb1ELb0ELb0ELb0ELb0EEEvPT0_PvPT_S7_S7_PKS6_S9_S9_S9_S9_ffiiiiiiiiiiiii, .Lfunc_end767-_ZN5aiter35fused_qk_rmsnorm_group_quant_kernelIDF16_N4opus5fp4_tELi256ELi16ELi8ELb1ELb1ELb0ELb0ELb0ELb0EEEvPT0_PvPT_S7_S7_PKS6_S9_S9_S9_S9_ffiiiiiiiiiiiii
                                        ; -- End function
	.section	.AMDGPU.csdata,"",@progbits
; Kernel info:
; codeLenInByte = 3992
; NumSgprs: 48
; NumVgprs: 47
; NumAgprs: 0
; TotalNumVgprs: 47
; ScratchSize: 0
; MemoryBound: 0
; FloatMode: 240
; IeeeMode: 1
; LDSByteSize: 32 bytes/workgroup (compile time only)
; SGPRBlocks: 5
; VGPRBlocks: 5
; NumSGPRsForWavesPerEU: 48
; NumVGPRsForWavesPerEU: 47
; AccumOffset: 48
; Occupancy: 8
; WaveLimiterHint : 0
; COMPUTE_PGM_RSRC2:SCRATCH_EN: 0
; COMPUTE_PGM_RSRC2:USER_SGPR: 6
; COMPUTE_PGM_RSRC2:TRAP_HANDLER: 0
; COMPUTE_PGM_RSRC2:TGID_X_EN: 1
; COMPUTE_PGM_RSRC2:TGID_Y_EN: 1
; COMPUTE_PGM_RSRC2:TGID_Z_EN: 0
; COMPUTE_PGM_RSRC2:TIDIG_COMP_CNT: 0
; COMPUTE_PGM_RSRC3_GFX90A:ACCUM_OFFSET: 11
; COMPUTE_PGM_RSRC3_GFX90A:TG_SPLIT: 0
	.section	.text._ZN5aiter35fused_qk_rmsnorm_group_quant_kernelItN4opus5fp4_tELi256ELi16ELi8ELb1ELb1ELb0ELb0ELb0ELb0EEEvPT0_PvPT_S7_S7_PKS6_S9_S9_S9_S9_ffiiiiiiiiiiiii,"axG",@progbits,_ZN5aiter35fused_qk_rmsnorm_group_quant_kernelItN4opus5fp4_tELi256ELi16ELi8ELb1ELb1ELb0ELb0ELb0ELb0EEEvPT0_PvPT_S7_S7_PKS6_S9_S9_S9_S9_ffiiiiiiiiiiiii,comdat
	.protected	_ZN5aiter35fused_qk_rmsnorm_group_quant_kernelItN4opus5fp4_tELi256ELi16ELi8ELb1ELb1ELb0ELb0ELb0ELb0EEEvPT0_PvPT_S7_S7_PKS6_S9_S9_S9_S9_ffiiiiiiiiiiiii ; -- Begin function _ZN5aiter35fused_qk_rmsnorm_group_quant_kernelItN4opus5fp4_tELi256ELi16ELi8ELb1ELb1ELb0ELb0ELb0ELb0EEEvPT0_PvPT_S7_S7_PKS6_S9_S9_S9_S9_ffiiiiiiiiiiiii
	.globl	_ZN5aiter35fused_qk_rmsnorm_group_quant_kernelItN4opus5fp4_tELi256ELi16ELi8ELb1ELb1ELb0ELb0ELb0ELb0EEEvPT0_PvPT_S7_S7_PKS6_S9_S9_S9_S9_ffiiiiiiiiiiiii
	.p2align	8
	.type	_ZN5aiter35fused_qk_rmsnorm_group_quant_kernelItN4opus5fp4_tELi256ELi16ELi8ELb1ELb1ELb0ELb0ELb0ELb0EEEvPT0_PvPT_S7_S7_PKS6_S9_S9_S9_S9_ffiiiiiiiiiiiii,@function
_ZN5aiter35fused_qk_rmsnorm_group_quant_kernelItN4opus5fp4_tELi256ELi16ELi8ELb1ELb1ELb0ELb0ELb0ELb0EEEvPT0_PvPT_S7_S7_PKS6_S9_S9_S9_S9_ffiiiiiiiiiiiii: ; @_ZN5aiter35fused_qk_rmsnorm_group_quant_kernelItN4opus5fp4_tELi256ELi16ELi8ELb1ELb1ELb0ELb0ELb0ELb0EEEvPT0_PvPT_S7_S7_PKS6_S9_S9_S9_S9_ffiiiiiiiiiiiii
; %bb.0:
	s_load_dwordx8 s[20:27], s[4:5], 0x50
	s_waitcnt lgkmcnt(0)
	s_cmp_ge_i32 s6, s22
	s_cbranch_scc1 .LBB768_17
; %bb.1:
	s_load_dwordx2 s[28:29], s[4:5], 0x48
	s_load_dwordx2 s[10:11], s[4:5], 0x30
	s_load_dwordx8 s[12:19], s[4:5], 0x70
	s_cmp_lg_u32 s7, 0
	s_waitcnt lgkmcnt(0)
	s_cselect_b64 s[18:19], -1, 0
	s_cmp_eq_u32 s7, 0
	s_cselect_b64 s[8:9], -1, 0
	s_and_b64 s[0:1], s[8:9], exec
	s_cselect_b32 s7, s23, s24
	s_add_i32 s0, s7, 1
	s_lshr_b32 s1, s0, 31
	s_add_i32 s0, s0, s1
	s_lshl_b32 s0, s0, 1
	v_lshlrev_b32_e32 v1, 4, v0
	s_and_b32 s38, s0, -4
	v_cmp_gt_i32_e64 s[0:1], s7, v1
	v_mov_b32_e32 v80, 0
	v_mov_b32_e32 v81, 0
	;; [unrolled: 1-line block ×16, first 2 shown]
	s_and_saveexec_b64 s[2:3], s[0:1]
	s_cbranch_execz .LBB768_3
; %bb.2:
	s_load_dwordx2 s[30:31], s[4:5], 0x28
	s_load_dwordx2 s[34:35], s[4:5], 0x40
	s_and_b64 s[36:37], s[8:9], exec
	s_cselect_b32 s22, s25, s26
	s_mov_b32 s39, 0x20000
	s_waitcnt lgkmcnt(0)
	s_cselect_b32 s25, s31, s11
	s_cselect_b32 s33, s30, s10
	s_mul_hi_i32 s31, s22, s6
	s_mul_i32 s30, s22, s6
	s_lshl_b64 s[30:31], s[30:31], 1
	s_add_u32 s40, s33, s30
	s_addc_u32 s22, s25, s31
	s_and_b64 s[30:31], s[8:9], exec
	s_cselect_b32 s36, s34, s28
	s_cselect_b32 s25, s35, s29
	s_and_b32 s41, s22, 0xffff
	s_mov_b32 s42, s38
	s_mov_b32 s43, s39
	v_lshlrev_b32_e32 v2, 5, v0
	s_and_b32 s37, s25, 0xffff
	buffer_load_dwordx4 v[84:87], v2, s[40:43], 0 offen
	buffer_load_dwordx4 v[88:91], v2, s[40:43], 16 offen
	buffer_load_dwordx4 v[80:83], v2, s[36:39], 0 offen
	buffer_load_dwordx4 v[76:79], v2, s[36:39], 16 offen
.LBB768_3:
	s_or_b64 exec, exec, s[2:3]
	s_and_b64 vcc, exec, s[18:19]
	s_cbranch_vccz .LBB768_7
; %bb.4:
	v_mov_b32_e32 v93, 0
	v_mov_b32_e32 v92, 0
	;; [unrolled: 1-line block ×16, first 2 shown]
	s_and_saveexec_b64 s[2:3], s[0:1]
	s_cbranch_execz .LBB768_6
; %bb.5:
	s_waitcnt vmcnt(3)
	v_cvt_f32_u32_sdwa v32, v84 dst_sel:DWORD dst_unused:UNUSED_PAD src0_sel:WORD_0
	v_cvt_f32_u32_sdwa v33, v84 dst_sel:DWORD dst_unused:UNUSED_PAD src0_sel:WORD_1
	v_cvt_f32_u32_sdwa v18, v85 dst_sel:DWORD dst_unused:UNUSED_PAD src0_sel:WORD_0
	v_cvt_f32_u32_sdwa v19, v85 dst_sel:DWORD dst_unused:UNUSED_PAD src0_sel:WORD_1
	;; [unrolled: 2-line block ×4, first 2 shown]
	s_waitcnt vmcnt(2)
	v_cvt_f32_u32_sdwa v68, v88 dst_sel:DWORD dst_unused:UNUSED_PAD src0_sel:WORD_0
	v_cvt_f32_u32_sdwa v69, v88 dst_sel:DWORD dst_unused:UNUSED_PAD src0_sel:WORD_1
	v_cvt_f32_u32_sdwa v62, v89 dst_sel:DWORD dst_unused:UNUSED_PAD src0_sel:WORD_0
	v_cvt_f32_u32_sdwa v63, v89 dst_sel:DWORD dst_unused:UNUSED_PAD src0_sel:WORD_1
	;; [unrolled: 2-line block ×4, first 2 shown]
.LBB768_6:
	s_or_b64 exec, exec, s[2:3]
	s_cbranch_execz .LBB768_8
	s_branch .LBB768_11
.LBB768_7:
                                        ; implicit-def: $vgpr32_vgpr33_vgpr34_vgpr35_vgpr36_vgpr37_vgpr38_vgpr39_vgpr40_vgpr41_vgpr42_vgpr43_vgpr44_vgpr45_vgpr46_vgpr47
                                        ; implicit-def: $vgpr46_vgpr47_vgpr48_vgpr49_vgpr50_vgpr51_vgpr52_vgpr53_vgpr54_vgpr55_vgpr56_vgpr57_vgpr58_vgpr59_vgpr60_vgpr61
                                        ; implicit-def: $vgpr16_vgpr17_vgpr18_vgpr19_vgpr20_vgpr21_vgpr22_vgpr23_vgpr24_vgpr25_vgpr26_vgpr27_vgpr28_vgpr29_vgpr30_vgpr31
                                        ; implicit-def: $vgpr93
                                        ; implicit-def: $vgpr2_vgpr3_vgpr4_vgpr5_vgpr6_vgpr7_vgpr8_vgpr9_vgpr10_vgpr11_vgpr12_vgpr13_vgpr14_vgpr15_vgpr16_vgpr17
                                        ; implicit-def: $vgpr60_vgpr61_vgpr62_vgpr63_vgpr64_vgpr65_vgpr66_vgpr67_vgpr68_vgpr69_vgpr70_vgpr71_vgpr72_vgpr73_vgpr74_vgpr75
                                        ; implicit-def: $vgpr34_vgpr35_vgpr36_vgpr37_vgpr38_vgpr39_vgpr40_vgpr41_vgpr42_vgpr43_vgpr44_vgpr45_vgpr46_vgpr47_vgpr48_vgpr49
                                        ; implicit-def: $vgpr52_vgpr53_vgpr54_vgpr55_vgpr56_vgpr57_vgpr58_vgpr59_vgpr60_vgpr61_vgpr62_vgpr63_vgpr64_vgpr65_vgpr66_vgpr67
.LBB768_8:
	v_mov_b32_e32 v93, 0
	v_mov_b32_e32 v92, 0
	;; [unrolled: 1-line block ×16, first 2 shown]
	s_and_saveexec_b64 s[2:3], s[0:1]
	s_cbranch_execz .LBB768_10
; %bb.9:
	s_load_dwordx2 s[30:31], s[4:5], 0x38
	s_mul_hi_i32 s35, s27, s6
	s_mul_i32 s34, s27, s6
	s_lshl_b64 s[34:35], s[34:35], 1
	s_mov_b32 s39, 0x20000
	s_waitcnt lgkmcnt(0)
	s_add_u32 s36, s30, s34
	s_addc_u32 s22, s31, s35
	s_and_b32 s37, s22, 0xffff
	v_lshlrev_b32_e32 v36, 5, v0
	buffer_load_dwordx4 v[4:7], v36, s[36:39], 16 offen
	buffer_load_dwordx4 v[8:11], v36, s[36:39], 0 offen
	s_load_dwordx2 s[30:31], s[4:5], 0x20
	s_waitcnt vmcnt(5)
	v_cvt_f32_u32_sdwa v21, v84 dst_sel:DWORD dst_unused:UNUSED_PAD src0_sel:WORD_1
	v_cvt_f32_u32_sdwa v20, v84 dst_sel:DWORD dst_unused:UNUSED_PAD src0_sel:WORD_0
	v_cvt_f32_u32_sdwa v19, v85 dst_sel:DWORD dst_unused:UNUSED_PAD src0_sel:WORD_1
	v_cvt_f32_u32_sdwa v18, v85 dst_sel:DWORD dst_unused:UNUSED_PAD src0_sel:WORD_0
	;; [unrolled: 2-line block ×4, first 2 shown]
	s_waitcnt vmcnt(4)
	v_cvt_f32_u32_sdwa v3, v88 dst_sel:DWORD dst_unused:UNUSED_PAD src0_sel:WORD_1
	v_cvt_f32_u32_sdwa v2, v88 dst_sel:DWORD dst_unused:UNUSED_PAD src0_sel:WORD_0
	v_cvt_f32_u32_sdwa v13, v89 dst_sel:DWORD dst_unused:UNUSED_PAD src0_sel:WORD_1
	v_cvt_f32_u32_sdwa v12, v89 dst_sel:DWORD dst_unused:UNUSED_PAD src0_sel:WORD_0
	;; [unrolled: 2-line block ×3, first 2 shown]
	v_cvt_f32_u32_sdwa v16, v91 dst_sel:DWORD dst_unused:UNUSED_PAD src0_sel:WORD_0
	v_cvt_f32_u32_sdwa v17, v91 dst_sel:DWORD dst_unused:UNUSED_PAD src0_sel:WORD_1
	s_mul_hi_i32 s35, s17, s6
	s_mul_i32 s34, s17, s6
	s_lshl_b64 s[34:35], s[34:35], 1
	s_waitcnt lgkmcnt(0)
	s_add_u32 s36, s30, s34
	s_mov_b32 s17, 0x7060302
	s_addc_u32 s22, s31, s35
	s_and_b32 s37, s22, 0xffff
	s_waitcnt vmcnt(1)
	v_cvt_f32_u32_sdwa v27, v4 dst_sel:DWORD dst_unused:UNUSED_PAD src0_sel:WORD_1
	v_cvt_f32_u32_sdwa v26, v4 dst_sel:DWORD dst_unused:UNUSED_PAD src0_sel:WORD_0
	v_cvt_f32_u32_sdwa v29, v5 dst_sel:DWORD dst_unused:UNUSED_PAD src0_sel:WORD_1
	v_cvt_f32_u32_sdwa v28, v5 dst_sel:DWORD dst_unused:UNUSED_PAD src0_sel:WORD_0
	;; [unrolled: 2-line block ×3, first 2 shown]
	v_cvt_f32_u32_sdwa v34, v7 dst_sel:DWORD dst_unused:UNUSED_PAD src0_sel:WORD_0
	v_cvt_f32_u32_sdwa v35, v7 dst_sel:DWORD dst_unused:UNUSED_PAD src0_sel:WORD_1
	s_waitcnt vmcnt(0)
	v_cvt_f32_u32_sdwa v33, v8 dst_sel:DWORD dst_unused:UNUSED_PAD src0_sel:WORD_1
	v_cvt_f32_u32_sdwa v32, v8 dst_sel:DWORD dst_unused:UNUSED_PAD src0_sel:WORD_0
	v_cvt_f32_u32_sdwa v5, v10 dst_sel:DWORD dst_unused:UNUSED_PAD src0_sel:WORD_1
	v_cvt_f32_u32_sdwa v4, v10 dst_sel:DWORD dst_unused:UNUSED_PAD src0_sel:WORD_0
	v_cvt_f32_u32_sdwa v7, v11 dst_sel:DWORD dst_unused:UNUSED_PAD src0_sel:WORD_1
	v_cvt_f32_u32_sdwa v6, v11 dst_sel:DWORD dst_unused:UNUSED_PAD src0_sel:WORD_0
	v_cvt_f32_u32_sdwa v11, v9 dst_sel:DWORD dst_unused:UNUSED_PAD src0_sel:WORD_1
	v_cvt_f32_u32_sdwa v10, v9 dst_sel:DWORD dst_unused:UNUSED_PAD src0_sel:WORD_0
	v_pk_add_f32 v[50:51], v[22:23], v[4:5]
	v_pk_add_f32 v[40:41], v[24:25], v[6:7]
	;; [unrolled: 1-line block ×4, first 2 shown]
	v_perm_b32 v7, v41, v40, s17
	v_perm_b32 v6, v51, v50, s17
	;; [unrolled: 1-line block ×4, first 2 shown]
	v_pk_add_f32 v[92:93], v[16:17], v[34:35]
	v_pk_add_f32 v[14:15], v[14:15], v[30:31]
	;; [unrolled: 1-line block ×4, first 2 shown]
	buffer_store_dwordx4 v[4:7], v36, s[36:39], 0 offen
	;;#ASMSTART
	s_nop 0
	;;#ASMEND
	s_nop 0
	v_perm_b32 v7, v93, v92, s17
	v_perm_b32 v6, v15, v14, s17
	;; [unrolled: 1-line block ×4, first 2 shown]
	buffer_store_dwordx4 v[4:7], v36, s[36:39], 16 offen
	;;#ASMSTART
	s_nop 0
	;;#ASMEND
.LBB768_10:
	s_or_b64 exec, exec, s[2:3]
.LBB768_11:
	v_mul_f32_e32 v2, v33, v33
	v_fmac_f32_e32 v2, v32, v32
	v_fmac_f32_e32 v2, v18, v18
	;; [unrolled: 1-line block ×15, first 2 shown]
	s_nop 1
	v_mov_b32_dpp v3, v2 quad_perm:[1,0,3,2] row_mask:0xf bank_mask:0xf
	v_add_f32_e32 v2, v2, v3
	s_nop 1
	v_mov_b32_dpp v3, v2 quad_perm:[2,3,0,1] row_mask:0xf bank_mask:0xf
	v_add_f32_e32 v2, v2, v3
	s_nop 1
	v_mov_b32_dpp v3, v2 row_half_mirror row_mask:0xf bank_mask:0xf
	v_add_f32_e32 v2, v2, v3
	s_nop 1
	v_mov_b32_dpp v3, v2 row_mirror row_mask:0xf bank_mask:0xf
	v_add_f32_e32 v2, v2, v3
	s_nop 1
	v_mov_b32_dpp v3, v2 row_bcast:15 row_mask:0xf bank_mask:0xf
	v_add_f32_e32 v2, v2, v3
	v_and_b32_e32 v3, 63, v0
	v_cmp_eq_u32_e64 s[2:3], 63, v3
	s_nop 0
	v_mov_b32_dpp v3, v2 row_bcast:31 row_mask:0xf bank_mask:0xf
	s_and_saveexec_b64 s[30:31], s[2:3]
	s_cbranch_execz .LBB768_13
; %bb.12:
	v_add_f32_e32 v2, v2, v3
	v_lshrrev_b32_e32 v3, 4, v0
	v_and_b32_e32 v3, 60, v3
	ds_write_b32 v3, v2 offset:16
.LBB768_13:
	s_or_b64 exec, exec, s[30:31]
	v_and_b32_e32 v2, 3, v0
	v_lshlrev_b32_e32 v34, 2, v2
	s_waitcnt lgkmcnt(0)
	s_barrier
	ds_read_b32 v2, v34 offset:16
	s_load_dwordx2 s[34:35], s[4:5], 0x18
	s_waitcnt lgkmcnt(0)
	v_mov_b32_dpp v3, v2 quad_perm:[1,0,3,2] row_mask:0xf bank_mask:0xf
	v_add_f32_e32 v2, v2, v3
	s_nop 1
	v_mov_b32_dpp v3, v2 quad_perm:[2,3,0,1] row_mask:0xf bank_mask:0xf
	s_and_saveexec_b64 s[30:31], s[0:1]
	s_cbranch_execnz .LBB768_18
; %bb.14:
	s_or_b64 exec, exec, s[30:31]
	s_mov_b64 s[8:9], -1
	s_and_b64 vcc, exec, s[18:19]
	s_cbranch_vccnz .LBB768_19
.LBB768_15:
	s_andn2_b64 vcc, exec, s[8:9]
	s_cbranch_vccz .LBB768_22
.LBB768_16:
	s_cmp_lt_i32 s24, 1
	s_cbranch_scc0 .LBB768_31
.LBB768_17:
	s_endpgm
.LBB768_18:
	v_add_f32_e32 v2, v2, v3
	v_cvt_f32_u32_e32 v3, s7
	s_mov_b32 s7, 0x800000
	s_waitcnt vmcnt(1)
	v_cvt_f32_u32_sdwa v21, v81 dst_sel:DWORD dst_unused:UNUSED_PAD src0_sel:WORD_1
	v_cvt_f32_u32_sdwa v20, v81 dst_sel:DWORD dst_unused:UNUSED_PAD src0_sel:WORD_0
	v_div_scale_f32 v4, s[36:37], v3, v3, v2
	v_rcp_f32_e32 v5, v4
	s_waitcnt vmcnt(0)
	v_cvt_f32_u32_sdwa v23, v77 dst_sel:DWORD dst_unused:UNUSED_PAD src0_sel:WORD_1
	v_cvt_f32_u32_sdwa v22, v77 dst_sel:DWORD dst_unused:UNUSED_PAD src0_sel:WORD_0
	v_cvt_f32_u32_sdwa v25, v78 dst_sel:DWORD dst_unused:UNUSED_PAD src0_sel:WORD_1
	v_fma_f32 v6, -v4, v5, 1.0
	v_fmac_f32_e32 v5, v6, v5
	v_div_scale_f32 v6, vcc, v2, v3, v2
	v_mul_f32_e32 v7, v6, v5
	v_fma_f32 v8, -v4, v7, v6
	v_fmac_f32_e32 v7, v8, v5
	v_fma_f32 v4, -v4, v7, v6
	v_div_fmas_f32 v4, v4, v5, v7
	v_div_fixup_f32 v2, v4, v3, v2
	v_mov_b32_e32 v3, s21
	v_mov_b32_e32 v4, s20
	v_cndmask_b32_e64 v3, v3, v4, s[8:9]
	v_add_f32_e32 v2, v3, v2
	v_mul_f32_e32 v3, 0x4b800000, v2
	v_cmp_gt_f32_e32 vcc, s7, v2
	v_cndmask_b32_e32 v2, v2, v3, vcc
	v_rsq_f32_e32 v2, v2
	v_cvt_f32_u32_sdwa v24, v78 dst_sel:DWORD dst_unused:UNUSED_PAD src0_sel:WORD_0
	v_cvt_f32_u32_sdwa v27, v79 dst_sel:DWORD dst_unused:UNUSED_PAD src0_sel:WORD_1
	v_cvt_f32_u32_sdwa v26, v79 dst_sel:DWORD dst_unused:UNUSED_PAD src0_sel:WORD_0
	v_mul_f32_e32 v3, 0x45800000, v2
	v_cndmask_b32_e32 v2, v2, v3, vcc
	v_mov_b32_e32 v3, v2
	;;#ASMSTART
	v_pk_mul_f32 v[4:5], v[32:33], v[2:3]
	;;#ASMEND
	;;#ASMSTART
	v_pk_mul_f32 v[6:7], v[18:19], v[2:3]
	;;#ASMEND
	;; [unrolled: 3-line block ×6, first 2 shown]
	v_cvt_f32_u32_sdwa v19, v80 dst_sel:DWORD dst_unused:UNUSED_PAD src0_sel:WORD_1
	v_cvt_f32_u32_sdwa v18, v80 dst_sel:DWORD dst_unused:UNUSED_PAD src0_sel:WORD_0
	;;#ASMSTART
	v_pk_mul_f32 v[14:15], v[14:15], v[2:3]
	;;#ASMEND
	;;#ASMSTART
	v_pk_mul_f32 v[2:3], v[92:93], v[2:3]
	;;#ASMEND
	;; [unrolled: 3-line block ×4, first 2 shown]
	v_cvt_f32_u32_sdwa v5, v82 dst_sel:DWORD dst_unused:UNUSED_PAD src0_sel:WORD_1
	v_cvt_f32_u32_sdwa v4, v82 dst_sel:DWORD dst_unused:UNUSED_PAD src0_sel:WORD_0
	v_cvt_f32_u32_sdwa v7, v83 dst_sel:DWORD dst_unused:UNUSED_PAD src0_sel:WORD_1
	v_cvt_f32_u32_sdwa v6, v83 dst_sel:DWORD dst_unused:UNUSED_PAD src0_sel:WORD_0
	;; [unrolled: 2-line block ×3, first 2 shown]
	;;#ASMSTART
	v_pk_mul_f32 v[50:51], v[8:9], v[4:5]
	;;#ASMEND
	;;#ASMSTART
	v_pk_mul_f32 v[40:41], v[10:11], v[6:7]
	;;#ASMEND
	;; [unrolled: 3-line block ×6, first 2 shown]
	s_or_b64 exec, exec, s[30:31]
	s_mov_b64 s[8:9], -1
	s_and_b64 vcc, exec, s[18:19]
	s_cbranch_vccz .LBB768_15
.LBB768_19:
	s_and_saveexec_b64 s[8:9], s[0:1]
	s_cbranch_execz .LBB768_21
; %bb.20:
	s_mul_hi_i32 s19, s16, s6
	s_mul_i32 s18, s16, s6
	s_lshl_b64 s[18:19], s[18:19], 1
	s_add_u32 s36, s34, s18
	s_addc_u32 s7, s35, s19
	s_and_b32 s37, s7, 0xffff
	s_mov_b32 s7, 0x7060302
	s_mov_b32 s39, 0x20000
	v_perm_b32 v5, v41, v40, s7
	v_perm_b32 v4, v51, v50, s7
	;; [unrolled: 1-line block ×4, first 2 shown]
	v_lshlrev_b32_e32 v6, 5, v0
	buffer_store_dwordx4 v[2:5], v6, s[36:39], 0 offen
	;;#ASMSTART
	s_nop 0
	;;#ASMEND
	s_nop 0
	v_perm_b32 v5, v93, v92, s7
	v_perm_b32 v4, v15, v14, s7
	;; [unrolled: 1-line block ×4, first 2 shown]
	buffer_store_dwordx4 v[2:5], v6, s[36:39], 16 offen
	;;#ASMSTART
	s_nop 0
	;;#ASMEND
.LBB768_21:
	s_or_b64 exec, exec, s[8:9]
	s_cbranch_execnz .LBB768_16
.LBB768_22:
	v_mov_b32_e32 v2, 0
	s_and_saveexec_b64 s[8:9], s[0:1]
	s_cbranch_execz .LBB768_24
; %bb.23:
	s_load_dwordx2 s[18:19], s[4:5], 0x10
	s_mul_hi_i32 s31, s15, s6
	s_mul_i32 s30, s15, s6
	s_lshl_b64 s[30:31], s[30:31], 1
	s_mov_b32 s39, 0x20000
	s_waitcnt lgkmcnt(0)
	s_add_u32 s36, s18, s30
	s_addc_u32 s7, s19, s31
	s_and_b32 s37, s7, 0xffff
	s_mov_b32 s7, 0x7060302
	v_perm_b32 v5, v41, v40, s7
	v_perm_b32 v4, v51, v50, s7
	;; [unrolled: 1-line block ×4, first 2 shown]
	v_lshlrev_b32_e32 v6, 5, v0
	buffer_store_dwordx4 v[2:5], v6, s[36:39], 0 offen
	;;#ASMSTART
	s_nop 0
	;;#ASMEND
	s_nop 0
	v_perm_b32 v5, v93, v92, s7
	v_perm_b32 v4, v15, v14, s7
	v_perm_b32 v3, v63, v62, s7
	v_perm_b32 v2, v69, v68, s7
	buffer_store_dwordx4 v[2:5], v6, s[36:39], 16 offen
	;;#ASMSTART
	s_nop 0
	;;#ASMEND
	s_nop 0
	v_mov_b32_e32 v2, 0x2edbe6ff
.LBB768_24:
	s_or_b64 exec, exec, s[8:9]
	s_and_saveexec_b64 s[8:9], s[0:1]
	s_cbranch_execz .LBB768_26
; %bb.25:
	v_and_b32_e32 v3, 0x7fffffff, v32
	v_and_b32_e32 v4, 0x7fffffff, v33
	;;#ASMSTART
	v_max3_f32 v2, v2, v3, v4

	;;#ASMEND
	v_and_b32_e32 v5, 0x7fffffff, v18
	v_and_b32_e32 v6, 0x7fffffff, v19
	;;#ASMSTART
	v_max3_f32 v2, v2, v5, v6

	;;#ASMEND
	;; [unrolled: 6-line block ×8, first 2 shown]
.LBB768_26:
	s_or_b64 exec, exec, s[8:9]
	;;#ASMSTART
	v_max_f32 v3, v2, v2 quad_perm:[1,0,3,2] row_mask:0xf bank_mask:0xf bound_ctrl:1
	;;#ASMEND
	;;#ASMSTART
	v_max_f32 v4, v3, v3 quad_perm:[2,3,0,1] row_mask:0xf bank_mask:0xf bound_ctrl:1
	;;#ASMEND
	v_and_b32_e32 v3, 7, v0
	v_cmp_eq_u32_e32 vcc, 0, v3
	v_cmp_gt_i32_e64 s[8:9], s23, v1
	s_and_b64 s[18:19], vcc, s[8:9]
	;;#ASMSTART
	v_max_f32 v2, v4, v4 row_half_mirror row_mask:0xf bank_mask:0xf bound_ctrl:1
	;;#ASMEND
	s_and_saveexec_b64 s[8:9], s[18:19]
	s_cbranch_execz .LBB768_28
; %bb.27:
	s_load_dwordx2 s[18:19], s[4:5], 0x8
	v_mul_f32_e32 v2, 0x3e2aaaab, v2
	v_lshrrev_b32_e32 v3, 23, v2
	v_and_b32_e32 v4, 0x7f800000, v2
	v_and_b32_e32 v2, 0x7fffff, v2
	v_cmp_ne_u32_e32 vcc, 0, v2
	s_mul_hi_i32 s15, s13, s6
	s_mul_i32 s13, s13, s6
	s_mov_b32 s7, 0x7f800000
	v_addc_co_u32_e32 v2, vcc, 0, v3, vcc
	s_waitcnt lgkmcnt(0)
	s_add_u32 s18, s18, s13
	v_cmp_ne_u32_e32 vcc, s7, v4
	s_addc_u32 s19, s19, s15
	v_lshrrev_b32_e32 v5, 3, v0
	v_cndmask_b32_e32 v4, -1, v2, vcc
	v_pk_mov_b32 v[2:3], s[18:19], s[18:19] op_sel:[0,1]
	v_mad_i64_i32 v[2:3], s[14:15], s14, v5, v[2:3]
	global_store_byte v[2:3], v4, off
.LBB768_28:
	s_or_b64 exec, exec, s[8:9]
	s_and_saveexec_b64 s[8:9], s[0:1]
	s_cbranch_execz .LBB768_30
; %bb.29:
	s_load_dwordx2 s[0:1], s[4:5], 0x0
	s_mul_hi_i32 s7, s12, s6
	s_mul_i32 s12, s12, s6
	v_mov_b32_e32 v2, 0
	v_lshlrev_b32_e32 v4, 3, v0
	s_waitcnt lgkmcnt(0)
	s_add_u32 s12, s0, s12
	s_addc_u32 s0, s1, s7
	s_lshr_b32 s1, s23, 31
	s_add_i32 s1, s23, s1
	s_ashr_i32 s1, s1, 1
	s_add_i32 s1, s1, 3
	s_ashr_i32 s7, s1, 31
	s_lshr_b32 s7, s7, 30
	s_add_i32 s1, s1, s7
	s_and_b32 s14, s1, -4
	s_and_b32 s13, s0, 0xffff
	s_mov_b32 s15, 0x20000
	v_mov_b32_e32 v3, v2
	buffer_store_dwordx2 v[2:3], v4, s[12:15], 0 offen
	;;#ASMSTART
	s_nop 0
	;;#ASMEND
.LBB768_30:
	s_or_b64 exec, exec, s[8:9]
	s_cmp_lt_i32 s24, 1
	s_cbranch_scc1 .LBB768_17
.LBB768_31:
	s_load_dword s0, s[4:5], 0x94
	s_waitcnt lgkmcnt(0)
	s_cmp_lg_u32 s0, 1
	s_cbranch_scc1 .LBB768_17
; %bb.32:
	s_lshl_b32 s0, s24, 1
	s_add_i32 s0, s0, 2
	v_cmp_gt_u32_e32 vcc, s24, v1
	s_and_b32 s30, s0, -4
	v_mov_b32_e32 v18, 0
	v_lshlrev_b32_e32 v1, 5, v0
	v_mov_b32_e32 v14, 0
	v_mov_b32_e32 v15, 0
	;; [unrolled: 1-line block ×16, first 2 shown]
	s_barrier
	s_and_saveexec_b64 s[0:1], vcc
	s_cbranch_execz .LBB768_34
; %bb.33:
	s_mul_hi_i32 s5, s26, s6
	s_mul_i32 s4, s26, s6
	s_and_b32 s29, s29, 0xffff
	s_lshl_b64 s[4:5], s[4:5], 1
	s_add_u32 s8, s10, s4
	s_mov_b32 s31, 0x20000
	s_addc_u32 s4, s11, s5
	s_and_b32 s9, s4, 0xffff
	s_mov_b32 s10, s30
	s_mov_b32 s11, s31
	buffer_load_dwordx4 v[14:17], v1, s[8:11], 0 offen
	buffer_load_dwordx4 v[10:13], v1, s[8:11], 16 offen
	;; [unrolled: 1-line block ×4, first 2 shown]
.LBB768_34:
	s_or_b64 exec, exec, s[0:1]
	v_mov_b32_e32 v19, 0
	v_mov_b32_e32 v32, 0
	;; [unrolled: 1-line block ×15, first 2 shown]
	s_and_saveexec_b64 s[0:1], vcc
	s_cbranch_execz .LBB768_36
; %bb.35:
	s_waitcnt vmcnt(3)
	v_cvt_f32_u32_sdwa v18, v14 dst_sel:DWORD dst_unused:UNUSED_PAD src0_sel:WORD_0
	v_cvt_f32_u32_sdwa v19, v14 dst_sel:DWORD dst_unused:UNUSED_PAD src0_sel:WORD_1
	v_cvt_f32_u32_sdwa v32, v15 dst_sel:DWORD dst_unused:UNUSED_PAD src0_sel:WORD_0
	v_cvt_f32_u32_sdwa v33, v15 dst_sel:DWORD dst_unused:UNUSED_PAD src0_sel:WORD_1
	;; [unrolled: 2-line block ×4, first 2 shown]
	s_waitcnt vmcnt(2)
	v_cvt_f32_u32_sdwa v26, v10 dst_sel:DWORD dst_unused:UNUSED_PAD src0_sel:WORD_0
	v_cvt_f32_u32_sdwa v27, v10 dst_sel:DWORD dst_unused:UNUSED_PAD src0_sel:WORD_1
	v_cvt_f32_u32_sdwa v24, v11 dst_sel:DWORD dst_unused:UNUSED_PAD src0_sel:WORD_0
	v_cvt_f32_u32_sdwa v25, v11 dst_sel:DWORD dst_unused:UNUSED_PAD src0_sel:WORD_1
	;; [unrolled: 2-line block ×4, first 2 shown]
.LBB768_36:
	s_or_b64 exec, exec, s[0:1]
	s_waitcnt vmcnt(2)
	v_mul_f32_e32 v10, v19, v19
	v_fmac_f32_e32 v10, v18, v18
	v_fmac_f32_e32 v10, v32, v32
	v_fmac_f32_e32 v10, v33, v33
	v_fmac_f32_e32 v10, v30, v30
	v_fmac_f32_e32 v10, v31, v31
	v_fmac_f32_e32 v10, v28, v28
	v_fmac_f32_e32 v10, v29, v29
	v_fmac_f32_e32 v10, v26, v26
	v_fmac_f32_e32 v10, v27, v27
	v_fmac_f32_e32 v10, v24, v24
	v_fmac_f32_e32 v10, v25, v25
	v_fmac_f32_e32 v10, v22, v22
	v_fmac_f32_e32 v10, v23, v23
	v_fmac_f32_e32 v10, v20, v20
	v_fmac_f32_e32 v10, v21, v21
	s_nop 1
	v_mov_b32_dpp v11, v10 quad_perm:[1,0,3,2] row_mask:0xf bank_mask:0xf
	v_add_f32_e32 v10, v10, v11
	s_nop 1
	v_mov_b32_dpp v11, v10 quad_perm:[2,3,0,1] row_mask:0xf bank_mask:0xf
	v_add_f32_e32 v10, v10, v11
	s_nop 1
	v_mov_b32_dpp v11, v10 row_half_mirror row_mask:0xf bank_mask:0xf
	v_add_f32_e32 v10, v10, v11
	s_nop 1
	v_mov_b32_dpp v11, v10 row_mirror row_mask:0xf bank_mask:0xf
	v_add_f32_e32 v10, v10, v11
	s_nop 1
	v_mov_b32_dpp v11, v10 row_bcast:15 row_mask:0xf bank_mask:0xf
	v_add_f32_e32 v10, v10, v11
	s_nop 1
	v_mov_b32_dpp v11, v10 row_bcast:31 row_mask:0xf bank_mask:0xf
	s_and_saveexec_b64 s[0:1], s[2:3]
	s_cbranch_execz .LBB768_38
; %bb.37:
	v_lshrrev_b32_e32 v0, 4, v0
	v_add_f32_e32 v10, v10, v11
	v_and_b32_e32 v0, 60, v0
	ds_write_b32 v0, v10
.LBB768_38:
	s_or_b64 exec, exec, s[0:1]
	s_waitcnt lgkmcnt(0)
	s_barrier
	ds_read_b32 v0, v34
	s_waitcnt lgkmcnt(0)
	s_nop 0
	v_mov_b32_dpp v10, v0 quad_perm:[1,0,3,2] row_mask:0xf bank_mask:0xf
	v_add_f32_e32 v0, v0, v10
	s_nop 1
	v_mov_b32_dpp v10, v0 quad_perm:[2,3,0,1] row_mask:0xf bank_mask:0xf
	s_and_saveexec_b64 s[0:1], vcc
	s_cbranch_execz .LBB768_17
; %bb.39:
	v_cvt_f32_u32_e32 v11, s24
	v_add_f32_e32 v0, v0, v10
	s_mov_b32 s31, 0x20000
	v_div_scale_f32 v10, s[0:1], v11, v11, v0
	v_rcp_f32_e32 v12, v10
	v_div_scale_f32 v13, vcc, v0, v11, v0
	s_mov_b32 s0, 0x800000
	v_fma_f32 v14, -v10, v12, 1.0
	v_fmac_f32_e32 v12, v14, v12
	v_mul_f32_e32 v14, v13, v12
	v_fma_f32 v15, -v10, v14, v13
	v_fmac_f32_e32 v14, v15, v12
	v_fma_f32 v10, -v10, v14, v13
	v_div_fmas_f32 v10, v10, v12, v14
	v_div_fixup_f32 v0, v10, v11, v0
	v_add_f32_e32 v0, s21, v0
	v_mul_f32_e32 v10, 0x4b800000, v0
	v_cmp_gt_f32_e32 vcc, s0, v0
	v_cndmask_b32_e32 v0, v0, v10, vcc
	v_rsq_f32_e32 v0, v0
	s_mul_hi_i32 s1, s16, s6
	s_mul_i32 s0, s16, s6
	s_lshl_b64 s[0:1], s[0:1], 1
	v_mul_f32_e32 v10, 0x45800000, v0
	v_cndmask_b32_e32 v10, v0, v10, vcc
	v_mov_b32_e32 v11, v10
	s_add_u32 s28, s34, s0
	;;#ASMSTART
	v_pk_mul_f32 v[12:13], v[18:19], v[10:11]
	;;#ASMEND
	;;#ASMSTART
	v_pk_mul_f32 v[14:15], v[32:33], v[10:11]
	;;#ASMEND
	;; [unrolled: 3-line block ×8, first 2 shown]
	s_waitcnt vmcnt(1)
	v_cvt_f32_u32_sdwa v21, v6 dst_sel:DWORD dst_unused:UNUSED_PAD src0_sel:WORD_1
	v_cvt_f32_u32_sdwa v20, v6 dst_sel:DWORD dst_unused:UNUSED_PAD src0_sel:WORD_0
	v_cvt_f32_u32_sdwa v29, v7 dst_sel:DWORD dst_unused:UNUSED_PAD src0_sel:WORD_1
	v_cvt_f32_u32_sdwa v28, v7 dst_sel:DWORD dst_unused:UNUSED_PAD src0_sel:WORD_0
	;; [unrolled: 2-line block ×3, first 2 shown]
	s_addc_u32 s0, s35, s1
	v_cvt_f32_u32_sdwa v31, v9 dst_sel:DWORD dst_unused:UNUSED_PAD src0_sel:WORD_1
	v_cvt_f32_u32_sdwa v30, v9 dst_sel:DWORD dst_unused:UNUSED_PAD src0_sel:WORD_0
	;;#ASMSTART
	v_pk_mul_f32 v[8:9], v[12:13], v[20:21]
	;;#ASMEND
	;;#ASMSTART
	v_pk_mul_f32 v[12:13], v[14:15], v[28:29]
	;;#ASMEND
	;; [unrolled: 3-line block ×4, first 2 shown]
	s_waitcnt vmcnt(0)
	v_cvt_f32_u32_sdwa v17, v2 dst_sel:DWORD dst_unused:UNUSED_PAD src0_sel:WORD_1
	v_cvt_f32_u32_sdwa v16, v2 dst_sel:DWORD dst_unused:UNUSED_PAD src0_sel:WORD_0
	v_cvt_f32_u32_sdwa v19, v3 dst_sel:DWORD dst_unused:UNUSED_PAD src0_sel:WORD_1
	v_cvt_f32_u32_sdwa v18, v3 dst_sel:DWORD dst_unused:UNUSED_PAD src0_sel:WORD_0
	;; [unrolled: 2-line block ×3, first 2 shown]
	s_and_b32 s29, s0, 0xffff
	s_mov_b32 s0, 0x7060302
	v_cvt_f32_u32_sdwa v21, v5 dst_sel:DWORD dst_unused:UNUSED_PAD src0_sel:WORD_1
	v_cvt_f32_u32_sdwa v20, v5 dst_sel:DWORD dst_unused:UNUSED_PAD src0_sel:WORD_0
	;;#ASMSTART
	v_pk_mul_f32 v[16:17], v[26:27], v[16:17]
	;;#ASMEND
	;;#ASMSTART
	v_pk_mul_f32 v[18:19], v[24:25], v[18:19]
	;;#ASMEND
	;;#ASMSTART
	v_pk_mul_f32 v[22:23], v[22:23], v[2:3]
	;;#ASMEND
	v_perm_b32 v2, v9, v8, s0
	v_perm_b32 v3, v13, v12, s0
	;; [unrolled: 1-line block ×4, first 2 shown]
	;;#ASMSTART
	v_pk_mul_f32 v[10:11], v[10:11], v[20:21]
	;;#ASMEND
	buffer_store_dwordx4 v[2:5], v1, s[28:31], 0 offen
	;;#ASMSTART
	s_nop 0
	;;#ASMEND
	s_nop 0
	v_perm_b32 v2, v17, v16, s0
	v_perm_b32 v3, v19, v18, s0
	;; [unrolled: 1-line block ×4, first 2 shown]
	buffer_store_dwordx4 v[2:5], v1, s[28:31], 16 offen
	;;#ASMSTART
	s_nop 0
	;;#ASMEND
	s_endpgm
	.section	.rodata,"a",@progbits
	.p2align	6, 0x0
	.amdhsa_kernel _ZN5aiter35fused_qk_rmsnorm_group_quant_kernelItN4opus5fp4_tELi256ELi16ELi8ELb1ELb1ELb0ELb0ELb0ELb0EEEvPT0_PvPT_S7_S7_PKS6_S9_S9_S9_S9_ffiiiiiiiiiiiii
		.amdhsa_group_segment_fixed_size 32
		.amdhsa_private_segment_fixed_size 0
		.amdhsa_kernarg_size 400
		.amdhsa_user_sgpr_count 6
		.amdhsa_user_sgpr_private_segment_buffer 1
		.amdhsa_user_sgpr_dispatch_ptr 0
		.amdhsa_user_sgpr_queue_ptr 0
		.amdhsa_user_sgpr_kernarg_segment_ptr 1
		.amdhsa_user_sgpr_dispatch_id 0
		.amdhsa_user_sgpr_flat_scratch_init 0
		.amdhsa_user_sgpr_kernarg_preload_length 0
		.amdhsa_user_sgpr_kernarg_preload_offset 0
		.amdhsa_user_sgpr_private_segment_size 0
		.amdhsa_uses_dynamic_stack 0
		.amdhsa_system_sgpr_private_segment_wavefront_offset 0
		.amdhsa_system_sgpr_workgroup_id_x 1
		.amdhsa_system_sgpr_workgroup_id_y 1
		.amdhsa_system_sgpr_workgroup_id_z 0
		.amdhsa_system_sgpr_workgroup_info 0
		.amdhsa_system_vgpr_workitem_id 0
		.amdhsa_next_free_vgpr 94
		.amdhsa_next_free_sgpr 44
		.amdhsa_accum_offset 96
		.amdhsa_reserve_vcc 1
		.amdhsa_reserve_flat_scratch 0
		.amdhsa_float_round_mode_32 0
		.amdhsa_float_round_mode_16_64 0
		.amdhsa_float_denorm_mode_32 3
		.amdhsa_float_denorm_mode_16_64 3
		.amdhsa_dx10_clamp 1
		.amdhsa_ieee_mode 1
		.amdhsa_fp16_overflow 0
		.amdhsa_tg_split 0
		.amdhsa_exception_fp_ieee_invalid_op 0
		.amdhsa_exception_fp_denorm_src 0
		.amdhsa_exception_fp_ieee_div_zero 0
		.amdhsa_exception_fp_ieee_overflow 0
		.amdhsa_exception_fp_ieee_underflow 0
		.amdhsa_exception_fp_ieee_inexact 0
		.amdhsa_exception_int_div_zero 0
	.end_amdhsa_kernel
	.section	.text._ZN5aiter35fused_qk_rmsnorm_group_quant_kernelItN4opus5fp4_tELi256ELi16ELi8ELb1ELb1ELb0ELb0ELb0ELb0EEEvPT0_PvPT_S7_S7_PKS6_S9_S9_S9_S9_ffiiiiiiiiiiiii,"axG",@progbits,_ZN5aiter35fused_qk_rmsnorm_group_quant_kernelItN4opus5fp4_tELi256ELi16ELi8ELb1ELb1ELb0ELb0ELb0ELb0EEEvPT0_PvPT_S7_S7_PKS6_S9_S9_S9_S9_ffiiiiiiiiiiiii,comdat
.Lfunc_end768:
	.size	_ZN5aiter35fused_qk_rmsnorm_group_quant_kernelItN4opus5fp4_tELi256ELi16ELi8ELb1ELb1ELb0ELb0ELb0ELb0EEEvPT0_PvPT_S7_S7_PKS6_S9_S9_S9_S9_ffiiiiiiiiiiiii, .Lfunc_end768-_ZN5aiter35fused_qk_rmsnorm_group_quant_kernelItN4opus5fp4_tELi256ELi16ELi8ELb1ELb1ELb0ELb0ELb0ELb0EEEvPT0_PvPT_S7_S7_PKS6_S9_S9_S9_S9_ffiiiiiiiiiiiii
                                        ; -- End function
	.section	.AMDGPU.csdata,"",@progbits
; Kernel info:
; codeLenInByte = 3948
; NumSgprs: 48
; NumVgprs: 94
; NumAgprs: 0
; TotalNumVgprs: 94
; ScratchSize: 0
; MemoryBound: 0
; FloatMode: 240
; IeeeMode: 1
; LDSByteSize: 32 bytes/workgroup (compile time only)
; SGPRBlocks: 5
; VGPRBlocks: 11
; NumSGPRsForWavesPerEU: 48
; NumVGPRsForWavesPerEU: 94
; AccumOffset: 96
; Occupancy: 5
; WaveLimiterHint : 0
; COMPUTE_PGM_RSRC2:SCRATCH_EN: 0
; COMPUTE_PGM_RSRC2:USER_SGPR: 6
; COMPUTE_PGM_RSRC2:TRAP_HANDLER: 0
; COMPUTE_PGM_RSRC2:TGID_X_EN: 1
; COMPUTE_PGM_RSRC2:TGID_Y_EN: 1
; COMPUTE_PGM_RSRC2:TGID_Z_EN: 0
; COMPUTE_PGM_RSRC2:TIDIG_COMP_CNT: 0
; COMPUTE_PGM_RSRC3_GFX90A:ACCUM_OFFSET: 23
; COMPUTE_PGM_RSRC3_GFX90A:TG_SPLIT: 0
	.section	.text._ZN5aiter35fused_qk_rmsnorm_group_quant_kernelIDF16_DB8_Li256ELi16ELi8ELb1ELb0ELb1ELb0ELb0ELb0EEEvPT0_PvPT_S6_S6_PKS5_S8_S8_S8_S8_ffiiiiiiiiiiiii,"axG",@progbits,_ZN5aiter35fused_qk_rmsnorm_group_quant_kernelIDF16_DB8_Li256ELi16ELi8ELb1ELb0ELb1ELb0ELb0ELb0EEEvPT0_PvPT_S6_S6_PKS5_S8_S8_S8_S8_ffiiiiiiiiiiiii,comdat
	.protected	_ZN5aiter35fused_qk_rmsnorm_group_quant_kernelIDF16_DB8_Li256ELi16ELi8ELb1ELb0ELb1ELb0ELb0ELb0EEEvPT0_PvPT_S6_S6_PKS5_S8_S8_S8_S8_ffiiiiiiiiiiiii ; -- Begin function _ZN5aiter35fused_qk_rmsnorm_group_quant_kernelIDF16_DB8_Li256ELi16ELi8ELb1ELb0ELb1ELb0ELb0ELb0EEEvPT0_PvPT_S6_S6_PKS5_S8_S8_S8_S8_ffiiiiiiiiiiiii
	.globl	_ZN5aiter35fused_qk_rmsnorm_group_quant_kernelIDF16_DB8_Li256ELi16ELi8ELb1ELb0ELb1ELb0ELb0ELb0EEEvPT0_PvPT_S6_S6_PKS5_S8_S8_S8_S8_ffiiiiiiiiiiiii
	.p2align	8
	.type	_ZN5aiter35fused_qk_rmsnorm_group_quant_kernelIDF16_DB8_Li256ELi16ELi8ELb1ELb0ELb1ELb0ELb0ELb0EEEvPT0_PvPT_S6_S6_PKS5_S8_S8_S8_S8_ffiiiiiiiiiiiii,@function
_ZN5aiter35fused_qk_rmsnorm_group_quant_kernelIDF16_DB8_Li256ELi16ELi8ELb1ELb0ELb1ELb0ELb0ELb0EEEvPT0_PvPT_S6_S6_PKS5_S8_S8_S8_S8_ffiiiiiiiiiiiii: ; @_ZN5aiter35fused_qk_rmsnorm_group_quant_kernelIDF16_DB8_Li256ELi16ELi8ELb1ELb0ELb1ELb0ELb0ELb0EEEvPT0_PvPT_S6_S6_PKS5_S8_S8_S8_S8_ffiiiiiiiiiiiii
; %bb.0:
	s_load_dwordx8 s[12:19], s[4:5], 0x50
	s_waitcnt lgkmcnt(0)
	s_cmp_ge_i32 s6, s14
	s_cbranch_scc1 .LBB769_17
; %bb.1:
	s_cmp_lg_u32 s7, 0
	s_cselect_b64 s[10:11], -1, 0
	s_cmp_eq_u32 s7, 0
	s_cselect_b64 s[8:9], -1, 0
	s_and_b64 s[0:1], s[8:9], exec
	s_load_dwordx2 s[20:21], s[4:5], 0x48
	s_load_dwordx2 s[36:37], s[4:5], 0x30
	s_load_dwordx4 s[24:27], s[4:5], 0x70
	s_cselect_b32 s7, s15, s16
	s_add_i32 s0, s7, 1
	s_lshr_b32 s1, s0, 31
	s_add_i32 s0, s0, s1
	s_lshl_b32 s0, s0, 1
	v_lshlrev_b32_e32 v1, 4, v0
	s_and_b32 s30, s0, -4
	v_cmp_gt_i32_e64 s[0:1], s7, v1
	v_mov_b32_e32 v76, 0
	v_mov_b32_e32 v77, 0
	v_mov_b32_e32 v78, 0
	v_mov_b32_e32 v79, 0
	v_mov_b32_e32 v72, 0
	v_mov_b32_e32 v73, 0
	v_mov_b32_e32 v74, 0
	v_mov_b32_e32 v75, 0
	v_mov_b32_e32 v80, 0
	v_mov_b32_e32 v81, 0
	v_mov_b32_e32 v82, 0
	v_mov_b32_e32 v83, 0
	v_mov_b32_e32 v84, 0
	v_mov_b32_e32 v85, 0
	v_mov_b32_e32 v86, 0
	v_mov_b32_e32 v87, 0
	s_and_saveexec_b64 s[2:3], s[0:1]
	s_cbranch_execz .LBB769_3
; %bb.2:
	s_load_dwordx2 s[22:23], s[4:5], 0x28
	s_load_dwordx2 s[28:29], s[4:5], 0x40
	s_and_b64 s[34:35], s[8:9], exec
	s_cselect_b32 s14, s17, s18
	s_mov_b32 s31, 0x20000
	s_waitcnt lgkmcnt(0)
	s_cselect_b32 s17, s23, s37
	s_cselect_b32 s27, s22, s36
	s_mul_hi_i32 s23, s14, s6
	s_mul_i32 s22, s14, s6
	s_lshl_b64 s[22:23], s[22:23], 1
	s_add_u32 s40, s27, s22
	s_addc_u32 s14, s17, s23
	s_and_b64 s[22:23], s[8:9], exec
	s_cselect_b32 s28, s28, s20
	s_cselect_b32 s17, s29, s21
	s_and_b32 s41, s14, 0xffff
	s_mov_b32 s42, s30
	s_mov_b32 s43, s31
	v_lshlrev_b32_e32 v2, 5, v0
	s_and_b32 s29, s17, 0xffff
	buffer_load_dwordx4 v[80:83], v2, s[40:43], 0 offen
	buffer_load_dwordx4 v[84:87], v2, s[40:43], 16 offen
	buffer_load_dwordx4 v[76:79], v2, s[28:31], 0 offen
	buffer_load_dwordx4 v[72:75], v2, s[28:31], 16 offen
.LBB769_3:
	s_or_b64 exec, exec, s[2:3]
	s_load_dwordx2 s[34:35], s[4:5], 0x80
	s_and_b64 vcc, exec, s[10:11]
	s_cbranch_vccz .LBB769_7
; %bb.4:
	v_mov_b32_e32 v89, 0
	v_mov_b32_e32 v88, 0
	;; [unrolled: 1-line block ×16, first 2 shown]
	s_and_saveexec_b64 s[2:3], s[0:1]
	s_cbranch_execz .LBB769_6
; %bb.5:
	s_waitcnt vmcnt(3)
	v_cvt_f32_f16_sdwa v49, v80 dst_sel:DWORD dst_unused:UNUSED_PAD src0_sel:WORD_1
	v_cvt_f32_f16_e32 v48, v80
	v_cvt_f32_f16_sdwa v35, v81 dst_sel:DWORD dst_unused:UNUSED_PAD src0_sel:WORD_1
	v_cvt_f32_f16_e32 v34, v81
	;; [unrolled: 2-line block ×4, first 2 shown]
	s_waitcnt vmcnt(2)
	v_cvt_f32_f16_sdwa v65, v84 dst_sel:DWORD dst_unused:UNUSED_PAD src0_sel:WORD_1
	v_cvt_f32_f16_e32 v64, v84
	v_cvt_f32_f16_sdwa v19, v85 dst_sel:DWORD dst_unused:UNUSED_PAD src0_sel:WORD_1
	v_cvt_f32_f16_e32 v18, v85
	;; [unrolled: 2-line block ×4, first 2 shown]
.LBB769_6:
	s_or_b64 exec, exec, s[2:3]
	s_cbranch_execz .LBB769_8
	s_branch .LBB769_11
.LBB769_7:
                                        ; implicit-def: $vgpr32_vgpr33_vgpr34_vgpr35_vgpr36_vgpr37_vgpr38_vgpr39_vgpr40_vgpr41_vgpr42_vgpr43_vgpr44_vgpr45_vgpr46_vgpr47
                                        ; implicit-def: $vgpr48_vgpr49_vgpr50_vgpr51_vgpr52_vgpr53_vgpr54_vgpr55_vgpr56_vgpr57_vgpr58_vgpr59_vgpr60_vgpr61_vgpr62_vgpr63
                                        ; implicit-def: $vgpr18_vgpr19_vgpr20_vgpr21_vgpr22_vgpr23_vgpr24_vgpr25_vgpr26_vgpr27_vgpr28_vgpr29_vgpr30_vgpr31_vgpr32_vgpr33
                                        ; implicit-def: $vgpr50_vgpr51_vgpr52_vgpr53_vgpr54_vgpr55_vgpr56_vgpr57_vgpr58_vgpr59_vgpr60_vgpr61_vgpr62_vgpr63_vgpr64_vgpr65
                                        ; implicit-def: $vgpr89
                                        ; implicit-def: $vgpr8_vgpr9_vgpr10_vgpr11_vgpr12_vgpr13_vgpr14_vgpr15_vgpr16_vgpr17_vgpr18_vgpr19_vgpr20_vgpr21_vgpr22_vgpr23
                                        ; implicit-def: $vgpr56_vgpr57_vgpr58_vgpr59_vgpr60_vgpr61_vgpr62_vgpr63_vgpr64_vgpr65_vgpr66_vgpr67_vgpr68_vgpr69_vgpr70_vgpr71
                                        ; implicit-def: $vgpr2_vgpr3_vgpr4_vgpr5_vgpr6_vgpr7_vgpr8_vgpr9_vgpr10_vgpr11_vgpr12_vgpr13_vgpr14_vgpr15_vgpr16_vgpr17
.LBB769_8:
	v_mov_b32_e32 v89, 0
	v_mov_b32_e32 v88, 0
	;; [unrolled: 1-line block ×16, first 2 shown]
	s_and_saveexec_b64 s[2:3], s[0:1]
	s_cbranch_execz .LBB769_10
; %bb.9:
	s_load_dwordx2 s[22:23], s[4:5], 0x38
	s_mul_hi_i32 s29, s19, s6
	s_mul_i32 s28, s19, s6
	s_lshl_b64 s[28:29], s[28:29], 1
	s_mov_b32 s31, 0x20000
	s_waitcnt lgkmcnt(0)
	s_add_u32 s28, s22, s28
	s_addc_u32 s14, s23, s29
	s_and_b32 s29, s14, 0xffff
	v_lshlrev_b32_e32 v38, 5, v0
	buffer_load_dwordx4 v[6:9], v38, s[28:31], 16 offen
	buffer_load_dwordx4 v[10:13], v38, s[28:31], 0 offen
	s_waitcnt vmcnt(5)
	v_cvt_f32_f16_sdwa v23, v82 dst_sel:DWORD dst_unused:UNUSED_PAD src0_sel:WORD_1
	v_cvt_f32_f16_e32 v22, v82
	v_cvt_f32_f16_sdwa v25, v83 dst_sel:DWORD dst_unused:UNUSED_PAD src0_sel:WORD_1
	v_cvt_f32_f16_e32 v24, v83
	;; [unrolled: 2-line block ×4, first 2 shown]
	s_load_dwordx2 s[22:23], s[4:5], 0x20
	s_waitcnt vmcnt(4)
	v_cvt_f32_f16_sdwa v3, v84 dst_sel:DWORD dst_unused:UNUSED_PAD src0_sel:WORD_1
	v_cvt_f32_f16_e32 v2, v84
	v_cvt_f32_f16_sdwa v5, v85 dst_sel:DWORD dst_unused:UNUSED_PAD src0_sel:WORD_1
	v_cvt_f32_f16_e32 v4, v85
	;; [unrolled: 2-line block ×4, first 2 shown]
	s_mul_hi_i32 s29, s35, s6
	s_mul_i32 s28, s35, s6
	s_lshl_b64 s[28:29], s[28:29], 1
	s_waitcnt lgkmcnt(0)
	s_add_u32 s28, s22, s28
	s_addc_u32 s14, s23, s29
	s_and_b32 s29, s14, 0xffff
	s_waitcnt vmcnt(1)
	v_cvt_f32_f16_e32 v26, v6
	v_cvt_f32_f16_sdwa v27, v6 dst_sel:DWORD dst_unused:UNUSED_PAD src0_sel:WORD_1
	v_cvt_f32_f16_e32 v28, v7
	v_cvt_f32_f16_sdwa v29, v7 dst_sel:DWORD dst_unused:UNUSED_PAD src0_sel:WORD_1
	;; [unrolled: 2-line block ×4, first 2 shown]
	s_waitcnt vmcnt(0)
	v_cvt_f32_f16_e32 v6, v12
	v_cvt_f32_f16_sdwa v7, v12 dst_sel:DWORD dst_unused:UNUSED_PAD src0_sel:WORD_1
	v_cvt_f32_f16_e32 v8, v13
	v_cvt_f32_f16_sdwa v9, v13 dst_sel:DWORD dst_unused:UNUSED_PAD src0_sel:WORD_1
	v_cvt_f32_f16_e32 v36, v10
	v_cvt_f32_f16_sdwa v37, v10 dst_sel:DWORD dst_unused:UNUSED_PAD src0_sel:WORD_1
	v_cvt_f32_f16_e32 v10, v11
	v_cvt_f32_f16_sdwa v11, v11 dst_sel:DWORD dst_unused:UNUSED_PAD src0_sel:WORD_1
	v_pk_add_f32 v[54:55], v[22:23], v[6:7]
	v_pk_add_f32 v[24:25], v[24:25], v[8:9]
	v_cvt_f16_f32_e32 v6, v55
	v_cvt_f16_f32_e32 v7, v25
	;; [unrolled: 1-line block ×4, first 2 shown]
	v_pk_add_f32 v[34:35], v[20:21], v[10:11]
	v_pk_add_f32 v[48:49], v[18:19], v[36:37]
	v_pack_b32_f16 v9, v8, v7
	v_pack_b32_f16 v8, v12, v6
	v_cvt_f16_f32_e32 v6, v35
	v_cvt_f16_f32_e32 v7, v34
	;; [unrolled: 1-line block ×3, first 2 shown]
	v_pk_add_f32 v[88:89], v[16:17], v[32:33]
	v_pk_add_f32 v[14:15], v[14:15], v[30:31]
	v_pack_b32_f16 v7, v7, v6
	v_cvt_f16_f32_e32 v6, v49
	v_pk_add_f32 v[18:19], v[4:5], v[28:29]
	v_pk_add_f32 v[64:65], v[2:3], v[26:27]
	v_cvt_f16_f32_e32 v4, v18
	v_pack_b32_f16 v6, v10, v6
	buffer_store_dwordx4 v[6:9], v38, s[28:31], 0 offen
	v_cvt_f16_f32_e32 v5, v19
	v_cvt_f16_f32_e32 v6, v14
	;; [unrolled: 1-line block ×7, first 2 shown]
	v_pack_b32_f16 v7, v7, v8
	v_pack_b32_f16 v6, v6, v9
	;; [unrolled: 1-line block ×4, first 2 shown]
	;;#ASMSTART
	s_nop 0
	;;#ASMEND
	buffer_store_dwordx4 v[4:7], v38, s[28:31], 16 offen
	;;#ASMSTART
	s_nop 0
	;;#ASMEND
.LBB769_10:
	s_or_b64 exec, exec, s[2:3]
.LBB769_11:
	v_mul_f32_e32 v2, v49, v49
	v_fmac_f32_e32 v2, v48, v48
	v_fmac_f32_e32 v2, v34, v34
	;; [unrolled: 1-line block ×15, first 2 shown]
	s_nop 1
	v_mov_b32_dpp v3, v2 quad_perm:[1,0,3,2] row_mask:0xf bank_mask:0xf
	v_add_f32_e32 v2, v2, v3
	s_nop 1
	v_mov_b32_dpp v3, v2 quad_perm:[2,3,0,1] row_mask:0xf bank_mask:0xf
	v_add_f32_e32 v2, v2, v3
	s_nop 1
	v_mov_b32_dpp v3, v2 row_half_mirror row_mask:0xf bank_mask:0xf
	v_add_f32_e32 v2, v2, v3
	s_nop 1
	v_mov_b32_dpp v3, v2 row_mirror row_mask:0xf bank_mask:0xf
	v_add_f32_e32 v2, v2, v3
	s_nop 1
	v_mov_b32_dpp v3, v2 row_bcast:15 row_mask:0xf bank_mask:0xf
	v_add_f32_e32 v2, v2, v3
	v_and_b32_e32 v3, 63, v0
	v_cmp_eq_u32_e64 s[2:3], 63, v3
	s_nop 0
	v_mov_b32_dpp v3, v2 row_bcast:31 row_mask:0xf bank_mask:0xf
	s_and_saveexec_b64 s[22:23], s[2:3]
	s_cbranch_execz .LBB769_13
; %bb.12:
	v_add_f32_e32 v2, v2, v3
	v_lshrrev_b32_e32 v3, 4, v0
	v_and_b32_e32 v3, 60, v3
	ds_write_b32 v3, v2 offset:16
.LBB769_13:
	s_or_b64 exec, exec, s[22:23]
	v_and_b32_e32 v2, 3, v0
	v_lshlrev_b32_e32 v36, 2, v2
	s_waitcnt lgkmcnt(0)
	s_barrier
	ds_read_b32 v2, v36 offset:16
	s_load_dwordx2 s[38:39], s[4:5], 0x18
	s_waitcnt lgkmcnt(0)
	v_mov_b32_dpp v3, v2 quad_perm:[1,0,3,2] row_mask:0xf bank_mask:0xf
	v_add_f32_e32 v2, v2, v3
	s_nop 1
	v_mov_b32_dpp v3, v2 quad_perm:[2,3,0,1] row_mask:0xf bank_mask:0xf
	s_and_saveexec_b64 s[22:23], s[0:1]
	s_cbranch_execnz .LBB769_18
; %bb.14:
	s_or_b64 exec, exec, s[22:23]
	s_mov_b64 s[8:9], -1
	s_and_b64 vcc, exec, s[10:11]
	s_cbranch_vccnz .LBB769_19
.LBB769_15:
	s_andn2_b64 vcc, exec, s[8:9]
	s_cbranch_vccz .LBB769_22
.LBB769_16:
	s_cmp_lt_i32 s16, 1
	s_cbranch_scc0 .LBB769_29
.LBB769_17:
	s_endpgm
.LBB769_18:
	v_add_f32_e32 v2, v2, v3
	v_cvt_f32_u32_e32 v3, s7
	s_mov_b32 s7, 0x800000
	s_waitcnt vmcnt(1)
	v_cvt_f32_f16_sdwa v17, v76 dst_sel:DWORD dst_unused:UNUSED_PAD src0_sel:WORD_1
	v_cvt_f32_f16_e32 v16, v76
	v_div_scale_f32 v4, s[28:29], v3, v3, v2
	v_rcp_f32_e32 v5, v4
	v_pk_add_f32 v[16:17], v[16:17], 1.0 op_sel_hi:[1,0]
	v_cvt_f32_f16_sdwa v21, v79 dst_sel:DWORD dst_unused:UNUSED_PAD src0_sel:WORD_1
	v_cvt_f32_f16_e32 v20, v79
	v_fma_f32 v6, -v4, v5, 1.0
	v_fmac_f32_e32 v5, v6, v5
	v_div_scale_f32 v6, vcc, v2, v3, v2
	v_mul_f32_e32 v7, v6, v5
	v_fma_f32 v8, -v4, v7, v6
	v_fmac_f32_e32 v7, v8, v5
	v_fma_f32 v4, -v4, v7, v6
	v_div_fmas_f32 v4, v4, v5, v7
	v_div_fixup_f32 v2, v4, v3, v2
	v_mov_b32_e32 v3, s13
	v_mov_b32_e32 v4, s12
	v_cndmask_b32_e64 v3, v3, v4, s[8:9]
	v_add_f32_e32 v2, v3, v2
	v_mul_f32_e32 v3, 0x4b800000, v2
	v_cmp_gt_f32_e32 vcc, s7, v2
	v_cndmask_b32_e32 v2, v2, v3, vcc
	v_rsq_f32_e32 v2, v2
	s_waitcnt vmcnt(0)
	v_cvt_f32_f16_sdwa v23, v74 dst_sel:DWORD dst_unused:UNUSED_PAD src0_sel:WORD_1
	v_cvt_f32_f16_e32 v22, v74
	v_mul_f32_e32 v3, 0x45800000, v2
	v_cndmask_b32_e32 v2, v2, v3, vcc
	v_mov_b32_e32 v3, v2
	;;#ASMSTART
	v_pk_mul_f32 v[4:5], v[48:49], v[2:3]
	;;#ASMEND
	;;#ASMSTART
	v_pk_mul_f32 v[6:7], v[34:35], v[2:3]
	;;#ASMEND
	;; [unrolled: 3-line block ×9, first 2 shown]
	v_cvt_f32_f16_sdwa v5, v77 dst_sel:DWORD dst_unused:UNUSED_PAD src0_sel:WORD_1
	v_cvt_f32_f16_e32 v4, v77
	v_cvt_f32_f16_sdwa v17, v78 dst_sel:DWORD dst_unused:UNUSED_PAD src0_sel:WORD_1
	v_cvt_f32_f16_e32 v16, v78
	v_cvt_f32_f16_sdwa v25, v75 dst_sel:DWORD dst_unused:UNUSED_PAD src0_sel:WORD_1
	v_pk_add_f32 v[4:5], v[4:5], 1.0 op_sel_hi:[1,0]
	;;#ASMSTART
	v_pk_mul_f32 v[34:35], v[6:7], v[4:5]
	;;#ASMEND
	v_pk_add_f32 v[4:5], v[16:17], 1.0 op_sel_hi:[1,0]
	v_pk_add_f32 v[6:7], v[20:21], 1.0 op_sel_hi:[1,0]
	v_cvt_f32_f16_sdwa v17, v72 dst_sel:DWORD dst_unused:UNUSED_PAD src0_sel:WORD_1
	v_cvt_f32_f16_e32 v16, v72
	v_cvt_f32_f16_sdwa v21, v73 dst_sel:DWORD dst_unused:UNUSED_PAD src0_sel:WORD_1
	v_cvt_f32_f16_e32 v20, v73
	v_cvt_f32_f16_e32 v24, v75
	v_pk_add_f32 v[16:17], v[16:17], 1.0 op_sel_hi:[1,0]
	v_pk_add_f32 v[22:23], v[22:23], 1.0 op_sel_hi:[1,0]
	;; [unrolled: 1-line block ×4, first 2 shown]
	;;#ASMSTART
	v_pk_mul_f32 v[54:55], v[8:9], v[4:5]
	;;#ASMEND
	;;#ASMSTART
	v_pk_mul_f32 v[24:25], v[10:11], v[6:7]
	;;#ASMEND
	;; [unrolled: 3-line block ×6, first 2 shown]
	s_or_b64 exec, exec, s[22:23]
	s_mov_b64 s[8:9], -1
	s_and_b64 vcc, exec, s[10:11]
	s_cbranch_vccz .LBB769_15
.LBB769_19:
	s_and_saveexec_b64 s[8:9], s[0:1]
	s_cbranch_execz .LBB769_21
; %bb.20:
	v_cvt_f16_f32_e32 v2, v54
	v_cvt_f16_f32_e32 v3, v24
	;; [unrolled: 1-line block ×4, first 2 shown]
	s_mul_hi_i32 s11, s34, s6
	s_mul_i32 s10, s34, s6
	v_pack_b32_f16 v5, v3, v4
	v_pack_b32_f16 v4, v2, v6
	v_cvt_f16_f32_e32 v2, v34
	v_cvt_f16_f32_e32 v3, v35
	;; [unrolled: 1-line block ×3, first 2 shown]
	s_lshl_b64 s[10:11], s[10:11], 1
	s_add_u32 s28, s38, s10
	v_pack_b32_f16 v3, v2, v3
	v_cvt_f16_f32_e32 v2, v48
	s_addc_u32 s7, s39, s11
	s_and_b32 s29, s7, 0xffff
	s_mov_b32 s31, 0x20000
	v_pack_b32_f16 v2, v2, v6
	v_lshlrev_b32_e32 v6, 5, v0
	buffer_store_dwordx4 v[2:5], v6, s[28:31], 0 offen
	v_cvt_f16_f32_e32 v7, v15
	v_cvt_f16_f32_e32 v2, v14
	;; [unrolled: 1-line block ×4, first 2 shown]
	;;#ASMSTART
	s_nop 0
	;;#ASMEND
	v_pack_b32_f16 v5, v3, v4
	v_pack_b32_f16 v4, v2, v7
	v_cvt_f16_f32_e32 v2, v18
	v_cvt_f16_f32_e32 v3, v19
	v_cvt_f16_f32_e32 v7, v65
	v_pack_b32_f16 v3, v2, v3
	v_cvt_f16_f32_e32 v2, v64
	v_pack_b32_f16 v2, v2, v7
	buffer_store_dwordx4 v[2:5], v6, s[28:31], 16 offen
	;;#ASMSTART
	s_nop 0
	;;#ASMEND
.LBB769_21:
	s_or_b64 exec, exec, s[8:9]
	s_cbranch_execnz .LBB769_16
.LBB769_22:
	v_mov_b32_e32 v2, 0
	s_and_saveexec_b64 s[8:9], s[0:1]
	s_cbranch_execz .LBB769_24
; %bb.23:
	v_and_b32_e32 v2, 0x7fffffff, v48
	v_and_b32_e32 v3, 0x7fffffff, v49
	v_mov_b32_e32 v4, 0x2edbe6ff
	;;#ASMSTART
	v_max3_f32 v2, v4, v2, v3

	;;#ASMEND
	v_and_b32_e32 v3, 0x7fffffff, v34
	v_and_b32_e32 v4, 0x7fffffff, v35
	;;#ASMSTART
	v_max3_f32 v2, v2, v3, v4

	;;#ASMEND
	v_and_b32_e32 v3, 0x7fffffff, v54
	v_and_b32_e32 v4, 0x7fffffff, v55
	;;#ASMSTART
	v_max3_f32 v2, v2, v3, v4

	;;#ASMEND
	v_and_b32_e32 v3, 0x7fffffff, v24
	v_and_b32_e32 v4, 0x7fffffff, v25
	;;#ASMSTART
	v_max3_f32 v2, v2, v3, v4

	;;#ASMEND
	v_and_b32_e32 v3, 0x7fffffff, v64
	v_and_b32_e32 v4, 0x7fffffff, v65
	;;#ASMSTART
	v_max3_f32 v2, v2, v3, v4

	;;#ASMEND
	v_and_b32_e32 v3, 0x7fffffff, v18
	v_and_b32_e32 v4, 0x7fffffff, v19
	;;#ASMSTART
	v_max3_f32 v2, v2, v3, v4

	;;#ASMEND
	v_and_b32_e32 v3, 0x7fffffff, v14
	v_and_b32_e32 v4, 0x7fffffff, v15
	;;#ASMSTART
	v_max3_f32 v2, v2, v3, v4

	;;#ASMEND
	v_and_b32_e32 v3, 0x7fffffff, v88
	v_and_b32_e32 v4, 0x7fffffff, v89
	;;#ASMSTART
	v_max3_f32 v2, v2, v3, v4

	;;#ASMEND
.LBB769_24:
	s_or_b64 exec, exec, s[8:9]
	;;#ASMSTART
	v_max_f32 v3, v2, v2 quad_perm:[1,0,3,2] row_mask:0xf bank_mask:0xf bound_ctrl:1
	;;#ASMEND
	;;#ASMSTART
	v_max_f32 v2, v3, v3 quad_perm:[2,3,0,1] row_mask:0xf bank_mask:0xf bound_ctrl:1
	;;#ASMEND
	;;#ASMSTART
	v_max_f32 v3, v2, v2 row_half_mirror row_mask:0xf bank_mask:0xf bound_ctrl:1
	;;#ASMEND
	v_mul_f32_e32 v2, 0x3b124925, v3
	v_and_b32_e32 v3, 7, v0
	v_cmp_eq_u32_e32 vcc, 0, v3
	v_cmp_gt_i32_e64 s[8:9], s15, v1
	s_and_b64 s[10:11], vcc, s[8:9]
	s_and_saveexec_b64 s[8:9], s[10:11]
	s_cbranch_execz .LBB769_26
; %bb.25:
	s_load_dwordx2 s[10:11], s[4:5], 0x8
	s_mul_hi_i32 s23, s25, s6
	s_mul_i32 s22, s25, s6
	v_lshrrev_b32_e32 v3, 3, v0
	s_lshl_b64 s[22:23], s[22:23], 2
	v_mad_i64_i32 v[4:5], s[26:27], s26, v3, 0
	s_waitcnt lgkmcnt(0)
	s_add_u32 s7, s10, s22
	s_addc_u32 s10, s11, s23
	v_lshlrev_b64 v[4:5], 2, v[4:5]
	v_mov_b32_e32 v3, s10
	v_add_co_u32_e32 v4, vcc, s7, v4
	v_addc_co_u32_e32 v5, vcc, v3, v5, vcc
	global_store_dword v[4:5], v2, off
.LBB769_26:
	s_or_b64 exec, exec, s[8:9]
	;;#ASMSTART
	v_rcp_f32 v2, v2
	;;#ASMEND
	s_and_saveexec_b64 s[22:23], s[0:1]
	s_cbranch_execz .LBB769_28
; %bb.27:
	v_mov_b32_e32 v3, v2
	;;#ASMSTART
	v_pk_mul_f32 v[4:5], v[48:49], v[2:3]
	;;#ASMEND
	v_mov_b32_e32 v10, 0xc3e00000
	v_mov_b32_e32 v11, 0x43e00000
	;;#ASMSTART
	v_med3_f32 v4, v4, v10, v11
v_med3_f32 v5, v5, v10, v11
v_cvt_pk_fp8_f32 v6, v4, v5
	;;#ASMEND
	;;#ASMSTART
	v_pk_mul_f32 v[4:5], v[34:35], v[2:3]
	;;#ASMEND
	;;#ASMSTART
	v_med3_f32 v4, v4, v10, v11
v_med3_f32 v5, v5, v10, v11
v_cvt_pk_fp8_f32 v7, v4, v5
	;;#ASMEND
	;;#ASMSTART
	v_pk_mul_f32 v[4:5], v[54:55], v[2:3]
	;;#ASMEND
	;; [unrolled: 8-line block ×3, first 2 shown]
	;;#ASMSTART
	v_med3_f32 v4, v4, v10, v11
v_med3_f32 v5, v5, v10, v11
v_cvt_pk_fp8_f32 v9, v4, v5
	;;#ASMEND
	s_mov_b32 s0, 0x5040100
	v_perm_b32 v4, v7, v6, s0
	s_mov_b32 s0, 0x1060504
	v_perm_b32 v4, v4, v7, s0
	s_load_dwordx2 s[0:1], s[4:5], 0x0
	s_mov_b32 s7, 0x1000504
	;;#ASMSTART
	v_pk_mul_f32 v[6:7], v[64:65], v[2:3]
	;;#ASMEND
	v_perm_b32 v5, v8, v9, s7
	s_mul_i32 s8, s24, s6
	;;#ASMSTART
	v_med3_f32 v6, v6, v10, v11
v_med3_f32 v7, v7, v10, v11
v_cvt_pk_fp8_f32 v8, v6, v7
	;;#ASMEND
	s_mul_hi_i32 s9, s24, s6
	s_waitcnt lgkmcnt(0)
	s_add_u32 s8, s0, s8
	;;#ASMSTART
	v_pk_mul_f32 v[6:7], v[18:19], v[2:3]
	;;#ASMEND
	s_addc_u32 s0, s1, s9
	s_add_i32 s1, s15, 3
	;;#ASMSTART
	v_med3_f32 v6, v6, v10, v11
v_med3_f32 v7, v7, v10, v11
v_cvt_pk_fp8_f32 v9, v6, v7
	;;#ASMEND
	s_ashr_i32 s9, s1, 31
	v_perm_b32 v6, v8, v9, s7
	;;#ASMSTART
	v_pk_mul_f32 v[8:9], v[14:15], v[2:3]
	;;#ASMEND
	v_mov_b32_e32 v7, v9
	s_lshr_b32 s9, s9, 30
	;;#ASMSTART
	v_med3_f32 v8, v8, v10, v11
v_med3_f32 v7, v7, v10, v11
v_cvt_pk_fp8_f32 v9, v8, v7
	;;#ASMEND
	;;#ASMSTART
	v_pk_mul_f32 v[2:3], v[88:89], v[2:3]
	;;#ASMEND
	s_add_i32 s1, s1, s9
	;;#ASMSTART
	v_med3_f32 v2, v2, v10, v11
v_med3_f32 v3, v3, v10, v11
v_cvt_pk_fp8_f32 v7, v2, v3
	;;#ASMEND
	s_and_b32 s10, s1, -4
	s_and_b32 s9, s0, 0xffff
	s_mov_b32 s11, 0x20000
	v_perm_b32 v7, v9, v7, s7
	buffer_store_dwordx4 v[4:7], v1, s[8:11], 0 offen
	;;#ASMSTART
	s_nop 0
	;;#ASMEND
.LBB769_28:
	s_or_b64 exec, exec, s[22:23]
	s_cmp_lt_i32 s16, 1
	s_cbranch_scc1 .LBB769_17
.LBB769_29:
	s_load_dword s0, s[4:5], 0x94
	s_waitcnt lgkmcnt(0)
	s_cmp_lg_u32 s0, 1
	s_cbranch_scc1 .LBB769_17
; %bb.30:
	s_lshl_b32 s0, s16, 1
	s_add_i32 s0, s0, 2
	v_cmp_gt_u32_e32 vcc, s16, v1
	s_and_b32 s22, s0, -4
	v_mov_b32_e32 v18, 0
	v_lshlrev_b32_e32 v1, 5, v0
	v_mov_b32_e32 v14, 0
	v_mov_b32_e32 v15, 0
	;; [unrolled: 1-line block ×16, first 2 shown]
	s_barrier
	s_and_saveexec_b64 s[0:1], vcc
	s_cbranch_execz .LBB769_32
; %bb.31:
	s_mul_hi_i32 s5, s18, s6
	s_mul_i32 s4, s18, s6
	s_and_b32 s21, s21, 0xffff
	s_lshl_b64 s[4:5], s[4:5], 1
	s_add_u32 s8, s36, s4
	s_mov_b32 s23, 0x20000
	s_addc_u32 s4, s37, s5
	s_and_b32 s9, s4, 0xffff
	s_mov_b32 s10, s22
	s_mov_b32 s11, s23
	buffer_load_dwordx4 v[14:17], v1, s[8:11], 0 offen
	buffer_load_dwordx4 v[10:13], v1, s[8:11], 16 offen
	;; [unrolled: 1-line block ×4, first 2 shown]
.LBB769_32:
	s_or_b64 exec, exec, s[0:1]
	v_mov_b32_e32 v19, 0
	v_mov_b32_e32 v32, 0
	;; [unrolled: 1-line block ×15, first 2 shown]
	s_and_saveexec_b64 s[0:1], vcc
	s_cbranch_execz .LBB769_34
; %bb.33:
	s_waitcnt vmcnt(3)
	v_cvt_f32_f16_sdwa v19, v14 dst_sel:DWORD dst_unused:UNUSED_PAD src0_sel:WORD_1
	v_cvt_f32_f16_e32 v18, v14
	v_cvt_f32_f16_sdwa v33, v15 dst_sel:DWORD dst_unused:UNUSED_PAD src0_sel:WORD_1
	v_cvt_f32_f16_e32 v32, v15
	;; [unrolled: 2-line block ×4, first 2 shown]
	s_waitcnt vmcnt(2)
	v_cvt_f32_f16_sdwa v27, v10 dst_sel:DWORD dst_unused:UNUSED_PAD src0_sel:WORD_1
	v_cvt_f32_f16_e32 v26, v10
	v_cvt_f32_f16_sdwa v25, v11 dst_sel:DWORD dst_unused:UNUSED_PAD src0_sel:WORD_1
	v_cvt_f32_f16_e32 v24, v11
	;; [unrolled: 2-line block ×4, first 2 shown]
.LBB769_34:
	s_or_b64 exec, exec, s[0:1]
	s_waitcnt vmcnt(2)
	v_mul_f32_e32 v10, v19, v19
	v_fmac_f32_e32 v10, v18, v18
	v_fmac_f32_e32 v10, v32, v32
	;; [unrolled: 1-line block ×15, first 2 shown]
	s_nop 1
	v_mov_b32_dpp v11, v10 quad_perm:[1,0,3,2] row_mask:0xf bank_mask:0xf
	v_add_f32_e32 v10, v10, v11
	s_nop 1
	v_mov_b32_dpp v11, v10 quad_perm:[2,3,0,1] row_mask:0xf bank_mask:0xf
	v_add_f32_e32 v10, v10, v11
	s_nop 1
	v_mov_b32_dpp v11, v10 row_half_mirror row_mask:0xf bank_mask:0xf
	v_add_f32_e32 v10, v10, v11
	s_nop 1
	v_mov_b32_dpp v11, v10 row_mirror row_mask:0xf bank_mask:0xf
	v_add_f32_e32 v10, v10, v11
	s_nop 1
	v_mov_b32_dpp v11, v10 row_bcast:15 row_mask:0xf bank_mask:0xf
	v_add_f32_e32 v10, v10, v11
	s_nop 1
	v_mov_b32_dpp v11, v10 row_bcast:31 row_mask:0xf bank_mask:0xf
	s_and_saveexec_b64 s[0:1], s[2:3]
	s_cbranch_execz .LBB769_36
; %bb.35:
	v_lshrrev_b32_e32 v0, 4, v0
	v_add_f32_e32 v10, v10, v11
	v_and_b32_e32 v0, 60, v0
	ds_write_b32 v0, v10
.LBB769_36:
	s_or_b64 exec, exec, s[0:1]
	s_waitcnt lgkmcnt(0)
	s_barrier
	ds_read_b32 v0, v36
	s_waitcnt lgkmcnt(0)
	s_nop 0
	v_mov_b32_dpp v10, v0 quad_perm:[1,0,3,2] row_mask:0xf bank_mask:0xf
	v_add_f32_e32 v0, v0, v10
	s_nop 1
	v_mov_b32_dpp v10, v0 quad_perm:[2,3,0,1] row_mask:0xf bank_mask:0xf
	s_and_saveexec_b64 s[0:1], vcc
	s_cbranch_execz .LBB769_17
; %bb.37:
	v_cvt_f32_u32_e32 v11, s16
	v_add_f32_e32 v0, v0, v10
	s_mov_b32 s23, 0x20000
	v_div_scale_f32 v10, s[0:1], v11, v11, v0
	v_rcp_f32_e32 v12, v10
	v_div_scale_f32 v13, vcc, v0, v11, v0
	s_mov_b32 s0, 0x800000
	v_fma_f32 v14, -v10, v12, 1.0
	v_fmac_f32_e32 v12, v14, v12
	v_mul_f32_e32 v14, v13, v12
	v_fma_f32 v15, -v10, v14, v13
	v_fmac_f32_e32 v14, v15, v12
	v_fma_f32 v10, -v10, v14, v13
	v_div_fmas_f32 v10, v10, v12, v14
	v_div_fixup_f32 v0, v10, v11, v0
	v_add_f32_e32 v0, s13, v0
	v_mul_f32_e32 v10, 0x4b800000, v0
	v_cmp_gt_f32_e32 vcc, s0, v0
	v_cndmask_b32_e32 v0, v0, v10, vcc
	v_rsq_f32_e32 v0, v0
	s_mul_hi_i32 s1, s34, s6
	s_mul_i32 s0, s34, s6
	s_lshl_b64 s[0:1], s[0:1], 1
	v_mul_f32_e32 v10, 0x45800000, v0
	v_cndmask_b32_e32 v10, v0, v10, vcc
	v_mov_b32_e32 v11, v10
	;;#ASMSTART
	v_pk_mul_f32 v[12:13], v[18:19], v[10:11]
	;;#ASMEND
	;;#ASMSTART
	v_pk_mul_f32 v[14:15], v[32:33], v[10:11]
	;;#ASMEND
	;; [unrolled: 3-line block ×4, first 2 shown]
	s_waitcnt vmcnt(1)
	v_cvt_f32_f16_sdwa v29, v6 dst_sel:DWORD dst_unused:UNUSED_PAD src0_sel:WORD_1
	v_cvt_f32_f16_e32 v28, v6
	v_cvt_f32_f16_sdwa v31, v7 dst_sel:DWORD dst_unused:UNUSED_PAD src0_sel:WORD_1
	v_cvt_f32_f16_e32 v30, v7
	;;#ASMSTART
	v_pk_mul_f32 v[26:27], v[26:27], v[10:11]
	;;#ASMEND
	;;#ASMSTART
	v_pk_mul_f32 v[24:25], v[24:25], v[10:11]
	;;#ASMEND
	;; [unrolled: 3-line block ×4, first 2 shown]
	v_cvt_f32_f16_sdwa v21, v8 dst_sel:DWORD dst_unused:UNUSED_PAD src0_sel:WORD_1
	v_cvt_f32_f16_e32 v20, v8
	v_pk_add_f32 v[10:11], v[28:29], 1.0 op_sel_hi:[1,0]
	;;#ASMSTART
	v_pk_mul_f32 v[10:11], v[12:13], v[10:11]
	;;#ASMEND
	v_pk_add_f32 v[12:13], v[30:31], 1.0 op_sel_hi:[1,0]
	v_cvt_f32_f16_sdwa v29, v9 dst_sel:DWORD dst_unused:UNUSED_PAD src0_sel:WORD_1
	v_cvt_f32_f16_e32 v28, v9
	;;#ASMSTART
	v_pk_mul_f32 v[8:9], v[14:15], v[12:13]
	;;#ASMEND
	v_pk_add_f32 v[12:13], v[20:21], 1.0 op_sel_hi:[1,0]
	;;#ASMSTART
	v_pk_mul_f32 v[12:13], v[16:17], v[12:13]
	;;#ASMEND
	s_waitcnt vmcnt(0)
	v_cvt_f32_f16_sdwa v17, v2 dst_sel:DWORD dst_unused:UNUSED_PAD src0_sel:WORD_1
	v_cvt_f32_f16_e32 v16, v2
	v_cvt_f32_f16_sdwa v21, v3 dst_sel:DWORD dst_unused:UNUSED_PAD src0_sel:WORD_1
	v_cvt_f32_f16_e32 v20, v3
	v_pk_add_f32 v[14:15], v[28:29], 1.0 op_sel_hi:[1,0]
	;;#ASMSTART
	v_pk_mul_f32 v[2:3], v[18:19], v[14:15]
	;;#ASMEND
	v_cvt_f32_f16_sdwa v19, v4 dst_sel:DWORD dst_unused:UNUSED_PAD src0_sel:WORD_1
	v_cvt_f32_f16_e32 v18, v4
	v_pk_add_f32 v[14:15], v[16:17], 1.0 op_sel_hi:[1,0]
	v_pk_add_f32 v[16:17], v[20:21], 1.0 op_sel_hi:[1,0]
	v_cvt_f32_f16_sdwa v21, v5 dst_sel:DWORD dst_unused:UNUSED_PAD src0_sel:WORD_1
	v_cvt_f32_f16_e32 v20, v5
	v_pk_add_f32 v[4:5], v[18:19], 1.0 op_sel_hi:[1,0]
	;;#ASMSTART
	v_pk_mul_f32 v[14:15], v[26:27], v[14:15]
	;;#ASMEND
	;;#ASMSTART
	v_pk_mul_f32 v[16:17], v[24:25], v[16:17]
	;;#ASMEND
	;; [unrolled: 3-line block ×3, first 2 shown]
	v_pk_add_f32 v[4:5], v[20:21], 1.0 op_sel_hi:[1,0]
	;;#ASMSTART
	v_pk_mul_f32 v[6:7], v[6:7], v[4:5]
	;;#ASMEND
	v_cvt_f16_f32_e32 v0, v10
	v_cvt_f16_f32_e32 v4, v11
	;; [unrolled: 1-line block ×8, first 2 shown]
	s_add_u32 s20, s38, s0
	s_addc_u32 s0, s39, s1
	s_and_b32 s21, s0, 0xffff
	v_pack_b32_f16 v2, v0, v4
	v_pack_b32_f16 v3, v5, v8
	;; [unrolled: 1-line block ×4, first 2 shown]
	buffer_store_dwordx4 v[2:5], v1, s[20:23], 0 offen
	v_cvt_f16_f32_e32 v0, v14
	v_cvt_f16_f32_e32 v2, v15
	;; [unrolled: 1-line block ×8, first 2 shown]
	v_pack_b32_f16 v2, v0, v2
	v_pack_b32_f16 v3, v3, v4
	;; [unrolled: 1-line block ×4, first 2 shown]
	;;#ASMSTART
	s_nop 0
	;;#ASMEND
	buffer_store_dwordx4 v[2:5], v1, s[20:23], 16 offen
	;;#ASMSTART
	s_nop 0
	;;#ASMEND
	s_endpgm
	.section	.rodata,"a",@progbits
	.p2align	6, 0x0
	.amdhsa_kernel _ZN5aiter35fused_qk_rmsnorm_group_quant_kernelIDF16_DB8_Li256ELi16ELi8ELb1ELb0ELb1ELb0ELb0ELb0EEEvPT0_PvPT_S6_S6_PKS5_S8_S8_S8_S8_ffiiiiiiiiiiiii
		.amdhsa_group_segment_fixed_size 32
		.amdhsa_private_segment_fixed_size 0
		.amdhsa_kernarg_size 400
		.amdhsa_user_sgpr_count 6
		.amdhsa_user_sgpr_private_segment_buffer 1
		.amdhsa_user_sgpr_dispatch_ptr 0
		.amdhsa_user_sgpr_queue_ptr 0
		.amdhsa_user_sgpr_kernarg_segment_ptr 1
		.amdhsa_user_sgpr_dispatch_id 0
		.amdhsa_user_sgpr_flat_scratch_init 0
		.amdhsa_user_sgpr_kernarg_preload_length 0
		.amdhsa_user_sgpr_kernarg_preload_offset 0
		.amdhsa_user_sgpr_private_segment_size 0
		.amdhsa_uses_dynamic_stack 0
		.amdhsa_system_sgpr_private_segment_wavefront_offset 0
		.amdhsa_system_sgpr_workgroup_id_x 1
		.amdhsa_system_sgpr_workgroup_id_y 1
		.amdhsa_system_sgpr_workgroup_id_z 0
		.amdhsa_system_sgpr_workgroup_info 0
		.amdhsa_system_vgpr_workitem_id 0
		.amdhsa_next_free_vgpr 90
		.amdhsa_next_free_sgpr 44
		.amdhsa_accum_offset 92
		.amdhsa_reserve_vcc 1
		.amdhsa_reserve_flat_scratch 0
		.amdhsa_float_round_mode_32 0
		.amdhsa_float_round_mode_16_64 0
		.amdhsa_float_denorm_mode_32 3
		.amdhsa_float_denorm_mode_16_64 3
		.amdhsa_dx10_clamp 1
		.amdhsa_ieee_mode 1
		.amdhsa_fp16_overflow 0
		.amdhsa_tg_split 0
		.amdhsa_exception_fp_ieee_invalid_op 0
		.amdhsa_exception_fp_denorm_src 0
		.amdhsa_exception_fp_ieee_div_zero 0
		.amdhsa_exception_fp_ieee_overflow 0
		.amdhsa_exception_fp_ieee_underflow 0
		.amdhsa_exception_fp_ieee_inexact 0
		.amdhsa_exception_int_div_zero 0
	.end_amdhsa_kernel
	.section	.text._ZN5aiter35fused_qk_rmsnorm_group_quant_kernelIDF16_DB8_Li256ELi16ELi8ELb1ELb0ELb1ELb0ELb0ELb0EEEvPT0_PvPT_S6_S6_PKS5_S8_S8_S8_S8_ffiiiiiiiiiiiii,"axG",@progbits,_ZN5aiter35fused_qk_rmsnorm_group_quant_kernelIDF16_DB8_Li256ELi16ELi8ELb1ELb0ELb1ELb0ELb0ELb0EEEvPT0_PvPT_S6_S6_PKS5_S8_S8_S8_S8_ffiiiiiiiiiiiii,comdat
.Lfunc_end769:
	.size	_ZN5aiter35fused_qk_rmsnorm_group_quant_kernelIDF16_DB8_Li256ELi16ELi8ELb1ELb0ELb1ELb0ELb0ELb0EEEvPT0_PvPT_S6_S6_PKS5_S8_S8_S8_S8_ffiiiiiiiiiiiii, .Lfunc_end769-_ZN5aiter35fused_qk_rmsnorm_group_quant_kernelIDF16_DB8_Li256ELi16ELi8ELb1ELb0ELb1ELb0ELb0ELb0EEEvPT0_PvPT_S6_S6_PKS5_S8_S8_S8_S8_ffiiiiiiiiiiiii
                                        ; -- End function
	.section	.AMDGPU.csdata,"",@progbits
; Kernel info:
; codeLenInByte = 4168
; NumSgprs: 48
; NumVgprs: 90
; NumAgprs: 0
; TotalNumVgprs: 90
; ScratchSize: 0
; MemoryBound: 0
; FloatMode: 240
; IeeeMode: 1
; LDSByteSize: 32 bytes/workgroup (compile time only)
; SGPRBlocks: 5
; VGPRBlocks: 11
; NumSGPRsForWavesPerEU: 48
; NumVGPRsForWavesPerEU: 90
; AccumOffset: 92
; Occupancy: 5
; WaveLimiterHint : 0
; COMPUTE_PGM_RSRC2:SCRATCH_EN: 0
; COMPUTE_PGM_RSRC2:USER_SGPR: 6
; COMPUTE_PGM_RSRC2:TRAP_HANDLER: 0
; COMPUTE_PGM_RSRC2:TGID_X_EN: 1
; COMPUTE_PGM_RSRC2:TGID_Y_EN: 1
; COMPUTE_PGM_RSRC2:TGID_Z_EN: 0
; COMPUTE_PGM_RSRC2:TIDIG_COMP_CNT: 0
; COMPUTE_PGM_RSRC3_GFX90A:ACCUM_OFFSET: 22
; COMPUTE_PGM_RSRC3_GFX90A:TG_SPLIT: 0
	.section	.text._ZN5aiter35fused_qk_rmsnorm_group_quant_kernelItDB8_Li256ELi16ELi8ELb1ELb0ELb1ELb0ELb0ELb0EEEvPT0_PvPT_S6_S6_PKS5_S8_S8_S8_S8_ffiiiiiiiiiiiii,"axG",@progbits,_ZN5aiter35fused_qk_rmsnorm_group_quant_kernelItDB8_Li256ELi16ELi8ELb1ELb0ELb1ELb0ELb0ELb0EEEvPT0_PvPT_S6_S6_PKS5_S8_S8_S8_S8_ffiiiiiiiiiiiii,comdat
	.protected	_ZN5aiter35fused_qk_rmsnorm_group_quant_kernelItDB8_Li256ELi16ELi8ELb1ELb0ELb1ELb0ELb0ELb0EEEvPT0_PvPT_S6_S6_PKS5_S8_S8_S8_S8_ffiiiiiiiiiiiii ; -- Begin function _ZN5aiter35fused_qk_rmsnorm_group_quant_kernelItDB8_Li256ELi16ELi8ELb1ELb0ELb1ELb0ELb0ELb0EEEvPT0_PvPT_S6_S6_PKS5_S8_S8_S8_S8_ffiiiiiiiiiiiii
	.globl	_ZN5aiter35fused_qk_rmsnorm_group_quant_kernelItDB8_Li256ELi16ELi8ELb1ELb0ELb1ELb0ELb0ELb0EEEvPT0_PvPT_S6_S6_PKS5_S8_S8_S8_S8_ffiiiiiiiiiiiii
	.p2align	8
	.type	_ZN5aiter35fused_qk_rmsnorm_group_quant_kernelItDB8_Li256ELi16ELi8ELb1ELb0ELb1ELb0ELb0ELb0EEEvPT0_PvPT_S6_S6_PKS5_S8_S8_S8_S8_ffiiiiiiiiiiiii,@function
_ZN5aiter35fused_qk_rmsnorm_group_quant_kernelItDB8_Li256ELi16ELi8ELb1ELb0ELb1ELb0ELb0ELb0EEEvPT0_PvPT_S6_S6_PKS5_S8_S8_S8_S8_ffiiiiiiiiiiiii: ; @_ZN5aiter35fused_qk_rmsnorm_group_quant_kernelItDB8_Li256ELi16ELi8ELb1ELb0ELb1ELb0ELb0ELb0EEEvPT0_PvPT_S6_S6_PKS5_S8_S8_S8_S8_ffiiiiiiiiiiiii
; %bb.0:
	s_load_dwordx8 s[12:19], s[4:5], 0x50
	s_waitcnt lgkmcnt(0)
	s_cmp_ge_i32 s6, s14
	s_cbranch_scc1 .LBB770_17
; %bb.1:
	s_cmp_lg_u32 s7, 0
	s_cselect_b64 s[10:11], -1, 0
	s_cmp_eq_u32 s7, 0
	s_cselect_b64 s[8:9], -1, 0
	s_and_b64 s[0:1], s[8:9], exec
	s_load_dwordx2 s[20:21], s[4:5], 0x48
	s_load_dwordx2 s[36:37], s[4:5], 0x30
	s_load_dwordx4 s[24:27], s[4:5], 0x70
	s_cselect_b32 s7, s15, s16
	s_add_i32 s0, s7, 1
	s_lshr_b32 s1, s0, 31
	s_add_i32 s0, s0, s1
	s_lshl_b32 s0, s0, 1
	v_lshlrev_b32_e32 v1, 4, v0
	s_and_b32 s30, s0, -4
	v_cmp_gt_i32_e64 s[0:1], s7, v1
	v_mov_b32_e32 v74, 0
	v_mov_b32_e32 v75, 0
	;; [unrolled: 1-line block ×16, first 2 shown]
	s_and_saveexec_b64 s[2:3], s[0:1]
	s_cbranch_execz .LBB770_3
; %bb.2:
	s_load_dwordx2 s[22:23], s[4:5], 0x28
	s_load_dwordx2 s[28:29], s[4:5], 0x40
	s_and_b64 s[34:35], s[8:9], exec
	s_cselect_b32 s14, s17, s18
	s_mov_b32 s31, 0x20000
	s_waitcnt lgkmcnt(0)
	s_cselect_b32 s17, s23, s37
	s_cselect_b32 s27, s22, s36
	s_mul_hi_i32 s23, s14, s6
	s_mul_i32 s22, s14, s6
	s_lshl_b64 s[22:23], s[22:23], 1
	s_add_u32 s40, s27, s22
	s_addc_u32 s14, s17, s23
	s_and_b64 s[22:23], s[8:9], exec
	s_cselect_b32 s28, s28, s20
	s_cselect_b32 s17, s29, s21
	s_and_b32 s41, s14, 0xffff
	s_mov_b32 s42, s30
	s_mov_b32 s43, s31
	v_lshlrev_b32_e32 v2, 5, v0
	s_and_b32 s29, s17, 0xffff
	buffer_load_dwordx4 v[78:81], v2, s[40:43], 0 offen
	buffer_load_dwordx4 v[82:85], v2, s[40:43], 16 offen
	;; [unrolled: 1-line block ×4, first 2 shown]
.LBB770_3:
	s_or_b64 exec, exec, s[2:3]
	s_load_dwordx2 s[34:35], s[4:5], 0x80
	s_and_b64 vcc, exec, s[10:11]
	s_cbranch_vccz .LBB770_7
; %bb.4:
	v_mov_b32_e32 v87, 0
	v_mov_b32_e32 v86, 0
	;; [unrolled: 1-line block ×16, first 2 shown]
	s_and_saveexec_b64 s[2:3], s[0:1]
	s_cbranch_execz .LBB770_6
; %bb.5:
	s_waitcnt vmcnt(3)
	v_cvt_f32_u32_sdwa v52, v78 dst_sel:DWORD dst_unused:UNUSED_PAD src0_sel:WORD_0
	v_cvt_f32_u32_sdwa v53, v78 dst_sel:DWORD dst_unused:UNUSED_PAD src0_sel:WORD_1
	v_cvt_f32_u32_sdwa v34, v79 dst_sel:DWORD dst_unused:UNUSED_PAD src0_sel:WORD_0
	v_cvt_f32_u32_sdwa v35, v79 dst_sel:DWORD dst_unused:UNUSED_PAD src0_sel:WORD_1
	;; [unrolled: 2-line block ×4, first 2 shown]
	s_waitcnt vmcnt(2)
	v_cvt_f32_u32_sdwa v44, v82 dst_sel:DWORD dst_unused:UNUSED_PAD src0_sel:WORD_0
	v_cvt_f32_u32_sdwa v45, v82 dst_sel:DWORD dst_unused:UNUSED_PAD src0_sel:WORD_1
	v_cvt_f32_u32_sdwa v18, v83 dst_sel:DWORD dst_unused:UNUSED_PAD src0_sel:WORD_0
	v_cvt_f32_u32_sdwa v19, v83 dst_sel:DWORD dst_unused:UNUSED_PAD src0_sel:WORD_1
	;; [unrolled: 2-line block ×4, first 2 shown]
.LBB770_6:
	s_or_b64 exec, exec, s[2:3]
	s_cbranch_execz .LBB770_8
	s_branch .LBB770_11
.LBB770_7:
                                        ; implicit-def: $vgpr32_vgpr33_vgpr34_vgpr35_vgpr36_vgpr37_vgpr38_vgpr39_vgpr40_vgpr41_vgpr42_vgpr43_vgpr44_vgpr45_vgpr46_vgpr47
                                        ; implicit-def: $vgpr18_vgpr19_vgpr20_vgpr21_vgpr22_vgpr23_vgpr24_vgpr25_vgpr26_vgpr27_vgpr28_vgpr29_vgpr30_vgpr31_vgpr32_vgpr33
                                        ; implicit-def: $vgpr52_vgpr53_vgpr54_vgpr55_vgpr56_vgpr57_vgpr58_vgpr59_vgpr60_vgpr61_vgpr62_vgpr63_vgpr64_vgpr65_vgpr66_vgpr67
                                        ; implicit-def: $vgpr87
                                        ; implicit-def: $vgpr54_vgpr55_vgpr56_vgpr57_vgpr58_vgpr59_vgpr60_vgpr61_vgpr62_vgpr63_vgpr64_vgpr65_vgpr66_vgpr67_vgpr68_vgpr69
                                        ; implicit-def: $vgpr8_vgpr9_vgpr10_vgpr11_vgpr12_vgpr13_vgpr14_vgpr15_vgpr16_vgpr17_vgpr18_vgpr19_vgpr20_vgpr21_vgpr22_vgpr23
                                        ; implicit-def: $vgpr36_vgpr37_vgpr38_vgpr39_vgpr40_vgpr41_vgpr42_vgpr43_vgpr44_vgpr45_vgpr46_vgpr47_vgpr48_vgpr49_vgpr50_vgpr51
                                        ; implicit-def: $vgpr2_vgpr3_vgpr4_vgpr5_vgpr6_vgpr7_vgpr8_vgpr9_vgpr10_vgpr11_vgpr12_vgpr13_vgpr14_vgpr15_vgpr16_vgpr17
.LBB770_8:
	v_mov_b32_e32 v87, 0
	v_mov_b32_e32 v86, 0
	;; [unrolled: 1-line block ×16, first 2 shown]
	s_and_saveexec_b64 s[2:3], s[0:1]
	s_cbranch_execz .LBB770_10
; %bb.9:
	s_load_dwordx2 s[22:23], s[4:5], 0x38
	s_mul_hi_i32 s29, s19, s6
	s_mul_i32 s28, s19, s6
	s_lshl_b64 s[28:29], s[28:29], 1
	s_mov_b32 s31, 0x20000
	s_waitcnt lgkmcnt(0)
	s_add_u32 s28, s22, s28
	s_addc_u32 s14, s23, s29
	s_and_b32 s29, s14, 0xffff
	v_lshlrev_b32_e32 v38, 5, v0
	buffer_load_dwordx4 v[4:7], v38, s[28:31], 16 offen
	buffer_load_dwordx4 v[8:11], v38, s[28:31], 0 offen
	s_load_dwordx2 s[22:23], s[4:5], 0x20
	s_waitcnt vmcnt(5)
	v_cvt_f32_u32_sdwa v19, v78 dst_sel:DWORD dst_unused:UNUSED_PAD src0_sel:WORD_1
	v_cvt_f32_u32_sdwa v18, v78 dst_sel:DWORD dst_unused:UNUSED_PAD src0_sel:WORD_0
	v_cvt_f32_u32_sdwa v21, v79 dst_sel:DWORD dst_unused:UNUSED_PAD src0_sel:WORD_1
	v_cvt_f32_u32_sdwa v20, v79 dst_sel:DWORD dst_unused:UNUSED_PAD src0_sel:WORD_0
	;; [unrolled: 2-line block ×4, first 2 shown]
	s_waitcnt vmcnt(4)
	v_cvt_f32_u32_sdwa v3, v82 dst_sel:DWORD dst_unused:UNUSED_PAD src0_sel:WORD_1
	v_cvt_f32_u32_sdwa v2, v82 dst_sel:DWORD dst_unused:UNUSED_PAD src0_sel:WORD_0
	v_cvt_f32_u32_sdwa v13, v83 dst_sel:DWORD dst_unused:UNUSED_PAD src0_sel:WORD_1
	v_cvt_f32_u32_sdwa v12, v83 dst_sel:DWORD dst_unused:UNUSED_PAD src0_sel:WORD_0
	;; [unrolled: 2-line block ×3, first 2 shown]
	v_cvt_f32_u32_sdwa v16, v85 dst_sel:DWORD dst_unused:UNUSED_PAD src0_sel:WORD_0
	v_cvt_f32_u32_sdwa v17, v85 dst_sel:DWORD dst_unused:UNUSED_PAD src0_sel:WORD_1
	s_mul_hi_i32 s29, s35, s6
	s_mul_i32 s28, s35, s6
	s_lshl_b64 s[28:29], s[28:29], 1
	s_waitcnt lgkmcnt(0)
	s_add_u32 s28, s22, s28
	s_mov_b32 s14, 0x7060302
	s_addc_u32 s17, s23, s29
	s_and_b32 s29, s17, 0xffff
	s_waitcnt vmcnt(1)
	v_cvt_f32_u32_sdwa v27, v4 dst_sel:DWORD dst_unused:UNUSED_PAD src0_sel:WORD_1
	v_cvt_f32_u32_sdwa v26, v4 dst_sel:DWORD dst_unused:UNUSED_PAD src0_sel:WORD_0
	v_cvt_f32_u32_sdwa v29, v5 dst_sel:DWORD dst_unused:UNUSED_PAD src0_sel:WORD_1
	v_cvt_f32_u32_sdwa v28, v5 dst_sel:DWORD dst_unused:UNUSED_PAD src0_sel:WORD_0
	;; [unrolled: 2-line block ×3, first 2 shown]
	v_cvt_f32_u32_sdwa v32, v7 dst_sel:DWORD dst_unused:UNUSED_PAD src0_sel:WORD_0
	v_cvt_f32_u32_sdwa v33, v7 dst_sel:DWORD dst_unused:UNUSED_PAD src0_sel:WORD_1
	s_waitcnt vmcnt(0)
	v_cvt_f32_u32_sdwa v37, v8 dst_sel:DWORD dst_unused:UNUSED_PAD src0_sel:WORD_1
	v_cvt_f32_u32_sdwa v36, v8 dst_sel:DWORD dst_unused:UNUSED_PAD src0_sel:WORD_0
	v_cvt_f32_u32_sdwa v5, v10 dst_sel:DWORD dst_unused:UNUSED_PAD src0_sel:WORD_1
	v_cvt_f32_u32_sdwa v4, v10 dst_sel:DWORD dst_unused:UNUSED_PAD src0_sel:WORD_0
	;; [unrolled: 2-line block ×4, first 2 shown]
	v_pk_add_f32 v[58:59], v[22:23], v[4:5]
	v_pk_add_f32 v[24:25], v[24:25], v[6:7]
	;; [unrolled: 1-line block ×4, first 2 shown]
	v_perm_b32 v7, v25, v24, s14
	v_perm_b32 v6, v59, v58, s14
	;; [unrolled: 1-line block ×4, first 2 shown]
	v_pk_add_f32 v[86:87], v[16:17], v[32:33]
	v_pk_add_f32 v[14:15], v[14:15], v[30:31]
	;; [unrolled: 1-line block ×4, first 2 shown]
	buffer_store_dwordx4 v[4:7], v38, s[28:31], 0 offen
	;;#ASMSTART
	s_nop 0
	;;#ASMEND
	s_nop 0
	v_perm_b32 v7, v87, v86, s14
	v_perm_b32 v6, v15, v14, s14
	v_perm_b32 v5, v19, v18, s14
	v_perm_b32 v4, v45, v44, s14
	buffer_store_dwordx4 v[4:7], v38, s[28:31], 16 offen
	;;#ASMSTART
	s_nop 0
	;;#ASMEND
.LBB770_10:
	s_or_b64 exec, exec, s[2:3]
.LBB770_11:
	v_mul_f32_e32 v2, v53, v53
	v_fmac_f32_e32 v2, v52, v52
	v_fmac_f32_e32 v2, v34, v34
	;; [unrolled: 1-line block ×15, first 2 shown]
	s_nop 1
	v_mov_b32_dpp v3, v2 quad_perm:[1,0,3,2] row_mask:0xf bank_mask:0xf
	v_add_f32_e32 v2, v2, v3
	s_nop 1
	v_mov_b32_dpp v3, v2 quad_perm:[2,3,0,1] row_mask:0xf bank_mask:0xf
	v_add_f32_e32 v2, v2, v3
	s_nop 1
	v_mov_b32_dpp v3, v2 row_half_mirror row_mask:0xf bank_mask:0xf
	v_add_f32_e32 v2, v2, v3
	s_nop 1
	v_mov_b32_dpp v3, v2 row_mirror row_mask:0xf bank_mask:0xf
	v_add_f32_e32 v2, v2, v3
	s_nop 1
	v_mov_b32_dpp v3, v2 row_bcast:15 row_mask:0xf bank_mask:0xf
	v_add_f32_e32 v2, v2, v3
	v_and_b32_e32 v3, 63, v0
	v_cmp_eq_u32_e64 s[2:3], 63, v3
	s_nop 0
	v_mov_b32_dpp v3, v2 row_bcast:31 row_mask:0xf bank_mask:0xf
	s_and_saveexec_b64 s[22:23], s[2:3]
	s_cbranch_execz .LBB770_13
; %bb.12:
	v_add_f32_e32 v2, v2, v3
	v_lshrrev_b32_e32 v3, 4, v0
	v_and_b32_e32 v3, 60, v3
	ds_write_b32 v3, v2 offset:16
.LBB770_13:
	s_or_b64 exec, exec, s[22:23]
	v_and_b32_e32 v2, 3, v0
	v_lshlrev_b32_e32 v36, 2, v2
	s_waitcnt lgkmcnt(0)
	s_barrier
	ds_read_b32 v2, v36 offset:16
	s_load_dwordx2 s[38:39], s[4:5], 0x18
	s_waitcnt lgkmcnt(0)
	v_mov_b32_dpp v3, v2 quad_perm:[1,0,3,2] row_mask:0xf bank_mask:0xf
	v_add_f32_e32 v2, v2, v3
	s_nop 1
	v_mov_b32_dpp v3, v2 quad_perm:[2,3,0,1] row_mask:0xf bank_mask:0xf
	s_and_saveexec_b64 s[22:23], s[0:1]
	s_cbranch_execnz .LBB770_18
; %bb.14:
	s_or_b64 exec, exec, s[22:23]
	s_mov_b64 s[8:9], -1
	s_and_b64 vcc, exec, s[10:11]
	s_cbranch_vccnz .LBB770_19
.LBB770_15:
	s_andn2_b64 vcc, exec, s[8:9]
	s_cbranch_vccz .LBB770_22
.LBB770_16:
	s_cmp_lt_i32 s16, 1
	s_cbranch_scc0 .LBB770_29
.LBB770_17:
	s_endpgm
.LBB770_18:
	v_add_f32_e32 v2, v2, v3
	v_cvt_f32_u32_e32 v3, s7
	s_mov_b32 s7, 0x800000
	s_waitcnt vmcnt(1)
	v_cvt_f32_u32_sdwa v17, v74 dst_sel:DWORD dst_unused:UNUSED_PAD src0_sel:WORD_1
	v_cvt_f32_u32_sdwa v16, v74 dst_sel:DWORD dst_unused:UNUSED_PAD src0_sel:WORD_0
	v_div_scale_f32 v4, s[28:29], v3, v3, v2
	v_rcp_f32_e32 v5, v4
	v_pk_add_f32 v[16:17], v[16:17], 1.0 op_sel_hi:[1,0]
	v_cvt_f32_u32_sdwa v21, v77 dst_sel:DWORD dst_unused:UNUSED_PAD src0_sel:WORD_1
	v_cvt_f32_u32_sdwa v20, v77 dst_sel:DWORD dst_unused:UNUSED_PAD src0_sel:WORD_0
	v_fma_f32 v6, -v4, v5, 1.0
	v_fmac_f32_e32 v5, v6, v5
	v_div_scale_f32 v6, vcc, v2, v3, v2
	v_mul_f32_e32 v7, v6, v5
	v_fma_f32 v8, -v4, v7, v6
	v_fmac_f32_e32 v7, v8, v5
	v_fma_f32 v4, -v4, v7, v6
	v_div_fmas_f32 v4, v4, v5, v7
	v_div_fixup_f32 v2, v4, v3, v2
	v_mov_b32_e32 v3, s13
	v_mov_b32_e32 v4, s12
	v_cndmask_b32_e64 v3, v3, v4, s[8:9]
	v_add_f32_e32 v2, v3, v2
	v_mul_f32_e32 v3, 0x4b800000, v2
	v_cmp_gt_f32_e32 vcc, s7, v2
	v_cndmask_b32_e32 v2, v2, v3, vcc
	v_rsq_f32_e32 v2, v2
	s_waitcnt vmcnt(0)
	v_cvt_f32_u32_sdwa v23, v72 dst_sel:DWORD dst_unused:UNUSED_PAD src0_sel:WORD_1
	v_cvt_f32_u32_sdwa v22, v72 dst_sel:DWORD dst_unused:UNUSED_PAD src0_sel:WORD_0
	v_mul_f32_e32 v3, 0x45800000, v2
	v_cndmask_b32_e32 v2, v2, v3, vcc
	v_mov_b32_e32 v3, v2
	;;#ASMSTART
	v_pk_mul_f32 v[4:5], v[52:53], v[2:3]
	;;#ASMEND
	;;#ASMSTART
	v_pk_mul_f32 v[6:7], v[34:35], v[2:3]
	;;#ASMEND
	;; [unrolled: 3-line block ×9, first 2 shown]
	v_cvt_f32_u32_sdwa v5, v75 dst_sel:DWORD dst_unused:UNUSED_PAD src0_sel:WORD_1
	v_cvt_f32_u32_sdwa v4, v75 dst_sel:DWORD dst_unused:UNUSED_PAD src0_sel:WORD_0
	v_cvt_f32_u32_sdwa v17, v76 dst_sel:DWORD dst_unused:UNUSED_PAD src0_sel:WORD_1
	v_cvt_f32_u32_sdwa v16, v76 dst_sel:DWORD dst_unused:UNUSED_PAD src0_sel:WORD_0
	v_cvt_f32_u32_sdwa v25, v73 dst_sel:DWORD dst_unused:UNUSED_PAD src0_sel:WORD_1
	v_pk_add_f32 v[4:5], v[4:5], 1.0 op_sel_hi:[1,0]
	;;#ASMSTART
	v_pk_mul_f32 v[34:35], v[6:7], v[4:5]
	;;#ASMEND
	v_pk_add_f32 v[4:5], v[16:17], 1.0 op_sel_hi:[1,0]
	v_pk_add_f32 v[6:7], v[20:21], 1.0 op_sel_hi:[1,0]
	v_cvt_f32_u32_sdwa v17, v70 dst_sel:DWORD dst_unused:UNUSED_PAD src0_sel:WORD_1
	v_cvt_f32_u32_sdwa v16, v70 dst_sel:DWORD dst_unused:UNUSED_PAD src0_sel:WORD_0
	v_cvt_f32_u32_sdwa v21, v71 dst_sel:DWORD dst_unused:UNUSED_PAD src0_sel:WORD_1
	v_cvt_f32_u32_sdwa v20, v71 dst_sel:DWORD dst_unused:UNUSED_PAD src0_sel:WORD_0
	v_cvt_f32_u32_sdwa v24, v73 dst_sel:DWORD dst_unused:UNUSED_PAD src0_sel:WORD_0
	v_pk_add_f32 v[16:17], v[16:17], 1.0 op_sel_hi:[1,0]
	v_pk_add_f32 v[22:23], v[22:23], 1.0 op_sel_hi:[1,0]
	;; [unrolled: 1-line block ×4, first 2 shown]
	;;#ASMSTART
	v_pk_mul_f32 v[58:59], v[8:9], v[4:5]
	;;#ASMEND
	;;#ASMSTART
	v_pk_mul_f32 v[24:25], v[10:11], v[6:7]
	;;#ASMEND
	;; [unrolled: 3-line block ×6, first 2 shown]
	s_or_b64 exec, exec, s[22:23]
	s_mov_b64 s[8:9], -1
	s_and_b64 vcc, exec, s[10:11]
	s_cbranch_vccz .LBB770_15
.LBB770_19:
	s_and_saveexec_b64 s[8:9], s[0:1]
	s_cbranch_execz .LBB770_21
; %bb.20:
	s_mul_hi_i32 s11, s34, s6
	s_mul_i32 s10, s34, s6
	s_lshl_b64 s[10:11], s[10:11], 1
	s_add_u32 s28, s38, s10
	s_addc_u32 s7, s39, s11
	s_and_b32 s29, s7, 0xffff
	s_mov_b32 s7, 0x7060302
	s_mov_b32 s31, 0x20000
	v_perm_b32 v5, v25, v24, s7
	v_perm_b32 v4, v59, v58, s7
	;; [unrolled: 1-line block ×4, first 2 shown]
	v_lshlrev_b32_e32 v6, 5, v0
	buffer_store_dwordx4 v[2:5], v6, s[28:31], 0 offen
	;;#ASMSTART
	s_nop 0
	;;#ASMEND
	s_nop 0
	v_perm_b32 v5, v87, v86, s7
	v_perm_b32 v4, v15, v14, s7
	v_perm_b32 v3, v19, v18, s7
	v_perm_b32 v2, v45, v44, s7
	buffer_store_dwordx4 v[2:5], v6, s[28:31], 16 offen
	;;#ASMSTART
	s_nop 0
	;;#ASMEND
.LBB770_21:
	s_or_b64 exec, exec, s[8:9]
	s_cbranch_execnz .LBB770_16
.LBB770_22:
	v_mov_b32_e32 v2, 0
	s_and_saveexec_b64 s[8:9], s[0:1]
	s_cbranch_execz .LBB770_24
; %bb.23:
	v_and_b32_e32 v2, 0x7fffffff, v52
	v_and_b32_e32 v3, 0x7fffffff, v53
	v_mov_b32_e32 v4, 0x2edbe6ff
	;;#ASMSTART
	v_max3_f32 v2, v4, v2, v3

	;;#ASMEND
	v_and_b32_e32 v3, 0x7fffffff, v34
	v_and_b32_e32 v4, 0x7fffffff, v35
	;;#ASMSTART
	v_max3_f32 v2, v2, v3, v4

	;;#ASMEND
	v_and_b32_e32 v3, 0x7fffffff, v58
	v_and_b32_e32 v4, 0x7fffffff, v59
	;; [unrolled: 6-line block ×7, first 2 shown]
	;;#ASMSTART
	v_max3_f32 v2, v2, v3, v4

	;;#ASMEND
.LBB770_24:
	s_or_b64 exec, exec, s[8:9]
	;;#ASMSTART
	v_max_f32 v3, v2, v2 quad_perm:[1,0,3,2] row_mask:0xf bank_mask:0xf bound_ctrl:1
	;;#ASMEND
	;;#ASMSTART
	v_max_f32 v2, v3, v3 quad_perm:[2,3,0,1] row_mask:0xf bank_mask:0xf bound_ctrl:1
	;;#ASMEND
	;;#ASMSTART
	v_max_f32 v3, v2, v2 row_half_mirror row_mask:0xf bank_mask:0xf bound_ctrl:1
	;;#ASMEND
	v_mul_f32_e32 v2, 0x3b124925, v3
	v_and_b32_e32 v3, 7, v0
	v_cmp_eq_u32_e32 vcc, 0, v3
	v_cmp_gt_i32_e64 s[8:9], s15, v1
	s_and_b64 s[10:11], vcc, s[8:9]
	s_and_saveexec_b64 s[8:9], s[10:11]
	s_cbranch_execz .LBB770_26
; %bb.25:
	s_load_dwordx2 s[10:11], s[4:5], 0x8
	s_mul_hi_i32 s23, s25, s6
	s_mul_i32 s22, s25, s6
	v_lshrrev_b32_e32 v3, 3, v0
	s_lshl_b64 s[22:23], s[22:23], 2
	v_mad_i64_i32 v[4:5], s[26:27], s26, v3, 0
	s_waitcnt lgkmcnt(0)
	s_add_u32 s7, s10, s22
	s_addc_u32 s10, s11, s23
	v_lshlrev_b64 v[4:5], 2, v[4:5]
	v_mov_b32_e32 v3, s10
	v_add_co_u32_e32 v4, vcc, s7, v4
	v_addc_co_u32_e32 v5, vcc, v3, v5, vcc
	global_store_dword v[4:5], v2, off
.LBB770_26:
	s_or_b64 exec, exec, s[8:9]
	;;#ASMSTART
	v_rcp_f32 v2, v2
	;;#ASMEND
	s_and_saveexec_b64 s[22:23], s[0:1]
	s_cbranch_execz .LBB770_28
; %bb.27:
	v_mov_b32_e32 v3, v2
	;;#ASMSTART
	v_pk_mul_f32 v[4:5], v[52:53], v[2:3]
	;;#ASMEND
	v_mov_b32_e32 v10, 0xc3e00000
	v_mov_b32_e32 v11, 0x43e00000
	;;#ASMSTART
	v_med3_f32 v4, v4, v10, v11
v_med3_f32 v5, v5, v10, v11
v_cvt_pk_fp8_f32 v6, v4, v5
	;;#ASMEND
	;;#ASMSTART
	v_pk_mul_f32 v[4:5], v[34:35], v[2:3]
	;;#ASMEND
	;;#ASMSTART
	v_med3_f32 v4, v4, v10, v11
v_med3_f32 v5, v5, v10, v11
v_cvt_pk_fp8_f32 v7, v4, v5
	;;#ASMEND
	;;#ASMSTART
	v_pk_mul_f32 v[4:5], v[58:59], v[2:3]
	;;#ASMEND
	;; [unrolled: 8-line block ×3, first 2 shown]
	;;#ASMSTART
	v_med3_f32 v4, v4, v10, v11
v_med3_f32 v5, v5, v10, v11
v_cvt_pk_fp8_f32 v9, v4, v5
	;;#ASMEND
	s_mov_b32 s0, 0x5040100
	v_perm_b32 v4, v7, v6, s0
	s_mov_b32 s0, 0x1060504
	v_perm_b32 v4, v4, v7, s0
	s_load_dwordx2 s[0:1], s[4:5], 0x0
	s_mov_b32 s7, 0x1000504
	;;#ASMSTART
	v_pk_mul_f32 v[6:7], v[44:45], v[2:3]
	;;#ASMEND
	v_perm_b32 v5, v8, v9, s7
	s_mul_i32 s8, s24, s6
	;;#ASMSTART
	v_med3_f32 v6, v6, v10, v11
v_med3_f32 v7, v7, v10, v11
v_cvt_pk_fp8_f32 v8, v6, v7
	;;#ASMEND
	s_mul_hi_i32 s9, s24, s6
	s_waitcnt lgkmcnt(0)
	s_add_u32 s8, s0, s8
	;;#ASMSTART
	v_pk_mul_f32 v[6:7], v[18:19], v[2:3]
	;;#ASMEND
	s_addc_u32 s0, s1, s9
	s_add_i32 s1, s15, 3
	;;#ASMSTART
	v_med3_f32 v6, v6, v10, v11
v_med3_f32 v7, v7, v10, v11
v_cvt_pk_fp8_f32 v9, v6, v7
	;;#ASMEND
	s_ashr_i32 s9, s1, 31
	v_perm_b32 v6, v8, v9, s7
	;;#ASMSTART
	v_pk_mul_f32 v[8:9], v[14:15], v[2:3]
	;;#ASMEND
	v_mov_b32_e32 v7, v9
	s_lshr_b32 s9, s9, 30
	;;#ASMSTART
	v_med3_f32 v8, v8, v10, v11
v_med3_f32 v7, v7, v10, v11
v_cvt_pk_fp8_f32 v9, v8, v7
	;;#ASMEND
	;;#ASMSTART
	v_pk_mul_f32 v[2:3], v[86:87], v[2:3]
	;;#ASMEND
	s_add_i32 s1, s1, s9
	;;#ASMSTART
	v_med3_f32 v2, v2, v10, v11
v_med3_f32 v3, v3, v10, v11
v_cvt_pk_fp8_f32 v7, v2, v3
	;;#ASMEND
	s_and_b32 s10, s1, -4
	s_and_b32 s9, s0, 0xffff
	s_mov_b32 s11, 0x20000
	v_perm_b32 v7, v9, v7, s7
	buffer_store_dwordx4 v[4:7], v1, s[8:11], 0 offen
	;;#ASMSTART
	s_nop 0
	;;#ASMEND
.LBB770_28:
	s_or_b64 exec, exec, s[22:23]
	s_cmp_lt_i32 s16, 1
	s_cbranch_scc1 .LBB770_17
.LBB770_29:
	s_load_dword s0, s[4:5], 0x94
	s_waitcnt lgkmcnt(0)
	s_cmp_lg_u32 s0, 1
	s_cbranch_scc1 .LBB770_17
; %bb.30:
	s_lshl_b32 s0, s16, 1
	s_add_i32 s0, s0, 2
	v_cmp_gt_u32_e32 vcc, s16, v1
	s_and_b32 s22, s0, -4
	v_mov_b32_e32 v18, 0
	v_lshlrev_b32_e32 v1, 5, v0
	v_mov_b32_e32 v14, 0
	v_mov_b32_e32 v15, 0
	;; [unrolled: 1-line block ×16, first 2 shown]
	s_barrier
	s_and_saveexec_b64 s[0:1], vcc
	s_cbranch_execz .LBB770_32
; %bb.31:
	s_mul_hi_i32 s5, s18, s6
	s_mul_i32 s4, s18, s6
	s_and_b32 s21, s21, 0xffff
	s_lshl_b64 s[4:5], s[4:5], 1
	s_add_u32 s8, s36, s4
	s_mov_b32 s23, 0x20000
	s_addc_u32 s4, s37, s5
	s_and_b32 s9, s4, 0xffff
	s_mov_b32 s10, s22
	s_mov_b32 s11, s23
	buffer_load_dwordx4 v[14:17], v1, s[8:11], 0 offen
	buffer_load_dwordx4 v[10:13], v1, s[8:11], 16 offen
	;; [unrolled: 1-line block ×4, first 2 shown]
.LBB770_32:
	s_or_b64 exec, exec, s[0:1]
	v_mov_b32_e32 v19, 0
	v_mov_b32_e32 v32, 0
	;; [unrolled: 1-line block ×15, first 2 shown]
	s_and_saveexec_b64 s[0:1], vcc
	s_cbranch_execz .LBB770_34
; %bb.33:
	s_waitcnt vmcnt(3)
	v_cvt_f32_u32_sdwa v18, v14 dst_sel:DWORD dst_unused:UNUSED_PAD src0_sel:WORD_0
	v_cvt_f32_u32_sdwa v19, v14 dst_sel:DWORD dst_unused:UNUSED_PAD src0_sel:WORD_1
	v_cvt_f32_u32_sdwa v32, v15 dst_sel:DWORD dst_unused:UNUSED_PAD src0_sel:WORD_0
	v_cvt_f32_u32_sdwa v33, v15 dst_sel:DWORD dst_unused:UNUSED_PAD src0_sel:WORD_1
	;; [unrolled: 2-line block ×4, first 2 shown]
	s_waitcnt vmcnt(2)
	v_cvt_f32_u32_sdwa v26, v10 dst_sel:DWORD dst_unused:UNUSED_PAD src0_sel:WORD_0
	v_cvt_f32_u32_sdwa v27, v10 dst_sel:DWORD dst_unused:UNUSED_PAD src0_sel:WORD_1
	v_cvt_f32_u32_sdwa v24, v11 dst_sel:DWORD dst_unused:UNUSED_PAD src0_sel:WORD_0
	v_cvt_f32_u32_sdwa v25, v11 dst_sel:DWORD dst_unused:UNUSED_PAD src0_sel:WORD_1
	;; [unrolled: 2-line block ×4, first 2 shown]
.LBB770_34:
	s_or_b64 exec, exec, s[0:1]
	s_waitcnt vmcnt(2)
	v_mul_f32_e32 v10, v19, v19
	v_fmac_f32_e32 v10, v18, v18
	v_fmac_f32_e32 v10, v32, v32
	;; [unrolled: 1-line block ×15, first 2 shown]
	s_nop 1
	v_mov_b32_dpp v11, v10 quad_perm:[1,0,3,2] row_mask:0xf bank_mask:0xf
	v_add_f32_e32 v10, v10, v11
	s_nop 1
	v_mov_b32_dpp v11, v10 quad_perm:[2,3,0,1] row_mask:0xf bank_mask:0xf
	v_add_f32_e32 v10, v10, v11
	s_nop 1
	v_mov_b32_dpp v11, v10 row_half_mirror row_mask:0xf bank_mask:0xf
	v_add_f32_e32 v10, v10, v11
	s_nop 1
	v_mov_b32_dpp v11, v10 row_mirror row_mask:0xf bank_mask:0xf
	v_add_f32_e32 v10, v10, v11
	s_nop 1
	v_mov_b32_dpp v11, v10 row_bcast:15 row_mask:0xf bank_mask:0xf
	v_add_f32_e32 v10, v10, v11
	s_nop 1
	v_mov_b32_dpp v11, v10 row_bcast:31 row_mask:0xf bank_mask:0xf
	s_and_saveexec_b64 s[0:1], s[2:3]
	s_cbranch_execz .LBB770_36
; %bb.35:
	v_lshrrev_b32_e32 v0, 4, v0
	v_add_f32_e32 v10, v10, v11
	v_and_b32_e32 v0, 60, v0
	ds_write_b32 v0, v10
.LBB770_36:
	s_or_b64 exec, exec, s[0:1]
	s_waitcnt lgkmcnt(0)
	s_barrier
	ds_read_b32 v0, v36
	s_waitcnt lgkmcnt(0)
	s_nop 0
	v_mov_b32_dpp v10, v0 quad_perm:[1,0,3,2] row_mask:0xf bank_mask:0xf
	v_add_f32_e32 v0, v0, v10
	s_nop 1
	v_mov_b32_dpp v10, v0 quad_perm:[2,3,0,1] row_mask:0xf bank_mask:0xf
	s_and_saveexec_b64 s[0:1], vcc
	s_cbranch_execz .LBB770_17
; %bb.37:
	v_cvt_f32_u32_e32 v11, s16
	v_add_f32_e32 v0, v0, v10
	s_mov_b32 s23, 0x20000
	v_div_scale_f32 v10, s[0:1], v11, v11, v0
	v_rcp_f32_e32 v12, v10
	v_div_scale_f32 v13, vcc, v0, v11, v0
	s_mov_b32 s0, 0x800000
	v_fma_f32 v14, -v10, v12, 1.0
	v_fmac_f32_e32 v12, v14, v12
	v_mul_f32_e32 v14, v13, v12
	v_fma_f32 v15, -v10, v14, v13
	v_fmac_f32_e32 v14, v15, v12
	v_fma_f32 v10, -v10, v14, v13
	v_div_fmas_f32 v10, v10, v12, v14
	v_div_fixup_f32 v0, v10, v11, v0
	v_add_f32_e32 v0, s13, v0
	v_mul_f32_e32 v10, 0x4b800000, v0
	v_cmp_gt_f32_e32 vcc, s0, v0
	v_cndmask_b32_e32 v0, v0, v10, vcc
	v_rsq_f32_e32 v0, v0
	s_mul_hi_i32 s1, s34, s6
	s_mul_i32 s0, s34, s6
	s_lshl_b64 s[0:1], s[0:1], 1
	v_mul_f32_e32 v10, 0x45800000, v0
	v_cndmask_b32_e32 v10, v0, v10, vcc
	v_mov_b32_e32 v11, v10
	;;#ASMSTART
	v_pk_mul_f32 v[12:13], v[18:19], v[10:11]
	;;#ASMEND
	;;#ASMSTART
	v_pk_mul_f32 v[14:15], v[32:33], v[10:11]
	;;#ASMEND
	;; [unrolled: 3-line block ×4, first 2 shown]
	s_waitcnt vmcnt(1)
	v_cvt_f32_u32_sdwa v29, v6 dst_sel:DWORD dst_unused:UNUSED_PAD src0_sel:WORD_1
	v_cvt_f32_u32_sdwa v28, v6 dst_sel:DWORD dst_unused:UNUSED_PAD src0_sel:WORD_0
	v_cvt_f32_u32_sdwa v31, v7 dst_sel:DWORD dst_unused:UNUSED_PAD src0_sel:WORD_1
	v_cvt_f32_u32_sdwa v30, v7 dst_sel:DWORD dst_unused:UNUSED_PAD src0_sel:WORD_0
	;;#ASMSTART
	v_pk_mul_f32 v[26:27], v[26:27], v[10:11]
	;;#ASMEND
	;;#ASMSTART
	v_pk_mul_f32 v[24:25], v[24:25], v[10:11]
	;;#ASMEND
	;; [unrolled: 3-line block ×4, first 2 shown]
	v_cvt_f32_u32_sdwa v21, v8 dst_sel:DWORD dst_unused:UNUSED_PAD src0_sel:WORD_1
	v_cvt_f32_u32_sdwa v20, v8 dst_sel:DWORD dst_unused:UNUSED_PAD src0_sel:WORD_0
	v_pk_add_f32 v[10:11], v[28:29], 1.0 op_sel_hi:[1,0]
	;;#ASMSTART
	v_pk_mul_f32 v[10:11], v[12:13], v[10:11]
	;;#ASMEND
	v_pk_add_f32 v[12:13], v[30:31], 1.0 op_sel_hi:[1,0]
	v_cvt_f32_u32_sdwa v29, v9 dst_sel:DWORD dst_unused:UNUSED_PAD src0_sel:WORD_1
	v_cvt_f32_u32_sdwa v28, v9 dst_sel:DWORD dst_unused:UNUSED_PAD src0_sel:WORD_0
	;;#ASMSTART
	v_pk_mul_f32 v[8:9], v[14:15], v[12:13]
	;;#ASMEND
	v_pk_add_f32 v[12:13], v[20:21], 1.0 op_sel_hi:[1,0]
	;;#ASMSTART
	v_pk_mul_f32 v[12:13], v[16:17], v[12:13]
	;;#ASMEND
	s_waitcnt vmcnt(0)
	v_cvt_f32_u32_sdwa v17, v2 dst_sel:DWORD dst_unused:UNUSED_PAD src0_sel:WORD_1
	v_cvt_f32_u32_sdwa v16, v2 dst_sel:DWORD dst_unused:UNUSED_PAD src0_sel:WORD_0
	v_cvt_f32_u32_sdwa v21, v3 dst_sel:DWORD dst_unused:UNUSED_PAD src0_sel:WORD_1
	v_cvt_f32_u32_sdwa v20, v3 dst_sel:DWORD dst_unused:UNUSED_PAD src0_sel:WORD_0
	v_pk_add_f32 v[14:15], v[28:29], 1.0 op_sel_hi:[1,0]
	;;#ASMSTART
	v_pk_mul_f32 v[14:15], v[18:19], v[14:15]
	;;#ASMEND
	v_pk_add_f32 v[2:3], v[16:17], 1.0 op_sel_hi:[1,0]
	v_cvt_f32_u32_sdwa v19, v4 dst_sel:DWORD dst_unused:UNUSED_PAD src0_sel:WORD_1
	v_cvt_f32_u32_sdwa v18, v4 dst_sel:DWORD dst_unused:UNUSED_PAD src0_sel:WORD_0
	;;#ASMSTART
	v_pk_mul_f32 v[16:17], v[26:27], v[2:3]
	;;#ASMEND
	v_pk_add_f32 v[2:3], v[20:21], 1.0 op_sel_hi:[1,0]
	v_cvt_f32_u32_sdwa v21, v5 dst_sel:DWORD dst_unused:UNUSED_PAD src0_sel:WORD_1
	v_cvt_f32_u32_sdwa v20, v5 dst_sel:DWORD dst_unused:UNUSED_PAD src0_sel:WORD_0
	s_add_u32 s20, s38, s0
	;;#ASMSTART
	v_pk_mul_f32 v[24:25], v[24:25], v[2:3]
	;;#ASMEND
	v_pk_add_f32 v[2:3], v[18:19], 1.0 op_sel_hi:[1,0]
	s_addc_u32 s0, s39, s1
	;;#ASMSTART
	v_pk_mul_f32 v[18:19], v[22:23], v[2:3]
	;;#ASMEND
	v_pk_add_f32 v[2:3], v[20:21], 1.0 op_sel_hi:[1,0]
	s_and_b32 s21, s0, 0xffff
	s_mov_b32 s0, 0x7060302
	;;#ASMSTART
	v_pk_mul_f32 v[6:7], v[6:7], v[2:3]
	;;#ASMEND
	v_perm_b32 v2, v11, v10, s0
	v_perm_b32 v3, v9, v8, s0
	;; [unrolled: 1-line block ×4, first 2 shown]
	buffer_store_dwordx4 v[2:5], v1, s[20:23], 0 offen
	;;#ASMSTART
	s_nop 0
	;;#ASMEND
	s_nop 0
	v_perm_b32 v2, v17, v16, s0
	v_perm_b32 v3, v25, v24, s0
	;; [unrolled: 1-line block ×4, first 2 shown]
	buffer_store_dwordx4 v[2:5], v1, s[20:23], 16 offen
	;;#ASMSTART
	s_nop 0
	;;#ASMEND
	s_endpgm
	.section	.rodata,"a",@progbits
	.p2align	6, 0x0
	.amdhsa_kernel _ZN5aiter35fused_qk_rmsnorm_group_quant_kernelItDB8_Li256ELi16ELi8ELb1ELb0ELb1ELb0ELb0ELb0EEEvPT0_PvPT_S6_S6_PKS5_S8_S8_S8_S8_ffiiiiiiiiiiiii
		.amdhsa_group_segment_fixed_size 32
		.amdhsa_private_segment_fixed_size 0
		.amdhsa_kernarg_size 400
		.amdhsa_user_sgpr_count 6
		.amdhsa_user_sgpr_private_segment_buffer 1
		.amdhsa_user_sgpr_dispatch_ptr 0
		.amdhsa_user_sgpr_queue_ptr 0
		.amdhsa_user_sgpr_kernarg_segment_ptr 1
		.amdhsa_user_sgpr_dispatch_id 0
		.amdhsa_user_sgpr_flat_scratch_init 0
		.amdhsa_user_sgpr_kernarg_preload_length 0
		.amdhsa_user_sgpr_kernarg_preload_offset 0
		.amdhsa_user_sgpr_private_segment_size 0
		.amdhsa_uses_dynamic_stack 0
		.amdhsa_system_sgpr_private_segment_wavefront_offset 0
		.amdhsa_system_sgpr_workgroup_id_x 1
		.amdhsa_system_sgpr_workgroup_id_y 1
		.amdhsa_system_sgpr_workgroup_id_z 0
		.amdhsa_system_sgpr_workgroup_info 0
		.amdhsa_system_vgpr_workitem_id 0
		.amdhsa_next_free_vgpr 88
		.amdhsa_next_free_sgpr 44
		.amdhsa_accum_offset 88
		.amdhsa_reserve_vcc 1
		.amdhsa_reserve_flat_scratch 0
		.amdhsa_float_round_mode_32 0
		.amdhsa_float_round_mode_16_64 0
		.amdhsa_float_denorm_mode_32 3
		.amdhsa_float_denorm_mode_16_64 3
		.amdhsa_dx10_clamp 1
		.amdhsa_ieee_mode 1
		.amdhsa_fp16_overflow 0
		.amdhsa_tg_split 0
		.amdhsa_exception_fp_ieee_invalid_op 0
		.amdhsa_exception_fp_denorm_src 0
		.amdhsa_exception_fp_ieee_div_zero 0
		.amdhsa_exception_fp_ieee_overflow 0
		.amdhsa_exception_fp_ieee_underflow 0
		.amdhsa_exception_fp_ieee_inexact 0
		.amdhsa_exception_int_div_zero 0
	.end_amdhsa_kernel
	.section	.text._ZN5aiter35fused_qk_rmsnorm_group_quant_kernelItDB8_Li256ELi16ELi8ELb1ELb0ELb1ELb0ELb0ELb0EEEvPT0_PvPT_S6_S6_PKS5_S8_S8_S8_S8_ffiiiiiiiiiiiii,"axG",@progbits,_ZN5aiter35fused_qk_rmsnorm_group_quant_kernelItDB8_Li256ELi16ELi8ELb1ELb0ELb1ELb0ELb0ELb0EEEvPT0_PvPT_S6_S6_PKS5_S8_S8_S8_S8_ffiiiiiiiiiiiii,comdat
.Lfunc_end770:
	.size	_ZN5aiter35fused_qk_rmsnorm_group_quant_kernelItDB8_Li256ELi16ELi8ELb1ELb0ELb1ELb0ELb0ELb0EEEvPT0_PvPT_S6_S6_PKS5_S8_S8_S8_S8_ffiiiiiiiiiiiii, .Lfunc_end770-_ZN5aiter35fused_qk_rmsnorm_group_quant_kernelItDB8_Li256ELi16ELi8ELb1ELb0ELb1ELb0ELb0ELb0EEEvPT0_PvPT_S6_S6_PKS5_S8_S8_S8_S8_ffiiiiiiiiiiiii
                                        ; -- End function
	.section	.AMDGPU.csdata,"",@progbits
; Kernel info:
; codeLenInByte = 4204
; NumSgprs: 48
; NumVgprs: 88
; NumAgprs: 0
; TotalNumVgprs: 88
; ScratchSize: 0
; MemoryBound: 0
; FloatMode: 240
; IeeeMode: 1
; LDSByteSize: 32 bytes/workgroup (compile time only)
; SGPRBlocks: 5
; VGPRBlocks: 10
; NumSGPRsForWavesPerEU: 48
; NumVGPRsForWavesPerEU: 88
; AccumOffset: 88
; Occupancy: 5
; WaveLimiterHint : 0
; COMPUTE_PGM_RSRC2:SCRATCH_EN: 0
; COMPUTE_PGM_RSRC2:USER_SGPR: 6
; COMPUTE_PGM_RSRC2:TRAP_HANDLER: 0
; COMPUTE_PGM_RSRC2:TGID_X_EN: 1
; COMPUTE_PGM_RSRC2:TGID_Y_EN: 1
; COMPUTE_PGM_RSRC2:TGID_Z_EN: 0
; COMPUTE_PGM_RSRC2:TIDIG_COMP_CNT: 0
; COMPUTE_PGM_RSRC3_GFX90A:ACCUM_OFFSET: 21
; COMPUTE_PGM_RSRC3_GFX90A:TG_SPLIT: 0
	.section	.text._ZN5aiter35fused_qk_rmsnorm_group_quant_kernelIDF16_N4opus5fp4_tELi256ELi16ELi8ELb1ELb0ELb1ELb0ELb0ELb0EEEvPT0_PvPT_S7_S7_PKS6_S9_S9_S9_S9_ffiiiiiiiiiiiii,"axG",@progbits,_ZN5aiter35fused_qk_rmsnorm_group_quant_kernelIDF16_N4opus5fp4_tELi256ELi16ELi8ELb1ELb0ELb1ELb0ELb0ELb0EEEvPT0_PvPT_S7_S7_PKS6_S9_S9_S9_S9_ffiiiiiiiiiiiii,comdat
	.protected	_ZN5aiter35fused_qk_rmsnorm_group_quant_kernelIDF16_N4opus5fp4_tELi256ELi16ELi8ELb1ELb0ELb1ELb0ELb0ELb0EEEvPT0_PvPT_S7_S7_PKS6_S9_S9_S9_S9_ffiiiiiiiiiiiii ; -- Begin function _ZN5aiter35fused_qk_rmsnorm_group_quant_kernelIDF16_N4opus5fp4_tELi256ELi16ELi8ELb1ELb0ELb1ELb0ELb0ELb0EEEvPT0_PvPT_S7_S7_PKS6_S9_S9_S9_S9_ffiiiiiiiiiiiii
	.globl	_ZN5aiter35fused_qk_rmsnorm_group_quant_kernelIDF16_N4opus5fp4_tELi256ELi16ELi8ELb1ELb0ELb1ELb0ELb0ELb0EEEvPT0_PvPT_S7_S7_PKS6_S9_S9_S9_S9_ffiiiiiiiiiiiii
	.p2align	8
	.type	_ZN5aiter35fused_qk_rmsnorm_group_quant_kernelIDF16_N4opus5fp4_tELi256ELi16ELi8ELb1ELb0ELb1ELb0ELb0ELb0EEEvPT0_PvPT_S7_S7_PKS6_S9_S9_S9_S9_ffiiiiiiiiiiiii,@function
_ZN5aiter35fused_qk_rmsnorm_group_quant_kernelIDF16_N4opus5fp4_tELi256ELi16ELi8ELb1ELb0ELb1ELb0ELb0ELb0EEEvPT0_PvPT_S7_S7_PKS6_S9_S9_S9_S9_ffiiiiiiiiiiiii: ; @_ZN5aiter35fused_qk_rmsnorm_group_quant_kernelIDF16_N4opus5fp4_tELi256ELi16ELi8ELb1ELb0ELb1ELb0ELb0ELb0EEEvPT0_PvPT_S7_S7_PKS6_S9_S9_S9_S9_ffiiiiiiiiiiiii
; %bb.0:
	s_load_dwordx8 s[12:19], s[4:5], 0x50
	s_waitcnt lgkmcnt(0)
	s_cmp_ge_i32 s6, s14
	s_cbranch_scc1 .LBB771_17
; %bb.1:
	s_cmp_lg_u32 s7, 0
	s_cselect_b64 s[22:23], -1, 0
	s_cmp_eq_u32 s7, 0
	s_cselect_b64 s[2:3], -1, 0
	s_and_b64 s[0:1], s[2:3], exec
	s_load_dwordx2 s[20:21], s[4:5], 0x48
	s_load_dwordx2 s[34:35], s[4:5], 0x30
	s_load_dwordx4 s[24:27], s[4:5], 0x70
	s_cselect_b32 s7, s15, s16
	s_add_i32 s0, s7, 1
	s_lshr_b32 s1, s0, 31
	s_add_i32 s0, s0, s1
	s_lshl_b32 s0, s0, 1
	v_lshlrev_b32_e32 v1, 4, v0
	s_and_b32 s30, s0, -4
	v_cmp_gt_i32_e64 s[0:1], s7, v1
	v_mov_b32_e32 v6, 0
	v_mov_b32_e32 v7, 0
	;; [unrolled: 1-line block ×16, first 2 shown]
	s_and_saveexec_b64 s[8:9], s[0:1]
	s_cbranch_execz .LBB771_3
; %bb.2:
	s_load_dwordx2 s[10:11], s[4:5], 0x28
	s_load_dwordx2 s[28:29], s[4:5], 0x40
	s_and_b64 s[36:37], s[2:3], exec
	s_cselect_b32 s14, s17, s18
	s_mov_b32 s31, 0x20000
	s_waitcnt lgkmcnt(0)
	s_cselect_b32 s17, s11, s35
	s_cselect_b32 s27, s10, s34
	s_mul_hi_i32 s11, s14, s6
	s_mul_i32 s10, s14, s6
	s_lshl_b64 s[10:11], s[10:11], 1
	s_add_u32 s36, s27, s10
	s_addc_u32 s14, s17, s11
	s_and_b64 s[10:11], s[2:3], exec
	s_cselect_b32 s28, s28, s20
	s_cselect_b32 s10, s29, s21
	s_and_b32 s37, s14, 0xffff
	s_mov_b32 s38, s30
	s_mov_b32 s39, s31
	v_lshlrev_b32_e32 v18, 5, v0
	s_and_b32 s29, s10, 0xffff
	buffer_load_dwordx4 v[10:13], v18, s[36:39], 0 offen
	buffer_load_dwordx4 v[14:17], v18, s[36:39], 16 offen
	buffer_load_dwordx4 v[6:9], v18, s[28:31], 0 offen
	buffer_load_dwordx4 v[2:5], v18, s[28:31], 16 offen
.LBB771_3:
	s_or_b64 exec, exec, s[8:9]
	s_load_dwordx2 s[10:11], s[4:5], 0x80
	s_and_b64 vcc, exec, s[22:23]
	s_cbranch_vccz .LBB771_7
; %bb.4:
	v_mov_b32_e32 v19, 0
	v_mov_b32_e32 v18, 0
	;; [unrolled: 1-line block ×16, first 2 shown]
	s_and_saveexec_b64 s[8:9], s[0:1]
	s_cbranch_execz .LBB771_6
; %bb.5:
	s_waitcnt vmcnt(3)
	v_cvt_f32_f16_sdwa v29, v10 dst_sel:DWORD dst_unused:UNUSED_PAD src0_sel:WORD_1
	v_cvt_f32_f16_e32 v28, v10
	v_cvt_f32_f16_sdwa v33, v11 dst_sel:DWORD dst_unused:UNUSED_PAD src0_sel:WORD_1
	v_cvt_f32_f16_e32 v32, v11
	;; [unrolled: 2-line block ×4, first 2 shown]
	s_waitcnt vmcnt(2)
	v_cvt_f32_f16_sdwa v23, v14 dst_sel:DWORD dst_unused:UNUSED_PAD src0_sel:WORD_1
	v_cvt_f32_f16_e32 v22, v14
	v_cvt_f32_f16_sdwa v25, v15 dst_sel:DWORD dst_unused:UNUSED_PAD src0_sel:WORD_1
	v_cvt_f32_f16_e32 v24, v15
	v_cvt_f32_f16_sdwa v21, v16 dst_sel:DWORD dst_unused:UNUSED_PAD src0_sel:WORD_1
	v_cvt_f32_f16_e32 v20, v16
	v_cvt_f32_f16_sdwa v19, v17 dst_sel:DWORD dst_unused:UNUSED_PAD src0_sel:WORD_1
	v_cvt_f32_f16_e32 v18, v17
.LBB771_6:
	s_or_b64 exec, exec, s[8:9]
	s_cbranch_execz .LBB771_8
	s_branch .LBB771_11
.LBB771_7:
                                        ; implicit-def: $vgpr19
                                        ; implicit-def: $vgpr21
                                        ; implicit-def: $vgpr25
                                        ; implicit-def: $vgpr23
                                        ; implicit-def: $vgpr31
                                        ; implicit-def: $vgpr27
                                        ; implicit-def: $vgpr33
                                        ; implicit-def: $vgpr29
.LBB771_8:
	v_mov_b32_e32 v19, 0
	v_mov_b32_e32 v18, 0
	;; [unrolled: 1-line block ×16, first 2 shown]
	s_and_saveexec_b64 s[8:9], s[0:1]
	s_cbranch_execz .LBB771_10
; %bb.9:
	s_load_dwordx2 s[28:29], s[4:5], 0x38
	s_mul_hi_i32 s37, s19, s6
	s_mul_i32 s36, s19, s6
	s_lshl_b64 s[36:37], s[36:37], 1
	s_mov_b32 s31, 0x20000
	s_waitcnt lgkmcnt(0)
	s_add_u32 s28, s28, s36
	s_addc_u32 s14, s29, s37
	s_and_b32 s29, s14, 0xffff
	v_lshlrev_b32_e32 v48, 5, v0
	buffer_load_dwordx4 v[18:21], v48, s[28:31], 16 offen
	buffer_load_dwordx4 v[22:25], v48, s[28:31], 0 offen
	s_waitcnt vmcnt(4)
	v_cvt_f32_f16_sdwa v27, v14 dst_sel:DWORD dst_unused:UNUSED_PAD src0_sel:WORD_1
	v_cvt_f32_f16_e32 v26, v14
	v_cvt_f32_f16_sdwa v29, v15 dst_sel:DWORD dst_unused:UNUSED_PAD src0_sel:WORD_1
	v_cvt_f32_f16_e32 v28, v15
	;; [unrolled: 2-line block ×8, first 2 shown]
	s_load_dwordx2 s[28:29], s[4:5], 0x20
	s_mul_hi_i32 s37, s11, s6
	s_mul_i32 s36, s11, s6
	s_lshl_b64 s[36:37], s[36:37], 1
	s_waitcnt lgkmcnt(0)
	s_add_u32 s28, s28, s36
	s_addc_u32 s11, s29, s37
	s_and_b32 s29, s11, 0xffff
	s_waitcnt vmcnt(1)
	v_cvt_f32_f16_e32 v12, v18
	v_cvt_f32_f16_sdwa v13, v18 dst_sel:DWORD dst_unused:UNUSED_PAD src0_sel:WORD_1
	v_cvt_f32_f16_e32 v18, v19
	v_cvt_f32_f16_sdwa v19, v19 dst_sel:DWORD dst_unused:UNUSED_PAD src0_sel:WORD_1
	;; [unrolled: 2-line block ×4, first 2 shown]
	s_waitcnt vmcnt(0)
	v_cvt_f32_f16_e32 v40, v22
	v_cvt_f32_f16_sdwa v41, v22 dst_sel:DWORD dst_unused:UNUSED_PAD src0_sel:WORD_1
	v_cvt_f32_f16_e32 v42, v23
	v_cvt_f32_f16_sdwa v43, v23 dst_sel:DWORD dst_unused:UNUSED_PAD src0_sel:WORD_1
	;; [unrolled: 2-line block ×4, first 2 shown]
	v_pk_add_f32 v[22:23], v[26:27], v[12:13]
	v_pk_add_f32 v[24:25], v[28:29], v[18:19]
	v_pk_add_f32 v[20:21], v[14:15], v[36:37]
	v_pk_add_f32 v[18:19], v[30:31], v[38:39]
	v_pk_add_f32 v[28:29], v[16:17], v[40:41]
	v_pk_add_f32 v[32:33], v[32:33], v[42:43]
	v_pk_add_f32 v[26:27], v[10:11], v[44:45]
	v_pk_add_f32 v[30:31], v[34:35], v[46:47]
	v_cvt_f16_f32_e32 v10, v29
	v_cvt_f16_f32_e32 v14, v28
	v_cvt_f16_f32_e32 v11, v33
	v_cvt_f16_f32_e32 v15, v32
	v_cvt_f16_f32_e32 v12, v27
	v_cvt_f16_f32_e32 v16, v26
	v_cvt_f16_f32_e32 v13, v31
	v_cvt_f16_f32_e32 v17, v30
	v_cvt_f16_f32_e32 v34, v22
	v_cvt_f16_f32_e32 v35, v23
	v_cvt_f16_f32_e32 v36, v24
	v_cvt_f16_f32_e32 v37, v25
	v_cvt_f16_f32_e32 v38, v20
	v_cvt_f16_f32_e32 v39, v21
	v_cvt_f16_f32_e32 v40, v18
	v_cvt_f16_f32_e32 v41, v19
	v_pack_b32_f16 v13, v17, v13
	v_pack_b32_f16 v12, v16, v12
	;; [unrolled: 1-line block ×8, first 2 shown]
	buffer_store_dwordx4 v[10:13], v48, s[28:31], 0 offen
	;;#ASMSTART
	s_nop 0
	;;#ASMEND
	buffer_store_dwordx4 v[14:17], v48, s[28:31], 16 offen
	;;#ASMSTART
	s_nop 0
	;;#ASMEND
.LBB771_10:
	s_or_b64 exec, exec, s[8:9]
.LBB771_11:
	s_waitcnt vmcnt(3)
	v_mul_f32_e32 v10, v29, v29
	v_fmac_f32_e32 v10, v28, v28
	v_fmac_f32_e32 v10, v32, v32
	;; [unrolled: 1-line block ×15, first 2 shown]
	v_and_b32_e32 v12, 63, v0
	v_cmp_eq_u32_e64 s[8:9], 63, v12
	v_mov_b32_dpp v11, v10 quad_perm:[1,0,3,2] row_mask:0xf bank_mask:0xf
	v_add_f32_e32 v10, v10, v11
	s_nop 1
	v_mov_b32_dpp v11, v10 quad_perm:[2,3,0,1] row_mask:0xf bank_mask:0xf
	v_add_f32_e32 v10, v10, v11
	s_nop 1
	v_mov_b32_dpp v11, v10 row_half_mirror row_mask:0xf bank_mask:0xf
	v_add_f32_e32 v10, v10, v11
	s_nop 1
	v_mov_b32_dpp v11, v10 row_mirror row_mask:0xf bank_mask:0xf
	v_add_f32_e32 v10, v10, v11
	s_nop 1
	v_mov_b32_dpp v11, v10 row_bcast:15 row_mask:0xf bank_mask:0xf
	v_add_f32_e32 v10, v10, v11
	s_nop 1
	v_mov_b32_dpp v11, v10 row_bcast:31 row_mask:0xf bank_mask:0xf
	s_and_saveexec_b64 s[28:29], s[8:9]
	s_cbranch_execz .LBB771_13
; %bb.12:
	v_add_f32_e32 v10, v10, v11
	v_lshrrev_b32_e32 v11, 4, v0
	v_and_b32_e32 v11, 60, v11
	ds_write_b32 v11, v10 offset:16
.LBB771_13:
	s_or_b64 exec, exec, s[28:29]
	v_and_b32_e32 v10, 3, v0
	v_lshlrev_b32_e32 v34, 2, v10
	s_waitcnt lgkmcnt(0)
	s_barrier
	ds_read_b32 v10, v34 offset:16
	s_load_dwordx2 s[36:37], s[4:5], 0x18
	s_waitcnt lgkmcnt(0)
	v_mov_b32_dpp v11, v10 quad_perm:[1,0,3,2] row_mask:0xf bank_mask:0xf
	v_add_f32_e32 v10, v10, v11
	s_nop 1
	v_mov_b32_dpp v11, v10 quad_perm:[2,3,0,1] row_mask:0xf bank_mask:0xf
	s_and_saveexec_b64 s[28:29], s[0:1]
	s_cbranch_execnz .LBB771_18
; %bb.14:
	s_or_b64 exec, exec, s[28:29]
	s_mov_b64 s[2:3], -1
	s_and_b64 vcc, exec, s[22:23]
	s_cbranch_vccnz .LBB771_19
.LBB771_15:
	s_andn2_b64 vcc, exec, s[2:3]
	s_cbranch_vccz .LBB771_22
.LBB771_16:
	s_cmp_lt_i32 s16, 1
	s_cbranch_scc0 .LBB771_29
.LBB771_17:
	s_endpgm
.LBB771_18:
	v_cvt_f32_u32_e32 v12, s7
	v_add_f32_e32 v10, v10, v11
	s_waitcnt vmcnt(2)
	v_mov_b32_e32 v14, s13
	v_mov_b32_e32 v15, s12
	v_div_scale_f32 v11, s[38:39], v12, v12, v10
	v_rcp_f32_e32 v13, v11
	v_cndmask_b32_e64 v14, v14, v15, s[2:3]
	s_mov_b32 s2, 0x800000
	v_fma_f32 v15, -v11, v13, 1.0
	v_fmac_f32_e32 v13, v15, v13
	v_div_scale_f32 v15, vcc, v10, v12, v10
	v_mul_f32_e32 v16, v15, v13
	v_fma_f32 v17, -v11, v16, v15
	v_fmac_f32_e32 v16, v17, v13
	v_fma_f32 v11, -v11, v16, v15
	v_div_fmas_f32 v11, v11, v13, v16
	v_div_fixup_f32 v10, v11, v12, v10
	v_add_f32_e32 v10, v14, v10
	v_mul_f32_e32 v11, 0x4b800000, v10
	v_cmp_gt_f32_e32 vcc, s2, v10
	v_cndmask_b32_e32 v10, v10, v11, vcc
	v_rsq_f32_e32 v10, v10
	v_mul_f32_e32 v11, 0x45800000, v10
	v_cndmask_b32_e32 v10, v10, v11, vcc
	v_mov_b32_e32 v11, v10
	;;#ASMSTART
	v_pk_mul_f32 v[12:13], v[28:29], v[10:11]
	;;#ASMEND
	;;#ASMSTART
	v_pk_mul_f32 v[14:15], v[32:33], v[10:11]
	;;#ASMEND
	;; [unrolled: 3-line block ×3, first 2 shown]
	s_waitcnt vmcnt(1)
	v_cvt_f32_f16_sdwa v27, v6 dst_sel:DWORD dst_unused:UNUSED_PAD src0_sel:WORD_1
	v_cvt_f32_f16_e32 v26, v6
	v_cvt_f32_f16_sdwa v33, v7 dst_sel:DWORD dst_unused:UNUSED_PAD src0_sel:WORD_1
	v_cvt_f32_f16_e32 v32, v7
	;;#ASMSTART
	v_pk_mul_f32 v[30:31], v[30:31], v[10:11]
	;;#ASMEND
	;;#ASMSTART
	v_pk_mul_f32 v[22:23], v[22:23], v[10:11]
	;;#ASMEND
	;;#ASMSTART
	v_pk_mul_f32 v[24:25], v[24:25], v[10:11]
	;;#ASMEND
	;;#ASMSTART
	v_pk_mul_f32 v[20:21], v[20:21], v[10:11]
	;;#ASMEND
	;;#ASMSTART
	v_pk_mul_f32 v[6:7], v[18:19], v[10:11]
	;;#ASMEND
	v_pk_add_f32 v[10:11], v[26:27], 1.0 op_sel_hi:[1,0]
	;;#ASMSTART
	v_pk_mul_f32 v[28:29], v[12:13], v[10:11]
	;;#ASMEND
	v_cvt_f32_f16_sdwa v13, v8 dst_sel:DWORD dst_unused:UNUSED_PAD src0_sel:WORD_1
	v_cvt_f32_f16_e32 v12, v8
	v_cvt_f32_f16_sdwa v19, v9 dst_sel:DWORD dst_unused:UNUSED_PAD src0_sel:WORD_1
	v_cvt_f32_f16_e32 v18, v9
	v_pk_add_f32 v[10:11], v[32:33], 1.0 op_sel_hi:[1,0]
	;;#ASMSTART
	v_pk_mul_f32 v[32:33], v[14:15], v[10:11]
	;;#ASMEND
	s_waitcnt vmcnt(0)
	v_cvt_f32_f16_sdwa v11, v2 dst_sel:DWORD dst_unused:UNUSED_PAD src0_sel:WORD_1
	v_cvt_f32_f16_e32 v10, v2
	v_pk_add_f32 v[8:9], v[12:13], 1.0 op_sel_hi:[1,0]
	;;#ASMSTART
	v_pk_mul_f32 v[26:27], v[16:17], v[8:9]
	;;#ASMEND
	v_pk_add_f32 v[8:9], v[18:19], 1.0 op_sel_hi:[1,0]
	v_cvt_f32_f16_sdwa v13, v3 dst_sel:DWORD dst_unused:UNUSED_PAD src0_sel:WORD_1
	v_cvt_f32_f16_e32 v12, v3
	;;#ASMSTART
	v_pk_mul_f32 v[30:31], v[30:31], v[8:9]
	;;#ASMEND
	v_cvt_f32_f16_sdwa v9, v4 dst_sel:DWORD dst_unused:UNUSED_PAD src0_sel:WORD_1
	v_cvt_f32_f16_e32 v8, v4
	v_pk_add_f32 v[2:3], v[10:11], 1.0 op_sel_hi:[1,0]
	v_cvt_f32_f16_sdwa v11, v5 dst_sel:DWORD dst_unused:UNUSED_PAD src0_sel:WORD_1
	v_cvt_f32_f16_e32 v10, v5
	;;#ASMSTART
	v_pk_mul_f32 v[22:23], v[22:23], v[2:3]
	;;#ASMEND
	v_pk_add_f32 v[2:3], v[12:13], 1.0 op_sel_hi:[1,0]
	;;#ASMSTART
	v_pk_mul_f32 v[24:25], v[24:25], v[2:3]
	;;#ASMEND
	v_pk_add_f32 v[2:3], v[8:9], 1.0 op_sel_hi:[1,0]
	;;#ASMSTART
	v_pk_mul_f32 v[20:21], v[20:21], v[2:3]
	;;#ASMEND
	v_pk_add_f32 v[2:3], v[10:11], 1.0 op_sel_hi:[1,0]
	;;#ASMSTART
	v_pk_mul_f32 v[18:19], v[6:7], v[2:3]
	;;#ASMEND
	s_or_b64 exec, exec, s[28:29]
	s_mov_b64 s[2:3], -1
	s_and_b64 vcc, exec, s[22:23]
	s_cbranch_vccz .LBB771_15
.LBB771_19:
	s_and_saveexec_b64 s[2:3], s[0:1]
	s_cbranch_execz .LBB771_21
; %bb.20:
	s_mul_hi_i32 s23, s10, s6
	s_mul_i32 s22, s10, s6
	s_waitcnt vmcnt(0)
	v_cvt_f16_f32_e32 v2, v28
	v_cvt_f16_f32_e32 v3, v32
	;; [unrolled: 1-line block ×8, first 2 shown]
	s_lshl_b64 s[22:23], s[22:23], 1
	s_add_u32 s28, s36, s22
	s_addc_u32 s7, s37, s23
	s_and_b32 s29, s7, 0xffff
	s_mov_b32 s31, 0x20000
	v_pack_b32_f16 v5, v5, v6
	v_pack_b32_f16 v4, v4, v7
	;; [unrolled: 1-line block ×4, first 2 shown]
	v_lshlrev_b32_e32 v6, 5, v0
	buffer_store_dwordx4 v[2:5], v6, s[28:31], 0 offen
	v_cvt_f16_f32_e32 v7, v19
	v_cvt_f16_f32_e32 v2, v22
	;; [unrolled: 1-line block ×8, first 2 shown]
	v_pack_b32_f16 v5, v5, v7
	v_pack_b32_f16 v4, v4, v8
	;; [unrolled: 1-line block ×4, first 2 shown]
	;;#ASMSTART
	s_nop 0
	;;#ASMEND
	buffer_store_dwordx4 v[2:5], v6, s[28:31], 16 offen
	;;#ASMSTART
	s_nop 0
	;;#ASMEND
.LBB771_21:
	s_or_b64 exec, exec, s[2:3]
	s_cbranch_execnz .LBB771_16
.LBB771_22:
	s_waitcnt vmcnt(0)
	v_mov_b32_e32 v2, 0
	s_and_saveexec_b64 s[2:3], s[0:1]
	s_cbranch_execz .LBB771_24
; %bb.23:
	v_and_b32_e32 v2, 0x7fffffff, v28
	v_and_b32_e32 v3, 0x7fffffff, v29
	v_mov_b32_e32 v4, 0x2edbe6ff
	;;#ASMSTART
	v_max3_f32 v2, v4, v2, v3

	;;#ASMEND
	v_and_b32_e32 v3, 0x7fffffff, v32
	v_and_b32_e32 v4, 0x7fffffff, v33
	;;#ASMSTART
	v_max3_f32 v2, v2, v3, v4

	;;#ASMEND
	v_and_b32_e32 v3, 0x7fffffff, v26
	v_and_b32_e32 v4, 0x7fffffff, v27
	;; [unrolled: 6-line block ×7, first 2 shown]
	;;#ASMSTART
	v_max3_f32 v2, v2, v3, v4

	;;#ASMEND
.LBB771_24:
	s_or_b64 exec, exec, s[2:3]
	;;#ASMSTART
	v_max_f32 v3, v2, v2 quad_perm:[1,0,3,2] row_mask:0xf bank_mask:0xf bound_ctrl:1
	;;#ASMEND
	;;#ASMSTART
	v_max_f32 v4, v3, v3 quad_perm:[2,3,0,1] row_mask:0xf bank_mask:0xf bound_ctrl:1
	;;#ASMEND
	v_and_b32_e32 v3, 7, v0
	v_cmp_eq_u32_e32 vcc, 0, v3
	v_cmp_gt_i32_e64 s[2:3], s15, v1
	s_and_b64 s[22:23], vcc, s[2:3]
	;;#ASMSTART
	v_max_f32 v2, v4, v4 row_half_mirror row_mask:0xf bank_mask:0xf bound_ctrl:1
	;;#ASMEND
	s_and_saveexec_b64 s[2:3], s[22:23]
	s_cbranch_execz .LBB771_26
; %bb.25:
	s_load_dwordx2 s[22:23], s[4:5], 0x8
	v_mul_f32_e32 v2, 0x3e2aaaab, v2
	v_lshrrev_b32_e32 v3, 23, v2
	v_and_b32_e32 v4, 0x7f800000, v2
	v_and_b32_e32 v2, 0x7fffff, v2
	v_cmp_ne_u32_e32 vcc, 0, v2
	s_mul_i32 s12, s25, s6
	s_mov_b32 s7, 0x7f800000
	v_addc_co_u32_e32 v2, vcc, 0, v3, vcc
	s_mul_hi_i32 s11, s25, s6
	s_waitcnt lgkmcnt(0)
	s_add_u32 s22, s22, s12
	v_cmp_ne_u32_e32 vcc, s7, v4
	s_addc_u32 s23, s23, s11
	v_lshrrev_b32_e32 v5, 3, v0
	v_cndmask_b32_e32 v4, -1, v2, vcc
	v_pk_mov_b32 v[2:3], s[22:23], s[22:23] op_sel:[0,1]
	v_mad_i64_i32 v[2:3], s[22:23], s26, v5, v[2:3]
	global_store_byte v[2:3], v4, off
.LBB771_26:
	s_or_b64 exec, exec, s[2:3]
	s_and_saveexec_b64 s[2:3], s[0:1]
	s_cbranch_execz .LBB771_28
; %bb.27:
	s_load_dwordx2 s[0:1], s[4:5], 0x0
	s_mul_i32 s11, s24, s6
	s_mul_hi_i32 s7, s24, s6
	v_mov_b32_e32 v2, 0
	v_lshlrev_b32_e32 v4, 3, v0
	s_waitcnt lgkmcnt(0)
	s_add_u32 s24, s0, s11
	s_addc_u32 s0, s1, s7
	s_lshr_b32 s1, s15, 31
	s_add_i32 s1, s15, s1
	s_ashr_i32 s1, s1, 1
	s_add_i32 s1, s1, 3
	s_ashr_i32 s7, s1, 31
	s_lshr_b32 s7, s7, 30
	s_add_i32 s1, s1, s7
	s_and_b32 s26, s1, -4
	s_and_b32 s25, s0, 0xffff
	s_mov_b32 s27, 0x20000
	v_mov_b32_e32 v3, v2
	buffer_store_dwordx2 v[2:3], v4, s[24:27], 0 offen
	;;#ASMSTART
	s_nop 0
	;;#ASMEND
.LBB771_28:
	s_or_b64 exec, exec, s[2:3]
	s_cmp_lt_i32 s16, 1
	s_cbranch_scc1 .LBB771_17
.LBB771_29:
	s_load_dword s0, s[4:5], 0x94
	s_waitcnt lgkmcnt(0)
	s_cmp_lg_u32 s0, 1
	s_cbranch_scc1 .LBB771_17
; %bb.30:
	s_lshl_b32 s0, s16, 1
	s_add_i32 s0, s0, 2
	v_cmp_gt_u32_e32 vcc, s16, v1
	s_and_b32 s22, s0, -4
	v_mov_b32_e32 v18, 0
	v_lshlrev_b32_e32 v1, 5, v0
	s_waitcnt vmcnt(2)
	v_mov_b32_e32 v14, 0
	v_mov_b32_e32 v15, 0
	;; [unrolled: 1-line block ×8, first 2 shown]
	s_waitcnt vmcnt(1)
	v_mov_b32_e32 v6, 0
	v_mov_b32_e32 v7, 0
	;; [unrolled: 1-line block ×4, first 2 shown]
	s_waitcnt vmcnt(0)
	v_mov_b32_e32 v2, 0
	v_mov_b32_e32 v3, 0
	;; [unrolled: 1-line block ×4, first 2 shown]
	s_barrier
	s_and_saveexec_b64 s[0:1], vcc
	s_cbranch_execz .LBB771_32
; %bb.31:
	s_mul_hi_i32 s3, s18, s6
	s_mul_i32 s2, s18, s6
	s_and_b32 s21, s21, 0xffff
	s_lshl_b64 s[2:3], s[2:3], 1
	s_add_u32 s24, s34, s2
	s_mov_b32 s23, 0x20000
	s_addc_u32 s2, s35, s3
	s_and_b32 s25, s2, 0xffff
	s_mov_b32 s26, s22
	s_mov_b32 s27, s23
	buffer_load_dwordx4 v[14:17], v1, s[24:27], 0 offen
	buffer_load_dwordx4 v[10:13], v1, s[24:27], 16 offen
	;; [unrolled: 1-line block ×4, first 2 shown]
.LBB771_32:
	s_or_b64 exec, exec, s[0:1]
	v_mov_b32_e32 v19, 0
	v_mov_b32_e32 v32, 0
	v_mov_b32_e32 v33, 0
	v_mov_b32_e32 v30, 0
	v_mov_b32_e32 v31, 0
	v_mov_b32_e32 v28, 0
	v_mov_b32_e32 v29, 0
	v_mov_b32_e32 v26, 0
	v_mov_b32_e32 v27, 0
	v_mov_b32_e32 v24, 0
	v_mov_b32_e32 v25, 0
	v_mov_b32_e32 v22, 0
	v_mov_b32_e32 v23, 0
	v_mov_b32_e32 v20, 0
	v_mov_b32_e32 v21, 0
	s_and_saveexec_b64 s[0:1], vcc
	s_cbranch_execz .LBB771_34
; %bb.33:
	s_waitcnt vmcnt(3)
	v_cvt_f32_f16_sdwa v19, v14 dst_sel:DWORD dst_unused:UNUSED_PAD src0_sel:WORD_1
	v_cvt_f32_f16_e32 v18, v14
	v_cvt_f32_f16_sdwa v33, v15 dst_sel:DWORD dst_unused:UNUSED_PAD src0_sel:WORD_1
	v_cvt_f32_f16_e32 v32, v15
	;; [unrolled: 2-line block ×4, first 2 shown]
	s_waitcnt vmcnt(2)
	v_cvt_f32_f16_sdwa v27, v10 dst_sel:DWORD dst_unused:UNUSED_PAD src0_sel:WORD_1
	v_cvt_f32_f16_e32 v26, v10
	v_cvt_f32_f16_sdwa v25, v11 dst_sel:DWORD dst_unused:UNUSED_PAD src0_sel:WORD_1
	v_cvt_f32_f16_e32 v24, v11
	;; [unrolled: 2-line block ×4, first 2 shown]
.LBB771_34:
	s_or_b64 exec, exec, s[0:1]
	s_waitcnt vmcnt(2)
	v_mul_f32_e32 v10, v19, v19
	v_fmac_f32_e32 v10, v18, v18
	v_fmac_f32_e32 v10, v32, v32
	;; [unrolled: 1-line block ×15, first 2 shown]
	s_nop 1
	v_mov_b32_dpp v11, v10 quad_perm:[1,0,3,2] row_mask:0xf bank_mask:0xf
	v_add_f32_e32 v10, v10, v11
	s_nop 1
	v_mov_b32_dpp v11, v10 quad_perm:[2,3,0,1] row_mask:0xf bank_mask:0xf
	v_add_f32_e32 v10, v10, v11
	s_nop 1
	v_mov_b32_dpp v11, v10 row_half_mirror row_mask:0xf bank_mask:0xf
	v_add_f32_e32 v10, v10, v11
	s_nop 1
	v_mov_b32_dpp v11, v10 row_mirror row_mask:0xf bank_mask:0xf
	v_add_f32_e32 v10, v10, v11
	s_nop 1
	v_mov_b32_dpp v11, v10 row_bcast:15 row_mask:0xf bank_mask:0xf
	v_add_f32_e32 v10, v10, v11
	s_nop 1
	v_mov_b32_dpp v11, v10 row_bcast:31 row_mask:0xf bank_mask:0xf
	s_and_saveexec_b64 s[0:1], s[8:9]
	s_cbranch_execz .LBB771_36
; %bb.35:
	v_lshrrev_b32_e32 v0, 4, v0
	v_add_f32_e32 v10, v10, v11
	v_and_b32_e32 v0, 60, v0
	ds_write_b32 v0, v10
.LBB771_36:
	s_or_b64 exec, exec, s[0:1]
	s_waitcnt lgkmcnt(0)
	s_barrier
	ds_read_b32 v0, v34
	s_waitcnt lgkmcnt(0)
	s_nop 0
	v_mov_b32_dpp v10, v0 quad_perm:[1,0,3,2] row_mask:0xf bank_mask:0xf
	v_add_f32_e32 v0, v0, v10
	s_nop 1
	v_mov_b32_dpp v10, v0 quad_perm:[2,3,0,1] row_mask:0xf bank_mask:0xf
	s_and_saveexec_b64 s[0:1], vcc
	s_cbranch_execz .LBB771_17
; %bb.37:
	v_cvt_f32_u32_e32 v11, s16
	v_add_f32_e32 v0, v0, v10
	s_mov_b32 s23, 0x20000
	v_div_scale_f32 v10, s[0:1], v11, v11, v0
	v_rcp_f32_e32 v12, v10
	v_div_scale_f32 v13, vcc, v0, v11, v0
	s_mov_b32 s0, 0x800000
	v_fma_f32 v14, -v10, v12, 1.0
	v_fmac_f32_e32 v12, v14, v12
	v_mul_f32_e32 v14, v13, v12
	v_fma_f32 v15, -v10, v14, v13
	v_fmac_f32_e32 v14, v15, v12
	v_fma_f32 v10, -v10, v14, v13
	v_div_fmas_f32 v10, v10, v12, v14
	v_div_fixup_f32 v0, v10, v11, v0
	v_add_f32_e32 v0, s13, v0
	v_mul_f32_e32 v10, 0x4b800000, v0
	v_cmp_gt_f32_e32 vcc, s0, v0
	v_cndmask_b32_e32 v0, v0, v10, vcc
	v_rsq_f32_e32 v0, v0
	s_mul_hi_i32 s1, s10, s6
	s_mul_i32 s0, s10, s6
	s_lshl_b64 s[0:1], s[0:1], 1
	v_mul_f32_e32 v10, 0x45800000, v0
	v_cndmask_b32_e32 v10, v0, v10, vcc
	v_mov_b32_e32 v11, v10
	;;#ASMSTART
	v_pk_mul_f32 v[12:13], v[18:19], v[10:11]
	;;#ASMEND
	;;#ASMSTART
	v_pk_mul_f32 v[14:15], v[32:33], v[10:11]
	;;#ASMEND
	;; [unrolled: 3-line block ×4, first 2 shown]
	s_waitcnt vmcnt(1)
	v_cvt_f32_f16_sdwa v29, v6 dst_sel:DWORD dst_unused:UNUSED_PAD src0_sel:WORD_1
	v_cvt_f32_f16_e32 v28, v6
	v_cvt_f32_f16_sdwa v31, v7 dst_sel:DWORD dst_unused:UNUSED_PAD src0_sel:WORD_1
	v_cvt_f32_f16_e32 v30, v7
	;;#ASMSTART
	v_pk_mul_f32 v[26:27], v[26:27], v[10:11]
	;;#ASMEND
	;;#ASMSTART
	v_pk_mul_f32 v[24:25], v[24:25], v[10:11]
	;;#ASMEND
	;;#ASMSTART
	v_pk_mul_f32 v[22:23], v[22:23], v[10:11]
	;;#ASMEND
	;;#ASMSTART
	v_pk_mul_f32 v[6:7], v[20:21], v[10:11]
	;;#ASMEND
	v_cvt_f32_f16_sdwa v21, v8 dst_sel:DWORD dst_unused:UNUSED_PAD src0_sel:WORD_1
	v_cvt_f32_f16_e32 v20, v8
	v_pk_add_f32 v[10:11], v[28:29], 1.0 op_sel_hi:[1,0]
	;;#ASMSTART
	v_pk_mul_f32 v[10:11], v[12:13], v[10:11]
	;;#ASMEND
	v_pk_add_f32 v[12:13], v[30:31], 1.0 op_sel_hi:[1,0]
	v_cvt_f32_f16_sdwa v29, v9 dst_sel:DWORD dst_unused:UNUSED_PAD src0_sel:WORD_1
	v_cvt_f32_f16_e32 v28, v9
	;;#ASMSTART
	v_pk_mul_f32 v[8:9], v[14:15], v[12:13]
	;;#ASMEND
	v_pk_add_f32 v[12:13], v[20:21], 1.0 op_sel_hi:[1,0]
	;;#ASMSTART
	v_pk_mul_f32 v[12:13], v[16:17], v[12:13]
	;;#ASMEND
	s_waitcnt vmcnt(0)
	v_cvt_f32_f16_sdwa v17, v2 dst_sel:DWORD dst_unused:UNUSED_PAD src0_sel:WORD_1
	v_cvt_f32_f16_e32 v16, v2
	v_cvt_f32_f16_sdwa v21, v3 dst_sel:DWORD dst_unused:UNUSED_PAD src0_sel:WORD_1
	v_cvt_f32_f16_e32 v20, v3
	v_pk_add_f32 v[14:15], v[28:29], 1.0 op_sel_hi:[1,0]
	;;#ASMSTART
	v_pk_mul_f32 v[2:3], v[18:19], v[14:15]
	;;#ASMEND
	v_cvt_f32_f16_sdwa v19, v4 dst_sel:DWORD dst_unused:UNUSED_PAD src0_sel:WORD_1
	v_cvt_f32_f16_e32 v18, v4
	v_pk_add_f32 v[14:15], v[16:17], 1.0 op_sel_hi:[1,0]
	v_pk_add_f32 v[16:17], v[20:21], 1.0 op_sel_hi:[1,0]
	v_cvt_f32_f16_sdwa v21, v5 dst_sel:DWORD dst_unused:UNUSED_PAD src0_sel:WORD_1
	v_cvt_f32_f16_e32 v20, v5
	v_pk_add_f32 v[4:5], v[18:19], 1.0 op_sel_hi:[1,0]
	;;#ASMSTART
	v_pk_mul_f32 v[14:15], v[26:27], v[14:15]
	;;#ASMEND
	;;#ASMSTART
	v_pk_mul_f32 v[16:17], v[24:25], v[16:17]
	;;#ASMEND
	;; [unrolled: 3-line block ×3, first 2 shown]
	v_pk_add_f32 v[4:5], v[20:21], 1.0 op_sel_hi:[1,0]
	;;#ASMSTART
	v_pk_mul_f32 v[6:7], v[6:7], v[4:5]
	;;#ASMEND
	v_cvt_f16_f32_e32 v0, v10
	v_cvt_f16_f32_e32 v4, v11
	;; [unrolled: 1-line block ×8, first 2 shown]
	s_add_u32 s20, s36, s0
	s_addc_u32 s0, s37, s1
	s_and_b32 s21, s0, 0xffff
	v_pack_b32_f16 v2, v0, v4
	v_pack_b32_f16 v3, v5, v8
	;; [unrolled: 1-line block ×4, first 2 shown]
	buffer_store_dwordx4 v[2:5], v1, s[20:23], 0 offen
	v_cvt_f16_f32_e32 v0, v14
	v_cvt_f16_f32_e32 v2, v15
	;; [unrolled: 1-line block ×8, first 2 shown]
	v_pack_b32_f16 v2, v0, v2
	v_pack_b32_f16 v3, v3, v4
	;; [unrolled: 1-line block ×4, first 2 shown]
	;;#ASMSTART
	s_nop 0
	;;#ASMEND
	buffer_store_dwordx4 v[2:5], v1, s[20:23], 16 offen
	;;#ASMSTART
	s_nop 0
	;;#ASMEND
	s_endpgm
	.section	.rodata,"a",@progbits
	.p2align	6, 0x0
	.amdhsa_kernel _ZN5aiter35fused_qk_rmsnorm_group_quant_kernelIDF16_N4opus5fp4_tELi256ELi16ELi8ELb1ELb0ELb1ELb0ELb0ELb0EEEvPT0_PvPT_S7_S7_PKS6_S9_S9_S9_S9_ffiiiiiiiiiiiii
		.amdhsa_group_segment_fixed_size 32
		.amdhsa_private_segment_fixed_size 0
		.amdhsa_kernarg_size 400
		.amdhsa_user_sgpr_count 6
		.amdhsa_user_sgpr_private_segment_buffer 1
		.amdhsa_user_sgpr_dispatch_ptr 0
		.amdhsa_user_sgpr_queue_ptr 0
		.amdhsa_user_sgpr_kernarg_segment_ptr 1
		.amdhsa_user_sgpr_dispatch_id 0
		.amdhsa_user_sgpr_flat_scratch_init 0
		.amdhsa_user_sgpr_kernarg_preload_length 0
		.amdhsa_user_sgpr_kernarg_preload_offset 0
		.amdhsa_user_sgpr_private_segment_size 0
		.amdhsa_uses_dynamic_stack 0
		.amdhsa_system_sgpr_private_segment_wavefront_offset 0
		.amdhsa_system_sgpr_workgroup_id_x 1
		.amdhsa_system_sgpr_workgroup_id_y 1
		.amdhsa_system_sgpr_workgroup_id_z 0
		.amdhsa_system_sgpr_workgroup_info 0
		.amdhsa_system_vgpr_workitem_id 0
		.amdhsa_next_free_vgpr 49
		.amdhsa_next_free_sgpr 40
		.amdhsa_accum_offset 52
		.amdhsa_reserve_vcc 1
		.amdhsa_reserve_flat_scratch 0
		.amdhsa_float_round_mode_32 0
		.amdhsa_float_round_mode_16_64 0
		.amdhsa_float_denorm_mode_32 3
		.amdhsa_float_denorm_mode_16_64 3
		.amdhsa_dx10_clamp 1
		.amdhsa_ieee_mode 1
		.amdhsa_fp16_overflow 0
		.amdhsa_tg_split 0
		.amdhsa_exception_fp_ieee_invalid_op 0
		.amdhsa_exception_fp_denorm_src 0
		.amdhsa_exception_fp_ieee_div_zero 0
		.amdhsa_exception_fp_ieee_overflow 0
		.amdhsa_exception_fp_ieee_underflow 0
		.amdhsa_exception_fp_ieee_inexact 0
		.amdhsa_exception_int_div_zero 0
	.end_amdhsa_kernel
	.section	.text._ZN5aiter35fused_qk_rmsnorm_group_quant_kernelIDF16_N4opus5fp4_tELi256ELi16ELi8ELb1ELb0ELb1ELb0ELb0ELb0EEEvPT0_PvPT_S7_S7_PKS6_S9_S9_S9_S9_ffiiiiiiiiiiiii,"axG",@progbits,_ZN5aiter35fused_qk_rmsnorm_group_quant_kernelIDF16_N4opus5fp4_tELi256ELi16ELi8ELb1ELb0ELb1ELb0ELb0ELb0EEEvPT0_PvPT_S7_S7_PKS6_S9_S9_S9_S9_ffiiiiiiiiiiiii,comdat
.Lfunc_end771:
	.size	_ZN5aiter35fused_qk_rmsnorm_group_quant_kernelIDF16_N4opus5fp4_tELi256ELi16ELi8ELb1ELb0ELb1ELb0ELb0ELb0EEEvPT0_PvPT_S7_S7_PKS6_S9_S9_S9_S9_ffiiiiiiiiiiiii, .Lfunc_end771-_ZN5aiter35fused_qk_rmsnorm_group_quant_kernelIDF16_N4opus5fp4_tELi256ELi16ELi8ELb1ELb0ELb1ELb0ELb0ELb0EEEvPT0_PvPT_S7_S7_PKS6_S9_S9_S9_S9_ffiiiiiiiiiiiii
                                        ; -- End function
	.section	.AMDGPU.csdata,"",@progbits
; Kernel info:
; codeLenInByte = 3888
; NumSgprs: 44
; NumVgprs: 49
; NumAgprs: 0
; TotalNumVgprs: 49
; ScratchSize: 0
; MemoryBound: 0
; FloatMode: 240
; IeeeMode: 1
; LDSByteSize: 32 bytes/workgroup (compile time only)
; SGPRBlocks: 5
; VGPRBlocks: 6
; NumSGPRsForWavesPerEU: 44
; NumVGPRsForWavesPerEU: 49
; AccumOffset: 52
; Occupancy: 8
; WaveLimiterHint : 0
; COMPUTE_PGM_RSRC2:SCRATCH_EN: 0
; COMPUTE_PGM_RSRC2:USER_SGPR: 6
; COMPUTE_PGM_RSRC2:TRAP_HANDLER: 0
; COMPUTE_PGM_RSRC2:TGID_X_EN: 1
; COMPUTE_PGM_RSRC2:TGID_Y_EN: 1
; COMPUTE_PGM_RSRC2:TGID_Z_EN: 0
; COMPUTE_PGM_RSRC2:TIDIG_COMP_CNT: 0
; COMPUTE_PGM_RSRC3_GFX90A:ACCUM_OFFSET: 12
; COMPUTE_PGM_RSRC3_GFX90A:TG_SPLIT: 0
	.section	.text._ZN5aiter35fused_qk_rmsnorm_group_quant_kernelItN4opus5fp4_tELi256ELi16ELi8ELb1ELb0ELb1ELb0ELb0ELb0EEEvPT0_PvPT_S7_S7_PKS6_S9_S9_S9_S9_ffiiiiiiiiiiiii,"axG",@progbits,_ZN5aiter35fused_qk_rmsnorm_group_quant_kernelItN4opus5fp4_tELi256ELi16ELi8ELb1ELb0ELb1ELb0ELb0ELb0EEEvPT0_PvPT_S7_S7_PKS6_S9_S9_S9_S9_ffiiiiiiiiiiiii,comdat
	.protected	_ZN5aiter35fused_qk_rmsnorm_group_quant_kernelItN4opus5fp4_tELi256ELi16ELi8ELb1ELb0ELb1ELb0ELb0ELb0EEEvPT0_PvPT_S7_S7_PKS6_S9_S9_S9_S9_ffiiiiiiiiiiiii ; -- Begin function _ZN5aiter35fused_qk_rmsnorm_group_quant_kernelItN4opus5fp4_tELi256ELi16ELi8ELb1ELb0ELb1ELb0ELb0ELb0EEEvPT0_PvPT_S7_S7_PKS6_S9_S9_S9_S9_ffiiiiiiiiiiiii
	.globl	_ZN5aiter35fused_qk_rmsnorm_group_quant_kernelItN4opus5fp4_tELi256ELi16ELi8ELb1ELb0ELb1ELb0ELb0ELb0EEEvPT0_PvPT_S7_S7_PKS6_S9_S9_S9_S9_ffiiiiiiiiiiiii
	.p2align	8
	.type	_ZN5aiter35fused_qk_rmsnorm_group_quant_kernelItN4opus5fp4_tELi256ELi16ELi8ELb1ELb0ELb1ELb0ELb0ELb0EEEvPT0_PvPT_S7_S7_PKS6_S9_S9_S9_S9_ffiiiiiiiiiiiii,@function
_ZN5aiter35fused_qk_rmsnorm_group_quant_kernelItN4opus5fp4_tELi256ELi16ELi8ELb1ELb0ELb1ELb0ELb0ELb0EEEvPT0_PvPT_S7_S7_PKS6_S9_S9_S9_S9_ffiiiiiiiiiiiii: ; @_ZN5aiter35fused_qk_rmsnorm_group_quant_kernelItN4opus5fp4_tELi256ELi16ELi8ELb1ELb0ELb1ELb0ELb0ELb0EEEvPT0_PvPT_S7_S7_PKS6_S9_S9_S9_S9_ffiiiiiiiiiiiii
; %bb.0:
	s_load_dwordx8 s[12:19], s[4:5], 0x50
	s_waitcnt lgkmcnt(0)
	s_cmp_ge_i32 s6, s14
	s_cbranch_scc1 .LBB772_17
; %bb.1:
	s_cmp_lg_u32 s7, 0
	s_cselect_b64 s[22:23], -1, 0
	s_cmp_eq_u32 s7, 0
	s_cselect_b64 s[2:3], -1, 0
	s_and_b64 s[0:1], s[2:3], exec
	s_load_dwordx2 s[20:21], s[4:5], 0x48
	s_load_dwordx2 s[34:35], s[4:5], 0x30
	s_load_dwordx4 s[24:27], s[4:5], 0x70
	s_cselect_b32 s7, s15, s16
	s_add_i32 s0, s7, 1
	s_lshr_b32 s1, s0, 31
	s_add_i32 s0, s0, s1
	s_lshl_b32 s0, s0, 1
	v_lshlrev_b32_e32 v1, 4, v0
	s_and_b32 s30, s0, -4
	v_cmp_gt_i32_e64 s[0:1], s7, v1
	v_mov_b32_e32 v62, 0
	v_mov_b32_e32 v63, 0
	;; [unrolled: 1-line block ×16, first 2 shown]
	s_and_saveexec_b64 s[8:9], s[0:1]
	s_cbranch_execz .LBB772_3
; %bb.2:
	s_load_dwordx2 s[10:11], s[4:5], 0x28
	s_load_dwordx2 s[28:29], s[4:5], 0x40
	s_and_b64 s[36:37], s[2:3], exec
	s_cselect_b32 s14, s17, s18
	s_mov_b32 s31, 0x20000
	s_waitcnt lgkmcnt(0)
	s_cselect_b32 s17, s11, s35
	s_cselect_b32 s27, s10, s34
	s_mul_hi_i32 s11, s14, s6
	s_mul_i32 s10, s14, s6
	s_lshl_b64 s[10:11], s[10:11], 1
	s_add_u32 s36, s27, s10
	s_addc_u32 s14, s17, s11
	s_and_b64 s[10:11], s[2:3], exec
	s_cselect_b32 s28, s28, s20
	s_cselect_b32 s10, s29, s21
	s_and_b32 s37, s14, 0xffff
	s_mov_b32 s38, s30
	s_mov_b32 s39, s31
	v_lshlrev_b32_e32 v2, 5, v0
	s_and_b32 s29, s10, 0xffff
	buffer_load_dwordx4 v[66:69], v2, s[36:39], 0 offen
	buffer_load_dwordx4 v[70:73], v2, s[36:39], 16 offen
	;; [unrolled: 1-line block ×4, first 2 shown]
.LBB772_3:
	s_or_b64 exec, exec, s[8:9]
	s_load_dwordx2 s[10:11], s[4:5], 0x80
	s_and_b64 vcc, exec, s[22:23]
	s_cbranch_vccz .LBB772_7
; %bb.4:
	v_mov_b32_e32 v75, 0
	v_mov_b32_e32 v74, 0
	;; [unrolled: 1-line block ×16, first 2 shown]
	s_and_saveexec_b64 s[8:9], s[0:1]
	s_cbranch_execz .LBB772_6
; %bb.5:
	s_waitcnt vmcnt(3)
	v_cvt_f32_u32_sdwa v2, v66 dst_sel:DWORD dst_unused:UNUSED_PAD src0_sel:WORD_0
	v_cvt_f32_u32_sdwa v3, v66 dst_sel:DWORD dst_unused:UNUSED_PAD src0_sel:WORD_1
	v_cvt_f32_u32_sdwa v6, v67 dst_sel:DWORD dst_unused:UNUSED_PAD src0_sel:WORD_0
	v_cvt_f32_u32_sdwa v7, v67 dst_sel:DWORD dst_unused:UNUSED_PAD src0_sel:WORD_1
	;; [unrolled: 2-line block ×4, first 2 shown]
	s_waitcnt vmcnt(2)
	v_cvt_f32_u32_sdwa v50, v70 dst_sel:DWORD dst_unused:UNUSED_PAD src0_sel:WORD_0
	v_cvt_f32_u32_sdwa v51, v70 dst_sel:DWORD dst_unused:UNUSED_PAD src0_sel:WORD_1
	v_cvt_f32_u32_sdwa v24, v71 dst_sel:DWORD dst_unused:UNUSED_PAD src0_sel:WORD_0
	v_cvt_f32_u32_sdwa v25, v71 dst_sel:DWORD dst_unused:UNUSED_PAD src0_sel:WORD_1
	;; [unrolled: 2-line block ×4, first 2 shown]
.LBB772_6:
	s_or_b64 exec, exec, s[8:9]
	s_cbranch_execz .LBB772_8
	s_branch .LBB772_11
.LBB772_7:
                                        ; implicit-def: $vgpr2_vgpr3_vgpr4_vgpr5_vgpr6_vgpr7_vgpr8_vgpr9_vgpr10_vgpr11_vgpr12_vgpr13_vgpr14_vgpr15_vgpr16_vgpr17
                                        ; implicit-def: $vgpr36_vgpr37_vgpr38_vgpr39_vgpr40_vgpr41_vgpr42_vgpr43_vgpr44_vgpr45_vgpr46_vgpr47_vgpr48_vgpr49_vgpr50_vgpr51
                                        ; implicit-def: $vgpr4_vgpr5_vgpr6_vgpr7_vgpr8_vgpr9_vgpr10_vgpr11_vgpr12_vgpr13_vgpr14_vgpr15_vgpr16_vgpr17_vgpr18_vgpr19
                                        ; implicit-def: $vgpr24_vgpr25_vgpr26_vgpr27_vgpr28_vgpr29_vgpr30_vgpr31_vgpr32_vgpr33_vgpr34_vgpr35_vgpr36_vgpr37_vgpr38_vgpr39
                                        ; implicit-def: $vgpr75
                                        ; implicit-def: $vgpr42_vgpr43_vgpr44_vgpr45_vgpr46_vgpr47_vgpr48_vgpr49_vgpr50_vgpr51_vgpr52_vgpr53_vgpr54_vgpr55_vgpr56_vgpr57
                                        ; implicit-def: $vgpr14_vgpr15_vgpr16_vgpr17_vgpr18_vgpr19_vgpr20_vgpr21_vgpr22_vgpr23_vgpr24_vgpr25_vgpr26_vgpr27_vgpr28_vgpr29
                                        ; implicit-def: $vgpr8_vgpr9_vgpr10_vgpr11_vgpr12_vgpr13_vgpr14_vgpr15_vgpr16_vgpr17_vgpr18_vgpr19_vgpr20_vgpr21_vgpr22_vgpr23
.LBB772_8:
	v_mov_b32_e32 v75, 0
	v_mov_b32_e32 v74, 0
	;; [unrolled: 1-line block ×16, first 2 shown]
	s_and_saveexec_b64 s[8:9], s[0:1]
	s_cbranch_execz .LBB772_10
; %bb.9:
	s_load_dwordx2 s[28:29], s[4:5], 0x38
	s_mul_hi_i32 s37, s19, s6
	s_mul_i32 s36, s19, s6
	s_lshl_b64 s[36:37], s[36:37], 1
	s_mov_b32 s31, 0x20000
	s_waitcnt lgkmcnt(0)
	s_add_u32 s28, s28, s36
	s_addc_u32 s14, s29, s37
	s_and_b32 s29, s14, 0xffff
	v_lshlrev_b32_e32 v38, 5, v0
	buffer_load_dwordx4 v[6:9], v38, s[28:31], 16 offen
	buffer_load_dwordx4 v[10:13], v38, s[28:31], 0 offen
	s_load_dwordx2 s[28:29], s[4:5], 0x20
	s_waitcnt vmcnt(5)
	v_cvt_f32_u32_sdwa v3, v66 dst_sel:DWORD dst_unused:UNUSED_PAD src0_sel:WORD_1
	v_cvt_f32_u32_sdwa v2, v66 dst_sel:DWORD dst_unused:UNUSED_PAD src0_sel:WORD_0
	v_cvt_f32_u32_sdwa v21, v67 dst_sel:DWORD dst_unused:UNUSED_PAD src0_sel:WORD_1
	v_cvt_f32_u32_sdwa v20, v67 dst_sel:DWORD dst_unused:UNUSED_PAD src0_sel:WORD_0
	;; [unrolled: 2-line block ×4, first 2 shown]
	s_waitcnt vmcnt(4)
	v_cvt_f32_u32_sdwa v5, v70 dst_sel:DWORD dst_unused:UNUSED_PAD src0_sel:WORD_1
	v_cvt_f32_u32_sdwa v4, v70 dst_sel:DWORD dst_unused:UNUSED_PAD src0_sel:WORD_0
	v_cvt_f32_u32_sdwa v15, v71 dst_sel:DWORD dst_unused:UNUSED_PAD src0_sel:WORD_1
	v_cvt_f32_u32_sdwa v14, v71 dst_sel:DWORD dst_unused:UNUSED_PAD src0_sel:WORD_0
	;; [unrolled: 2-line block ×3, first 2 shown]
	v_cvt_f32_u32_sdwa v18, v73 dst_sel:DWORD dst_unused:UNUSED_PAD src0_sel:WORD_0
	v_cvt_f32_u32_sdwa v19, v73 dst_sel:DWORD dst_unused:UNUSED_PAD src0_sel:WORD_1
	s_mul_hi_i32 s37, s11, s6
	s_mul_i32 s36, s11, s6
	s_lshl_b64 s[36:37], s[36:37], 1
	s_waitcnt lgkmcnt(0)
	s_add_u32 s28, s28, s36
	s_mov_b32 s11, 0x7060302
	s_addc_u32 s14, s29, s37
	s_and_b32 s29, s14, 0xffff
	s_waitcnt vmcnt(1)
	v_cvt_f32_u32_sdwa v27, v6 dst_sel:DWORD dst_unused:UNUSED_PAD src0_sel:WORD_1
	v_cvt_f32_u32_sdwa v26, v6 dst_sel:DWORD dst_unused:UNUSED_PAD src0_sel:WORD_0
	v_cvt_f32_u32_sdwa v29, v7 dst_sel:DWORD dst_unused:UNUSED_PAD src0_sel:WORD_1
	v_cvt_f32_u32_sdwa v28, v7 dst_sel:DWORD dst_unused:UNUSED_PAD src0_sel:WORD_0
	;; [unrolled: 2-line block ×3, first 2 shown]
	v_cvt_f32_u32_sdwa v34, v9 dst_sel:DWORD dst_unused:UNUSED_PAD src0_sel:WORD_0
	v_cvt_f32_u32_sdwa v35, v9 dst_sel:DWORD dst_unused:UNUSED_PAD src0_sel:WORD_1
	s_waitcnt vmcnt(0)
	v_cvt_f32_u32_sdwa v37, v10 dst_sel:DWORD dst_unused:UNUSED_PAD src0_sel:WORD_1
	v_cvt_f32_u32_sdwa v36, v10 dst_sel:DWORD dst_unused:UNUSED_PAD src0_sel:WORD_0
	v_cvt_f32_u32_sdwa v7, v12 dst_sel:DWORD dst_unused:UNUSED_PAD src0_sel:WORD_1
	v_cvt_f32_u32_sdwa v6, v12 dst_sel:DWORD dst_unused:UNUSED_PAD src0_sel:WORD_0
	;; [unrolled: 2-line block ×4, first 2 shown]
	v_pk_add_f32 v[40:41], v[22:23], v[6:7]
	v_pk_add_f32 v[30:31], v[24:25], v[8:9]
	;; [unrolled: 1-line block ×4, first 2 shown]
	v_perm_b32 v11, v31, v30, s11
	v_perm_b32 v10, v41, v40, s11
	;; [unrolled: 1-line block ×4, first 2 shown]
	v_pk_add_f32 v[74:75], v[18:19], v[34:35]
	v_pk_add_f32 v[20:21], v[16:17], v[32:33]
	;; [unrolled: 1-line block ×4, first 2 shown]
	buffer_store_dwordx4 v[8:11], v38, s[28:31], 0 offen
	;;#ASMSTART
	s_nop 0
	;;#ASMEND
	s_nop 0
	v_perm_b32 v11, v75, v74, s11
	v_perm_b32 v10, v21, v20, s11
	;; [unrolled: 1-line block ×4, first 2 shown]
	buffer_store_dwordx4 v[8:11], v38, s[28:31], 16 offen
	;;#ASMSTART
	s_nop 0
	;;#ASMEND
.LBB772_10:
	s_or_b64 exec, exec, s[8:9]
.LBB772_11:
	v_mul_f32_e32 v4, v3, v3
	v_fmac_f32_e32 v4, v2, v2
	v_fmac_f32_e32 v4, v6, v6
	;; [unrolled: 1-line block ×15, first 2 shown]
	s_nop 1
	v_mov_b32_dpp v5, v4 quad_perm:[1,0,3,2] row_mask:0xf bank_mask:0xf
	v_add_f32_e32 v4, v4, v5
	s_nop 1
	v_mov_b32_dpp v5, v4 quad_perm:[2,3,0,1] row_mask:0xf bank_mask:0xf
	v_add_f32_e32 v4, v4, v5
	s_nop 1
	v_mov_b32_dpp v5, v4 row_half_mirror row_mask:0xf bank_mask:0xf
	v_add_f32_e32 v4, v4, v5
	s_nop 1
	v_mov_b32_dpp v5, v4 row_mirror row_mask:0xf bank_mask:0xf
	v_add_f32_e32 v4, v4, v5
	s_nop 1
	v_mov_b32_dpp v5, v4 row_bcast:15 row_mask:0xf bank_mask:0xf
	v_add_f32_e32 v4, v4, v5
	v_and_b32_e32 v5, 63, v0
	v_cmp_eq_u32_e64 s[8:9], 63, v5
	s_nop 0
	v_mov_b32_dpp v5, v4 row_bcast:31 row_mask:0xf bank_mask:0xf
	s_and_saveexec_b64 s[28:29], s[8:9]
	s_cbranch_execz .LBB772_13
; %bb.12:
	v_add_f32_e32 v4, v4, v5
	v_lshrrev_b32_e32 v5, 4, v0
	v_and_b32_e32 v5, 60, v5
	ds_write_b32 v5, v4 offset:16
.LBB772_13:
	s_or_b64 exec, exec, s[28:29]
	v_and_b32_e32 v4, 3, v0
	v_lshlrev_b32_e32 v34, 2, v4
	s_waitcnt lgkmcnt(0)
	s_barrier
	ds_read_b32 v4, v34 offset:16
	s_load_dwordx2 s[36:37], s[4:5], 0x18
	s_waitcnt lgkmcnt(0)
	v_mov_b32_dpp v5, v4 quad_perm:[1,0,3,2] row_mask:0xf bank_mask:0xf
	v_add_f32_e32 v4, v4, v5
	s_nop 1
	v_mov_b32_dpp v5, v4 quad_perm:[2,3,0,1] row_mask:0xf bank_mask:0xf
	s_and_saveexec_b64 s[28:29], s[0:1]
	s_cbranch_execnz .LBB772_18
; %bb.14:
	s_or_b64 exec, exec, s[28:29]
	s_mov_b64 s[2:3], -1
	s_and_b64 vcc, exec, s[22:23]
	s_cbranch_vccnz .LBB772_19
.LBB772_15:
	s_andn2_b64 vcc, exec, s[2:3]
	s_cbranch_vccz .LBB772_22
.LBB772_16:
	s_cmp_lt_i32 s16, 1
	s_cbranch_scc0 .LBB772_29
.LBB772_17:
	s_endpgm
.LBB772_18:
	v_add_f32_e32 v4, v4, v5
	v_cvt_f32_u32_e32 v5, s7
	s_waitcnt vmcnt(1)
	v_cvt_f32_u32_sdwa v15, v62 dst_sel:DWORD dst_unused:UNUSED_PAD src0_sel:WORD_1
	v_cvt_f32_u32_sdwa v14, v62 dst_sel:DWORD dst_unused:UNUSED_PAD src0_sel:WORD_0
	v_cvt_f32_u32_sdwa v23, v65 dst_sel:DWORD dst_unused:UNUSED_PAD src0_sel:WORD_1
	v_div_scale_f32 v8, s[38:39], v5, v5, v4
	v_rcp_f32_e32 v9, v8
	v_pk_add_f32 v[14:15], v[14:15], 1.0 op_sel_hi:[1,0]
	v_cvt_f32_u32_sdwa v22, v65 dst_sel:DWORD dst_unused:UNUSED_PAD src0_sel:WORD_0
	s_waitcnt vmcnt(0)
	v_cvt_f32_u32_sdwa v27, v60 dst_sel:DWORD dst_unused:UNUSED_PAD src0_sel:WORD_1
	v_fma_f32 v10, -v8, v9, 1.0
	v_fmac_f32_e32 v9, v10, v9
	v_div_scale_f32 v10, vcc, v4, v5, v4
	v_mul_f32_e32 v11, v10, v9
	v_fma_f32 v12, -v8, v11, v10
	v_fmac_f32_e32 v11, v12, v9
	v_fma_f32 v8, -v8, v11, v10
	v_div_fmas_f32 v8, v8, v9, v11
	v_div_fixup_f32 v4, v8, v5, v4
	v_mov_b32_e32 v5, s13
	v_mov_b32_e32 v8, s12
	v_cndmask_b32_e64 v5, v5, v8, s[2:3]
	v_add_f32_e32 v4, v5, v4
	s_mov_b32 s2, 0x800000
	v_mul_f32_e32 v5, 0x4b800000, v4
	v_cmp_gt_f32_e32 vcc, s2, v4
	v_cndmask_b32_e32 v4, v4, v5, vcc
	v_rsq_f32_e32 v4, v4
	v_cvt_f32_u32_sdwa v26, v60 dst_sel:DWORD dst_unused:UNUSED_PAD src0_sel:WORD_0
	v_cvt_f32_u32_sdwa v29, v61 dst_sel:DWORD dst_unused:UNUSED_PAD src0_sel:WORD_1
	v_cvt_f32_u32_sdwa v28, v61 dst_sel:DWORD dst_unused:UNUSED_PAD src0_sel:WORD_0
	v_mul_f32_e32 v5, 0x45800000, v4
	v_cndmask_b32_e32 v4, v4, v5, vcc
	v_mov_b32_e32 v5, v4
	;;#ASMSTART
	v_pk_mul_f32 v[2:3], v[2:3], v[4:5]
	;;#ASMEND
	;;#ASMSTART
	v_pk_mul_f32 v[6:7], v[6:7], v[4:5]
	;;#ASMEND
	;; [unrolled: 3-line block ×9, first 2 shown]
	v_cvt_f32_u32_sdwa v15, v63 dst_sel:DWORD dst_unused:UNUSED_PAD src0_sel:WORD_1
	v_cvt_f32_u32_sdwa v14, v63 dst_sel:DWORD dst_unused:UNUSED_PAD src0_sel:WORD_0
	v_cvt_f32_u32_sdwa v21, v64 dst_sel:DWORD dst_unused:UNUSED_PAD src0_sel:WORD_1
	v_cvt_f32_u32_sdwa v20, v64 dst_sel:DWORD dst_unused:UNUSED_PAD src0_sel:WORD_0
	v_cvt_f32_u32_sdwa v25, v59 dst_sel:DWORD dst_unused:UNUSED_PAD src0_sel:WORD_1
	v_pk_add_f32 v[14:15], v[14:15], 1.0 op_sel_hi:[1,0]
	v_cvt_f32_u32_sdwa v24, v59 dst_sel:DWORD dst_unused:UNUSED_PAD src0_sel:WORD_0
	;;#ASMSTART
	v_pk_mul_f32 v[6:7], v[6:7], v[14:15]
	;;#ASMEND
	v_pk_add_f32 v[14:15], v[20:21], 1.0 op_sel_hi:[1,0]
	v_pk_add_f32 v[20:21], v[22:23], 1.0 op_sel_hi:[1,0]
	v_cvt_f32_u32_sdwa v23, v58 dst_sel:DWORD dst_unused:UNUSED_PAD src0_sel:WORD_1
	v_cvt_f32_u32_sdwa v22, v58 dst_sel:DWORD dst_unused:UNUSED_PAD src0_sel:WORD_0
	v_pk_add_f32 v[24:25], v[24:25], 1.0 op_sel_hi:[1,0]
	v_pk_add_f32 v[26:27], v[26:27], 1.0 op_sel_hi:[1,0]
	;; [unrolled: 1-line block ×4, first 2 shown]
	;;#ASMSTART
	v_pk_mul_f32 v[40:41], v[8:9], v[14:15]
	;;#ASMEND
	;;#ASMSTART
	v_pk_mul_f32 v[30:31], v[10:11], v[20:21]
	;;#ASMEND
	;; [unrolled: 3-line block ×6, first 2 shown]
	s_or_b64 exec, exec, s[28:29]
	s_mov_b64 s[2:3], -1
	s_and_b64 vcc, exec, s[22:23]
	s_cbranch_vccz .LBB772_15
.LBB772_19:
	s_and_saveexec_b64 s[2:3], s[0:1]
	s_cbranch_execz .LBB772_21
; %bb.20:
	s_mul_hi_i32 s23, s10, s6
	s_mul_i32 s22, s10, s6
	s_lshl_b64 s[22:23], s[22:23], 1
	s_add_u32 s28, s36, s22
	s_addc_u32 s7, s37, s23
	s_and_b32 s29, s7, 0xffff
	s_mov_b32 s7, 0x7060302
	s_mov_b32 s31, 0x20000
	v_perm_b32 v11, v31, v30, s7
	v_perm_b32 v10, v41, v40, s7
	;; [unrolled: 1-line block ×4, first 2 shown]
	v_lshlrev_b32_e32 v4, 5, v0
	buffer_store_dwordx4 v[8:11], v4, s[28:31], 0 offen
	;;#ASMSTART
	s_nop 0
	;;#ASMEND
	s_nop 0
	v_perm_b32 v11, v75, v74, s7
	v_perm_b32 v10, v21, v20, s7
	v_perm_b32 v9, v25, v24, s7
	v_perm_b32 v8, v51, v50, s7
	buffer_store_dwordx4 v[8:11], v4, s[28:31], 16 offen
	;;#ASMSTART
	s_nop 0
	;;#ASMEND
.LBB772_21:
	s_or_b64 exec, exec, s[2:3]
	s_cbranch_execnz .LBB772_16
.LBB772_22:
	v_mov_b32_e32 v4, 0
	s_and_saveexec_b64 s[2:3], s[0:1]
	s_cbranch_execz .LBB772_24
; %bb.23:
	v_and_b32_e32 v2, 0x7fffffff, v2
	v_and_b32_e32 v3, 0x7fffffff, v3
	v_mov_b32_e32 v10, 0x2edbe6ff
	;;#ASMSTART
	v_max3_f32 v2, v10, v2, v3

	;;#ASMEND
	v_and_b32_e32 v4, 0x7fffffff, v6
	v_and_b32_e32 v5, 0x7fffffff, v7
	;;#ASMSTART
	v_max3_f32 v2, v2, v4, v5

	;;#ASMEND
	v_and_b32_e32 v6, 0x7fffffff, v40
	v_and_b32_e32 v7, 0x7fffffff, v41
	;;#ASMSTART
	v_max3_f32 v2, v2, v6, v7

	;;#ASMEND
	v_and_b32_e32 v8, 0x7fffffff, v30
	v_and_b32_e32 v9, 0x7fffffff, v31
	;;#ASMSTART
	v_max3_f32 v2, v2, v8, v9

	;;#ASMEND
	v_and_b32_e32 v4, 0x7fffffff, v51
	v_and_b32_e32 v3, 0x7fffffff, v50
	;;#ASMSTART
	v_max3_f32 v2, v2, v3, v4

	;;#ASMEND
	v_and_b32_e32 v4, 0x7fffffff, v25
	v_and_b32_e32 v3, 0x7fffffff, v24
	;;#ASMSTART
	v_max3_f32 v2, v2, v3, v4

	;;#ASMEND
	v_and_b32_e32 v4, 0x7fffffff, v21
	v_and_b32_e32 v3, 0x7fffffff, v20
	;;#ASMSTART
	v_max3_f32 v2, v2, v3, v4

	;;#ASMEND
	v_and_b32_e32 v4, 0x7fffffff, v75
	v_and_b32_e32 v3, 0x7fffffff, v74
	;;#ASMSTART
	v_max3_f32 v4, v2, v3, v4

	;;#ASMEND
.LBB772_24:
	s_or_b64 exec, exec, s[2:3]
	;;#ASMSTART
	v_max_f32 v2, v4, v4 quad_perm:[1,0,3,2] row_mask:0xf bank_mask:0xf bound_ctrl:1
	;;#ASMEND
	;;#ASMSTART
	v_max_f32 v3, v2, v2 quad_perm:[2,3,0,1] row_mask:0xf bank_mask:0xf bound_ctrl:1
	;;#ASMEND
	;;#ASMSTART
	v_max_f32 v2, v3, v3 row_half_mirror row_mask:0xf bank_mask:0xf bound_ctrl:1
	;;#ASMEND
	v_and_b32_e32 v3, 7, v0
	v_cmp_eq_u32_e32 vcc, 0, v3
	v_cmp_gt_i32_e64 s[2:3], s15, v1
	s_and_b64 s[22:23], vcc, s[2:3]
	s_and_saveexec_b64 s[2:3], s[22:23]
	s_cbranch_execz .LBB772_26
; %bb.25:
	s_load_dwordx2 s[22:23], s[4:5], 0x8
	v_mul_f32_e32 v2, 0x3e2aaaab, v2
	v_lshrrev_b32_e32 v3, 23, v2
	v_and_b32_e32 v4, 0x7f800000, v2
	v_and_b32_e32 v2, 0x7fffff, v2
	v_cmp_ne_u32_e32 vcc, 0, v2
	s_mul_i32 s12, s25, s6
	s_mov_b32 s7, 0x7f800000
	v_addc_co_u32_e32 v2, vcc, 0, v3, vcc
	s_mul_hi_i32 s11, s25, s6
	s_waitcnt lgkmcnt(0)
	s_add_u32 s22, s22, s12
	v_cmp_ne_u32_e32 vcc, s7, v4
	s_addc_u32 s23, s23, s11
	v_lshrrev_b32_e32 v5, 3, v0
	v_cndmask_b32_e32 v4, -1, v2, vcc
	v_pk_mov_b32 v[2:3], s[22:23], s[22:23] op_sel:[0,1]
	v_mad_i64_i32 v[2:3], s[22:23], s26, v5, v[2:3]
	global_store_byte v[2:3], v4, off
.LBB772_26:
	s_or_b64 exec, exec, s[2:3]
	s_and_saveexec_b64 s[2:3], s[0:1]
	s_cbranch_execz .LBB772_28
; %bb.27:
	s_load_dwordx2 s[0:1], s[4:5], 0x0
	s_mul_i32 s11, s24, s6
	s_mul_hi_i32 s7, s24, s6
	v_mov_b32_e32 v2, 0
	v_lshlrev_b32_e32 v4, 3, v0
	s_waitcnt lgkmcnt(0)
	s_add_u32 s24, s0, s11
	s_addc_u32 s0, s1, s7
	s_lshr_b32 s1, s15, 31
	s_add_i32 s1, s15, s1
	s_ashr_i32 s1, s1, 1
	s_add_i32 s1, s1, 3
	s_ashr_i32 s7, s1, 31
	s_lshr_b32 s7, s7, 30
	s_add_i32 s1, s1, s7
	s_and_b32 s26, s1, -4
	s_and_b32 s25, s0, 0xffff
	s_mov_b32 s27, 0x20000
	v_mov_b32_e32 v3, v2
	buffer_store_dwordx2 v[2:3], v4, s[24:27], 0 offen
	;;#ASMSTART
	s_nop 0
	;;#ASMEND
.LBB772_28:
	s_or_b64 exec, exec, s[2:3]
	s_cmp_lt_i32 s16, 1
	s_cbranch_scc1 .LBB772_17
.LBB772_29:
	s_load_dword s0, s[4:5], 0x94
	s_waitcnt lgkmcnt(0)
	s_cmp_lg_u32 s0, 1
	s_cbranch_scc1 .LBB772_17
; %bb.30:
	s_lshl_b32 s0, s16, 1
	s_add_i32 s0, s0, 2
	v_cmp_gt_u32_e32 vcc, s16, v1
	s_and_b32 s22, s0, -4
	v_mov_b32_e32 v18, 0
	v_lshlrev_b32_e32 v1, 5, v0
	v_mov_b32_e32 v14, 0
	v_mov_b32_e32 v15, 0
	;; [unrolled: 1-line block ×16, first 2 shown]
	s_barrier
	s_and_saveexec_b64 s[0:1], vcc
	s_cbranch_execz .LBB772_32
; %bb.31:
	s_mul_hi_i32 s3, s18, s6
	s_mul_i32 s2, s18, s6
	s_and_b32 s21, s21, 0xffff
	s_lshl_b64 s[2:3], s[2:3], 1
	s_add_u32 s24, s34, s2
	s_mov_b32 s23, 0x20000
	s_addc_u32 s2, s35, s3
	s_and_b32 s25, s2, 0xffff
	s_mov_b32 s26, s22
	s_mov_b32 s27, s23
	buffer_load_dwordx4 v[14:17], v1, s[24:27], 0 offen
	buffer_load_dwordx4 v[10:13], v1, s[24:27], 16 offen
	;; [unrolled: 1-line block ×4, first 2 shown]
.LBB772_32:
	s_or_b64 exec, exec, s[0:1]
	v_mov_b32_e32 v19, 0
	v_mov_b32_e32 v32, 0
	;; [unrolled: 1-line block ×15, first 2 shown]
	s_and_saveexec_b64 s[0:1], vcc
	s_cbranch_execz .LBB772_34
; %bb.33:
	s_waitcnt vmcnt(3)
	v_cvt_f32_u32_sdwa v18, v14 dst_sel:DWORD dst_unused:UNUSED_PAD src0_sel:WORD_0
	v_cvt_f32_u32_sdwa v19, v14 dst_sel:DWORD dst_unused:UNUSED_PAD src0_sel:WORD_1
	v_cvt_f32_u32_sdwa v32, v15 dst_sel:DWORD dst_unused:UNUSED_PAD src0_sel:WORD_0
	v_cvt_f32_u32_sdwa v33, v15 dst_sel:DWORD dst_unused:UNUSED_PAD src0_sel:WORD_1
	;; [unrolled: 2-line block ×4, first 2 shown]
	s_waitcnt vmcnt(2)
	v_cvt_f32_u32_sdwa v26, v10 dst_sel:DWORD dst_unused:UNUSED_PAD src0_sel:WORD_0
	v_cvt_f32_u32_sdwa v27, v10 dst_sel:DWORD dst_unused:UNUSED_PAD src0_sel:WORD_1
	v_cvt_f32_u32_sdwa v24, v11 dst_sel:DWORD dst_unused:UNUSED_PAD src0_sel:WORD_0
	v_cvt_f32_u32_sdwa v25, v11 dst_sel:DWORD dst_unused:UNUSED_PAD src0_sel:WORD_1
	;; [unrolled: 2-line block ×4, first 2 shown]
.LBB772_34:
	s_or_b64 exec, exec, s[0:1]
	s_waitcnt vmcnt(2)
	v_mul_f32_e32 v10, v19, v19
	v_fmac_f32_e32 v10, v18, v18
	v_fmac_f32_e32 v10, v32, v32
	;; [unrolled: 1-line block ×15, first 2 shown]
	s_nop 1
	v_mov_b32_dpp v11, v10 quad_perm:[1,0,3,2] row_mask:0xf bank_mask:0xf
	v_add_f32_e32 v10, v10, v11
	s_nop 1
	v_mov_b32_dpp v11, v10 quad_perm:[2,3,0,1] row_mask:0xf bank_mask:0xf
	v_add_f32_e32 v10, v10, v11
	s_nop 1
	v_mov_b32_dpp v11, v10 row_half_mirror row_mask:0xf bank_mask:0xf
	v_add_f32_e32 v10, v10, v11
	s_nop 1
	v_mov_b32_dpp v11, v10 row_mirror row_mask:0xf bank_mask:0xf
	v_add_f32_e32 v10, v10, v11
	s_nop 1
	v_mov_b32_dpp v11, v10 row_bcast:15 row_mask:0xf bank_mask:0xf
	v_add_f32_e32 v10, v10, v11
	s_nop 1
	v_mov_b32_dpp v11, v10 row_bcast:31 row_mask:0xf bank_mask:0xf
	s_and_saveexec_b64 s[0:1], s[8:9]
	s_cbranch_execz .LBB772_36
; %bb.35:
	v_lshrrev_b32_e32 v0, 4, v0
	v_add_f32_e32 v10, v10, v11
	v_and_b32_e32 v0, 60, v0
	ds_write_b32 v0, v10
.LBB772_36:
	s_or_b64 exec, exec, s[0:1]
	s_waitcnt lgkmcnt(0)
	s_barrier
	ds_read_b32 v0, v34
	s_waitcnt lgkmcnt(0)
	s_nop 0
	v_mov_b32_dpp v10, v0 quad_perm:[1,0,3,2] row_mask:0xf bank_mask:0xf
	v_add_f32_e32 v0, v0, v10
	s_nop 1
	v_mov_b32_dpp v10, v0 quad_perm:[2,3,0,1] row_mask:0xf bank_mask:0xf
	s_and_saveexec_b64 s[0:1], vcc
	s_cbranch_execz .LBB772_17
; %bb.37:
	v_cvt_f32_u32_e32 v11, s16
	v_add_f32_e32 v0, v0, v10
	s_mov_b32 s23, 0x20000
	v_div_scale_f32 v10, s[0:1], v11, v11, v0
	v_rcp_f32_e32 v12, v10
	v_div_scale_f32 v13, vcc, v0, v11, v0
	s_mov_b32 s0, 0x800000
	v_fma_f32 v14, -v10, v12, 1.0
	v_fmac_f32_e32 v12, v14, v12
	v_mul_f32_e32 v14, v13, v12
	v_fma_f32 v15, -v10, v14, v13
	v_fmac_f32_e32 v14, v15, v12
	v_fma_f32 v10, -v10, v14, v13
	v_div_fmas_f32 v10, v10, v12, v14
	v_div_fixup_f32 v0, v10, v11, v0
	v_add_f32_e32 v0, s13, v0
	v_mul_f32_e32 v10, 0x4b800000, v0
	v_cmp_gt_f32_e32 vcc, s0, v0
	v_cndmask_b32_e32 v0, v0, v10, vcc
	v_rsq_f32_e32 v0, v0
	s_mul_hi_i32 s1, s10, s6
	s_mul_i32 s0, s10, s6
	s_lshl_b64 s[0:1], s[0:1], 1
	v_mul_f32_e32 v10, 0x45800000, v0
	v_cndmask_b32_e32 v10, v0, v10, vcc
	v_mov_b32_e32 v11, v10
	;;#ASMSTART
	v_pk_mul_f32 v[12:13], v[18:19], v[10:11]
	;;#ASMEND
	;;#ASMSTART
	v_pk_mul_f32 v[14:15], v[32:33], v[10:11]
	;;#ASMEND
	;; [unrolled: 3-line block ×4, first 2 shown]
	s_waitcnt vmcnt(1)
	v_cvt_f32_u32_sdwa v29, v6 dst_sel:DWORD dst_unused:UNUSED_PAD src0_sel:WORD_1
	v_cvt_f32_u32_sdwa v28, v6 dst_sel:DWORD dst_unused:UNUSED_PAD src0_sel:WORD_0
	v_cvt_f32_u32_sdwa v31, v7 dst_sel:DWORD dst_unused:UNUSED_PAD src0_sel:WORD_1
	v_cvt_f32_u32_sdwa v30, v7 dst_sel:DWORD dst_unused:UNUSED_PAD src0_sel:WORD_0
	;;#ASMSTART
	v_pk_mul_f32 v[26:27], v[26:27], v[10:11]
	;;#ASMEND
	;;#ASMSTART
	v_pk_mul_f32 v[24:25], v[24:25], v[10:11]
	;;#ASMEND
	;; [unrolled: 3-line block ×4, first 2 shown]
	v_cvt_f32_u32_sdwa v21, v8 dst_sel:DWORD dst_unused:UNUSED_PAD src0_sel:WORD_1
	v_cvt_f32_u32_sdwa v20, v8 dst_sel:DWORD dst_unused:UNUSED_PAD src0_sel:WORD_0
	v_pk_add_f32 v[10:11], v[28:29], 1.0 op_sel_hi:[1,0]
	;;#ASMSTART
	v_pk_mul_f32 v[10:11], v[12:13], v[10:11]
	;;#ASMEND
	v_pk_add_f32 v[12:13], v[30:31], 1.0 op_sel_hi:[1,0]
	v_cvt_f32_u32_sdwa v29, v9 dst_sel:DWORD dst_unused:UNUSED_PAD src0_sel:WORD_1
	v_cvt_f32_u32_sdwa v28, v9 dst_sel:DWORD dst_unused:UNUSED_PAD src0_sel:WORD_0
	;;#ASMSTART
	v_pk_mul_f32 v[8:9], v[14:15], v[12:13]
	;;#ASMEND
	v_pk_add_f32 v[12:13], v[20:21], 1.0 op_sel_hi:[1,0]
	;;#ASMSTART
	v_pk_mul_f32 v[12:13], v[16:17], v[12:13]
	;;#ASMEND
	s_waitcnt vmcnt(0)
	v_cvt_f32_u32_sdwa v17, v2 dst_sel:DWORD dst_unused:UNUSED_PAD src0_sel:WORD_1
	v_cvt_f32_u32_sdwa v16, v2 dst_sel:DWORD dst_unused:UNUSED_PAD src0_sel:WORD_0
	v_cvt_f32_u32_sdwa v21, v3 dst_sel:DWORD dst_unused:UNUSED_PAD src0_sel:WORD_1
	v_cvt_f32_u32_sdwa v20, v3 dst_sel:DWORD dst_unused:UNUSED_PAD src0_sel:WORD_0
	v_pk_add_f32 v[14:15], v[28:29], 1.0 op_sel_hi:[1,0]
	;;#ASMSTART
	v_pk_mul_f32 v[14:15], v[18:19], v[14:15]
	;;#ASMEND
	v_pk_add_f32 v[2:3], v[16:17], 1.0 op_sel_hi:[1,0]
	v_cvt_f32_u32_sdwa v19, v4 dst_sel:DWORD dst_unused:UNUSED_PAD src0_sel:WORD_1
	v_cvt_f32_u32_sdwa v18, v4 dst_sel:DWORD dst_unused:UNUSED_PAD src0_sel:WORD_0
	;;#ASMSTART
	v_pk_mul_f32 v[16:17], v[26:27], v[2:3]
	;;#ASMEND
	v_pk_add_f32 v[2:3], v[20:21], 1.0 op_sel_hi:[1,0]
	v_cvt_f32_u32_sdwa v21, v5 dst_sel:DWORD dst_unused:UNUSED_PAD src0_sel:WORD_1
	v_cvt_f32_u32_sdwa v20, v5 dst_sel:DWORD dst_unused:UNUSED_PAD src0_sel:WORD_0
	s_add_u32 s20, s36, s0
	;;#ASMSTART
	v_pk_mul_f32 v[24:25], v[24:25], v[2:3]
	;;#ASMEND
	v_pk_add_f32 v[2:3], v[18:19], 1.0 op_sel_hi:[1,0]
	s_addc_u32 s0, s37, s1
	;;#ASMSTART
	v_pk_mul_f32 v[18:19], v[22:23], v[2:3]
	;;#ASMEND
	v_pk_add_f32 v[2:3], v[20:21], 1.0 op_sel_hi:[1,0]
	s_and_b32 s21, s0, 0xffff
	s_mov_b32 s0, 0x7060302
	;;#ASMSTART
	v_pk_mul_f32 v[6:7], v[6:7], v[2:3]
	;;#ASMEND
	v_perm_b32 v2, v11, v10, s0
	v_perm_b32 v3, v9, v8, s0
	;; [unrolled: 1-line block ×4, first 2 shown]
	buffer_store_dwordx4 v[2:5], v1, s[20:23], 0 offen
	;;#ASMSTART
	s_nop 0
	;;#ASMEND
	s_nop 0
	v_perm_b32 v2, v17, v16, s0
	v_perm_b32 v3, v25, v24, s0
	;; [unrolled: 1-line block ×4, first 2 shown]
	buffer_store_dwordx4 v[2:5], v1, s[20:23], 16 offen
	;;#ASMSTART
	s_nop 0
	;;#ASMEND
	s_endpgm
	.section	.rodata,"a",@progbits
	.p2align	6, 0x0
	.amdhsa_kernel _ZN5aiter35fused_qk_rmsnorm_group_quant_kernelItN4opus5fp4_tELi256ELi16ELi8ELb1ELb0ELb1ELb0ELb0ELb0EEEvPT0_PvPT_S7_S7_PKS6_S9_S9_S9_S9_ffiiiiiiiiiiiii
		.amdhsa_group_segment_fixed_size 32
		.amdhsa_private_segment_fixed_size 0
		.amdhsa_kernarg_size 400
		.amdhsa_user_sgpr_count 6
		.amdhsa_user_sgpr_private_segment_buffer 1
		.amdhsa_user_sgpr_dispatch_ptr 0
		.amdhsa_user_sgpr_queue_ptr 0
		.amdhsa_user_sgpr_kernarg_segment_ptr 1
		.amdhsa_user_sgpr_dispatch_id 0
		.amdhsa_user_sgpr_flat_scratch_init 0
		.amdhsa_user_sgpr_kernarg_preload_length 0
		.amdhsa_user_sgpr_kernarg_preload_offset 0
		.amdhsa_user_sgpr_private_segment_size 0
		.amdhsa_uses_dynamic_stack 0
		.amdhsa_system_sgpr_private_segment_wavefront_offset 0
		.amdhsa_system_sgpr_workgroup_id_x 1
		.amdhsa_system_sgpr_workgroup_id_y 1
		.amdhsa_system_sgpr_workgroup_id_z 0
		.amdhsa_system_sgpr_workgroup_info 0
		.amdhsa_system_vgpr_workitem_id 0
		.amdhsa_next_free_vgpr 76
		.amdhsa_next_free_sgpr 40
		.amdhsa_accum_offset 76
		.amdhsa_reserve_vcc 1
		.amdhsa_reserve_flat_scratch 0
		.amdhsa_float_round_mode_32 0
		.amdhsa_float_round_mode_16_64 0
		.amdhsa_float_denorm_mode_32 3
		.amdhsa_float_denorm_mode_16_64 3
		.amdhsa_dx10_clamp 1
		.amdhsa_ieee_mode 1
		.amdhsa_fp16_overflow 0
		.amdhsa_tg_split 0
		.amdhsa_exception_fp_ieee_invalid_op 0
		.amdhsa_exception_fp_denorm_src 0
		.amdhsa_exception_fp_ieee_div_zero 0
		.amdhsa_exception_fp_ieee_overflow 0
		.amdhsa_exception_fp_ieee_underflow 0
		.amdhsa_exception_fp_ieee_inexact 0
		.amdhsa_exception_int_div_zero 0
	.end_amdhsa_kernel
	.section	.text._ZN5aiter35fused_qk_rmsnorm_group_quant_kernelItN4opus5fp4_tELi256ELi16ELi8ELb1ELb0ELb1ELb0ELb0ELb0EEEvPT0_PvPT_S7_S7_PKS6_S9_S9_S9_S9_ffiiiiiiiiiiiii,"axG",@progbits,_ZN5aiter35fused_qk_rmsnorm_group_quant_kernelItN4opus5fp4_tELi256ELi16ELi8ELb1ELb0ELb1ELb0ELb0ELb0EEEvPT0_PvPT_S7_S7_PKS6_S9_S9_S9_S9_ffiiiiiiiiiiiii,comdat
.Lfunc_end772:
	.size	_ZN5aiter35fused_qk_rmsnorm_group_quant_kernelItN4opus5fp4_tELi256ELi16ELi8ELb1ELb0ELb1ELb0ELb0ELb0EEEvPT0_PvPT_S7_S7_PKS6_S9_S9_S9_S9_ffiiiiiiiiiiiii, .Lfunc_end772-_ZN5aiter35fused_qk_rmsnorm_group_quant_kernelItN4opus5fp4_tELi256ELi16ELi8ELb1ELb0ELb1ELb0ELb0ELb0EEEvPT0_PvPT_S7_S7_PKS6_S9_S9_S9_S9_ffiiiiiiiiiiiii
                                        ; -- End function
	.section	.AMDGPU.csdata,"",@progbits
; Kernel info:
; codeLenInByte = 3904
; NumSgprs: 44
; NumVgprs: 76
; NumAgprs: 0
; TotalNumVgprs: 76
; ScratchSize: 0
; MemoryBound: 0
; FloatMode: 240
; IeeeMode: 1
; LDSByteSize: 32 bytes/workgroup (compile time only)
; SGPRBlocks: 5
; VGPRBlocks: 9
; NumSGPRsForWavesPerEU: 44
; NumVGPRsForWavesPerEU: 76
; AccumOffset: 76
; Occupancy: 6
; WaveLimiterHint : 0
; COMPUTE_PGM_RSRC2:SCRATCH_EN: 0
; COMPUTE_PGM_RSRC2:USER_SGPR: 6
; COMPUTE_PGM_RSRC2:TRAP_HANDLER: 0
; COMPUTE_PGM_RSRC2:TGID_X_EN: 1
; COMPUTE_PGM_RSRC2:TGID_Y_EN: 1
; COMPUTE_PGM_RSRC2:TGID_Z_EN: 0
; COMPUTE_PGM_RSRC2:TIDIG_COMP_CNT: 0
; COMPUTE_PGM_RSRC3_GFX90A:ACCUM_OFFSET: 18
; COMPUTE_PGM_RSRC3_GFX90A:TG_SPLIT: 0
	.section	.text._ZN5aiter35fused_qk_rmsnorm_group_quant_kernelIDF16_DB8_Li256ELi16ELi8ELb1ELb0ELb0ELb0ELb0ELb0EEEvPT0_PvPT_S6_S6_PKS5_S8_S8_S8_S8_ffiiiiiiiiiiiii,"axG",@progbits,_ZN5aiter35fused_qk_rmsnorm_group_quant_kernelIDF16_DB8_Li256ELi16ELi8ELb1ELb0ELb0ELb0ELb0ELb0EEEvPT0_PvPT_S6_S6_PKS5_S8_S8_S8_S8_ffiiiiiiiiiiiii,comdat
	.protected	_ZN5aiter35fused_qk_rmsnorm_group_quant_kernelIDF16_DB8_Li256ELi16ELi8ELb1ELb0ELb0ELb0ELb0ELb0EEEvPT0_PvPT_S6_S6_PKS5_S8_S8_S8_S8_ffiiiiiiiiiiiii ; -- Begin function _ZN5aiter35fused_qk_rmsnorm_group_quant_kernelIDF16_DB8_Li256ELi16ELi8ELb1ELb0ELb0ELb0ELb0ELb0EEEvPT0_PvPT_S6_S6_PKS5_S8_S8_S8_S8_ffiiiiiiiiiiiii
	.globl	_ZN5aiter35fused_qk_rmsnorm_group_quant_kernelIDF16_DB8_Li256ELi16ELi8ELb1ELb0ELb0ELb0ELb0ELb0EEEvPT0_PvPT_S6_S6_PKS5_S8_S8_S8_S8_ffiiiiiiiiiiiii
	.p2align	8
	.type	_ZN5aiter35fused_qk_rmsnorm_group_quant_kernelIDF16_DB8_Li256ELi16ELi8ELb1ELb0ELb0ELb0ELb0ELb0EEEvPT0_PvPT_S6_S6_PKS5_S8_S8_S8_S8_ffiiiiiiiiiiiii,@function
_ZN5aiter35fused_qk_rmsnorm_group_quant_kernelIDF16_DB8_Li256ELi16ELi8ELb1ELb0ELb0ELb0ELb0ELb0EEEvPT0_PvPT_S6_S6_PKS5_S8_S8_S8_S8_ffiiiiiiiiiiiii: ; @_ZN5aiter35fused_qk_rmsnorm_group_quant_kernelIDF16_DB8_Li256ELi16ELi8ELb1ELb0ELb0ELb0ELb0ELb0EEEvPT0_PvPT_S6_S6_PKS5_S8_S8_S8_S8_ffiiiiiiiiiiiii
; %bb.0:
	s_load_dwordx8 s[12:19], s[4:5], 0x50
	s_waitcnt lgkmcnt(0)
	s_cmp_ge_i32 s6, s14
	s_cbranch_scc1 .LBB773_17
; %bb.1:
	s_cmp_lg_u32 s7, 0
	s_cselect_b64 s[10:11], -1, 0
	s_cmp_eq_u32 s7, 0
	s_cselect_b64 s[8:9], -1, 0
	s_and_b64 s[0:1], s[8:9], exec
	s_load_dwordx2 s[20:21], s[4:5], 0x48
	s_load_dwordx2 s[36:37], s[4:5], 0x30
	s_load_dwordx4 s[24:27], s[4:5], 0x70
	s_cselect_b32 s7, s15, s16
	s_add_i32 s0, s7, 1
	s_lshr_b32 s1, s0, 31
	s_add_i32 s0, s0, s1
	s_lshl_b32 s0, s0, 1
	v_lshlrev_b32_e32 v1, 4, v0
	s_and_b32 s30, s0, -4
	v_cmp_gt_i32_e64 s[0:1], s7, v1
	v_mov_b32_e32 v80, 0
	v_mov_b32_e32 v81, 0
	;; [unrolled: 1-line block ×16, first 2 shown]
	s_and_saveexec_b64 s[2:3], s[0:1]
	s_cbranch_execz .LBB773_3
; %bb.2:
	s_load_dwordx2 s[22:23], s[4:5], 0x28
	s_load_dwordx2 s[28:29], s[4:5], 0x40
	s_and_b64 s[34:35], s[8:9], exec
	s_cselect_b32 s14, s17, s18
	s_mov_b32 s31, 0x20000
	s_waitcnt lgkmcnt(0)
	s_cselect_b32 s17, s23, s37
	s_cselect_b32 s27, s22, s36
	s_mul_hi_i32 s23, s14, s6
	s_mul_i32 s22, s14, s6
	s_lshl_b64 s[22:23], s[22:23], 1
	s_add_u32 s40, s27, s22
	s_addc_u32 s14, s17, s23
	s_and_b64 s[22:23], s[8:9], exec
	s_cselect_b32 s28, s28, s20
	s_cselect_b32 s17, s29, s21
	s_and_b32 s41, s14, 0xffff
	s_mov_b32 s42, s30
	s_mov_b32 s43, s31
	v_lshlrev_b32_e32 v2, 5, v0
	s_and_b32 s29, s17, 0xffff
	buffer_load_dwordx4 v[84:87], v2, s[40:43], 0 offen
	buffer_load_dwordx4 v[88:91], v2, s[40:43], 16 offen
	;; [unrolled: 1-line block ×4, first 2 shown]
.LBB773_3:
	s_or_b64 exec, exec, s[2:3]
	s_load_dwordx2 s[34:35], s[4:5], 0x80
	s_and_b64 vcc, exec, s[10:11]
	s_cbranch_vccz .LBB773_7
; %bb.4:
	v_mov_b32_e32 v93, 0
	v_mov_b32_e32 v92, 0
	;; [unrolled: 1-line block ×16, first 2 shown]
	s_and_saveexec_b64 s[2:3], s[0:1]
	s_cbranch_execz .LBB773_6
; %bb.5:
	s_waitcnt vmcnt(3)
	v_cvt_f32_f16_sdwa v59, v84 dst_sel:DWORD dst_unused:UNUSED_PAD src0_sel:WORD_1
	v_cvt_f32_f16_e32 v58, v84
	v_cvt_f32_f16_sdwa v29, v85 dst_sel:DWORD dst_unused:UNUSED_PAD src0_sel:WORD_1
	v_cvt_f32_f16_e32 v28, v85
	;; [unrolled: 2-line block ×4, first 2 shown]
	s_waitcnt vmcnt(2)
	v_cvt_f32_f16_sdwa v69, v88 dst_sel:DWORD dst_unused:UNUSED_PAD src0_sel:WORD_1
	v_cvt_f32_f16_e32 v68, v88
	v_cvt_f32_f16_sdwa v41, v89 dst_sel:DWORD dst_unused:UNUSED_PAD src0_sel:WORD_1
	v_cvt_f32_f16_e32 v40, v89
	;; [unrolled: 2-line block ×4, first 2 shown]
.LBB773_6:
	s_or_b64 exec, exec, s[2:3]
	s_cbranch_execz .LBB773_8
	s_branch .LBB773_11
.LBB773_7:
                                        ; implicit-def: $vgpr26_vgpr27_vgpr28_vgpr29_vgpr30_vgpr31_vgpr32_vgpr33_vgpr34_vgpr35_vgpr36_vgpr37_vgpr38_vgpr39_vgpr40_vgpr41
                                        ; implicit-def: $vgpr58_vgpr59_vgpr60_vgpr61_vgpr62_vgpr63_vgpr64_vgpr65_vgpr66_vgpr67_vgpr68_vgpr69_vgpr70_vgpr71_vgpr72_vgpr73
                                        ; implicit-def: $vgpr42_vgpr43_vgpr44_vgpr45_vgpr46_vgpr47_vgpr48_vgpr49_vgpr50_vgpr51_vgpr52_vgpr53_vgpr54_vgpr55_vgpr56_vgpr57
                                        ; implicit-def: $vgpr12_vgpr13_vgpr14_vgpr15_vgpr16_vgpr17_vgpr18_vgpr19_vgpr20_vgpr21_vgpr22_vgpr23_vgpr24_vgpr25_vgpr26_vgpr27
                                        ; implicit-def: $vgpr93
                                        ; implicit-def: $vgpr60_vgpr61_vgpr62_vgpr63_vgpr64_vgpr65_vgpr66_vgpr67_vgpr68_vgpr69_vgpr70_vgpr71_vgpr72_vgpr73_vgpr74_vgpr75
                                        ; implicit-def: $vgpr30_vgpr31_vgpr32_vgpr33_vgpr34_vgpr35_vgpr36_vgpr37_vgpr38_vgpr39_vgpr40_vgpr41_vgpr42_vgpr43_vgpr44_vgpr45
                                        ; implicit-def: $vgpr2_vgpr3_vgpr4_vgpr5_vgpr6_vgpr7_vgpr8_vgpr9_vgpr10_vgpr11_vgpr12_vgpr13_vgpr14_vgpr15_vgpr16_vgpr17
.LBB773_8:
	v_mov_b32_e32 v93, 0
	v_mov_b32_e32 v92, 0
	;; [unrolled: 1-line block ×16, first 2 shown]
	s_and_saveexec_b64 s[2:3], s[0:1]
	s_cbranch_execz .LBB773_10
; %bb.9:
	s_load_dwordx2 s[22:23], s[4:5], 0x38
	s_mul_hi_i32 s29, s19, s6
	s_mul_i32 s28, s19, s6
	s_lshl_b64 s[28:29], s[28:29], 1
	s_mov_b32 s31, 0x20000
	s_waitcnt lgkmcnt(0)
	s_add_u32 s28, s22, s28
	s_addc_u32 s14, s23, s29
	s_and_b32 s29, s14, 0xffff
	v_lshlrev_b32_e32 v38, 5, v0
	buffer_load_dwordx4 v[6:9], v38, s[28:31], 16 offen
	buffer_load_dwordx4 v[10:13], v38, s[28:31], 0 offen
	s_waitcnt vmcnt(5)
	v_cvt_f32_f16_sdwa v19, v86 dst_sel:DWORD dst_unused:UNUSED_PAD src0_sel:WORD_1
	v_cvt_f32_f16_e32 v18, v86
	v_cvt_f32_f16_sdwa v25, v87 dst_sel:DWORD dst_unused:UNUSED_PAD src0_sel:WORD_1
	v_cvt_f32_f16_e32 v24, v87
	v_cvt_f32_f16_sdwa v23, v85 dst_sel:DWORD dst_unused:UNUSED_PAD src0_sel:WORD_1
	v_cvt_f32_f16_e32 v22, v85
	v_cvt_f32_f16_sdwa v21, v84 dst_sel:DWORD dst_unused:UNUSED_PAD src0_sel:WORD_1
	v_cvt_f32_f16_e32 v20, v84
	s_load_dwordx2 s[22:23], s[4:5], 0x20
	s_waitcnt vmcnt(4)
	v_cvt_f32_f16_sdwa v3, v88 dst_sel:DWORD dst_unused:UNUSED_PAD src0_sel:WORD_1
	v_cvt_f32_f16_e32 v2, v88
	v_cvt_f32_f16_sdwa v5, v89 dst_sel:DWORD dst_unused:UNUSED_PAD src0_sel:WORD_1
	v_cvt_f32_f16_e32 v4, v89
	;; [unrolled: 2-line block ×4, first 2 shown]
	s_mul_hi_i32 s29, s35, s6
	s_mul_i32 s28, s35, s6
	s_lshl_b64 s[28:29], s[28:29], 1
	s_waitcnt lgkmcnt(0)
	s_add_u32 s28, s22, s28
	s_addc_u32 s14, s23, s29
	s_and_b32 s29, s14, 0xffff
	s_waitcnt vmcnt(1)
	v_cvt_f32_f16_e32 v26, v6
	v_cvt_f32_f16_sdwa v27, v6 dst_sel:DWORD dst_unused:UNUSED_PAD src0_sel:WORD_1
	v_cvt_f32_f16_e32 v30, v7
	v_cvt_f32_f16_sdwa v31, v7 dst_sel:DWORD dst_unused:UNUSED_PAD src0_sel:WORD_1
	;; [unrolled: 2-line block ×4, first 2 shown]
	s_waitcnt vmcnt(0)
	v_cvt_f32_f16_e32 v6, v12
	v_cvt_f32_f16_sdwa v7, v12 dst_sel:DWORD dst_unused:UNUSED_PAD src0_sel:WORD_1
	v_cvt_f32_f16_e32 v8, v13
	v_cvt_f32_f16_sdwa v9, v13 dst_sel:DWORD dst_unused:UNUSED_PAD src0_sel:WORD_1
	;; [unrolled: 2-line block ×4, first 2 shown]
	v_pk_add_f32 v[46:47], v[18:19], v[6:7]
	v_pk_add_f32 v[18:19], v[24:25], v[8:9]
	v_cvt_f16_f32_e32 v6, v47
	v_cvt_f16_f32_e32 v7, v19
	;; [unrolled: 1-line block ×4, first 2 shown]
	v_pk_add_f32 v[28:29], v[22:23], v[10:11]
	v_pk_add_f32 v[58:59], v[20:21], v[36:37]
	v_pack_b32_f16 v9, v8, v7
	v_pack_b32_f16 v8, v12, v6
	v_cvt_f16_f32_e32 v6, v29
	v_cvt_f16_f32_e32 v7, v28
	;; [unrolled: 1-line block ×3, first 2 shown]
	v_pk_add_f32 v[92:93], v[16:17], v[34:35]
	v_pk_add_f32 v[14:15], v[14:15], v[32:33]
	v_pack_b32_f16 v7, v7, v6
	v_cvt_f16_f32_e32 v6, v59
	v_pk_add_f32 v[40:41], v[4:5], v[30:31]
	v_pk_add_f32 v[68:69], v[2:3], v[26:27]
	v_cvt_f16_f32_e32 v4, v40
	v_pack_b32_f16 v6, v10, v6
	buffer_store_dwordx4 v[6:9], v38, s[28:31], 0 offen
	v_cvt_f16_f32_e32 v5, v41
	v_cvt_f16_f32_e32 v6, v14
	;; [unrolled: 1-line block ×7, first 2 shown]
	v_pack_b32_f16 v7, v7, v8
	v_pack_b32_f16 v6, v6, v9
	v_pack_b32_f16 v5, v4, v5
	v_pack_b32_f16 v4, v2, v3
	;;#ASMSTART
	s_nop 0
	;;#ASMEND
	buffer_store_dwordx4 v[4:7], v38, s[28:31], 16 offen
	;;#ASMSTART
	s_nop 0
	;;#ASMEND
.LBB773_10:
	s_or_b64 exec, exec, s[2:3]
.LBB773_11:
	v_mul_f32_e32 v2, v59, v59
	v_fmac_f32_e32 v2, v58, v58
	v_fmac_f32_e32 v2, v28, v28
	;; [unrolled: 1-line block ×15, first 2 shown]
	s_nop 1
	v_mov_b32_dpp v3, v2 quad_perm:[1,0,3,2] row_mask:0xf bank_mask:0xf
	v_add_f32_e32 v2, v2, v3
	s_nop 1
	v_mov_b32_dpp v3, v2 quad_perm:[2,3,0,1] row_mask:0xf bank_mask:0xf
	v_add_f32_e32 v2, v2, v3
	s_nop 1
	v_mov_b32_dpp v3, v2 row_half_mirror row_mask:0xf bank_mask:0xf
	v_add_f32_e32 v2, v2, v3
	s_nop 1
	v_mov_b32_dpp v3, v2 row_mirror row_mask:0xf bank_mask:0xf
	v_add_f32_e32 v2, v2, v3
	s_nop 1
	v_mov_b32_dpp v3, v2 row_bcast:15 row_mask:0xf bank_mask:0xf
	v_add_f32_e32 v2, v2, v3
	v_and_b32_e32 v3, 63, v0
	v_cmp_eq_u32_e64 s[2:3], 63, v3
	s_nop 0
	v_mov_b32_dpp v3, v2 row_bcast:31 row_mask:0xf bank_mask:0xf
	s_and_saveexec_b64 s[22:23], s[2:3]
	s_cbranch_execz .LBB773_13
; %bb.12:
	v_add_f32_e32 v2, v2, v3
	v_lshrrev_b32_e32 v3, 4, v0
	v_and_b32_e32 v3, 60, v3
	ds_write_b32 v3, v2 offset:16
.LBB773_13:
	s_or_b64 exec, exec, s[22:23]
	v_and_b32_e32 v2, 3, v0
	v_lshlrev_b32_e32 v34, 2, v2
	s_waitcnt lgkmcnt(0)
	s_barrier
	ds_read_b32 v2, v34 offset:16
	s_load_dwordx2 s[38:39], s[4:5], 0x18
	s_waitcnt lgkmcnt(0)
	v_mov_b32_dpp v3, v2 quad_perm:[1,0,3,2] row_mask:0xf bank_mask:0xf
	v_add_f32_e32 v2, v2, v3
	s_nop 1
	v_mov_b32_dpp v3, v2 quad_perm:[2,3,0,1] row_mask:0xf bank_mask:0xf
	s_and_saveexec_b64 s[22:23], s[0:1]
	s_cbranch_execnz .LBB773_18
; %bb.14:
	s_or_b64 exec, exec, s[22:23]
	s_mov_b64 s[8:9], -1
	s_and_b64 vcc, exec, s[10:11]
	s_cbranch_vccnz .LBB773_19
.LBB773_15:
	s_andn2_b64 vcc, exec, s[8:9]
	s_cbranch_vccz .LBB773_22
.LBB773_16:
	s_cmp_lt_i32 s16, 1
	s_cbranch_scc0 .LBB773_29
.LBB773_17:
	s_endpgm
.LBB773_18:
	v_add_f32_e32 v2, v2, v3
	v_cvt_f32_u32_e32 v3, s7
	s_mov_b32 s7, 0x800000
	s_waitcnt vmcnt(1)
	v_cvt_f32_f16_sdwa v21, v81 dst_sel:DWORD dst_unused:UNUSED_PAD src0_sel:WORD_1
	v_cvt_f32_f16_e32 v20, v81
	v_div_scale_f32 v4, s[28:29], v3, v3, v2
	v_rcp_f32_e32 v5, v4
	s_waitcnt vmcnt(0)
	v_cvt_f32_f16_sdwa v23, v77 dst_sel:DWORD dst_unused:UNUSED_PAD src0_sel:WORD_1
	v_cvt_f32_f16_e32 v22, v77
	v_cvt_f32_f16_sdwa v25, v78 dst_sel:DWORD dst_unused:UNUSED_PAD src0_sel:WORD_1
	v_fma_f32 v6, -v4, v5, 1.0
	v_fmac_f32_e32 v5, v6, v5
	v_div_scale_f32 v6, vcc, v2, v3, v2
	v_mul_f32_e32 v7, v6, v5
	v_fma_f32 v8, -v4, v7, v6
	v_fmac_f32_e32 v7, v8, v5
	v_fma_f32 v4, -v4, v7, v6
	v_div_fmas_f32 v4, v4, v5, v7
	v_div_fixup_f32 v2, v4, v3, v2
	v_mov_b32_e32 v3, s13
	v_mov_b32_e32 v4, s12
	v_cndmask_b32_e64 v3, v3, v4, s[8:9]
	v_add_f32_e32 v2, v3, v2
	v_mul_f32_e32 v3, 0x4b800000, v2
	v_cmp_gt_f32_e32 vcc, s7, v2
	v_cndmask_b32_e32 v2, v2, v3, vcc
	v_rsq_f32_e32 v2, v2
	v_cvt_f32_f16_e32 v24, v78
	v_cvt_f32_f16_sdwa v27, v79 dst_sel:DWORD dst_unused:UNUSED_PAD src0_sel:WORD_1
	v_cvt_f32_f16_e32 v26, v79
	v_mul_f32_e32 v3, 0x45800000, v2
	v_cndmask_b32_e32 v2, v2, v3, vcc
	v_mov_b32_e32 v3, v2
	;;#ASMSTART
	v_pk_mul_f32 v[4:5], v[58:59], v[2:3]
	;;#ASMEND
	;;#ASMSTART
	v_pk_mul_f32 v[6:7], v[28:29], v[2:3]
	;;#ASMEND
	;; [unrolled: 3-line block ×6, first 2 shown]
	v_cvt_f32_f16_sdwa v19, v80 dst_sel:DWORD dst_unused:UNUSED_PAD src0_sel:WORD_1
	v_cvt_f32_f16_e32 v18, v80
	;;#ASMSTART
	v_pk_mul_f32 v[14:15], v[14:15], v[2:3]
	;;#ASMEND
	;;#ASMSTART
	v_pk_mul_f32 v[2:3], v[92:93], v[2:3]
	;;#ASMEND
	;; [unrolled: 3-line block ×4, first 2 shown]
	v_cvt_f32_f16_sdwa v5, v82 dst_sel:DWORD dst_unused:UNUSED_PAD src0_sel:WORD_1
	v_cvt_f32_f16_e32 v4, v82
	v_cvt_f32_f16_sdwa v7, v83 dst_sel:DWORD dst_unused:UNUSED_PAD src0_sel:WORD_1
	v_cvt_f32_f16_e32 v6, v83
	v_cvt_f32_f16_sdwa v21, v76 dst_sel:DWORD dst_unused:UNUSED_PAD src0_sel:WORD_1
	v_cvt_f32_f16_e32 v20, v76
	;;#ASMSTART
	v_pk_mul_f32 v[46:47], v[8:9], v[4:5]
	;;#ASMEND
	;;#ASMSTART
	v_pk_mul_f32 v[18:19], v[10:11], v[6:7]
	;;#ASMEND
	;; [unrolled: 3-line block ×6, first 2 shown]
	s_or_b64 exec, exec, s[22:23]
	s_mov_b64 s[8:9], -1
	s_and_b64 vcc, exec, s[10:11]
	s_cbranch_vccz .LBB773_15
.LBB773_19:
	s_and_saveexec_b64 s[8:9], s[0:1]
	s_cbranch_execz .LBB773_21
; %bb.20:
	v_cvt_f16_f32_e32 v2, v46
	v_cvt_f16_f32_e32 v3, v18
	v_cvt_f16_f32_e32 v4, v19
	v_cvt_f16_f32_e32 v6, v47
	s_mul_hi_i32 s11, s34, s6
	s_mul_i32 s10, s34, s6
	v_pack_b32_f16 v5, v3, v4
	v_pack_b32_f16 v4, v2, v6
	v_cvt_f16_f32_e32 v2, v28
	v_cvt_f16_f32_e32 v3, v29
	;; [unrolled: 1-line block ×3, first 2 shown]
	s_lshl_b64 s[10:11], s[10:11], 1
	s_add_u32 s28, s38, s10
	v_pack_b32_f16 v3, v2, v3
	v_cvt_f16_f32_e32 v2, v58
	s_addc_u32 s7, s39, s11
	s_and_b32 s29, s7, 0xffff
	s_mov_b32 s31, 0x20000
	v_pack_b32_f16 v2, v2, v6
	v_lshlrev_b32_e32 v6, 5, v0
	buffer_store_dwordx4 v[2:5], v6, s[28:31], 0 offen
	v_cvt_f16_f32_e32 v7, v15
	v_cvt_f16_f32_e32 v2, v14
	v_cvt_f16_f32_e32 v3, v92
	v_cvt_f16_f32_e32 v4, v93
	;;#ASMSTART
	s_nop 0
	;;#ASMEND
	v_pack_b32_f16 v5, v3, v4
	v_pack_b32_f16 v4, v2, v7
	v_cvt_f16_f32_e32 v2, v40
	v_cvt_f16_f32_e32 v3, v41
	;; [unrolled: 1-line block ×3, first 2 shown]
	v_pack_b32_f16 v3, v2, v3
	v_cvt_f16_f32_e32 v2, v68
	v_pack_b32_f16 v2, v2, v7
	buffer_store_dwordx4 v[2:5], v6, s[28:31], 16 offen
	;;#ASMSTART
	s_nop 0
	;;#ASMEND
.LBB773_21:
	s_or_b64 exec, exec, s[8:9]
	s_cbranch_execnz .LBB773_16
.LBB773_22:
	v_mov_b32_e32 v2, 0
	s_and_saveexec_b64 s[8:9], s[0:1]
	s_cbranch_execz .LBB773_24
; %bb.23:
	v_and_b32_e32 v2, 0x7fffffff, v58
	v_and_b32_e32 v3, 0x7fffffff, v59
	v_mov_b32_e32 v4, 0x2edbe6ff
	;;#ASMSTART
	v_max3_f32 v2, v4, v2, v3

	;;#ASMEND
	v_and_b32_e32 v3, 0x7fffffff, v28
	v_and_b32_e32 v4, 0x7fffffff, v29
	;;#ASMSTART
	v_max3_f32 v2, v2, v3, v4

	;;#ASMEND
	v_and_b32_e32 v3, 0x7fffffff, v46
	v_and_b32_e32 v4, 0x7fffffff, v47
	;; [unrolled: 6-line block ×7, first 2 shown]
	;;#ASMSTART
	v_max3_f32 v2, v2, v3, v4

	;;#ASMEND
.LBB773_24:
	s_or_b64 exec, exec, s[8:9]
	;;#ASMSTART
	v_max_f32 v3, v2, v2 quad_perm:[1,0,3,2] row_mask:0xf bank_mask:0xf bound_ctrl:1
	;;#ASMEND
	;;#ASMSTART
	v_max_f32 v2, v3, v3 quad_perm:[2,3,0,1] row_mask:0xf bank_mask:0xf bound_ctrl:1
	;;#ASMEND
	;;#ASMSTART
	v_max_f32 v3, v2, v2 row_half_mirror row_mask:0xf bank_mask:0xf bound_ctrl:1
	;;#ASMEND
	v_mul_f32_e32 v2, 0x3b124925, v3
	v_and_b32_e32 v3, 7, v0
	v_cmp_eq_u32_e32 vcc, 0, v3
	v_cmp_gt_i32_e64 s[8:9], s15, v1
	s_and_b64 s[10:11], vcc, s[8:9]
	s_and_saveexec_b64 s[8:9], s[10:11]
	s_cbranch_execz .LBB773_26
; %bb.25:
	s_load_dwordx2 s[10:11], s[4:5], 0x8
	s_mul_hi_i32 s23, s25, s6
	s_mul_i32 s22, s25, s6
	v_lshrrev_b32_e32 v3, 3, v0
	s_lshl_b64 s[22:23], s[22:23], 2
	v_mad_i64_i32 v[4:5], s[26:27], s26, v3, 0
	s_waitcnt lgkmcnt(0)
	s_add_u32 s7, s10, s22
	s_addc_u32 s10, s11, s23
	v_lshlrev_b64 v[4:5], 2, v[4:5]
	v_mov_b32_e32 v3, s10
	v_add_co_u32_e32 v4, vcc, s7, v4
	v_addc_co_u32_e32 v5, vcc, v3, v5, vcc
	global_store_dword v[4:5], v2, off
.LBB773_26:
	s_or_b64 exec, exec, s[8:9]
	;;#ASMSTART
	v_rcp_f32 v2, v2
	;;#ASMEND
	s_and_saveexec_b64 s[22:23], s[0:1]
	s_cbranch_execz .LBB773_28
; %bb.27:
	v_mov_b32_e32 v3, v2
	;;#ASMSTART
	v_pk_mul_f32 v[4:5], v[58:59], v[2:3]
	;;#ASMEND
	v_mov_b32_e32 v10, 0xc3e00000
	v_mov_b32_e32 v11, 0x43e00000
	;;#ASMSTART
	v_med3_f32 v4, v4, v10, v11
v_med3_f32 v5, v5, v10, v11
v_cvt_pk_fp8_f32 v6, v4, v5
	;;#ASMEND
	;;#ASMSTART
	v_pk_mul_f32 v[4:5], v[28:29], v[2:3]
	;;#ASMEND
	;;#ASMSTART
	v_med3_f32 v4, v4, v10, v11
v_med3_f32 v5, v5, v10, v11
v_cvt_pk_fp8_f32 v7, v4, v5
	;;#ASMEND
	;;#ASMSTART
	v_pk_mul_f32 v[4:5], v[46:47], v[2:3]
	;;#ASMEND
	;; [unrolled: 8-line block ×3, first 2 shown]
	;;#ASMSTART
	v_med3_f32 v4, v4, v10, v11
v_med3_f32 v5, v5, v10, v11
v_cvt_pk_fp8_f32 v9, v4, v5
	;;#ASMEND
	s_mov_b32 s0, 0x5040100
	v_perm_b32 v4, v7, v6, s0
	s_mov_b32 s0, 0x1060504
	v_perm_b32 v4, v4, v7, s0
	s_load_dwordx2 s[0:1], s[4:5], 0x0
	s_mov_b32 s7, 0x1000504
	;;#ASMSTART
	v_pk_mul_f32 v[6:7], v[68:69], v[2:3]
	;;#ASMEND
	v_perm_b32 v5, v8, v9, s7
	s_mul_i32 s8, s24, s6
	;;#ASMSTART
	v_med3_f32 v6, v6, v10, v11
v_med3_f32 v7, v7, v10, v11
v_cvt_pk_fp8_f32 v8, v6, v7
	;;#ASMEND
	s_mul_hi_i32 s9, s24, s6
	s_waitcnt lgkmcnt(0)
	s_add_u32 s8, s0, s8
	;;#ASMSTART
	v_pk_mul_f32 v[6:7], v[40:41], v[2:3]
	;;#ASMEND
	s_addc_u32 s0, s1, s9
	s_add_i32 s1, s15, 3
	;;#ASMSTART
	v_med3_f32 v6, v6, v10, v11
v_med3_f32 v7, v7, v10, v11
v_cvt_pk_fp8_f32 v9, v6, v7
	;;#ASMEND
	s_ashr_i32 s9, s1, 31
	v_perm_b32 v6, v8, v9, s7
	;;#ASMSTART
	v_pk_mul_f32 v[8:9], v[14:15], v[2:3]
	;;#ASMEND
	v_mov_b32_e32 v7, v9
	s_lshr_b32 s9, s9, 30
	;;#ASMSTART
	v_med3_f32 v8, v8, v10, v11
v_med3_f32 v7, v7, v10, v11
v_cvt_pk_fp8_f32 v9, v8, v7
	;;#ASMEND
	;;#ASMSTART
	v_pk_mul_f32 v[2:3], v[92:93], v[2:3]
	;;#ASMEND
	s_add_i32 s1, s1, s9
	;;#ASMSTART
	v_med3_f32 v2, v2, v10, v11
v_med3_f32 v3, v3, v10, v11
v_cvt_pk_fp8_f32 v7, v2, v3
	;;#ASMEND
	s_and_b32 s10, s1, -4
	s_and_b32 s9, s0, 0xffff
	s_mov_b32 s11, 0x20000
	v_perm_b32 v7, v9, v7, s7
	buffer_store_dwordx4 v[4:7], v1, s[8:11], 0 offen
	;;#ASMSTART
	s_nop 0
	;;#ASMEND
.LBB773_28:
	s_or_b64 exec, exec, s[22:23]
	s_cmp_lt_i32 s16, 1
	s_cbranch_scc1 .LBB773_17
.LBB773_29:
	s_load_dword s0, s[4:5], 0x94
	s_waitcnt lgkmcnt(0)
	s_cmp_lg_u32 s0, 1
	s_cbranch_scc1 .LBB773_17
; %bb.30:
	s_lshl_b32 s0, s16, 1
	s_add_i32 s0, s0, 2
	v_cmp_gt_u32_e32 vcc, s16, v1
	s_and_b32 s22, s0, -4
	v_mov_b32_e32 v18, 0
	v_lshlrev_b32_e32 v1, 5, v0
	v_mov_b32_e32 v14, 0
	v_mov_b32_e32 v15, 0
	;; [unrolled: 1-line block ×16, first 2 shown]
	s_barrier
	s_and_saveexec_b64 s[0:1], vcc
	s_cbranch_execz .LBB773_32
; %bb.31:
	s_mul_hi_i32 s5, s18, s6
	s_mul_i32 s4, s18, s6
	s_and_b32 s21, s21, 0xffff
	s_lshl_b64 s[4:5], s[4:5], 1
	s_add_u32 s8, s36, s4
	s_mov_b32 s23, 0x20000
	s_addc_u32 s4, s37, s5
	s_and_b32 s9, s4, 0xffff
	s_mov_b32 s10, s22
	s_mov_b32 s11, s23
	buffer_load_dwordx4 v[14:17], v1, s[8:11], 0 offen
	buffer_load_dwordx4 v[10:13], v1, s[8:11], 16 offen
	;; [unrolled: 1-line block ×4, first 2 shown]
.LBB773_32:
	s_or_b64 exec, exec, s[0:1]
	v_mov_b32_e32 v19, 0
	v_mov_b32_e32 v32, 0
	;; [unrolled: 1-line block ×15, first 2 shown]
	s_and_saveexec_b64 s[0:1], vcc
	s_cbranch_execz .LBB773_34
; %bb.33:
	s_waitcnt vmcnt(3)
	v_cvt_f32_f16_sdwa v19, v14 dst_sel:DWORD dst_unused:UNUSED_PAD src0_sel:WORD_1
	v_cvt_f32_f16_e32 v18, v14
	v_cvt_f32_f16_sdwa v33, v15 dst_sel:DWORD dst_unused:UNUSED_PAD src0_sel:WORD_1
	v_cvt_f32_f16_e32 v32, v15
	;; [unrolled: 2-line block ×4, first 2 shown]
	s_waitcnt vmcnt(2)
	v_cvt_f32_f16_sdwa v27, v10 dst_sel:DWORD dst_unused:UNUSED_PAD src0_sel:WORD_1
	v_cvt_f32_f16_e32 v26, v10
	v_cvt_f32_f16_sdwa v25, v11 dst_sel:DWORD dst_unused:UNUSED_PAD src0_sel:WORD_1
	v_cvt_f32_f16_e32 v24, v11
	;; [unrolled: 2-line block ×4, first 2 shown]
.LBB773_34:
	s_or_b64 exec, exec, s[0:1]
	s_waitcnt vmcnt(2)
	v_mul_f32_e32 v10, v19, v19
	v_fmac_f32_e32 v10, v18, v18
	v_fmac_f32_e32 v10, v32, v32
	;; [unrolled: 1-line block ×15, first 2 shown]
	s_nop 1
	v_mov_b32_dpp v11, v10 quad_perm:[1,0,3,2] row_mask:0xf bank_mask:0xf
	v_add_f32_e32 v10, v10, v11
	s_nop 1
	v_mov_b32_dpp v11, v10 quad_perm:[2,3,0,1] row_mask:0xf bank_mask:0xf
	v_add_f32_e32 v10, v10, v11
	s_nop 1
	v_mov_b32_dpp v11, v10 row_half_mirror row_mask:0xf bank_mask:0xf
	v_add_f32_e32 v10, v10, v11
	s_nop 1
	v_mov_b32_dpp v11, v10 row_mirror row_mask:0xf bank_mask:0xf
	v_add_f32_e32 v10, v10, v11
	s_nop 1
	v_mov_b32_dpp v11, v10 row_bcast:15 row_mask:0xf bank_mask:0xf
	v_add_f32_e32 v10, v10, v11
	s_nop 1
	v_mov_b32_dpp v11, v10 row_bcast:31 row_mask:0xf bank_mask:0xf
	s_and_saveexec_b64 s[0:1], s[2:3]
	s_cbranch_execz .LBB773_36
; %bb.35:
	v_lshrrev_b32_e32 v0, 4, v0
	v_add_f32_e32 v10, v10, v11
	v_and_b32_e32 v0, 60, v0
	ds_write_b32 v0, v10
.LBB773_36:
	s_or_b64 exec, exec, s[0:1]
	s_waitcnt lgkmcnt(0)
	s_barrier
	ds_read_b32 v0, v34
	s_waitcnt lgkmcnt(0)
	s_nop 0
	v_mov_b32_dpp v10, v0 quad_perm:[1,0,3,2] row_mask:0xf bank_mask:0xf
	v_add_f32_e32 v0, v0, v10
	s_nop 1
	v_mov_b32_dpp v10, v0 quad_perm:[2,3,0,1] row_mask:0xf bank_mask:0xf
	s_and_saveexec_b64 s[0:1], vcc
	s_cbranch_execz .LBB773_17
; %bb.37:
	v_cvt_f32_u32_e32 v11, s16
	v_add_f32_e32 v0, v0, v10
	s_mov_b32 s23, 0x20000
	v_div_scale_f32 v10, s[0:1], v11, v11, v0
	v_rcp_f32_e32 v12, v10
	v_div_scale_f32 v13, vcc, v0, v11, v0
	s_mov_b32 s0, 0x800000
	v_fma_f32 v14, -v10, v12, 1.0
	v_fmac_f32_e32 v12, v14, v12
	v_mul_f32_e32 v14, v13, v12
	v_fma_f32 v15, -v10, v14, v13
	v_fmac_f32_e32 v14, v15, v12
	v_fma_f32 v10, -v10, v14, v13
	v_div_fmas_f32 v10, v10, v12, v14
	v_div_fixup_f32 v0, v10, v11, v0
	v_add_f32_e32 v0, s13, v0
	v_mul_f32_e32 v10, 0x4b800000, v0
	v_cmp_gt_f32_e32 vcc, s0, v0
	v_cndmask_b32_e32 v0, v0, v10, vcc
	v_rsq_f32_e32 v0, v0
	s_mul_hi_i32 s1, s34, s6
	s_mul_i32 s0, s34, s6
	s_lshl_b64 s[0:1], s[0:1], 1
	v_mul_f32_e32 v10, 0x45800000, v0
	v_cndmask_b32_e32 v10, v0, v10, vcc
	v_mov_b32_e32 v11, v10
	;;#ASMSTART
	v_pk_mul_f32 v[12:13], v[18:19], v[10:11]
	;;#ASMEND
	;;#ASMSTART
	v_pk_mul_f32 v[14:15], v[32:33], v[10:11]
	;;#ASMEND
	;; [unrolled: 3-line block ×8, first 2 shown]
	s_waitcnt vmcnt(1)
	v_cvt_f32_f16_sdwa v21, v6 dst_sel:DWORD dst_unused:UNUSED_PAD src0_sel:WORD_1
	v_cvt_f32_f16_e32 v20, v6
	v_cvt_f32_f16_sdwa v29, v7 dst_sel:DWORD dst_unused:UNUSED_PAD src0_sel:WORD_1
	v_cvt_f32_f16_e32 v28, v7
	;; [unrolled: 2-line block ×4, first 2 shown]
	;;#ASMSTART
	v_pk_mul_f32 v[8:9], v[12:13], v[20:21]
	;;#ASMEND
	;;#ASMSTART
	v_pk_mul_f32 v[12:13], v[14:15], v[28:29]
	;;#ASMEND
	;; [unrolled: 3-line block ×4, first 2 shown]
	s_waitcnt vmcnt(0)
	v_cvt_f32_f16_sdwa v17, v2 dst_sel:DWORD dst_unused:UNUSED_PAD src0_sel:WORD_1
	v_cvt_f32_f16_e32 v16, v2
	v_cvt_f32_f16_sdwa v19, v3 dst_sel:DWORD dst_unused:UNUSED_PAD src0_sel:WORD_1
	v_cvt_f32_f16_e32 v18, v3
	;; [unrolled: 2-line block ×4, first 2 shown]
	;;#ASMSTART
	v_pk_mul_f32 v[16:17], v[26:27], v[16:17]
	;;#ASMEND
	;;#ASMSTART
	v_pk_mul_f32 v[18:19], v[24:25], v[18:19]
	;;#ASMEND
	;; [unrolled: 3-line block ×3, first 2 shown]
	v_cvt_f16_f32_e32 v0, v8
	v_cvt_f16_f32_e32 v2, v9
	;; [unrolled: 1-line block ×8, first 2 shown]
	s_add_u32 s20, s38, s0
	s_addc_u32 s0, s39, s1
	s_and_b32 s21, s0, 0xffff
	v_pack_b32_f16 v2, v0, v2
	v_pack_b32_f16 v3, v3, v4
	;; [unrolled: 1-line block ×4, first 2 shown]
	;;#ASMSTART
	v_pk_mul_f32 v[10:11], v[10:11], v[20:21]
	;;#ASMEND
	buffer_store_dwordx4 v[2:5], v1, s[20:23], 0 offen
	v_cvt_f16_f32_e32 v0, v16
	v_cvt_f16_f32_e32 v2, v17
	;; [unrolled: 1-line block ×8, first 2 shown]
	v_pack_b32_f16 v2, v0, v2
	v_pack_b32_f16 v3, v3, v4
	;; [unrolled: 1-line block ×4, first 2 shown]
	;;#ASMSTART
	s_nop 0
	;;#ASMEND
	buffer_store_dwordx4 v[2:5], v1, s[20:23], 16 offen
	;;#ASMSTART
	s_nop 0
	;;#ASMEND
	s_endpgm
	.section	.rodata,"a",@progbits
	.p2align	6, 0x0
	.amdhsa_kernel _ZN5aiter35fused_qk_rmsnorm_group_quant_kernelIDF16_DB8_Li256ELi16ELi8ELb1ELb0ELb0ELb0ELb0ELb0EEEvPT0_PvPT_S6_S6_PKS5_S8_S8_S8_S8_ffiiiiiiiiiiiii
		.amdhsa_group_segment_fixed_size 32
		.amdhsa_private_segment_fixed_size 0
		.amdhsa_kernarg_size 400
		.amdhsa_user_sgpr_count 6
		.amdhsa_user_sgpr_private_segment_buffer 1
		.amdhsa_user_sgpr_dispatch_ptr 0
		.amdhsa_user_sgpr_queue_ptr 0
		.amdhsa_user_sgpr_kernarg_segment_ptr 1
		.amdhsa_user_sgpr_dispatch_id 0
		.amdhsa_user_sgpr_flat_scratch_init 0
		.amdhsa_user_sgpr_kernarg_preload_length 0
		.amdhsa_user_sgpr_kernarg_preload_offset 0
		.amdhsa_user_sgpr_private_segment_size 0
		.amdhsa_uses_dynamic_stack 0
		.amdhsa_system_sgpr_private_segment_wavefront_offset 0
		.amdhsa_system_sgpr_workgroup_id_x 1
		.amdhsa_system_sgpr_workgroup_id_y 1
		.amdhsa_system_sgpr_workgroup_id_z 0
		.amdhsa_system_sgpr_workgroup_info 0
		.amdhsa_system_vgpr_workitem_id 0
		.amdhsa_next_free_vgpr 94
		.amdhsa_next_free_sgpr 44
		.amdhsa_accum_offset 96
		.amdhsa_reserve_vcc 1
		.amdhsa_reserve_flat_scratch 0
		.amdhsa_float_round_mode_32 0
		.amdhsa_float_round_mode_16_64 0
		.amdhsa_float_denorm_mode_32 3
		.amdhsa_float_denorm_mode_16_64 3
		.amdhsa_dx10_clamp 1
		.amdhsa_ieee_mode 1
		.amdhsa_fp16_overflow 0
		.amdhsa_tg_split 0
		.amdhsa_exception_fp_ieee_invalid_op 0
		.amdhsa_exception_fp_denorm_src 0
		.amdhsa_exception_fp_ieee_div_zero 0
		.amdhsa_exception_fp_ieee_overflow 0
		.amdhsa_exception_fp_ieee_underflow 0
		.amdhsa_exception_fp_ieee_inexact 0
		.amdhsa_exception_int_div_zero 0
	.end_amdhsa_kernel
	.section	.text._ZN5aiter35fused_qk_rmsnorm_group_quant_kernelIDF16_DB8_Li256ELi16ELi8ELb1ELb0ELb0ELb0ELb0ELb0EEEvPT0_PvPT_S6_S6_PKS5_S8_S8_S8_S8_ffiiiiiiiiiiiii,"axG",@progbits,_ZN5aiter35fused_qk_rmsnorm_group_quant_kernelIDF16_DB8_Li256ELi16ELi8ELb1ELb0ELb0ELb0ELb0ELb0EEEvPT0_PvPT_S6_S6_PKS5_S8_S8_S8_S8_ffiiiiiiiiiiiii,comdat
.Lfunc_end773:
	.size	_ZN5aiter35fused_qk_rmsnorm_group_quant_kernelIDF16_DB8_Li256ELi16ELi8ELb1ELb0ELb0ELb0ELb0ELb0EEEvPT0_PvPT_S6_S6_PKS5_S8_S8_S8_S8_ffiiiiiiiiiiiii, .Lfunc_end773-_ZN5aiter35fused_qk_rmsnorm_group_quant_kernelIDF16_DB8_Li256ELi16ELi8ELb1ELb0ELb0ELb0ELb0ELb0EEEvPT0_PvPT_S6_S6_PKS5_S8_S8_S8_S8_ffiiiiiiiiiiiii
                                        ; -- End function
	.section	.AMDGPU.csdata,"",@progbits
; Kernel info:
; codeLenInByte = 4040
; NumSgprs: 48
; NumVgprs: 94
; NumAgprs: 0
; TotalNumVgprs: 94
; ScratchSize: 0
; MemoryBound: 0
; FloatMode: 240
; IeeeMode: 1
; LDSByteSize: 32 bytes/workgroup (compile time only)
; SGPRBlocks: 5
; VGPRBlocks: 11
; NumSGPRsForWavesPerEU: 48
; NumVGPRsForWavesPerEU: 94
; AccumOffset: 96
; Occupancy: 5
; WaveLimiterHint : 0
; COMPUTE_PGM_RSRC2:SCRATCH_EN: 0
; COMPUTE_PGM_RSRC2:USER_SGPR: 6
; COMPUTE_PGM_RSRC2:TRAP_HANDLER: 0
; COMPUTE_PGM_RSRC2:TGID_X_EN: 1
; COMPUTE_PGM_RSRC2:TGID_Y_EN: 1
; COMPUTE_PGM_RSRC2:TGID_Z_EN: 0
; COMPUTE_PGM_RSRC2:TIDIG_COMP_CNT: 0
; COMPUTE_PGM_RSRC3_GFX90A:ACCUM_OFFSET: 23
; COMPUTE_PGM_RSRC3_GFX90A:TG_SPLIT: 0
	.section	.text._ZN5aiter35fused_qk_rmsnorm_group_quant_kernelItDB8_Li256ELi16ELi8ELb1ELb0ELb0ELb0ELb0ELb0EEEvPT0_PvPT_S6_S6_PKS5_S8_S8_S8_S8_ffiiiiiiiiiiiii,"axG",@progbits,_ZN5aiter35fused_qk_rmsnorm_group_quant_kernelItDB8_Li256ELi16ELi8ELb1ELb0ELb0ELb0ELb0ELb0EEEvPT0_PvPT_S6_S6_PKS5_S8_S8_S8_S8_ffiiiiiiiiiiiii,comdat
	.protected	_ZN5aiter35fused_qk_rmsnorm_group_quant_kernelItDB8_Li256ELi16ELi8ELb1ELb0ELb0ELb0ELb0ELb0EEEvPT0_PvPT_S6_S6_PKS5_S8_S8_S8_S8_ffiiiiiiiiiiiii ; -- Begin function _ZN5aiter35fused_qk_rmsnorm_group_quant_kernelItDB8_Li256ELi16ELi8ELb1ELb0ELb0ELb0ELb0ELb0EEEvPT0_PvPT_S6_S6_PKS5_S8_S8_S8_S8_ffiiiiiiiiiiiii
	.globl	_ZN5aiter35fused_qk_rmsnorm_group_quant_kernelItDB8_Li256ELi16ELi8ELb1ELb0ELb0ELb0ELb0ELb0EEEvPT0_PvPT_S6_S6_PKS5_S8_S8_S8_S8_ffiiiiiiiiiiiii
	.p2align	8
	.type	_ZN5aiter35fused_qk_rmsnorm_group_quant_kernelItDB8_Li256ELi16ELi8ELb1ELb0ELb0ELb0ELb0ELb0EEEvPT0_PvPT_S6_S6_PKS5_S8_S8_S8_S8_ffiiiiiiiiiiiii,@function
_ZN5aiter35fused_qk_rmsnorm_group_quant_kernelItDB8_Li256ELi16ELi8ELb1ELb0ELb0ELb0ELb0ELb0EEEvPT0_PvPT_S6_S6_PKS5_S8_S8_S8_S8_ffiiiiiiiiiiiii: ; @_ZN5aiter35fused_qk_rmsnorm_group_quant_kernelItDB8_Li256ELi16ELi8ELb1ELb0ELb0ELb0ELb0ELb0EEEvPT0_PvPT_S6_S6_PKS5_S8_S8_S8_S8_ffiiiiiiiiiiiii
; %bb.0:
	s_load_dwordx8 s[12:19], s[4:5], 0x50
	s_waitcnt lgkmcnt(0)
	s_cmp_ge_i32 s6, s14
	s_cbranch_scc1 .LBB774_17
; %bb.1:
	s_cmp_lg_u32 s7, 0
	s_cselect_b64 s[10:11], -1, 0
	s_cmp_eq_u32 s7, 0
	s_cselect_b64 s[8:9], -1, 0
	s_and_b64 s[0:1], s[8:9], exec
	s_load_dwordx2 s[20:21], s[4:5], 0x48
	s_load_dwordx2 s[36:37], s[4:5], 0x30
	s_load_dwordx4 s[24:27], s[4:5], 0x70
	s_cselect_b32 s7, s15, s16
	s_add_i32 s0, s7, 1
	s_lshr_b32 s1, s0, 31
	s_add_i32 s0, s0, s1
	s_lshl_b32 s0, s0, 1
	v_lshlrev_b32_e32 v1, 4, v0
	s_and_b32 s30, s0, -4
	v_cmp_gt_i32_e64 s[0:1], s7, v1
	v_mov_b32_e32 v82, 0
	v_mov_b32_e32 v83, 0
	;; [unrolled: 1-line block ×16, first 2 shown]
	s_and_saveexec_b64 s[2:3], s[0:1]
	s_cbranch_execz .LBB774_3
; %bb.2:
	s_load_dwordx2 s[22:23], s[4:5], 0x28
	s_load_dwordx2 s[28:29], s[4:5], 0x40
	s_and_b64 s[34:35], s[8:9], exec
	s_cselect_b32 s14, s17, s18
	s_mov_b32 s31, 0x20000
	s_waitcnt lgkmcnt(0)
	s_cselect_b32 s17, s23, s37
	s_cselect_b32 s27, s22, s36
	s_mul_hi_i32 s23, s14, s6
	s_mul_i32 s22, s14, s6
	s_lshl_b64 s[22:23], s[22:23], 1
	s_add_u32 s40, s27, s22
	s_addc_u32 s14, s17, s23
	s_and_b64 s[22:23], s[8:9], exec
	s_cselect_b32 s28, s28, s20
	s_cselect_b32 s17, s29, s21
	s_and_b32 s41, s14, 0xffff
	s_mov_b32 s42, s30
	s_mov_b32 s43, s31
	v_lshlrev_b32_e32 v2, 5, v0
	s_and_b32 s29, s17, 0xffff
	buffer_load_dwordx4 v[86:89], v2, s[40:43], 0 offen
	buffer_load_dwordx4 v[90:93], v2, s[40:43], 16 offen
	;; [unrolled: 1-line block ×4, first 2 shown]
.LBB774_3:
	s_or_b64 exec, exec, s[2:3]
	s_load_dwordx2 s[34:35], s[4:5], 0x80
	s_and_b64 vcc, exec, s[10:11]
	s_cbranch_vccz .LBB774_7
; %bb.4:
	v_mov_b32_e32 v95, 0
	v_mov_b32_e32 v94, 0
	v_mov_b32_e32 v15, 0
	v_mov_b32_e32 v14, 0
	v_mov_b32_e32 v19, 0
	v_mov_b32_e32 v18, 0
	v_mov_b32_e32 v43, 0
	v_mov_b32_e32 v42, 0
	v_mov_b32_e32 v33, 0
	v_mov_b32_e32 v32, 0
	v_mov_b32_e32 v51, 0
	v_mov_b32_e32 v50, 0
	v_mov_b32_e32 v25, 0
	v_mov_b32_e32 v24, 0
	v_mov_b32_e32 v63, 0
	v_mov_b32_e32 v62, 0
	s_and_saveexec_b64 s[2:3], s[0:1]
	s_cbranch_execz .LBB774_6
; %bb.5:
	s_waitcnt vmcnt(3)
	v_cvt_f32_u32_sdwa v62, v86 dst_sel:DWORD dst_unused:UNUSED_PAD src0_sel:WORD_0
	v_cvt_f32_u32_sdwa v63, v86 dst_sel:DWORD dst_unused:UNUSED_PAD src0_sel:WORD_1
	v_cvt_f32_u32_sdwa v24, v87 dst_sel:DWORD dst_unused:UNUSED_PAD src0_sel:WORD_0
	v_cvt_f32_u32_sdwa v25, v87 dst_sel:DWORD dst_unused:UNUSED_PAD src0_sel:WORD_1
	;; [unrolled: 2-line block ×4, first 2 shown]
	s_waitcnt vmcnt(2)
	v_cvt_f32_u32_sdwa v42, v90 dst_sel:DWORD dst_unused:UNUSED_PAD src0_sel:WORD_0
	v_cvt_f32_u32_sdwa v43, v90 dst_sel:DWORD dst_unused:UNUSED_PAD src0_sel:WORD_1
	v_cvt_f32_u32_sdwa v18, v91 dst_sel:DWORD dst_unused:UNUSED_PAD src0_sel:WORD_0
	v_cvt_f32_u32_sdwa v19, v91 dst_sel:DWORD dst_unused:UNUSED_PAD src0_sel:WORD_1
	;; [unrolled: 2-line block ×4, first 2 shown]
.LBB774_6:
	s_or_b64 exec, exec, s[2:3]
	s_cbranch_execz .LBB774_8
	s_branch .LBB774_11
.LBB774_7:
                                        ; implicit-def: $vgpr22_vgpr23_vgpr24_vgpr25_vgpr26_vgpr27_vgpr28_vgpr29_vgpr30_vgpr31_vgpr32_vgpr33_vgpr34_vgpr35_vgpr36_vgpr37
                                        ; implicit-def: $vgpr46_vgpr47_vgpr48_vgpr49_vgpr50_vgpr51_vgpr52_vgpr53_vgpr54_vgpr55_vgpr56_vgpr57_vgpr58_vgpr59_vgpr60_vgpr61
                                        ; implicit-def: $vgpr26_vgpr27_vgpr28_vgpr29_vgpr30_vgpr31_vgpr32_vgpr33_vgpr34_vgpr35_vgpr36_vgpr37_vgpr38_vgpr39_vgpr40_vgpr41
                                        ; implicit-def: $vgpr8_vgpr9_vgpr10_vgpr11_vgpr12_vgpr13_vgpr14_vgpr15_vgpr16_vgpr17_vgpr18_vgpr19_vgpr20_vgpr21_vgpr22_vgpr23
                                        ; implicit-def: $vgpr95
                                        ; implicit-def: $vgpr62_vgpr63_vgpr64_vgpr65_vgpr66_vgpr67_vgpr68_vgpr69_vgpr70_vgpr71_vgpr72_vgpr73_vgpr74_vgpr75_vgpr76_vgpr77
                                        ; implicit-def: $vgpr34_vgpr35_vgpr36_vgpr37_vgpr38_vgpr39_vgpr40_vgpr41_vgpr42_vgpr43_vgpr44_vgpr45_vgpr46_vgpr47_vgpr48_vgpr49
                                        ; implicit-def: $vgpr2_vgpr3_vgpr4_vgpr5_vgpr6_vgpr7_vgpr8_vgpr9_vgpr10_vgpr11_vgpr12_vgpr13_vgpr14_vgpr15_vgpr16_vgpr17
.LBB774_8:
	v_mov_b32_e32 v95, 0
	v_mov_b32_e32 v94, 0
	;; [unrolled: 1-line block ×16, first 2 shown]
	s_and_saveexec_b64 s[2:3], s[0:1]
	s_cbranch_execz .LBB774_10
; %bb.9:
	s_load_dwordx2 s[22:23], s[4:5], 0x38
	s_mul_hi_i32 s29, s19, s6
	s_mul_i32 s28, s19, s6
	s_lshl_b64 s[28:29], s[28:29], 1
	s_mov_b32 s31, 0x20000
	s_waitcnt lgkmcnt(0)
	s_add_u32 s28, s22, s28
	s_addc_u32 s14, s23, s29
	s_and_b32 s29, s14, 0xffff
	v_lshlrev_b32_e32 v38, 5, v0
	buffer_load_dwordx4 v[4:7], v38, s[28:31], 16 offen
	buffer_load_dwordx4 v[8:11], v38, s[28:31], 0 offen
	s_load_dwordx2 s[22:23], s[4:5], 0x20
	s_waitcnt vmcnt(5)
	v_cvt_f32_u32_sdwa v19, v86 dst_sel:DWORD dst_unused:UNUSED_PAD src0_sel:WORD_1
	v_cvt_f32_u32_sdwa v18, v86 dst_sel:DWORD dst_unused:UNUSED_PAD src0_sel:WORD_0
	v_cvt_f32_u32_sdwa v21, v87 dst_sel:DWORD dst_unused:UNUSED_PAD src0_sel:WORD_1
	v_cvt_f32_u32_sdwa v20, v87 dst_sel:DWORD dst_unused:UNUSED_PAD src0_sel:WORD_0
	;; [unrolled: 2-line block ×4, first 2 shown]
	s_waitcnt vmcnt(4)
	v_cvt_f32_u32_sdwa v3, v90 dst_sel:DWORD dst_unused:UNUSED_PAD src0_sel:WORD_1
	v_cvt_f32_u32_sdwa v2, v90 dst_sel:DWORD dst_unused:UNUSED_PAD src0_sel:WORD_0
	v_cvt_f32_u32_sdwa v13, v91 dst_sel:DWORD dst_unused:UNUSED_PAD src0_sel:WORD_1
	v_cvt_f32_u32_sdwa v12, v91 dst_sel:DWORD dst_unused:UNUSED_PAD src0_sel:WORD_0
	;; [unrolled: 2-line block ×3, first 2 shown]
	v_cvt_f32_u32_sdwa v16, v93 dst_sel:DWORD dst_unused:UNUSED_PAD src0_sel:WORD_0
	v_cvt_f32_u32_sdwa v17, v93 dst_sel:DWORD dst_unused:UNUSED_PAD src0_sel:WORD_1
	s_mul_hi_i32 s29, s35, s6
	s_mul_i32 s28, s35, s6
	s_lshl_b64 s[28:29], s[28:29], 1
	s_waitcnt lgkmcnt(0)
	s_add_u32 s28, s22, s28
	s_mov_b32 s14, 0x7060302
	s_addc_u32 s17, s23, s29
	s_and_b32 s29, s17, 0xffff
	s_waitcnt vmcnt(1)
	v_cvt_f32_u32_sdwa v27, v4 dst_sel:DWORD dst_unused:UNUSED_PAD src0_sel:WORD_1
	v_cvt_f32_u32_sdwa v26, v4 dst_sel:DWORD dst_unused:UNUSED_PAD src0_sel:WORD_0
	v_cvt_f32_u32_sdwa v29, v5 dst_sel:DWORD dst_unused:UNUSED_PAD src0_sel:WORD_1
	v_cvt_f32_u32_sdwa v28, v5 dst_sel:DWORD dst_unused:UNUSED_PAD src0_sel:WORD_0
	;; [unrolled: 2-line block ×3, first 2 shown]
	v_cvt_f32_u32_sdwa v34, v7 dst_sel:DWORD dst_unused:UNUSED_PAD src0_sel:WORD_0
	v_cvt_f32_u32_sdwa v35, v7 dst_sel:DWORD dst_unused:UNUSED_PAD src0_sel:WORD_1
	s_waitcnt vmcnt(0)
	v_cvt_f32_u32_sdwa v37, v8 dst_sel:DWORD dst_unused:UNUSED_PAD src0_sel:WORD_1
	v_cvt_f32_u32_sdwa v36, v8 dst_sel:DWORD dst_unused:UNUSED_PAD src0_sel:WORD_0
	v_cvt_f32_u32_sdwa v5, v10 dst_sel:DWORD dst_unused:UNUSED_PAD src0_sel:WORD_1
	v_cvt_f32_u32_sdwa v4, v10 dst_sel:DWORD dst_unused:UNUSED_PAD src0_sel:WORD_0
	;; [unrolled: 2-line block ×4, first 2 shown]
	v_pk_add_f32 v[50:51], v[22:23], v[4:5]
	v_pk_add_f32 v[32:33], v[24:25], v[6:7]
	;; [unrolled: 1-line block ×4, first 2 shown]
	v_perm_b32 v7, v33, v32, s14
	v_perm_b32 v6, v51, v50, s14
	v_perm_b32 v5, v25, v24, s14
	v_perm_b32 v4, v63, v62, s14
	v_pk_add_f32 v[94:95], v[16:17], v[34:35]
	v_pk_add_f32 v[14:15], v[14:15], v[30:31]
	;; [unrolled: 1-line block ×4, first 2 shown]
	buffer_store_dwordx4 v[4:7], v38, s[28:31], 0 offen
	;;#ASMSTART
	s_nop 0
	;;#ASMEND
	s_nop 0
	v_perm_b32 v7, v95, v94, s14
	v_perm_b32 v6, v15, v14, s14
	;; [unrolled: 1-line block ×4, first 2 shown]
	buffer_store_dwordx4 v[4:7], v38, s[28:31], 16 offen
	;;#ASMSTART
	s_nop 0
	;;#ASMEND
.LBB774_10:
	s_or_b64 exec, exec, s[2:3]
.LBB774_11:
	v_mul_f32_e32 v2, v63, v63
	v_fmac_f32_e32 v2, v62, v62
	v_fmac_f32_e32 v2, v24, v24
	;; [unrolled: 1-line block ×15, first 2 shown]
	s_nop 1
	v_mov_b32_dpp v3, v2 quad_perm:[1,0,3,2] row_mask:0xf bank_mask:0xf
	v_add_f32_e32 v2, v2, v3
	s_nop 1
	v_mov_b32_dpp v3, v2 quad_perm:[2,3,0,1] row_mask:0xf bank_mask:0xf
	v_add_f32_e32 v2, v2, v3
	s_nop 1
	v_mov_b32_dpp v3, v2 row_half_mirror row_mask:0xf bank_mask:0xf
	v_add_f32_e32 v2, v2, v3
	s_nop 1
	v_mov_b32_dpp v3, v2 row_mirror row_mask:0xf bank_mask:0xf
	v_add_f32_e32 v2, v2, v3
	s_nop 1
	v_mov_b32_dpp v3, v2 row_bcast:15 row_mask:0xf bank_mask:0xf
	v_add_f32_e32 v2, v2, v3
	v_and_b32_e32 v3, 63, v0
	v_cmp_eq_u32_e64 s[2:3], 63, v3
	s_nop 0
	v_mov_b32_dpp v3, v2 row_bcast:31 row_mask:0xf bank_mask:0xf
	s_and_saveexec_b64 s[22:23], s[2:3]
	s_cbranch_execz .LBB774_13
; %bb.12:
	v_add_f32_e32 v2, v2, v3
	v_lshrrev_b32_e32 v3, 4, v0
	v_and_b32_e32 v3, 60, v3
	ds_write_b32 v3, v2 offset:16
.LBB774_13:
	s_or_b64 exec, exec, s[22:23]
	v_and_b32_e32 v2, 3, v0
	v_lshlrev_b32_e32 v34, 2, v2
	s_waitcnt lgkmcnt(0)
	s_barrier
	ds_read_b32 v2, v34 offset:16
	s_load_dwordx2 s[38:39], s[4:5], 0x18
	s_waitcnt lgkmcnt(0)
	v_mov_b32_dpp v3, v2 quad_perm:[1,0,3,2] row_mask:0xf bank_mask:0xf
	v_add_f32_e32 v2, v2, v3
	s_nop 1
	v_mov_b32_dpp v3, v2 quad_perm:[2,3,0,1] row_mask:0xf bank_mask:0xf
	s_and_saveexec_b64 s[22:23], s[0:1]
	s_cbranch_execnz .LBB774_18
; %bb.14:
	s_or_b64 exec, exec, s[22:23]
	s_mov_b64 s[8:9], -1
	s_and_b64 vcc, exec, s[10:11]
	s_cbranch_vccnz .LBB774_19
.LBB774_15:
	s_andn2_b64 vcc, exec, s[8:9]
	s_cbranch_vccz .LBB774_22
.LBB774_16:
	s_cmp_lt_i32 s16, 1
	s_cbranch_scc0 .LBB774_29
.LBB774_17:
	s_endpgm
.LBB774_18:
	v_add_f32_e32 v2, v2, v3
	v_cvt_f32_u32_e32 v3, s7
	s_mov_b32 s7, 0x800000
	s_waitcnt vmcnt(1)
	v_cvt_f32_u32_sdwa v21, v83 dst_sel:DWORD dst_unused:UNUSED_PAD src0_sel:WORD_1
	v_cvt_f32_u32_sdwa v20, v83 dst_sel:DWORD dst_unused:UNUSED_PAD src0_sel:WORD_0
	v_div_scale_f32 v4, s[28:29], v3, v3, v2
	v_rcp_f32_e32 v5, v4
	s_waitcnt vmcnt(0)
	v_cvt_f32_u32_sdwa v23, v80 dst_sel:DWORD dst_unused:UNUSED_PAD src0_sel:WORD_1
	v_cvt_f32_u32_sdwa v22, v80 dst_sel:DWORD dst_unused:UNUSED_PAD src0_sel:WORD_0
	v_cvt_f32_u32_sdwa v27, v81 dst_sel:DWORD dst_unused:UNUSED_PAD src0_sel:WORD_1
	v_fma_f32 v6, -v4, v5, 1.0
	v_fmac_f32_e32 v5, v6, v5
	v_div_scale_f32 v6, vcc, v2, v3, v2
	v_mul_f32_e32 v7, v6, v5
	v_fma_f32 v8, -v4, v7, v6
	v_fmac_f32_e32 v7, v8, v5
	v_fma_f32 v4, -v4, v7, v6
	v_div_fmas_f32 v4, v4, v5, v7
	v_div_fixup_f32 v2, v4, v3, v2
	v_mov_b32_e32 v3, s13
	v_mov_b32_e32 v4, s12
	v_cndmask_b32_e64 v3, v3, v4, s[8:9]
	v_add_f32_e32 v2, v3, v2
	v_mul_f32_e32 v3, 0x4b800000, v2
	v_cmp_gt_f32_e32 vcc, s7, v2
	v_cndmask_b32_e32 v2, v2, v3, vcc
	v_rsq_f32_e32 v2, v2
	v_cvt_f32_u32_sdwa v26, v81 dst_sel:DWORD dst_unused:UNUSED_PAD src0_sel:WORD_0
	v_mul_f32_e32 v3, 0x45800000, v2
	v_cndmask_b32_e32 v2, v2, v3, vcc
	v_mov_b32_e32 v3, v2
	;;#ASMSTART
	v_pk_mul_f32 v[4:5], v[62:63], v[2:3]
	;;#ASMEND
	;;#ASMSTART
	v_pk_mul_f32 v[6:7], v[24:25], v[2:3]
	;;#ASMEND
	;; [unrolled: 3-line block ×6, first 2 shown]
	v_cvt_f32_u32_sdwa v19, v82 dst_sel:DWORD dst_unused:UNUSED_PAD src0_sel:WORD_1
	v_cvt_f32_u32_sdwa v18, v82 dst_sel:DWORD dst_unused:UNUSED_PAD src0_sel:WORD_0
	;;#ASMSTART
	v_pk_mul_f32 v[14:15], v[14:15], v[2:3]
	;;#ASMEND
	;;#ASMSTART
	v_pk_mul_f32 v[2:3], v[94:95], v[2:3]
	;;#ASMEND
	;; [unrolled: 3-line block ×3, first 2 shown]
	v_cvt_f32_u32_sdwa v19, v78 dst_sel:DWORD dst_unused:UNUSED_PAD src0_sel:WORD_1
	v_cvt_f32_u32_sdwa v18, v78 dst_sel:DWORD dst_unused:UNUSED_PAD src0_sel:WORD_0
	;;#ASMSTART
	v_pk_mul_f32 v[24:25], v[6:7], v[20:21]
	;;#ASMEND
	v_cvt_f32_u32_sdwa v5, v84 dst_sel:DWORD dst_unused:UNUSED_PAD src0_sel:WORD_1
	v_cvt_f32_u32_sdwa v4, v84 dst_sel:DWORD dst_unused:UNUSED_PAD src0_sel:WORD_0
	v_cvt_f32_u32_sdwa v7, v85 dst_sel:DWORD dst_unused:UNUSED_PAD src0_sel:WORD_1
	v_cvt_f32_u32_sdwa v6, v85 dst_sel:DWORD dst_unused:UNUSED_PAD src0_sel:WORD_0
	v_cvt_f32_u32_sdwa v21, v79 dst_sel:DWORD dst_unused:UNUSED_PAD src0_sel:WORD_1
	v_cvt_f32_u32_sdwa v20, v79 dst_sel:DWORD dst_unused:UNUSED_PAD src0_sel:WORD_0
	;;#ASMSTART
	v_pk_mul_f32 v[50:51], v[8:9], v[4:5]
	;;#ASMEND
	;;#ASMSTART
	v_pk_mul_f32 v[32:33], v[10:11], v[6:7]
	;;#ASMEND
	;; [unrolled: 3-line block ×6, first 2 shown]
	s_or_b64 exec, exec, s[22:23]
	s_mov_b64 s[8:9], -1
	s_and_b64 vcc, exec, s[10:11]
	s_cbranch_vccz .LBB774_15
.LBB774_19:
	s_and_saveexec_b64 s[8:9], s[0:1]
	s_cbranch_execz .LBB774_21
; %bb.20:
	s_mul_hi_i32 s11, s34, s6
	s_mul_i32 s10, s34, s6
	s_lshl_b64 s[10:11], s[10:11], 1
	s_add_u32 s28, s38, s10
	s_addc_u32 s7, s39, s11
	s_and_b32 s29, s7, 0xffff
	s_mov_b32 s7, 0x7060302
	s_mov_b32 s31, 0x20000
	v_perm_b32 v5, v33, v32, s7
	v_perm_b32 v4, v51, v50, s7
	;; [unrolled: 1-line block ×4, first 2 shown]
	v_lshlrev_b32_e32 v6, 5, v0
	buffer_store_dwordx4 v[2:5], v6, s[28:31], 0 offen
	;;#ASMSTART
	s_nop 0
	;;#ASMEND
	s_nop 0
	v_perm_b32 v5, v95, v94, s7
	v_perm_b32 v4, v15, v14, s7
	;; [unrolled: 1-line block ×4, first 2 shown]
	buffer_store_dwordx4 v[2:5], v6, s[28:31], 16 offen
	;;#ASMSTART
	s_nop 0
	;;#ASMEND
.LBB774_21:
	s_or_b64 exec, exec, s[8:9]
	s_cbranch_execnz .LBB774_16
.LBB774_22:
	v_mov_b32_e32 v2, 0
	s_and_saveexec_b64 s[8:9], s[0:1]
	s_cbranch_execz .LBB774_24
; %bb.23:
	v_and_b32_e32 v2, 0x7fffffff, v62
	v_and_b32_e32 v3, 0x7fffffff, v63
	v_mov_b32_e32 v4, 0x2edbe6ff
	;;#ASMSTART
	v_max3_f32 v2, v4, v2, v3

	;;#ASMEND
	v_and_b32_e32 v3, 0x7fffffff, v24
	v_and_b32_e32 v4, 0x7fffffff, v25
	;;#ASMSTART
	v_max3_f32 v2, v2, v3, v4

	;;#ASMEND
	v_and_b32_e32 v3, 0x7fffffff, v50
	v_and_b32_e32 v4, 0x7fffffff, v51
	;; [unrolled: 6-line block ×7, first 2 shown]
	;;#ASMSTART
	v_max3_f32 v2, v2, v3, v4

	;;#ASMEND
.LBB774_24:
	s_or_b64 exec, exec, s[8:9]
	;;#ASMSTART
	v_max_f32 v3, v2, v2 quad_perm:[1,0,3,2] row_mask:0xf bank_mask:0xf bound_ctrl:1
	;;#ASMEND
	;;#ASMSTART
	v_max_f32 v2, v3, v3 quad_perm:[2,3,0,1] row_mask:0xf bank_mask:0xf bound_ctrl:1
	;;#ASMEND
	;;#ASMSTART
	v_max_f32 v3, v2, v2 row_half_mirror row_mask:0xf bank_mask:0xf bound_ctrl:1
	;;#ASMEND
	v_mul_f32_e32 v2, 0x3b124925, v3
	v_and_b32_e32 v3, 7, v0
	v_cmp_eq_u32_e32 vcc, 0, v3
	v_cmp_gt_i32_e64 s[8:9], s15, v1
	s_and_b64 s[10:11], vcc, s[8:9]
	s_and_saveexec_b64 s[8:9], s[10:11]
	s_cbranch_execz .LBB774_26
; %bb.25:
	s_load_dwordx2 s[10:11], s[4:5], 0x8
	s_mul_hi_i32 s23, s25, s6
	s_mul_i32 s22, s25, s6
	v_lshrrev_b32_e32 v3, 3, v0
	s_lshl_b64 s[22:23], s[22:23], 2
	v_mad_i64_i32 v[4:5], s[26:27], s26, v3, 0
	s_waitcnt lgkmcnt(0)
	s_add_u32 s7, s10, s22
	s_addc_u32 s10, s11, s23
	v_lshlrev_b64 v[4:5], 2, v[4:5]
	v_mov_b32_e32 v3, s10
	v_add_co_u32_e32 v4, vcc, s7, v4
	v_addc_co_u32_e32 v5, vcc, v3, v5, vcc
	global_store_dword v[4:5], v2, off
.LBB774_26:
	s_or_b64 exec, exec, s[8:9]
	;;#ASMSTART
	v_rcp_f32 v2, v2
	;;#ASMEND
	s_and_saveexec_b64 s[22:23], s[0:1]
	s_cbranch_execz .LBB774_28
; %bb.27:
	v_mov_b32_e32 v3, v2
	;;#ASMSTART
	v_pk_mul_f32 v[4:5], v[62:63], v[2:3]
	;;#ASMEND
	v_mov_b32_e32 v10, 0xc3e00000
	v_mov_b32_e32 v11, 0x43e00000
	;;#ASMSTART
	v_med3_f32 v4, v4, v10, v11
v_med3_f32 v5, v5, v10, v11
v_cvt_pk_fp8_f32 v6, v4, v5
	;;#ASMEND
	;;#ASMSTART
	v_pk_mul_f32 v[4:5], v[24:25], v[2:3]
	;;#ASMEND
	;;#ASMSTART
	v_med3_f32 v4, v4, v10, v11
v_med3_f32 v5, v5, v10, v11
v_cvt_pk_fp8_f32 v7, v4, v5
	;;#ASMEND
	;;#ASMSTART
	v_pk_mul_f32 v[4:5], v[50:51], v[2:3]
	;;#ASMEND
	;; [unrolled: 8-line block ×3, first 2 shown]
	;;#ASMSTART
	v_med3_f32 v4, v4, v10, v11
v_med3_f32 v5, v5, v10, v11
v_cvt_pk_fp8_f32 v9, v4, v5
	;;#ASMEND
	s_mov_b32 s0, 0x5040100
	v_perm_b32 v4, v7, v6, s0
	s_mov_b32 s0, 0x1060504
	v_perm_b32 v4, v4, v7, s0
	s_load_dwordx2 s[0:1], s[4:5], 0x0
	s_mov_b32 s7, 0x1000504
	;;#ASMSTART
	v_pk_mul_f32 v[6:7], v[42:43], v[2:3]
	;;#ASMEND
	v_perm_b32 v5, v8, v9, s7
	s_mul_i32 s8, s24, s6
	;;#ASMSTART
	v_med3_f32 v6, v6, v10, v11
v_med3_f32 v7, v7, v10, v11
v_cvt_pk_fp8_f32 v8, v6, v7
	;;#ASMEND
	s_mul_hi_i32 s9, s24, s6
	s_waitcnt lgkmcnt(0)
	s_add_u32 s8, s0, s8
	;;#ASMSTART
	v_pk_mul_f32 v[6:7], v[18:19], v[2:3]
	;;#ASMEND
	s_addc_u32 s0, s1, s9
	s_add_i32 s1, s15, 3
	;;#ASMSTART
	v_med3_f32 v6, v6, v10, v11
v_med3_f32 v7, v7, v10, v11
v_cvt_pk_fp8_f32 v9, v6, v7
	;;#ASMEND
	s_ashr_i32 s9, s1, 31
	v_perm_b32 v6, v8, v9, s7
	;;#ASMSTART
	v_pk_mul_f32 v[8:9], v[14:15], v[2:3]
	;;#ASMEND
	v_mov_b32_e32 v7, v9
	s_lshr_b32 s9, s9, 30
	;;#ASMSTART
	v_med3_f32 v8, v8, v10, v11
v_med3_f32 v7, v7, v10, v11
v_cvt_pk_fp8_f32 v9, v8, v7
	;;#ASMEND
	;;#ASMSTART
	v_pk_mul_f32 v[2:3], v[94:95], v[2:3]
	;;#ASMEND
	s_add_i32 s1, s1, s9
	;;#ASMSTART
	v_med3_f32 v2, v2, v10, v11
v_med3_f32 v3, v3, v10, v11
v_cvt_pk_fp8_f32 v7, v2, v3
	;;#ASMEND
	s_and_b32 s10, s1, -4
	s_and_b32 s9, s0, 0xffff
	s_mov_b32 s11, 0x20000
	v_perm_b32 v7, v9, v7, s7
	buffer_store_dwordx4 v[4:7], v1, s[8:11], 0 offen
	;;#ASMSTART
	s_nop 0
	;;#ASMEND
.LBB774_28:
	s_or_b64 exec, exec, s[22:23]
	s_cmp_lt_i32 s16, 1
	s_cbranch_scc1 .LBB774_17
.LBB774_29:
	s_load_dword s0, s[4:5], 0x94
	s_waitcnt lgkmcnt(0)
	s_cmp_lg_u32 s0, 1
	s_cbranch_scc1 .LBB774_17
; %bb.30:
	s_lshl_b32 s0, s16, 1
	s_add_i32 s0, s0, 2
	v_cmp_gt_u32_e32 vcc, s16, v1
	s_and_b32 s22, s0, -4
	v_mov_b32_e32 v18, 0
	v_lshlrev_b32_e32 v1, 5, v0
	v_mov_b32_e32 v14, 0
	v_mov_b32_e32 v15, 0
	;; [unrolled: 1-line block ×16, first 2 shown]
	s_barrier
	s_and_saveexec_b64 s[0:1], vcc
	s_cbranch_execz .LBB774_32
; %bb.31:
	s_mul_hi_i32 s5, s18, s6
	s_mul_i32 s4, s18, s6
	s_and_b32 s21, s21, 0xffff
	s_lshl_b64 s[4:5], s[4:5], 1
	s_add_u32 s8, s36, s4
	s_mov_b32 s23, 0x20000
	s_addc_u32 s4, s37, s5
	s_and_b32 s9, s4, 0xffff
	s_mov_b32 s10, s22
	s_mov_b32 s11, s23
	buffer_load_dwordx4 v[14:17], v1, s[8:11], 0 offen
	buffer_load_dwordx4 v[10:13], v1, s[8:11], 16 offen
	;; [unrolled: 1-line block ×4, first 2 shown]
.LBB774_32:
	s_or_b64 exec, exec, s[0:1]
	v_mov_b32_e32 v19, 0
	v_mov_b32_e32 v32, 0
	;; [unrolled: 1-line block ×15, first 2 shown]
	s_and_saveexec_b64 s[0:1], vcc
	s_cbranch_execz .LBB774_34
; %bb.33:
	s_waitcnt vmcnt(3)
	v_cvt_f32_u32_sdwa v18, v14 dst_sel:DWORD dst_unused:UNUSED_PAD src0_sel:WORD_0
	v_cvt_f32_u32_sdwa v19, v14 dst_sel:DWORD dst_unused:UNUSED_PAD src0_sel:WORD_1
	v_cvt_f32_u32_sdwa v32, v15 dst_sel:DWORD dst_unused:UNUSED_PAD src0_sel:WORD_0
	v_cvt_f32_u32_sdwa v33, v15 dst_sel:DWORD dst_unused:UNUSED_PAD src0_sel:WORD_1
	;; [unrolled: 2-line block ×4, first 2 shown]
	s_waitcnt vmcnt(2)
	v_cvt_f32_u32_sdwa v26, v10 dst_sel:DWORD dst_unused:UNUSED_PAD src0_sel:WORD_0
	v_cvt_f32_u32_sdwa v27, v10 dst_sel:DWORD dst_unused:UNUSED_PAD src0_sel:WORD_1
	v_cvt_f32_u32_sdwa v24, v11 dst_sel:DWORD dst_unused:UNUSED_PAD src0_sel:WORD_0
	v_cvt_f32_u32_sdwa v25, v11 dst_sel:DWORD dst_unused:UNUSED_PAD src0_sel:WORD_1
	;; [unrolled: 2-line block ×4, first 2 shown]
.LBB774_34:
	s_or_b64 exec, exec, s[0:1]
	s_waitcnt vmcnt(2)
	v_mul_f32_e32 v10, v19, v19
	v_fmac_f32_e32 v10, v18, v18
	v_fmac_f32_e32 v10, v32, v32
	;; [unrolled: 1-line block ×15, first 2 shown]
	s_nop 1
	v_mov_b32_dpp v11, v10 quad_perm:[1,0,3,2] row_mask:0xf bank_mask:0xf
	v_add_f32_e32 v10, v10, v11
	s_nop 1
	v_mov_b32_dpp v11, v10 quad_perm:[2,3,0,1] row_mask:0xf bank_mask:0xf
	v_add_f32_e32 v10, v10, v11
	s_nop 1
	v_mov_b32_dpp v11, v10 row_half_mirror row_mask:0xf bank_mask:0xf
	v_add_f32_e32 v10, v10, v11
	s_nop 1
	v_mov_b32_dpp v11, v10 row_mirror row_mask:0xf bank_mask:0xf
	v_add_f32_e32 v10, v10, v11
	s_nop 1
	v_mov_b32_dpp v11, v10 row_bcast:15 row_mask:0xf bank_mask:0xf
	v_add_f32_e32 v10, v10, v11
	s_nop 1
	v_mov_b32_dpp v11, v10 row_bcast:31 row_mask:0xf bank_mask:0xf
	s_and_saveexec_b64 s[0:1], s[2:3]
	s_cbranch_execz .LBB774_36
; %bb.35:
	v_lshrrev_b32_e32 v0, 4, v0
	v_add_f32_e32 v10, v10, v11
	v_and_b32_e32 v0, 60, v0
	ds_write_b32 v0, v10
.LBB774_36:
	s_or_b64 exec, exec, s[0:1]
	s_waitcnt lgkmcnt(0)
	s_barrier
	ds_read_b32 v0, v34
	s_waitcnt lgkmcnt(0)
	s_nop 0
	v_mov_b32_dpp v10, v0 quad_perm:[1,0,3,2] row_mask:0xf bank_mask:0xf
	v_add_f32_e32 v0, v0, v10
	s_nop 1
	v_mov_b32_dpp v10, v0 quad_perm:[2,3,0,1] row_mask:0xf bank_mask:0xf
	s_and_saveexec_b64 s[0:1], vcc
	s_cbranch_execz .LBB774_17
; %bb.37:
	v_cvt_f32_u32_e32 v11, s16
	v_add_f32_e32 v0, v0, v10
	s_mov_b32 s23, 0x20000
	v_div_scale_f32 v10, s[0:1], v11, v11, v0
	v_rcp_f32_e32 v12, v10
	v_div_scale_f32 v13, vcc, v0, v11, v0
	s_mov_b32 s0, 0x800000
	v_fma_f32 v14, -v10, v12, 1.0
	v_fmac_f32_e32 v12, v14, v12
	v_mul_f32_e32 v14, v13, v12
	v_fma_f32 v15, -v10, v14, v13
	v_fmac_f32_e32 v14, v15, v12
	v_fma_f32 v10, -v10, v14, v13
	v_div_fmas_f32 v10, v10, v12, v14
	v_div_fixup_f32 v0, v10, v11, v0
	v_add_f32_e32 v0, s13, v0
	v_mul_f32_e32 v10, 0x4b800000, v0
	v_cmp_gt_f32_e32 vcc, s0, v0
	v_cndmask_b32_e32 v0, v0, v10, vcc
	v_rsq_f32_e32 v0, v0
	s_mul_hi_i32 s1, s34, s6
	s_mul_i32 s0, s34, s6
	s_lshl_b64 s[0:1], s[0:1], 1
	v_mul_f32_e32 v10, 0x45800000, v0
	v_cndmask_b32_e32 v10, v0, v10, vcc
	v_mov_b32_e32 v11, v10
	s_add_u32 s20, s38, s0
	;;#ASMSTART
	v_pk_mul_f32 v[12:13], v[18:19], v[10:11]
	;;#ASMEND
	;;#ASMSTART
	v_pk_mul_f32 v[14:15], v[32:33], v[10:11]
	;;#ASMEND
	;; [unrolled: 3-line block ×8, first 2 shown]
	s_waitcnt vmcnt(1)
	v_cvt_f32_u32_sdwa v21, v6 dst_sel:DWORD dst_unused:UNUSED_PAD src0_sel:WORD_1
	v_cvt_f32_u32_sdwa v20, v6 dst_sel:DWORD dst_unused:UNUSED_PAD src0_sel:WORD_0
	v_cvt_f32_u32_sdwa v29, v7 dst_sel:DWORD dst_unused:UNUSED_PAD src0_sel:WORD_1
	v_cvt_f32_u32_sdwa v28, v7 dst_sel:DWORD dst_unused:UNUSED_PAD src0_sel:WORD_0
	;; [unrolled: 2-line block ×3, first 2 shown]
	s_addc_u32 s0, s39, s1
	v_cvt_f32_u32_sdwa v31, v9 dst_sel:DWORD dst_unused:UNUSED_PAD src0_sel:WORD_1
	v_cvt_f32_u32_sdwa v30, v9 dst_sel:DWORD dst_unused:UNUSED_PAD src0_sel:WORD_0
	;;#ASMSTART
	v_pk_mul_f32 v[8:9], v[12:13], v[20:21]
	;;#ASMEND
	;;#ASMSTART
	v_pk_mul_f32 v[12:13], v[14:15], v[28:29]
	;;#ASMEND
	;; [unrolled: 3-line block ×4, first 2 shown]
	s_waitcnt vmcnt(0)
	v_cvt_f32_u32_sdwa v17, v2 dst_sel:DWORD dst_unused:UNUSED_PAD src0_sel:WORD_1
	v_cvt_f32_u32_sdwa v16, v2 dst_sel:DWORD dst_unused:UNUSED_PAD src0_sel:WORD_0
	v_cvt_f32_u32_sdwa v19, v3 dst_sel:DWORD dst_unused:UNUSED_PAD src0_sel:WORD_1
	v_cvt_f32_u32_sdwa v18, v3 dst_sel:DWORD dst_unused:UNUSED_PAD src0_sel:WORD_0
	;; [unrolled: 2-line block ×3, first 2 shown]
	s_and_b32 s21, s0, 0xffff
	s_mov_b32 s0, 0x7060302
	v_cvt_f32_u32_sdwa v21, v5 dst_sel:DWORD dst_unused:UNUSED_PAD src0_sel:WORD_1
	v_cvt_f32_u32_sdwa v20, v5 dst_sel:DWORD dst_unused:UNUSED_PAD src0_sel:WORD_0
	;;#ASMSTART
	v_pk_mul_f32 v[16:17], v[26:27], v[16:17]
	;;#ASMEND
	;;#ASMSTART
	v_pk_mul_f32 v[18:19], v[24:25], v[18:19]
	;;#ASMEND
	;; [unrolled: 3-line block ×3, first 2 shown]
	v_perm_b32 v2, v9, v8, s0
	v_perm_b32 v3, v13, v12, s0
	;; [unrolled: 1-line block ×4, first 2 shown]
	;;#ASMSTART
	v_pk_mul_f32 v[10:11], v[10:11], v[20:21]
	;;#ASMEND
	buffer_store_dwordx4 v[2:5], v1, s[20:23], 0 offen
	;;#ASMSTART
	s_nop 0
	;;#ASMEND
	s_nop 0
	v_perm_b32 v2, v17, v16, s0
	v_perm_b32 v3, v19, v18, s0
	;; [unrolled: 1-line block ×4, first 2 shown]
	buffer_store_dwordx4 v[2:5], v1, s[20:23], 16 offen
	;;#ASMSTART
	s_nop 0
	;;#ASMEND
	s_endpgm
	.section	.rodata,"a",@progbits
	.p2align	6, 0x0
	.amdhsa_kernel _ZN5aiter35fused_qk_rmsnorm_group_quant_kernelItDB8_Li256ELi16ELi8ELb1ELb0ELb0ELb0ELb0ELb0EEEvPT0_PvPT_S6_S6_PKS5_S8_S8_S8_S8_ffiiiiiiiiiiiii
		.amdhsa_group_segment_fixed_size 32
		.amdhsa_private_segment_fixed_size 0
		.amdhsa_kernarg_size 400
		.amdhsa_user_sgpr_count 6
		.amdhsa_user_sgpr_private_segment_buffer 1
		.amdhsa_user_sgpr_dispatch_ptr 0
		.amdhsa_user_sgpr_queue_ptr 0
		.amdhsa_user_sgpr_kernarg_segment_ptr 1
		.amdhsa_user_sgpr_dispatch_id 0
		.amdhsa_user_sgpr_flat_scratch_init 0
		.amdhsa_user_sgpr_kernarg_preload_length 0
		.amdhsa_user_sgpr_kernarg_preload_offset 0
		.amdhsa_user_sgpr_private_segment_size 0
		.amdhsa_uses_dynamic_stack 0
		.amdhsa_system_sgpr_private_segment_wavefront_offset 0
		.amdhsa_system_sgpr_workgroup_id_x 1
		.amdhsa_system_sgpr_workgroup_id_y 1
		.amdhsa_system_sgpr_workgroup_id_z 0
		.amdhsa_system_sgpr_workgroup_info 0
		.amdhsa_system_vgpr_workitem_id 0
		.amdhsa_next_free_vgpr 96
		.amdhsa_next_free_sgpr 44
		.amdhsa_accum_offset 96
		.amdhsa_reserve_vcc 1
		.amdhsa_reserve_flat_scratch 0
		.amdhsa_float_round_mode_32 0
		.amdhsa_float_round_mode_16_64 0
		.amdhsa_float_denorm_mode_32 3
		.amdhsa_float_denorm_mode_16_64 3
		.amdhsa_dx10_clamp 1
		.amdhsa_ieee_mode 1
		.amdhsa_fp16_overflow 0
		.amdhsa_tg_split 0
		.amdhsa_exception_fp_ieee_invalid_op 0
		.amdhsa_exception_fp_denorm_src 0
		.amdhsa_exception_fp_ieee_div_zero 0
		.amdhsa_exception_fp_ieee_overflow 0
		.amdhsa_exception_fp_ieee_underflow 0
		.amdhsa_exception_fp_ieee_inexact 0
		.amdhsa_exception_int_div_zero 0
	.end_amdhsa_kernel
	.section	.text._ZN5aiter35fused_qk_rmsnorm_group_quant_kernelItDB8_Li256ELi16ELi8ELb1ELb0ELb0ELb0ELb0ELb0EEEvPT0_PvPT_S6_S6_PKS5_S8_S8_S8_S8_ffiiiiiiiiiiiii,"axG",@progbits,_ZN5aiter35fused_qk_rmsnorm_group_quant_kernelItDB8_Li256ELi16ELi8ELb1ELb0ELb0ELb0ELb0ELb0EEEvPT0_PvPT_S6_S6_PKS5_S8_S8_S8_S8_ffiiiiiiiiiiiii,comdat
.Lfunc_end774:
	.size	_ZN5aiter35fused_qk_rmsnorm_group_quant_kernelItDB8_Li256ELi16ELi8ELb1ELb0ELb0ELb0ELb0ELb0EEEvPT0_PvPT_S6_S6_PKS5_S8_S8_S8_S8_ffiiiiiiiiiiiii, .Lfunc_end774-_ZN5aiter35fused_qk_rmsnorm_group_quant_kernelItDB8_Li256ELi16ELi8ELb1ELb0ELb0ELb0ELb0ELb0EEEvPT0_PvPT_S6_S6_PKS5_S8_S8_S8_S8_ffiiiiiiiiiiiii
                                        ; -- End function
	.section	.AMDGPU.csdata,"",@progbits
; Kernel info:
; codeLenInByte = 4076
; NumSgprs: 48
; NumVgprs: 96
; NumAgprs: 0
; TotalNumVgprs: 96
; ScratchSize: 0
; MemoryBound: 0
; FloatMode: 240
; IeeeMode: 1
; LDSByteSize: 32 bytes/workgroup (compile time only)
; SGPRBlocks: 5
; VGPRBlocks: 11
; NumSGPRsForWavesPerEU: 48
; NumVGPRsForWavesPerEU: 96
; AccumOffset: 96
; Occupancy: 5
; WaveLimiterHint : 0
; COMPUTE_PGM_RSRC2:SCRATCH_EN: 0
; COMPUTE_PGM_RSRC2:USER_SGPR: 6
; COMPUTE_PGM_RSRC2:TRAP_HANDLER: 0
; COMPUTE_PGM_RSRC2:TGID_X_EN: 1
; COMPUTE_PGM_RSRC2:TGID_Y_EN: 1
; COMPUTE_PGM_RSRC2:TGID_Z_EN: 0
; COMPUTE_PGM_RSRC2:TIDIG_COMP_CNT: 0
; COMPUTE_PGM_RSRC3_GFX90A:ACCUM_OFFSET: 23
; COMPUTE_PGM_RSRC3_GFX90A:TG_SPLIT: 0
	.section	.text._ZN5aiter35fused_qk_rmsnorm_group_quant_kernelIDF16_N4opus5fp4_tELi256ELi16ELi8ELb1ELb0ELb0ELb0ELb0ELb0EEEvPT0_PvPT_S7_S7_PKS6_S9_S9_S9_S9_ffiiiiiiiiiiiii,"axG",@progbits,_ZN5aiter35fused_qk_rmsnorm_group_quant_kernelIDF16_N4opus5fp4_tELi256ELi16ELi8ELb1ELb0ELb0ELb0ELb0ELb0EEEvPT0_PvPT_S7_S7_PKS6_S9_S9_S9_S9_ffiiiiiiiiiiiii,comdat
	.protected	_ZN5aiter35fused_qk_rmsnorm_group_quant_kernelIDF16_N4opus5fp4_tELi256ELi16ELi8ELb1ELb0ELb0ELb0ELb0ELb0EEEvPT0_PvPT_S7_S7_PKS6_S9_S9_S9_S9_ffiiiiiiiiiiiii ; -- Begin function _ZN5aiter35fused_qk_rmsnorm_group_quant_kernelIDF16_N4opus5fp4_tELi256ELi16ELi8ELb1ELb0ELb0ELb0ELb0ELb0EEEvPT0_PvPT_S7_S7_PKS6_S9_S9_S9_S9_ffiiiiiiiiiiiii
	.globl	_ZN5aiter35fused_qk_rmsnorm_group_quant_kernelIDF16_N4opus5fp4_tELi256ELi16ELi8ELb1ELb0ELb0ELb0ELb0ELb0EEEvPT0_PvPT_S7_S7_PKS6_S9_S9_S9_S9_ffiiiiiiiiiiiii
	.p2align	8
	.type	_ZN5aiter35fused_qk_rmsnorm_group_quant_kernelIDF16_N4opus5fp4_tELi256ELi16ELi8ELb1ELb0ELb0ELb0ELb0ELb0EEEvPT0_PvPT_S7_S7_PKS6_S9_S9_S9_S9_ffiiiiiiiiiiiii,@function
_ZN5aiter35fused_qk_rmsnorm_group_quant_kernelIDF16_N4opus5fp4_tELi256ELi16ELi8ELb1ELb0ELb0ELb0ELb0ELb0EEEvPT0_PvPT_S7_S7_PKS6_S9_S9_S9_S9_ffiiiiiiiiiiiii: ; @_ZN5aiter35fused_qk_rmsnorm_group_quant_kernelIDF16_N4opus5fp4_tELi256ELi16ELi8ELb1ELb0ELb0ELb0ELb0ELb0EEEvPT0_PvPT_S7_S7_PKS6_S9_S9_S9_S9_ffiiiiiiiiiiiii
; %bb.0:
	s_load_dwordx8 s[12:19], s[4:5], 0x50
	s_waitcnt lgkmcnt(0)
	s_cmp_ge_i32 s6, s14
	s_cbranch_scc1 .LBB775_17
; %bb.1:
	s_cmp_lg_u32 s7, 0
	s_cselect_b64 s[22:23], -1, 0
	s_cmp_eq_u32 s7, 0
	s_cselect_b64 s[2:3], -1, 0
	s_and_b64 s[0:1], s[2:3], exec
	s_load_dwordx2 s[20:21], s[4:5], 0x48
	s_load_dwordx2 s[34:35], s[4:5], 0x30
	s_load_dwordx4 s[24:27], s[4:5], 0x70
	s_cselect_b32 s7, s15, s16
	s_add_i32 s0, s7, 1
	s_lshr_b32 s1, s0, 31
	s_add_i32 s0, s0, s1
	s_lshl_b32 s0, s0, 1
	v_lshlrev_b32_e32 v1, 4, v0
	s_and_b32 s30, s0, -4
	v_cmp_gt_i32_e64 s[0:1], s7, v1
	v_mov_b32_e32 v6, 0
	v_mov_b32_e32 v7, 0
	;; [unrolled: 1-line block ×16, first 2 shown]
	s_and_saveexec_b64 s[8:9], s[0:1]
	s_cbranch_execz .LBB775_3
; %bb.2:
	s_load_dwordx2 s[10:11], s[4:5], 0x28
	s_load_dwordx2 s[28:29], s[4:5], 0x40
	s_and_b64 s[36:37], s[2:3], exec
	s_cselect_b32 s14, s17, s18
	s_mov_b32 s31, 0x20000
	s_waitcnt lgkmcnt(0)
	s_cselect_b32 s17, s11, s35
	s_cselect_b32 s27, s10, s34
	s_mul_hi_i32 s11, s14, s6
	s_mul_i32 s10, s14, s6
	s_lshl_b64 s[10:11], s[10:11], 1
	s_add_u32 s36, s27, s10
	s_addc_u32 s14, s17, s11
	s_and_b64 s[10:11], s[2:3], exec
	s_cselect_b32 s28, s28, s20
	s_cselect_b32 s10, s29, s21
	s_and_b32 s37, s14, 0xffff
	s_mov_b32 s38, s30
	s_mov_b32 s39, s31
	v_lshlrev_b32_e32 v18, 5, v0
	s_and_b32 s29, s10, 0xffff
	buffer_load_dwordx4 v[10:13], v18, s[36:39], 0 offen
	buffer_load_dwordx4 v[14:17], v18, s[36:39], 16 offen
	;; [unrolled: 1-line block ×4, first 2 shown]
.LBB775_3:
	s_or_b64 exec, exec, s[8:9]
	s_load_dwordx2 s[10:11], s[4:5], 0x80
	s_and_b64 vcc, exec, s[22:23]
	s_cbranch_vccz .LBB775_7
; %bb.4:
	v_mov_b32_e32 v19, 0
	v_mov_b32_e32 v18, 0
	v_mov_b32_e32 v21, 0
	v_mov_b32_e32 v20, 0
	v_mov_b32_e32 v23, 0
	v_mov_b32_e32 v22, 0
	v_mov_b32_e32 v27, 0
	v_mov_b32_e32 v26, 0
	v_mov_b32_e32 v25, 0
	v_mov_b32_e32 v24, 0
	v_mov_b32_e32 v29, 0
	v_mov_b32_e32 v28, 0
	v_mov_b32_e32 v31, 0
	v_mov_b32_e32 v30, 0
	v_mov_b32_e32 v33, 0
	v_mov_b32_e32 v32, 0
	s_and_saveexec_b64 s[8:9], s[0:1]
	s_cbranch_execz .LBB775_6
; %bb.5:
	s_waitcnt vmcnt(3)
	v_cvt_f32_f16_sdwa v33, v10 dst_sel:DWORD dst_unused:UNUSED_PAD src0_sel:WORD_1
	v_cvt_f32_f16_e32 v32, v10
	v_cvt_f32_f16_sdwa v31, v11 dst_sel:DWORD dst_unused:UNUSED_PAD src0_sel:WORD_1
	v_cvt_f32_f16_e32 v30, v11
	;; [unrolled: 2-line block ×4, first 2 shown]
	s_waitcnt vmcnt(2)
	v_cvt_f32_f16_sdwa v27, v14 dst_sel:DWORD dst_unused:UNUSED_PAD src0_sel:WORD_1
	v_cvt_f32_f16_e32 v26, v14
	v_cvt_f32_f16_sdwa v23, v15 dst_sel:DWORD dst_unused:UNUSED_PAD src0_sel:WORD_1
	v_cvt_f32_f16_e32 v22, v15
	;; [unrolled: 2-line block ×4, first 2 shown]
.LBB775_6:
	s_or_b64 exec, exec, s[8:9]
	s_cbranch_execz .LBB775_8
	s_branch .LBB775_11
.LBB775_7:
                                        ; implicit-def: $vgpr19
                                        ; implicit-def: $vgpr21
                                        ; implicit-def: $vgpr23
                                        ; implicit-def: $vgpr27
                                        ; implicit-def: $vgpr25
                                        ; implicit-def: $vgpr29
                                        ; implicit-def: $vgpr31
                                        ; implicit-def: $vgpr33
.LBB775_8:
	v_mov_b32_e32 v19, 0
	v_mov_b32_e32 v18, 0
	;; [unrolled: 1-line block ×16, first 2 shown]
	s_and_saveexec_b64 s[8:9], s[0:1]
	s_cbranch_execz .LBB775_10
; %bb.9:
	s_load_dwordx2 s[28:29], s[4:5], 0x38
	s_mul_hi_i32 s37, s19, s6
	s_mul_i32 s36, s19, s6
	s_lshl_b64 s[36:37], s[36:37], 1
	s_mov_b32 s31, 0x20000
	s_waitcnt lgkmcnt(0)
	s_add_u32 s28, s28, s36
	s_addc_u32 s14, s29, s37
	s_and_b32 s29, s14, 0xffff
	v_lshlrev_b32_e32 v46, 5, v0
	buffer_load_dwordx4 v[18:21], v46, s[28:31], 16 offen
	buffer_load_dwordx4 v[22:25], v46, s[28:31], 0 offen
	s_waitcnt vmcnt(4)
	v_cvt_f32_f16_sdwa v27, v14 dst_sel:DWORD dst_unused:UNUSED_PAD src0_sel:WORD_1
	v_cvt_f32_f16_e32 v26, v14
	v_cvt_f32_f16_sdwa v29, v15 dst_sel:DWORD dst_unused:UNUSED_PAD src0_sel:WORD_1
	v_cvt_f32_f16_e32 v28, v15
	;; [unrolled: 2-line block ×8, first 2 shown]
	s_load_dwordx2 s[28:29], s[4:5], 0x20
	s_mul_hi_i32 s37, s11, s6
	s_mul_i32 s36, s11, s6
	s_lshl_b64 s[36:37], s[36:37], 1
	s_waitcnt lgkmcnt(0)
	s_add_u32 s28, s28, s36
	s_addc_u32 s11, s29, s37
	s_and_b32 s29, s11, 0xffff
	s_waitcnt vmcnt(1)
	v_cvt_f32_f16_e32 v12, v18
	v_cvt_f32_f16_sdwa v13, v18 dst_sel:DWORD dst_unused:UNUSED_PAD src0_sel:WORD_1
	v_cvt_f32_f16_e32 v18, v19
	v_cvt_f32_f16_sdwa v19, v19 dst_sel:DWORD dst_unused:UNUSED_PAD src0_sel:WORD_1
	;; [unrolled: 2-line block ×4, first 2 shown]
	s_waitcnt vmcnt(0)
	v_cvt_f32_f16_e32 v40, v22
	v_cvt_f32_f16_sdwa v41, v22 dst_sel:DWORD dst_unused:UNUSED_PAD src0_sel:WORD_1
	v_cvt_f32_f16_e32 v42, v23
	v_cvt_f32_f16_sdwa v43, v23 dst_sel:DWORD dst_unused:UNUSED_PAD src0_sel:WORD_1
	;; [unrolled: 2-line block ×4, first 2 shown]
	v_pk_add_f32 v[26:27], v[26:27], v[12:13]
	v_pk_add_f32 v[22:23], v[28:29], v[18:19]
	v_pk_add_f32 v[20:21], v[14:15], v[32:33]
	v_pk_add_f32 v[18:19], v[30:31], v[38:39]
	v_pk_add_f32 v[32:33], v[16:17], v[40:41]
	v_pk_add_f32 v[30:31], v[34:35], v[42:43]
	v_pk_add_f32 v[28:29], v[10:11], v[44:45]
	v_pk_add_f32 v[24:25], v[36:37], v[24:25]
	v_cvt_f16_f32_e32 v10, v33
	v_cvt_f16_f32_e32 v14, v32
	v_cvt_f16_f32_e32 v11, v31
	v_cvt_f16_f32_e32 v15, v30
	v_cvt_f16_f32_e32 v12, v29
	v_cvt_f16_f32_e32 v16, v28
	v_cvt_f16_f32_e32 v13, v25
	v_cvt_f16_f32_e32 v17, v24
	v_cvt_f16_f32_e32 v34, v26
	v_cvt_f16_f32_e32 v35, v27
	v_cvt_f16_f32_e32 v36, v22
	v_cvt_f16_f32_e32 v37, v23
	v_cvt_f16_f32_e32 v38, v20
	v_cvt_f16_f32_e32 v39, v21
	v_cvt_f16_f32_e32 v40, v18
	v_cvt_f16_f32_e32 v41, v19
	v_pack_b32_f16 v13, v17, v13
	v_pack_b32_f16 v12, v16, v12
	;; [unrolled: 1-line block ×8, first 2 shown]
	buffer_store_dwordx4 v[10:13], v46, s[28:31], 0 offen
	;;#ASMSTART
	s_nop 0
	;;#ASMEND
	buffer_store_dwordx4 v[14:17], v46, s[28:31], 16 offen
	;;#ASMSTART
	s_nop 0
	;;#ASMEND
.LBB775_10:
	s_or_b64 exec, exec, s[8:9]
.LBB775_11:
	s_waitcnt vmcnt(3)
	v_mul_f32_e32 v10, v33, v33
	v_fmac_f32_e32 v10, v32, v32
	v_fmac_f32_e32 v10, v30, v30
	;; [unrolled: 1-line block ×15, first 2 shown]
	v_and_b32_e32 v12, 63, v0
	v_cmp_eq_u32_e64 s[8:9], 63, v12
	v_mov_b32_dpp v11, v10 quad_perm:[1,0,3,2] row_mask:0xf bank_mask:0xf
	v_add_f32_e32 v10, v10, v11
	s_nop 1
	v_mov_b32_dpp v11, v10 quad_perm:[2,3,0,1] row_mask:0xf bank_mask:0xf
	v_add_f32_e32 v10, v10, v11
	s_nop 1
	v_mov_b32_dpp v11, v10 row_half_mirror row_mask:0xf bank_mask:0xf
	v_add_f32_e32 v10, v10, v11
	s_nop 1
	v_mov_b32_dpp v11, v10 row_mirror row_mask:0xf bank_mask:0xf
	v_add_f32_e32 v10, v10, v11
	s_nop 1
	v_mov_b32_dpp v11, v10 row_bcast:15 row_mask:0xf bank_mask:0xf
	v_add_f32_e32 v10, v10, v11
	s_nop 1
	v_mov_b32_dpp v11, v10 row_bcast:31 row_mask:0xf bank_mask:0xf
	s_and_saveexec_b64 s[28:29], s[8:9]
	s_cbranch_execz .LBB775_13
; %bb.12:
	v_add_f32_e32 v10, v10, v11
	v_lshrrev_b32_e32 v11, 4, v0
	v_and_b32_e32 v11, 60, v11
	ds_write_b32 v11, v10 offset:16
.LBB775_13:
	s_or_b64 exec, exec, s[28:29]
	v_and_b32_e32 v10, 3, v0
	v_lshlrev_b32_e32 v34, 2, v10
	s_waitcnt lgkmcnt(0)
	s_barrier
	ds_read_b32 v10, v34 offset:16
	s_load_dwordx2 s[36:37], s[4:5], 0x18
	s_waitcnt lgkmcnt(0)
	v_mov_b32_dpp v11, v10 quad_perm:[1,0,3,2] row_mask:0xf bank_mask:0xf
	v_add_f32_e32 v10, v10, v11
	s_nop 1
	v_mov_b32_dpp v11, v10 quad_perm:[2,3,0,1] row_mask:0xf bank_mask:0xf
	s_and_saveexec_b64 s[28:29], s[0:1]
	s_cbranch_execnz .LBB775_18
; %bb.14:
	s_or_b64 exec, exec, s[28:29]
	s_mov_b64 s[2:3], -1
	s_and_b64 vcc, exec, s[22:23]
	s_cbranch_vccnz .LBB775_19
.LBB775_15:
	s_andn2_b64 vcc, exec, s[2:3]
	s_cbranch_vccz .LBB775_22
.LBB775_16:
	s_cmp_lt_i32 s16, 1
	s_cbranch_scc0 .LBB775_29
.LBB775_17:
	s_endpgm
.LBB775_18:
	v_cvt_f32_u32_e32 v12, s7
	v_add_f32_e32 v10, v10, v11
	s_waitcnt vmcnt(2)
	v_mov_b32_e32 v14, s13
	v_mov_b32_e32 v15, s12
	v_div_scale_f32 v11, s[38:39], v12, v12, v10
	v_rcp_f32_e32 v13, v11
	v_cndmask_b32_e64 v14, v14, v15, s[2:3]
	s_mov_b32 s2, 0x800000
	s_waitcnt vmcnt(1)
	v_cvt_f32_f16_sdwa v37, v9 dst_sel:DWORD dst_unused:UNUSED_PAD src0_sel:WORD_1
	v_fma_f32 v15, -v11, v13, 1.0
	v_fmac_f32_e32 v13, v15, v13
	v_div_scale_f32 v15, vcc, v10, v12, v10
	v_mul_f32_e32 v16, v15, v13
	v_fma_f32 v17, -v11, v16, v15
	v_fmac_f32_e32 v16, v17, v13
	v_fma_f32 v11, -v11, v16, v15
	v_div_fmas_f32 v11, v11, v13, v16
	v_div_fixup_f32 v10, v11, v12, v10
	v_add_f32_e32 v10, v14, v10
	v_mul_f32_e32 v11, 0x4b800000, v10
	v_cmp_gt_f32_e32 vcc, s2, v10
	v_cndmask_b32_e32 v10, v10, v11, vcc
	v_rsq_f32_e32 v10, v10
	v_cvt_f32_f16_e32 v36, v9
	s_waitcnt vmcnt(0)
	v_cvt_f32_f16_sdwa v9, v3 dst_sel:DWORD dst_unused:UNUSED_PAD src0_sel:WORD_1
	v_mul_f32_e32 v11, 0x45800000, v10
	v_cndmask_b32_e32 v10, v10, v11, vcc
	v_mov_b32_e32 v11, v10
	;;#ASMSTART
	v_pk_mul_f32 v[12:13], v[32:33], v[10:11]
	;;#ASMEND
	;;#ASMSTART
	v_pk_mul_f32 v[14:15], v[30:31], v[10:11]
	;;#ASMEND
	;; [unrolled: 3-line block ×8, first 2 shown]
	v_cvt_f32_f16_sdwa v19, v6 dst_sel:DWORD dst_unused:UNUSED_PAD src0_sel:WORD_1
	v_cvt_f32_f16_e32 v18, v6
	v_cvt_f32_f16_sdwa v29, v7 dst_sel:DWORD dst_unused:UNUSED_PAD src0_sel:WORD_1
	v_cvt_f32_f16_e32 v28, v7
	;; [unrolled: 2-line block ×3, first 2 shown]
	;;#ASMSTART
	v_pk_mul_f32 v[32:33], v[12:13], v[18:19]
	;;#ASMEND
	;;#ASMSTART
	v_pk_mul_f32 v[30:31], v[14:15], v[28:29]
	;;#ASMEND
	;; [unrolled: 3-line block ×4, first 2 shown]
	v_cvt_f32_f16_sdwa v7, v2 dst_sel:DWORD dst_unused:UNUSED_PAD src0_sel:WORD_1
	v_cvt_f32_f16_e32 v6, v2
	v_cvt_f32_f16_e32 v8, v3
	v_cvt_f32_f16_sdwa v3, v4 dst_sel:DWORD dst_unused:UNUSED_PAD src0_sel:WORD_1
	v_cvt_f32_f16_e32 v2, v4
	v_cvt_f32_f16_sdwa v13, v5 dst_sel:DWORD dst_unused:UNUSED_PAD src0_sel:WORD_1
	v_cvt_f32_f16_e32 v12, v5
	;;#ASMSTART
	v_pk_mul_f32 v[26:27], v[26:27], v[6:7]
	;;#ASMEND
	;;#ASMSTART
	v_pk_mul_f32 v[22:23], v[22:23], v[8:9]
	;;#ASMEND
	;; [unrolled: 3-line block ×4, first 2 shown]
	s_or_b64 exec, exec, s[28:29]
	s_mov_b64 s[2:3], -1
	s_and_b64 vcc, exec, s[22:23]
	s_cbranch_vccz .LBB775_15
.LBB775_19:
	s_and_saveexec_b64 s[2:3], s[0:1]
	s_cbranch_execz .LBB775_21
; %bb.20:
	s_mul_hi_i32 s23, s10, s6
	s_mul_i32 s22, s10, s6
	s_waitcnt vmcnt(0)
	v_cvt_f16_f32_e32 v2, v32
	v_cvt_f16_f32_e32 v3, v30
	;; [unrolled: 1-line block ×8, first 2 shown]
	s_lshl_b64 s[22:23], s[22:23], 1
	s_add_u32 s28, s36, s22
	s_addc_u32 s7, s37, s23
	s_and_b32 s29, s7, 0xffff
	s_mov_b32 s31, 0x20000
	v_pack_b32_f16 v5, v5, v6
	v_pack_b32_f16 v4, v4, v7
	;; [unrolled: 1-line block ×4, first 2 shown]
	v_lshlrev_b32_e32 v6, 5, v0
	buffer_store_dwordx4 v[2:5], v6, s[28:31], 0 offen
	v_cvt_f16_f32_e32 v7, v19
	v_cvt_f16_f32_e32 v2, v26
	;; [unrolled: 1-line block ×8, first 2 shown]
	v_pack_b32_f16 v5, v5, v7
	v_pack_b32_f16 v4, v4, v8
	;; [unrolled: 1-line block ×4, first 2 shown]
	;;#ASMSTART
	s_nop 0
	;;#ASMEND
	buffer_store_dwordx4 v[2:5], v6, s[28:31], 16 offen
	;;#ASMSTART
	s_nop 0
	;;#ASMEND
.LBB775_21:
	s_or_b64 exec, exec, s[2:3]
	s_cbranch_execnz .LBB775_16
.LBB775_22:
	s_waitcnt vmcnt(0)
	v_mov_b32_e32 v2, 0
	s_and_saveexec_b64 s[2:3], s[0:1]
	s_cbranch_execz .LBB775_24
; %bb.23:
	v_and_b32_e32 v2, 0x7fffffff, v32
	v_and_b32_e32 v3, 0x7fffffff, v33
	v_mov_b32_e32 v4, 0x2edbe6ff
	;;#ASMSTART
	v_max3_f32 v2, v4, v2, v3

	;;#ASMEND
	v_and_b32_e32 v3, 0x7fffffff, v30
	v_and_b32_e32 v4, 0x7fffffff, v31
	;;#ASMSTART
	v_max3_f32 v2, v2, v3, v4

	;;#ASMEND
	v_and_b32_e32 v3, 0x7fffffff, v28
	v_and_b32_e32 v4, 0x7fffffff, v29
	;; [unrolled: 6-line block ×7, first 2 shown]
	;;#ASMSTART
	v_max3_f32 v2, v2, v3, v4

	;;#ASMEND
.LBB775_24:
	s_or_b64 exec, exec, s[2:3]
	;;#ASMSTART
	v_max_f32 v3, v2, v2 quad_perm:[1,0,3,2] row_mask:0xf bank_mask:0xf bound_ctrl:1
	;;#ASMEND
	;;#ASMSTART
	v_max_f32 v4, v3, v3 quad_perm:[2,3,0,1] row_mask:0xf bank_mask:0xf bound_ctrl:1
	;;#ASMEND
	v_and_b32_e32 v3, 7, v0
	v_cmp_eq_u32_e32 vcc, 0, v3
	v_cmp_gt_i32_e64 s[2:3], s15, v1
	s_and_b64 s[22:23], vcc, s[2:3]
	;;#ASMSTART
	v_max_f32 v2, v4, v4 row_half_mirror row_mask:0xf bank_mask:0xf bound_ctrl:1
	;;#ASMEND
	s_and_saveexec_b64 s[2:3], s[22:23]
	s_cbranch_execz .LBB775_26
; %bb.25:
	s_load_dwordx2 s[22:23], s[4:5], 0x8
	v_mul_f32_e32 v2, 0x3e2aaaab, v2
	v_lshrrev_b32_e32 v3, 23, v2
	v_and_b32_e32 v4, 0x7f800000, v2
	v_and_b32_e32 v2, 0x7fffff, v2
	v_cmp_ne_u32_e32 vcc, 0, v2
	s_mul_i32 s12, s25, s6
	s_mov_b32 s7, 0x7f800000
	v_addc_co_u32_e32 v2, vcc, 0, v3, vcc
	s_mul_hi_i32 s11, s25, s6
	s_waitcnt lgkmcnt(0)
	s_add_u32 s22, s22, s12
	v_cmp_ne_u32_e32 vcc, s7, v4
	s_addc_u32 s23, s23, s11
	v_lshrrev_b32_e32 v5, 3, v0
	v_cndmask_b32_e32 v4, -1, v2, vcc
	v_pk_mov_b32 v[2:3], s[22:23], s[22:23] op_sel:[0,1]
	v_mad_i64_i32 v[2:3], s[22:23], s26, v5, v[2:3]
	global_store_byte v[2:3], v4, off
.LBB775_26:
	s_or_b64 exec, exec, s[2:3]
	s_and_saveexec_b64 s[2:3], s[0:1]
	s_cbranch_execz .LBB775_28
; %bb.27:
	s_load_dwordx2 s[0:1], s[4:5], 0x0
	s_mul_i32 s11, s24, s6
	s_mul_hi_i32 s7, s24, s6
	v_mov_b32_e32 v2, 0
	v_lshlrev_b32_e32 v4, 3, v0
	s_waitcnt lgkmcnt(0)
	s_add_u32 s24, s0, s11
	s_addc_u32 s0, s1, s7
	s_lshr_b32 s1, s15, 31
	s_add_i32 s1, s15, s1
	s_ashr_i32 s1, s1, 1
	s_add_i32 s1, s1, 3
	s_ashr_i32 s7, s1, 31
	s_lshr_b32 s7, s7, 30
	s_add_i32 s1, s1, s7
	s_and_b32 s26, s1, -4
	s_and_b32 s25, s0, 0xffff
	s_mov_b32 s27, 0x20000
	v_mov_b32_e32 v3, v2
	buffer_store_dwordx2 v[2:3], v4, s[24:27], 0 offen
	;;#ASMSTART
	s_nop 0
	;;#ASMEND
.LBB775_28:
	s_or_b64 exec, exec, s[2:3]
	s_cmp_lt_i32 s16, 1
	s_cbranch_scc1 .LBB775_17
.LBB775_29:
	s_load_dword s0, s[4:5], 0x94
	s_waitcnt lgkmcnt(0)
	s_cmp_lg_u32 s0, 1
	s_cbranch_scc1 .LBB775_17
; %bb.30:
	s_lshl_b32 s0, s16, 1
	s_add_i32 s0, s0, 2
	v_cmp_gt_u32_e32 vcc, s16, v1
	s_and_b32 s22, s0, -4
	v_mov_b32_e32 v18, 0
	v_lshlrev_b32_e32 v1, 5, v0
	s_waitcnt vmcnt(2)
	v_mov_b32_e32 v14, 0
	v_mov_b32_e32 v15, 0
	;; [unrolled: 1-line block ×8, first 2 shown]
	s_waitcnt vmcnt(1)
	v_mov_b32_e32 v6, 0
	v_mov_b32_e32 v7, 0
	v_mov_b32_e32 v8, 0
	v_mov_b32_e32 v9, 0
	s_waitcnt vmcnt(0)
	v_mov_b32_e32 v2, 0
	v_mov_b32_e32 v3, 0
	v_mov_b32_e32 v4, 0
	v_mov_b32_e32 v5, 0
	s_barrier
	s_and_saveexec_b64 s[0:1], vcc
	s_cbranch_execz .LBB775_32
; %bb.31:
	s_mul_hi_i32 s3, s18, s6
	s_mul_i32 s2, s18, s6
	s_and_b32 s21, s21, 0xffff
	s_lshl_b64 s[2:3], s[2:3], 1
	s_add_u32 s24, s34, s2
	s_mov_b32 s23, 0x20000
	s_addc_u32 s2, s35, s3
	s_and_b32 s25, s2, 0xffff
	s_mov_b32 s26, s22
	s_mov_b32 s27, s23
	buffer_load_dwordx4 v[14:17], v1, s[24:27], 0 offen
	buffer_load_dwordx4 v[10:13], v1, s[24:27], 16 offen
	;; [unrolled: 1-line block ×4, first 2 shown]
.LBB775_32:
	s_or_b64 exec, exec, s[0:1]
	v_mov_b32_e32 v19, 0
	v_mov_b32_e32 v32, 0
	;; [unrolled: 1-line block ×15, first 2 shown]
	s_and_saveexec_b64 s[0:1], vcc
	s_cbranch_execz .LBB775_34
; %bb.33:
	s_waitcnt vmcnt(3)
	v_cvt_f32_f16_sdwa v19, v14 dst_sel:DWORD dst_unused:UNUSED_PAD src0_sel:WORD_1
	v_cvt_f32_f16_e32 v18, v14
	v_cvt_f32_f16_sdwa v33, v15 dst_sel:DWORD dst_unused:UNUSED_PAD src0_sel:WORD_1
	v_cvt_f32_f16_e32 v32, v15
	v_cvt_f32_f16_sdwa v31, v16 dst_sel:DWORD dst_unused:UNUSED_PAD src0_sel:WORD_1
	v_cvt_f32_f16_e32 v30, v16
	v_cvt_f32_f16_sdwa v29, v17 dst_sel:DWORD dst_unused:UNUSED_PAD src0_sel:WORD_1
	v_cvt_f32_f16_e32 v28, v17
	s_waitcnt vmcnt(2)
	v_cvt_f32_f16_sdwa v27, v10 dst_sel:DWORD dst_unused:UNUSED_PAD src0_sel:WORD_1
	v_cvt_f32_f16_e32 v26, v10
	v_cvt_f32_f16_sdwa v25, v11 dst_sel:DWORD dst_unused:UNUSED_PAD src0_sel:WORD_1
	v_cvt_f32_f16_e32 v24, v11
	;; [unrolled: 2-line block ×4, first 2 shown]
.LBB775_34:
	s_or_b64 exec, exec, s[0:1]
	s_waitcnt vmcnt(2)
	v_mul_f32_e32 v10, v19, v19
	v_fmac_f32_e32 v10, v18, v18
	v_fmac_f32_e32 v10, v32, v32
	;; [unrolled: 1-line block ×15, first 2 shown]
	s_nop 1
	v_mov_b32_dpp v11, v10 quad_perm:[1,0,3,2] row_mask:0xf bank_mask:0xf
	v_add_f32_e32 v10, v10, v11
	s_nop 1
	v_mov_b32_dpp v11, v10 quad_perm:[2,3,0,1] row_mask:0xf bank_mask:0xf
	v_add_f32_e32 v10, v10, v11
	s_nop 1
	v_mov_b32_dpp v11, v10 row_half_mirror row_mask:0xf bank_mask:0xf
	v_add_f32_e32 v10, v10, v11
	s_nop 1
	v_mov_b32_dpp v11, v10 row_mirror row_mask:0xf bank_mask:0xf
	v_add_f32_e32 v10, v10, v11
	s_nop 1
	v_mov_b32_dpp v11, v10 row_bcast:15 row_mask:0xf bank_mask:0xf
	v_add_f32_e32 v10, v10, v11
	s_nop 1
	v_mov_b32_dpp v11, v10 row_bcast:31 row_mask:0xf bank_mask:0xf
	s_and_saveexec_b64 s[0:1], s[8:9]
	s_cbranch_execz .LBB775_36
; %bb.35:
	v_lshrrev_b32_e32 v0, 4, v0
	v_add_f32_e32 v10, v10, v11
	v_and_b32_e32 v0, 60, v0
	ds_write_b32 v0, v10
.LBB775_36:
	s_or_b64 exec, exec, s[0:1]
	s_waitcnt lgkmcnt(0)
	s_barrier
	ds_read_b32 v0, v34
	s_waitcnt lgkmcnt(0)
	s_nop 0
	v_mov_b32_dpp v10, v0 quad_perm:[1,0,3,2] row_mask:0xf bank_mask:0xf
	v_add_f32_e32 v0, v0, v10
	s_nop 1
	v_mov_b32_dpp v10, v0 quad_perm:[2,3,0,1] row_mask:0xf bank_mask:0xf
	s_and_saveexec_b64 s[0:1], vcc
	s_cbranch_execz .LBB775_17
; %bb.37:
	v_cvt_f32_u32_e32 v11, s16
	v_add_f32_e32 v0, v0, v10
	s_mov_b32 s23, 0x20000
	v_div_scale_f32 v10, s[0:1], v11, v11, v0
	v_rcp_f32_e32 v12, v10
	v_div_scale_f32 v13, vcc, v0, v11, v0
	s_mov_b32 s0, 0x800000
	v_fma_f32 v14, -v10, v12, 1.0
	v_fmac_f32_e32 v12, v14, v12
	v_mul_f32_e32 v14, v13, v12
	v_fma_f32 v15, -v10, v14, v13
	v_fmac_f32_e32 v14, v15, v12
	v_fma_f32 v10, -v10, v14, v13
	v_div_fmas_f32 v10, v10, v12, v14
	v_div_fixup_f32 v0, v10, v11, v0
	v_add_f32_e32 v0, s13, v0
	v_mul_f32_e32 v10, 0x4b800000, v0
	v_cmp_gt_f32_e32 vcc, s0, v0
	v_cndmask_b32_e32 v0, v0, v10, vcc
	v_rsq_f32_e32 v0, v0
	s_mul_hi_i32 s1, s10, s6
	s_mul_i32 s0, s10, s6
	s_lshl_b64 s[0:1], s[0:1], 1
	v_mul_f32_e32 v10, 0x45800000, v0
	v_cndmask_b32_e32 v10, v0, v10, vcc
	v_mov_b32_e32 v11, v10
	;;#ASMSTART
	v_pk_mul_f32 v[12:13], v[18:19], v[10:11]
	;;#ASMEND
	;;#ASMSTART
	v_pk_mul_f32 v[14:15], v[32:33], v[10:11]
	;;#ASMEND
	;; [unrolled: 3-line block ×8, first 2 shown]
	s_waitcnt vmcnt(1)
	v_cvt_f32_f16_sdwa v21, v6 dst_sel:DWORD dst_unused:UNUSED_PAD src0_sel:WORD_1
	v_cvt_f32_f16_e32 v20, v6
	v_cvt_f32_f16_sdwa v29, v7 dst_sel:DWORD dst_unused:UNUSED_PAD src0_sel:WORD_1
	v_cvt_f32_f16_e32 v28, v7
	;; [unrolled: 2-line block ×4, first 2 shown]
	;;#ASMSTART
	v_pk_mul_f32 v[8:9], v[12:13], v[20:21]
	;;#ASMEND
	;;#ASMSTART
	v_pk_mul_f32 v[12:13], v[14:15], v[28:29]
	;;#ASMEND
	;;#ASMSTART
	v_pk_mul_f32 v[6:7], v[16:17], v[6:7]
	;;#ASMEND
	;;#ASMSTART
	v_pk_mul_f32 v[14:15], v[18:19], v[30:31]
	;;#ASMEND
	s_waitcnt vmcnt(0)
	v_cvt_f32_f16_sdwa v17, v2 dst_sel:DWORD dst_unused:UNUSED_PAD src0_sel:WORD_1
	v_cvt_f32_f16_e32 v16, v2
	v_cvt_f32_f16_sdwa v19, v3 dst_sel:DWORD dst_unused:UNUSED_PAD src0_sel:WORD_1
	v_cvt_f32_f16_e32 v18, v3
	;; [unrolled: 2-line block ×4, first 2 shown]
	;;#ASMSTART
	v_pk_mul_f32 v[16:17], v[26:27], v[16:17]
	;;#ASMEND
	;;#ASMSTART
	v_pk_mul_f32 v[18:19], v[24:25], v[18:19]
	;;#ASMEND
	;; [unrolled: 3-line block ×3, first 2 shown]
	v_cvt_f16_f32_e32 v0, v8
	v_cvt_f16_f32_e32 v2, v9
	;; [unrolled: 1-line block ×8, first 2 shown]
	s_add_u32 s20, s36, s0
	s_addc_u32 s0, s37, s1
	s_and_b32 s21, s0, 0xffff
	v_pack_b32_f16 v2, v0, v2
	v_pack_b32_f16 v3, v3, v4
	;; [unrolled: 1-line block ×4, first 2 shown]
	;;#ASMSTART
	v_pk_mul_f32 v[10:11], v[10:11], v[20:21]
	;;#ASMEND
	buffer_store_dwordx4 v[2:5], v1, s[20:23], 0 offen
	v_cvt_f16_f32_e32 v0, v16
	v_cvt_f16_f32_e32 v2, v17
	;; [unrolled: 1-line block ×8, first 2 shown]
	v_pack_b32_f16 v2, v0, v2
	v_pack_b32_f16 v3, v3, v4
	;; [unrolled: 1-line block ×4, first 2 shown]
	;;#ASMSTART
	s_nop 0
	;;#ASMEND
	buffer_store_dwordx4 v[2:5], v1, s[20:23], 16 offen
	;;#ASMSTART
	s_nop 0
	;;#ASMEND
	s_endpgm
	.section	.rodata,"a",@progbits
	.p2align	6, 0x0
	.amdhsa_kernel _ZN5aiter35fused_qk_rmsnorm_group_quant_kernelIDF16_N4opus5fp4_tELi256ELi16ELi8ELb1ELb0ELb0ELb0ELb0ELb0EEEvPT0_PvPT_S7_S7_PKS6_S9_S9_S9_S9_ffiiiiiiiiiiiii
		.amdhsa_group_segment_fixed_size 32
		.amdhsa_private_segment_fixed_size 0
		.amdhsa_kernarg_size 400
		.amdhsa_user_sgpr_count 6
		.amdhsa_user_sgpr_private_segment_buffer 1
		.amdhsa_user_sgpr_dispatch_ptr 0
		.amdhsa_user_sgpr_queue_ptr 0
		.amdhsa_user_sgpr_kernarg_segment_ptr 1
		.amdhsa_user_sgpr_dispatch_id 0
		.amdhsa_user_sgpr_flat_scratch_init 0
		.amdhsa_user_sgpr_kernarg_preload_length 0
		.amdhsa_user_sgpr_kernarg_preload_offset 0
		.amdhsa_user_sgpr_private_segment_size 0
		.amdhsa_uses_dynamic_stack 0
		.amdhsa_system_sgpr_private_segment_wavefront_offset 0
		.amdhsa_system_sgpr_workgroup_id_x 1
		.amdhsa_system_sgpr_workgroup_id_y 1
		.amdhsa_system_sgpr_workgroup_id_z 0
		.amdhsa_system_sgpr_workgroup_info 0
		.amdhsa_system_vgpr_workitem_id 0
		.amdhsa_next_free_vgpr 47
		.amdhsa_next_free_sgpr 40
		.amdhsa_accum_offset 48
		.amdhsa_reserve_vcc 1
		.amdhsa_reserve_flat_scratch 0
		.amdhsa_float_round_mode_32 0
		.amdhsa_float_round_mode_16_64 0
		.amdhsa_float_denorm_mode_32 3
		.amdhsa_float_denorm_mode_16_64 3
		.amdhsa_dx10_clamp 1
		.amdhsa_ieee_mode 1
		.amdhsa_fp16_overflow 0
		.amdhsa_tg_split 0
		.amdhsa_exception_fp_ieee_invalid_op 0
		.amdhsa_exception_fp_denorm_src 0
		.amdhsa_exception_fp_ieee_div_zero 0
		.amdhsa_exception_fp_ieee_overflow 0
		.amdhsa_exception_fp_ieee_underflow 0
		.amdhsa_exception_fp_ieee_inexact 0
		.amdhsa_exception_int_div_zero 0
	.end_amdhsa_kernel
	.section	.text._ZN5aiter35fused_qk_rmsnorm_group_quant_kernelIDF16_N4opus5fp4_tELi256ELi16ELi8ELb1ELb0ELb0ELb0ELb0ELb0EEEvPT0_PvPT_S7_S7_PKS6_S9_S9_S9_S9_ffiiiiiiiiiiiii,"axG",@progbits,_ZN5aiter35fused_qk_rmsnorm_group_quant_kernelIDF16_N4opus5fp4_tELi256ELi16ELi8ELb1ELb0ELb0ELb0ELb0ELb0EEEvPT0_PvPT_S7_S7_PKS6_S9_S9_S9_S9_ffiiiiiiiiiiiii,comdat
.Lfunc_end775:
	.size	_ZN5aiter35fused_qk_rmsnorm_group_quant_kernelIDF16_N4opus5fp4_tELi256ELi16ELi8ELb1ELb0ELb0ELb0ELb0ELb0EEEvPT0_PvPT_S7_S7_PKS6_S9_S9_S9_S9_ffiiiiiiiiiiiii, .Lfunc_end775-_ZN5aiter35fused_qk_rmsnorm_group_quant_kernelIDF16_N4opus5fp4_tELi256ELi16ELi8ELb1ELb0ELb0ELb0ELb0ELb0EEEvPT0_PvPT_S7_S7_PKS6_S9_S9_S9_S9_ffiiiiiiiiiiiii
                                        ; -- End function
	.section	.AMDGPU.csdata,"",@progbits
; Kernel info:
; codeLenInByte = 3760
; NumSgprs: 44
; NumVgprs: 47
; NumAgprs: 0
; TotalNumVgprs: 47
; ScratchSize: 0
; MemoryBound: 0
; FloatMode: 240
; IeeeMode: 1
; LDSByteSize: 32 bytes/workgroup (compile time only)
; SGPRBlocks: 5
; VGPRBlocks: 5
; NumSGPRsForWavesPerEU: 44
; NumVGPRsForWavesPerEU: 47
; AccumOffset: 48
; Occupancy: 8
; WaveLimiterHint : 0
; COMPUTE_PGM_RSRC2:SCRATCH_EN: 0
; COMPUTE_PGM_RSRC2:USER_SGPR: 6
; COMPUTE_PGM_RSRC2:TRAP_HANDLER: 0
; COMPUTE_PGM_RSRC2:TGID_X_EN: 1
; COMPUTE_PGM_RSRC2:TGID_Y_EN: 1
; COMPUTE_PGM_RSRC2:TGID_Z_EN: 0
; COMPUTE_PGM_RSRC2:TIDIG_COMP_CNT: 0
; COMPUTE_PGM_RSRC3_GFX90A:ACCUM_OFFSET: 11
; COMPUTE_PGM_RSRC3_GFX90A:TG_SPLIT: 0
	.section	.text._ZN5aiter35fused_qk_rmsnorm_group_quant_kernelItN4opus5fp4_tELi256ELi16ELi8ELb1ELb0ELb0ELb0ELb0ELb0EEEvPT0_PvPT_S7_S7_PKS6_S9_S9_S9_S9_ffiiiiiiiiiiiii,"axG",@progbits,_ZN5aiter35fused_qk_rmsnorm_group_quant_kernelItN4opus5fp4_tELi256ELi16ELi8ELb1ELb0ELb0ELb0ELb0ELb0EEEvPT0_PvPT_S7_S7_PKS6_S9_S9_S9_S9_ffiiiiiiiiiiiii,comdat
	.protected	_ZN5aiter35fused_qk_rmsnorm_group_quant_kernelItN4opus5fp4_tELi256ELi16ELi8ELb1ELb0ELb0ELb0ELb0ELb0EEEvPT0_PvPT_S7_S7_PKS6_S9_S9_S9_S9_ffiiiiiiiiiiiii ; -- Begin function _ZN5aiter35fused_qk_rmsnorm_group_quant_kernelItN4opus5fp4_tELi256ELi16ELi8ELb1ELb0ELb0ELb0ELb0ELb0EEEvPT0_PvPT_S7_S7_PKS6_S9_S9_S9_S9_ffiiiiiiiiiiiii
	.globl	_ZN5aiter35fused_qk_rmsnorm_group_quant_kernelItN4opus5fp4_tELi256ELi16ELi8ELb1ELb0ELb0ELb0ELb0ELb0EEEvPT0_PvPT_S7_S7_PKS6_S9_S9_S9_S9_ffiiiiiiiiiiiii
	.p2align	8
	.type	_ZN5aiter35fused_qk_rmsnorm_group_quant_kernelItN4opus5fp4_tELi256ELi16ELi8ELb1ELb0ELb0ELb0ELb0ELb0EEEvPT0_PvPT_S7_S7_PKS6_S9_S9_S9_S9_ffiiiiiiiiiiiii,@function
_ZN5aiter35fused_qk_rmsnorm_group_quant_kernelItN4opus5fp4_tELi256ELi16ELi8ELb1ELb0ELb0ELb0ELb0ELb0EEEvPT0_PvPT_S7_S7_PKS6_S9_S9_S9_S9_ffiiiiiiiiiiiii: ; @_ZN5aiter35fused_qk_rmsnorm_group_quant_kernelItN4opus5fp4_tELi256ELi16ELi8ELb1ELb0ELb0ELb0ELb0ELb0EEEvPT0_PvPT_S7_S7_PKS6_S9_S9_S9_S9_ffiiiiiiiiiiiii
; %bb.0:
	s_load_dwordx8 s[12:19], s[4:5], 0x50
	s_waitcnt lgkmcnt(0)
	s_cmp_ge_i32 s6, s14
	s_cbranch_scc1 .LBB776_17
; %bb.1:
	s_cmp_lg_u32 s7, 0
	s_cselect_b64 s[22:23], -1, 0
	s_cmp_eq_u32 s7, 0
	s_cselect_b64 s[2:3], -1, 0
	s_and_b64 s[0:1], s[2:3], exec
	s_load_dwordx2 s[20:21], s[4:5], 0x48
	s_load_dwordx2 s[34:35], s[4:5], 0x30
	s_load_dwordx4 s[24:27], s[4:5], 0x70
	s_cselect_b32 s7, s15, s16
	s_add_i32 s0, s7, 1
	s_lshr_b32 s1, s0, 31
	s_add_i32 s0, s0, s1
	s_lshl_b32 s0, s0, 1
	v_lshlrev_b32_e32 v1, 4, v0
	s_and_b32 s30, s0, -4
	v_cmp_gt_i32_e64 s[0:1], s7, v1
	v_mov_b32_e32 v80, 0
	v_mov_b32_e32 v81, 0
	;; [unrolled: 1-line block ×16, first 2 shown]
	s_and_saveexec_b64 s[8:9], s[0:1]
	s_cbranch_execz .LBB776_3
; %bb.2:
	s_load_dwordx2 s[10:11], s[4:5], 0x28
	s_load_dwordx2 s[28:29], s[4:5], 0x40
	s_and_b64 s[36:37], s[2:3], exec
	s_cselect_b32 s14, s17, s18
	s_mov_b32 s31, 0x20000
	s_waitcnt lgkmcnt(0)
	s_cselect_b32 s17, s11, s35
	s_cselect_b32 s27, s10, s34
	s_mul_hi_i32 s11, s14, s6
	s_mul_i32 s10, s14, s6
	s_lshl_b64 s[10:11], s[10:11], 1
	s_add_u32 s36, s27, s10
	s_addc_u32 s14, s17, s11
	s_and_b64 s[10:11], s[2:3], exec
	s_cselect_b32 s28, s28, s20
	s_cselect_b32 s10, s29, s21
	s_and_b32 s37, s14, 0xffff
	s_mov_b32 s38, s30
	s_mov_b32 s39, s31
	v_lshlrev_b32_e32 v2, 5, v0
	s_and_b32 s29, s10, 0xffff
	buffer_load_dwordx4 v[84:87], v2, s[36:39], 0 offen
	buffer_load_dwordx4 v[88:91], v2, s[36:39], 16 offen
	;; [unrolled: 1-line block ×4, first 2 shown]
.LBB776_3:
	s_or_b64 exec, exec, s[8:9]
	s_load_dwordx2 s[10:11], s[4:5], 0x80
	s_and_b64 vcc, exec, s[22:23]
	s_cbranch_vccz .LBB776_7
; %bb.4:
	v_mov_b32_e32 v93, 0
	v_mov_b32_e32 v92, 0
	;; [unrolled: 1-line block ×16, first 2 shown]
	s_and_saveexec_b64 s[8:9], s[0:1]
	s_cbranch_execz .LBB776_6
; %bb.5:
	s_waitcnt vmcnt(3)
	v_cvt_f32_u32_sdwa v32, v84 dst_sel:DWORD dst_unused:UNUSED_PAD src0_sel:WORD_0
	v_cvt_f32_u32_sdwa v33, v84 dst_sel:DWORD dst_unused:UNUSED_PAD src0_sel:WORD_1
	v_cvt_f32_u32_sdwa v18, v85 dst_sel:DWORD dst_unused:UNUSED_PAD src0_sel:WORD_0
	v_cvt_f32_u32_sdwa v19, v85 dst_sel:DWORD dst_unused:UNUSED_PAD src0_sel:WORD_1
	;; [unrolled: 2-line block ×4, first 2 shown]
	s_waitcnt vmcnt(2)
	v_cvt_f32_u32_sdwa v68, v88 dst_sel:DWORD dst_unused:UNUSED_PAD src0_sel:WORD_0
	v_cvt_f32_u32_sdwa v69, v88 dst_sel:DWORD dst_unused:UNUSED_PAD src0_sel:WORD_1
	v_cvt_f32_u32_sdwa v62, v89 dst_sel:DWORD dst_unused:UNUSED_PAD src0_sel:WORD_0
	v_cvt_f32_u32_sdwa v63, v89 dst_sel:DWORD dst_unused:UNUSED_PAD src0_sel:WORD_1
	;; [unrolled: 2-line block ×4, first 2 shown]
.LBB776_6:
	s_or_b64 exec, exec, s[8:9]
	s_cbranch_execz .LBB776_8
	s_branch .LBB776_11
.LBB776_7:
                                        ; implicit-def: $vgpr32_vgpr33_vgpr34_vgpr35_vgpr36_vgpr37_vgpr38_vgpr39_vgpr40_vgpr41_vgpr42_vgpr43_vgpr44_vgpr45_vgpr46_vgpr47
                                        ; implicit-def: $vgpr46_vgpr47_vgpr48_vgpr49_vgpr50_vgpr51_vgpr52_vgpr53_vgpr54_vgpr55_vgpr56_vgpr57_vgpr58_vgpr59_vgpr60_vgpr61
                                        ; implicit-def: $vgpr16_vgpr17_vgpr18_vgpr19_vgpr20_vgpr21_vgpr22_vgpr23_vgpr24_vgpr25_vgpr26_vgpr27_vgpr28_vgpr29_vgpr30_vgpr31
                                        ; implicit-def: $vgpr93
                                        ; implicit-def: $vgpr2_vgpr3_vgpr4_vgpr5_vgpr6_vgpr7_vgpr8_vgpr9_vgpr10_vgpr11_vgpr12_vgpr13_vgpr14_vgpr15_vgpr16_vgpr17
                                        ; implicit-def: $vgpr60_vgpr61_vgpr62_vgpr63_vgpr64_vgpr65_vgpr66_vgpr67_vgpr68_vgpr69_vgpr70_vgpr71_vgpr72_vgpr73_vgpr74_vgpr75
                                        ; implicit-def: $vgpr34_vgpr35_vgpr36_vgpr37_vgpr38_vgpr39_vgpr40_vgpr41_vgpr42_vgpr43_vgpr44_vgpr45_vgpr46_vgpr47_vgpr48_vgpr49
                                        ; implicit-def: $vgpr52_vgpr53_vgpr54_vgpr55_vgpr56_vgpr57_vgpr58_vgpr59_vgpr60_vgpr61_vgpr62_vgpr63_vgpr64_vgpr65_vgpr66_vgpr67
.LBB776_8:
	v_mov_b32_e32 v93, 0
	v_mov_b32_e32 v92, 0
	;; [unrolled: 1-line block ×16, first 2 shown]
	s_and_saveexec_b64 s[8:9], s[0:1]
	s_cbranch_execz .LBB776_10
; %bb.9:
	s_load_dwordx2 s[28:29], s[4:5], 0x38
	s_mul_hi_i32 s37, s19, s6
	s_mul_i32 s36, s19, s6
	s_lshl_b64 s[36:37], s[36:37], 1
	s_mov_b32 s31, 0x20000
	s_waitcnt lgkmcnt(0)
	s_add_u32 s28, s28, s36
	s_addc_u32 s14, s29, s37
	s_and_b32 s29, s14, 0xffff
	v_lshlrev_b32_e32 v36, 5, v0
	buffer_load_dwordx4 v[4:7], v36, s[28:31], 16 offen
	buffer_load_dwordx4 v[8:11], v36, s[28:31], 0 offen
	s_load_dwordx2 s[28:29], s[4:5], 0x20
	s_waitcnt vmcnt(5)
	v_cvt_f32_u32_sdwa v21, v84 dst_sel:DWORD dst_unused:UNUSED_PAD src0_sel:WORD_1
	v_cvt_f32_u32_sdwa v20, v84 dst_sel:DWORD dst_unused:UNUSED_PAD src0_sel:WORD_0
	v_cvt_f32_u32_sdwa v19, v85 dst_sel:DWORD dst_unused:UNUSED_PAD src0_sel:WORD_1
	v_cvt_f32_u32_sdwa v18, v85 dst_sel:DWORD dst_unused:UNUSED_PAD src0_sel:WORD_0
	;; [unrolled: 2-line block ×4, first 2 shown]
	s_waitcnt vmcnt(4)
	v_cvt_f32_u32_sdwa v3, v88 dst_sel:DWORD dst_unused:UNUSED_PAD src0_sel:WORD_1
	v_cvt_f32_u32_sdwa v2, v88 dst_sel:DWORD dst_unused:UNUSED_PAD src0_sel:WORD_0
	v_cvt_f32_u32_sdwa v13, v89 dst_sel:DWORD dst_unused:UNUSED_PAD src0_sel:WORD_1
	v_cvt_f32_u32_sdwa v12, v89 dst_sel:DWORD dst_unused:UNUSED_PAD src0_sel:WORD_0
	;; [unrolled: 2-line block ×3, first 2 shown]
	v_cvt_f32_u32_sdwa v16, v91 dst_sel:DWORD dst_unused:UNUSED_PAD src0_sel:WORD_0
	v_cvt_f32_u32_sdwa v17, v91 dst_sel:DWORD dst_unused:UNUSED_PAD src0_sel:WORD_1
	s_mul_hi_i32 s37, s11, s6
	s_mul_i32 s36, s11, s6
	s_lshl_b64 s[36:37], s[36:37], 1
	s_waitcnt lgkmcnt(0)
	s_add_u32 s28, s28, s36
	s_mov_b32 s11, 0x7060302
	s_addc_u32 s14, s29, s37
	s_and_b32 s29, s14, 0xffff
	s_waitcnt vmcnt(1)
	v_cvt_f32_u32_sdwa v27, v4 dst_sel:DWORD dst_unused:UNUSED_PAD src0_sel:WORD_1
	v_cvt_f32_u32_sdwa v26, v4 dst_sel:DWORD dst_unused:UNUSED_PAD src0_sel:WORD_0
	v_cvt_f32_u32_sdwa v29, v5 dst_sel:DWORD dst_unused:UNUSED_PAD src0_sel:WORD_1
	v_cvt_f32_u32_sdwa v28, v5 dst_sel:DWORD dst_unused:UNUSED_PAD src0_sel:WORD_0
	;; [unrolled: 2-line block ×3, first 2 shown]
	v_cvt_f32_u32_sdwa v34, v7 dst_sel:DWORD dst_unused:UNUSED_PAD src0_sel:WORD_0
	v_cvt_f32_u32_sdwa v35, v7 dst_sel:DWORD dst_unused:UNUSED_PAD src0_sel:WORD_1
	s_waitcnt vmcnt(0)
	v_cvt_f32_u32_sdwa v33, v8 dst_sel:DWORD dst_unused:UNUSED_PAD src0_sel:WORD_1
	v_cvt_f32_u32_sdwa v32, v8 dst_sel:DWORD dst_unused:UNUSED_PAD src0_sel:WORD_0
	v_cvt_f32_u32_sdwa v5, v10 dst_sel:DWORD dst_unused:UNUSED_PAD src0_sel:WORD_1
	v_cvt_f32_u32_sdwa v4, v10 dst_sel:DWORD dst_unused:UNUSED_PAD src0_sel:WORD_0
	;; [unrolled: 2-line block ×4, first 2 shown]
	v_pk_add_f32 v[50:51], v[22:23], v[4:5]
	v_pk_add_f32 v[40:41], v[24:25], v[6:7]
	;; [unrolled: 1-line block ×4, first 2 shown]
	v_perm_b32 v7, v41, v40, s11
	v_perm_b32 v6, v51, v50, s11
	;; [unrolled: 1-line block ×4, first 2 shown]
	v_pk_add_f32 v[92:93], v[16:17], v[34:35]
	v_pk_add_f32 v[14:15], v[14:15], v[30:31]
	;; [unrolled: 1-line block ×4, first 2 shown]
	buffer_store_dwordx4 v[4:7], v36, s[28:31], 0 offen
	;;#ASMSTART
	s_nop 0
	;;#ASMEND
	s_nop 0
	v_perm_b32 v7, v93, v92, s11
	v_perm_b32 v6, v15, v14, s11
	;; [unrolled: 1-line block ×4, first 2 shown]
	buffer_store_dwordx4 v[4:7], v36, s[28:31], 16 offen
	;;#ASMSTART
	s_nop 0
	;;#ASMEND
.LBB776_10:
	s_or_b64 exec, exec, s[8:9]
.LBB776_11:
	v_mul_f32_e32 v2, v33, v33
	v_fmac_f32_e32 v2, v32, v32
	v_fmac_f32_e32 v2, v18, v18
	;; [unrolled: 1-line block ×15, first 2 shown]
	s_nop 1
	v_mov_b32_dpp v3, v2 quad_perm:[1,0,3,2] row_mask:0xf bank_mask:0xf
	v_add_f32_e32 v2, v2, v3
	s_nop 1
	v_mov_b32_dpp v3, v2 quad_perm:[2,3,0,1] row_mask:0xf bank_mask:0xf
	v_add_f32_e32 v2, v2, v3
	s_nop 1
	v_mov_b32_dpp v3, v2 row_half_mirror row_mask:0xf bank_mask:0xf
	v_add_f32_e32 v2, v2, v3
	s_nop 1
	v_mov_b32_dpp v3, v2 row_mirror row_mask:0xf bank_mask:0xf
	v_add_f32_e32 v2, v2, v3
	s_nop 1
	v_mov_b32_dpp v3, v2 row_bcast:15 row_mask:0xf bank_mask:0xf
	v_add_f32_e32 v2, v2, v3
	v_and_b32_e32 v3, 63, v0
	v_cmp_eq_u32_e64 s[8:9], 63, v3
	s_nop 0
	v_mov_b32_dpp v3, v2 row_bcast:31 row_mask:0xf bank_mask:0xf
	s_and_saveexec_b64 s[28:29], s[8:9]
	s_cbranch_execz .LBB776_13
; %bb.12:
	v_add_f32_e32 v2, v2, v3
	v_lshrrev_b32_e32 v3, 4, v0
	v_and_b32_e32 v3, 60, v3
	ds_write_b32 v3, v2 offset:16
.LBB776_13:
	s_or_b64 exec, exec, s[28:29]
	v_and_b32_e32 v2, 3, v0
	v_lshlrev_b32_e32 v34, 2, v2
	s_waitcnt lgkmcnt(0)
	s_barrier
	ds_read_b32 v2, v34 offset:16
	s_load_dwordx2 s[36:37], s[4:5], 0x18
	s_waitcnt lgkmcnt(0)
	v_mov_b32_dpp v3, v2 quad_perm:[1,0,3,2] row_mask:0xf bank_mask:0xf
	v_add_f32_e32 v2, v2, v3
	s_nop 1
	v_mov_b32_dpp v3, v2 quad_perm:[2,3,0,1] row_mask:0xf bank_mask:0xf
	s_and_saveexec_b64 s[28:29], s[0:1]
	s_cbranch_execnz .LBB776_18
; %bb.14:
	s_or_b64 exec, exec, s[28:29]
	s_mov_b64 s[2:3], -1
	s_and_b64 vcc, exec, s[22:23]
	s_cbranch_vccnz .LBB776_19
.LBB776_15:
	s_andn2_b64 vcc, exec, s[2:3]
	s_cbranch_vccz .LBB776_22
.LBB776_16:
	s_cmp_lt_i32 s16, 1
	s_cbranch_scc0 .LBB776_29
.LBB776_17:
	s_endpgm
.LBB776_18:
	v_add_f32_e32 v2, v2, v3
	v_cvt_f32_u32_e32 v3, s7
	s_waitcnt vmcnt(1)
	v_cvt_f32_u32_sdwa v21, v81 dst_sel:DWORD dst_unused:UNUSED_PAD src0_sel:WORD_1
	v_cvt_f32_u32_sdwa v20, v81 dst_sel:DWORD dst_unused:UNUSED_PAD src0_sel:WORD_0
	s_waitcnt vmcnt(0)
	v_cvt_f32_u32_sdwa v23, v77 dst_sel:DWORD dst_unused:UNUSED_PAD src0_sel:WORD_1
	v_div_scale_f32 v4, s[38:39], v3, v3, v2
	v_rcp_f32_e32 v5, v4
	v_cvt_f32_u32_sdwa v22, v77 dst_sel:DWORD dst_unused:UNUSED_PAD src0_sel:WORD_0
	v_cvt_f32_u32_sdwa v25, v78 dst_sel:DWORD dst_unused:UNUSED_PAD src0_sel:WORD_1
	v_cvt_f32_u32_sdwa v24, v78 dst_sel:DWORD dst_unused:UNUSED_PAD src0_sel:WORD_0
	v_fma_f32 v6, -v4, v5, 1.0
	v_fmac_f32_e32 v5, v6, v5
	v_div_scale_f32 v6, vcc, v2, v3, v2
	v_mul_f32_e32 v7, v6, v5
	v_fma_f32 v8, -v4, v7, v6
	v_fmac_f32_e32 v7, v8, v5
	v_fma_f32 v4, -v4, v7, v6
	v_div_fmas_f32 v4, v4, v5, v7
	v_div_fixup_f32 v2, v4, v3, v2
	v_mov_b32_e32 v3, s13
	v_mov_b32_e32 v4, s12
	v_cndmask_b32_e64 v3, v3, v4, s[2:3]
	v_add_f32_e32 v2, v3, v2
	s_mov_b32 s2, 0x800000
	v_mul_f32_e32 v3, 0x4b800000, v2
	v_cmp_gt_f32_e32 vcc, s2, v2
	v_cndmask_b32_e32 v2, v2, v3, vcc
	v_rsq_f32_e32 v2, v2
	v_cvt_f32_u32_sdwa v27, v79 dst_sel:DWORD dst_unused:UNUSED_PAD src0_sel:WORD_1
	v_cvt_f32_u32_sdwa v26, v79 dst_sel:DWORD dst_unused:UNUSED_PAD src0_sel:WORD_0
	v_mul_f32_e32 v3, 0x45800000, v2
	v_cndmask_b32_e32 v2, v2, v3, vcc
	v_mov_b32_e32 v3, v2
	;;#ASMSTART
	v_pk_mul_f32 v[4:5], v[32:33], v[2:3]
	;;#ASMEND
	;;#ASMSTART
	v_pk_mul_f32 v[6:7], v[18:19], v[2:3]
	;;#ASMEND
	;; [unrolled: 3-line block ×6, first 2 shown]
	v_cvt_f32_u32_sdwa v19, v80 dst_sel:DWORD dst_unused:UNUSED_PAD src0_sel:WORD_1
	v_cvt_f32_u32_sdwa v18, v80 dst_sel:DWORD dst_unused:UNUSED_PAD src0_sel:WORD_0
	;;#ASMSTART
	v_pk_mul_f32 v[14:15], v[14:15], v[2:3]
	;;#ASMEND
	;;#ASMSTART
	v_pk_mul_f32 v[2:3], v[92:93], v[2:3]
	;;#ASMEND
	;; [unrolled: 3-line block ×4, first 2 shown]
	v_cvt_f32_u32_sdwa v5, v82 dst_sel:DWORD dst_unused:UNUSED_PAD src0_sel:WORD_1
	v_cvt_f32_u32_sdwa v4, v82 dst_sel:DWORD dst_unused:UNUSED_PAD src0_sel:WORD_0
	v_cvt_f32_u32_sdwa v7, v83 dst_sel:DWORD dst_unused:UNUSED_PAD src0_sel:WORD_1
	v_cvt_f32_u32_sdwa v6, v83 dst_sel:DWORD dst_unused:UNUSED_PAD src0_sel:WORD_0
	;; [unrolled: 2-line block ×3, first 2 shown]
	;;#ASMSTART
	v_pk_mul_f32 v[50:51], v[8:9], v[4:5]
	;;#ASMEND
	;;#ASMSTART
	v_pk_mul_f32 v[40:41], v[10:11], v[6:7]
	;;#ASMEND
	;;#ASMSTART
	v_pk_mul_f32 v[68:69], v[12:13], v[20:21]
	;;#ASMEND
	;;#ASMSTART
	v_pk_mul_f32 v[62:63], v[16:17], v[22:23]
	;;#ASMEND
	;;#ASMSTART
	v_pk_mul_f32 v[14:15], v[14:15], v[24:25]
	;;#ASMEND
	;;#ASMSTART
	v_pk_mul_f32 v[92:93], v[2:3], v[26:27]
	;;#ASMEND
	s_or_b64 exec, exec, s[28:29]
	s_mov_b64 s[2:3], -1
	s_and_b64 vcc, exec, s[22:23]
	s_cbranch_vccz .LBB776_15
.LBB776_19:
	s_and_saveexec_b64 s[2:3], s[0:1]
	s_cbranch_execz .LBB776_21
; %bb.20:
	s_mul_hi_i32 s23, s10, s6
	s_mul_i32 s22, s10, s6
	s_lshl_b64 s[22:23], s[22:23], 1
	s_add_u32 s28, s36, s22
	s_addc_u32 s7, s37, s23
	s_and_b32 s29, s7, 0xffff
	s_mov_b32 s7, 0x7060302
	s_mov_b32 s31, 0x20000
	v_perm_b32 v5, v41, v40, s7
	v_perm_b32 v4, v51, v50, s7
	;; [unrolled: 1-line block ×4, first 2 shown]
	v_lshlrev_b32_e32 v6, 5, v0
	buffer_store_dwordx4 v[2:5], v6, s[28:31], 0 offen
	;;#ASMSTART
	s_nop 0
	;;#ASMEND
	s_nop 0
	v_perm_b32 v5, v93, v92, s7
	v_perm_b32 v4, v15, v14, s7
	;; [unrolled: 1-line block ×4, first 2 shown]
	buffer_store_dwordx4 v[2:5], v6, s[28:31], 16 offen
	;;#ASMSTART
	s_nop 0
	;;#ASMEND
.LBB776_21:
	s_or_b64 exec, exec, s[2:3]
	s_cbranch_execnz .LBB776_16
.LBB776_22:
	v_mov_b32_e32 v2, 0
	s_and_saveexec_b64 s[2:3], s[0:1]
	s_cbranch_execz .LBB776_24
; %bb.23:
	v_and_b32_e32 v2, 0x7fffffff, v32
	v_and_b32_e32 v3, 0x7fffffff, v33
	v_mov_b32_e32 v10, 0x2edbe6ff
	;;#ASMSTART
	v_max3_f32 v2, v10, v2, v3

	;;#ASMEND
	v_and_b32_e32 v4, 0x7fffffff, v18
	v_and_b32_e32 v5, 0x7fffffff, v19
	;;#ASMSTART
	v_max3_f32 v2, v2, v4, v5

	;;#ASMEND
	v_and_b32_e32 v6, 0x7fffffff, v50
	v_and_b32_e32 v7, 0x7fffffff, v51
	;; [unrolled: 6-line block ×7, first 2 shown]
	;;#ASMSTART
	v_max3_f32 v2, v2, v3, v4

	;;#ASMEND
.LBB776_24:
	s_or_b64 exec, exec, s[2:3]
	;;#ASMSTART
	v_max_f32 v3, v2, v2 quad_perm:[1,0,3,2] row_mask:0xf bank_mask:0xf bound_ctrl:1
	;;#ASMEND
	;;#ASMSTART
	v_max_f32 v4, v3, v3 quad_perm:[2,3,0,1] row_mask:0xf bank_mask:0xf bound_ctrl:1
	;;#ASMEND
	v_and_b32_e32 v3, 7, v0
	v_cmp_eq_u32_e32 vcc, 0, v3
	v_cmp_gt_i32_e64 s[2:3], s15, v1
	s_and_b64 s[22:23], vcc, s[2:3]
	;;#ASMSTART
	v_max_f32 v2, v4, v4 row_half_mirror row_mask:0xf bank_mask:0xf bound_ctrl:1
	;;#ASMEND
	s_and_saveexec_b64 s[2:3], s[22:23]
	s_cbranch_execz .LBB776_26
; %bb.25:
	s_load_dwordx2 s[22:23], s[4:5], 0x8
	v_mul_f32_e32 v2, 0x3e2aaaab, v2
	v_lshrrev_b32_e32 v3, 23, v2
	v_and_b32_e32 v4, 0x7f800000, v2
	v_and_b32_e32 v2, 0x7fffff, v2
	v_cmp_ne_u32_e32 vcc, 0, v2
	s_mul_i32 s12, s25, s6
	s_mov_b32 s7, 0x7f800000
	v_addc_co_u32_e32 v2, vcc, 0, v3, vcc
	s_mul_hi_i32 s11, s25, s6
	s_waitcnt lgkmcnt(0)
	s_add_u32 s22, s22, s12
	v_cmp_ne_u32_e32 vcc, s7, v4
	s_addc_u32 s23, s23, s11
	v_lshrrev_b32_e32 v5, 3, v0
	v_cndmask_b32_e32 v4, -1, v2, vcc
	v_pk_mov_b32 v[2:3], s[22:23], s[22:23] op_sel:[0,1]
	v_mad_i64_i32 v[2:3], s[22:23], s26, v5, v[2:3]
	global_store_byte v[2:3], v4, off
.LBB776_26:
	s_or_b64 exec, exec, s[2:3]
	s_and_saveexec_b64 s[2:3], s[0:1]
	s_cbranch_execz .LBB776_28
; %bb.27:
	s_load_dwordx2 s[0:1], s[4:5], 0x0
	s_mul_i32 s11, s24, s6
	s_mul_hi_i32 s7, s24, s6
	v_mov_b32_e32 v2, 0
	v_lshlrev_b32_e32 v4, 3, v0
	s_waitcnt lgkmcnt(0)
	s_add_u32 s24, s0, s11
	s_addc_u32 s0, s1, s7
	s_lshr_b32 s1, s15, 31
	s_add_i32 s1, s15, s1
	s_ashr_i32 s1, s1, 1
	s_add_i32 s1, s1, 3
	s_ashr_i32 s7, s1, 31
	s_lshr_b32 s7, s7, 30
	s_add_i32 s1, s1, s7
	s_and_b32 s26, s1, -4
	s_and_b32 s25, s0, 0xffff
	s_mov_b32 s27, 0x20000
	v_mov_b32_e32 v3, v2
	buffer_store_dwordx2 v[2:3], v4, s[24:27], 0 offen
	;;#ASMSTART
	s_nop 0
	;;#ASMEND
.LBB776_28:
	s_or_b64 exec, exec, s[2:3]
	s_cmp_lt_i32 s16, 1
	s_cbranch_scc1 .LBB776_17
.LBB776_29:
	s_load_dword s0, s[4:5], 0x94
	s_waitcnt lgkmcnt(0)
	s_cmp_lg_u32 s0, 1
	s_cbranch_scc1 .LBB776_17
; %bb.30:
	s_lshl_b32 s0, s16, 1
	s_add_i32 s0, s0, 2
	v_cmp_gt_u32_e32 vcc, s16, v1
	s_and_b32 s22, s0, -4
	v_mov_b32_e32 v18, 0
	v_lshlrev_b32_e32 v1, 5, v0
	v_mov_b32_e32 v14, 0
	v_mov_b32_e32 v15, 0
	;; [unrolled: 1-line block ×16, first 2 shown]
	s_barrier
	s_and_saveexec_b64 s[0:1], vcc
	s_cbranch_execz .LBB776_32
; %bb.31:
	s_mul_hi_i32 s3, s18, s6
	s_mul_i32 s2, s18, s6
	s_and_b32 s21, s21, 0xffff
	s_lshl_b64 s[2:3], s[2:3], 1
	s_add_u32 s24, s34, s2
	s_mov_b32 s23, 0x20000
	s_addc_u32 s2, s35, s3
	s_and_b32 s25, s2, 0xffff
	s_mov_b32 s26, s22
	s_mov_b32 s27, s23
	buffer_load_dwordx4 v[14:17], v1, s[24:27], 0 offen
	buffer_load_dwordx4 v[10:13], v1, s[24:27], 16 offen
	;; [unrolled: 1-line block ×4, first 2 shown]
.LBB776_32:
	s_or_b64 exec, exec, s[0:1]
	v_mov_b32_e32 v19, 0
	v_mov_b32_e32 v32, 0
	;; [unrolled: 1-line block ×15, first 2 shown]
	s_and_saveexec_b64 s[0:1], vcc
	s_cbranch_execz .LBB776_34
; %bb.33:
	s_waitcnt vmcnt(3)
	v_cvt_f32_u32_sdwa v18, v14 dst_sel:DWORD dst_unused:UNUSED_PAD src0_sel:WORD_0
	v_cvt_f32_u32_sdwa v19, v14 dst_sel:DWORD dst_unused:UNUSED_PAD src0_sel:WORD_1
	v_cvt_f32_u32_sdwa v32, v15 dst_sel:DWORD dst_unused:UNUSED_PAD src0_sel:WORD_0
	v_cvt_f32_u32_sdwa v33, v15 dst_sel:DWORD dst_unused:UNUSED_PAD src0_sel:WORD_1
	;; [unrolled: 2-line block ×4, first 2 shown]
	s_waitcnt vmcnt(2)
	v_cvt_f32_u32_sdwa v26, v10 dst_sel:DWORD dst_unused:UNUSED_PAD src0_sel:WORD_0
	v_cvt_f32_u32_sdwa v27, v10 dst_sel:DWORD dst_unused:UNUSED_PAD src0_sel:WORD_1
	v_cvt_f32_u32_sdwa v24, v11 dst_sel:DWORD dst_unused:UNUSED_PAD src0_sel:WORD_0
	v_cvt_f32_u32_sdwa v25, v11 dst_sel:DWORD dst_unused:UNUSED_PAD src0_sel:WORD_1
	;; [unrolled: 2-line block ×4, first 2 shown]
.LBB776_34:
	s_or_b64 exec, exec, s[0:1]
	s_waitcnt vmcnt(2)
	v_mul_f32_e32 v10, v19, v19
	v_fmac_f32_e32 v10, v18, v18
	v_fmac_f32_e32 v10, v32, v32
	;; [unrolled: 1-line block ×15, first 2 shown]
	s_nop 1
	v_mov_b32_dpp v11, v10 quad_perm:[1,0,3,2] row_mask:0xf bank_mask:0xf
	v_add_f32_e32 v10, v10, v11
	s_nop 1
	v_mov_b32_dpp v11, v10 quad_perm:[2,3,0,1] row_mask:0xf bank_mask:0xf
	v_add_f32_e32 v10, v10, v11
	s_nop 1
	v_mov_b32_dpp v11, v10 row_half_mirror row_mask:0xf bank_mask:0xf
	v_add_f32_e32 v10, v10, v11
	s_nop 1
	v_mov_b32_dpp v11, v10 row_mirror row_mask:0xf bank_mask:0xf
	v_add_f32_e32 v10, v10, v11
	s_nop 1
	v_mov_b32_dpp v11, v10 row_bcast:15 row_mask:0xf bank_mask:0xf
	v_add_f32_e32 v10, v10, v11
	s_nop 1
	v_mov_b32_dpp v11, v10 row_bcast:31 row_mask:0xf bank_mask:0xf
	s_and_saveexec_b64 s[0:1], s[8:9]
	s_cbranch_execz .LBB776_36
; %bb.35:
	v_lshrrev_b32_e32 v0, 4, v0
	v_add_f32_e32 v10, v10, v11
	v_and_b32_e32 v0, 60, v0
	ds_write_b32 v0, v10
.LBB776_36:
	s_or_b64 exec, exec, s[0:1]
	s_waitcnt lgkmcnt(0)
	s_barrier
	ds_read_b32 v0, v34
	s_waitcnt lgkmcnt(0)
	s_nop 0
	v_mov_b32_dpp v10, v0 quad_perm:[1,0,3,2] row_mask:0xf bank_mask:0xf
	v_add_f32_e32 v0, v0, v10
	s_nop 1
	v_mov_b32_dpp v10, v0 quad_perm:[2,3,0,1] row_mask:0xf bank_mask:0xf
	s_and_saveexec_b64 s[0:1], vcc
	s_cbranch_execz .LBB776_17
; %bb.37:
	v_cvt_f32_u32_e32 v11, s16
	v_add_f32_e32 v0, v0, v10
	s_mov_b32 s23, 0x20000
	v_div_scale_f32 v10, s[0:1], v11, v11, v0
	v_rcp_f32_e32 v12, v10
	v_div_scale_f32 v13, vcc, v0, v11, v0
	s_mov_b32 s0, 0x800000
	v_fma_f32 v14, -v10, v12, 1.0
	v_fmac_f32_e32 v12, v14, v12
	v_mul_f32_e32 v14, v13, v12
	v_fma_f32 v15, -v10, v14, v13
	v_fmac_f32_e32 v14, v15, v12
	v_fma_f32 v10, -v10, v14, v13
	v_div_fmas_f32 v10, v10, v12, v14
	v_div_fixup_f32 v0, v10, v11, v0
	v_add_f32_e32 v0, s13, v0
	v_mul_f32_e32 v10, 0x4b800000, v0
	v_cmp_gt_f32_e32 vcc, s0, v0
	v_cndmask_b32_e32 v0, v0, v10, vcc
	v_rsq_f32_e32 v0, v0
	s_mul_hi_i32 s1, s10, s6
	s_mul_i32 s0, s10, s6
	s_lshl_b64 s[0:1], s[0:1], 1
	v_mul_f32_e32 v10, 0x45800000, v0
	v_cndmask_b32_e32 v10, v0, v10, vcc
	v_mov_b32_e32 v11, v10
	s_add_u32 s20, s36, s0
	;;#ASMSTART
	v_pk_mul_f32 v[12:13], v[18:19], v[10:11]
	;;#ASMEND
	;;#ASMSTART
	v_pk_mul_f32 v[14:15], v[32:33], v[10:11]
	;;#ASMEND
	;; [unrolled: 3-line block ×8, first 2 shown]
	s_waitcnt vmcnt(1)
	v_cvt_f32_u32_sdwa v21, v6 dst_sel:DWORD dst_unused:UNUSED_PAD src0_sel:WORD_1
	v_cvt_f32_u32_sdwa v20, v6 dst_sel:DWORD dst_unused:UNUSED_PAD src0_sel:WORD_0
	v_cvt_f32_u32_sdwa v29, v7 dst_sel:DWORD dst_unused:UNUSED_PAD src0_sel:WORD_1
	v_cvt_f32_u32_sdwa v28, v7 dst_sel:DWORD dst_unused:UNUSED_PAD src0_sel:WORD_0
	;; [unrolled: 2-line block ×3, first 2 shown]
	s_addc_u32 s0, s37, s1
	v_cvt_f32_u32_sdwa v31, v9 dst_sel:DWORD dst_unused:UNUSED_PAD src0_sel:WORD_1
	v_cvt_f32_u32_sdwa v30, v9 dst_sel:DWORD dst_unused:UNUSED_PAD src0_sel:WORD_0
	;;#ASMSTART
	v_pk_mul_f32 v[8:9], v[12:13], v[20:21]
	;;#ASMEND
	;;#ASMSTART
	v_pk_mul_f32 v[12:13], v[14:15], v[28:29]
	;;#ASMEND
	;; [unrolled: 3-line block ×4, first 2 shown]
	s_waitcnt vmcnt(0)
	v_cvt_f32_u32_sdwa v17, v2 dst_sel:DWORD dst_unused:UNUSED_PAD src0_sel:WORD_1
	v_cvt_f32_u32_sdwa v16, v2 dst_sel:DWORD dst_unused:UNUSED_PAD src0_sel:WORD_0
	v_cvt_f32_u32_sdwa v19, v3 dst_sel:DWORD dst_unused:UNUSED_PAD src0_sel:WORD_1
	v_cvt_f32_u32_sdwa v18, v3 dst_sel:DWORD dst_unused:UNUSED_PAD src0_sel:WORD_0
	;; [unrolled: 2-line block ×3, first 2 shown]
	s_and_b32 s21, s0, 0xffff
	s_mov_b32 s0, 0x7060302
	v_cvt_f32_u32_sdwa v21, v5 dst_sel:DWORD dst_unused:UNUSED_PAD src0_sel:WORD_1
	v_cvt_f32_u32_sdwa v20, v5 dst_sel:DWORD dst_unused:UNUSED_PAD src0_sel:WORD_0
	;;#ASMSTART
	v_pk_mul_f32 v[16:17], v[26:27], v[16:17]
	;;#ASMEND
	;;#ASMSTART
	v_pk_mul_f32 v[18:19], v[24:25], v[18:19]
	;;#ASMEND
	;;#ASMSTART
	v_pk_mul_f32 v[22:23], v[22:23], v[2:3]
	;;#ASMEND
	v_perm_b32 v2, v9, v8, s0
	v_perm_b32 v3, v13, v12, s0
	;; [unrolled: 1-line block ×4, first 2 shown]
	;;#ASMSTART
	v_pk_mul_f32 v[10:11], v[10:11], v[20:21]
	;;#ASMEND
	buffer_store_dwordx4 v[2:5], v1, s[20:23], 0 offen
	;;#ASMSTART
	s_nop 0
	;;#ASMEND
	s_nop 0
	v_perm_b32 v2, v17, v16, s0
	v_perm_b32 v3, v19, v18, s0
	v_perm_b32 v4, v23, v22, s0
	v_perm_b32 v5, v11, v10, s0
	buffer_store_dwordx4 v[2:5], v1, s[20:23], 16 offen
	;;#ASMSTART
	s_nop 0
	;;#ASMEND
	s_endpgm
	.section	.rodata,"a",@progbits
	.p2align	6, 0x0
	.amdhsa_kernel _ZN5aiter35fused_qk_rmsnorm_group_quant_kernelItN4opus5fp4_tELi256ELi16ELi8ELb1ELb0ELb0ELb0ELb0ELb0EEEvPT0_PvPT_S7_S7_PKS6_S9_S9_S9_S9_ffiiiiiiiiiiiii
		.amdhsa_group_segment_fixed_size 32
		.amdhsa_private_segment_fixed_size 0
		.amdhsa_kernarg_size 400
		.amdhsa_user_sgpr_count 6
		.amdhsa_user_sgpr_private_segment_buffer 1
		.amdhsa_user_sgpr_dispatch_ptr 0
		.amdhsa_user_sgpr_queue_ptr 0
		.amdhsa_user_sgpr_kernarg_segment_ptr 1
		.amdhsa_user_sgpr_dispatch_id 0
		.amdhsa_user_sgpr_flat_scratch_init 0
		.amdhsa_user_sgpr_kernarg_preload_length 0
		.amdhsa_user_sgpr_kernarg_preload_offset 0
		.amdhsa_user_sgpr_private_segment_size 0
		.amdhsa_uses_dynamic_stack 0
		.amdhsa_system_sgpr_private_segment_wavefront_offset 0
		.amdhsa_system_sgpr_workgroup_id_x 1
		.amdhsa_system_sgpr_workgroup_id_y 1
		.amdhsa_system_sgpr_workgroup_id_z 0
		.amdhsa_system_sgpr_workgroup_info 0
		.amdhsa_system_vgpr_workitem_id 0
		.amdhsa_next_free_vgpr 94
		.amdhsa_next_free_sgpr 40
		.amdhsa_accum_offset 96
		.amdhsa_reserve_vcc 1
		.amdhsa_reserve_flat_scratch 0
		.amdhsa_float_round_mode_32 0
		.amdhsa_float_round_mode_16_64 0
		.amdhsa_float_denorm_mode_32 3
		.amdhsa_float_denorm_mode_16_64 3
		.amdhsa_dx10_clamp 1
		.amdhsa_ieee_mode 1
		.amdhsa_fp16_overflow 0
		.amdhsa_tg_split 0
		.amdhsa_exception_fp_ieee_invalid_op 0
		.amdhsa_exception_fp_denorm_src 0
		.amdhsa_exception_fp_ieee_div_zero 0
		.amdhsa_exception_fp_ieee_overflow 0
		.amdhsa_exception_fp_ieee_underflow 0
		.amdhsa_exception_fp_ieee_inexact 0
		.amdhsa_exception_int_div_zero 0
	.end_amdhsa_kernel
	.section	.text._ZN5aiter35fused_qk_rmsnorm_group_quant_kernelItN4opus5fp4_tELi256ELi16ELi8ELb1ELb0ELb0ELb0ELb0ELb0EEEvPT0_PvPT_S7_S7_PKS6_S9_S9_S9_S9_ffiiiiiiiiiiiii,"axG",@progbits,_ZN5aiter35fused_qk_rmsnorm_group_quant_kernelItN4opus5fp4_tELi256ELi16ELi8ELb1ELb0ELb0ELb0ELb0ELb0EEEvPT0_PvPT_S7_S7_PKS6_S9_S9_S9_S9_ffiiiiiiiiiiiii,comdat
.Lfunc_end776:
	.size	_ZN5aiter35fused_qk_rmsnorm_group_quant_kernelItN4opus5fp4_tELi256ELi16ELi8ELb1ELb0ELb0ELb0ELb0ELb0EEEvPT0_PvPT_S7_S7_PKS6_S9_S9_S9_S9_ffiiiiiiiiiiiii, .Lfunc_end776-_ZN5aiter35fused_qk_rmsnorm_group_quant_kernelItN4opus5fp4_tELi256ELi16ELi8ELb1ELb0ELb0ELb0ELb0ELb0EEEvPT0_PvPT_S7_S7_PKS6_S9_S9_S9_S9_ffiiiiiiiiiiiii
                                        ; -- End function
	.section	.AMDGPU.csdata,"",@progbits
; Kernel info:
; codeLenInByte = 3776
; NumSgprs: 44
; NumVgprs: 94
; NumAgprs: 0
; TotalNumVgprs: 94
; ScratchSize: 0
; MemoryBound: 0
; FloatMode: 240
; IeeeMode: 1
; LDSByteSize: 32 bytes/workgroup (compile time only)
; SGPRBlocks: 5
; VGPRBlocks: 11
; NumSGPRsForWavesPerEU: 44
; NumVGPRsForWavesPerEU: 94
; AccumOffset: 96
; Occupancy: 5
; WaveLimiterHint : 0
; COMPUTE_PGM_RSRC2:SCRATCH_EN: 0
; COMPUTE_PGM_RSRC2:USER_SGPR: 6
; COMPUTE_PGM_RSRC2:TRAP_HANDLER: 0
; COMPUTE_PGM_RSRC2:TGID_X_EN: 1
; COMPUTE_PGM_RSRC2:TGID_Y_EN: 1
; COMPUTE_PGM_RSRC2:TGID_Z_EN: 0
; COMPUTE_PGM_RSRC2:TIDIG_COMP_CNT: 0
; COMPUTE_PGM_RSRC3_GFX90A:ACCUM_OFFSET: 23
; COMPUTE_PGM_RSRC3_GFX90A:TG_SPLIT: 0
	.section	.text._ZN5aiter35fused_qk_rmsnorm_group_quant_kernelIDF16_DB8_Li256ELi16ELi8ELb0ELb1ELb1ELb0ELb0ELb0EEEvPT0_PvPT_S6_S6_PKS5_S8_S8_S8_S8_ffiiiiiiiiiiiii,"axG",@progbits,_ZN5aiter35fused_qk_rmsnorm_group_quant_kernelIDF16_DB8_Li256ELi16ELi8ELb0ELb1ELb1ELb0ELb0ELb0EEEvPT0_PvPT_S6_S6_PKS5_S8_S8_S8_S8_ffiiiiiiiiiiiii,comdat
	.protected	_ZN5aiter35fused_qk_rmsnorm_group_quant_kernelIDF16_DB8_Li256ELi16ELi8ELb0ELb1ELb1ELb0ELb0ELb0EEEvPT0_PvPT_S6_S6_PKS5_S8_S8_S8_S8_ffiiiiiiiiiiiii ; -- Begin function _ZN5aiter35fused_qk_rmsnorm_group_quant_kernelIDF16_DB8_Li256ELi16ELi8ELb0ELb1ELb1ELb0ELb0ELb0EEEvPT0_PvPT_S6_S6_PKS5_S8_S8_S8_S8_ffiiiiiiiiiiiii
	.globl	_ZN5aiter35fused_qk_rmsnorm_group_quant_kernelIDF16_DB8_Li256ELi16ELi8ELb0ELb1ELb1ELb0ELb0ELb0EEEvPT0_PvPT_S6_S6_PKS5_S8_S8_S8_S8_ffiiiiiiiiiiiii
	.p2align	8
	.type	_ZN5aiter35fused_qk_rmsnorm_group_quant_kernelIDF16_DB8_Li256ELi16ELi8ELb0ELb1ELb1ELb0ELb0ELb0EEEvPT0_PvPT_S6_S6_PKS5_S8_S8_S8_S8_ffiiiiiiiiiiiii,@function
_ZN5aiter35fused_qk_rmsnorm_group_quant_kernelIDF16_DB8_Li256ELi16ELi8ELb0ELb1ELb1ELb0ELb0ELb0EEEvPT0_PvPT_S6_S6_PKS5_S8_S8_S8_S8_ffiiiiiiiiiiiii: ; @_ZN5aiter35fused_qk_rmsnorm_group_quant_kernelIDF16_DB8_Li256ELi16ELi8ELb0ELb1ELb1ELb0ELb0ELb0EEEvPT0_PvPT_S6_S6_PKS5_S8_S8_S8_S8_ffiiiiiiiiiiiii
; %bb.0:
	s_load_dwordx4 s[16:19], s[4:5], 0x50
	s_waitcnt lgkmcnt(0)
	s_cmp_ge_i32 s6, s18
	s_cbranch_scc1 .LBB777_12
; %bb.1:
	s_load_dwordx2 s[12:13], s[4:5], 0x48
	s_load_dwordx2 s[30:31], s[4:5], 0x30
	s_load_dwordx4 s[20:23], s[4:5], 0x60
	s_cmp_lg_u32 s7, 0
	s_cselect_b64 s[14:15], -1, 0
	s_cmp_eq_u32 s7, 0
	s_cselect_b64 vcc, -1, 0
	s_and_b64 s[0:1], vcc, exec
	s_waitcnt lgkmcnt(0)
	s_cselect_b32 s7, s19, s20
	s_add_i32 s0, s7, 1
	s_lshr_b32 s1, s0, 31
	s_add_i32 s0, s0, s1
	s_lshl_b32 s0, s0, 1
	v_lshlrev_b32_e32 v1, 4, v0
	s_and_b32 s10, s0, -4
	v_cmp_gt_i32_e64 s[2:3], s7, v1
	v_mov_b32_e32 v18, 0
	v_mov_b32_e32 v6, 0
	;; [unrolled: 1-line block ×17, first 2 shown]
	s_and_saveexec_b64 s[0:1], s[2:3]
	s_cbranch_execz .LBB777_3
; %bb.2:
	s_load_dwordx2 s[8:9], s[4:5], 0x28
	s_load_dwordx2 s[26:27], s[4:5], 0x40
	s_and_b64 s[24:25], vcc, exec
	s_cselect_b32 s11, s21, s22
	v_lshlrev_b32_e32 v19, 5, v0
	s_waitcnt lgkmcnt(0)
	s_cselect_b32 s18, s9, s31
	s_cselect_b32 s21, s8, s30
	s_mul_hi_i32 s9, s11, s6
	s_mul_i32 s8, s11, s6
	s_lshl_b64 s[8:9], s[8:9], 1
	s_add_u32 s24, s21, s8
	s_addc_u32 s18, s18, s9
	s_and_b64 s[8:9], vcc, exec
	s_mov_b32 s11, 0x20000
	s_cselect_b32 s8, s26, s12
	s_cselect_b32 s9, s27, s13
	s_and_b32 s25, s18, 0xffff
	s_mov_b32 s26, s10
	s_mov_b32 s27, s11
	s_and_b32 s9, s9, 0xffff
	buffer_load_dwordx4 v[14:17], v19, s[24:27], 0 offen
	buffer_load_dwordx4 v[10:13], v19, s[24:27], 16 offen
	;; [unrolled: 1-line block ×4, first 2 shown]
.LBB777_3:
	s_or_b64 exec, exec, s[0:1]
	v_mov_b32_e32 v19, 0
	v_mov_b32_e32 v32, 0
	;; [unrolled: 1-line block ×15, first 2 shown]
	s_and_saveexec_b64 s[0:1], s[2:3]
	s_cbranch_execz .LBB777_5
; %bb.4:
	s_waitcnt vmcnt(3)
	v_cvt_f32_f16_sdwa v19, v14 dst_sel:DWORD dst_unused:UNUSED_PAD src0_sel:WORD_1
	v_cvt_f32_f16_e32 v18, v14
	v_cvt_f32_f16_sdwa v33, v15 dst_sel:DWORD dst_unused:UNUSED_PAD src0_sel:WORD_1
	v_cvt_f32_f16_e32 v32, v15
	;; [unrolled: 2-line block ×4, first 2 shown]
	s_waitcnt vmcnt(2)
	v_cvt_f32_f16_sdwa v25, v10 dst_sel:DWORD dst_unused:UNUSED_PAD src0_sel:WORD_1
	v_cvt_f32_f16_e32 v24, v10
	v_cvt_f32_f16_sdwa v29, v11 dst_sel:DWORD dst_unused:UNUSED_PAD src0_sel:WORD_1
	v_cvt_f32_f16_e32 v28, v11
	;; [unrolled: 2-line block ×4, first 2 shown]
.LBB777_5:
	s_or_b64 exec, exec, s[0:1]
	s_waitcnt vmcnt(2)
	v_mul_f32_e32 v10, v19, v19
	v_fmac_f32_e32 v10, v18, v18
	v_fmac_f32_e32 v10, v32, v32
	;; [unrolled: 1-line block ×15, first 2 shown]
	v_and_b32_e32 v12, 63, v0
	v_cmp_eq_u32_e64 s[0:1], 63, v12
	v_mov_b32_dpp v11, v10 quad_perm:[1,0,3,2] row_mask:0xf bank_mask:0xf
	v_add_f32_e32 v10, v10, v11
	s_nop 1
	v_mov_b32_dpp v11, v10 quad_perm:[2,3,0,1] row_mask:0xf bank_mask:0xf
	v_add_f32_e32 v10, v10, v11
	s_nop 1
	v_mov_b32_dpp v11, v10 row_half_mirror row_mask:0xf bank_mask:0xf
	v_add_f32_e32 v10, v10, v11
	s_nop 1
	v_mov_b32_dpp v11, v10 row_mirror row_mask:0xf bank_mask:0xf
	v_add_f32_e32 v10, v10, v11
	s_nop 1
	v_mov_b32_dpp v11, v10 row_bcast:15 row_mask:0xf bank_mask:0xf
	v_add_f32_e32 v10, v10, v11
	s_nop 1
	v_mov_b32_dpp v11, v10 row_bcast:31 row_mask:0xf bank_mask:0xf
	s_and_saveexec_b64 s[8:9], s[0:1]
	s_cbranch_execz .LBB777_7
; %bb.6:
	v_add_f32_e32 v10, v10, v11
	v_lshrrev_b32_e32 v11, 4, v0
	v_and_b32_e32 v11, 60, v11
	ds_write_b32 v11, v10 offset:16
.LBB777_7:
	s_or_b64 exec, exec, s[8:9]
	v_and_b32_e32 v10, 3, v0
	v_lshlrev_b32_e32 v34, 2, v10
	s_waitcnt lgkmcnt(0)
	s_barrier
	ds_read_b32 v10, v34 offset:16
	s_load_dwordx2 s[28:29], s[4:5], 0x18
	s_waitcnt lgkmcnt(0)
	v_mov_b32_dpp v11, v10 quad_perm:[1,0,3,2] row_mask:0xf bank_mask:0xf
	v_add_f32_e32 v10, v10, v11
	s_nop 1
	v_mov_b32_dpp v11, v10 quad_perm:[2,3,0,1] row_mask:0xf bank_mask:0xf
	s_and_saveexec_b64 s[8:9], s[2:3]
	s_cbranch_execz .LBB777_9
; %bb.8:
	v_cvt_f32_u32_e32 v12, s7
	v_add_f32_e32 v10, v10, v11
	v_mov_b32_e32 v14, s17
	v_mov_b32_e32 v15, s16
	v_div_scale_f32 v11, s[24:25], v12, v12, v10
	v_rcp_f32_e32 v13, v11
	v_cndmask_b32_e32 v14, v14, v15, vcc
	s_mov_b32 s7, 0x800000
	v_fma_f32 v15, -v11, v13, 1.0
	v_fmac_f32_e32 v13, v15, v13
	v_div_scale_f32 v15, vcc, v10, v12, v10
	v_mul_f32_e32 v16, v15, v13
	v_fma_f32 v17, -v11, v16, v15
	v_fmac_f32_e32 v16, v17, v13
	v_fma_f32 v11, -v11, v16, v15
	v_div_fmas_f32 v11, v11, v13, v16
	v_div_fixup_f32 v10, v11, v12, v10
	v_add_f32_e32 v10, v14, v10
	v_mul_f32_e32 v11, 0x4b800000, v10
	v_cmp_gt_f32_e32 vcc, s7, v10
	v_cndmask_b32_e32 v10, v10, v11, vcc
	v_rsq_f32_e32 v10, v10
	v_mul_f32_e32 v11, 0x45800000, v10
	v_cndmask_b32_e32 v10, v10, v11, vcc
	v_mov_b32_e32 v11, v10
	;;#ASMSTART
	v_pk_mul_f32 v[12:13], v[18:19], v[10:11]
	;;#ASMEND
	s_waitcnt vmcnt(1)
	v_cvt_f32_f16_sdwa v19, v6 dst_sel:DWORD dst_unused:UNUSED_PAD src0_sel:WORD_1
	v_cvt_f32_f16_e32 v18, v6
	;;#ASMSTART
	v_pk_mul_f32 v[14:15], v[32:33], v[10:11]
	;;#ASMEND
	;;#ASMSTART
	v_pk_mul_f32 v[16:17], v[26:27], v[10:11]
	;;#ASMEND
	v_cvt_f32_f16_sdwa v27, v7 dst_sel:DWORD dst_unused:UNUSED_PAD src0_sel:WORD_1
	v_cvt_f32_f16_e32 v26, v7
	;;#ASMSTART
	v_pk_mul_f32 v[30:31], v[30:31], v[10:11]
	;;#ASMEND
	;;#ASMSTART
	v_pk_mul_f32 v[24:25], v[24:25], v[10:11]
	;;#ASMEND
	;; [unrolled: 3-line block ×5, first 2 shown]
	v_pk_add_f32 v[10:11], v[18:19], 1.0 op_sel_hi:[1,0]
	;;#ASMSTART
	v_pk_mul_f32 v[18:19], v[12:13], v[10:11]
	;;#ASMEND
	v_cvt_f32_f16_sdwa v13, v8 dst_sel:DWORD dst_unused:UNUSED_PAD src0_sel:WORD_1
	v_cvt_f32_f16_e32 v12, v8
	v_cvt_f32_f16_sdwa v21, v9 dst_sel:DWORD dst_unused:UNUSED_PAD src0_sel:WORD_1
	v_cvt_f32_f16_e32 v20, v9
	v_pk_add_f32 v[10:11], v[26:27], 1.0 op_sel_hi:[1,0]
	;;#ASMSTART
	v_pk_mul_f32 v[32:33], v[14:15], v[10:11]
	;;#ASMEND
	s_waitcnt vmcnt(0)
	v_cvt_f32_f16_sdwa v11, v2 dst_sel:DWORD dst_unused:UNUSED_PAD src0_sel:WORD_1
	v_cvt_f32_f16_e32 v10, v2
	v_pk_add_f32 v[8:9], v[12:13], 1.0 op_sel_hi:[1,0]
	;;#ASMSTART
	v_pk_mul_f32 v[26:27], v[16:17], v[8:9]
	;;#ASMEND
	v_pk_add_f32 v[8:9], v[20:21], 1.0 op_sel_hi:[1,0]
	v_cvt_f32_f16_sdwa v13, v3 dst_sel:DWORD dst_unused:UNUSED_PAD src0_sel:WORD_1
	v_cvt_f32_f16_e32 v12, v3
	;;#ASMSTART
	v_pk_mul_f32 v[30:31], v[30:31], v[8:9]
	;;#ASMEND
	v_cvt_f32_f16_sdwa v9, v4 dst_sel:DWORD dst_unused:UNUSED_PAD src0_sel:WORD_1
	v_cvt_f32_f16_e32 v8, v4
	v_pk_add_f32 v[2:3], v[10:11], 1.0 op_sel_hi:[1,0]
	v_cvt_f32_f16_sdwa v11, v5 dst_sel:DWORD dst_unused:UNUSED_PAD src0_sel:WORD_1
	v_cvt_f32_f16_e32 v10, v5
	;;#ASMSTART
	v_pk_mul_f32 v[24:25], v[24:25], v[2:3]
	;;#ASMEND
	v_pk_add_f32 v[2:3], v[12:13], 1.0 op_sel_hi:[1,0]
	;;#ASMSTART
	v_pk_mul_f32 v[28:29], v[28:29], v[2:3]
	;;#ASMEND
	v_pk_add_f32 v[2:3], v[8:9], 1.0 op_sel_hi:[1,0]
	;; [unrolled: 4-line block ×3, first 2 shown]
	;;#ASMSTART
	v_pk_mul_f32 v[20:21], v[6:7], v[2:3]
	;;#ASMEND
.LBB777_9:
	s_or_b64 exec, exec, s[8:9]
	s_load_dword s7, s[4:5], 0x80
	s_mov_b64 s[8:9], -1
	s_and_b64 vcc, exec, s[14:15]
	s_cbranch_vccnz .LBB777_13
; %bb.10:
	s_andn2_b64 vcc, exec, s[8:9]
	s_cbranch_vccz .LBB777_16
.LBB777_11:
	s_cmp_lt_i32 s20, 1
	s_cbranch_scc0 .LBB777_25
.LBB777_12:
	s_endpgm
.LBB777_13:
	s_and_saveexec_b64 s[14:15], s[2:3]
	s_cbranch_execz .LBB777_15
; %bb.14:
	s_waitcnt lgkmcnt(0)
	s_mul_hi_i32 s9, s7, s6
	s_mul_i32 s8, s7, s6
	s_waitcnt vmcnt(0)
	v_cvt_f16_f32_e32 v2, v18
	v_cvt_f16_f32_e32 v3, v32
	;; [unrolled: 1-line block ×8, first 2 shown]
	s_lshl_b64 s[8:9], s[8:9], 1
	s_add_u32 s8, s28, s8
	s_addc_u32 s9, s29, s9
	s_and_b32 s9, s9, 0xffff
	s_mov_b32 s11, 0x20000
	v_pack_b32_f16 v5, v5, v6
	v_pack_b32_f16 v4, v4, v7
	;; [unrolled: 1-line block ×4, first 2 shown]
	v_lshlrev_b32_e32 v6, 5, v0
	buffer_store_dwordx4 v[2:5], v6, s[8:11], 0 offen
	v_cvt_f16_f32_e32 v7, v21
	v_cvt_f16_f32_e32 v2, v24
	;; [unrolled: 1-line block ×8, first 2 shown]
	v_pack_b32_f16 v5, v5, v7
	v_pack_b32_f16 v4, v4, v8
	;; [unrolled: 1-line block ×4, first 2 shown]
	;;#ASMSTART
	s_nop 0
	;;#ASMEND
	buffer_store_dwordx4 v[2:5], v6, s[8:11], 16 offen
	;;#ASMSTART
	s_nop 0
	;;#ASMEND
.LBB777_15:
	s_or_b64 exec, exec, s[14:15]
	s_cbranch_execnz .LBB777_11
.LBB777_16:
	s_load_dwordx4 s[24:27], s[4:5], 0x70
	s_waitcnt vmcnt(0)
	v_mov_b32_e32 v2, 0
	s_and_saveexec_b64 s[14:15], s[2:3]
	s_cbranch_execz .LBB777_18
; %bb.17:
	s_load_dwordx2 s[8:9], s[4:5], 0x10
	s_waitcnt lgkmcnt(0)
	s_mul_hi_i32 s35, s27, s6
	s_mul_i32 s34, s27, s6
	v_cvt_f16_f32_e32 v2, v18
	v_cvt_f16_f32_e32 v3, v32
	;; [unrolled: 1-line block ×8, first 2 shown]
	s_lshl_b64 s[34:35], s[34:35], 1
	s_add_u32 s8, s8, s34
	s_addc_u32 s9, s9, s35
	s_mov_b32 s11, 0x20000
	s_and_b32 s9, s9, 0xffff
	v_pack_b32_f16 v5, v5, v6
	v_pack_b32_f16 v4, v4, v7
	v_pack_b32_f16 v3, v3, v8
	v_pack_b32_f16 v2, v2, v9
	v_lshlrev_b32_e32 v6, 5, v0
	buffer_store_dwordx4 v[2:5], v6, s[8:11], 0 offen
	v_cvt_f16_f32_e32 v7, v21
	v_cvt_f16_f32_e32 v2, v24
	;; [unrolled: 1-line block ×8, first 2 shown]
	v_pack_b32_f16 v5, v5, v7
	v_pack_b32_f16 v4, v4, v8
	v_pack_b32_f16 v3, v3, v9
	v_pack_b32_f16 v2, v2, v10
	;;#ASMSTART
	s_nop 0
	;;#ASMEND
	buffer_store_dwordx4 v[2:5], v6, s[8:11], 16 offen
	;;#ASMSTART
	s_nop 0
	;;#ASMEND
	s_nop 0
	v_mov_b32_e32 v2, 0x2edbe6ff
.LBB777_18:
	s_or_b64 exec, exec, s[14:15]
	s_and_saveexec_b64 s[8:9], s[2:3]
	s_cbranch_execz .LBB777_20
; %bb.19:
	v_and_b32_e32 v3, 0x7fffffff, v18
	v_and_b32_e32 v4, 0x7fffffff, v19
	;;#ASMSTART
	v_max3_f32 v2, v2, v3, v4

	;;#ASMEND
	v_and_b32_e32 v3, 0x7fffffff, v32
	v_and_b32_e32 v4, 0x7fffffff, v33
	;;#ASMSTART
	v_max3_f32 v2, v2, v3, v4

	;;#ASMEND
	;; [unrolled: 6-line block ×8, first 2 shown]
.LBB777_20:
	s_or_b64 exec, exec, s[8:9]
	;;#ASMSTART
	v_max_f32 v3, v2, v2 quad_perm:[1,0,3,2] row_mask:0xf bank_mask:0xf bound_ctrl:1
	;;#ASMEND
	;;#ASMSTART
	v_max_f32 v2, v3, v3 quad_perm:[2,3,0,1] row_mask:0xf bank_mask:0xf bound_ctrl:1
	;;#ASMEND
	;;#ASMSTART
	v_max_f32 v3, v2, v2 row_half_mirror row_mask:0xf bank_mask:0xf bound_ctrl:1
	;;#ASMEND
	v_mul_f32_e32 v2, 0x3b124925, v3
	v_and_b32_e32 v3, 7, v0
	v_cmp_eq_u32_e32 vcc, 0, v3
	v_cmp_gt_i32_e64 s[8:9], s19, v1
	s_and_b64 s[10:11], vcc, s[8:9]
	s_and_saveexec_b64 s[8:9], s[10:11]
	s_cbranch_execz .LBB777_22
; %bb.21:
	s_load_dwordx2 s[10:11], s[4:5], 0x8
	s_waitcnt lgkmcnt(0)
	s_mul_hi_i32 s15, s25, s6
	s_mul_i32 s14, s25, s6
	v_lshrrev_b32_e32 v3, 3, v0
	s_lshl_b64 s[14:15], s[14:15], 2
	v_mad_i64_i32 v[4:5], s[26:27], s26, v3, 0
	s_add_u32 s10, s10, s14
	s_addc_u32 s11, s11, s15
	v_lshlrev_b64 v[4:5], 2, v[4:5]
	v_mov_b32_e32 v3, s11
	v_add_co_u32_e32 v4, vcc, s10, v4
	v_addc_co_u32_e32 v5, vcc, v3, v5, vcc
	global_store_dword v[4:5], v2, off
.LBB777_22:
	s_or_b64 exec, exec, s[8:9]
	;;#ASMSTART
	v_rcp_f32 v2, v2
	;;#ASMEND
	s_and_saveexec_b64 s[14:15], s[2:3]
	s_cbranch_execz .LBB777_24
; %bb.23:
	s_load_dwordx2 s[2:3], s[4:5], 0x0
	s_waitcnt lgkmcnt(0)
	s_mul_i32 s8, s24, s6
	s_mul_hi_i32 s9, s24, s6
	v_mov_b32_e32 v3, v2
	;;#ASMSTART
	v_pk_mul_f32 v[4:5], v[18:19], v[2:3]
	;;#ASMEND
	s_add_u32 s8, s2, s8
	s_addc_u32 s2, s3, s9
	s_add_i32 s3, s19, 3
	s_ashr_i32 s10, s3, 31
	v_mov_b32_e32 v10, 0xc3e00000
	v_mov_b32_e32 v11, 0x43e00000
	;;#ASMSTART
	v_med3_f32 v4, v4, v10, v11
v_med3_f32 v5, v5, v10, v11
v_cvt_pk_fp8_f32 v6, v4, v5
	;;#ASMEND
	s_and_b32 s9, s2, 0xffff
	s_lshr_b32 s2, s10, 30
	;;#ASMSTART
	v_pk_mul_f32 v[4:5], v[32:33], v[2:3]
	;;#ASMEND
	s_add_i32 s3, s3, s2
	;;#ASMSTART
	v_med3_f32 v4, v4, v10, v11
v_med3_f32 v5, v5, v10, v11
v_cvt_pk_fp8_f32 v7, v4, v5
	;;#ASMEND
	s_mov_b32 s2, 0x5040100
	v_perm_b32 v4, v7, v6, s2
	s_mov_b32 s2, 0x1060504
	v_perm_b32 v4, v4, v7, s2
	;;#ASMSTART
	v_pk_mul_f32 v[6:7], v[26:27], v[2:3]
	;;#ASMEND
	v_mov_b32_e32 v5, v6
	;;#ASMSTART
	v_med3_f32 v5, v5, v10, v11
v_med3_f32 v7, v7, v10, v11
v_cvt_pk_fp8_f32 v8, v5, v7
	;;#ASMEND
	;;#ASMSTART
	v_pk_mul_f32 v[6:7], v[30:31], v[2:3]
	;;#ASMEND
	v_mov_b32_e32 v5, v7
	;;#ASMSTART
	v_med3_f32 v6, v6, v10, v11
v_med3_f32 v5, v5, v10, v11
v_cvt_pk_fp8_f32 v7, v6, v5
	;;#ASMEND
	s_mov_b32 s2, 0x1000504
	v_perm_b32 v5, v8, v7, s2
	;;#ASMSTART
	v_pk_mul_f32 v[6:7], v[24:25], v[2:3]
	;;#ASMEND
	;;#ASMSTART
	v_med3_f32 v6, v6, v10, v11
v_med3_f32 v7, v7, v10, v11
v_cvt_pk_fp8_f32 v8, v6, v7
	;;#ASMEND
	;;#ASMSTART
	v_pk_mul_f32 v[6:7], v[28:29], v[2:3]
	;;#ASMEND
	;;#ASMSTART
	v_med3_f32 v6, v6, v10, v11
v_med3_f32 v7, v7, v10, v11
v_cvt_pk_fp8_f32 v9, v6, v7
	;;#ASMEND
	v_perm_b32 v6, v8, v9, s2
	;;#ASMSTART
	v_pk_mul_f32 v[8:9], v[22:23], v[2:3]
	;;#ASMEND
	v_mov_b32_e32 v7, v8
	;;#ASMSTART
	v_med3_f32 v7, v7, v10, v11
v_med3_f32 v9, v9, v10, v11
v_cvt_pk_fp8_f32 v8, v7, v9
	;;#ASMEND
	;;#ASMSTART
	v_pk_mul_f32 v[2:3], v[20:21], v[2:3]
	;;#ASMEND
	;;#ASMSTART
	v_med3_f32 v2, v2, v10, v11
v_med3_f32 v3, v3, v10, v11
v_cvt_pk_fp8_f32 v7, v2, v3
	;;#ASMEND
	s_and_b32 s10, s3, -4
	s_mov_b32 s11, 0x20000
	v_perm_b32 v7, v8, v7, s2
	buffer_store_dwordx4 v[4:7], v1, s[8:11], 0 offen
	;;#ASMSTART
	s_nop 0
	;;#ASMEND
.LBB777_24:
	s_or_b64 exec, exec, s[14:15]
	s_cmp_lt_i32 s20, 1
	s_cbranch_scc1 .LBB777_12
.LBB777_25:
	s_load_dword s2, s[4:5], 0x94
	s_waitcnt lgkmcnt(0)
	s_cmp_lg_u32 s2, 1
	s_cbranch_scc1 .LBB777_12
; %bb.26:
	s_lshl_b32 s2, s20, 1
	s_add_i32 s2, s2, 2
	v_cmp_gt_u32_e32 vcc, s20, v1
	s_and_b32 s14, s2, -4
	v_mov_b32_e32 v18, 0
	v_lshlrev_b32_e32 v1, 5, v0
	v_mov_b32_e32 v14, 0
	v_mov_b32_e32 v15, 0
	;; [unrolled: 1-line block ×8, first 2 shown]
	s_waitcnt vmcnt(1)
	v_mov_b32_e32 v6, 0
	v_mov_b32_e32 v7, 0
	;; [unrolled: 1-line block ×4, first 2 shown]
	s_waitcnt vmcnt(0)
	v_mov_b32_e32 v2, 0
	v_mov_b32_e32 v3, 0
	;; [unrolled: 1-line block ×4, first 2 shown]
	s_barrier
	s_and_saveexec_b64 s[2:3], vcc
	s_cbranch_execz .LBB777_28
; %bb.27:
	s_mul_hi_i32 s5, s22, s6
	s_mul_i32 s4, s22, s6
	s_and_b32 s13, s13, 0xffff
	s_lshl_b64 s[4:5], s[4:5], 1
	s_add_u32 s8, s30, s4
	s_mov_b32 s15, 0x20000
	s_addc_u32 s4, s31, s5
	s_and_b32 s9, s4, 0xffff
	s_mov_b32 s10, s14
	s_mov_b32 s11, s15
	buffer_load_dwordx4 v[14:17], v1, s[8:11], 0 offen
	buffer_load_dwordx4 v[10:13], v1, s[8:11], 16 offen
	;; [unrolled: 1-line block ×4, first 2 shown]
.LBB777_28:
	s_or_b64 exec, exec, s[2:3]
	v_mov_b32_e32 v19, 0
	v_mov_b32_e32 v32, 0
	;; [unrolled: 1-line block ×15, first 2 shown]
	s_and_saveexec_b64 s[2:3], vcc
	s_cbranch_execz .LBB777_30
; %bb.29:
	s_waitcnt vmcnt(3)
	v_cvt_f32_f16_sdwa v19, v14 dst_sel:DWORD dst_unused:UNUSED_PAD src0_sel:WORD_1
	v_cvt_f32_f16_e32 v18, v14
	v_cvt_f32_f16_sdwa v33, v15 dst_sel:DWORD dst_unused:UNUSED_PAD src0_sel:WORD_1
	v_cvt_f32_f16_e32 v32, v15
	;; [unrolled: 2-line block ×4, first 2 shown]
	s_waitcnt vmcnt(2)
	v_cvt_f32_f16_sdwa v27, v10 dst_sel:DWORD dst_unused:UNUSED_PAD src0_sel:WORD_1
	v_cvt_f32_f16_e32 v26, v10
	v_cvt_f32_f16_sdwa v25, v11 dst_sel:DWORD dst_unused:UNUSED_PAD src0_sel:WORD_1
	v_cvt_f32_f16_e32 v24, v11
	;; [unrolled: 2-line block ×4, first 2 shown]
.LBB777_30:
	s_or_b64 exec, exec, s[2:3]
	s_waitcnt vmcnt(2)
	v_mul_f32_e32 v10, v19, v19
	v_fmac_f32_e32 v10, v18, v18
	v_fmac_f32_e32 v10, v32, v32
	;; [unrolled: 1-line block ×15, first 2 shown]
	s_nop 1
	v_mov_b32_dpp v11, v10 quad_perm:[1,0,3,2] row_mask:0xf bank_mask:0xf
	v_add_f32_e32 v10, v10, v11
	s_nop 1
	v_mov_b32_dpp v11, v10 quad_perm:[2,3,0,1] row_mask:0xf bank_mask:0xf
	v_add_f32_e32 v10, v10, v11
	s_nop 1
	v_mov_b32_dpp v11, v10 row_half_mirror row_mask:0xf bank_mask:0xf
	v_add_f32_e32 v10, v10, v11
	s_nop 1
	v_mov_b32_dpp v11, v10 row_mirror row_mask:0xf bank_mask:0xf
	v_add_f32_e32 v10, v10, v11
	s_nop 1
	v_mov_b32_dpp v11, v10 row_bcast:15 row_mask:0xf bank_mask:0xf
	v_add_f32_e32 v10, v10, v11
	s_nop 1
	v_mov_b32_dpp v11, v10 row_bcast:31 row_mask:0xf bank_mask:0xf
	s_and_saveexec_b64 s[2:3], s[0:1]
	s_cbranch_execz .LBB777_32
; %bb.31:
	v_lshrrev_b32_e32 v0, 4, v0
	v_add_f32_e32 v10, v10, v11
	v_and_b32_e32 v0, 60, v0
	ds_write_b32 v0, v10
.LBB777_32:
	s_or_b64 exec, exec, s[2:3]
	s_waitcnt lgkmcnt(0)
	s_barrier
	ds_read_b32 v0, v34
	s_waitcnt lgkmcnt(0)
	s_nop 0
	v_mov_b32_dpp v10, v0 quad_perm:[1,0,3,2] row_mask:0xf bank_mask:0xf
	v_add_f32_e32 v0, v0, v10
	s_nop 1
	v_mov_b32_dpp v10, v0 quad_perm:[2,3,0,1] row_mask:0xf bank_mask:0xf
	s_and_saveexec_b64 s[0:1], vcc
	s_cbranch_execz .LBB777_12
; %bb.33:
	v_cvt_f32_u32_e32 v11, s20
	v_add_f32_e32 v0, v0, v10
	s_mov_b32 s15, 0x20000
	v_div_scale_f32 v10, s[0:1], v11, v11, v0
	v_rcp_f32_e32 v12, v10
	v_div_scale_f32 v13, vcc, v0, v11, v0
	s_mov_b32 s0, 0x800000
	v_fma_f32 v14, -v10, v12, 1.0
	v_fmac_f32_e32 v12, v14, v12
	v_mul_f32_e32 v14, v13, v12
	v_fma_f32 v15, -v10, v14, v13
	v_fmac_f32_e32 v14, v15, v12
	v_fma_f32 v10, -v10, v14, v13
	v_div_fmas_f32 v10, v10, v12, v14
	v_div_fixup_f32 v0, v10, v11, v0
	v_add_f32_e32 v0, s17, v0
	v_mul_f32_e32 v10, 0x4b800000, v0
	v_cmp_gt_f32_e32 vcc, s0, v0
	v_cndmask_b32_e32 v0, v0, v10, vcc
	v_rsq_f32_e32 v0, v0
	s_mul_hi_i32 s1, s7, s6
	s_mul_i32 s0, s7, s6
	s_lshl_b64 s[0:1], s[0:1], 1
	v_mul_f32_e32 v10, 0x45800000, v0
	v_cndmask_b32_e32 v10, v0, v10, vcc
	v_mov_b32_e32 v11, v10
	;;#ASMSTART
	v_pk_mul_f32 v[12:13], v[18:19], v[10:11]
	;;#ASMEND
	;;#ASMSTART
	v_pk_mul_f32 v[14:15], v[32:33], v[10:11]
	;;#ASMEND
	;; [unrolled: 3-line block ×4, first 2 shown]
	s_waitcnt vmcnt(1)
	v_cvt_f32_f16_sdwa v29, v6 dst_sel:DWORD dst_unused:UNUSED_PAD src0_sel:WORD_1
	v_cvt_f32_f16_e32 v28, v6
	v_cvt_f32_f16_sdwa v31, v7 dst_sel:DWORD dst_unused:UNUSED_PAD src0_sel:WORD_1
	v_cvt_f32_f16_e32 v30, v7
	;;#ASMSTART
	v_pk_mul_f32 v[26:27], v[26:27], v[10:11]
	;;#ASMEND
	;;#ASMSTART
	v_pk_mul_f32 v[24:25], v[24:25], v[10:11]
	;;#ASMEND
	;; [unrolled: 3-line block ×4, first 2 shown]
	v_cvt_f32_f16_sdwa v21, v8 dst_sel:DWORD dst_unused:UNUSED_PAD src0_sel:WORD_1
	v_cvt_f32_f16_e32 v20, v8
	v_pk_add_f32 v[10:11], v[28:29], 1.0 op_sel_hi:[1,0]
	;;#ASMSTART
	v_pk_mul_f32 v[10:11], v[12:13], v[10:11]
	;;#ASMEND
	v_pk_add_f32 v[12:13], v[30:31], 1.0 op_sel_hi:[1,0]
	v_cvt_f32_f16_sdwa v29, v9 dst_sel:DWORD dst_unused:UNUSED_PAD src0_sel:WORD_1
	v_cvt_f32_f16_e32 v28, v9
	;;#ASMSTART
	v_pk_mul_f32 v[8:9], v[14:15], v[12:13]
	;;#ASMEND
	v_pk_add_f32 v[12:13], v[20:21], 1.0 op_sel_hi:[1,0]
	;;#ASMSTART
	v_pk_mul_f32 v[12:13], v[16:17], v[12:13]
	;;#ASMEND
	s_waitcnt vmcnt(0)
	v_cvt_f32_f16_sdwa v17, v2 dst_sel:DWORD dst_unused:UNUSED_PAD src0_sel:WORD_1
	v_cvt_f32_f16_e32 v16, v2
	v_cvt_f32_f16_sdwa v21, v3 dst_sel:DWORD dst_unused:UNUSED_PAD src0_sel:WORD_1
	v_cvt_f32_f16_e32 v20, v3
	v_pk_add_f32 v[14:15], v[28:29], 1.0 op_sel_hi:[1,0]
	;;#ASMSTART
	v_pk_mul_f32 v[2:3], v[18:19], v[14:15]
	;;#ASMEND
	v_cvt_f32_f16_sdwa v19, v4 dst_sel:DWORD dst_unused:UNUSED_PAD src0_sel:WORD_1
	v_cvt_f32_f16_e32 v18, v4
	v_pk_add_f32 v[14:15], v[16:17], 1.0 op_sel_hi:[1,0]
	v_pk_add_f32 v[16:17], v[20:21], 1.0 op_sel_hi:[1,0]
	v_cvt_f32_f16_sdwa v21, v5 dst_sel:DWORD dst_unused:UNUSED_PAD src0_sel:WORD_1
	v_cvt_f32_f16_e32 v20, v5
	v_pk_add_f32 v[4:5], v[18:19], 1.0 op_sel_hi:[1,0]
	;;#ASMSTART
	v_pk_mul_f32 v[14:15], v[26:27], v[14:15]
	;;#ASMEND
	;;#ASMSTART
	v_pk_mul_f32 v[16:17], v[24:25], v[16:17]
	;;#ASMEND
	;; [unrolled: 3-line block ×3, first 2 shown]
	v_pk_add_f32 v[4:5], v[20:21], 1.0 op_sel_hi:[1,0]
	;;#ASMSTART
	v_pk_mul_f32 v[6:7], v[6:7], v[4:5]
	;;#ASMEND
	v_cvt_f16_f32_e32 v0, v10
	v_cvt_f16_f32_e32 v4, v11
	;; [unrolled: 1-line block ×8, first 2 shown]
	s_add_u32 s12, s28, s0
	s_addc_u32 s0, s29, s1
	s_and_b32 s13, s0, 0xffff
	v_pack_b32_f16 v2, v0, v4
	v_pack_b32_f16 v3, v5, v8
	;; [unrolled: 1-line block ×4, first 2 shown]
	buffer_store_dwordx4 v[2:5], v1, s[12:15], 0 offen
	v_cvt_f16_f32_e32 v0, v14
	v_cvt_f16_f32_e32 v2, v15
	;; [unrolled: 1-line block ×8, first 2 shown]
	v_pack_b32_f16 v2, v0, v2
	v_pack_b32_f16 v3, v3, v4
	;; [unrolled: 1-line block ×4, first 2 shown]
	;;#ASMSTART
	s_nop 0
	;;#ASMEND
	buffer_store_dwordx4 v[2:5], v1, s[12:15], 16 offen
	;;#ASMSTART
	s_nop 0
	;;#ASMEND
	s_endpgm
	.section	.rodata,"a",@progbits
	.p2align	6, 0x0
	.amdhsa_kernel _ZN5aiter35fused_qk_rmsnorm_group_quant_kernelIDF16_DB8_Li256ELi16ELi8ELb0ELb1ELb1ELb0ELb0ELb0EEEvPT0_PvPT_S6_S6_PKS5_S8_S8_S8_S8_ffiiiiiiiiiiiii
		.amdhsa_group_segment_fixed_size 32
		.amdhsa_private_segment_fixed_size 0
		.amdhsa_kernarg_size 400
		.amdhsa_user_sgpr_count 6
		.amdhsa_user_sgpr_private_segment_buffer 1
		.amdhsa_user_sgpr_dispatch_ptr 0
		.amdhsa_user_sgpr_queue_ptr 0
		.amdhsa_user_sgpr_kernarg_segment_ptr 1
		.amdhsa_user_sgpr_dispatch_id 0
		.amdhsa_user_sgpr_flat_scratch_init 0
		.amdhsa_user_sgpr_kernarg_preload_length 0
		.amdhsa_user_sgpr_kernarg_preload_offset 0
		.amdhsa_user_sgpr_private_segment_size 0
		.amdhsa_uses_dynamic_stack 0
		.amdhsa_system_sgpr_private_segment_wavefront_offset 0
		.amdhsa_system_sgpr_workgroup_id_x 1
		.amdhsa_system_sgpr_workgroup_id_y 1
		.amdhsa_system_sgpr_workgroup_id_z 0
		.amdhsa_system_sgpr_workgroup_info 0
		.amdhsa_system_vgpr_workitem_id 0
		.amdhsa_next_free_vgpr 35
		.amdhsa_next_free_sgpr 36
		.amdhsa_accum_offset 36
		.amdhsa_reserve_vcc 1
		.amdhsa_reserve_flat_scratch 0
		.amdhsa_float_round_mode_32 0
		.amdhsa_float_round_mode_16_64 0
		.amdhsa_float_denorm_mode_32 3
		.amdhsa_float_denorm_mode_16_64 3
		.amdhsa_dx10_clamp 1
		.amdhsa_ieee_mode 1
		.amdhsa_fp16_overflow 0
		.amdhsa_tg_split 0
		.amdhsa_exception_fp_ieee_invalid_op 0
		.amdhsa_exception_fp_denorm_src 0
		.amdhsa_exception_fp_ieee_div_zero 0
		.amdhsa_exception_fp_ieee_overflow 0
		.amdhsa_exception_fp_ieee_underflow 0
		.amdhsa_exception_fp_ieee_inexact 0
		.amdhsa_exception_int_div_zero 0
	.end_amdhsa_kernel
	.section	.text._ZN5aiter35fused_qk_rmsnorm_group_quant_kernelIDF16_DB8_Li256ELi16ELi8ELb0ELb1ELb1ELb0ELb0ELb0EEEvPT0_PvPT_S6_S6_PKS5_S8_S8_S8_S8_ffiiiiiiiiiiiii,"axG",@progbits,_ZN5aiter35fused_qk_rmsnorm_group_quant_kernelIDF16_DB8_Li256ELi16ELi8ELb0ELb1ELb1ELb0ELb0ELb0EEEvPT0_PvPT_S6_S6_PKS5_S8_S8_S8_S8_ffiiiiiiiiiiiii,comdat
.Lfunc_end777:
	.size	_ZN5aiter35fused_qk_rmsnorm_group_quant_kernelIDF16_DB8_Li256ELi16ELi8ELb0ELb1ELb1ELb0ELb0ELb0EEEvPT0_PvPT_S6_S6_PKS5_S8_S8_S8_S8_ffiiiiiiiiiiiii, .Lfunc_end777-_ZN5aiter35fused_qk_rmsnorm_group_quant_kernelIDF16_DB8_Li256ELi16ELi8ELb0ELb1ELb1ELb0ELb0ELb0EEEvPT0_PvPT_S6_S6_PKS5_S8_S8_S8_S8_ffiiiiiiiiiiiii
                                        ; -- End function
	.section	.AMDGPU.csdata,"",@progbits
; Kernel info:
; codeLenInByte = 3784
; NumSgprs: 40
; NumVgprs: 35
; NumAgprs: 0
; TotalNumVgprs: 35
; ScratchSize: 0
; MemoryBound: 0
; FloatMode: 240
; IeeeMode: 1
; LDSByteSize: 32 bytes/workgroup (compile time only)
; SGPRBlocks: 4
; VGPRBlocks: 4
; NumSGPRsForWavesPerEU: 40
; NumVGPRsForWavesPerEU: 35
; AccumOffset: 36
; Occupancy: 8
; WaveLimiterHint : 0
; COMPUTE_PGM_RSRC2:SCRATCH_EN: 0
; COMPUTE_PGM_RSRC2:USER_SGPR: 6
; COMPUTE_PGM_RSRC2:TRAP_HANDLER: 0
; COMPUTE_PGM_RSRC2:TGID_X_EN: 1
; COMPUTE_PGM_RSRC2:TGID_Y_EN: 1
; COMPUTE_PGM_RSRC2:TGID_Z_EN: 0
; COMPUTE_PGM_RSRC2:TIDIG_COMP_CNT: 0
; COMPUTE_PGM_RSRC3_GFX90A:ACCUM_OFFSET: 8
; COMPUTE_PGM_RSRC3_GFX90A:TG_SPLIT: 0
	.section	.text._ZN5aiter35fused_qk_rmsnorm_group_quant_kernelItDB8_Li256ELi16ELi8ELb0ELb1ELb1ELb0ELb0ELb0EEEvPT0_PvPT_S6_S6_PKS5_S8_S8_S8_S8_ffiiiiiiiiiiiii,"axG",@progbits,_ZN5aiter35fused_qk_rmsnorm_group_quant_kernelItDB8_Li256ELi16ELi8ELb0ELb1ELb1ELb0ELb0ELb0EEEvPT0_PvPT_S6_S6_PKS5_S8_S8_S8_S8_ffiiiiiiiiiiiii,comdat
	.protected	_ZN5aiter35fused_qk_rmsnorm_group_quant_kernelItDB8_Li256ELi16ELi8ELb0ELb1ELb1ELb0ELb0ELb0EEEvPT0_PvPT_S6_S6_PKS5_S8_S8_S8_S8_ffiiiiiiiiiiiii ; -- Begin function _ZN5aiter35fused_qk_rmsnorm_group_quant_kernelItDB8_Li256ELi16ELi8ELb0ELb1ELb1ELb0ELb0ELb0EEEvPT0_PvPT_S6_S6_PKS5_S8_S8_S8_S8_ffiiiiiiiiiiiii
	.globl	_ZN5aiter35fused_qk_rmsnorm_group_quant_kernelItDB8_Li256ELi16ELi8ELb0ELb1ELb1ELb0ELb0ELb0EEEvPT0_PvPT_S6_S6_PKS5_S8_S8_S8_S8_ffiiiiiiiiiiiii
	.p2align	8
	.type	_ZN5aiter35fused_qk_rmsnorm_group_quant_kernelItDB8_Li256ELi16ELi8ELb0ELb1ELb1ELb0ELb0ELb0EEEvPT0_PvPT_S6_S6_PKS5_S8_S8_S8_S8_ffiiiiiiiiiiiii,@function
_ZN5aiter35fused_qk_rmsnorm_group_quant_kernelItDB8_Li256ELi16ELi8ELb0ELb1ELb1ELb0ELb0ELb0EEEvPT0_PvPT_S6_S6_PKS5_S8_S8_S8_S8_ffiiiiiiiiiiiii: ; @_ZN5aiter35fused_qk_rmsnorm_group_quant_kernelItDB8_Li256ELi16ELi8ELb0ELb1ELb1ELb0ELb0ELb0EEEvPT0_PvPT_S6_S6_PKS5_S8_S8_S8_S8_ffiiiiiiiiiiiii
; %bb.0:
	s_load_dwordx4 s[16:19], s[4:5], 0x50
	s_waitcnt lgkmcnt(0)
	s_cmp_ge_i32 s6, s18
	s_cbranch_scc1 .LBB778_12
; %bb.1:
	s_load_dwordx2 s[12:13], s[4:5], 0x48
	s_load_dwordx2 s[30:31], s[4:5], 0x30
	s_load_dwordx4 s[20:23], s[4:5], 0x60
	s_cmp_lg_u32 s7, 0
	s_cselect_b64 s[14:15], -1, 0
	s_cmp_eq_u32 s7, 0
	s_cselect_b64 vcc, -1, 0
	s_and_b64 s[0:1], vcc, exec
	s_waitcnt lgkmcnt(0)
	s_cselect_b32 s7, s19, s20
	s_add_i32 s0, s7, 1
	s_lshr_b32 s1, s0, 31
	s_add_i32 s0, s0, s1
	s_lshl_b32 s0, s0, 1
	v_lshlrev_b32_e32 v1, 4, v0
	s_and_b32 s10, s0, -4
	v_cmp_gt_i32_e64 s[2:3], s7, v1
	v_mov_b32_e32 v18, 0
	v_mov_b32_e32 v6, 0
	;; [unrolled: 1-line block ×17, first 2 shown]
	s_and_saveexec_b64 s[0:1], s[2:3]
	s_cbranch_execz .LBB778_3
; %bb.2:
	s_load_dwordx2 s[8:9], s[4:5], 0x28
	s_load_dwordx2 s[26:27], s[4:5], 0x40
	s_and_b64 s[24:25], vcc, exec
	s_cselect_b32 s11, s21, s22
	v_lshlrev_b32_e32 v19, 5, v0
	s_waitcnt lgkmcnt(0)
	s_cselect_b32 s18, s9, s31
	s_cselect_b32 s21, s8, s30
	s_mul_hi_i32 s9, s11, s6
	s_mul_i32 s8, s11, s6
	s_lshl_b64 s[8:9], s[8:9], 1
	s_add_u32 s24, s21, s8
	s_addc_u32 s18, s18, s9
	s_and_b64 s[8:9], vcc, exec
	s_mov_b32 s11, 0x20000
	s_cselect_b32 s8, s26, s12
	s_cselect_b32 s9, s27, s13
	s_and_b32 s25, s18, 0xffff
	s_mov_b32 s26, s10
	s_mov_b32 s27, s11
	s_and_b32 s9, s9, 0xffff
	buffer_load_dwordx4 v[14:17], v19, s[24:27], 0 offen
	buffer_load_dwordx4 v[10:13], v19, s[24:27], 16 offen
	;; [unrolled: 1-line block ×4, first 2 shown]
.LBB778_3:
	s_or_b64 exec, exec, s[0:1]
	v_mov_b32_e32 v19, 0
	v_mov_b32_e32 v32, 0
	;; [unrolled: 1-line block ×15, first 2 shown]
	s_and_saveexec_b64 s[0:1], s[2:3]
	s_cbranch_execz .LBB778_5
; %bb.4:
	s_waitcnt vmcnt(3)
	v_cvt_f32_u32_sdwa v18, v14 dst_sel:DWORD dst_unused:UNUSED_PAD src0_sel:WORD_0
	v_cvt_f32_u32_sdwa v19, v14 dst_sel:DWORD dst_unused:UNUSED_PAD src0_sel:WORD_1
	v_cvt_f32_u32_sdwa v32, v15 dst_sel:DWORD dst_unused:UNUSED_PAD src0_sel:WORD_0
	v_cvt_f32_u32_sdwa v33, v15 dst_sel:DWORD dst_unused:UNUSED_PAD src0_sel:WORD_1
	v_cvt_f32_u32_sdwa v26, v16 dst_sel:DWORD dst_unused:UNUSED_PAD src0_sel:WORD_0
	v_cvt_f32_u32_sdwa v27, v16 dst_sel:DWORD dst_unused:UNUSED_PAD src0_sel:WORD_1
	v_cvt_f32_u32_sdwa v30, v17 dst_sel:DWORD dst_unused:UNUSED_PAD src0_sel:WORD_0
	v_cvt_f32_u32_sdwa v31, v17 dst_sel:DWORD dst_unused:UNUSED_PAD src0_sel:WORD_1
	s_waitcnt vmcnt(2)
	v_cvt_f32_u32_sdwa v24, v10 dst_sel:DWORD dst_unused:UNUSED_PAD src0_sel:WORD_0
	v_cvt_f32_u32_sdwa v25, v10 dst_sel:DWORD dst_unused:UNUSED_PAD src0_sel:WORD_1
	v_cvt_f32_u32_sdwa v28, v11 dst_sel:DWORD dst_unused:UNUSED_PAD src0_sel:WORD_0
	v_cvt_f32_u32_sdwa v29, v11 dst_sel:DWORD dst_unused:UNUSED_PAD src0_sel:WORD_1
	;; [unrolled: 2-line block ×4, first 2 shown]
.LBB778_5:
	s_or_b64 exec, exec, s[0:1]
	s_waitcnt vmcnt(2)
	v_mul_f32_e32 v10, v19, v19
	v_fmac_f32_e32 v10, v18, v18
	v_fmac_f32_e32 v10, v32, v32
	;; [unrolled: 1-line block ×15, first 2 shown]
	v_and_b32_e32 v12, 63, v0
	v_cmp_eq_u32_e64 s[0:1], 63, v12
	v_mov_b32_dpp v11, v10 quad_perm:[1,0,3,2] row_mask:0xf bank_mask:0xf
	v_add_f32_e32 v10, v10, v11
	s_nop 1
	v_mov_b32_dpp v11, v10 quad_perm:[2,3,0,1] row_mask:0xf bank_mask:0xf
	v_add_f32_e32 v10, v10, v11
	s_nop 1
	v_mov_b32_dpp v11, v10 row_half_mirror row_mask:0xf bank_mask:0xf
	v_add_f32_e32 v10, v10, v11
	s_nop 1
	v_mov_b32_dpp v11, v10 row_mirror row_mask:0xf bank_mask:0xf
	v_add_f32_e32 v10, v10, v11
	s_nop 1
	v_mov_b32_dpp v11, v10 row_bcast:15 row_mask:0xf bank_mask:0xf
	v_add_f32_e32 v10, v10, v11
	s_nop 1
	v_mov_b32_dpp v11, v10 row_bcast:31 row_mask:0xf bank_mask:0xf
	s_and_saveexec_b64 s[8:9], s[0:1]
	s_cbranch_execz .LBB778_7
; %bb.6:
	v_add_f32_e32 v10, v10, v11
	v_lshrrev_b32_e32 v11, 4, v0
	v_and_b32_e32 v11, 60, v11
	ds_write_b32 v11, v10 offset:16
.LBB778_7:
	s_or_b64 exec, exec, s[8:9]
	v_and_b32_e32 v10, 3, v0
	v_lshlrev_b32_e32 v34, 2, v10
	s_waitcnt lgkmcnt(0)
	s_barrier
	ds_read_b32 v10, v34 offset:16
	s_load_dwordx2 s[28:29], s[4:5], 0x18
	s_waitcnt lgkmcnt(0)
	v_mov_b32_dpp v11, v10 quad_perm:[1,0,3,2] row_mask:0xf bank_mask:0xf
	v_add_f32_e32 v10, v10, v11
	s_nop 1
	v_mov_b32_dpp v11, v10 quad_perm:[2,3,0,1] row_mask:0xf bank_mask:0xf
	s_and_saveexec_b64 s[8:9], s[2:3]
	s_cbranch_execz .LBB778_9
; %bb.8:
	v_cvt_f32_u32_e32 v12, s7
	v_add_f32_e32 v10, v10, v11
	v_mov_b32_e32 v14, s17
	v_mov_b32_e32 v15, s16
	v_div_scale_f32 v11, s[24:25], v12, v12, v10
	v_rcp_f32_e32 v13, v11
	v_cndmask_b32_e32 v14, v14, v15, vcc
	s_mov_b32 s7, 0x800000
	v_fma_f32 v15, -v11, v13, 1.0
	v_fmac_f32_e32 v13, v15, v13
	v_div_scale_f32 v15, vcc, v10, v12, v10
	v_mul_f32_e32 v16, v15, v13
	v_fma_f32 v17, -v11, v16, v15
	v_fmac_f32_e32 v16, v17, v13
	v_fma_f32 v11, -v11, v16, v15
	v_div_fmas_f32 v11, v11, v13, v16
	v_div_fixup_f32 v10, v11, v12, v10
	v_add_f32_e32 v10, v14, v10
	v_mul_f32_e32 v11, 0x4b800000, v10
	v_cmp_gt_f32_e32 vcc, s7, v10
	v_cndmask_b32_e32 v10, v10, v11, vcc
	v_rsq_f32_e32 v10, v10
	v_mul_f32_e32 v11, 0x45800000, v10
	v_cndmask_b32_e32 v10, v10, v11, vcc
	v_mov_b32_e32 v11, v10
	;;#ASMSTART
	v_pk_mul_f32 v[12:13], v[18:19], v[10:11]
	;;#ASMEND
	s_waitcnt vmcnt(1)
	v_cvt_f32_u32_sdwa v19, v6 dst_sel:DWORD dst_unused:UNUSED_PAD src0_sel:WORD_1
	v_cvt_f32_u32_sdwa v18, v6 dst_sel:DWORD dst_unused:UNUSED_PAD src0_sel:WORD_0
	;;#ASMSTART
	v_pk_mul_f32 v[14:15], v[32:33], v[10:11]
	;;#ASMEND
	;;#ASMSTART
	v_pk_mul_f32 v[16:17], v[26:27], v[10:11]
	;;#ASMEND
	v_cvt_f32_u32_sdwa v27, v7 dst_sel:DWORD dst_unused:UNUSED_PAD src0_sel:WORD_1
	v_cvt_f32_u32_sdwa v26, v7 dst_sel:DWORD dst_unused:UNUSED_PAD src0_sel:WORD_0
	;;#ASMSTART
	v_pk_mul_f32 v[30:31], v[30:31], v[10:11]
	;;#ASMEND
	;;#ASMSTART
	v_pk_mul_f32 v[24:25], v[24:25], v[10:11]
	;;#ASMEND
	;; [unrolled: 3-line block ×5, first 2 shown]
	v_pk_add_f32 v[10:11], v[18:19], 1.0 op_sel_hi:[1,0]
	;;#ASMSTART
	v_pk_mul_f32 v[18:19], v[12:13], v[10:11]
	;;#ASMEND
	v_cvt_f32_u32_sdwa v13, v8 dst_sel:DWORD dst_unused:UNUSED_PAD src0_sel:WORD_1
	v_cvt_f32_u32_sdwa v12, v8 dst_sel:DWORD dst_unused:UNUSED_PAD src0_sel:WORD_0
	v_cvt_f32_u32_sdwa v21, v9 dst_sel:DWORD dst_unused:UNUSED_PAD src0_sel:WORD_1
	v_cvt_f32_u32_sdwa v20, v9 dst_sel:DWORD dst_unused:UNUSED_PAD src0_sel:WORD_0
	v_pk_add_f32 v[10:11], v[26:27], 1.0 op_sel_hi:[1,0]
	;;#ASMSTART
	v_pk_mul_f32 v[32:33], v[14:15], v[10:11]
	;;#ASMEND
	s_waitcnt vmcnt(0)
	v_cvt_f32_u32_sdwa v11, v2 dst_sel:DWORD dst_unused:UNUSED_PAD src0_sel:WORD_1
	v_cvt_f32_u32_sdwa v10, v2 dst_sel:DWORD dst_unused:UNUSED_PAD src0_sel:WORD_0
	v_pk_add_f32 v[8:9], v[12:13], 1.0 op_sel_hi:[1,0]
	;;#ASMSTART
	v_pk_mul_f32 v[26:27], v[16:17], v[8:9]
	;;#ASMEND
	v_pk_add_f32 v[8:9], v[20:21], 1.0 op_sel_hi:[1,0]
	v_cvt_f32_u32_sdwa v13, v3 dst_sel:DWORD dst_unused:UNUSED_PAD src0_sel:WORD_1
	v_cvt_f32_u32_sdwa v12, v3 dst_sel:DWORD dst_unused:UNUSED_PAD src0_sel:WORD_0
	;;#ASMSTART
	v_pk_mul_f32 v[30:31], v[30:31], v[8:9]
	;;#ASMEND
	v_cvt_f32_u32_sdwa v9, v4 dst_sel:DWORD dst_unused:UNUSED_PAD src0_sel:WORD_1
	v_cvt_f32_u32_sdwa v8, v4 dst_sel:DWORD dst_unused:UNUSED_PAD src0_sel:WORD_0
	v_pk_add_f32 v[2:3], v[10:11], 1.0 op_sel_hi:[1,0]
	v_cvt_f32_u32_sdwa v11, v5 dst_sel:DWORD dst_unused:UNUSED_PAD src0_sel:WORD_1
	v_cvt_f32_u32_sdwa v10, v5 dst_sel:DWORD dst_unused:UNUSED_PAD src0_sel:WORD_0
	;;#ASMSTART
	v_pk_mul_f32 v[24:25], v[24:25], v[2:3]
	;;#ASMEND
	v_pk_add_f32 v[2:3], v[12:13], 1.0 op_sel_hi:[1,0]
	;;#ASMSTART
	v_pk_mul_f32 v[28:29], v[28:29], v[2:3]
	;;#ASMEND
	v_pk_add_f32 v[2:3], v[8:9], 1.0 op_sel_hi:[1,0]
	;; [unrolled: 4-line block ×3, first 2 shown]
	;;#ASMSTART
	v_pk_mul_f32 v[20:21], v[6:7], v[2:3]
	;;#ASMEND
.LBB778_9:
	s_or_b64 exec, exec, s[8:9]
	s_load_dword s7, s[4:5], 0x80
	s_mov_b64 s[8:9], -1
	s_and_b64 vcc, exec, s[14:15]
	s_cbranch_vccnz .LBB778_13
; %bb.10:
	s_andn2_b64 vcc, exec, s[8:9]
	s_cbranch_vccz .LBB778_16
.LBB778_11:
	s_cmp_lt_i32 s20, 1
	s_cbranch_scc0 .LBB778_25
.LBB778_12:
	s_endpgm
.LBB778_13:
	s_and_saveexec_b64 s[14:15], s[2:3]
	s_cbranch_execz .LBB778_15
; %bb.14:
	s_waitcnt lgkmcnt(0)
	s_mul_hi_i32 s9, s7, s6
	s_mul_i32 s8, s7, s6
	s_lshl_b64 s[8:9], s[8:9], 1
	s_add_u32 s8, s28, s8
	s_addc_u32 s9, s29, s9
	s_mov_b32 s16, 0x7060302
	s_and_b32 s9, s9, 0xffff
	s_mov_b32 s11, 0x20000
	s_waitcnt vmcnt(0)
	v_perm_b32 v5, v31, v30, s16
	v_perm_b32 v4, v27, v26, s16
	;; [unrolled: 1-line block ×4, first 2 shown]
	v_lshlrev_b32_e32 v6, 5, v0
	buffer_store_dwordx4 v[2:5], v6, s[8:11], 0 offen
	;;#ASMSTART
	s_nop 0
	;;#ASMEND
	s_nop 0
	v_perm_b32 v5, v21, v20, s16
	v_perm_b32 v4, v23, v22, s16
	v_perm_b32 v3, v29, v28, s16
	v_perm_b32 v2, v25, v24, s16
	buffer_store_dwordx4 v[2:5], v6, s[8:11], 16 offen
	;;#ASMSTART
	s_nop 0
	;;#ASMEND
.LBB778_15:
	s_or_b64 exec, exec, s[14:15]
	s_cbranch_execnz .LBB778_11
.LBB778_16:
	s_load_dwordx4 s[24:27], s[4:5], 0x70
	s_waitcnt vmcnt(0)
	v_mov_b32_e32 v2, 0
	s_and_saveexec_b64 s[14:15], s[2:3]
	s_cbranch_execz .LBB778_18
; %bb.17:
	s_load_dwordx2 s[8:9], s[4:5], 0x10
	s_waitcnt lgkmcnt(0)
	s_mul_hi_i32 s35, s27, s6
	s_mul_i32 s34, s27, s6
	s_lshl_b64 s[34:35], s[34:35], 1
	s_mov_b32 s16, 0x7060302
	s_add_u32 s8, s8, s34
	s_addc_u32 s9, s9, s35
	s_mov_b32 s11, 0x20000
	s_and_b32 s9, s9, 0xffff
	v_perm_b32 v5, v31, v30, s16
	v_perm_b32 v4, v27, v26, s16
	;; [unrolled: 1-line block ×4, first 2 shown]
	v_lshlrev_b32_e32 v6, 5, v0
	buffer_store_dwordx4 v[2:5], v6, s[8:11], 0 offen
	;;#ASMSTART
	s_nop 0
	;;#ASMEND
	s_nop 0
	v_perm_b32 v5, v21, v20, s16
	v_perm_b32 v4, v23, v22, s16
	v_perm_b32 v3, v29, v28, s16
	v_perm_b32 v2, v25, v24, s16
	buffer_store_dwordx4 v[2:5], v6, s[8:11], 16 offen
	;;#ASMSTART
	s_nop 0
	;;#ASMEND
	s_nop 0
	v_mov_b32_e32 v2, 0x2edbe6ff
.LBB778_18:
	s_or_b64 exec, exec, s[14:15]
	s_and_saveexec_b64 s[8:9], s[2:3]
	s_cbranch_execz .LBB778_20
; %bb.19:
	v_and_b32_e32 v3, 0x7fffffff, v18
	v_and_b32_e32 v4, 0x7fffffff, v19
	;;#ASMSTART
	v_max3_f32 v2, v2, v3, v4

	;;#ASMEND
	v_and_b32_e32 v3, 0x7fffffff, v32
	v_and_b32_e32 v4, 0x7fffffff, v33
	;;#ASMSTART
	v_max3_f32 v2, v2, v3, v4

	;;#ASMEND
	;; [unrolled: 6-line block ×8, first 2 shown]
.LBB778_20:
	s_or_b64 exec, exec, s[8:9]
	;;#ASMSTART
	v_max_f32 v3, v2, v2 quad_perm:[1,0,3,2] row_mask:0xf bank_mask:0xf bound_ctrl:1
	;;#ASMEND
	;;#ASMSTART
	v_max_f32 v2, v3, v3 quad_perm:[2,3,0,1] row_mask:0xf bank_mask:0xf bound_ctrl:1
	;;#ASMEND
	;;#ASMSTART
	v_max_f32 v3, v2, v2 row_half_mirror row_mask:0xf bank_mask:0xf bound_ctrl:1
	;;#ASMEND
	v_mul_f32_e32 v2, 0x3b124925, v3
	v_and_b32_e32 v3, 7, v0
	v_cmp_eq_u32_e32 vcc, 0, v3
	v_cmp_gt_i32_e64 s[8:9], s19, v1
	s_and_b64 s[10:11], vcc, s[8:9]
	s_and_saveexec_b64 s[8:9], s[10:11]
	s_cbranch_execz .LBB778_22
; %bb.21:
	s_load_dwordx2 s[10:11], s[4:5], 0x8
	s_waitcnt lgkmcnt(0)
	s_mul_hi_i32 s15, s25, s6
	s_mul_i32 s14, s25, s6
	v_lshrrev_b32_e32 v3, 3, v0
	s_lshl_b64 s[14:15], s[14:15], 2
	v_mad_i64_i32 v[4:5], s[26:27], s26, v3, 0
	s_add_u32 s10, s10, s14
	s_addc_u32 s11, s11, s15
	v_lshlrev_b64 v[4:5], 2, v[4:5]
	v_mov_b32_e32 v3, s11
	v_add_co_u32_e32 v4, vcc, s10, v4
	v_addc_co_u32_e32 v5, vcc, v3, v5, vcc
	global_store_dword v[4:5], v2, off
.LBB778_22:
	s_or_b64 exec, exec, s[8:9]
	;;#ASMSTART
	v_rcp_f32 v2, v2
	;;#ASMEND
	s_and_saveexec_b64 s[14:15], s[2:3]
	s_cbranch_execz .LBB778_24
; %bb.23:
	s_load_dwordx2 s[2:3], s[4:5], 0x0
	s_waitcnt lgkmcnt(0)
	s_mul_i32 s8, s24, s6
	s_mul_hi_i32 s9, s24, s6
	v_mov_b32_e32 v3, v2
	;;#ASMSTART
	v_pk_mul_f32 v[4:5], v[18:19], v[2:3]
	;;#ASMEND
	s_add_u32 s8, s2, s8
	s_addc_u32 s2, s3, s9
	s_add_i32 s3, s19, 3
	s_ashr_i32 s10, s3, 31
	v_mov_b32_e32 v10, 0xc3e00000
	v_mov_b32_e32 v11, 0x43e00000
	;;#ASMSTART
	v_med3_f32 v4, v4, v10, v11
v_med3_f32 v5, v5, v10, v11
v_cvt_pk_fp8_f32 v6, v4, v5
	;;#ASMEND
	s_and_b32 s9, s2, 0xffff
	s_lshr_b32 s2, s10, 30
	;;#ASMSTART
	v_pk_mul_f32 v[4:5], v[32:33], v[2:3]
	;;#ASMEND
	s_add_i32 s3, s3, s2
	;;#ASMSTART
	v_med3_f32 v4, v4, v10, v11
v_med3_f32 v5, v5, v10, v11
v_cvt_pk_fp8_f32 v7, v4, v5
	;;#ASMEND
	s_mov_b32 s2, 0x5040100
	v_perm_b32 v4, v7, v6, s2
	s_mov_b32 s2, 0x1060504
	v_perm_b32 v4, v4, v7, s2
	;;#ASMSTART
	v_pk_mul_f32 v[6:7], v[26:27], v[2:3]
	;;#ASMEND
	v_mov_b32_e32 v5, v6
	;;#ASMSTART
	v_med3_f32 v5, v5, v10, v11
v_med3_f32 v7, v7, v10, v11
v_cvt_pk_fp8_f32 v8, v5, v7
	;;#ASMEND
	;;#ASMSTART
	v_pk_mul_f32 v[6:7], v[30:31], v[2:3]
	;;#ASMEND
	v_mov_b32_e32 v5, v7
	;;#ASMSTART
	v_med3_f32 v6, v6, v10, v11
v_med3_f32 v5, v5, v10, v11
v_cvt_pk_fp8_f32 v7, v6, v5
	;;#ASMEND
	s_mov_b32 s2, 0x1000504
	v_perm_b32 v5, v8, v7, s2
	;;#ASMSTART
	v_pk_mul_f32 v[6:7], v[24:25], v[2:3]
	;;#ASMEND
	;;#ASMSTART
	v_med3_f32 v6, v6, v10, v11
v_med3_f32 v7, v7, v10, v11
v_cvt_pk_fp8_f32 v8, v6, v7
	;;#ASMEND
	;;#ASMSTART
	v_pk_mul_f32 v[6:7], v[28:29], v[2:3]
	;;#ASMEND
	;;#ASMSTART
	v_med3_f32 v6, v6, v10, v11
v_med3_f32 v7, v7, v10, v11
v_cvt_pk_fp8_f32 v9, v6, v7
	;;#ASMEND
	v_perm_b32 v6, v8, v9, s2
	;;#ASMSTART
	v_pk_mul_f32 v[8:9], v[22:23], v[2:3]
	;;#ASMEND
	v_mov_b32_e32 v7, v8
	;;#ASMSTART
	v_med3_f32 v7, v7, v10, v11
v_med3_f32 v9, v9, v10, v11
v_cvt_pk_fp8_f32 v8, v7, v9
	;;#ASMEND
	;;#ASMSTART
	v_pk_mul_f32 v[2:3], v[20:21], v[2:3]
	;;#ASMEND
	;;#ASMSTART
	v_med3_f32 v2, v2, v10, v11
v_med3_f32 v3, v3, v10, v11
v_cvt_pk_fp8_f32 v7, v2, v3
	;;#ASMEND
	s_and_b32 s10, s3, -4
	s_mov_b32 s11, 0x20000
	v_perm_b32 v7, v8, v7, s2
	buffer_store_dwordx4 v[4:7], v1, s[8:11], 0 offen
	;;#ASMSTART
	s_nop 0
	;;#ASMEND
.LBB778_24:
	s_or_b64 exec, exec, s[14:15]
	s_cmp_lt_i32 s20, 1
	s_cbranch_scc1 .LBB778_12
.LBB778_25:
	s_load_dword s2, s[4:5], 0x94
	s_waitcnt lgkmcnt(0)
	s_cmp_lg_u32 s2, 1
	s_cbranch_scc1 .LBB778_12
; %bb.26:
	s_lshl_b32 s2, s20, 1
	s_add_i32 s2, s2, 2
	v_cmp_gt_u32_e32 vcc, s20, v1
	s_and_b32 s14, s2, -4
	v_mov_b32_e32 v18, 0
	v_lshlrev_b32_e32 v1, 5, v0
	v_mov_b32_e32 v14, 0
	v_mov_b32_e32 v15, 0
	;; [unrolled: 1-line block ×8, first 2 shown]
	s_waitcnt vmcnt(1)
	v_mov_b32_e32 v6, 0
	v_mov_b32_e32 v7, 0
	;; [unrolled: 1-line block ×4, first 2 shown]
	s_waitcnt vmcnt(0)
	v_mov_b32_e32 v2, 0
	v_mov_b32_e32 v3, 0
	;; [unrolled: 1-line block ×4, first 2 shown]
	s_barrier
	s_and_saveexec_b64 s[2:3], vcc
	s_cbranch_execz .LBB778_28
; %bb.27:
	s_mul_hi_i32 s5, s22, s6
	s_mul_i32 s4, s22, s6
	s_and_b32 s13, s13, 0xffff
	s_lshl_b64 s[4:5], s[4:5], 1
	s_add_u32 s8, s30, s4
	s_mov_b32 s15, 0x20000
	s_addc_u32 s4, s31, s5
	s_and_b32 s9, s4, 0xffff
	s_mov_b32 s10, s14
	s_mov_b32 s11, s15
	buffer_load_dwordx4 v[14:17], v1, s[8:11], 0 offen
	buffer_load_dwordx4 v[10:13], v1, s[8:11], 16 offen
	;; [unrolled: 1-line block ×4, first 2 shown]
.LBB778_28:
	s_or_b64 exec, exec, s[2:3]
	v_mov_b32_e32 v19, 0
	v_mov_b32_e32 v32, 0
	;; [unrolled: 1-line block ×15, first 2 shown]
	s_and_saveexec_b64 s[2:3], vcc
	s_cbranch_execz .LBB778_30
; %bb.29:
	s_waitcnt vmcnt(3)
	v_cvt_f32_u32_sdwa v18, v14 dst_sel:DWORD dst_unused:UNUSED_PAD src0_sel:WORD_0
	v_cvt_f32_u32_sdwa v19, v14 dst_sel:DWORD dst_unused:UNUSED_PAD src0_sel:WORD_1
	v_cvt_f32_u32_sdwa v32, v15 dst_sel:DWORD dst_unused:UNUSED_PAD src0_sel:WORD_0
	v_cvt_f32_u32_sdwa v33, v15 dst_sel:DWORD dst_unused:UNUSED_PAD src0_sel:WORD_1
	v_cvt_f32_u32_sdwa v30, v16 dst_sel:DWORD dst_unused:UNUSED_PAD src0_sel:WORD_0
	v_cvt_f32_u32_sdwa v31, v16 dst_sel:DWORD dst_unused:UNUSED_PAD src0_sel:WORD_1
	v_cvt_f32_u32_sdwa v28, v17 dst_sel:DWORD dst_unused:UNUSED_PAD src0_sel:WORD_0
	v_cvt_f32_u32_sdwa v29, v17 dst_sel:DWORD dst_unused:UNUSED_PAD src0_sel:WORD_1
	s_waitcnt vmcnt(2)
	v_cvt_f32_u32_sdwa v26, v10 dst_sel:DWORD dst_unused:UNUSED_PAD src0_sel:WORD_0
	v_cvt_f32_u32_sdwa v27, v10 dst_sel:DWORD dst_unused:UNUSED_PAD src0_sel:WORD_1
	v_cvt_f32_u32_sdwa v24, v11 dst_sel:DWORD dst_unused:UNUSED_PAD src0_sel:WORD_0
	v_cvt_f32_u32_sdwa v25, v11 dst_sel:DWORD dst_unused:UNUSED_PAD src0_sel:WORD_1
	;; [unrolled: 2-line block ×4, first 2 shown]
.LBB778_30:
	s_or_b64 exec, exec, s[2:3]
	s_waitcnt vmcnt(2)
	v_mul_f32_e32 v10, v19, v19
	v_fmac_f32_e32 v10, v18, v18
	v_fmac_f32_e32 v10, v32, v32
	;; [unrolled: 1-line block ×15, first 2 shown]
	s_nop 1
	v_mov_b32_dpp v11, v10 quad_perm:[1,0,3,2] row_mask:0xf bank_mask:0xf
	v_add_f32_e32 v10, v10, v11
	s_nop 1
	v_mov_b32_dpp v11, v10 quad_perm:[2,3,0,1] row_mask:0xf bank_mask:0xf
	v_add_f32_e32 v10, v10, v11
	s_nop 1
	v_mov_b32_dpp v11, v10 row_half_mirror row_mask:0xf bank_mask:0xf
	v_add_f32_e32 v10, v10, v11
	s_nop 1
	v_mov_b32_dpp v11, v10 row_mirror row_mask:0xf bank_mask:0xf
	v_add_f32_e32 v10, v10, v11
	s_nop 1
	v_mov_b32_dpp v11, v10 row_bcast:15 row_mask:0xf bank_mask:0xf
	v_add_f32_e32 v10, v10, v11
	s_nop 1
	v_mov_b32_dpp v11, v10 row_bcast:31 row_mask:0xf bank_mask:0xf
	s_and_saveexec_b64 s[2:3], s[0:1]
	s_cbranch_execz .LBB778_32
; %bb.31:
	v_lshrrev_b32_e32 v0, 4, v0
	v_add_f32_e32 v10, v10, v11
	v_and_b32_e32 v0, 60, v0
	ds_write_b32 v0, v10
.LBB778_32:
	s_or_b64 exec, exec, s[2:3]
	s_waitcnt lgkmcnt(0)
	s_barrier
	ds_read_b32 v0, v34
	s_waitcnt lgkmcnt(0)
	s_nop 0
	v_mov_b32_dpp v10, v0 quad_perm:[1,0,3,2] row_mask:0xf bank_mask:0xf
	v_add_f32_e32 v0, v0, v10
	s_nop 1
	v_mov_b32_dpp v10, v0 quad_perm:[2,3,0,1] row_mask:0xf bank_mask:0xf
	s_and_saveexec_b64 s[0:1], vcc
	s_cbranch_execz .LBB778_12
; %bb.33:
	v_cvt_f32_u32_e32 v11, s20
	v_add_f32_e32 v0, v0, v10
	s_mov_b32 s15, 0x20000
	v_div_scale_f32 v10, s[0:1], v11, v11, v0
	v_rcp_f32_e32 v12, v10
	v_div_scale_f32 v13, vcc, v0, v11, v0
	s_mov_b32 s0, 0x800000
	v_fma_f32 v14, -v10, v12, 1.0
	v_fmac_f32_e32 v12, v14, v12
	v_mul_f32_e32 v14, v13, v12
	v_fma_f32 v15, -v10, v14, v13
	v_fmac_f32_e32 v14, v15, v12
	v_fma_f32 v10, -v10, v14, v13
	v_div_fmas_f32 v10, v10, v12, v14
	v_div_fixup_f32 v0, v10, v11, v0
	v_add_f32_e32 v0, s17, v0
	v_mul_f32_e32 v10, 0x4b800000, v0
	v_cmp_gt_f32_e32 vcc, s0, v0
	v_cndmask_b32_e32 v0, v0, v10, vcc
	v_rsq_f32_e32 v0, v0
	s_mul_hi_i32 s1, s7, s6
	s_mul_i32 s0, s7, s6
	s_lshl_b64 s[0:1], s[0:1], 1
	v_mul_f32_e32 v10, 0x45800000, v0
	v_cndmask_b32_e32 v10, v0, v10, vcc
	v_mov_b32_e32 v11, v10
	;;#ASMSTART
	v_pk_mul_f32 v[12:13], v[18:19], v[10:11]
	;;#ASMEND
	;;#ASMSTART
	v_pk_mul_f32 v[14:15], v[32:33], v[10:11]
	;;#ASMEND
	;;#ASMSTART
	v_pk_mul_f32 v[16:17], v[30:31], v[10:11]
	;;#ASMEND
	;;#ASMSTART
	v_pk_mul_f32 v[18:19], v[28:29], v[10:11]
	;;#ASMEND
	s_waitcnt vmcnt(1)
	v_cvt_f32_u32_sdwa v29, v6 dst_sel:DWORD dst_unused:UNUSED_PAD src0_sel:WORD_1
	v_cvt_f32_u32_sdwa v28, v6 dst_sel:DWORD dst_unused:UNUSED_PAD src0_sel:WORD_0
	v_cvt_f32_u32_sdwa v31, v7 dst_sel:DWORD dst_unused:UNUSED_PAD src0_sel:WORD_1
	v_cvt_f32_u32_sdwa v30, v7 dst_sel:DWORD dst_unused:UNUSED_PAD src0_sel:WORD_0
	;;#ASMSTART
	v_pk_mul_f32 v[26:27], v[26:27], v[10:11]
	;;#ASMEND
	;;#ASMSTART
	v_pk_mul_f32 v[24:25], v[24:25], v[10:11]
	;;#ASMEND
	;; [unrolled: 3-line block ×4, first 2 shown]
	v_cvt_f32_u32_sdwa v21, v8 dst_sel:DWORD dst_unused:UNUSED_PAD src0_sel:WORD_1
	v_cvt_f32_u32_sdwa v20, v8 dst_sel:DWORD dst_unused:UNUSED_PAD src0_sel:WORD_0
	v_pk_add_f32 v[10:11], v[28:29], 1.0 op_sel_hi:[1,0]
	;;#ASMSTART
	v_pk_mul_f32 v[10:11], v[12:13], v[10:11]
	;;#ASMEND
	v_pk_add_f32 v[12:13], v[30:31], 1.0 op_sel_hi:[1,0]
	v_cvt_f32_u32_sdwa v29, v9 dst_sel:DWORD dst_unused:UNUSED_PAD src0_sel:WORD_1
	v_cvt_f32_u32_sdwa v28, v9 dst_sel:DWORD dst_unused:UNUSED_PAD src0_sel:WORD_0
	;;#ASMSTART
	v_pk_mul_f32 v[8:9], v[14:15], v[12:13]
	;;#ASMEND
	v_pk_add_f32 v[12:13], v[20:21], 1.0 op_sel_hi:[1,0]
	;;#ASMSTART
	v_pk_mul_f32 v[12:13], v[16:17], v[12:13]
	;;#ASMEND
	s_waitcnt vmcnt(0)
	v_cvt_f32_u32_sdwa v17, v2 dst_sel:DWORD dst_unused:UNUSED_PAD src0_sel:WORD_1
	v_cvt_f32_u32_sdwa v16, v2 dst_sel:DWORD dst_unused:UNUSED_PAD src0_sel:WORD_0
	v_cvt_f32_u32_sdwa v21, v3 dst_sel:DWORD dst_unused:UNUSED_PAD src0_sel:WORD_1
	v_cvt_f32_u32_sdwa v20, v3 dst_sel:DWORD dst_unused:UNUSED_PAD src0_sel:WORD_0
	v_pk_add_f32 v[14:15], v[28:29], 1.0 op_sel_hi:[1,0]
	;;#ASMSTART
	v_pk_mul_f32 v[14:15], v[18:19], v[14:15]
	;;#ASMEND
	v_pk_add_f32 v[2:3], v[16:17], 1.0 op_sel_hi:[1,0]
	v_cvt_f32_u32_sdwa v19, v4 dst_sel:DWORD dst_unused:UNUSED_PAD src0_sel:WORD_1
	v_cvt_f32_u32_sdwa v18, v4 dst_sel:DWORD dst_unused:UNUSED_PAD src0_sel:WORD_0
	;;#ASMSTART
	v_pk_mul_f32 v[16:17], v[26:27], v[2:3]
	;;#ASMEND
	v_pk_add_f32 v[2:3], v[20:21], 1.0 op_sel_hi:[1,0]
	v_cvt_f32_u32_sdwa v21, v5 dst_sel:DWORD dst_unused:UNUSED_PAD src0_sel:WORD_1
	v_cvt_f32_u32_sdwa v20, v5 dst_sel:DWORD dst_unused:UNUSED_PAD src0_sel:WORD_0
	s_add_u32 s12, s28, s0
	;;#ASMSTART
	v_pk_mul_f32 v[24:25], v[24:25], v[2:3]
	;;#ASMEND
	v_pk_add_f32 v[2:3], v[18:19], 1.0 op_sel_hi:[1,0]
	s_addc_u32 s0, s29, s1
	;;#ASMSTART
	v_pk_mul_f32 v[18:19], v[22:23], v[2:3]
	;;#ASMEND
	v_pk_add_f32 v[2:3], v[20:21], 1.0 op_sel_hi:[1,0]
	s_and_b32 s13, s0, 0xffff
	s_mov_b32 s0, 0x7060302
	;;#ASMSTART
	v_pk_mul_f32 v[6:7], v[6:7], v[2:3]
	;;#ASMEND
	v_perm_b32 v2, v11, v10, s0
	v_perm_b32 v3, v9, v8, s0
	;; [unrolled: 1-line block ×4, first 2 shown]
	buffer_store_dwordx4 v[2:5], v1, s[12:15], 0 offen
	;;#ASMSTART
	s_nop 0
	;;#ASMEND
	s_nop 0
	v_perm_b32 v2, v17, v16, s0
	v_perm_b32 v3, v25, v24, s0
	;; [unrolled: 1-line block ×4, first 2 shown]
	buffer_store_dwordx4 v[2:5], v1, s[12:15], 16 offen
	;;#ASMSTART
	s_nop 0
	;;#ASMEND
	s_endpgm
	.section	.rodata,"a",@progbits
	.p2align	6, 0x0
	.amdhsa_kernel _ZN5aiter35fused_qk_rmsnorm_group_quant_kernelItDB8_Li256ELi16ELi8ELb0ELb1ELb1ELb0ELb0ELb0EEEvPT0_PvPT_S6_S6_PKS5_S8_S8_S8_S8_ffiiiiiiiiiiiii
		.amdhsa_group_segment_fixed_size 32
		.amdhsa_private_segment_fixed_size 0
		.amdhsa_kernarg_size 400
		.amdhsa_user_sgpr_count 6
		.amdhsa_user_sgpr_private_segment_buffer 1
		.amdhsa_user_sgpr_dispatch_ptr 0
		.amdhsa_user_sgpr_queue_ptr 0
		.amdhsa_user_sgpr_kernarg_segment_ptr 1
		.amdhsa_user_sgpr_dispatch_id 0
		.amdhsa_user_sgpr_flat_scratch_init 0
		.amdhsa_user_sgpr_kernarg_preload_length 0
		.amdhsa_user_sgpr_kernarg_preload_offset 0
		.amdhsa_user_sgpr_private_segment_size 0
		.amdhsa_uses_dynamic_stack 0
		.amdhsa_system_sgpr_private_segment_wavefront_offset 0
		.amdhsa_system_sgpr_workgroup_id_x 1
		.amdhsa_system_sgpr_workgroup_id_y 1
		.amdhsa_system_sgpr_workgroup_id_z 0
		.amdhsa_system_sgpr_workgroup_info 0
		.amdhsa_system_vgpr_workitem_id 0
		.amdhsa_next_free_vgpr 35
		.amdhsa_next_free_sgpr 36
		.amdhsa_accum_offset 36
		.amdhsa_reserve_vcc 1
		.amdhsa_reserve_flat_scratch 0
		.amdhsa_float_round_mode_32 0
		.amdhsa_float_round_mode_16_64 0
		.amdhsa_float_denorm_mode_32 3
		.amdhsa_float_denorm_mode_16_64 3
		.amdhsa_dx10_clamp 1
		.amdhsa_ieee_mode 1
		.amdhsa_fp16_overflow 0
		.amdhsa_tg_split 0
		.amdhsa_exception_fp_ieee_invalid_op 0
		.amdhsa_exception_fp_denorm_src 0
		.amdhsa_exception_fp_ieee_div_zero 0
		.amdhsa_exception_fp_ieee_overflow 0
		.amdhsa_exception_fp_ieee_underflow 0
		.amdhsa_exception_fp_ieee_inexact 0
		.amdhsa_exception_int_div_zero 0
	.end_amdhsa_kernel
	.section	.text._ZN5aiter35fused_qk_rmsnorm_group_quant_kernelItDB8_Li256ELi16ELi8ELb0ELb1ELb1ELb0ELb0ELb0EEEvPT0_PvPT_S6_S6_PKS5_S8_S8_S8_S8_ffiiiiiiiiiiiii,"axG",@progbits,_ZN5aiter35fused_qk_rmsnorm_group_quant_kernelItDB8_Li256ELi16ELi8ELb0ELb1ELb1ELb0ELb0ELb0EEEvPT0_PvPT_S6_S6_PKS5_S8_S8_S8_S8_ffiiiiiiiiiiiii,comdat
.Lfunc_end778:
	.size	_ZN5aiter35fused_qk_rmsnorm_group_quant_kernelItDB8_Li256ELi16ELi8ELb0ELb1ELb1ELb0ELb0ELb0EEEvPT0_PvPT_S6_S6_PKS5_S8_S8_S8_S8_ffiiiiiiiiiiiii, .Lfunc_end778-_ZN5aiter35fused_qk_rmsnorm_group_quant_kernelItDB8_Li256ELi16ELi8ELb0ELb1ELb1ELb0ELb0ELb0EEEvPT0_PvPT_S6_S6_PKS5_S8_S8_S8_S8_ffiiiiiiiiiiiii
                                        ; -- End function
	.section	.AMDGPU.csdata,"",@progbits
; Kernel info:
; codeLenInByte = 3756
; NumSgprs: 40
; NumVgprs: 35
; NumAgprs: 0
; TotalNumVgprs: 35
; ScratchSize: 0
; MemoryBound: 0
; FloatMode: 240
; IeeeMode: 1
; LDSByteSize: 32 bytes/workgroup (compile time only)
; SGPRBlocks: 4
; VGPRBlocks: 4
; NumSGPRsForWavesPerEU: 40
; NumVGPRsForWavesPerEU: 35
; AccumOffset: 36
; Occupancy: 8
; WaveLimiterHint : 0
; COMPUTE_PGM_RSRC2:SCRATCH_EN: 0
; COMPUTE_PGM_RSRC2:USER_SGPR: 6
; COMPUTE_PGM_RSRC2:TRAP_HANDLER: 0
; COMPUTE_PGM_RSRC2:TGID_X_EN: 1
; COMPUTE_PGM_RSRC2:TGID_Y_EN: 1
; COMPUTE_PGM_RSRC2:TGID_Z_EN: 0
; COMPUTE_PGM_RSRC2:TIDIG_COMP_CNT: 0
; COMPUTE_PGM_RSRC3_GFX90A:ACCUM_OFFSET: 8
; COMPUTE_PGM_RSRC3_GFX90A:TG_SPLIT: 0
	.section	.text._ZN5aiter35fused_qk_rmsnorm_group_quant_kernelIDF16_N4opus5fp4_tELi256ELi16ELi8ELb0ELb1ELb1ELb0ELb0ELb0EEEvPT0_PvPT_S7_S7_PKS6_S9_S9_S9_S9_ffiiiiiiiiiiiii,"axG",@progbits,_ZN5aiter35fused_qk_rmsnorm_group_quant_kernelIDF16_N4opus5fp4_tELi256ELi16ELi8ELb0ELb1ELb1ELb0ELb0ELb0EEEvPT0_PvPT_S7_S7_PKS6_S9_S9_S9_S9_ffiiiiiiiiiiiii,comdat
	.protected	_ZN5aiter35fused_qk_rmsnorm_group_quant_kernelIDF16_N4opus5fp4_tELi256ELi16ELi8ELb0ELb1ELb1ELb0ELb0ELb0EEEvPT0_PvPT_S7_S7_PKS6_S9_S9_S9_S9_ffiiiiiiiiiiiii ; -- Begin function _ZN5aiter35fused_qk_rmsnorm_group_quant_kernelIDF16_N4opus5fp4_tELi256ELi16ELi8ELb0ELb1ELb1ELb0ELb0ELb0EEEvPT0_PvPT_S7_S7_PKS6_S9_S9_S9_S9_ffiiiiiiiiiiiii
	.globl	_ZN5aiter35fused_qk_rmsnorm_group_quant_kernelIDF16_N4opus5fp4_tELi256ELi16ELi8ELb0ELb1ELb1ELb0ELb0ELb0EEEvPT0_PvPT_S7_S7_PKS6_S9_S9_S9_S9_ffiiiiiiiiiiiii
	.p2align	8
	.type	_ZN5aiter35fused_qk_rmsnorm_group_quant_kernelIDF16_N4opus5fp4_tELi256ELi16ELi8ELb0ELb1ELb1ELb0ELb0ELb0EEEvPT0_PvPT_S7_S7_PKS6_S9_S9_S9_S9_ffiiiiiiiiiiiii,@function
_ZN5aiter35fused_qk_rmsnorm_group_quant_kernelIDF16_N4opus5fp4_tELi256ELi16ELi8ELb0ELb1ELb1ELb0ELb0ELb0EEEvPT0_PvPT_S7_S7_PKS6_S9_S9_S9_S9_ffiiiiiiiiiiiii: ; @_ZN5aiter35fused_qk_rmsnorm_group_quant_kernelIDF16_N4opus5fp4_tELi256ELi16ELi8ELb0ELb1ELb1ELb0ELb0ELb0EEEvPT0_PvPT_S7_S7_PKS6_S9_S9_S9_S9_ffiiiiiiiiiiiii
; %bb.0:
	s_load_dwordx4 s[16:19], s[4:5], 0x50
	s_waitcnt lgkmcnt(0)
	s_cmp_ge_i32 s6, s18
	s_cbranch_scc1 .LBB779_12
; %bb.1:
	s_load_dwordx2 s[12:13], s[4:5], 0x48
	s_load_dwordx2 s[30:31], s[4:5], 0x30
	s_load_dwordx4 s[20:23], s[4:5], 0x60
	s_cmp_lg_u32 s7, 0
	s_cselect_b64 s[14:15], -1, 0
	s_cmp_eq_u32 s7, 0
	s_cselect_b64 vcc, -1, 0
	s_and_b64 s[0:1], vcc, exec
	s_waitcnt lgkmcnt(0)
	s_cselect_b32 s7, s19, s20
	s_add_i32 s0, s7, 1
	s_lshr_b32 s1, s0, 31
	s_add_i32 s0, s0, s1
	s_lshl_b32 s0, s0, 1
	v_lshlrev_b32_e32 v1, 4, v0
	s_and_b32 s10, s0, -4
	v_cmp_gt_i32_e64 s[2:3], s7, v1
	v_mov_b32_e32 v18, 0
	v_mov_b32_e32 v6, 0
	;; [unrolled: 1-line block ×17, first 2 shown]
	s_and_saveexec_b64 s[0:1], s[2:3]
	s_cbranch_execz .LBB779_3
; %bb.2:
	s_load_dwordx2 s[8:9], s[4:5], 0x28
	s_load_dwordx2 s[26:27], s[4:5], 0x40
	s_and_b64 s[24:25], vcc, exec
	s_cselect_b32 s11, s21, s22
	v_lshlrev_b32_e32 v19, 5, v0
	s_waitcnt lgkmcnt(0)
	s_cselect_b32 s18, s9, s31
	s_cselect_b32 s21, s8, s30
	s_mul_hi_i32 s9, s11, s6
	s_mul_i32 s8, s11, s6
	s_lshl_b64 s[8:9], s[8:9], 1
	s_add_u32 s24, s21, s8
	s_addc_u32 s18, s18, s9
	s_and_b64 s[8:9], vcc, exec
	s_mov_b32 s11, 0x20000
	s_cselect_b32 s8, s26, s12
	s_cselect_b32 s9, s27, s13
	s_and_b32 s25, s18, 0xffff
	s_mov_b32 s26, s10
	s_mov_b32 s27, s11
	s_and_b32 s9, s9, 0xffff
	buffer_load_dwordx4 v[14:17], v19, s[24:27], 0 offen
	buffer_load_dwordx4 v[10:13], v19, s[24:27], 16 offen
	;; [unrolled: 1-line block ×4, first 2 shown]
.LBB779_3:
	s_or_b64 exec, exec, s[0:1]
	v_mov_b32_e32 v19, 0
	v_mov_b32_e32 v22, 0
	v_mov_b32_e32 v23, 0
	v_mov_b32_e32 v20, 0
	v_mov_b32_e32 v21, 0
	v_mov_b32_e32 v28, 0
	v_mov_b32_e32 v29, 0
	v_mov_b32_e32 v26, 0
	v_mov_b32_e32 v27, 0
	v_mov_b32_e32 v32, 0
	v_mov_b32_e32 v33, 0
	v_mov_b32_e32 v30, 0
	v_mov_b32_e32 v31, 0
	v_mov_b32_e32 v24, 0
	v_mov_b32_e32 v25, 0
	s_and_saveexec_b64 s[0:1], s[2:3]
	s_cbranch_execz .LBB779_5
; %bb.4:
	s_waitcnt vmcnt(3)
	v_cvt_f32_f16_sdwa v19, v14 dst_sel:DWORD dst_unused:UNUSED_PAD src0_sel:WORD_1
	v_cvt_f32_f16_e32 v18, v14
	v_cvt_f32_f16_sdwa v23, v15 dst_sel:DWORD dst_unused:UNUSED_PAD src0_sel:WORD_1
	v_cvt_f32_f16_e32 v22, v15
	;; [unrolled: 2-line block ×4, first 2 shown]
	s_waitcnt vmcnt(2)
	v_cvt_f32_f16_sdwa v27, v10 dst_sel:DWORD dst_unused:UNUSED_PAD src0_sel:WORD_1
	v_cvt_f32_f16_e32 v26, v10
	v_cvt_f32_f16_sdwa v33, v11 dst_sel:DWORD dst_unused:UNUSED_PAD src0_sel:WORD_1
	v_cvt_f32_f16_e32 v32, v11
	;; [unrolled: 2-line block ×4, first 2 shown]
.LBB779_5:
	s_or_b64 exec, exec, s[0:1]
	s_waitcnt vmcnt(2)
	v_mul_f32_e32 v10, v19, v19
	v_fmac_f32_e32 v10, v18, v18
	v_fmac_f32_e32 v10, v22, v22
	;; [unrolled: 1-line block ×15, first 2 shown]
	v_and_b32_e32 v12, 63, v0
	v_cmp_eq_u32_e64 s[0:1], 63, v12
	v_mov_b32_dpp v11, v10 quad_perm:[1,0,3,2] row_mask:0xf bank_mask:0xf
	v_add_f32_e32 v10, v10, v11
	s_nop 1
	v_mov_b32_dpp v11, v10 quad_perm:[2,3,0,1] row_mask:0xf bank_mask:0xf
	v_add_f32_e32 v10, v10, v11
	s_nop 1
	v_mov_b32_dpp v11, v10 row_half_mirror row_mask:0xf bank_mask:0xf
	v_add_f32_e32 v10, v10, v11
	s_nop 1
	v_mov_b32_dpp v11, v10 row_mirror row_mask:0xf bank_mask:0xf
	v_add_f32_e32 v10, v10, v11
	s_nop 1
	v_mov_b32_dpp v11, v10 row_bcast:15 row_mask:0xf bank_mask:0xf
	v_add_f32_e32 v10, v10, v11
	s_nop 1
	v_mov_b32_dpp v11, v10 row_bcast:31 row_mask:0xf bank_mask:0xf
	s_and_saveexec_b64 s[8:9], s[0:1]
	s_cbranch_execz .LBB779_7
; %bb.6:
	v_add_f32_e32 v10, v10, v11
	v_lshrrev_b32_e32 v11, 4, v0
	v_and_b32_e32 v11, 60, v11
	ds_write_b32 v11, v10 offset:16
.LBB779_7:
	s_or_b64 exec, exec, s[8:9]
	v_and_b32_e32 v10, 3, v0
	v_lshlrev_b32_e32 v34, 2, v10
	s_waitcnt lgkmcnt(0)
	s_barrier
	ds_read_b32 v10, v34 offset:16
	s_load_dwordx2 s[28:29], s[4:5], 0x18
	s_waitcnt lgkmcnt(0)
	v_mov_b32_dpp v11, v10 quad_perm:[1,0,3,2] row_mask:0xf bank_mask:0xf
	v_add_f32_e32 v10, v10, v11
	s_nop 1
	v_mov_b32_dpp v11, v10 quad_perm:[2,3,0,1] row_mask:0xf bank_mask:0xf
	s_and_saveexec_b64 s[8:9], s[2:3]
	s_cbranch_execz .LBB779_9
; %bb.8:
	v_cvt_f32_u32_e32 v12, s7
	v_add_f32_e32 v10, v10, v11
	v_mov_b32_e32 v14, s17
	v_mov_b32_e32 v15, s16
	v_div_scale_f32 v11, s[24:25], v12, v12, v10
	v_rcp_f32_e32 v13, v11
	v_cndmask_b32_e32 v14, v14, v15, vcc
	s_mov_b32 s7, 0x800000
	v_fma_f32 v15, -v11, v13, 1.0
	v_fmac_f32_e32 v13, v15, v13
	v_div_scale_f32 v15, vcc, v10, v12, v10
	v_mul_f32_e32 v16, v15, v13
	v_fma_f32 v17, -v11, v16, v15
	v_fmac_f32_e32 v16, v17, v13
	v_fma_f32 v11, -v11, v16, v15
	v_div_fmas_f32 v11, v11, v13, v16
	v_div_fixup_f32 v10, v11, v12, v10
	v_add_f32_e32 v10, v14, v10
	v_mul_f32_e32 v11, 0x4b800000, v10
	v_cmp_gt_f32_e32 vcc, s7, v10
	v_cndmask_b32_e32 v10, v10, v11, vcc
	v_rsq_f32_e32 v10, v10
	v_mul_f32_e32 v11, 0x45800000, v10
	v_cndmask_b32_e32 v10, v10, v11, vcc
	v_mov_b32_e32 v11, v10
	;;#ASMSTART
	v_pk_mul_f32 v[12:13], v[18:19], v[10:11]
	;;#ASMEND
	s_waitcnt vmcnt(1)
	v_cvt_f32_f16_sdwa v19, v6 dst_sel:DWORD dst_unused:UNUSED_PAD src0_sel:WORD_1
	v_cvt_f32_f16_e32 v18, v6
	;;#ASMSTART
	v_pk_mul_f32 v[14:15], v[22:23], v[10:11]
	;;#ASMEND
	;;#ASMSTART
	v_pk_mul_f32 v[16:17], v[20:21], v[10:11]
	;;#ASMEND
	v_cvt_f32_f16_sdwa v21, v7 dst_sel:DWORD dst_unused:UNUSED_PAD src0_sel:WORD_1
	v_cvt_f32_f16_e32 v20, v7
	;;#ASMSTART
	v_pk_mul_f32 v[28:29], v[28:29], v[10:11]
	;;#ASMEND
	;;#ASMSTART
	v_pk_mul_f32 v[26:27], v[26:27], v[10:11]
	;;#ASMEND
	;; [unrolled: 3-line block ×5, first 2 shown]
	v_pk_add_f32 v[10:11], v[18:19], 1.0 op_sel_hi:[1,0]
	;;#ASMSTART
	v_pk_mul_f32 v[18:19], v[12:13], v[10:11]
	;;#ASMEND
	v_cvt_f32_f16_sdwa v13, v8 dst_sel:DWORD dst_unused:UNUSED_PAD src0_sel:WORD_1
	v_cvt_f32_f16_e32 v12, v8
	v_cvt_f32_f16_sdwa v25, v9 dst_sel:DWORD dst_unused:UNUSED_PAD src0_sel:WORD_1
	v_cvt_f32_f16_e32 v24, v9
	v_pk_add_f32 v[10:11], v[20:21], 1.0 op_sel_hi:[1,0]
	;;#ASMSTART
	v_pk_mul_f32 v[22:23], v[14:15], v[10:11]
	;;#ASMEND
	s_waitcnt vmcnt(0)
	v_cvt_f32_f16_sdwa v11, v2 dst_sel:DWORD dst_unused:UNUSED_PAD src0_sel:WORD_1
	v_cvt_f32_f16_e32 v10, v2
	v_pk_add_f32 v[8:9], v[12:13], 1.0 op_sel_hi:[1,0]
	;;#ASMSTART
	v_pk_mul_f32 v[20:21], v[16:17], v[8:9]
	;;#ASMEND
	v_pk_add_f32 v[8:9], v[24:25], 1.0 op_sel_hi:[1,0]
	v_cvt_f32_f16_sdwa v13, v3 dst_sel:DWORD dst_unused:UNUSED_PAD src0_sel:WORD_1
	v_cvt_f32_f16_e32 v12, v3
	;;#ASMSTART
	v_pk_mul_f32 v[28:29], v[28:29], v[8:9]
	;;#ASMEND
	v_cvt_f32_f16_sdwa v9, v4 dst_sel:DWORD dst_unused:UNUSED_PAD src0_sel:WORD_1
	v_cvt_f32_f16_e32 v8, v4
	v_pk_add_f32 v[2:3], v[10:11], 1.0 op_sel_hi:[1,0]
	v_cvt_f32_f16_sdwa v11, v5 dst_sel:DWORD dst_unused:UNUSED_PAD src0_sel:WORD_1
	v_cvt_f32_f16_e32 v10, v5
	;;#ASMSTART
	v_pk_mul_f32 v[26:27], v[26:27], v[2:3]
	;;#ASMEND
	v_pk_add_f32 v[2:3], v[12:13], 1.0 op_sel_hi:[1,0]
	;;#ASMSTART
	v_pk_mul_f32 v[32:33], v[32:33], v[2:3]
	;;#ASMEND
	v_pk_add_f32 v[2:3], v[8:9], 1.0 op_sel_hi:[1,0]
	;; [unrolled: 4-line block ×3, first 2 shown]
	;;#ASMSTART
	v_pk_mul_f32 v[24:25], v[6:7], v[2:3]
	;;#ASMEND
.LBB779_9:
	s_or_b64 exec, exec, s[8:9]
	s_load_dword s7, s[4:5], 0x80
	s_mov_b64 s[8:9], -1
	s_and_b64 vcc, exec, s[14:15]
	s_cbranch_vccnz .LBB779_13
; %bb.10:
	s_andn2_b64 vcc, exec, s[8:9]
	s_cbranch_vccz .LBB779_16
.LBB779_11:
	s_cmp_lt_i32 s20, 1
	s_cbranch_scc0 .LBB779_25
.LBB779_12:
	s_endpgm
.LBB779_13:
	s_and_saveexec_b64 s[14:15], s[2:3]
	s_cbranch_execz .LBB779_15
; %bb.14:
	s_waitcnt lgkmcnt(0)
	s_mul_hi_i32 s9, s7, s6
	s_mul_i32 s8, s7, s6
	s_waitcnt vmcnt(0)
	v_cvt_f16_f32_e32 v2, v18
	v_cvt_f16_f32_e32 v3, v22
	;; [unrolled: 1-line block ×8, first 2 shown]
	s_lshl_b64 s[8:9], s[8:9], 1
	s_add_u32 s8, s28, s8
	s_addc_u32 s9, s29, s9
	s_and_b32 s9, s9, 0xffff
	s_mov_b32 s11, 0x20000
	v_pack_b32_f16 v5, v5, v6
	v_pack_b32_f16 v4, v4, v7
	;; [unrolled: 1-line block ×4, first 2 shown]
	v_lshlrev_b32_e32 v6, 5, v0
	buffer_store_dwordx4 v[2:5], v6, s[8:11], 0 offen
	v_cvt_f16_f32_e32 v7, v25
	v_cvt_f16_f32_e32 v2, v26
	;; [unrolled: 1-line block ×8, first 2 shown]
	v_pack_b32_f16 v5, v5, v7
	v_pack_b32_f16 v4, v4, v8
	;; [unrolled: 1-line block ×4, first 2 shown]
	;;#ASMSTART
	s_nop 0
	;;#ASMEND
	buffer_store_dwordx4 v[2:5], v6, s[8:11], 16 offen
	;;#ASMSTART
	s_nop 0
	;;#ASMEND
.LBB779_15:
	s_or_b64 exec, exec, s[14:15]
	s_cbranch_execnz .LBB779_11
.LBB779_16:
	s_load_dwordx4 s[24:27], s[4:5], 0x70
	s_waitcnt vmcnt(0)
	v_mov_b32_e32 v2, 0
	s_and_saveexec_b64 s[14:15], s[2:3]
	s_cbranch_execz .LBB779_18
; %bb.17:
	s_load_dwordx2 s[8:9], s[4:5], 0x10
	s_waitcnt lgkmcnt(0)
	s_mul_hi_i32 s35, s27, s6
	s_mul_i32 s34, s27, s6
	v_cvt_f16_f32_e32 v2, v18
	v_cvt_f16_f32_e32 v3, v22
	;; [unrolled: 1-line block ×8, first 2 shown]
	s_lshl_b64 s[34:35], s[34:35], 1
	s_add_u32 s8, s8, s34
	s_addc_u32 s9, s9, s35
	s_mov_b32 s11, 0x20000
	s_and_b32 s9, s9, 0xffff
	v_pack_b32_f16 v5, v5, v6
	v_pack_b32_f16 v4, v4, v7
	;; [unrolled: 1-line block ×4, first 2 shown]
	v_lshlrev_b32_e32 v6, 5, v0
	buffer_store_dwordx4 v[2:5], v6, s[8:11], 0 offen
	v_cvt_f16_f32_e32 v7, v25
	v_cvt_f16_f32_e32 v2, v26
	v_cvt_f16_f32_e32 v3, v32
	v_cvt_f16_f32_e32 v4, v30
	v_cvt_f16_f32_e32 v5, v24
	v_cvt_f16_f32_e32 v8, v31
	v_cvt_f16_f32_e32 v9, v33
	v_cvt_f16_f32_e32 v10, v27
	v_pack_b32_f16 v5, v5, v7
	v_pack_b32_f16 v4, v4, v8
	;; [unrolled: 1-line block ×4, first 2 shown]
	;;#ASMSTART
	s_nop 0
	;;#ASMEND
	buffer_store_dwordx4 v[2:5], v6, s[8:11], 16 offen
	;;#ASMSTART
	s_nop 0
	;;#ASMEND
	s_nop 0
	v_mov_b32_e32 v2, 0x2edbe6ff
.LBB779_18:
	s_or_b64 exec, exec, s[14:15]
	s_and_saveexec_b64 s[8:9], s[2:3]
	s_cbranch_execz .LBB779_20
; %bb.19:
	v_and_b32_e32 v3, 0x7fffffff, v18
	v_and_b32_e32 v4, 0x7fffffff, v19
	;;#ASMSTART
	v_max3_f32 v2, v2, v3, v4

	;;#ASMEND
	v_and_b32_e32 v3, 0x7fffffff, v22
	v_and_b32_e32 v4, 0x7fffffff, v23
	;;#ASMSTART
	v_max3_f32 v2, v2, v3, v4

	;;#ASMEND
	v_and_b32_e32 v3, 0x7fffffff, v20
	v_and_b32_e32 v4, 0x7fffffff, v21
	;;#ASMSTART
	v_max3_f32 v2, v2, v3, v4

	;;#ASMEND
	v_and_b32_e32 v3, 0x7fffffff, v28
	v_and_b32_e32 v4, 0x7fffffff, v29
	;;#ASMSTART
	v_max3_f32 v2, v2, v3, v4

	;;#ASMEND
	v_and_b32_e32 v3, 0x7fffffff, v26
	v_and_b32_e32 v4, 0x7fffffff, v27
	;;#ASMSTART
	v_max3_f32 v2, v2, v3, v4

	;;#ASMEND
	v_and_b32_e32 v3, 0x7fffffff, v32
	v_and_b32_e32 v4, 0x7fffffff, v33
	;;#ASMSTART
	v_max3_f32 v2, v2, v3, v4

	;;#ASMEND
	v_and_b32_e32 v3, 0x7fffffff, v30
	v_and_b32_e32 v4, 0x7fffffff, v31
	;;#ASMSTART
	v_max3_f32 v2, v2, v3, v4

	;;#ASMEND
	v_and_b32_e32 v3, 0x7fffffff, v24
	v_and_b32_e32 v4, 0x7fffffff, v25
	;;#ASMSTART
	v_max3_f32 v2, v2, v3, v4

	;;#ASMEND
.LBB779_20:
	s_or_b64 exec, exec, s[8:9]
	;;#ASMSTART
	v_max_f32 v3, v2, v2 quad_perm:[1,0,3,2] row_mask:0xf bank_mask:0xf bound_ctrl:1
	;;#ASMEND
	;;#ASMSTART
	v_max_f32 v4, v3, v3 quad_perm:[2,3,0,1] row_mask:0xf bank_mask:0xf bound_ctrl:1
	;;#ASMEND
	v_and_b32_e32 v3, 7, v0
	v_cmp_eq_u32_e32 vcc, 0, v3
	v_cmp_gt_i32_e64 s[8:9], s19, v1
	s_and_b64 s[10:11], vcc, s[8:9]
	;;#ASMSTART
	v_max_f32 v2, v4, v4 row_half_mirror row_mask:0xf bank_mask:0xf bound_ctrl:1
	;;#ASMEND
	s_and_saveexec_b64 s[8:9], s[10:11]
	s_cbranch_execz .LBB779_22
; %bb.21:
	s_load_dwordx2 s[10:11], s[4:5], 0x8
	v_mul_f32_e32 v2, 0x3e2aaaab, v2
	v_lshrrev_b32_e32 v3, 23, v2
	v_and_b32_e32 v4, 0x7f800000, v2
	v_and_b32_e32 v2, 0x7fffff, v2
	v_cmp_ne_u32_e32 vcc, 0, v2
	s_waitcnt lgkmcnt(0)
	s_mul_i32 s16, s25, s6
	s_mov_b32 s14, 0x7f800000
	v_addc_co_u32_e32 v2, vcc, 0, v3, vcc
	s_mul_hi_i32 s15, s25, s6
	s_add_u32 s10, s10, s16
	v_cmp_ne_u32_e32 vcc, s14, v4
	s_addc_u32 s11, s11, s15
	v_lshrrev_b32_e32 v5, 3, v0
	v_cndmask_b32_e32 v4, -1, v2, vcc
	v_pk_mov_b32 v[2:3], s[10:11], s[10:11] op_sel:[0,1]
	v_mad_i64_i32 v[2:3], s[10:11], s26, v5, v[2:3]
	global_store_byte v[2:3], v4, off
.LBB779_22:
	s_or_b64 exec, exec, s[8:9]
	s_and_saveexec_b64 s[8:9], s[2:3]
	s_cbranch_execz .LBB779_24
; %bb.23:
	s_load_dwordx2 s[2:3], s[4:5], 0x0
	s_waitcnt lgkmcnt(0)
	s_mul_i32 s11, s24, s6
	s_mul_hi_i32 s10, s24, s6
	v_mov_b32_e32 v2, 0
	v_lshlrev_b32_e32 v4, 3, v0
	s_add_u32 s24, s2, s11
	s_addc_u32 s2, s3, s10
	s_lshr_b32 s3, s19, 31
	s_add_i32 s3, s19, s3
	s_ashr_i32 s3, s3, 1
	s_add_i32 s3, s3, 3
	s_ashr_i32 s10, s3, 31
	s_lshr_b32 s10, s10, 30
	s_add_i32 s3, s3, s10
	s_and_b32 s26, s3, -4
	s_and_b32 s25, s2, 0xffff
	s_mov_b32 s27, 0x20000
	v_mov_b32_e32 v3, v2
	buffer_store_dwordx2 v[2:3], v4, s[24:27], 0 offen
	;;#ASMSTART
	s_nop 0
	;;#ASMEND
.LBB779_24:
	s_or_b64 exec, exec, s[8:9]
	s_cmp_lt_i32 s20, 1
	s_cbranch_scc1 .LBB779_12
.LBB779_25:
	s_load_dword s2, s[4:5], 0x94
	s_waitcnt lgkmcnt(0)
	s_cmp_lg_u32 s2, 1
	s_cbranch_scc1 .LBB779_12
; %bb.26:
	s_lshl_b32 s2, s20, 1
	s_add_i32 s2, s2, 2
	v_cmp_gt_u32_e32 vcc, s20, v1
	s_and_b32 s14, s2, -4
	v_mov_b32_e32 v18, 0
	v_lshlrev_b32_e32 v1, 5, v0
	v_mov_b32_e32 v14, 0
	v_mov_b32_e32 v15, 0
	;; [unrolled: 1-line block ×8, first 2 shown]
	s_waitcnt vmcnt(1)
	v_mov_b32_e32 v6, 0
	v_mov_b32_e32 v7, 0
	;; [unrolled: 1-line block ×4, first 2 shown]
	s_waitcnt vmcnt(0)
	v_mov_b32_e32 v2, 0
	v_mov_b32_e32 v3, 0
	;; [unrolled: 1-line block ×4, first 2 shown]
	s_barrier
	s_and_saveexec_b64 s[2:3], vcc
	s_cbranch_execz .LBB779_28
; %bb.27:
	s_mul_hi_i32 s5, s22, s6
	s_mul_i32 s4, s22, s6
	s_and_b32 s13, s13, 0xffff
	s_lshl_b64 s[4:5], s[4:5], 1
	s_add_u32 s8, s30, s4
	s_mov_b32 s15, 0x20000
	s_addc_u32 s4, s31, s5
	s_and_b32 s9, s4, 0xffff
	s_mov_b32 s10, s14
	s_mov_b32 s11, s15
	buffer_load_dwordx4 v[14:17], v1, s[8:11], 0 offen
	buffer_load_dwordx4 v[10:13], v1, s[8:11], 16 offen
	;; [unrolled: 1-line block ×4, first 2 shown]
.LBB779_28:
	s_or_b64 exec, exec, s[2:3]
	v_mov_b32_e32 v19, 0
	v_mov_b32_e32 v32, 0
	;; [unrolled: 1-line block ×15, first 2 shown]
	s_and_saveexec_b64 s[2:3], vcc
	s_cbranch_execz .LBB779_30
; %bb.29:
	s_waitcnt vmcnt(3)
	v_cvt_f32_f16_sdwa v19, v14 dst_sel:DWORD dst_unused:UNUSED_PAD src0_sel:WORD_1
	v_cvt_f32_f16_e32 v18, v14
	v_cvt_f32_f16_sdwa v33, v15 dst_sel:DWORD dst_unused:UNUSED_PAD src0_sel:WORD_1
	v_cvt_f32_f16_e32 v32, v15
	;; [unrolled: 2-line block ×4, first 2 shown]
	s_waitcnt vmcnt(2)
	v_cvt_f32_f16_sdwa v27, v10 dst_sel:DWORD dst_unused:UNUSED_PAD src0_sel:WORD_1
	v_cvt_f32_f16_e32 v26, v10
	v_cvt_f32_f16_sdwa v25, v11 dst_sel:DWORD dst_unused:UNUSED_PAD src0_sel:WORD_1
	v_cvt_f32_f16_e32 v24, v11
	;; [unrolled: 2-line block ×4, first 2 shown]
.LBB779_30:
	s_or_b64 exec, exec, s[2:3]
	s_waitcnt vmcnt(2)
	v_mul_f32_e32 v10, v19, v19
	v_fmac_f32_e32 v10, v18, v18
	v_fmac_f32_e32 v10, v32, v32
	;; [unrolled: 1-line block ×15, first 2 shown]
	s_nop 1
	v_mov_b32_dpp v11, v10 quad_perm:[1,0,3,2] row_mask:0xf bank_mask:0xf
	v_add_f32_e32 v10, v10, v11
	s_nop 1
	v_mov_b32_dpp v11, v10 quad_perm:[2,3,0,1] row_mask:0xf bank_mask:0xf
	v_add_f32_e32 v10, v10, v11
	s_nop 1
	v_mov_b32_dpp v11, v10 row_half_mirror row_mask:0xf bank_mask:0xf
	v_add_f32_e32 v10, v10, v11
	s_nop 1
	v_mov_b32_dpp v11, v10 row_mirror row_mask:0xf bank_mask:0xf
	v_add_f32_e32 v10, v10, v11
	s_nop 1
	v_mov_b32_dpp v11, v10 row_bcast:15 row_mask:0xf bank_mask:0xf
	v_add_f32_e32 v10, v10, v11
	s_nop 1
	v_mov_b32_dpp v11, v10 row_bcast:31 row_mask:0xf bank_mask:0xf
	s_and_saveexec_b64 s[2:3], s[0:1]
	s_cbranch_execz .LBB779_32
; %bb.31:
	v_lshrrev_b32_e32 v0, 4, v0
	v_add_f32_e32 v10, v10, v11
	v_and_b32_e32 v0, 60, v0
	ds_write_b32 v0, v10
.LBB779_32:
	s_or_b64 exec, exec, s[2:3]
	s_waitcnt lgkmcnt(0)
	s_barrier
	ds_read_b32 v0, v34
	s_waitcnt lgkmcnt(0)
	s_nop 0
	v_mov_b32_dpp v10, v0 quad_perm:[1,0,3,2] row_mask:0xf bank_mask:0xf
	v_add_f32_e32 v0, v0, v10
	s_nop 1
	v_mov_b32_dpp v10, v0 quad_perm:[2,3,0,1] row_mask:0xf bank_mask:0xf
	s_and_saveexec_b64 s[0:1], vcc
	s_cbranch_execz .LBB779_12
; %bb.33:
	v_cvt_f32_u32_e32 v11, s20
	v_add_f32_e32 v0, v0, v10
	s_mov_b32 s15, 0x20000
	v_div_scale_f32 v10, s[0:1], v11, v11, v0
	v_rcp_f32_e32 v12, v10
	v_div_scale_f32 v13, vcc, v0, v11, v0
	s_mov_b32 s0, 0x800000
	v_fma_f32 v14, -v10, v12, 1.0
	v_fmac_f32_e32 v12, v14, v12
	v_mul_f32_e32 v14, v13, v12
	v_fma_f32 v15, -v10, v14, v13
	v_fmac_f32_e32 v14, v15, v12
	v_fma_f32 v10, -v10, v14, v13
	v_div_fmas_f32 v10, v10, v12, v14
	v_div_fixup_f32 v0, v10, v11, v0
	v_add_f32_e32 v0, s17, v0
	v_mul_f32_e32 v10, 0x4b800000, v0
	v_cmp_gt_f32_e32 vcc, s0, v0
	v_cndmask_b32_e32 v0, v0, v10, vcc
	v_rsq_f32_e32 v0, v0
	s_mul_hi_i32 s1, s7, s6
	s_mul_i32 s0, s7, s6
	s_lshl_b64 s[0:1], s[0:1], 1
	v_mul_f32_e32 v10, 0x45800000, v0
	v_cndmask_b32_e32 v10, v0, v10, vcc
	v_mov_b32_e32 v11, v10
	;;#ASMSTART
	v_pk_mul_f32 v[12:13], v[18:19], v[10:11]
	;;#ASMEND
	;;#ASMSTART
	v_pk_mul_f32 v[14:15], v[32:33], v[10:11]
	;;#ASMEND
	;; [unrolled: 3-line block ×4, first 2 shown]
	s_waitcnt vmcnt(1)
	v_cvt_f32_f16_sdwa v29, v6 dst_sel:DWORD dst_unused:UNUSED_PAD src0_sel:WORD_1
	v_cvt_f32_f16_e32 v28, v6
	v_cvt_f32_f16_sdwa v31, v7 dst_sel:DWORD dst_unused:UNUSED_PAD src0_sel:WORD_1
	v_cvt_f32_f16_e32 v30, v7
	;;#ASMSTART
	v_pk_mul_f32 v[26:27], v[26:27], v[10:11]
	;;#ASMEND
	;;#ASMSTART
	v_pk_mul_f32 v[24:25], v[24:25], v[10:11]
	;;#ASMEND
	;;#ASMSTART
	v_pk_mul_f32 v[22:23], v[22:23], v[10:11]
	;;#ASMEND
	;;#ASMSTART
	v_pk_mul_f32 v[6:7], v[20:21], v[10:11]
	;;#ASMEND
	v_cvt_f32_f16_sdwa v21, v8 dst_sel:DWORD dst_unused:UNUSED_PAD src0_sel:WORD_1
	v_cvt_f32_f16_e32 v20, v8
	v_pk_add_f32 v[10:11], v[28:29], 1.0 op_sel_hi:[1,0]
	;;#ASMSTART
	v_pk_mul_f32 v[10:11], v[12:13], v[10:11]
	;;#ASMEND
	v_pk_add_f32 v[12:13], v[30:31], 1.0 op_sel_hi:[1,0]
	v_cvt_f32_f16_sdwa v29, v9 dst_sel:DWORD dst_unused:UNUSED_PAD src0_sel:WORD_1
	v_cvt_f32_f16_e32 v28, v9
	;;#ASMSTART
	v_pk_mul_f32 v[8:9], v[14:15], v[12:13]
	;;#ASMEND
	v_pk_add_f32 v[12:13], v[20:21], 1.0 op_sel_hi:[1,0]
	;;#ASMSTART
	v_pk_mul_f32 v[12:13], v[16:17], v[12:13]
	;;#ASMEND
	s_waitcnt vmcnt(0)
	v_cvt_f32_f16_sdwa v17, v2 dst_sel:DWORD dst_unused:UNUSED_PAD src0_sel:WORD_1
	v_cvt_f32_f16_e32 v16, v2
	v_cvt_f32_f16_sdwa v21, v3 dst_sel:DWORD dst_unused:UNUSED_PAD src0_sel:WORD_1
	v_cvt_f32_f16_e32 v20, v3
	v_pk_add_f32 v[14:15], v[28:29], 1.0 op_sel_hi:[1,0]
	;;#ASMSTART
	v_pk_mul_f32 v[2:3], v[18:19], v[14:15]
	;;#ASMEND
	v_cvt_f32_f16_sdwa v19, v4 dst_sel:DWORD dst_unused:UNUSED_PAD src0_sel:WORD_1
	v_cvt_f32_f16_e32 v18, v4
	v_pk_add_f32 v[14:15], v[16:17], 1.0 op_sel_hi:[1,0]
	v_pk_add_f32 v[16:17], v[20:21], 1.0 op_sel_hi:[1,0]
	v_cvt_f32_f16_sdwa v21, v5 dst_sel:DWORD dst_unused:UNUSED_PAD src0_sel:WORD_1
	v_cvt_f32_f16_e32 v20, v5
	v_pk_add_f32 v[4:5], v[18:19], 1.0 op_sel_hi:[1,0]
	;;#ASMSTART
	v_pk_mul_f32 v[14:15], v[26:27], v[14:15]
	;;#ASMEND
	;;#ASMSTART
	v_pk_mul_f32 v[16:17], v[24:25], v[16:17]
	;;#ASMEND
	;; [unrolled: 3-line block ×3, first 2 shown]
	v_pk_add_f32 v[4:5], v[20:21], 1.0 op_sel_hi:[1,0]
	;;#ASMSTART
	v_pk_mul_f32 v[6:7], v[6:7], v[4:5]
	;;#ASMEND
	v_cvt_f16_f32_e32 v0, v10
	v_cvt_f16_f32_e32 v4, v11
	;; [unrolled: 1-line block ×8, first 2 shown]
	s_add_u32 s12, s28, s0
	s_addc_u32 s0, s29, s1
	s_and_b32 s13, s0, 0xffff
	v_pack_b32_f16 v2, v0, v4
	v_pack_b32_f16 v3, v5, v8
	;; [unrolled: 1-line block ×4, first 2 shown]
	buffer_store_dwordx4 v[2:5], v1, s[12:15], 0 offen
	v_cvt_f16_f32_e32 v0, v14
	v_cvt_f16_f32_e32 v2, v15
	;; [unrolled: 1-line block ×8, first 2 shown]
	v_pack_b32_f16 v2, v0, v2
	v_pack_b32_f16 v3, v3, v4
	;; [unrolled: 1-line block ×4, first 2 shown]
	;;#ASMSTART
	s_nop 0
	;;#ASMEND
	buffer_store_dwordx4 v[2:5], v1, s[12:15], 16 offen
	;;#ASMSTART
	s_nop 0
	;;#ASMEND
	s_endpgm
	.section	.rodata,"a",@progbits
	.p2align	6, 0x0
	.amdhsa_kernel _ZN5aiter35fused_qk_rmsnorm_group_quant_kernelIDF16_N4opus5fp4_tELi256ELi16ELi8ELb0ELb1ELb1ELb0ELb0ELb0EEEvPT0_PvPT_S7_S7_PKS6_S9_S9_S9_S9_ffiiiiiiiiiiiii
		.amdhsa_group_segment_fixed_size 32
		.amdhsa_private_segment_fixed_size 0
		.amdhsa_kernarg_size 400
		.amdhsa_user_sgpr_count 6
		.amdhsa_user_sgpr_private_segment_buffer 1
		.amdhsa_user_sgpr_dispatch_ptr 0
		.amdhsa_user_sgpr_queue_ptr 0
		.amdhsa_user_sgpr_kernarg_segment_ptr 1
		.amdhsa_user_sgpr_dispatch_id 0
		.amdhsa_user_sgpr_flat_scratch_init 0
		.amdhsa_user_sgpr_kernarg_preload_length 0
		.amdhsa_user_sgpr_kernarg_preload_offset 0
		.amdhsa_user_sgpr_private_segment_size 0
		.amdhsa_uses_dynamic_stack 0
		.amdhsa_system_sgpr_private_segment_wavefront_offset 0
		.amdhsa_system_sgpr_workgroup_id_x 1
		.amdhsa_system_sgpr_workgroup_id_y 1
		.amdhsa_system_sgpr_workgroup_id_z 0
		.amdhsa_system_sgpr_workgroup_info 0
		.amdhsa_system_vgpr_workitem_id 0
		.amdhsa_next_free_vgpr 35
		.amdhsa_next_free_sgpr 36
		.amdhsa_accum_offset 36
		.amdhsa_reserve_vcc 1
		.amdhsa_reserve_flat_scratch 0
		.amdhsa_float_round_mode_32 0
		.amdhsa_float_round_mode_16_64 0
		.amdhsa_float_denorm_mode_32 3
		.amdhsa_float_denorm_mode_16_64 3
		.amdhsa_dx10_clamp 1
		.amdhsa_ieee_mode 1
		.amdhsa_fp16_overflow 0
		.amdhsa_tg_split 0
		.amdhsa_exception_fp_ieee_invalid_op 0
		.amdhsa_exception_fp_denorm_src 0
		.amdhsa_exception_fp_ieee_div_zero 0
		.amdhsa_exception_fp_ieee_overflow 0
		.amdhsa_exception_fp_ieee_underflow 0
		.amdhsa_exception_fp_ieee_inexact 0
		.amdhsa_exception_int_div_zero 0
	.end_amdhsa_kernel
	.section	.text._ZN5aiter35fused_qk_rmsnorm_group_quant_kernelIDF16_N4opus5fp4_tELi256ELi16ELi8ELb0ELb1ELb1ELb0ELb0ELb0EEEvPT0_PvPT_S7_S7_PKS6_S9_S9_S9_S9_ffiiiiiiiiiiiii,"axG",@progbits,_ZN5aiter35fused_qk_rmsnorm_group_quant_kernelIDF16_N4opus5fp4_tELi256ELi16ELi8ELb0ELb1ELb1ELb0ELb0ELb0EEEvPT0_PvPT_S7_S7_PKS6_S9_S9_S9_S9_ffiiiiiiiiiiiii,comdat
.Lfunc_end779:
	.size	_ZN5aiter35fused_qk_rmsnorm_group_quant_kernelIDF16_N4opus5fp4_tELi256ELi16ELi8ELb0ELb1ELb1ELb0ELb0ELb0EEEvPT0_PvPT_S7_S7_PKS6_S9_S9_S9_S9_ffiiiiiiiiiiiii, .Lfunc_end779-_ZN5aiter35fused_qk_rmsnorm_group_quant_kernelIDF16_N4opus5fp4_tELi256ELi16ELi8ELb0ELb1ELb1ELb0ELb0ELb0EEEvPT0_PvPT_S7_S7_PKS6_S9_S9_S9_S9_ffiiiiiiiiiiiii
                                        ; -- End function
	.section	.AMDGPU.csdata,"",@progbits
; Kernel info:
; codeLenInByte = 3476
; NumSgprs: 40
; NumVgprs: 35
; NumAgprs: 0
; TotalNumVgprs: 35
; ScratchSize: 0
; MemoryBound: 0
; FloatMode: 240
; IeeeMode: 1
; LDSByteSize: 32 bytes/workgroup (compile time only)
; SGPRBlocks: 4
; VGPRBlocks: 4
; NumSGPRsForWavesPerEU: 40
; NumVGPRsForWavesPerEU: 35
; AccumOffset: 36
; Occupancy: 8
; WaveLimiterHint : 0
; COMPUTE_PGM_RSRC2:SCRATCH_EN: 0
; COMPUTE_PGM_RSRC2:USER_SGPR: 6
; COMPUTE_PGM_RSRC2:TRAP_HANDLER: 0
; COMPUTE_PGM_RSRC2:TGID_X_EN: 1
; COMPUTE_PGM_RSRC2:TGID_Y_EN: 1
; COMPUTE_PGM_RSRC2:TGID_Z_EN: 0
; COMPUTE_PGM_RSRC2:TIDIG_COMP_CNT: 0
; COMPUTE_PGM_RSRC3_GFX90A:ACCUM_OFFSET: 8
; COMPUTE_PGM_RSRC3_GFX90A:TG_SPLIT: 0
	.section	.text._ZN5aiter35fused_qk_rmsnorm_group_quant_kernelItN4opus5fp4_tELi256ELi16ELi8ELb0ELb1ELb1ELb0ELb0ELb0EEEvPT0_PvPT_S7_S7_PKS6_S9_S9_S9_S9_ffiiiiiiiiiiiii,"axG",@progbits,_ZN5aiter35fused_qk_rmsnorm_group_quant_kernelItN4opus5fp4_tELi256ELi16ELi8ELb0ELb1ELb1ELb0ELb0ELb0EEEvPT0_PvPT_S7_S7_PKS6_S9_S9_S9_S9_ffiiiiiiiiiiiii,comdat
	.protected	_ZN5aiter35fused_qk_rmsnorm_group_quant_kernelItN4opus5fp4_tELi256ELi16ELi8ELb0ELb1ELb1ELb0ELb0ELb0EEEvPT0_PvPT_S7_S7_PKS6_S9_S9_S9_S9_ffiiiiiiiiiiiii ; -- Begin function _ZN5aiter35fused_qk_rmsnorm_group_quant_kernelItN4opus5fp4_tELi256ELi16ELi8ELb0ELb1ELb1ELb0ELb0ELb0EEEvPT0_PvPT_S7_S7_PKS6_S9_S9_S9_S9_ffiiiiiiiiiiiii
	.globl	_ZN5aiter35fused_qk_rmsnorm_group_quant_kernelItN4opus5fp4_tELi256ELi16ELi8ELb0ELb1ELb1ELb0ELb0ELb0EEEvPT0_PvPT_S7_S7_PKS6_S9_S9_S9_S9_ffiiiiiiiiiiiii
	.p2align	8
	.type	_ZN5aiter35fused_qk_rmsnorm_group_quant_kernelItN4opus5fp4_tELi256ELi16ELi8ELb0ELb1ELb1ELb0ELb0ELb0EEEvPT0_PvPT_S7_S7_PKS6_S9_S9_S9_S9_ffiiiiiiiiiiiii,@function
_ZN5aiter35fused_qk_rmsnorm_group_quant_kernelItN4opus5fp4_tELi256ELi16ELi8ELb0ELb1ELb1ELb0ELb0ELb0EEEvPT0_PvPT_S7_S7_PKS6_S9_S9_S9_S9_ffiiiiiiiiiiiii: ; @_ZN5aiter35fused_qk_rmsnorm_group_quant_kernelItN4opus5fp4_tELi256ELi16ELi8ELb0ELb1ELb1ELb0ELb0ELb0EEEvPT0_PvPT_S7_S7_PKS6_S9_S9_S9_S9_ffiiiiiiiiiiiii
; %bb.0:
	s_load_dwordx4 s[16:19], s[4:5], 0x50
	s_waitcnt lgkmcnt(0)
	s_cmp_ge_i32 s6, s18
	s_cbranch_scc1 .LBB780_12
; %bb.1:
	s_load_dwordx2 s[12:13], s[4:5], 0x48
	s_load_dwordx2 s[30:31], s[4:5], 0x30
	s_load_dwordx4 s[20:23], s[4:5], 0x60
	s_cmp_lg_u32 s7, 0
	s_cselect_b64 s[14:15], -1, 0
	s_cmp_eq_u32 s7, 0
	s_cselect_b64 vcc, -1, 0
	s_and_b64 s[0:1], vcc, exec
	s_waitcnt lgkmcnt(0)
	s_cselect_b32 s7, s19, s20
	s_add_i32 s0, s7, 1
	s_lshr_b32 s1, s0, 31
	s_add_i32 s0, s0, s1
	s_lshl_b32 s0, s0, 1
	v_lshlrev_b32_e32 v1, 4, v0
	s_and_b32 s10, s0, -4
	v_cmp_gt_i32_e64 s[2:3], s7, v1
	v_mov_b32_e32 v18, 0
	v_mov_b32_e32 v6, 0
	;; [unrolled: 1-line block ×17, first 2 shown]
	s_and_saveexec_b64 s[0:1], s[2:3]
	s_cbranch_execz .LBB780_3
; %bb.2:
	s_load_dwordx2 s[8:9], s[4:5], 0x28
	s_load_dwordx2 s[26:27], s[4:5], 0x40
	s_and_b64 s[24:25], vcc, exec
	s_cselect_b32 s11, s21, s22
	v_lshlrev_b32_e32 v19, 5, v0
	s_waitcnt lgkmcnt(0)
	s_cselect_b32 s18, s9, s31
	s_cselect_b32 s21, s8, s30
	s_mul_hi_i32 s9, s11, s6
	s_mul_i32 s8, s11, s6
	s_lshl_b64 s[8:9], s[8:9], 1
	s_add_u32 s24, s21, s8
	s_addc_u32 s18, s18, s9
	s_and_b64 s[8:9], vcc, exec
	s_mov_b32 s11, 0x20000
	s_cselect_b32 s8, s26, s12
	s_cselect_b32 s9, s27, s13
	s_and_b32 s25, s18, 0xffff
	s_mov_b32 s26, s10
	s_mov_b32 s27, s11
	s_and_b32 s9, s9, 0xffff
	buffer_load_dwordx4 v[14:17], v19, s[24:27], 0 offen
	buffer_load_dwordx4 v[10:13], v19, s[24:27], 16 offen
	buffer_load_dwordx4 v[6:9], v19, s[8:11], 0 offen
	buffer_load_dwordx4 v[2:5], v19, s[8:11], 16 offen
.LBB780_3:
	s_or_b64 exec, exec, s[0:1]
	v_mov_b32_e32 v19, 0
	v_mov_b32_e32 v22, 0
	;; [unrolled: 1-line block ×15, first 2 shown]
	s_and_saveexec_b64 s[0:1], s[2:3]
	s_cbranch_execz .LBB780_5
; %bb.4:
	s_waitcnt vmcnt(3)
	v_cvt_f32_u32_sdwa v18, v14 dst_sel:DWORD dst_unused:UNUSED_PAD src0_sel:WORD_0
	v_cvt_f32_u32_sdwa v19, v14 dst_sel:DWORD dst_unused:UNUSED_PAD src0_sel:WORD_1
	v_cvt_f32_u32_sdwa v22, v15 dst_sel:DWORD dst_unused:UNUSED_PAD src0_sel:WORD_0
	v_cvt_f32_u32_sdwa v23, v15 dst_sel:DWORD dst_unused:UNUSED_PAD src0_sel:WORD_1
	;; [unrolled: 2-line block ×4, first 2 shown]
	s_waitcnt vmcnt(2)
	v_cvt_f32_u32_sdwa v24, v10 dst_sel:DWORD dst_unused:UNUSED_PAD src0_sel:WORD_0
	v_cvt_f32_u32_sdwa v25, v10 dst_sel:DWORD dst_unused:UNUSED_PAD src0_sel:WORD_1
	v_cvt_f32_u32_sdwa v32, v11 dst_sel:DWORD dst_unused:UNUSED_PAD src0_sel:WORD_0
	v_cvt_f32_u32_sdwa v33, v11 dst_sel:DWORD dst_unused:UNUSED_PAD src0_sel:WORD_1
	;; [unrolled: 2-line block ×4, first 2 shown]
.LBB780_5:
	s_or_b64 exec, exec, s[0:1]
	s_waitcnt vmcnt(2)
	v_mul_f32_e32 v10, v19, v19
	v_fmac_f32_e32 v10, v18, v18
	v_fmac_f32_e32 v10, v22, v22
	;; [unrolled: 1-line block ×15, first 2 shown]
	v_and_b32_e32 v12, 63, v0
	v_cmp_eq_u32_e64 s[0:1], 63, v12
	v_mov_b32_dpp v11, v10 quad_perm:[1,0,3,2] row_mask:0xf bank_mask:0xf
	v_add_f32_e32 v10, v10, v11
	s_nop 1
	v_mov_b32_dpp v11, v10 quad_perm:[2,3,0,1] row_mask:0xf bank_mask:0xf
	v_add_f32_e32 v10, v10, v11
	s_nop 1
	v_mov_b32_dpp v11, v10 row_half_mirror row_mask:0xf bank_mask:0xf
	v_add_f32_e32 v10, v10, v11
	s_nop 1
	v_mov_b32_dpp v11, v10 row_mirror row_mask:0xf bank_mask:0xf
	v_add_f32_e32 v10, v10, v11
	s_nop 1
	v_mov_b32_dpp v11, v10 row_bcast:15 row_mask:0xf bank_mask:0xf
	v_add_f32_e32 v10, v10, v11
	s_nop 1
	v_mov_b32_dpp v11, v10 row_bcast:31 row_mask:0xf bank_mask:0xf
	s_and_saveexec_b64 s[8:9], s[0:1]
	s_cbranch_execz .LBB780_7
; %bb.6:
	v_add_f32_e32 v10, v10, v11
	v_lshrrev_b32_e32 v11, 4, v0
	v_and_b32_e32 v11, 60, v11
	ds_write_b32 v11, v10 offset:16
.LBB780_7:
	s_or_b64 exec, exec, s[8:9]
	v_and_b32_e32 v10, 3, v0
	v_lshlrev_b32_e32 v34, 2, v10
	s_waitcnt lgkmcnt(0)
	s_barrier
	ds_read_b32 v10, v34 offset:16
	s_load_dwordx2 s[28:29], s[4:5], 0x18
	s_waitcnt lgkmcnt(0)
	v_mov_b32_dpp v11, v10 quad_perm:[1,0,3,2] row_mask:0xf bank_mask:0xf
	v_add_f32_e32 v10, v10, v11
	s_nop 1
	v_mov_b32_dpp v11, v10 quad_perm:[2,3,0,1] row_mask:0xf bank_mask:0xf
	s_and_saveexec_b64 s[8:9], s[2:3]
	s_cbranch_execz .LBB780_9
; %bb.8:
	v_cvt_f32_u32_e32 v12, s7
	v_add_f32_e32 v10, v10, v11
	v_mov_b32_e32 v14, s17
	v_mov_b32_e32 v15, s16
	v_div_scale_f32 v11, s[24:25], v12, v12, v10
	v_rcp_f32_e32 v13, v11
	v_cndmask_b32_e32 v14, v14, v15, vcc
	s_mov_b32 s7, 0x800000
	v_fma_f32 v15, -v11, v13, 1.0
	v_fmac_f32_e32 v13, v15, v13
	v_div_scale_f32 v15, vcc, v10, v12, v10
	v_mul_f32_e32 v16, v15, v13
	v_fma_f32 v17, -v11, v16, v15
	v_fmac_f32_e32 v16, v17, v13
	v_fma_f32 v11, -v11, v16, v15
	v_div_fmas_f32 v11, v11, v13, v16
	v_div_fixup_f32 v10, v11, v12, v10
	v_add_f32_e32 v10, v14, v10
	v_mul_f32_e32 v11, 0x4b800000, v10
	v_cmp_gt_f32_e32 vcc, s7, v10
	v_cndmask_b32_e32 v10, v10, v11, vcc
	v_rsq_f32_e32 v10, v10
	v_mul_f32_e32 v11, 0x45800000, v10
	v_cndmask_b32_e32 v10, v10, v11, vcc
	v_mov_b32_e32 v11, v10
	;;#ASMSTART
	v_pk_mul_f32 v[12:13], v[18:19], v[10:11]
	;;#ASMEND
	s_waitcnt vmcnt(1)
	v_cvt_f32_u32_sdwa v19, v6 dst_sel:DWORD dst_unused:UNUSED_PAD src0_sel:WORD_1
	v_cvt_f32_u32_sdwa v18, v6 dst_sel:DWORD dst_unused:UNUSED_PAD src0_sel:WORD_0
	;;#ASMSTART
	v_pk_mul_f32 v[14:15], v[22:23], v[10:11]
	;;#ASMEND
	;;#ASMSTART
	v_pk_mul_f32 v[16:17], v[20:21], v[10:11]
	;;#ASMEND
	v_cvt_f32_u32_sdwa v21, v7 dst_sel:DWORD dst_unused:UNUSED_PAD src0_sel:WORD_1
	v_cvt_f32_u32_sdwa v20, v7 dst_sel:DWORD dst_unused:UNUSED_PAD src0_sel:WORD_0
	;;#ASMSTART
	v_pk_mul_f32 v[28:29], v[28:29], v[10:11]
	;;#ASMEND
	;;#ASMSTART
	v_pk_mul_f32 v[24:25], v[24:25], v[10:11]
	;;#ASMEND
	;; [unrolled: 3-line block ×5, first 2 shown]
	v_pk_add_f32 v[10:11], v[18:19], 1.0 op_sel_hi:[1,0]
	;;#ASMSTART
	v_pk_mul_f32 v[18:19], v[12:13], v[10:11]
	;;#ASMEND
	v_cvt_f32_u32_sdwa v13, v8 dst_sel:DWORD dst_unused:UNUSED_PAD src0_sel:WORD_1
	v_cvt_f32_u32_sdwa v12, v8 dst_sel:DWORD dst_unused:UNUSED_PAD src0_sel:WORD_0
	v_cvt_f32_u32_sdwa v27, v9 dst_sel:DWORD dst_unused:UNUSED_PAD src0_sel:WORD_1
	v_cvt_f32_u32_sdwa v26, v9 dst_sel:DWORD dst_unused:UNUSED_PAD src0_sel:WORD_0
	v_pk_add_f32 v[10:11], v[20:21], 1.0 op_sel_hi:[1,0]
	;;#ASMSTART
	v_pk_mul_f32 v[22:23], v[14:15], v[10:11]
	;;#ASMEND
	s_waitcnt vmcnt(0)
	v_cvt_f32_u32_sdwa v11, v2 dst_sel:DWORD dst_unused:UNUSED_PAD src0_sel:WORD_1
	v_cvt_f32_u32_sdwa v10, v2 dst_sel:DWORD dst_unused:UNUSED_PAD src0_sel:WORD_0
	v_pk_add_f32 v[8:9], v[12:13], 1.0 op_sel_hi:[1,0]
	;;#ASMSTART
	v_pk_mul_f32 v[20:21], v[16:17], v[8:9]
	;;#ASMEND
	v_pk_add_f32 v[8:9], v[26:27], 1.0 op_sel_hi:[1,0]
	v_cvt_f32_u32_sdwa v13, v3 dst_sel:DWORD dst_unused:UNUSED_PAD src0_sel:WORD_1
	v_cvt_f32_u32_sdwa v12, v3 dst_sel:DWORD dst_unused:UNUSED_PAD src0_sel:WORD_0
	;;#ASMSTART
	v_pk_mul_f32 v[28:29], v[28:29], v[8:9]
	;;#ASMEND
	v_cvt_f32_u32_sdwa v9, v4 dst_sel:DWORD dst_unused:UNUSED_PAD src0_sel:WORD_1
	v_cvt_f32_u32_sdwa v8, v4 dst_sel:DWORD dst_unused:UNUSED_PAD src0_sel:WORD_0
	v_pk_add_f32 v[2:3], v[10:11], 1.0 op_sel_hi:[1,0]
	v_cvt_f32_u32_sdwa v11, v5 dst_sel:DWORD dst_unused:UNUSED_PAD src0_sel:WORD_1
	v_cvt_f32_u32_sdwa v10, v5 dst_sel:DWORD dst_unused:UNUSED_PAD src0_sel:WORD_0
	;;#ASMSTART
	v_pk_mul_f32 v[24:25], v[24:25], v[2:3]
	;;#ASMEND
	v_pk_add_f32 v[2:3], v[12:13], 1.0 op_sel_hi:[1,0]
	;;#ASMSTART
	v_pk_mul_f32 v[32:33], v[32:33], v[2:3]
	;;#ASMEND
	v_pk_add_f32 v[2:3], v[8:9], 1.0 op_sel_hi:[1,0]
	;; [unrolled: 4-line block ×3, first 2 shown]
	;;#ASMSTART
	v_pk_mul_f32 v[26:27], v[6:7], v[2:3]
	;;#ASMEND
.LBB780_9:
	s_or_b64 exec, exec, s[8:9]
	s_load_dword s7, s[4:5], 0x80
	s_mov_b64 s[8:9], -1
	s_and_b64 vcc, exec, s[14:15]
	s_cbranch_vccnz .LBB780_13
; %bb.10:
	s_andn2_b64 vcc, exec, s[8:9]
	s_cbranch_vccz .LBB780_16
.LBB780_11:
	s_cmp_lt_i32 s20, 1
	s_cbranch_scc0 .LBB780_25
.LBB780_12:
	s_endpgm
.LBB780_13:
	s_and_saveexec_b64 s[14:15], s[2:3]
	s_cbranch_execz .LBB780_15
; %bb.14:
	s_waitcnt lgkmcnt(0)
	s_mul_hi_i32 s9, s7, s6
	s_mul_i32 s8, s7, s6
	s_lshl_b64 s[8:9], s[8:9], 1
	s_add_u32 s8, s28, s8
	s_addc_u32 s9, s29, s9
	s_mov_b32 s16, 0x7060302
	s_and_b32 s9, s9, 0xffff
	s_mov_b32 s11, 0x20000
	s_waitcnt vmcnt(0)
	v_perm_b32 v5, v29, v28, s16
	v_perm_b32 v4, v21, v20, s16
	;; [unrolled: 1-line block ×4, first 2 shown]
	v_lshlrev_b32_e32 v6, 5, v0
	buffer_store_dwordx4 v[2:5], v6, s[8:11], 0 offen
	;;#ASMSTART
	s_nop 0
	;;#ASMEND
	s_nop 0
	v_perm_b32 v5, v27, v26, s16
	v_perm_b32 v4, v31, v30, s16
	;; [unrolled: 1-line block ×4, first 2 shown]
	buffer_store_dwordx4 v[2:5], v6, s[8:11], 16 offen
	;;#ASMSTART
	s_nop 0
	;;#ASMEND
.LBB780_15:
	s_or_b64 exec, exec, s[14:15]
	s_cbranch_execnz .LBB780_11
.LBB780_16:
	s_load_dwordx4 s[24:27], s[4:5], 0x70
	s_waitcnt vmcnt(0)
	v_mov_b32_e32 v2, 0
	s_and_saveexec_b64 s[14:15], s[2:3]
	s_cbranch_execz .LBB780_18
; %bb.17:
	s_load_dwordx2 s[8:9], s[4:5], 0x10
	s_waitcnt lgkmcnt(0)
	s_mul_hi_i32 s35, s27, s6
	s_mul_i32 s34, s27, s6
	s_lshl_b64 s[34:35], s[34:35], 1
	s_mov_b32 s16, 0x7060302
	s_add_u32 s8, s8, s34
	s_addc_u32 s9, s9, s35
	s_mov_b32 s11, 0x20000
	s_and_b32 s9, s9, 0xffff
	v_perm_b32 v5, v29, v28, s16
	v_perm_b32 v4, v21, v20, s16
	;; [unrolled: 1-line block ×4, first 2 shown]
	v_lshlrev_b32_e32 v6, 5, v0
	buffer_store_dwordx4 v[2:5], v6, s[8:11], 0 offen
	;;#ASMSTART
	s_nop 0
	;;#ASMEND
	s_nop 0
	v_perm_b32 v5, v27, v26, s16
	v_perm_b32 v4, v31, v30, s16
	;; [unrolled: 1-line block ×4, first 2 shown]
	buffer_store_dwordx4 v[2:5], v6, s[8:11], 16 offen
	;;#ASMSTART
	s_nop 0
	;;#ASMEND
	s_nop 0
	v_mov_b32_e32 v2, 0x2edbe6ff
.LBB780_18:
	s_or_b64 exec, exec, s[14:15]
	s_and_saveexec_b64 s[8:9], s[2:3]
	s_cbranch_execz .LBB780_20
; %bb.19:
	v_and_b32_e32 v3, 0x7fffffff, v18
	v_and_b32_e32 v4, 0x7fffffff, v19
	;;#ASMSTART
	v_max3_f32 v2, v2, v3, v4

	;;#ASMEND
	v_and_b32_e32 v3, 0x7fffffff, v22
	v_and_b32_e32 v4, 0x7fffffff, v23
	;;#ASMSTART
	v_max3_f32 v2, v2, v3, v4

	;;#ASMEND
	;; [unrolled: 6-line block ×8, first 2 shown]
.LBB780_20:
	s_or_b64 exec, exec, s[8:9]
	;;#ASMSTART
	v_max_f32 v3, v2, v2 quad_perm:[1,0,3,2] row_mask:0xf bank_mask:0xf bound_ctrl:1
	;;#ASMEND
	;;#ASMSTART
	v_max_f32 v4, v3, v3 quad_perm:[2,3,0,1] row_mask:0xf bank_mask:0xf bound_ctrl:1
	;;#ASMEND
	v_and_b32_e32 v3, 7, v0
	v_cmp_eq_u32_e32 vcc, 0, v3
	v_cmp_gt_i32_e64 s[8:9], s19, v1
	s_and_b64 s[10:11], vcc, s[8:9]
	;;#ASMSTART
	v_max_f32 v2, v4, v4 row_half_mirror row_mask:0xf bank_mask:0xf bound_ctrl:1
	;;#ASMEND
	s_and_saveexec_b64 s[8:9], s[10:11]
	s_cbranch_execz .LBB780_22
; %bb.21:
	s_load_dwordx2 s[10:11], s[4:5], 0x8
	v_mul_f32_e32 v2, 0x3e2aaaab, v2
	v_lshrrev_b32_e32 v3, 23, v2
	v_and_b32_e32 v4, 0x7f800000, v2
	v_and_b32_e32 v2, 0x7fffff, v2
	v_cmp_ne_u32_e32 vcc, 0, v2
	s_waitcnt lgkmcnt(0)
	s_mul_i32 s16, s25, s6
	s_mov_b32 s14, 0x7f800000
	v_addc_co_u32_e32 v2, vcc, 0, v3, vcc
	s_mul_hi_i32 s15, s25, s6
	s_add_u32 s10, s10, s16
	v_cmp_ne_u32_e32 vcc, s14, v4
	s_addc_u32 s11, s11, s15
	v_lshrrev_b32_e32 v5, 3, v0
	v_cndmask_b32_e32 v4, -1, v2, vcc
	v_pk_mov_b32 v[2:3], s[10:11], s[10:11] op_sel:[0,1]
	v_mad_i64_i32 v[2:3], s[10:11], s26, v5, v[2:3]
	global_store_byte v[2:3], v4, off
.LBB780_22:
	s_or_b64 exec, exec, s[8:9]
	s_and_saveexec_b64 s[8:9], s[2:3]
	s_cbranch_execz .LBB780_24
; %bb.23:
	s_load_dwordx2 s[2:3], s[4:5], 0x0
	s_waitcnt lgkmcnt(0)
	s_mul_i32 s11, s24, s6
	s_mul_hi_i32 s10, s24, s6
	v_mov_b32_e32 v2, 0
	v_lshlrev_b32_e32 v4, 3, v0
	s_add_u32 s24, s2, s11
	s_addc_u32 s2, s3, s10
	s_lshr_b32 s3, s19, 31
	s_add_i32 s3, s19, s3
	s_ashr_i32 s3, s3, 1
	s_add_i32 s3, s3, 3
	s_ashr_i32 s10, s3, 31
	s_lshr_b32 s10, s10, 30
	s_add_i32 s3, s3, s10
	s_and_b32 s26, s3, -4
	s_and_b32 s25, s2, 0xffff
	s_mov_b32 s27, 0x20000
	v_mov_b32_e32 v3, v2
	buffer_store_dwordx2 v[2:3], v4, s[24:27], 0 offen
	;;#ASMSTART
	s_nop 0
	;;#ASMEND
.LBB780_24:
	s_or_b64 exec, exec, s[8:9]
	s_cmp_lt_i32 s20, 1
	s_cbranch_scc1 .LBB780_12
.LBB780_25:
	s_load_dword s2, s[4:5], 0x94
	s_waitcnt lgkmcnt(0)
	s_cmp_lg_u32 s2, 1
	s_cbranch_scc1 .LBB780_12
; %bb.26:
	s_lshl_b32 s2, s20, 1
	s_add_i32 s2, s2, 2
	v_cmp_gt_u32_e32 vcc, s20, v1
	s_and_b32 s14, s2, -4
	v_mov_b32_e32 v18, 0
	v_lshlrev_b32_e32 v1, 5, v0
	v_mov_b32_e32 v14, 0
	v_mov_b32_e32 v15, 0
	;; [unrolled: 1-line block ×8, first 2 shown]
	s_waitcnt vmcnt(1)
	v_mov_b32_e32 v6, 0
	v_mov_b32_e32 v7, 0
	;; [unrolled: 1-line block ×4, first 2 shown]
	s_waitcnt vmcnt(0)
	v_mov_b32_e32 v2, 0
	v_mov_b32_e32 v3, 0
	;; [unrolled: 1-line block ×4, first 2 shown]
	s_barrier
	s_and_saveexec_b64 s[2:3], vcc
	s_cbranch_execz .LBB780_28
; %bb.27:
	s_mul_hi_i32 s5, s22, s6
	s_mul_i32 s4, s22, s6
	s_and_b32 s13, s13, 0xffff
	s_lshl_b64 s[4:5], s[4:5], 1
	s_add_u32 s8, s30, s4
	s_mov_b32 s15, 0x20000
	s_addc_u32 s4, s31, s5
	s_and_b32 s9, s4, 0xffff
	s_mov_b32 s10, s14
	s_mov_b32 s11, s15
	buffer_load_dwordx4 v[14:17], v1, s[8:11], 0 offen
	buffer_load_dwordx4 v[10:13], v1, s[8:11], 16 offen
	;; [unrolled: 1-line block ×4, first 2 shown]
.LBB780_28:
	s_or_b64 exec, exec, s[2:3]
	v_mov_b32_e32 v19, 0
	v_mov_b32_e32 v32, 0
	;; [unrolled: 1-line block ×15, first 2 shown]
	s_and_saveexec_b64 s[2:3], vcc
	s_cbranch_execz .LBB780_30
; %bb.29:
	s_waitcnt vmcnt(3)
	v_cvt_f32_u32_sdwa v18, v14 dst_sel:DWORD dst_unused:UNUSED_PAD src0_sel:WORD_0
	v_cvt_f32_u32_sdwa v19, v14 dst_sel:DWORD dst_unused:UNUSED_PAD src0_sel:WORD_1
	v_cvt_f32_u32_sdwa v32, v15 dst_sel:DWORD dst_unused:UNUSED_PAD src0_sel:WORD_0
	v_cvt_f32_u32_sdwa v33, v15 dst_sel:DWORD dst_unused:UNUSED_PAD src0_sel:WORD_1
	v_cvt_f32_u32_sdwa v30, v16 dst_sel:DWORD dst_unused:UNUSED_PAD src0_sel:WORD_0
	v_cvt_f32_u32_sdwa v31, v16 dst_sel:DWORD dst_unused:UNUSED_PAD src0_sel:WORD_1
	v_cvt_f32_u32_sdwa v28, v17 dst_sel:DWORD dst_unused:UNUSED_PAD src0_sel:WORD_0
	v_cvt_f32_u32_sdwa v29, v17 dst_sel:DWORD dst_unused:UNUSED_PAD src0_sel:WORD_1
	s_waitcnt vmcnt(2)
	v_cvt_f32_u32_sdwa v26, v10 dst_sel:DWORD dst_unused:UNUSED_PAD src0_sel:WORD_0
	v_cvt_f32_u32_sdwa v27, v10 dst_sel:DWORD dst_unused:UNUSED_PAD src0_sel:WORD_1
	v_cvt_f32_u32_sdwa v24, v11 dst_sel:DWORD dst_unused:UNUSED_PAD src0_sel:WORD_0
	v_cvt_f32_u32_sdwa v25, v11 dst_sel:DWORD dst_unused:UNUSED_PAD src0_sel:WORD_1
	;; [unrolled: 2-line block ×4, first 2 shown]
.LBB780_30:
	s_or_b64 exec, exec, s[2:3]
	s_waitcnt vmcnt(2)
	v_mul_f32_e32 v10, v19, v19
	v_fmac_f32_e32 v10, v18, v18
	v_fmac_f32_e32 v10, v32, v32
	v_fmac_f32_e32 v10, v33, v33
	v_fmac_f32_e32 v10, v30, v30
	v_fmac_f32_e32 v10, v31, v31
	v_fmac_f32_e32 v10, v28, v28
	v_fmac_f32_e32 v10, v29, v29
	v_fmac_f32_e32 v10, v26, v26
	v_fmac_f32_e32 v10, v27, v27
	v_fmac_f32_e32 v10, v24, v24
	v_fmac_f32_e32 v10, v25, v25
	v_fmac_f32_e32 v10, v22, v22
	v_fmac_f32_e32 v10, v23, v23
	v_fmac_f32_e32 v10, v20, v20
	v_fmac_f32_e32 v10, v21, v21
	s_nop 1
	v_mov_b32_dpp v11, v10 quad_perm:[1,0,3,2] row_mask:0xf bank_mask:0xf
	v_add_f32_e32 v10, v10, v11
	s_nop 1
	v_mov_b32_dpp v11, v10 quad_perm:[2,3,0,1] row_mask:0xf bank_mask:0xf
	v_add_f32_e32 v10, v10, v11
	s_nop 1
	v_mov_b32_dpp v11, v10 row_half_mirror row_mask:0xf bank_mask:0xf
	v_add_f32_e32 v10, v10, v11
	s_nop 1
	v_mov_b32_dpp v11, v10 row_mirror row_mask:0xf bank_mask:0xf
	v_add_f32_e32 v10, v10, v11
	s_nop 1
	v_mov_b32_dpp v11, v10 row_bcast:15 row_mask:0xf bank_mask:0xf
	v_add_f32_e32 v10, v10, v11
	s_nop 1
	v_mov_b32_dpp v11, v10 row_bcast:31 row_mask:0xf bank_mask:0xf
	s_and_saveexec_b64 s[2:3], s[0:1]
	s_cbranch_execz .LBB780_32
; %bb.31:
	v_lshrrev_b32_e32 v0, 4, v0
	v_add_f32_e32 v10, v10, v11
	v_and_b32_e32 v0, 60, v0
	ds_write_b32 v0, v10
.LBB780_32:
	s_or_b64 exec, exec, s[2:3]
	s_waitcnt lgkmcnt(0)
	s_barrier
	ds_read_b32 v0, v34
	s_waitcnt lgkmcnt(0)
	s_nop 0
	v_mov_b32_dpp v10, v0 quad_perm:[1,0,3,2] row_mask:0xf bank_mask:0xf
	v_add_f32_e32 v0, v0, v10
	s_nop 1
	v_mov_b32_dpp v10, v0 quad_perm:[2,3,0,1] row_mask:0xf bank_mask:0xf
	s_and_saveexec_b64 s[0:1], vcc
	s_cbranch_execz .LBB780_12
; %bb.33:
	v_cvt_f32_u32_e32 v11, s20
	v_add_f32_e32 v0, v0, v10
	s_mov_b32 s15, 0x20000
	v_div_scale_f32 v10, s[0:1], v11, v11, v0
	v_rcp_f32_e32 v12, v10
	v_div_scale_f32 v13, vcc, v0, v11, v0
	s_mov_b32 s0, 0x800000
	v_fma_f32 v14, -v10, v12, 1.0
	v_fmac_f32_e32 v12, v14, v12
	v_mul_f32_e32 v14, v13, v12
	v_fma_f32 v15, -v10, v14, v13
	v_fmac_f32_e32 v14, v15, v12
	v_fma_f32 v10, -v10, v14, v13
	v_div_fmas_f32 v10, v10, v12, v14
	v_div_fixup_f32 v0, v10, v11, v0
	v_add_f32_e32 v0, s17, v0
	v_mul_f32_e32 v10, 0x4b800000, v0
	v_cmp_gt_f32_e32 vcc, s0, v0
	v_cndmask_b32_e32 v0, v0, v10, vcc
	v_rsq_f32_e32 v0, v0
	s_mul_hi_i32 s1, s7, s6
	s_mul_i32 s0, s7, s6
	s_lshl_b64 s[0:1], s[0:1], 1
	v_mul_f32_e32 v10, 0x45800000, v0
	v_cndmask_b32_e32 v10, v0, v10, vcc
	v_mov_b32_e32 v11, v10
	;;#ASMSTART
	v_pk_mul_f32 v[12:13], v[18:19], v[10:11]
	;;#ASMEND
	;;#ASMSTART
	v_pk_mul_f32 v[14:15], v[32:33], v[10:11]
	;;#ASMEND
	;; [unrolled: 3-line block ×4, first 2 shown]
	s_waitcnt vmcnt(1)
	v_cvt_f32_u32_sdwa v29, v6 dst_sel:DWORD dst_unused:UNUSED_PAD src0_sel:WORD_1
	v_cvt_f32_u32_sdwa v28, v6 dst_sel:DWORD dst_unused:UNUSED_PAD src0_sel:WORD_0
	v_cvt_f32_u32_sdwa v31, v7 dst_sel:DWORD dst_unused:UNUSED_PAD src0_sel:WORD_1
	v_cvt_f32_u32_sdwa v30, v7 dst_sel:DWORD dst_unused:UNUSED_PAD src0_sel:WORD_0
	;;#ASMSTART
	v_pk_mul_f32 v[26:27], v[26:27], v[10:11]
	;;#ASMEND
	;;#ASMSTART
	v_pk_mul_f32 v[24:25], v[24:25], v[10:11]
	;;#ASMEND
	;; [unrolled: 3-line block ×4, first 2 shown]
	v_cvt_f32_u32_sdwa v21, v8 dst_sel:DWORD dst_unused:UNUSED_PAD src0_sel:WORD_1
	v_cvt_f32_u32_sdwa v20, v8 dst_sel:DWORD dst_unused:UNUSED_PAD src0_sel:WORD_0
	v_pk_add_f32 v[10:11], v[28:29], 1.0 op_sel_hi:[1,0]
	;;#ASMSTART
	v_pk_mul_f32 v[10:11], v[12:13], v[10:11]
	;;#ASMEND
	v_pk_add_f32 v[12:13], v[30:31], 1.0 op_sel_hi:[1,0]
	v_cvt_f32_u32_sdwa v29, v9 dst_sel:DWORD dst_unused:UNUSED_PAD src0_sel:WORD_1
	v_cvt_f32_u32_sdwa v28, v9 dst_sel:DWORD dst_unused:UNUSED_PAD src0_sel:WORD_0
	;;#ASMSTART
	v_pk_mul_f32 v[8:9], v[14:15], v[12:13]
	;;#ASMEND
	v_pk_add_f32 v[12:13], v[20:21], 1.0 op_sel_hi:[1,0]
	;;#ASMSTART
	v_pk_mul_f32 v[12:13], v[16:17], v[12:13]
	;;#ASMEND
	s_waitcnt vmcnt(0)
	v_cvt_f32_u32_sdwa v17, v2 dst_sel:DWORD dst_unused:UNUSED_PAD src0_sel:WORD_1
	v_cvt_f32_u32_sdwa v16, v2 dst_sel:DWORD dst_unused:UNUSED_PAD src0_sel:WORD_0
	v_cvt_f32_u32_sdwa v21, v3 dst_sel:DWORD dst_unused:UNUSED_PAD src0_sel:WORD_1
	v_cvt_f32_u32_sdwa v20, v3 dst_sel:DWORD dst_unused:UNUSED_PAD src0_sel:WORD_0
	v_pk_add_f32 v[14:15], v[28:29], 1.0 op_sel_hi:[1,0]
	;;#ASMSTART
	v_pk_mul_f32 v[14:15], v[18:19], v[14:15]
	;;#ASMEND
	v_pk_add_f32 v[2:3], v[16:17], 1.0 op_sel_hi:[1,0]
	v_cvt_f32_u32_sdwa v19, v4 dst_sel:DWORD dst_unused:UNUSED_PAD src0_sel:WORD_1
	v_cvt_f32_u32_sdwa v18, v4 dst_sel:DWORD dst_unused:UNUSED_PAD src0_sel:WORD_0
	;;#ASMSTART
	v_pk_mul_f32 v[16:17], v[26:27], v[2:3]
	;;#ASMEND
	v_pk_add_f32 v[2:3], v[20:21], 1.0 op_sel_hi:[1,0]
	v_cvt_f32_u32_sdwa v21, v5 dst_sel:DWORD dst_unused:UNUSED_PAD src0_sel:WORD_1
	v_cvt_f32_u32_sdwa v20, v5 dst_sel:DWORD dst_unused:UNUSED_PAD src0_sel:WORD_0
	s_add_u32 s12, s28, s0
	;;#ASMSTART
	v_pk_mul_f32 v[24:25], v[24:25], v[2:3]
	;;#ASMEND
	v_pk_add_f32 v[2:3], v[18:19], 1.0 op_sel_hi:[1,0]
	s_addc_u32 s0, s29, s1
	;;#ASMSTART
	v_pk_mul_f32 v[18:19], v[22:23], v[2:3]
	;;#ASMEND
	v_pk_add_f32 v[2:3], v[20:21], 1.0 op_sel_hi:[1,0]
	s_and_b32 s13, s0, 0xffff
	s_mov_b32 s0, 0x7060302
	;;#ASMSTART
	v_pk_mul_f32 v[6:7], v[6:7], v[2:3]
	;;#ASMEND
	v_perm_b32 v2, v11, v10, s0
	v_perm_b32 v3, v9, v8, s0
	v_perm_b32 v4, v13, v12, s0
	v_perm_b32 v5, v15, v14, s0
	buffer_store_dwordx4 v[2:5], v1, s[12:15], 0 offen
	;;#ASMSTART
	s_nop 0
	;;#ASMEND
	s_nop 0
	v_perm_b32 v2, v17, v16, s0
	v_perm_b32 v3, v25, v24, s0
	;; [unrolled: 1-line block ×4, first 2 shown]
	buffer_store_dwordx4 v[2:5], v1, s[12:15], 16 offen
	;;#ASMSTART
	s_nop 0
	;;#ASMEND
	s_endpgm
	.section	.rodata,"a",@progbits
	.p2align	6, 0x0
	.amdhsa_kernel _ZN5aiter35fused_qk_rmsnorm_group_quant_kernelItN4opus5fp4_tELi256ELi16ELi8ELb0ELb1ELb1ELb0ELb0ELb0EEEvPT0_PvPT_S7_S7_PKS6_S9_S9_S9_S9_ffiiiiiiiiiiiii
		.amdhsa_group_segment_fixed_size 32
		.amdhsa_private_segment_fixed_size 0
		.amdhsa_kernarg_size 400
		.amdhsa_user_sgpr_count 6
		.amdhsa_user_sgpr_private_segment_buffer 1
		.amdhsa_user_sgpr_dispatch_ptr 0
		.amdhsa_user_sgpr_queue_ptr 0
		.amdhsa_user_sgpr_kernarg_segment_ptr 1
		.amdhsa_user_sgpr_dispatch_id 0
		.amdhsa_user_sgpr_flat_scratch_init 0
		.amdhsa_user_sgpr_kernarg_preload_length 0
		.amdhsa_user_sgpr_kernarg_preload_offset 0
		.amdhsa_user_sgpr_private_segment_size 0
		.amdhsa_uses_dynamic_stack 0
		.amdhsa_system_sgpr_private_segment_wavefront_offset 0
		.amdhsa_system_sgpr_workgroup_id_x 1
		.amdhsa_system_sgpr_workgroup_id_y 1
		.amdhsa_system_sgpr_workgroup_id_z 0
		.amdhsa_system_sgpr_workgroup_info 0
		.amdhsa_system_vgpr_workitem_id 0
		.amdhsa_next_free_vgpr 35
		.amdhsa_next_free_sgpr 36
		.amdhsa_accum_offset 36
		.amdhsa_reserve_vcc 1
		.amdhsa_reserve_flat_scratch 0
		.amdhsa_float_round_mode_32 0
		.amdhsa_float_round_mode_16_64 0
		.amdhsa_float_denorm_mode_32 3
		.amdhsa_float_denorm_mode_16_64 3
		.amdhsa_dx10_clamp 1
		.amdhsa_ieee_mode 1
		.amdhsa_fp16_overflow 0
		.amdhsa_tg_split 0
		.amdhsa_exception_fp_ieee_invalid_op 0
		.amdhsa_exception_fp_denorm_src 0
		.amdhsa_exception_fp_ieee_div_zero 0
		.amdhsa_exception_fp_ieee_overflow 0
		.amdhsa_exception_fp_ieee_underflow 0
		.amdhsa_exception_fp_ieee_inexact 0
		.amdhsa_exception_int_div_zero 0
	.end_amdhsa_kernel
	.section	.text._ZN5aiter35fused_qk_rmsnorm_group_quant_kernelItN4opus5fp4_tELi256ELi16ELi8ELb0ELb1ELb1ELb0ELb0ELb0EEEvPT0_PvPT_S7_S7_PKS6_S9_S9_S9_S9_ffiiiiiiiiiiiii,"axG",@progbits,_ZN5aiter35fused_qk_rmsnorm_group_quant_kernelItN4opus5fp4_tELi256ELi16ELi8ELb0ELb1ELb1ELb0ELb0ELb0EEEvPT0_PvPT_S7_S7_PKS6_S9_S9_S9_S9_ffiiiiiiiiiiiii,comdat
.Lfunc_end780:
	.size	_ZN5aiter35fused_qk_rmsnorm_group_quant_kernelItN4opus5fp4_tELi256ELi16ELi8ELb0ELb1ELb1ELb0ELb0ELb0EEEvPT0_PvPT_S7_S7_PKS6_S9_S9_S9_S9_ffiiiiiiiiiiiii, .Lfunc_end780-_ZN5aiter35fused_qk_rmsnorm_group_quant_kernelItN4opus5fp4_tELi256ELi16ELi8ELb0ELb1ELb1ELb0ELb0ELb0EEEvPT0_PvPT_S7_S7_PKS6_S9_S9_S9_S9_ffiiiiiiiiiiiii
                                        ; -- End function
	.section	.AMDGPU.csdata,"",@progbits
; Kernel info:
; codeLenInByte = 3448
; NumSgprs: 40
; NumVgprs: 35
; NumAgprs: 0
; TotalNumVgprs: 35
; ScratchSize: 0
; MemoryBound: 0
; FloatMode: 240
; IeeeMode: 1
; LDSByteSize: 32 bytes/workgroup (compile time only)
; SGPRBlocks: 4
; VGPRBlocks: 4
; NumSGPRsForWavesPerEU: 40
; NumVGPRsForWavesPerEU: 35
; AccumOffset: 36
; Occupancy: 8
; WaveLimiterHint : 0
; COMPUTE_PGM_RSRC2:SCRATCH_EN: 0
; COMPUTE_PGM_RSRC2:USER_SGPR: 6
; COMPUTE_PGM_RSRC2:TRAP_HANDLER: 0
; COMPUTE_PGM_RSRC2:TGID_X_EN: 1
; COMPUTE_PGM_RSRC2:TGID_Y_EN: 1
; COMPUTE_PGM_RSRC2:TGID_Z_EN: 0
; COMPUTE_PGM_RSRC2:TIDIG_COMP_CNT: 0
; COMPUTE_PGM_RSRC3_GFX90A:ACCUM_OFFSET: 8
; COMPUTE_PGM_RSRC3_GFX90A:TG_SPLIT: 0
	.section	.text._ZN5aiter35fused_qk_rmsnorm_group_quant_kernelIDF16_DB8_Li256ELi16ELi8ELb0ELb1ELb0ELb0ELb0ELb0EEEvPT0_PvPT_S6_S6_PKS5_S8_S8_S8_S8_ffiiiiiiiiiiiii,"axG",@progbits,_ZN5aiter35fused_qk_rmsnorm_group_quant_kernelIDF16_DB8_Li256ELi16ELi8ELb0ELb1ELb0ELb0ELb0ELb0EEEvPT0_PvPT_S6_S6_PKS5_S8_S8_S8_S8_ffiiiiiiiiiiiii,comdat
	.protected	_ZN5aiter35fused_qk_rmsnorm_group_quant_kernelIDF16_DB8_Li256ELi16ELi8ELb0ELb1ELb0ELb0ELb0ELb0EEEvPT0_PvPT_S6_S6_PKS5_S8_S8_S8_S8_ffiiiiiiiiiiiii ; -- Begin function _ZN5aiter35fused_qk_rmsnorm_group_quant_kernelIDF16_DB8_Li256ELi16ELi8ELb0ELb1ELb0ELb0ELb0ELb0EEEvPT0_PvPT_S6_S6_PKS5_S8_S8_S8_S8_ffiiiiiiiiiiiii
	.globl	_ZN5aiter35fused_qk_rmsnorm_group_quant_kernelIDF16_DB8_Li256ELi16ELi8ELb0ELb1ELb0ELb0ELb0ELb0EEEvPT0_PvPT_S6_S6_PKS5_S8_S8_S8_S8_ffiiiiiiiiiiiii
	.p2align	8
	.type	_ZN5aiter35fused_qk_rmsnorm_group_quant_kernelIDF16_DB8_Li256ELi16ELi8ELb0ELb1ELb0ELb0ELb0ELb0EEEvPT0_PvPT_S6_S6_PKS5_S8_S8_S8_S8_ffiiiiiiiiiiiii,@function
_ZN5aiter35fused_qk_rmsnorm_group_quant_kernelIDF16_DB8_Li256ELi16ELi8ELb0ELb1ELb0ELb0ELb0ELb0EEEvPT0_PvPT_S6_S6_PKS5_S8_S8_S8_S8_ffiiiiiiiiiiiii: ; @_ZN5aiter35fused_qk_rmsnorm_group_quant_kernelIDF16_DB8_Li256ELi16ELi8ELb0ELb1ELb0ELb0ELb0ELb0EEEvPT0_PvPT_S6_S6_PKS5_S8_S8_S8_S8_ffiiiiiiiiiiiii
; %bb.0:
	s_load_dwordx4 s[16:19], s[4:5], 0x50
	s_waitcnt lgkmcnt(0)
	s_cmp_ge_i32 s6, s18
	s_cbranch_scc1 .LBB781_12
; %bb.1:
	s_load_dwordx2 s[12:13], s[4:5], 0x48
	s_load_dwordx2 s[30:31], s[4:5], 0x30
	s_load_dwordx4 s[20:23], s[4:5], 0x60
	s_cmp_lg_u32 s7, 0
	s_cselect_b64 s[14:15], -1, 0
	s_cmp_eq_u32 s7, 0
	s_cselect_b64 vcc, -1, 0
	s_and_b64 s[0:1], vcc, exec
	s_waitcnt lgkmcnt(0)
	s_cselect_b32 s7, s19, s20
	s_add_i32 s0, s7, 1
	s_lshr_b32 s1, s0, 31
	s_add_i32 s0, s0, s1
	s_lshl_b32 s0, s0, 1
	v_lshlrev_b32_e32 v1, 4, v0
	s_and_b32 s10, s0, -4
	v_cmp_gt_i32_e64 s[2:3], s7, v1
	v_mov_b32_e32 v18, 0
	v_mov_b32_e32 v6, 0
	;; [unrolled: 1-line block ×17, first 2 shown]
	s_and_saveexec_b64 s[0:1], s[2:3]
	s_cbranch_execz .LBB781_3
; %bb.2:
	s_load_dwordx2 s[8:9], s[4:5], 0x28
	s_load_dwordx2 s[26:27], s[4:5], 0x40
	s_and_b64 s[24:25], vcc, exec
	s_cselect_b32 s11, s21, s22
	v_lshlrev_b32_e32 v19, 5, v0
	s_waitcnt lgkmcnt(0)
	s_cselect_b32 s18, s9, s31
	s_cselect_b32 s21, s8, s30
	s_mul_hi_i32 s9, s11, s6
	s_mul_i32 s8, s11, s6
	s_lshl_b64 s[8:9], s[8:9], 1
	s_add_u32 s24, s21, s8
	s_addc_u32 s18, s18, s9
	s_and_b64 s[8:9], vcc, exec
	s_mov_b32 s11, 0x20000
	s_cselect_b32 s8, s26, s12
	s_cselect_b32 s9, s27, s13
	s_and_b32 s25, s18, 0xffff
	s_mov_b32 s26, s10
	s_mov_b32 s27, s11
	s_and_b32 s9, s9, 0xffff
	buffer_load_dwordx4 v[14:17], v19, s[24:27], 0 offen
	buffer_load_dwordx4 v[10:13], v19, s[24:27], 16 offen
	buffer_load_dwordx4 v[6:9], v19, s[8:11], 0 offen
	buffer_load_dwordx4 v[2:5], v19, s[8:11], 16 offen
.LBB781_3:
	s_or_b64 exec, exec, s[0:1]
	v_mov_b32_e32 v19, 0
	v_mov_b32_e32 v32, 0
	;; [unrolled: 1-line block ×15, first 2 shown]
	s_and_saveexec_b64 s[0:1], s[2:3]
	s_cbranch_execz .LBB781_5
; %bb.4:
	s_waitcnt vmcnt(3)
	v_cvt_f32_f16_sdwa v19, v14 dst_sel:DWORD dst_unused:UNUSED_PAD src0_sel:WORD_1
	v_cvt_f32_f16_e32 v18, v14
	v_cvt_f32_f16_sdwa v33, v15 dst_sel:DWORD dst_unused:UNUSED_PAD src0_sel:WORD_1
	v_cvt_f32_f16_e32 v32, v15
	;; [unrolled: 2-line block ×4, first 2 shown]
	s_waitcnt vmcnt(2)
	v_cvt_f32_f16_sdwa v31, v10 dst_sel:DWORD dst_unused:UNUSED_PAD src0_sel:WORD_1
	v_cvt_f32_f16_e32 v30, v10
	v_cvt_f32_f16_sdwa v29, v11 dst_sel:DWORD dst_unused:UNUSED_PAD src0_sel:WORD_1
	v_cvt_f32_f16_e32 v28, v11
	;; [unrolled: 2-line block ×4, first 2 shown]
.LBB781_5:
	s_or_b64 exec, exec, s[0:1]
	s_waitcnt vmcnt(2)
	v_mul_f32_e32 v10, v19, v19
	v_fmac_f32_e32 v10, v18, v18
	v_fmac_f32_e32 v10, v32, v32
	;; [unrolled: 1-line block ×15, first 2 shown]
	v_and_b32_e32 v12, 63, v0
	v_cmp_eq_u32_e64 s[0:1], 63, v12
	v_mov_b32_dpp v11, v10 quad_perm:[1,0,3,2] row_mask:0xf bank_mask:0xf
	v_add_f32_e32 v10, v10, v11
	s_nop 1
	v_mov_b32_dpp v11, v10 quad_perm:[2,3,0,1] row_mask:0xf bank_mask:0xf
	v_add_f32_e32 v10, v10, v11
	s_nop 1
	v_mov_b32_dpp v11, v10 row_half_mirror row_mask:0xf bank_mask:0xf
	v_add_f32_e32 v10, v10, v11
	s_nop 1
	v_mov_b32_dpp v11, v10 row_mirror row_mask:0xf bank_mask:0xf
	v_add_f32_e32 v10, v10, v11
	s_nop 1
	v_mov_b32_dpp v11, v10 row_bcast:15 row_mask:0xf bank_mask:0xf
	v_add_f32_e32 v10, v10, v11
	s_nop 1
	v_mov_b32_dpp v11, v10 row_bcast:31 row_mask:0xf bank_mask:0xf
	s_and_saveexec_b64 s[8:9], s[0:1]
	s_cbranch_execz .LBB781_7
; %bb.6:
	v_add_f32_e32 v10, v10, v11
	v_lshrrev_b32_e32 v11, 4, v0
	v_and_b32_e32 v11, 60, v11
	ds_write_b32 v11, v10 offset:16
.LBB781_7:
	s_or_b64 exec, exec, s[8:9]
	v_and_b32_e32 v10, 3, v0
	v_lshlrev_b32_e32 v34, 2, v10
	s_waitcnt lgkmcnt(0)
	s_barrier
	ds_read_b32 v10, v34 offset:16
	s_load_dwordx2 s[28:29], s[4:5], 0x18
	s_waitcnt lgkmcnt(0)
	v_mov_b32_dpp v11, v10 quad_perm:[1,0,3,2] row_mask:0xf bank_mask:0xf
	v_add_f32_e32 v10, v10, v11
	s_nop 1
	v_mov_b32_dpp v11, v10 quad_perm:[2,3,0,1] row_mask:0xf bank_mask:0xf
	s_and_saveexec_b64 s[8:9], s[2:3]
	s_cbranch_execz .LBB781_9
; %bb.8:
	v_cvt_f32_u32_e32 v12, s7
	v_add_f32_e32 v10, v10, v11
	v_mov_b32_e32 v14, s17
	v_mov_b32_e32 v15, s16
	v_div_scale_f32 v11, s[24:25], v12, v12, v10
	v_rcp_f32_e32 v13, v11
	v_cndmask_b32_e32 v14, v14, v15, vcc
	s_mov_b32 s7, 0x800000
	s_waitcnt vmcnt(1)
	v_cvt_f32_f16_sdwa v37, v9 dst_sel:DWORD dst_unused:UNUSED_PAD src0_sel:WORD_1
	v_fma_f32 v15, -v11, v13, 1.0
	v_fmac_f32_e32 v13, v15, v13
	v_div_scale_f32 v15, vcc, v10, v12, v10
	v_mul_f32_e32 v16, v15, v13
	v_fma_f32 v17, -v11, v16, v15
	v_fmac_f32_e32 v16, v17, v13
	v_fma_f32 v11, -v11, v16, v15
	v_div_fmas_f32 v11, v11, v13, v16
	v_div_fixup_f32 v10, v11, v12, v10
	v_add_f32_e32 v10, v14, v10
	v_mul_f32_e32 v11, 0x4b800000, v10
	v_cmp_gt_f32_e32 vcc, s7, v10
	v_cndmask_b32_e32 v10, v10, v11, vcc
	v_rsq_f32_e32 v10, v10
	v_cvt_f32_f16_e32 v36, v9
	s_waitcnt vmcnt(0)
	v_cvt_f32_f16_sdwa v9, v3 dst_sel:DWORD dst_unused:UNUSED_PAD src0_sel:WORD_1
	v_mul_f32_e32 v11, 0x45800000, v10
	v_cndmask_b32_e32 v10, v10, v11, vcc
	v_mov_b32_e32 v11, v10
	;;#ASMSTART
	v_pk_mul_f32 v[12:13], v[18:19], v[10:11]
	;;#ASMEND
	;;#ASMSTART
	v_pk_mul_f32 v[14:15], v[32:33], v[10:11]
	;;#ASMEND
	;; [unrolled: 3-line block ×8, first 2 shown]
	v_cvt_f32_f16_sdwa v19, v6 dst_sel:DWORD dst_unused:UNUSED_PAD src0_sel:WORD_1
	v_cvt_f32_f16_e32 v18, v6
	v_cvt_f32_f16_sdwa v21, v7 dst_sel:DWORD dst_unused:UNUSED_PAD src0_sel:WORD_1
	v_cvt_f32_f16_e32 v20, v7
	;; [unrolled: 2-line block ×3, first 2 shown]
	;;#ASMSTART
	v_pk_mul_f32 v[18:19], v[12:13], v[18:19]
	;;#ASMEND
	;;#ASMSTART
	v_pk_mul_f32 v[32:33], v[14:15], v[20:21]
	;;#ASMEND
	;; [unrolled: 3-line block ×4, first 2 shown]
	v_cvt_f32_f16_sdwa v7, v2 dst_sel:DWORD dst_unused:UNUSED_PAD src0_sel:WORD_1
	v_cvt_f32_f16_e32 v6, v2
	v_cvt_f32_f16_e32 v8, v3
	v_cvt_f32_f16_sdwa v3, v4 dst_sel:DWORD dst_unused:UNUSED_PAD src0_sel:WORD_1
	v_cvt_f32_f16_e32 v2, v4
	v_cvt_f32_f16_sdwa v13, v5 dst_sel:DWORD dst_unused:UNUSED_PAD src0_sel:WORD_1
	v_cvt_f32_f16_e32 v12, v5
	;;#ASMSTART
	v_pk_mul_f32 v[30:31], v[30:31], v[6:7]
	;;#ASMEND
	;;#ASMSTART
	v_pk_mul_f32 v[28:29], v[28:29], v[8:9]
	;;#ASMEND
	;; [unrolled: 3-line block ×4, first 2 shown]
.LBB781_9:
	s_or_b64 exec, exec, s[8:9]
	s_load_dword s7, s[4:5], 0x80
	s_mov_b64 s[8:9], -1
	s_and_b64 vcc, exec, s[14:15]
	s_cbranch_vccnz .LBB781_13
; %bb.10:
	s_andn2_b64 vcc, exec, s[8:9]
	s_cbranch_vccz .LBB781_16
.LBB781_11:
	s_cmp_lt_i32 s20, 1
	s_cbranch_scc0 .LBB781_25
.LBB781_12:
	s_endpgm
.LBB781_13:
	s_and_saveexec_b64 s[14:15], s[2:3]
	s_cbranch_execz .LBB781_15
; %bb.14:
	s_waitcnt lgkmcnt(0)
	s_mul_hi_i32 s9, s7, s6
	s_mul_i32 s8, s7, s6
	s_waitcnt vmcnt(0)
	v_cvt_f16_f32_e32 v2, v18
	v_cvt_f16_f32_e32 v3, v32
	;; [unrolled: 1-line block ×8, first 2 shown]
	s_lshl_b64 s[8:9], s[8:9], 1
	s_add_u32 s8, s28, s8
	s_addc_u32 s9, s29, s9
	s_and_b32 s9, s9, 0xffff
	s_mov_b32 s11, 0x20000
	v_pack_b32_f16 v5, v5, v6
	v_pack_b32_f16 v4, v4, v7
	;; [unrolled: 1-line block ×4, first 2 shown]
	v_lshlrev_b32_e32 v6, 5, v0
	buffer_store_dwordx4 v[2:5], v6, s[8:11], 0 offen
	v_cvt_f16_f32_e32 v7, v21
	v_cvt_f16_f32_e32 v2, v30
	;; [unrolled: 1-line block ×8, first 2 shown]
	v_pack_b32_f16 v5, v5, v7
	v_pack_b32_f16 v4, v4, v8
	;; [unrolled: 1-line block ×4, first 2 shown]
	;;#ASMSTART
	s_nop 0
	;;#ASMEND
	buffer_store_dwordx4 v[2:5], v6, s[8:11], 16 offen
	;;#ASMSTART
	s_nop 0
	;;#ASMEND
.LBB781_15:
	s_or_b64 exec, exec, s[14:15]
	s_cbranch_execnz .LBB781_11
.LBB781_16:
	s_load_dwordx4 s[24:27], s[4:5], 0x70
	s_waitcnt vmcnt(0)
	v_mov_b32_e32 v2, 0
	s_and_saveexec_b64 s[14:15], s[2:3]
	s_cbranch_execz .LBB781_18
; %bb.17:
	s_load_dwordx2 s[8:9], s[4:5], 0x10
	s_waitcnt lgkmcnt(0)
	s_mul_hi_i32 s35, s27, s6
	s_mul_i32 s34, s27, s6
	v_cvt_f16_f32_e32 v2, v18
	v_cvt_f16_f32_e32 v3, v32
	v_cvt_f16_f32_e32 v4, v26
	v_cvt_f16_f32_e32 v5, v24
	v_cvt_f16_f32_e32 v6, v25
	v_cvt_f16_f32_e32 v7, v27
	v_cvt_f16_f32_e32 v8, v33
	v_cvt_f16_f32_e32 v9, v19
	s_lshl_b64 s[34:35], s[34:35], 1
	s_add_u32 s8, s8, s34
	s_addc_u32 s9, s9, s35
	s_mov_b32 s11, 0x20000
	s_and_b32 s9, s9, 0xffff
	v_pack_b32_f16 v5, v5, v6
	v_pack_b32_f16 v4, v4, v7
	;; [unrolled: 1-line block ×4, first 2 shown]
	v_lshlrev_b32_e32 v6, 5, v0
	buffer_store_dwordx4 v[2:5], v6, s[8:11], 0 offen
	v_cvt_f16_f32_e32 v7, v21
	v_cvt_f16_f32_e32 v2, v30
	;; [unrolled: 1-line block ×8, first 2 shown]
	v_pack_b32_f16 v5, v5, v7
	v_pack_b32_f16 v4, v4, v8
	;; [unrolled: 1-line block ×4, first 2 shown]
	;;#ASMSTART
	s_nop 0
	;;#ASMEND
	buffer_store_dwordx4 v[2:5], v6, s[8:11], 16 offen
	;;#ASMSTART
	s_nop 0
	;;#ASMEND
	s_nop 0
	v_mov_b32_e32 v2, 0x2edbe6ff
.LBB781_18:
	s_or_b64 exec, exec, s[14:15]
	s_and_saveexec_b64 s[8:9], s[2:3]
	s_cbranch_execz .LBB781_20
; %bb.19:
	v_and_b32_e32 v3, 0x7fffffff, v18
	v_and_b32_e32 v4, 0x7fffffff, v19
	;;#ASMSTART
	v_max3_f32 v2, v2, v3, v4

	;;#ASMEND
	v_and_b32_e32 v3, 0x7fffffff, v32
	v_and_b32_e32 v4, 0x7fffffff, v33
	;;#ASMSTART
	v_max3_f32 v2, v2, v3, v4

	;;#ASMEND
	;; [unrolled: 6-line block ×8, first 2 shown]
.LBB781_20:
	s_or_b64 exec, exec, s[8:9]
	;;#ASMSTART
	v_max_f32 v3, v2, v2 quad_perm:[1,0,3,2] row_mask:0xf bank_mask:0xf bound_ctrl:1
	;;#ASMEND
	;;#ASMSTART
	v_max_f32 v2, v3, v3 quad_perm:[2,3,0,1] row_mask:0xf bank_mask:0xf bound_ctrl:1
	;;#ASMEND
	;;#ASMSTART
	v_max_f32 v3, v2, v2 row_half_mirror row_mask:0xf bank_mask:0xf bound_ctrl:1
	;;#ASMEND
	v_mul_f32_e32 v2, 0x3b124925, v3
	v_and_b32_e32 v3, 7, v0
	v_cmp_eq_u32_e32 vcc, 0, v3
	v_cmp_gt_i32_e64 s[8:9], s19, v1
	s_and_b64 s[10:11], vcc, s[8:9]
	s_and_saveexec_b64 s[8:9], s[10:11]
	s_cbranch_execz .LBB781_22
; %bb.21:
	s_load_dwordx2 s[10:11], s[4:5], 0x8
	s_waitcnt lgkmcnt(0)
	s_mul_hi_i32 s15, s25, s6
	s_mul_i32 s14, s25, s6
	v_lshrrev_b32_e32 v3, 3, v0
	s_lshl_b64 s[14:15], s[14:15], 2
	v_mad_i64_i32 v[4:5], s[26:27], s26, v3, 0
	s_add_u32 s10, s10, s14
	s_addc_u32 s11, s11, s15
	v_lshlrev_b64 v[4:5], 2, v[4:5]
	v_mov_b32_e32 v3, s11
	v_add_co_u32_e32 v4, vcc, s10, v4
	v_addc_co_u32_e32 v5, vcc, v3, v5, vcc
	global_store_dword v[4:5], v2, off
.LBB781_22:
	s_or_b64 exec, exec, s[8:9]
	;;#ASMSTART
	v_rcp_f32 v2, v2
	;;#ASMEND
	s_and_saveexec_b64 s[14:15], s[2:3]
	s_cbranch_execz .LBB781_24
; %bb.23:
	s_load_dwordx2 s[2:3], s[4:5], 0x0
	s_waitcnt lgkmcnt(0)
	s_mul_i32 s8, s24, s6
	s_mul_hi_i32 s9, s24, s6
	v_mov_b32_e32 v3, v2
	;;#ASMSTART
	v_pk_mul_f32 v[4:5], v[18:19], v[2:3]
	;;#ASMEND
	s_add_u32 s8, s2, s8
	s_addc_u32 s2, s3, s9
	s_add_i32 s3, s19, 3
	s_ashr_i32 s10, s3, 31
	v_mov_b32_e32 v10, 0xc3e00000
	v_mov_b32_e32 v11, 0x43e00000
	;;#ASMSTART
	v_med3_f32 v4, v4, v10, v11
v_med3_f32 v5, v5, v10, v11
v_cvt_pk_fp8_f32 v6, v4, v5
	;;#ASMEND
	s_and_b32 s9, s2, 0xffff
	s_lshr_b32 s2, s10, 30
	;;#ASMSTART
	v_pk_mul_f32 v[4:5], v[32:33], v[2:3]
	;;#ASMEND
	s_add_i32 s3, s3, s2
	;;#ASMSTART
	v_med3_f32 v4, v4, v10, v11
v_med3_f32 v5, v5, v10, v11
v_cvt_pk_fp8_f32 v7, v4, v5
	;;#ASMEND
	s_mov_b32 s2, 0x5040100
	v_perm_b32 v4, v7, v6, s2
	s_mov_b32 s2, 0x1060504
	v_perm_b32 v4, v4, v7, s2
	;;#ASMSTART
	v_pk_mul_f32 v[6:7], v[26:27], v[2:3]
	;;#ASMEND
	v_mov_b32_e32 v5, v6
	;;#ASMSTART
	v_med3_f32 v5, v5, v10, v11
v_med3_f32 v7, v7, v10, v11
v_cvt_pk_fp8_f32 v8, v5, v7
	;;#ASMEND
	;;#ASMSTART
	v_pk_mul_f32 v[6:7], v[24:25], v[2:3]
	;;#ASMEND
	v_mov_b32_e32 v5, v7
	;;#ASMSTART
	v_med3_f32 v6, v6, v10, v11
v_med3_f32 v5, v5, v10, v11
v_cvt_pk_fp8_f32 v7, v6, v5
	;;#ASMEND
	s_mov_b32 s2, 0x1000504
	v_perm_b32 v5, v8, v7, s2
	;;#ASMSTART
	v_pk_mul_f32 v[6:7], v[30:31], v[2:3]
	;;#ASMEND
	;;#ASMSTART
	v_med3_f32 v6, v6, v10, v11
v_med3_f32 v7, v7, v10, v11
v_cvt_pk_fp8_f32 v8, v6, v7
	;;#ASMEND
	;;#ASMSTART
	v_pk_mul_f32 v[6:7], v[28:29], v[2:3]
	;;#ASMEND
	;;#ASMSTART
	v_med3_f32 v6, v6, v10, v11
v_med3_f32 v7, v7, v10, v11
v_cvt_pk_fp8_f32 v9, v6, v7
	;;#ASMEND
	v_perm_b32 v6, v8, v9, s2
	;;#ASMSTART
	v_pk_mul_f32 v[8:9], v[22:23], v[2:3]
	;;#ASMEND
	v_mov_b32_e32 v7, v8
	;;#ASMSTART
	v_med3_f32 v7, v7, v10, v11
v_med3_f32 v9, v9, v10, v11
v_cvt_pk_fp8_f32 v8, v7, v9
	;;#ASMEND
	;;#ASMSTART
	v_pk_mul_f32 v[2:3], v[20:21], v[2:3]
	;;#ASMEND
	;;#ASMSTART
	v_med3_f32 v2, v2, v10, v11
v_med3_f32 v3, v3, v10, v11
v_cvt_pk_fp8_f32 v7, v2, v3
	;;#ASMEND
	s_and_b32 s10, s3, -4
	s_mov_b32 s11, 0x20000
	v_perm_b32 v7, v8, v7, s2
	buffer_store_dwordx4 v[4:7], v1, s[8:11], 0 offen
	;;#ASMSTART
	s_nop 0
	;;#ASMEND
.LBB781_24:
	s_or_b64 exec, exec, s[14:15]
	s_cmp_lt_i32 s20, 1
	s_cbranch_scc1 .LBB781_12
.LBB781_25:
	s_load_dword s2, s[4:5], 0x94
	s_waitcnt lgkmcnt(0)
	s_cmp_lg_u32 s2, 1
	s_cbranch_scc1 .LBB781_12
; %bb.26:
	s_lshl_b32 s2, s20, 1
	s_add_i32 s2, s2, 2
	v_cmp_gt_u32_e32 vcc, s20, v1
	s_and_b32 s14, s2, -4
	v_mov_b32_e32 v18, 0
	v_lshlrev_b32_e32 v1, 5, v0
	v_mov_b32_e32 v14, 0
	v_mov_b32_e32 v15, 0
	;; [unrolled: 1-line block ×8, first 2 shown]
	s_waitcnt vmcnt(1)
	v_mov_b32_e32 v6, 0
	v_mov_b32_e32 v7, 0
	;; [unrolled: 1-line block ×4, first 2 shown]
	s_waitcnt vmcnt(0)
	v_mov_b32_e32 v2, 0
	v_mov_b32_e32 v3, 0
	;; [unrolled: 1-line block ×4, first 2 shown]
	s_barrier
	s_and_saveexec_b64 s[2:3], vcc
	s_cbranch_execz .LBB781_28
; %bb.27:
	s_mul_hi_i32 s5, s22, s6
	s_mul_i32 s4, s22, s6
	s_and_b32 s13, s13, 0xffff
	s_lshl_b64 s[4:5], s[4:5], 1
	s_add_u32 s8, s30, s4
	s_mov_b32 s15, 0x20000
	s_addc_u32 s4, s31, s5
	s_and_b32 s9, s4, 0xffff
	s_mov_b32 s10, s14
	s_mov_b32 s11, s15
	buffer_load_dwordx4 v[14:17], v1, s[8:11], 0 offen
	buffer_load_dwordx4 v[10:13], v1, s[8:11], 16 offen
	buffer_load_dwordx4 v[6:9], v1, s[12:15], 0 offen
	buffer_load_dwordx4 v[2:5], v1, s[12:15], 16 offen
.LBB781_28:
	s_or_b64 exec, exec, s[2:3]
	v_mov_b32_e32 v19, 0
	v_mov_b32_e32 v32, 0
	;; [unrolled: 1-line block ×15, first 2 shown]
	s_and_saveexec_b64 s[2:3], vcc
	s_cbranch_execz .LBB781_30
; %bb.29:
	s_waitcnt vmcnt(3)
	v_cvt_f32_f16_sdwa v19, v14 dst_sel:DWORD dst_unused:UNUSED_PAD src0_sel:WORD_1
	v_cvt_f32_f16_e32 v18, v14
	v_cvt_f32_f16_sdwa v33, v15 dst_sel:DWORD dst_unused:UNUSED_PAD src0_sel:WORD_1
	v_cvt_f32_f16_e32 v32, v15
	;; [unrolled: 2-line block ×4, first 2 shown]
	s_waitcnt vmcnt(2)
	v_cvt_f32_f16_sdwa v27, v10 dst_sel:DWORD dst_unused:UNUSED_PAD src0_sel:WORD_1
	v_cvt_f32_f16_e32 v26, v10
	v_cvt_f32_f16_sdwa v25, v11 dst_sel:DWORD dst_unused:UNUSED_PAD src0_sel:WORD_1
	v_cvt_f32_f16_e32 v24, v11
	;; [unrolled: 2-line block ×4, first 2 shown]
.LBB781_30:
	s_or_b64 exec, exec, s[2:3]
	s_waitcnt vmcnt(2)
	v_mul_f32_e32 v10, v19, v19
	v_fmac_f32_e32 v10, v18, v18
	v_fmac_f32_e32 v10, v32, v32
	;; [unrolled: 1-line block ×15, first 2 shown]
	s_nop 1
	v_mov_b32_dpp v11, v10 quad_perm:[1,0,3,2] row_mask:0xf bank_mask:0xf
	v_add_f32_e32 v10, v10, v11
	s_nop 1
	v_mov_b32_dpp v11, v10 quad_perm:[2,3,0,1] row_mask:0xf bank_mask:0xf
	v_add_f32_e32 v10, v10, v11
	s_nop 1
	v_mov_b32_dpp v11, v10 row_half_mirror row_mask:0xf bank_mask:0xf
	v_add_f32_e32 v10, v10, v11
	s_nop 1
	v_mov_b32_dpp v11, v10 row_mirror row_mask:0xf bank_mask:0xf
	v_add_f32_e32 v10, v10, v11
	s_nop 1
	v_mov_b32_dpp v11, v10 row_bcast:15 row_mask:0xf bank_mask:0xf
	v_add_f32_e32 v10, v10, v11
	s_nop 1
	v_mov_b32_dpp v11, v10 row_bcast:31 row_mask:0xf bank_mask:0xf
	s_and_saveexec_b64 s[2:3], s[0:1]
	s_cbranch_execz .LBB781_32
; %bb.31:
	v_lshrrev_b32_e32 v0, 4, v0
	v_add_f32_e32 v10, v10, v11
	v_and_b32_e32 v0, 60, v0
	ds_write_b32 v0, v10
.LBB781_32:
	s_or_b64 exec, exec, s[2:3]
	s_waitcnt lgkmcnt(0)
	s_barrier
	ds_read_b32 v0, v34
	s_waitcnt lgkmcnt(0)
	s_nop 0
	v_mov_b32_dpp v10, v0 quad_perm:[1,0,3,2] row_mask:0xf bank_mask:0xf
	v_add_f32_e32 v0, v0, v10
	s_nop 1
	v_mov_b32_dpp v10, v0 quad_perm:[2,3,0,1] row_mask:0xf bank_mask:0xf
	s_and_saveexec_b64 s[0:1], vcc
	s_cbranch_execz .LBB781_12
; %bb.33:
	v_cvt_f32_u32_e32 v11, s20
	v_add_f32_e32 v0, v0, v10
	s_mov_b32 s15, 0x20000
	v_div_scale_f32 v10, s[0:1], v11, v11, v0
	v_rcp_f32_e32 v12, v10
	v_div_scale_f32 v13, vcc, v0, v11, v0
	s_mov_b32 s0, 0x800000
	v_fma_f32 v14, -v10, v12, 1.0
	v_fmac_f32_e32 v12, v14, v12
	v_mul_f32_e32 v14, v13, v12
	v_fma_f32 v15, -v10, v14, v13
	v_fmac_f32_e32 v14, v15, v12
	v_fma_f32 v10, -v10, v14, v13
	v_div_fmas_f32 v10, v10, v12, v14
	v_div_fixup_f32 v0, v10, v11, v0
	v_add_f32_e32 v0, s17, v0
	v_mul_f32_e32 v10, 0x4b800000, v0
	v_cmp_gt_f32_e32 vcc, s0, v0
	v_cndmask_b32_e32 v0, v0, v10, vcc
	v_rsq_f32_e32 v0, v0
	s_mul_hi_i32 s1, s7, s6
	s_mul_i32 s0, s7, s6
	s_lshl_b64 s[0:1], s[0:1], 1
	v_mul_f32_e32 v10, 0x45800000, v0
	v_cndmask_b32_e32 v10, v0, v10, vcc
	v_mov_b32_e32 v11, v10
	;;#ASMSTART
	v_pk_mul_f32 v[12:13], v[18:19], v[10:11]
	;;#ASMEND
	;;#ASMSTART
	v_pk_mul_f32 v[14:15], v[32:33], v[10:11]
	;;#ASMEND
	;; [unrolled: 3-line block ×8, first 2 shown]
	s_waitcnt vmcnt(1)
	v_cvt_f32_f16_sdwa v21, v6 dst_sel:DWORD dst_unused:UNUSED_PAD src0_sel:WORD_1
	v_cvt_f32_f16_e32 v20, v6
	v_cvt_f32_f16_sdwa v29, v7 dst_sel:DWORD dst_unused:UNUSED_PAD src0_sel:WORD_1
	v_cvt_f32_f16_e32 v28, v7
	v_cvt_f32_f16_sdwa v7, v8 dst_sel:DWORD dst_unused:UNUSED_PAD src0_sel:WORD_1
	v_cvt_f32_f16_e32 v6, v8
	v_cvt_f32_f16_sdwa v31, v9 dst_sel:DWORD dst_unused:UNUSED_PAD src0_sel:WORD_1
	v_cvt_f32_f16_e32 v30, v9
	;;#ASMSTART
	v_pk_mul_f32 v[8:9], v[12:13], v[20:21]
	;;#ASMEND
	;;#ASMSTART
	v_pk_mul_f32 v[12:13], v[14:15], v[28:29]
	;;#ASMEND
	;; [unrolled: 3-line block ×4, first 2 shown]
	s_waitcnt vmcnt(0)
	v_cvt_f32_f16_sdwa v17, v2 dst_sel:DWORD dst_unused:UNUSED_PAD src0_sel:WORD_1
	v_cvt_f32_f16_e32 v16, v2
	v_cvt_f32_f16_sdwa v19, v3 dst_sel:DWORD dst_unused:UNUSED_PAD src0_sel:WORD_1
	v_cvt_f32_f16_e32 v18, v3
	;; [unrolled: 2-line block ×4, first 2 shown]
	;;#ASMSTART
	v_pk_mul_f32 v[16:17], v[26:27], v[16:17]
	;;#ASMEND
	;;#ASMSTART
	v_pk_mul_f32 v[18:19], v[24:25], v[18:19]
	;;#ASMEND
	;; [unrolled: 3-line block ×3, first 2 shown]
	v_cvt_f16_f32_e32 v0, v8
	v_cvt_f16_f32_e32 v2, v9
	;; [unrolled: 1-line block ×8, first 2 shown]
	s_add_u32 s12, s28, s0
	s_addc_u32 s0, s29, s1
	s_and_b32 s13, s0, 0xffff
	v_pack_b32_f16 v2, v0, v2
	v_pack_b32_f16 v3, v3, v4
	;; [unrolled: 1-line block ×4, first 2 shown]
	;;#ASMSTART
	v_pk_mul_f32 v[10:11], v[10:11], v[20:21]
	;;#ASMEND
	buffer_store_dwordx4 v[2:5], v1, s[12:15], 0 offen
	v_cvt_f16_f32_e32 v0, v16
	v_cvt_f16_f32_e32 v2, v17
	;; [unrolled: 1-line block ×8, first 2 shown]
	v_pack_b32_f16 v2, v0, v2
	v_pack_b32_f16 v3, v3, v4
	v_pack_b32_f16 v4, v5, v6
	v_pack_b32_f16 v5, v7, v8
	;;#ASMSTART
	s_nop 0
	;;#ASMEND
	buffer_store_dwordx4 v[2:5], v1, s[12:15], 16 offen
	;;#ASMSTART
	s_nop 0
	;;#ASMEND
	s_endpgm
	.section	.rodata,"a",@progbits
	.p2align	6, 0x0
	.amdhsa_kernel _ZN5aiter35fused_qk_rmsnorm_group_quant_kernelIDF16_DB8_Li256ELi16ELi8ELb0ELb1ELb0ELb0ELb0ELb0EEEvPT0_PvPT_S6_S6_PKS5_S8_S8_S8_S8_ffiiiiiiiiiiiii
		.amdhsa_group_segment_fixed_size 32
		.amdhsa_private_segment_fixed_size 0
		.amdhsa_kernarg_size 400
		.amdhsa_user_sgpr_count 6
		.amdhsa_user_sgpr_private_segment_buffer 1
		.amdhsa_user_sgpr_dispatch_ptr 0
		.amdhsa_user_sgpr_queue_ptr 0
		.amdhsa_user_sgpr_kernarg_segment_ptr 1
		.amdhsa_user_sgpr_dispatch_id 0
		.amdhsa_user_sgpr_flat_scratch_init 0
		.amdhsa_user_sgpr_kernarg_preload_length 0
		.amdhsa_user_sgpr_kernarg_preload_offset 0
		.amdhsa_user_sgpr_private_segment_size 0
		.amdhsa_uses_dynamic_stack 0
		.amdhsa_system_sgpr_private_segment_wavefront_offset 0
		.amdhsa_system_sgpr_workgroup_id_x 1
		.amdhsa_system_sgpr_workgroup_id_y 1
		.amdhsa_system_sgpr_workgroup_id_z 0
		.amdhsa_system_sgpr_workgroup_info 0
		.amdhsa_system_vgpr_workitem_id 0
		.amdhsa_next_free_vgpr 38
		.amdhsa_next_free_sgpr 36
		.amdhsa_accum_offset 40
		.amdhsa_reserve_vcc 1
		.amdhsa_reserve_flat_scratch 0
		.amdhsa_float_round_mode_32 0
		.amdhsa_float_round_mode_16_64 0
		.amdhsa_float_denorm_mode_32 3
		.amdhsa_float_denorm_mode_16_64 3
		.amdhsa_dx10_clamp 1
		.amdhsa_ieee_mode 1
		.amdhsa_fp16_overflow 0
		.amdhsa_tg_split 0
		.amdhsa_exception_fp_ieee_invalid_op 0
		.amdhsa_exception_fp_denorm_src 0
		.amdhsa_exception_fp_ieee_div_zero 0
		.amdhsa_exception_fp_ieee_overflow 0
		.amdhsa_exception_fp_ieee_underflow 0
		.amdhsa_exception_fp_ieee_inexact 0
		.amdhsa_exception_int_div_zero 0
	.end_amdhsa_kernel
	.section	.text._ZN5aiter35fused_qk_rmsnorm_group_quant_kernelIDF16_DB8_Li256ELi16ELi8ELb0ELb1ELb0ELb0ELb0ELb0EEEvPT0_PvPT_S6_S6_PKS5_S8_S8_S8_S8_ffiiiiiiiiiiiii,"axG",@progbits,_ZN5aiter35fused_qk_rmsnorm_group_quant_kernelIDF16_DB8_Li256ELi16ELi8ELb0ELb1ELb0ELb0ELb0ELb0EEEvPT0_PvPT_S6_S6_PKS5_S8_S8_S8_S8_ffiiiiiiiiiiiii,comdat
.Lfunc_end781:
	.size	_ZN5aiter35fused_qk_rmsnorm_group_quant_kernelIDF16_DB8_Li256ELi16ELi8ELb0ELb1ELb0ELb0ELb0ELb0EEEvPT0_PvPT_S6_S6_PKS5_S8_S8_S8_S8_ffiiiiiiiiiiiii, .Lfunc_end781-_ZN5aiter35fused_qk_rmsnorm_group_quant_kernelIDF16_DB8_Li256ELi16ELi8ELb0ELb1ELb0ELb0ELb0ELb0EEEvPT0_PvPT_S6_S6_PKS5_S8_S8_S8_S8_ffiiiiiiiiiiiii
                                        ; -- End function
	.section	.AMDGPU.csdata,"",@progbits
; Kernel info:
; codeLenInByte = 3656
; NumSgprs: 40
; NumVgprs: 38
; NumAgprs: 0
; TotalNumVgprs: 38
; ScratchSize: 0
; MemoryBound: 0
; FloatMode: 240
; IeeeMode: 1
; LDSByteSize: 32 bytes/workgroup (compile time only)
; SGPRBlocks: 4
; VGPRBlocks: 4
; NumSGPRsForWavesPerEU: 40
; NumVGPRsForWavesPerEU: 38
; AccumOffset: 40
; Occupancy: 8
; WaveLimiterHint : 0
; COMPUTE_PGM_RSRC2:SCRATCH_EN: 0
; COMPUTE_PGM_RSRC2:USER_SGPR: 6
; COMPUTE_PGM_RSRC2:TRAP_HANDLER: 0
; COMPUTE_PGM_RSRC2:TGID_X_EN: 1
; COMPUTE_PGM_RSRC2:TGID_Y_EN: 1
; COMPUTE_PGM_RSRC2:TGID_Z_EN: 0
; COMPUTE_PGM_RSRC2:TIDIG_COMP_CNT: 0
; COMPUTE_PGM_RSRC3_GFX90A:ACCUM_OFFSET: 9
; COMPUTE_PGM_RSRC3_GFX90A:TG_SPLIT: 0
	.section	.text._ZN5aiter35fused_qk_rmsnorm_group_quant_kernelItDB8_Li256ELi16ELi8ELb0ELb1ELb0ELb0ELb0ELb0EEEvPT0_PvPT_S6_S6_PKS5_S8_S8_S8_S8_ffiiiiiiiiiiiii,"axG",@progbits,_ZN5aiter35fused_qk_rmsnorm_group_quant_kernelItDB8_Li256ELi16ELi8ELb0ELb1ELb0ELb0ELb0ELb0EEEvPT0_PvPT_S6_S6_PKS5_S8_S8_S8_S8_ffiiiiiiiiiiiii,comdat
	.protected	_ZN5aiter35fused_qk_rmsnorm_group_quant_kernelItDB8_Li256ELi16ELi8ELb0ELb1ELb0ELb0ELb0ELb0EEEvPT0_PvPT_S6_S6_PKS5_S8_S8_S8_S8_ffiiiiiiiiiiiii ; -- Begin function _ZN5aiter35fused_qk_rmsnorm_group_quant_kernelItDB8_Li256ELi16ELi8ELb0ELb1ELb0ELb0ELb0ELb0EEEvPT0_PvPT_S6_S6_PKS5_S8_S8_S8_S8_ffiiiiiiiiiiiii
	.globl	_ZN5aiter35fused_qk_rmsnorm_group_quant_kernelItDB8_Li256ELi16ELi8ELb0ELb1ELb0ELb0ELb0ELb0EEEvPT0_PvPT_S6_S6_PKS5_S8_S8_S8_S8_ffiiiiiiiiiiiii
	.p2align	8
	.type	_ZN5aiter35fused_qk_rmsnorm_group_quant_kernelItDB8_Li256ELi16ELi8ELb0ELb1ELb0ELb0ELb0ELb0EEEvPT0_PvPT_S6_S6_PKS5_S8_S8_S8_S8_ffiiiiiiiiiiiii,@function
_ZN5aiter35fused_qk_rmsnorm_group_quant_kernelItDB8_Li256ELi16ELi8ELb0ELb1ELb0ELb0ELb0ELb0EEEvPT0_PvPT_S6_S6_PKS5_S8_S8_S8_S8_ffiiiiiiiiiiiii: ; @_ZN5aiter35fused_qk_rmsnorm_group_quant_kernelItDB8_Li256ELi16ELi8ELb0ELb1ELb0ELb0ELb0ELb0EEEvPT0_PvPT_S6_S6_PKS5_S8_S8_S8_S8_ffiiiiiiiiiiiii
; %bb.0:
	s_load_dwordx4 s[16:19], s[4:5], 0x50
	s_waitcnt lgkmcnt(0)
	s_cmp_ge_i32 s6, s18
	s_cbranch_scc1 .LBB782_12
; %bb.1:
	s_load_dwordx2 s[12:13], s[4:5], 0x48
	s_load_dwordx2 s[30:31], s[4:5], 0x30
	s_load_dwordx4 s[20:23], s[4:5], 0x60
	s_cmp_lg_u32 s7, 0
	s_cselect_b64 s[14:15], -1, 0
	s_cmp_eq_u32 s7, 0
	s_cselect_b64 vcc, -1, 0
	s_and_b64 s[0:1], vcc, exec
	s_waitcnt lgkmcnt(0)
	s_cselect_b32 s7, s19, s20
	s_add_i32 s0, s7, 1
	s_lshr_b32 s1, s0, 31
	s_add_i32 s0, s0, s1
	s_lshl_b32 s0, s0, 1
	v_lshlrev_b32_e32 v1, 4, v0
	s_and_b32 s10, s0, -4
	v_cmp_gt_i32_e64 s[2:3], s7, v1
	v_mov_b32_e32 v18, 0
	v_mov_b32_e32 v6, 0
	v_mov_b32_e32 v7, 0
	v_mov_b32_e32 v8, 0
	v_mov_b32_e32 v9, 0
	v_mov_b32_e32 v2, 0
	v_mov_b32_e32 v3, 0
	v_mov_b32_e32 v4, 0
	v_mov_b32_e32 v5, 0
	v_mov_b32_e32 v14, 0
	v_mov_b32_e32 v15, 0
	v_mov_b32_e32 v16, 0
	v_mov_b32_e32 v17, 0
	v_mov_b32_e32 v10, 0
	v_mov_b32_e32 v11, 0
	v_mov_b32_e32 v12, 0
	v_mov_b32_e32 v13, 0
	s_and_saveexec_b64 s[0:1], s[2:3]
	s_cbranch_execz .LBB782_3
; %bb.2:
	s_load_dwordx2 s[8:9], s[4:5], 0x28
	s_load_dwordx2 s[26:27], s[4:5], 0x40
	s_and_b64 s[24:25], vcc, exec
	s_cselect_b32 s11, s21, s22
	v_lshlrev_b32_e32 v19, 5, v0
	s_waitcnt lgkmcnt(0)
	s_cselect_b32 s18, s9, s31
	s_cselect_b32 s21, s8, s30
	s_mul_hi_i32 s9, s11, s6
	s_mul_i32 s8, s11, s6
	s_lshl_b64 s[8:9], s[8:9], 1
	s_add_u32 s24, s21, s8
	s_addc_u32 s18, s18, s9
	s_and_b64 s[8:9], vcc, exec
	s_mov_b32 s11, 0x20000
	s_cselect_b32 s8, s26, s12
	s_cselect_b32 s9, s27, s13
	s_and_b32 s25, s18, 0xffff
	s_mov_b32 s26, s10
	s_mov_b32 s27, s11
	s_and_b32 s9, s9, 0xffff
	buffer_load_dwordx4 v[14:17], v19, s[24:27], 0 offen
	buffer_load_dwordx4 v[10:13], v19, s[24:27], 16 offen
	;; [unrolled: 1-line block ×4, first 2 shown]
.LBB782_3:
	s_or_b64 exec, exec, s[0:1]
	v_mov_b32_e32 v19, 0
	v_mov_b32_e32 v32, 0
	;; [unrolled: 1-line block ×15, first 2 shown]
	s_and_saveexec_b64 s[0:1], s[2:3]
	s_cbranch_execz .LBB782_5
; %bb.4:
	s_waitcnt vmcnt(3)
	v_cvt_f32_u32_sdwa v18, v14 dst_sel:DWORD dst_unused:UNUSED_PAD src0_sel:WORD_0
	v_cvt_f32_u32_sdwa v19, v14 dst_sel:DWORD dst_unused:UNUSED_PAD src0_sel:WORD_1
	v_cvt_f32_u32_sdwa v32, v15 dst_sel:DWORD dst_unused:UNUSED_PAD src0_sel:WORD_0
	v_cvt_f32_u32_sdwa v33, v15 dst_sel:DWORD dst_unused:UNUSED_PAD src0_sel:WORD_1
	;; [unrolled: 2-line block ×4, first 2 shown]
	s_waitcnt vmcnt(2)
	v_cvt_f32_u32_sdwa v30, v10 dst_sel:DWORD dst_unused:UNUSED_PAD src0_sel:WORD_0
	v_cvt_f32_u32_sdwa v31, v10 dst_sel:DWORD dst_unused:UNUSED_PAD src0_sel:WORD_1
	v_cvt_f32_u32_sdwa v28, v11 dst_sel:DWORD dst_unused:UNUSED_PAD src0_sel:WORD_0
	v_cvt_f32_u32_sdwa v29, v11 dst_sel:DWORD dst_unused:UNUSED_PAD src0_sel:WORD_1
	;; [unrolled: 2-line block ×4, first 2 shown]
.LBB782_5:
	s_or_b64 exec, exec, s[0:1]
	s_waitcnt vmcnt(2)
	v_mul_f32_e32 v10, v19, v19
	v_fmac_f32_e32 v10, v18, v18
	v_fmac_f32_e32 v10, v32, v32
	;; [unrolled: 1-line block ×15, first 2 shown]
	v_and_b32_e32 v12, 63, v0
	v_cmp_eq_u32_e64 s[0:1], 63, v12
	v_mov_b32_dpp v11, v10 quad_perm:[1,0,3,2] row_mask:0xf bank_mask:0xf
	v_add_f32_e32 v10, v10, v11
	s_nop 1
	v_mov_b32_dpp v11, v10 quad_perm:[2,3,0,1] row_mask:0xf bank_mask:0xf
	v_add_f32_e32 v10, v10, v11
	s_nop 1
	v_mov_b32_dpp v11, v10 row_half_mirror row_mask:0xf bank_mask:0xf
	v_add_f32_e32 v10, v10, v11
	s_nop 1
	v_mov_b32_dpp v11, v10 row_mirror row_mask:0xf bank_mask:0xf
	v_add_f32_e32 v10, v10, v11
	s_nop 1
	v_mov_b32_dpp v11, v10 row_bcast:15 row_mask:0xf bank_mask:0xf
	v_add_f32_e32 v10, v10, v11
	s_nop 1
	v_mov_b32_dpp v11, v10 row_bcast:31 row_mask:0xf bank_mask:0xf
	s_and_saveexec_b64 s[8:9], s[0:1]
	s_cbranch_execz .LBB782_7
; %bb.6:
	v_add_f32_e32 v10, v10, v11
	v_lshrrev_b32_e32 v11, 4, v0
	v_and_b32_e32 v11, 60, v11
	ds_write_b32 v11, v10 offset:16
.LBB782_7:
	s_or_b64 exec, exec, s[8:9]
	v_and_b32_e32 v10, 3, v0
	v_lshlrev_b32_e32 v34, 2, v10
	s_waitcnt lgkmcnt(0)
	s_barrier
	ds_read_b32 v10, v34 offset:16
	s_load_dwordx2 s[28:29], s[4:5], 0x18
	s_waitcnt lgkmcnt(0)
	v_mov_b32_dpp v11, v10 quad_perm:[1,0,3,2] row_mask:0xf bank_mask:0xf
	v_add_f32_e32 v10, v10, v11
	s_nop 1
	v_mov_b32_dpp v11, v10 quad_perm:[2,3,0,1] row_mask:0xf bank_mask:0xf
	s_and_saveexec_b64 s[8:9], s[2:3]
	s_cbranch_execz .LBB782_9
; %bb.8:
	v_cvt_f32_u32_e32 v12, s7
	v_add_f32_e32 v10, v10, v11
	v_mov_b32_e32 v14, s17
	v_mov_b32_e32 v15, s16
	v_div_scale_f32 v11, s[24:25], v12, v12, v10
	v_rcp_f32_e32 v13, v11
	v_cndmask_b32_e32 v14, v14, v15, vcc
	s_mov_b32 s7, 0x800000
	s_waitcnt vmcnt(1)
	v_cvt_f32_u32_sdwa v37, v9 dst_sel:DWORD dst_unused:UNUSED_PAD src0_sel:WORD_1
	v_fma_f32 v15, -v11, v13, 1.0
	v_fmac_f32_e32 v13, v15, v13
	v_div_scale_f32 v15, vcc, v10, v12, v10
	v_mul_f32_e32 v16, v15, v13
	v_fma_f32 v17, -v11, v16, v15
	v_fmac_f32_e32 v16, v17, v13
	v_fma_f32 v11, -v11, v16, v15
	v_div_fmas_f32 v11, v11, v13, v16
	v_div_fixup_f32 v10, v11, v12, v10
	v_add_f32_e32 v10, v14, v10
	v_mul_f32_e32 v11, 0x4b800000, v10
	v_cmp_gt_f32_e32 vcc, s7, v10
	v_cndmask_b32_e32 v10, v10, v11, vcc
	v_rsq_f32_e32 v10, v10
	v_cvt_f32_u32_sdwa v36, v9 dst_sel:DWORD dst_unused:UNUSED_PAD src0_sel:WORD_0
	s_waitcnt vmcnt(0)
	v_cvt_f32_u32_sdwa v9, v3 dst_sel:DWORD dst_unused:UNUSED_PAD src0_sel:WORD_1
	v_mul_f32_e32 v11, 0x45800000, v10
	v_cndmask_b32_e32 v10, v10, v11, vcc
	v_mov_b32_e32 v11, v10
	;;#ASMSTART
	v_pk_mul_f32 v[12:13], v[18:19], v[10:11]
	;;#ASMEND
	;;#ASMSTART
	v_pk_mul_f32 v[14:15], v[32:33], v[10:11]
	;;#ASMEND
	;; [unrolled: 3-line block ×8, first 2 shown]
	v_cvt_f32_u32_sdwa v19, v6 dst_sel:DWORD dst_unused:UNUSED_PAD src0_sel:WORD_1
	v_cvt_f32_u32_sdwa v18, v6 dst_sel:DWORD dst_unused:UNUSED_PAD src0_sel:WORD_0
	v_cvt_f32_u32_sdwa v21, v7 dst_sel:DWORD dst_unused:UNUSED_PAD src0_sel:WORD_1
	v_cvt_f32_u32_sdwa v20, v7 dst_sel:DWORD dst_unused:UNUSED_PAD src0_sel:WORD_0
	;; [unrolled: 2-line block ×3, first 2 shown]
	;;#ASMSTART
	v_pk_mul_f32 v[18:19], v[12:13], v[18:19]
	;;#ASMEND
	;;#ASMSTART
	v_pk_mul_f32 v[32:33], v[14:15], v[20:21]
	;;#ASMEND
	;; [unrolled: 3-line block ×4, first 2 shown]
	v_cvt_f32_u32_sdwa v7, v2 dst_sel:DWORD dst_unused:UNUSED_PAD src0_sel:WORD_1
	v_cvt_f32_u32_sdwa v6, v2 dst_sel:DWORD dst_unused:UNUSED_PAD src0_sel:WORD_0
	v_cvt_f32_u32_sdwa v8, v3 dst_sel:DWORD dst_unused:UNUSED_PAD src0_sel:WORD_0
	v_cvt_f32_u32_sdwa v3, v4 dst_sel:DWORD dst_unused:UNUSED_PAD src0_sel:WORD_1
	v_cvt_f32_u32_sdwa v2, v4 dst_sel:DWORD dst_unused:UNUSED_PAD src0_sel:WORD_0
	v_cvt_f32_u32_sdwa v13, v5 dst_sel:DWORD dst_unused:UNUSED_PAD src0_sel:WORD_1
	v_cvt_f32_u32_sdwa v12, v5 dst_sel:DWORD dst_unused:UNUSED_PAD src0_sel:WORD_0
	;;#ASMSTART
	v_pk_mul_f32 v[30:31], v[30:31], v[6:7]
	;;#ASMEND
	;;#ASMSTART
	v_pk_mul_f32 v[28:29], v[28:29], v[8:9]
	;;#ASMEND
	;;#ASMSTART
	v_pk_mul_f32 v[22:23], v[22:23], v[2:3]
	;;#ASMEND
	;;#ASMSTART
	v_pk_mul_f32 v[20:21], v[10:11], v[12:13]
	;;#ASMEND
.LBB782_9:
	s_or_b64 exec, exec, s[8:9]
	s_load_dword s7, s[4:5], 0x80
	s_mov_b64 s[8:9], -1
	s_and_b64 vcc, exec, s[14:15]
	s_cbranch_vccnz .LBB782_13
; %bb.10:
	s_andn2_b64 vcc, exec, s[8:9]
	s_cbranch_vccz .LBB782_16
.LBB782_11:
	s_cmp_lt_i32 s20, 1
	s_cbranch_scc0 .LBB782_25
.LBB782_12:
	s_endpgm
.LBB782_13:
	s_and_saveexec_b64 s[14:15], s[2:3]
	s_cbranch_execz .LBB782_15
; %bb.14:
	s_waitcnt lgkmcnt(0)
	s_mul_hi_i32 s9, s7, s6
	s_mul_i32 s8, s7, s6
	s_lshl_b64 s[8:9], s[8:9], 1
	s_add_u32 s8, s28, s8
	s_addc_u32 s9, s29, s9
	s_mov_b32 s16, 0x7060302
	s_and_b32 s9, s9, 0xffff
	s_mov_b32 s11, 0x20000
	s_waitcnt vmcnt(0)
	v_perm_b32 v5, v25, v24, s16
	v_perm_b32 v4, v27, v26, s16
	;; [unrolled: 1-line block ×4, first 2 shown]
	v_lshlrev_b32_e32 v6, 5, v0
	buffer_store_dwordx4 v[2:5], v6, s[8:11], 0 offen
	;;#ASMSTART
	s_nop 0
	;;#ASMEND
	s_nop 0
	v_perm_b32 v5, v21, v20, s16
	v_perm_b32 v4, v23, v22, s16
	v_perm_b32 v3, v29, v28, s16
	v_perm_b32 v2, v31, v30, s16
	buffer_store_dwordx4 v[2:5], v6, s[8:11], 16 offen
	;;#ASMSTART
	s_nop 0
	;;#ASMEND
.LBB782_15:
	s_or_b64 exec, exec, s[14:15]
	s_cbranch_execnz .LBB782_11
.LBB782_16:
	s_load_dwordx4 s[24:27], s[4:5], 0x70
	s_waitcnt vmcnt(0)
	v_mov_b32_e32 v2, 0
	s_and_saveexec_b64 s[14:15], s[2:3]
	s_cbranch_execz .LBB782_18
; %bb.17:
	s_load_dwordx2 s[8:9], s[4:5], 0x10
	s_waitcnt lgkmcnt(0)
	s_mul_hi_i32 s35, s27, s6
	s_mul_i32 s34, s27, s6
	s_lshl_b64 s[34:35], s[34:35], 1
	s_mov_b32 s16, 0x7060302
	s_add_u32 s8, s8, s34
	s_addc_u32 s9, s9, s35
	s_mov_b32 s11, 0x20000
	s_and_b32 s9, s9, 0xffff
	v_perm_b32 v5, v25, v24, s16
	v_perm_b32 v4, v27, v26, s16
	v_perm_b32 v3, v33, v32, s16
	v_perm_b32 v2, v19, v18, s16
	v_lshlrev_b32_e32 v6, 5, v0
	buffer_store_dwordx4 v[2:5], v6, s[8:11], 0 offen
	;;#ASMSTART
	s_nop 0
	;;#ASMEND
	s_nop 0
	v_perm_b32 v5, v21, v20, s16
	v_perm_b32 v4, v23, v22, s16
	;; [unrolled: 1-line block ×4, first 2 shown]
	buffer_store_dwordx4 v[2:5], v6, s[8:11], 16 offen
	;;#ASMSTART
	s_nop 0
	;;#ASMEND
	s_nop 0
	v_mov_b32_e32 v2, 0x2edbe6ff
.LBB782_18:
	s_or_b64 exec, exec, s[14:15]
	s_and_saveexec_b64 s[8:9], s[2:3]
	s_cbranch_execz .LBB782_20
; %bb.19:
	v_and_b32_e32 v3, 0x7fffffff, v18
	v_and_b32_e32 v4, 0x7fffffff, v19
	;;#ASMSTART
	v_max3_f32 v2, v2, v3, v4

	;;#ASMEND
	v_and_b32_e32 v3, 0x7fffffff, v32
	v_and_b32_e32 v4, 0x7fffffff, v33
	;;#ASMSTART
	v_max3_f32 v2, v2, v3, v4

	;;#ASMEND
	;; [unrolled: 6-line block ×8, first 2 shown]
.LBB782_20:
	s_or_b64 exec, exec, s[8:9]
	;;#ASMSTART
	v_max_f32 v3, v2, v2 quad_perm:[1,0,3,2] row_mask:0xf bank_mask:0xf bound_ctrl:1
	;;#ASMEND
	;;#ASMSTART
	v_max_f32 v2, v3, v3 quad_perm:[2,3,0,1] row_mask:0xf bank_mask:0xf bound_ctrl:1
	;;#ASMEND
	;;#ASMSTART
	v_max_f32 v3, v2, v2 row_half_mirror row_mask:0xf bank_mask:0xf bound_ctrl:1
	;;#ASMEND
	v_mul_f32_e32 v2, 0x3b124925, v3
	v_and_b32_e32 v3, 7, v0
	v_cmp_eq_u32_e32 vcc, 0, v3
	v_cmp_gt_i32_e64 s[8:9], s19, v1
	s_and_b64 s[10:11], vcc, s[8:9]
	s_and_saveexec_b64 s[8:9], s[10:11]
	s_cbranch_execz .LBB782_22
; %bb.21:
	s_load_dwordx2 s[10:11], s[4:5], 0x8
	s_waitcnt lgkmcnt(0)
	s_mul_hi_i32 s15, s25, s6
	s_mul_i32 s14, s25, s6
	v_lshrrev_b32_e32 v3, 3, v0
	s_lshl_b64 s[14:15], s[14:15], 2
	v_mad_i64_i32 v[4:5], s[26:27], s26, v3, 0
	s_add_u32 s10, s10, s14
	s_addc_u32 s11, s11, s15
	v_lshlrev_b64 v[4:5], 2, v[4:5]
	v_mov_b32_e32 v3, s11
	v_add_co_u32_e32 v4, vcc, s10, v4
	v_addc_co_u32_e32 v5, vcc, v3, v5, vcc
	global_store_dword v[4:5], v2, off
.LBB782_22:
	s_or_b64 exec, exec, s[8:9]
	;;#ASMSTART
	v_rcp_f32 v2, v2
	;;#ASMEND
	s_and_saveexec_b64 s[14:15], s[2:3]
	s_cbranch_execz .LBB782_24
; %bb.23:
	s_load_dwordx2 s[2:3], s[4:5], 0x0
	s_waitcnt lgkmcnt(0)
	s_mul_i32 s8, s24, s6
	s_mul_hi_i32 s9, s24, s6
	v_mov_b32_e32 v3, v2
	;;#ASMSTART
	v_pk_mul_f32 v[4:5], v[18:19], v[2:3]
	;;#ASMEND
	s_add_u32 s8, s2, s8
	s_addc_u32 s2, s3, s9
	s_add_i32 s3, s19, 3
	s_ashr_i32 s10, s3, 31
	v_mov_b32_e32 v10, 0xc3e00000
	v_mov_b32_e32 v11, 0x43e00000
	;;#ASMSTART
	v_med3_f32 v4, v4, v10, v11
v_med3_f32 v5, v5, v10, v11
v_cvt_pk_fp8_f32 v6, v4, v5
	;;#ASMEND
	s_and_b32 s9, s2, 0xffff
	s_lshr_b32 s2, s10, 30
	;;#ASMSTART
	v_pk_mul_f32 v[4:5], v[32:33], v[2:3]
	;;#ASMEND
	s_add_i32 s3, s3, s2
	;;#ASMSTART
	v_med3_f32 v4, v4, v10, v11
v_med3_f32 v5, v5, v10, v11
v_cvt_pk_fp8_f32 v7, v4, v5
	;;#ASMEND
	s_mov_b32 s2, 0x5040100
	v_perm_b32 v4, v7, v6, s2
	s_mov_b32 s2, 0x1060504
	v_perm_b32 v4, v4, v7, s2
	;;#ASMSTART
	v_pk_mul_f32 v[6:7], v[26:27], v[2:3]
	;;#ASMEND
	v_mov_b32_e32 v5, v6
	;;#ASMSTART
	v_med3_f32 v5, v5, v10, v11
v_med3_f32 v7, v7, v10, v11
v_cvt_pk_fp8_f32 v8, v5, v7
	;;#ASMEND
	;;#ASMSTART
	v_pk_mul_f32 v[6:7], v[24:25], v[2:3]
	;;#ASMEND
	v_mov_b32_e32 v5, v7
	;;#ASMSTART
	v_med3_f32 v6, v6, v10, v11
v_med3_f32 v5, v5, v10, v11
v_cvt_pk_fp8_f32 v7, v6, v5
	;;#ASMEND
	s_mov_b32 s2, 0x1000504
	v_perm_b32 v5, v8, v7, s2
	;;#ASMSTART
	v_pk_mul_f32 v[6:7], v[30:31], v[2:3]
	;;#ASMEND
	;;#ASMSTART
	v_med3_f32 v6, v6, v10, v11
v_med3_f32 v7, v7, v10, v11
v_cvt_pk_fp8_f32 v8, v6, v7
	;;#ASMEND
	;;#ASMSTART
	v_pk_mul_f32 v[6:7], v[28:29], v[2:3]
	;;#ASMEND
	;;#ASMSTART
	v_med3_f32 v6, v6, v10, v11
v_med3_f32 v7, v7, v10, v11
v_cvt_pk_fp8_f32 v9, v6, v7
	;;#ASMEND
	v_perm_b32 v6, v8, v9, s2
	;;#ASMSTART
	v_pk_mul_f32 v[8:9], v[22:23], v[2:3]
	;;#ASMEND
	v_mov_b32_e32 v7, v8
	;;#ASMSTART
	v_med3_f32 v7, v7, v10, v11
v_med3_f32 v9, v9, v10, v11
v_cvt_pk_fp8_f32 v8, v7, v9
	;;#ASMEND
	;;#ASMSTART
	v_pk_mul_f32 v[2:3], v[20:21], v[2:3]
	;;#ASMEND
	;;#ASMSTART
	v_med3_f32 v2, v2, v10, v11
v_med3_f32 v3, v3, v10, v11
v_cvt_pk_fp8_f32 v7, v2, v3
	;;#ASMEND
	s_and_b32 s10, s3, -4
	s_mov_b32 s11, 0x20000
	v_perm_b32 v7, v8, v7, s2
	buffer_store_dwordx4 v[4:7], v1, s[8:11], 0 offen
	;;#ASMSTART
	s_nop 0
	;;#ASMEND
.LBB782_24:
	s_or_b64 exec, exec, s[14:15]
	s_cmp_lt_i32 s20, 1
	s_cbranch_scc1 .LBB782_12
.LBB782_25:
	s_load_dword s2, s[4:5], 0x94
	s_waitcnt lgkmcnt(0)
	s_cmp_lg_u32 s2, 1
	s_cbranch_scc1 .LBB782_12
; %bb.26:
	s_lshl_b32 s2, s20, 1
	s_add_i32 s2, s2, 2
	v_cmp_gt_u32_e32 vcc, s20, v1
	s_and_b32 s14, s2, -4
	v_mov_b32_e32 v18, 0
	v_lshlrev_b32_e32 v1, 5, v0
	v_mov_b32_e32 v14, 0
	v_mov_b32_e32 v15, 0
	;; [unrolled: 1-line block ×8, first 2 shown]
	s_waitcnt vmcnt(1)
	v_mov_b32_e32 v6, 0
	v_mov_b32_e32 v7, 0
	;; [unrolled: 1-line block ×4, first 2 shown]
	s_waitcnt vmcnt(0)
	v_mov_b32_e32 v2, 0
	v_mov_b32_e32 v3, 0
	;; [unrolled: 1-line block ×4, first 2 shown]
	s_barrier
	s_and_saveexec_b64 s[2:3], vcc
	s_cbranch_execz .LBB782_28
; %bb.27:
	s_mul_hi_i32 s5, s22, s6
	s_mul_i32 s4, s22, s6
	s_and_b32 s13, s13, 0xffff
	s_lshl_b64 s[4:5], s[4:5], 1
	s_add_u32 s8, s30, s4
	s_mov_b32 s15, 0x20000
	s_addc_u32 s4, s31, s5
	s_and_b32 s9, s4, 0xffff
	s_mov_b32 s10, s14
	s_mov_b32 s11, s15
	buffer_load_dwordx4 v[14:17], v1, s[8:11], 0 offen
	buffer_load_dwordx4 v[10:13], v1, s[8:11], 16 offen
	;; [unrolled: 1-line block ×4, first 2 shown]
.LBB782_28:
	s_or_b64 exec, exec, s[2:3]
	v_mov_b32_e32 v19, 0
	v_mov_b32_e32 v32, 0
	;; [unrolled: 1-line block ×15, first 2 shown]
	s_and_saveexec_b64 s[2:3], vcc
	s_cbranch_execz .LBB782_30
; %bb.29:
	s_waitcnt vmcnt(3)
	v_cvt_f32_u32_sdwa v18, v14 dst_sel:DWORD dst_unused:UNUSED_PAD src0_sel:WORD_0
	v_cvt_f32_u32_sdwa v19, v14 dst_sel:DWORD dst_unused:UNUSED_PAD src0_sel:WORD_1
	v_cvt_f32_u32_sdwa v32, v15 dst_sel:DWORD dst_unused:UNUSED_PAD src0_sel:WORD_0
	v_cvt_f32_u32_sdwa v33, v15 dst_sel:DWORD dst_unused:UNUSED_PAD src0_sel:WORD_1
	;; [unrolled: 2-line block ×4, first 2 shown]
	s_waitcnt vmcnt(2)
	v_cvt_f32_u32_sdwa v26, v10 dst_sel:DWORD dst_unused:UNUSED_PAD src0_sel:WORD_0
	v_cvt_f32_u32_sdwa v27, v10 dst_sel:DWORD dst_unused:UNUSED_PAD src0_sel:WORD_1
	v_cvt_f32_u32_sdwa v24, v11 dst_sel:DWORD dst_unused:UNUSED_PAD src0_sel:WORD_0
	v_cvt_f32_u32_sdwa v25, v11 dst_sel:DWORD dst_unused:UNUSED_PAD src0_sel:WORD_1
	;; [unrolled: 2-line block ×4, first 2 shown]
.LBB782_30:
	s_or_b64 exec, exec, s[2:3]
	s_waitcnt vmcnt(2)
	v_mul_f32_e32 v10, v19, v19
	v_fmac_f32_e32 v10, v18, v18
	v_fmac_f32_e32 v10, v32, v32
	;; [unrolled: 1-line block ×15, first 2 shown]
	s_nop 1
	v_mov_b32_dpp v11, v10 quad_perm:[1,0,3,2] row_mask:0xf bank_mask:0xf
	v_add_f32_e32 v10, v10, v11
	s_nop 1
	v_mov_b32_dpp v11, v10 quad_perm:[2,3,0,1] row_mask:0xf bank_mask:0xf
	v_add_f32_e32 v10, v10, v11
	s_nop 1
	v_mov_b32_dpp v11, v10 row_half_mirror row_mask:0xf bank_mask:0xf
	v_add_f32_e32 v10, v10, v11
	s_nop 1
	v_mov_b32_dpp v11, v10 row_mirror row_mask:0xf bank_mask:0xf
	v_add_f32_e32 v10, v10, v11
	s_nop 1
	v_mov_b32_dpp v11, v10 row_bcast:15 row_mask:0xf bank_mask:0xf
	v_add_f32_e32 v10, v10, v11
	s_nop 1
	v_mov_b32_dpp v11, v10 row_bcast:31 row_mask:0xf bank_mask:0xf
	s_and_saveexec_b64 s[2:3], s[0:1]
	s_cbranch_execz .LBB782_32
; %bb.31:
	v_lshrrev_b32_e32 v0, 4, v0
	v_add_f32_e32 v10, v10, v11
	v_and_b32_e32 v0, 60, v0
	ds_write_b32 v0, v10
.LBB782_32:
	s_or_b64 exec, exec, s[2:3]
	s_waitcnt lgkmcnt(0)
	s_barrier
	ds_read_b32 v0, v34
	s_waitcnt lgkmcnt(0)
	s_nop 0
	v_mov_b32_dpp v10, v0 quad_perm:[1,0,3,2] row_mask:0xf bank_mask:0xf
	v_add_f32_e32 v0, v0, v10
	s_nop 1
	v_mov_b32_dpp v10, v0 quad_perm:[2,3,0,1] row_mask:0xf bank_mask:0xf
	s_and_saveexec_b64 s[0:1], vcc
	s_cbranch_execz .LBB782_12
; %bb.33:
	v_cvt_f32_u32_e32 v11, s20
	v_add_f32_e32 v0, v0, v10
	s_mov_b32 s15, 0x20000
	v_div_scale_f32 v10, s[0:1], v11, v11, v0
	v_rcp_f32_e32 v12, v10
	v_div_scale_f32 v13, vcc, v0, v11, v0
	s_mov_b32 s0, 0x800000
	v_fma_f32 v14, -v10, v12, 1.0
	v_fmac_f32_e32 v12, v14, v12
	v_mul_f32_e32 v14, v13, v12
	v_fma_f32 v15, -v10, v14, v13
	v_fmac_f32_e32 v14, v15, v12
	v_fma_f32 v10, -v10, v14, v13
	v_div_fmas_f32 v10, v10, v12, v14
	v_div_fixup_f32 v0, v10, v11, v0
	v_add_f32_e32 v0, s17, v0
	v_mul_f32_e32 v10, 0x4b800000, v0
	v_cmp_gt_f32_e32 vcc, s0, v0
	v_cndmask_b32_e32 v0, v0, v10, vcc
	v_rsq_f32_e32 v0, v0
	s_mul_hi_i32 s1, s7, s6
	s_mul_i32 s0, s7, s6
	s_lshl_b64 s[0:1], s[0:1], 1
	v_mul_f32_e32 v10, 0x45800000, v0
	v_cndmask_b32_e32 v10, v0, v10, vcc
	v_mov_b32_e32 v11, v10
	s_add_u32 s12, s28, s0
	;;#ASMSTART
	v_pk_mul_f32 v[12:13], v[18:19], v[10:11]
	;;#ASMEND
	;;#ASMSTART
	v_pk_mul_f32 v[14:15], v[32:33], v[10:11]
	;;#ASMEND
	;; [unrolled: 3-line block ×8, first 2 shown]
	s_waitcnt vmcnt(1)
	v_cvt_f32_u32_sdwa v21, v6 dst_sel:DWORD dst_unused:UNUSED_PAD src0_sel:WORD_1
	v_cvt_f32_u32_sdwa v20, v6 dst_sel:DWORD dst_unused:UNUSED_PAD src0_sel:WORD_0
	v_cvt_f32_u32_sdwa v29, v7 dst_sel:DWORD dst_unused:UNUSED_PAD src0_sel:WORD_1
	v_cvt_f32_u32_sdwa v28, v7 dst_sel:DWORD dst_unused:UNUSED_PAD src0_sel:WORD_0
	;; [unrolled: 2-line block ×3, first 2 shown]
	s_addc_u32 s0, s29, s1
	v_cvt_f32_u32_sdwa v31, v9 dst_sel:DWORD dst_unused:UNUSED_PAD src0_sel:WORD_1
	v_cvt_f32_u32_sdwa v30, v9 dst_sel:DWORD dst_unused:UNUSED_PAD src0_sel:WORD_0
	;;#ASMSTART
	v_pk_mul_f32 v[8:9], v[12:13], v[20:21]
	;;#ASMEND
	;;#ASMSTART
	v_pk_mul_f32 v[12:13], v[14:15], v[28:29]
	;;#ASMEND
	;;#ASMSTART
	v_pk_mul_f32 v[6:7], v[16:17], v[6:7]
	;;#ASMEND
	;;#ASMSTART
	v_pk_mul_f32 v[14:15], v[18:19], v[30:31]
	;;#ASMEND
	s_waitcnt vmcnt(0)
	v_cvt_f32_u32_sdwa v17, v2 dst_sel:DWORD dst_unused:UNUSED_PAD src0_sel:WORD_1
	v_cvt_f32_u32_sdwa v16, v2 dst_sel:DWORD dst_unused:UNUSED_PAD src0_sel:WORD_0
	v_cvt_f32_u32_sdwa v19, v3 dst_sel:DWORD dst_unused:UNUSED_PAD src0_sel:WORD_1
	v_cvt_f32_u32_sdwa v18, v3 dst_sel:DWORD dst_unused:UNUSED_PAD src0_sel:WORD_0
	;; [unrolled: 2-line block ×3, first 2 shown]
	s_and_b32 s13, s0, 0xffff
	s_mov_b32 s0, 0x7060302
	v_cvt_f32_u32_sdwa v21, v5 dst_sel:DWORD dst_unused:UNUSED_PAD src0_sel:WORD_1
	v_cvt_f32_u32_sdwa v20, v5 dst_sel:DWORD dst_unused:UNUSED_PAD src0_sel:WORD_0
	;;#ASMSTART
	v_pk_mul_f32 v[16:17], v[26:27], v[16:17]
	;;#ASMEND
	;;#ASMSTART
	v_pk_mul_f32 v[18:19], v[24:25], v[18:19]
	;;#ASMEND
	;; [unrolled: 3-line block ×3, first 2 shown]
	v_perm_b32 v2, v9, v8, s0
	v_perm_b32 v3, v13, v12, s0
	;; [unrolled: 1-line block ×4, first 2 shown]
	;;#ASMSTART
	v_pk_mul_f32 v[10:11], v[10:11], v[20:21]
	;;#ASMEND
	buffer_store_dwordx4 v[2:5], v1, s[12:15], 0 offen
	;;#ASMSTART
	s_nop 0
	;;#ASMEND
	s_nop 0
	v_perm_b32 v2, v17, v16, s0
	v_perm_b32 v3, v19, v18, s0
	;; [unrolled: 1-line block ×4, first 2 shown]
	buffer_store_dwordx4 v[2:5], v1, s[12:15], 16 offen
	;;#ASMSTART
	s_nop 0
	;;#ASMEND
	s_endpgm
	.section	.rodata,"a",@progbits
	.p2align	6, 0x0
	.amdhsa_kernel _ZN5aiter35fused_qk_rmsnorm_group_quant_kernelItDB8_Li256ELi16ELi8ELb0ELb1ELb0ELb0ELb0ELb0EEEvPT0_PvPT_S6_S6_PKS5_S8_S8_S8_S8_ffiiiiiiiiiiiii
		.amdhsa_group_segment_fixed_size 32
		.amdhsa_private_segment_fixed_size 0
		.amdhsa_kernarg_size 400
		.amdhsa_user_sgpr_count 6
		.amdhsa_user_sgpr_private_segment_buffer 1
		.amdhsa_user_sgpr_dispatch_ptr 0
		.amdhsa_user_sgpr_queue_ptr 0
		.amdhsa_user_sgpr_kernarg_segment_ptr 1
		.amdhsa_user_sgpr_dispatch_id 0
		.amdhsa_user_sgpr_flat_scratch_init 0
		.amdhsa_user_sgpr_kernarg_preload_length 0
		.amdhsa_user_sgpr_kernarg_preload_offset 0
		.amdhsa_user_sgpr_private_segment_size 0
		.amdhsa_uses_dynamic_stack 0
		.amdhsa_system_sgpr_private_segment_wavefront_offset 0
		.amdhsa_system_sgpr_workgroup_id_x 1
		.amdhsa_system_sgpr_workgroup_id_y 1
		.amdhsa_system_sgpr_workgroup_id_z 0
		.amdhsa_system_sgpr_workgroup_info 0
		.amdhsa_system_vgpr_workitem_id 0
		.amdhsa_next_free_vgpr 38
		.amdhsa_next_free_sgpr 36
		.amdhsa_accum_offset 40
		.amdhsa_reserve_vcc 1
		.amdhsa_reserve_flat_scratch 0
		.amdhsa_float_round_mode_32 0
		.amdhsa_float_round_mode_16_64 0
		.amdhsa_float_denorm_mode_32 3
		.amdhsa_float_denorm_mode_16_64 3
		.amdhsa_dx10_clamp 1
		.amdhsa_ieee_mode 1
		.amdhsa_fp16_overflow 0
		.amdhsa_tg_split 0
		.amdhsa_exception_fp_ieee_invalid_op 0
		.amdhsa_exception_fp_denorm_src 0
		.amdhsa_exception_fp_ieee_div_zero 0
		.amdhsa_exception_fp_ieee_overflow 0
		.amdhsa_exception_fp_ieee_underflow 0
		.amdhsa_exception_fp_ieee_inexact 0
		.amdhsa_exception_int_div_zero 0
	.end_amdhsa_kernel
	.section	.text._ZN5aiter35fused_qk_rmsnorm_group_quant_kernelItDB8_Li256ELi16ELi8ELb0ELb1ELb0ELb0ELb0ELb0EEEvPT0_PvPT_S6_S6_PKS5_S8_S8_S8_S8_ffiiiiiiiiiiiii,"axG",@progbits,_ZN5aiter35fused_qk_rmsnorm_group_quant_kernelItDB8_Li256ELi16ELi8ELb0ELb1ELb0ELb0ELb0ELb0EEEvPT0_PvPT_S6_S6_PKS5_S8_S8_S8_S8_ffiiiiiiiiiiiii,comdat
.Lfunc_end782:
	.size	_ZN5aiter35fused_qk_rmsnorm_group_quant_kernelItDB8_Li256ELi16ELi8ELb0ELb1ELb0ELb0ELb0ELb0EEEvPT0_PvPT_S6_S6_PKS5_S8_S8_S8_S8_ffiiiiiiiiiiiii, .Lfunc_end782-_ZN5aiter35fused_qk_rmsnorm_group_quant_kernelItDB8_Li256ELi16ELi8ELb0ELb1ELb0ELb0ELb0ELb0EEEvPT0_PvPT_S6_S6_PKS5_S8_S8_S8_S8_ffiiiiiiiiiiiii
                                        ; -- End function
	.section	.AMDGPU.csdata,"",@progbits
; Kernel info:
; codeLenInByte = 3628
; NumSgprs: 40
; NumVgprs: 38
; NumAgprs: 0
; TotalNumVgprs: 38
; ScratchSize: 0
; MemoryBound: 0
; FloatMode: 240
; IeeeMode: 1
; LDSByteSize: 32 bytes/workgroup (compile time only)
; SGPRBlocks: 4
; VGPRBlocks: 4
; NumSGPRsForWavesPerEU: 40
; NumVGPRsForWavesPerEU: 38
; AccumOffset: 40
; Occupancy: 8
; WaveLimiterHint : 0
; COMPUTE_PGM_RSRC2:SCRATCH_EN: 0
; COMPUTE_PGM_RSRC2:USER_SGPR: 6
; COMPUTE_PGM_RSRC2:TRAP_HANDLER: 0
; COMPUTE_PGM_RSRC2:TGID_X_EN: 1
; COMPUTE_PGM_RSRC2:TGID_Y_EN: 1
; COMPUTE_PGM_RSRC2:TGID_Z_EN: 0
; COMPUTE_PGM_RSRC2:TIDIG_COMP_CNT: 0
; COMPUTE_PGM_RSRC3_GFX90A:ACCUM_OFFSET: 9
; COMPUTE_PGM_RSRC3_GFX90A:TG_SPLIT: 0
	.section	.text._ZN5aiter35fused_qk_rmsnorm_group_quant_kernelIDF16_N4opus5fp4_tELi256ELi16ELi8ELb0ELb1ELb0ELb0ELb0ELb0EEEvPT0_PvPT_S7_S7_PKS6_S9_S9_S9_S9_ffiiiiiiiiiiiii,"axG",@progbits,_ZN5aiter35fused_qk_rmsnorm_group_quant_kernelIDF16_N4opus5fp4_tELi256ELi16ELi8ELb0ELb1ELb0ELb0ELb0ELb0EEEvPT0_PvPT_S7_S7_PKS6_S9_S9_S9_S9_ffiiiiiiiiiiiii,comdat
	.protected	_ZN5aiter35fused_qk_rmsnorm_group_quant_kernelIDF16_N4opus5fp4_tELi256ELi16ELi8ELb0ELb1ELb0ELb0ELb0ELb0EEEvPT0_PvPT_S7_S7_PKS6_S9_S9_S9_S9_ffiiiiiiiiiiiii ; -- Begin function _ZN5aiter35fused_qk_rmsnorm_group_quant_kernelIDF16_N4opus5fp4_tELi256ELi16ELi8ELb0ELb1ELb0ELb0ELb0ELb0EEEvPT0_PvPT_S7_S7_PKS6_S9_S9_S9_S9_ffiiiiiiiiiiiii
	.globl	_ZN5aiter35fused_qk_rmsnorm_group_quant_kernelIDF16_N4opus5fp4_tELi256ELi16ELi8ELb0ELb1ELb0ELb0ELb0ELb0EEEvPT0_PvPT_S7_S7_PKS6_S9_S9_S9_S9_ffiiiiiiiiiiiii
	.p2align	8
	.type	_ZN5aiter35fused_qk_rmsnorm_group_quant_kernelIDF16_N4opus5fp4_tELi256ELi16ELi8ELb0ELb1ELb0ELb0ELb0ELb0EEEvPT0_PvPT_S7_S7_PKS6_S9_S9_S9_S9_ffiiiiiiiiiiiii,@function
_ZN5aiter35fused_qk_rmsnorm_group_quant_kernelIDF16_N4opus5fp4_tELi256ELi16ELi8ELb0ELb1ELb0ELb0ELb0ELb0EEEvPT0_PvPT_S7_S7_PKS6_S9_S9_S9_S9_ffiiiiiiiiiiiii: ; @_ZN5aiter35fused_qk_rmsnorm_group_quant_kernelIDF16_N4opus5fp4_tELi256ELi16ELi8ELb0ELb1ELb0ELb0ELb0ELb0EEEvPT0_PvPT_S7_S7_PKS6_S9_S9_S9_S9_ffiiiiiiiiiiiii
; %bb.0:
	s_load_dwordx4 s[16:19], s[4:5], 0x50
	s_waitcnt lgkmcnt(0)
	s_cmp_ge_i32 s6, s18
	s_cbranch_scc1 .LBB783_12
; %bb.1:
	s_load_dwordx2 s[12:13], s[4:5], 0x48
	s_load_dwordx2 s[30:31], s[4:5], 0x30
	s_load_dwordx4 s[20:23], s[4:5], 0x60
	s_cmp_lg_u32 s7, 0
	s_cselect_b64 s[14:15], -1, 0
	s_cmp_eq_u32 s7, 0
	s_cselect_b64 vcc, -1, 0
	s_and_b64 s[0:1], vcc, exec
	s_waitcnt lgkmcnt(0)
	s_cselect_b32 s7, s19, s20
	s_add_i32 s0, s7, 1
	s_lshr_b32 s1, s0, 31
	s_add_i32 s0, s0, s1
	s_lshl_b32 s0, s0, 1
	v_lshlrev_b32_e32 v1, 4, v0
	s_and_b32 s10, s0, -4
	v_cmp_gt_i32_e64 s[2:3], s7, v1
	v_mov_b32_e32 v18, 0
	v_mov_b32_e32 v6, 0
	;; [unrolled: 1-line block ×17, first 2 shown]
	s_and_saveexec_b64 s[0:1], s[2:3]
	s_cbranch_execz .LBB783_3
; %bb.2:
	s_load_dwordx2 s[8:9], s[4:5], 0x28
	s_load_dwordx2 s[26:27], s[4:5], 0x40
	s_and_b64 s[24:25], vcc, exec
	s_cselect_b32 s11, s21, s22
	v_lshlrev_b32_e32 v19, 5, v0
	s_waitcnt lgkmcnt(0)
	s_cselect_b32 s18, s9, s31
	s_cselect_b32 s21, s8, s30
	s_mul_hi_i32 s9, s11, s6
	s_mul_i32 s8, s11, s6
	s_lshl_b64 s[8:9], s[8:9], 1
	s_add_u32 s24, s21, s8
	s_addc_u32 s18, s18, s9
	s_and_b64 s[8:9], vcc, exec
	s_mov_b32 s11, 0x20000
	s_cselect_b32 s8, s26, s12
	s_cselect_b32 s9, s27, s13
	s_and_b32 s25, s18, 0xffff
	s_mov_b32 s26, s10
	s_mov_b32 s27, s11
	s_and_b32 s9, s9, 0xffff
	buffer_load_dwordx4 v[14:17], v19, s[24:27], 0 offen
	buffer_load_dwordx4 v[10:13], v19, s[24:27], 16 offen
	;; [unrolled: 1-line block ×4, first 2 shown]
.LBB783_3:
	s_or_b64 exec, exec, s[0:1]
	v_mov_b32_e32 v19, 0
	v_mov_b32_e32 v24, 0
	;; [unrolled: 1-line block ×15, first 2 shown]
	s_and_saveexec_b64 s[0:1], s[2:3]
	s_cbranch_execz .LBB783_5
; %bb.4:
	s_waitcnt vmcnt(3)
	v_cvt_f32_f16_sdwa v19, v14 dst_sel:DWORD dst_unused:UNUSED_PAD src0_sel:WORD_1
	v_cvt_f32_f16_e32 v18, v14
	v_cvt_f32_f16_sdwa v25, v15 dst_sel:DWORD dst_unused:UNUSED_PAD src0_sel:WORD_1
	v_cvt_f32_f16_e32 v24, v15
	;; [unrolled: 2-line block ×4, first 2 shown]
	s_waitcnt vmcnt(2)
	v_cvt_f32_f16_sdwa v33, v10 dst_sel:DWORD dst_unused:UNUSED_PAD src0_sel:WORD_1
	v_cvt_f32_f16_e32 v32, v10
	v_cvt_f32_f16_sdwa v31, v11 dst_sel:DWORD dst_unused:UNUSED_PAD src0_sel:WORD_1
	v_cvt_f32_f16_e32 v30, v11
	;; [unrolled: 2-line block ×4, first 2 shown]
.LBB783_5:
	s_or_b64 exec, exec, s[0:1]
	s_waitcnt vmcnt(2)
	v_mul_f32_e32 v10, v19, v19
	v_fmac_f32_e32 v10, v18, v18
	v_fmac_f32_e32 v10, v24, v24
	;; [unrolled: 1-line block ×15, first 2 shown]
	v_and_b32_e32 v12, 63, v0
	v_cmp_eq_u32_e64 s[0:1], 63, v12
	v_mov_b32_dpp v11, v10 quad_perm:[1,0,3,2] row_mask:0xf bank_mask:0xf
	v_add_f32_e32 v10, v10, v11
	s_nop 1
	v_mov_b32_dpp v11, v10 quad_perm:[2,3,0,1] row_mask:0xf bank_mask:0xf
	v_add_f32_e32 v10, v10, v11
	s_nop 1
	v_mov_b32_dpp v11, v10 row_half_mirror row_mask:0xf bank_mask:0xf
	v_add_f32_e32 v10, v10, v11
	s_nop 1
	v_mov_b32_dpp v11, v10 row_mirror row_mask:0xf bank_mask:0xf
	v_add_f32_e32 v10, v10, v11
	s_nop 1
	v_mov_b32_dpp v11, v10 row_bcast:15 row_mask:0xf bank_mask:0xf
	v_add_f32_e32 v10, v10, v11
	s_nop 1
	v_mov_b32_dpp v11, v10 row_bcast:31 row_mask:0xf bank_mask:0xf
	s_and_saveexec_b64 s[8:9], s[0:1]
	s_cbranch_execz .LBB783_7
; %bb.6:
	v_add_f32_e32 v10, v10, v11
	v_lshrrev_b32_e32 v11, 4, v0
	v_and_b32_e32 v11, 60, v11
	ds_write_b32 v11, v10 offset:16
.LBB783_7:
	s_or_b64 exec, exec, s[8:9]
	v_and_b32_e32 v10, 3, v0
	v_lshlrev_b32_e32 v34, 2, v10
	s_waitcnt lgkmcnt(0)
	s_barrier
	ds_read_b32 v10, v34 offset:16
	s_load_dwordx2 s[28:29], s[4:5], 0x18
	s_waitcnt lgkmcnt(0)
	v_mov_b32_dpp v11, v10 quad_perm:[1,0,3,2] row_mask:0xf bank_mask:0xf
	v_add_f32_e32 v10, v10, v11
	s_nop 1
	v_mov_b32_dpp v11, v10 quad_perm:[2,3,0,1] row_mask:0xf bank_mask:0xf
	s_and_saveexec_b64 s[8:9], s[2:3]
	s_cbranch_execz .LBB783_9
; %bb.8:
	v_cvt_f32_u32_e32 v12, s7
	v_add_f32_e32 v10, v10, v11
	v_mov_b32_e32 v14, s17
	v_mov_b32_e32 v15, s16
	v_div_scale_f32 v11, s[24:25], v12, v12, v10
	v_rcp_f32_e32 v13, v11
	v_cndmask_b32_e32 v14, v14, v15, vcc
	s_mov_b32 s7, 0x800000
	v_fma_f32 v15, -v11, v13, 1.0
	v_fmac_f32_e32 v13, v15, v13
	v_div_scale_f32 v15, vcc, v10, v12, v10
	v_mul_f32_e32 v16, v15, v13
	v_fma_f32 v17, -v11, v16, v15
	v_fmac_f32_e32 v16, v17, v13
	v_fma_f32 v11, -v11, v16, v15
	v_div_fmas_f32 v11, v11, v13, v16
	v_div_fixup_f32 v10, v11, v12, v10
	v_add_f32_e32 v10, v14, v10
	v_mul_f32_e32 v11, 0x4b800000, v10
	v_cmp_gt_f32_e32 vcc, s7, v10
	v_cndmask_b32_e32 v10, v10, v11, vcc
	v_rsq_f32_e32 v10, v10
	v_mul_f32_e32 v11, 0x45800000, v10
	v_cndmask_b32_e32 v10, v10, v11, vcc
	v_mov_b32_e32 v11, v10
	;;#ASMSTART
	v_pk_mul_f32 v[12:13], v[18:19], v[10:11]
	;;#ASMEND
	;;#ASMSTART
	v_pk_mul_f32 v[14:15], v[24:25], v[10:11]
	;;#ASMEND
	;; [unrolled: 3-line block ×8, first 2 shown]
	s_waitcnt vmcnt(1)
	v_cvt_f32_f16_sdwa v19, v6 dst_sel:DWORD dst_unused:UNUSED_PAD src0_sel:WORD_1
	v_cvt_f32_f16_e32 v18, v6
	v_cvt_f32_f16_sdwa v21, v7 dst_sel:DWORD dst_unused:UNUSED_PAD src0_sel:WORD_1
	v_cvt_f32_f16_e32 v20, v7
	;; [unrolled: 2-line block ×4, first 2 shown]
	;;#ASMSTART
	v_pk_mul_f32 v[18:19], v[12:13], v[18:19]
	;;#ASMEND
	;;#ASMSTART
	v_pk_mul_f32 v[24:25], v[14:15], v[20:21]
	;;#ASMEND
	;;#ASMSTART
	v_pk_mul_f32 v[20:21], v[16:17], v[6:7]
	;;#ASMEND
	;;#ASMSTART
	v_pk_mul_f32 v[22:23], v[22:23], v[28:29]
	;;#ASMEND
	s_waitcnt vmcnt(0)
	v_cvt_f32_f16_sdwa v7, v2 dst_sel:DWORD dst_unused:UNUSED_PAD src0_sel:WORD_1
	v_cvt_f32_f16_e32 v6, v2
	v_cvt_f32_f16_sdwa v9, v3 dst_sel:DWORD dst_unused:UNUSED_PAD src0_sel:WORD_1
	v_cvt_f32_f16_e32 v8, v3
	v_cvt_f32_f16_sdwa v3, v4 dst_sel:DWORD dst_unused:UNUSED_PAD src0_sel:WORD_1
	v_cvt_f32_f16_e32 v2, v4
	v_cvt_f32_f16_sdwa v13, v5 dst_sel:DWORD dst_unused:UNUSED_PAD src0_sel:WORD_1
	v_cvt_f32_f16_e32 v12, v5
	;;#ASMSTART
	v_pk_mul_f32 v[32:33], v[32:33], v[6:7]
	;;#ASMEND
	;;#ASMSTART
	v_pk_mul_f32 v[30:31], v[30:31], v[8:9]
	;;#ASMEND
	;; [unrolled: 3-line block ×4, first 2 shown]
.LBB783_9:
	s_or_b64 exec, exec, s[8:9]
	s_load_dword s7, s[4:5], 0x80
	s_mov_b64 s[8:9], -1
	s_and_b64 vcc, exec, s[14:15]
	s_cbranch_vccnz .LBB783_13
; %bb.10:
	s_andn2_b64 vcc, exec, s[8:9]
	s_cbranch_vccz .LBB783_16
.LBB783_11:
	s_cmp_lt_i32 s20, 1
	s_cbranch_scc0 .LBB783_25
.LBB783_12:
	s_endpgm
.LBB783_13:
	s_and_saveexec_b64 s[14:15], s[2:3]
	s_cbranch_execz .LBB783_15
; %bb.14:
	s_waitcnt lgkmcnt(0)
	s_mul_hi_i32 s9, s7, s6
	s_mul_i32 s8, s7, s6
	s_waitcnt vmcnt(0)
	v_cvt_f16_f32_e32 v2, v18
	v_cvt_f16_f32_e32 v3, v24
	v_cvt_f16_f32_e32 v4, v20
	v_cvt_f16_f32_e32 v5, v22
	v_cvt_f16_f32_e32 v6, v23
	v_cvt_f16_f32_e32 v7, v21
	v_cvt_f16_f32_e32 v8, v25
	v_cvt_f16_f32_e32 v9, v19
	s_lshl_b64 s[8:9], s[8:9], 1
	s_add_u32 s8, s28, s8
	s_addc_u32 s9, s29, s9
	s_and_b32 s9, s9, 0xffff
	s_mov_b32 s11, 0x20000
	v_pack_b32_f16 v5, v5, v6
	v_pack_b32_f16 v4, v4, v7
	;; [unrolled: 1-line block ×4, first 2 shown]
	v_lshlrev_b32_e32 v6, 5, v0
	buffer_store_dwordx4 v[2:5], v6, s[8:11], 0 offen
	v_cvt_f16_f32_e32 v7, v29
	v_cvt_f16_f32_e32 v2, v32
	;; [unrolled: 1-line block ×8, first 2 shown]
	v_pack_b32_f16 v5, v5, v7
	v_pack_b32_f16 v4, v4, v8
	;; [unrolled: 1-line block ×4, first 2 shown]
	;;#ASMSTART
	s_nop 0
	;;#ASMEND
	buffer_store_dwordx4 v[2:5], v6, s[8:11], 16 offen
	;;#ASMSTART
	s_nop 0
	;;#ASMEND
.LBB783_15:
	s_or_b64 exec, exec, s[14:15]
	s_cbranch_execnz .LBB783_11
.LBB783_16:
	s_load_dwordx4 s[24:27], s[4:5], 0x70
	s_waitcnt vmcnt(0)
	v_mov_b32_e32 v2, 0
	s_and_saveexec_b64 s[14:15], s[2:3]
	s_cbranch_execz .LBB783_18
; %bb.17:
	s_load_dwordx2 s[8:9], s[4:5], 0x10
	s_waitcnt lgkmcnt(0)
	s_mul_hi_i32 s35, s27, s6
	s_mul_i32 s34, s27, s6
	v_cvt_f16_f32_e32 v2, v18
	v_cvt_f16_f32_e32 v3, v24
	v_cvt_f16_f32_e32 v4, v20
	v_cvt_f16_f32_e32 v5, v22
	v_cvt_f16_f32_e32 v6, v23
	v_cvt_f16_f32_e32 v7, v21
	v_cvt_f16_f32_e32 v8, v25
	v_cvt_f16_f32_e32 v9, v19
	s_lshl_b64 s[34:35], s[34:35], 1
	s_add_u32 s8, s8, s34
	s_addc_u32 s9, s9, s35
	s_mov_b32 s11, 0x20000
	s_and_b32 s9, s9, 0xffff
	v_pack_b32_f16 v5, v5, v6
	v_pack_b32_f16 v4, v4, v7
	;; [unrolled: 1-line block ×4, first 2 shown]
	v_lshlrev_b32_e32 v6, 5, v0
	buffer_store_dwordx4 v[2:5], v6, s[8:11], 0 offen
	v_cvt_f16_f32_e32 v7, v29
	v_cvt_f16_f32_e32 v2, v32
	;; [unrolled: 1-line block ×8, first 2 shown]
	v_pack_b32_f16 v5, v5, v7
	v_pack_b32_f16 v4, v4, v8
	;; [unrolled: 1-line block ×4, first 2 shown]
	;;#ASMSTART
	s_nop 0
	;;#ASMEND
	buffer_store_dwordx4 v[2:5], v6, s[8:11], 16 offen
	;;#ASMSTART
	s_nop 0
	;;#ASMEND
	s_nop 0
	v_mov_b32_e32 v2, 0x2edbe6ff
.LBB783_18:
	s_or_b64 exec, exec, s[14:15]
	s_and_saveexec_b64 s[8:9], s[2:3]
	s_cbranch_execz .LBB783_20
; %bb.19:
	v_and_b32_e32 v3, 0x7fffffff, v18
	v_and_b32_e32 v4, 0x7fffffff, v19
	;;#ASMSTART
	v_max3_f32 v2, v2, v3, v4

	;;#ASMEND
	v_and_b32_e32 v3, 0x7fffffff, v24
	v_and_b32_e32 v4, 0x7fffffff, v25
	;;#ASMSTART
	v_max3_f32 v2, v2, v3, v4

	;;#ASMEND
	v_and_b32_e32 v3, 0x7fffffff, v20
	v_and_b32_e32 v4, 0x7fffffff, v21
	;;#ASMSTART
	v_max3_f32 v2, v2, v3, v4

	;;#ASMEND
	v_and_b32_e32 v3, 0x7fffffff, v22
	v_and_b32_e32 v4, 0x7fffffff, v23
	;;#ASMSTART
	v_max3_f32 v2, v2, v3, v4

	;;#ASMEND
	v_and_b32_e32 v3, 0x7fffffff, v32
	v_and_b32_e32 v4, 0x7fffffff, v33
	;;#ASMSTART
	v_max3_f32 v2, v2, v3, v4

	;;#ASMEND
	v_and_b32_e32 v3, 0x7fffffff, v30
	v_and_b32_e32 v4, 0x7fffffff, v31
	;;#ASMSTART
	v_max3_f32 v2, v2, v3, v4

	;;#ASMEND
	v_and_b32_e32 v3, 0x7fffffff, v26
	v_and_b32_e32 v4, 0x7fffffff, v27
	;;#ASMSTART
	v_max3_f32 v2, v2, v3, v4

	;;#ASMEND
	v_and_b32_e32 v3, 0x7fffffff, v28
	v_and_b32_e32 v4, 0x7fffffff, v29
	;;#ASMSTART
	v_max3_f32 v2, v2, v3, v4

	;;#ASMEND
.LBB783_20:
	s_or_b64 exec, exec, s[8:9]
	;;#ASMSTART
	v_max_f32 v3, v2, v2 quad_perm:[1,0,3,2] row_mask:0xf bank_mask:0xf bound_ctrl:1
	;;#ASMEND
	;;#ASMSTART
	v_max_f32 v4, v3, v3 quad_perm:[2,3,0,1] row_mask:0xf bank_mask:0xf bound_ctrl:1
	;;#ASMEND
	v_and_b32_e32 v3, 7, v0
	v_cmp_eq_u32_e32 vcc, 0, v3
	v_cmp_gt_i32_e64 s[8:9], s19, v1
	s_and_b64 s[10:11], vcc, s[8:9]
	;;#ASMSTART
	v_max_f32 v2, v4, v4 row_half_mirror row_mask:0xf bank_mask:0xf bound_ctrl:1
	;;#ASMEND
	s_and_saveexec_b64 s[8:9], s[10:11]
	s_cbranch_execz .LBB783_22
; %bb.21:
	s_load_dwordx2 s[10:11], s[4:5], 0x8
	v_mul_f32_e32 v2, 0x3e2aaaab, v2
	v_lshrrev_b32_e32 v3, 23, v2
	v_and_b32_e32 v4, 0x7f800000, v2
	v_and_b32_e32 v2, 0x7fffff, v2
	v_cmp_ne_u32_e32 vcc, 0, v2
	s_waitcnt lgkmcnt(0)
	s_mul_i32 s16, s25, s6
	s_mov_b32 s14, 0x7f800000
	v_addc_co_u32_e32 v2, vcc, 0, v3, vcc
	s_mul_hi_i32 s15, s25, s6
	s_add_u32 s10, s10, s16
	v_cmp_ne_u32_e32 vcc, s14, v4
	s_addc_u32 s11, s11, s15
	v_lshrrev_b32_e32 v5, 3, v0
	v_cndmask_b32_e32 v4, -1, v2, vcc
	v_pk_mov_b32 v[2:3], s[10:11], s[10:11] op_sel:[0,1]
	v_mad_i64_i32 v[2:3], s[10:11], s26, v5, v[2:3]
	global_store_byte v[2:3], v4, off
.LBB783_22:
	s_or_b64 exec, exec, s[8:9]
	s_and_saveexec_b64 s[8:9], s[2:3]
	s_cbranch_execz .LBB783_24
; %bb.23:
	s_load_dwordx2 s[2:3], s[4:5], 0x0
	s_waitcnt lgkmcnt(0)
	s_mul_i32 s11, s24, s6
	s_mul_hi_i32 s10, s24, s6
	v_mov_b32_e32 v2, 0
	v_lshlrev_b32_e32 v4, 3, v0
	s_add_u32 s24, s2, s11
	s_addc_u32 s2, s3, s10
	s_lshr_b32 s3, s19, 31
	s_add_i32 s3, s19, s3
	s_ashr_i32 s3, s3, 1
	s_add_i32 s3, s3, 3
	s_ashr_i32 s10, s3, 31
	s_lshr_b32 s10, s10, 30
	s_add_i32 s3, s3, s10
	s_and_b32 s26, s3, -4
	s_and_b32 s25, s2, 0xffff
	s_mov_b32 s27, 0x20000
	v_mov_b32_e32 v3, v2
	buffer_store_dwordx2 v[2:3], v4, s[24:27], 0 offen
	;;#ASMSTART
	s_nop 0
	;;#ASMEND
.LBB783_24:
	s_or_b64 exec, exec, s[8:9]
	s_cmp_lt_i32 s20, 1
	s_cbranch_scc1 .LBB783_12
.LBB783_25:
	s_load_dword s2, s[4:5], 0x94
	s_waitcnt lgkmcnt(0)
	s_cmp_lg_u32 s2, 1
	s_cbranch_scc1 .LBB783_12
; %bb.26:
	s_lshl_b32 s2, s20, 1
	s_add_i32 s2, s2, 2
	v_cmp_gt_u32_e32 vcc, s20, v1
	s_and_b32 s14, s2, -4
	v_mov_b32_e32 v18, 0
	v_lshlrev_b32_e32 v1, 5, v0
	v_mov_b32_e32 v14, 0
	v_mov_b32_e32 v15, 0
	;; [unrolled: 1-line block ×8, first 2 shown]
	s_waitcnt vmcnt(1)
	v_mov_b32_e32 v6, 0
	v_mov_b32_e32 v7, 0
	;; [unrolled: 1-line block ×4, first 2 shown]
	s_waitcnt vmcnt(0)
	v_mov_b32_e32 v2, 0
	v_mov_b32_e32 v3, 0
	v_mov_b32_e32 v4, 0
	v_mov_b32_e32 v5, 0
	s_barrier
	s_and_saveexec_b64 s[2:3], vcc
	s_cbranch_execz .LBB783_28
; %bb.27:
	s_mul_hi_i32 s5, s22, s6
	s_mul_i32 s4, s22, s6
	s_and_b32 s13, s13, 0xffff
	s_lshl_b64 s[4:5], s[4:5], 1
	s_add_u32 s8, s30, s4
	s_mov_b32 s15, 0x20000
	s_addc_u32 s4, s31, s5
	s_and_b32 s9, s4, 0xffff
	s_mov_b32 s10, s14
	s_mov_b32 s11, s15
	buffer_load_dwordx4 v[14:17], v1, s[8:11], 0 offen
	buffer_load_dwordx4 v[10:13], v1, s[8:11], 16 offen
	;; [unrolled: 1-line block ×4, first 2 shown]
.LBB783_28:
	s_or_b64 exec, exec, s[2:3]
	v_mov_b32_e32 v19, 0
	v_mov_b32_e32 v32, 0
	;; [unrolled: 1-line block ×15, first 2 shown]
	s_and_saveexec_b64 s[2:3], vcc
	s_cbranch_execz .LBB783_30
; %bb.29:
	s_waitcnt vmcnt(3)
	v_cvt_f32_f16_sdwa v19, v14 dst_sel:DWORD dst_unused:UNUSED_PAD src0_sel:WORD_1
	v_cvt_f32_f16_e32 v18, v14
	v_cvt_f32_f16_sdwa v33, v15 dst_sel:DWORD dst_unused:UNUSED_PAD src0_sel:WORD_1
	v_cvt_f32_f16_e32 v32, v15
	;; [unrolled: 2-line block ×4, first 2 shown]
	s_waitcnt vmcnt(2)
	v_cvt_f32_f16_sdwa v27, v10 dst_sel:DWORD dst_unused:UNUSED_PAD src0_sel:WORD_1
	v_cvt_f32_f16_e32 v26, v10
	v_cvt_f32_f16_sdwa v25, v11 dst_sel:DWORD dst_unused:UNUSED_PAD src0_sel:WORD_1
	v_cvt_f32_f16_e32 v24, v11
	;; [unrolled: 2-line block ×4, first 2 shown]
.LBB783_30:
	s_or_b64 exec, exec, s[2:3]
	s_waitcnt vmcnt(2)
	v_mul_f32_e32 v10, v19, v19
	v_fmac_f32_e32 v10, v18, v18
	v_fmac_f32_e32 v10, v32, v32
	;; [unrolled: 1-line block ×15, first 2 shown]
	s_nop 1
	v_mov_b32_dpp v11, v10 quad_perm:[1,0,3,2] row_mask:0xf bank_mask:0xf
	v_add_f32_e32 v10, v10, v11
	s_nop 1
	v_mov_b32_dpp v11, v10 quad_perm:[2,3,0,1] row_mask:0xf bank_mask:0xf
	v_add_f32_e32 v10, v10, v11
	s_nop 1
	v_mov_b32_dpp v11, v10 row_half_mirror row_mask:0xf bank_mask:0xf
	v_add_f32_e32 v10, v10, v11
	s_nop 1
	v_mov_b32_dpp v11, v10 row_mirror row_mask:0xf bank_mask:0xf
	v_add_f32_e32 v10, v10, v11
	s_nop 1
	v_mov_b32_dpp v11, v10 row_bcast:15 row_mask:0xf bank_mask:0xf
	v_add_f32_e32 v10, v10, v11
	s_nop 1
	v_mov_b32_dpp v11, v10 row_bcast:31 row_mask:0xf bank_mask:0xf
	s_and_saveexec_b64 s[2:3], s[0:1]
	s_cbranch_execz .LBB783_32
; %bb.31:
	v_lshrrev_b32_e32 v0, 4, v0
	v_add_f32_e32 v10, v10, v11
	v_and_b32_e32 v0, 60, v0
	ds_write_b32 v0, v10
.LBB783_32:
	s_or_b64 exec, exec, s[2:3]
	s_waitcnt lgkmcnt(0)
	s_barrier
	ds_read_b32 v0, v34
	s_waitcnt lgkmcnt(0)
	s_nop 0
	v_mov_b32_dpp v10, v0 quad_perm:[1,0,3,2] row_mask:0xf bank_mask:0xf
	v_add_f32_e32 v0, v0, v10
	s_nop 1
	v_mov_b32_dpp v10, v0 quad_perm:[2,3,0,1] row_mask:0xf bank_mask:0xf
	s_and_saveexec_b64 s[0:1], vcc
	s_cbranch_execz .LBB783_12
; %bb.33:
	v_cvt_f32_u32_e32 v11, s20
	v_add_f32_e32 v0, v0, v10
	s_mov_b32 s15, 0x20000
	v_div_scale_f32 v10, s[0:1], v11, v11, v0
	v_rcp_f32_e32 v12, v10
	v_div_scale_f32 v13, vcc, v0, v11, v0
	s_mov_b32 s0, 0x800000
	v_fma_f32 v14, -v10, v12, 1.0
	v_fmac_f32_e32 v12, v14, v12
	v_mul_f32_e32 v14, v13, v12
	v_fma_f32 v15, -v10, v14, v13
	v_fmac_f32_e32 v14, v15, v12
	v_fma_f32 v10, -v10, v14, v13
	v_div_fmas_f32 v10, v10, v12, v14
	v_div_fixup_f32 v0, v10, v11, v0
	v_add_f32_e32 v0, s17, v0
	v_mul_f32_e32 v10, 0x4b800000, v0
	v_cmp_gt_f32_e32 vcc, s0, v0
	v_cndmask_b32_e32 v0, v0, v10, vcc
	v_rsq_f32_e32 v0, v0
	s_mul_hi_i32 s1, s7, s6
	s_mul_i32 s0, s7, s6
	s_lshl_b64 s[0:1], s[0:1], 1
	v_mul_f32_e32 v10, 0x45800000, v0
	v_cndmask_b32_e32 v10, v0, v10, vcc
	v_mov_b32_e32 v11, v10
	;;#ASMSTART
	v_pk_mul_f32 v[12:13], v[18:19], v[10:11]
	;;#ASMEND
	;;#ASMSTART
	v_pk_mul_f32 v[14:15], v[32:33], v[10:11]
	;;#ASMEND
	;; [unrolled: 3-line block ×8, first 2 shown]
	s_waitcnt vmcnt(1)
	v_cvt_f32_f16_sdwa v21, v6 dst_sel:DWORD dst_unused:UNUSED_PAD src0_sel:WORD_1
	v_cvt_f32_f16_e32 v20, v6
	v_cvt_f32_f16_sdwa v29, v7 dst_sel:DWORD dst_unused:UNUSED_PAD src0_sel:WORD_1
	v_cvt_f32_f16_e32 v28, v7
	;; [unrolled: 2-line block ×4, first 2 shown]
	;;#ASMSTART
	v_pk_mul_f32 v[8:9], v[12:13], v[20:21]
	;;#ASMEND
	;;#ASMSTART
	v_pk_mul_f32 v[12:13], v[14:15], v[28:29]
	;;#ASMEND
	;;#ASMSTART
	v_pk_mul_f32 v[6:7], v[16:17], v[6:7]
	;;#ASMEND
	;;#ASMSTART
	v_pk_mul_f32 v[14:15], v[18:19], v[30:31]
	;;#ASMEND
	s_waitcnt vmcnt(0)
	v_cvt_f32_f16_sdwa v17, v2 dst_sel:DWORD dst_unused:UNUSED_PAD src0_sel:WORD_1
	v_cvt_f32_f16_e32 v16, v2
	v_cvt_f32_f16_sdwa v19, v3 dst_sel:DWORD dst_unused:UNUSED_PAD src0_sel:WORD_1
	v_cvt_f32_f16_e32 v18, v3
	v_cvt_f32_f16_sdwa v3, v4 dst_sel:DWORD dst_unused:UNUSED_PAD src0_sel:WORD_1
	v_cvt_f32_f16_e32 v2, v4
	v_cvt_f32_f16_sdwa v21, v5 dst_sel:DWORD dst_unused:UNUSED_PAD src0_sel:WORD_1
	v_cvt_f32_f16_e32 v20, v5
	;;#ASMSTART
	v_pk_mul_f32 v[16:17], v[26:27], v[16:17]
	;;#ASMEND
	;;#ASMSTART
	v_pk_mul_f32 v[18:19], v[24:25], v[18:19]
	;;#ASMEND
	;;#ASMSTART
	v_pk_mul_f32 v[22:23], v[22:23], v[2:3]
	;;#ASMEND
	v_cvt_f16_f32_e32 v0, v8
	v_cvt_f16_f32_e32 v2, v9
	v_cvt_f16_f32_e32 v3, v12
	v_cvt_f16_f32_e32 v4, v13
	v_cvt_f16_f32_e32 v5, v6
	v_cvt_f16_f32_e32 v6, v7
	v_cvt_f16_f32_e32 v7, v14
	v_cvt_f16_f32_e32 v8, v15
	s_add_u32 s12, s28, s0
	s_addc_u32 s0, s29, s1
	s_and_b32 s13, s0, 0xffff
	v_pack_b32_f16 v2, v0, v2
	v_pack_b32_f16 v3, v3, v4
	;; [unrolled: 1-line block ×4, first 2 shown]
	;;#ASMSTART
	v_pk_mul_f32 v[10:11], v[10:11], v[20:21]
	;;#ASMEND
	buffer_store_dwordx4 v[2:5], v1, s[12:15], 0 offen
	v_cvt_f16_f32_e32 v0, v16
	v_cvt_f16_f32_e32 v2, v17
	;; [unrolled: 1-line block ×8, first 2 shown]
	v_pack_b32_f16 v2, v0, v2
	v_pack_b32_f16 v3, v3, v4
	v_pack_b32_f16 v4, v5, v6
	v_pack_b32_f16 v5, v7, v8
	;;#ASMSTART
	s_nop 0
	;;#ASMEND
	buffer_store_dwordx4 v[2:5], v1, s[12:15], 16 offen
	;;#ASMSTART
	s_nop 0
	;;#ASMEND
	s_endpgm
	.section	.rodata,"a",@progbits
	.p2align	6, 0x0
	.amdhsa_kernel _ZN5aiter35fused_qk_rmsnorm_group_quant_kernelIDF16_N4opus5fp4_tELi256ELi16ELi8ELb0ELb1ELb0ELb0ELb0ELb0EEEvPT0_PvPT_S7_S7_PKS6_S9_S9_S9_S9_ffiiiiiiiiiiiii
		.amdhsa_group_segment_fixed_size 32
		.amdhsa_private_segment_fixed_size 0
		.amdhsa_kernarg_size 400
		.amdhsa_user_sgpr_count 6
		.amdhsa_user_sgpr_private_segment_buffer 1
		.amdhsa_user_sgpr_dispatch_ptr 0
		.amdhsa_user_sgpr_queue_ptr 0
		.amdhsa_user_sgpr_kernarg_segment_ptr 1
		.amdhsa_user_sgpr_dispatch_id 0
		.amdhsa_user_sgpr_flat_scratch_init 0
		.amdhsa_user_sgpr_kernarg_preload_length 0
		.amdhsa_user_sgpr_kernarg_preload_offset 0
		.amdhsa_user_sgpr_private_segment_size 0
		.amdhsa_uses_dynamic_stack 0
		.amdhsa_system_sgpr_private_segment_wavefront_offset 0
		.amdhsa_system_sgpr_workgroup_id_x 1
		.amdhsa_system_sgpr_workgroup_id_y 1
		.amdhsa_system_sgpr_workgroup_id_z 0
		.amdhsa_system_sgpr_workgroup_info 0
		.amdhsa_system_vgpr_workitem_id 0
		.amdhsa_next_free_vgpr 35
		.amdhsa_next_free_sgpr 36
		.amdhsa_accum_offset 36
		.amdhsa_reserve_vcc 1
		.amdhsa_reserve_flat_scratch 0
		.amdhsa_float_round_mode_32 0
		.amdhsa_float_round_mode_16_64 0
		.amdhsa_float_denorm_mode_32 3
		.amdhsa_float_denorm_mode_16_64 3
		.amdhsa_dx10_clamp 1
		.amdhsa_ieee_mode 1
		.amdhsa_fp16_overflow 0
		.amdhsa_tg_split 0
		.amdhsa_exception_fp_ieee_invalid_op 0
		.amdhsa_exception_fp_denorm_src 0
		.amdhsa_exception_fp_ieee_div_zero 0
		.amdhsa_exception_fp_ieee_overflow 0
		.amdhsa_exception_fp_ieee_underflow 0
		.amdhsa_exception_fp_ieee_inexact 0
		.amdhsa_exception_int_div_zero 0
	.end_amdhsa_kernel
	.section	.text._ZN5aiter35fused_qk_rmsnorm_group_quant_kernelIDF16_N4opus5fp4_tELi256ELi16ELi8ELb0ELb1ELb0ELb0ELb0ELb0EEEvPT0_PvPT_S7_S7_PKS6_S9_S9_S9_S9_ffiiiiiiiiiiiii,"axG",@progbits,_ZN5aiter35fused_qk_rmsnorm_group_quant_kernelIDF16_N4opus5fp4_tELi256ELi16ELi8ELb0ELb1ELb0ELb0ELb0ELb0EEEvPT0_PvPT_S7_S7_PKS6_S9_S9_S9_S9_ffiiiiiiiiiiiii,comdat
.Lfunc_end783:
	.size	_ZN5aiter35fused_qk_rmsnorm_group_quant_kernelIDF16_N4opus5fp4_tELi256ELi16ELi8ELb0ELb1ELb0ELb0ELb0ELb0EEEvPT0_PvPT_S7_S7_PKS6_S9_S9_S9_S9_ffiiiiiiiiiiiii, .Lfunc_end783-_ZN5aiter35fused_qk_rmsnorm_group_quant_kernelIDF16_N4opus5fp4_tELi256ELi16ELi8ELb0ELb1ELb0ELb0ELb0ELb0EEEvPT0_PvPT_S7_S7_PKS6_S9_S9_S9_S9_ffiiiiiiiiiiiii
                                        ; -- End function
	.section	.AMDGPU.csdata,"",@progbits
; Kernel info:
; codeLenInByte = 3348
; NumSgprs: 40
; NumVgprs: 35
; NumAgprs: 0
; TotalNumVgprs: 35
; ScratchSize: 0
; MemoryBound: 0
; FloatMode: 240
; IeeeMode: 1
; LDSByteSize: 32 bytes/workgroup (compile time only)
; SGPRBlocks: 4
; VGPRBlocks: 4
; NumSGPRsForWavesPerEU: 40
; NumVGPRsForWavesPerEU: 35
; AccumOffset: 36
; Occupancy: 8
; WaveLimiterHint : 0
; COMPUTE_PGM_RSRC2:SCRATCH_EN: 0
; COMPUTE_PGM_RSRC2:USER_SGPR: 6
; COMPUTE_PGM_RSRC2:TRAP_HANDLER: 0
; COMPUTE_PGM_RSRC2:TGID_X_EN: 1
; COMPUTE_PGM_RSRC2:TGID_Y_EN: 1
; COMPUTE_PGM_RSRC2:TGID_Z_EN: 0
; COMPUTE_PGM_RSRC2:TIDIG_COMP_CNT: 0
; COMPUTE_PGM_RSRC3_GFX90A:ACCUM_OFFSET: 8
; COMPUTE_PGM_RSRC3_GFX90A:TG_SPLIT: 0
	.section	.text._ZN5aiter35fused_qk_rmsnorm_group_quant_kernelItN4opus5fp4_tELi256ELi16ELi8ELb0ELb1ELb0ELb0ELb0ELb0EEEvPT0_PvPT_S7_S7_PKS6_S9_S9_S9_S9_ffiiiiiiiiiiiii,"axG",@progbits,_ZN5aiter35fused_qk_rmsnorm_group_quant_kernelItN4opus5fp4_tELi256ELi16ELi8ELb0ELb1ELb0ELb0ELb0ELb0EEEvPT0_PvPT_S7_S7_PKS6_S9_S9_S9_S9_ffiiiiiiiiiiiii,comdat
	.protected	_ZN5aiter35fused_qk_rmsnorm_group_quant_kernelItN4opus5fp4_tELi256ELi16ELi8ELb0ELb1ELb0ELb0ELb0ELb0EEEvPT0_PvPT_S7_S7_PKS6_S9_S9_S9_S9_ffiiiiiiiiiiiii ; -- Begin function _ZN5aiter35fused_qk_rmsnorm_group_quant_kernelItN4opus5fp4_tELi256ELi16ELi8ELb0ELb1ELb0ELb0ELb0ELb0EEEvPT0_PvPT_S7_S7_PKS6_S9_S9_S9_S9_ffiiiiiiiiiiiii
	.globl	_ZN5aiter35fused_qk_rmsnorm_group_quant_kernelItN4opus5fp4_tELi256ELi16ELi8ELb0ELb1ELb0ELb0ELb0ELb0EEEvPT0_PvPT_S7_S7_PKS6_S9_S9_S9_S9_ffiiiiiiiiiiiii
	.p2align	8
	.type	_ZN5aiter35fused_qk_rmsnorm_group_quant_kernelItN4opus5fp4_tELi256ELi16ELi8ELb0ELb1ELb0ELb0ELb0ELb0EEEvPT0_PvPT_S7_S7_PKS6_S9_S9_S9_S9_ffiiiiiiiiiiiii,@function
_ZN5aiter35fused_qk_rmsnorm_group_quant_kernelItN4opus5fp4_tELi256ELi16ELi8ELb0ELb1ELb0ELb0ELb0ELb0EEEvPT0_PvPT_S7_S7_PKS6_S9_S9_S9_S9_ffiiiiiiiiiiiii: ; @_ZN5aiter35fused_qk_rmsnorm_group_quant_kernelItN4opus5fp4_tELi256ELi16ELi8ELb0ELb1ELb0ELb0ELb0ELb0EEEvPT0_PvPT_S7_S7_PKS6_S9_S9_S9_S9_ffiiiiiiiiiiiii
; %bb.0:
	s_load_dwordx4 s[16:19], s[4:5], 0x50
	s_waitcnt lgkmcnt(0)
	s_cmp_ge_i32 s6, s18
	s_cbranch_scc1 .LBB784_12
; %bb.1:
	s_load_dwordx2 s[12:13], s[4:5], 0x48
	s_load_dwordx2 s[30:31], s[4:5], 0x30
	s_load_dwordx4 s[20:23], s[4:5], 0x60
	s_cmp_lg_u32 s7, 0
	s_cselect_b64 s[14:15], -1, 0
	s_cmp_eq_u32 s7, 0
	s_cselect_b64 vcc, -1, 0
	s_and_b64 s[0:1], vcc, exec
	s_waitcnt lgkmcnt(0)
	s_cselect_b32 s7, s19, s20
	s_add_i32 s0, s7, 1
	s_lshr_b32 s1, s0, 31
	s_add_i32 s0, s0, s1
	s_lshl_b32 s0, s0, 1
	v_lshlrev_b32_e32 v1, 4, v0
	s_and_b32 s10, s0, -4
	v_cmp_gt_i32_e64 s[2:3], s7, v1
	v_mov_b32_e32 v18, 0
	v_mov_b32_e32 v6, 0
	;; [unrolled: 1-line block ×17, first 2 shown]
	s_and_saveexec_b64 s[0:1], s[2:3]
	s_cbranch_execz .LBB784_3
; %bb.2:
	s_load_dwordx2 s[8:9], s[4:5], 0x28
	s_load_dwordx2 s[26:27], s[4:5], 0x40
	s_and_b64 s[24:25], vcc, exec
	s_cselect_b32 s11, s21, s22
	v_lshlrev_b32_e32 v19, 5, v0
	s_waitcnt lgkmcnt(0)
	s_cselect_b32 s18, s9, s31
	s_cselect_b32 s21, s8, s30
	s_mul_hi_i32 s9, s11, s6
	s_mul_i32 s8, s11, s6
	s_lshl_b64 s[8:9], s[8:9], 1
	s_add_u32 s24, s21, s8
	s_addc_u32 s18, s18, s9
	s_and_b64 s[8:9], vcc, exec
	s_mov_b32 s11, 0x20000
	s_cselect_b32 s8, s26, s12
	s_cselect_b32 s9, s27, s13
	s_and_b32 s25, s18, 0xffff
	s_mov_b32 s26, s10
	s_mov_b32 s27, s11
	s_and_b32 s9, s9, 0xffff
	buffer_load_dwordx4 v[14:17], v19, s[24:27], 0 offen
	buffer_load_dwordx4 v[10:13], v19, s[24:27], 16 offen
	;; [unrolled: 1-line block ×4, first 2 shown]
.LBB784_3:
	s_or_b64 exec, exec, s[0:1]
	v_mov_b32_e32 v19, 0
	v_mov_b32_e32 v24, 0
	;; [unrolled: 1-line block ×15, first 2 shown]
	s_and_saveexec_b64 s[0:1], s[2:3]
	s_cbranch_execz .LBB784_5
; %bb.4:
	s_waitcnt vmcnt(3)
	v_cvt_f32_u32_sdwa v18, v14 dst_sel:DWORD dst_unused:UNUSED_PAD src0_sel:WORD_0
	v_cvt_f32_u32_sdwa v19, v14 dst_sel:DWORD dst_unused:UNUSED_PAD src0_sel:WORD_1
	v_cvt_f32_u32_sdwa v24, v15 dst_sel:DWORD dst_unused:UNUSED_PAD src0_sel:WORD_0
	v_cvt_f32_u32_sdwa v25, v15 dst_sel:DWORD dst_unused:UNUSED_PAD src0_sel:WORD_1
	;; [unrolled: 2-line block ×4, first 2 shown]
	s_waitcnt vmcnt(2)
	v_cvt_f32_u32_sdwa v32, v10 dst_sel:DWORD dst_unused:UNUSED_PAD src0_sel:WORD_0
	v_cvt_f32_u32_sdwa v33, v10 dst_sel:DWORD dst_unused:UNUSED_PAD src0_sel:WORD_1
	v_cvt_f32_u32_sdwa v30, v11 dst_sel:DWORD dst_unused:UNUSED_PAD src0_sel:WORD_0
	v_cvt_f32_u32_sdwa v31, v11 dst_sel:DWORD dst_unused:UNUSED_PAD src0_sel:WORD_1
	;; [unrolled: 2-line block ×4, first 2 shown]
.LBB784_5:
	s_or_b64 exec, exec, s[0:1]
	s_waitcnt vmcnt(2)
	v_mul_f32_e32 v10, v19, v19
	v_fmac_f32_e32 v10, v18, v18
	v_fmac_f32_e32 v10, v24, v24
	;; [unrolled: 1-line block ×15, first 2 shown]
	v_and_b32_e32 v12, 63, v0
	v_cmp_eq_u32_e64 s[0:1], 63, v12
	v_mov_b32_dpp v11, v10 quad_perm:[1,0,3,2] row_mask:0xf bank_mask:0xf
	v_add_f32_e32 v10, v10, v11
	s_nop 1
	v_mov_b32_dpp v11, v10 quad_perm:[2,3,0,1] row_mask:0xf bank_mask:0xf
	v_add_f32_e32 v10, v10, v11
	s_nop 1
	v_mov_b32_dpp v11, v10 row_half_mirror row_mask:0xf bank_mask:0xf
	v_add_f32_e32 v10, v10, v11
	s_nop 1
	v_mov_b32_dpp v11, v10 row_mirror row_mask:0xf bank_mask:0xf
	v_add_f32_e32 v10, v10, v11
	s_nop 1
	v_mov_b32_dpp v11, v10 row_bcast:15 row_mask:0xf bank_mask:0xf
	v_add_f32_e32 v10, v10, v11
	s_nop 1
	v_mov_b32_dpp v11, v10 row_bcast:31 row_mask:0xf bank_mask:0xf
	s_and_saveexec_b64 s[8:9], s[0:1]
	s_cbranch_execz .LBB784_7
; %bb.6:
	v_add_f32_e32 v10, v10, v11
	v_lshrrev_b32_e32 v11, 4, v0
	v_and_b32_e32 v11, 60, v11
	ds_write_b32 v11, v10 offset:16
.LBB784_7:
	s_or_b64 exec, exec, s[8:9]
	v_and_b32_e32 v10, 3, v0
	v_lshlrev_b32_e32 v34, 2, v10
	s_waitcnt lgkmcnt(0)
	s_barrier
	ds_read_b32 v10, v34 offset:16
	s_load_dwordx2 s[28:29], s[4:5], 0x18
	s_waitcnt lgkmcnt(0)
	v_mov_b32_dpp v11, v10 quad_perm:[1,0,3,2] row_mask:0xf bank_mask:0xf
	v_add_f32_e32 v10, v10, v11
	s_nop 1
	v_mov_b32_dpp v11, v10 quad_perm:[2,3,0,1] row_mask:0xf bank_mask:0xf
	s_and_saveexec_b64 s[8:9], s[2:3]
	s_cbranch_execz .LBB784_9
; %bb.8:
	v_cvt_f32_u32_e32 v12, s7
	v_add_f32_e32 v10, v10, v11
	v_mov_b32_e32 v14, s17
	v_mov_b32_e32 v15, s16
	v_div_scale_f32 v11, s[24:25], v12, v12, v10
	v_rcp_f32_e32 v13, v11
	v_cndmask_b32_e32 v14, v14, v15, vcc
	s_mov_b32 s7, 0x800000
	v_fma_f32 v15, -v11, v13, 1.0
	v_fmac_f32_e32 v13, v15, v13
	v_div_scale_f32 v15, vcc, v10, v12, v10
	v_mul_f32_e32 v16, v15, v13
	v_fma_f32 v17, -v11, v16, v15
	v_fmac_f32_e32 v16, v17, v13
	v_fma_f32 v11, -v11, v16, v15
	v_div_fmas_f32 v11, v11, v13, v16
	v_div_fixup_f32 v10, v11, v12, v10
	v_add_f32_e32 v10, v14, v10
	v_mul_f32_e32 v11, 0x4b800000, v10
	v_cmp_gt_f32_e32 vcc, s7, v10
	v_cndmask_b32_e32 v10, v10, v11, vcc
	v_rsq_f32_e32 v10, v10
	v_mul_f32_e32 v11, 0x45800000, v10
	v_cndmask_b32_e32 v10, v10, v11, vcc
	v_mov_b32_e32 v11, v10
	;;#ASMSTART
	v_pk_mul_f32 v[12:13], v[18:19], v[10:11]
	;;#ASMEND
	;;#ASMSTART
	v_pk_mul_f32 v[14:15], v[24:25], v[10:11]
	;;#ASMEND
	;; [unrolled: 3-line block ×8, first 2 shown]
	s_waitcnt vmcnt(1)
	v_cvt_f32_u32_sdwa v19, v6 dst_sel:DWORD dst_unused:UNUSED_PAD src0_sel:WORD_1
	v_cvt_f32_u32_sdwa v18, v6 dst_sel:DWORD dst_unused:UNUSED_PAD src0_sel:WORD_0
	v_cvt_f32_u32_sdwa v21, v7 dst_sel:DWORD dst_unused:UNUSED_PAD src0_sel:WORD_1
	v_cvt_f32_u32_sdwa v20, v7 dst_sel:DWORD dst_unused:UNUSED_PAD src0_sel:WORD_0
	;; [unrolled: 2-line block ×4, first 2 shown]
	;;#ASMSTART
	v_pk_mul_f32 v[18:19], v[12:13], v[18:19]
	;;#ASMEND
	;;#ASMSTART
	v_pk_mul_f32 v[24:25], v[14:15], v[20:21]
	;;#ASMEND
	;;#ASMSTART
	v_pk_mul_f32 v[20:21], v[16:17], v[6:7]
	;;#ASMEND
	;;#ASMSTART
	v_pk_mul_f32 v[22:23], v[22:23], v[28:29]
	;;#ASMEND
	s_waitcnt vmcnt(0)
	v_cvt_f32_u32_sdwa v7, v2 dst_sel:DWORD dst_unused:UNUSED_PAD src0_sel:WORD_1
	v_cvt_f32_u32_sdwa v6, v2 dst_sel:DWORD dst_unused:UNUSED_PAD src0_sel:WORD_0
	v_cvt_f32_u32_sdwa v9, v3 dst_sel:DWORD dst_unused:UNUSED_PAD src0_sel:WORD_1
	v_cvt_f32_u32_sdwa v8, v3 dst_sel:DWORD dst_unused:UNUSED_PAD src0_sel:WORD_0
	;; [unrolled: 2-line block ×4, first 2 shown]
	;;#ASMSTART
	v_pk_mul_f32 v[32:33], v[32:33], v[6:7]
	;;#ASMEND
	;;#ASMSTART
	v_pk_mul_f32 v[30:31], v[30:31], v[8:9]
	;;#ASMEND
	;; [unrolled: 3-line block ×4, first 2 shown]
.LBB784_9:
	s_or_b64 exec, exec, s[8:9]
	s_load_dword s7, s[4:5], 0x80
	s_mov_b64 s[8:9], -1
	s_and_b64 vcc, exec, s[14:15]
	s_cbranch_vccnz .LBB784_13
; %bb.10:
	s_andn2_b64 vcc, exec, s[8:9]
	s_cbranch_vccz .LBB784_16
.LBB784_11:
	s_cmp_lt_i32 s20, 1
	s_cbranch_scc0 .LBB784_25
.LBB784_12:
	s_endpgm
.LBB784_13:
	s_and_saveexec_b64 s[14:15], s[2:3]
	s_cbranch_execz .LBB784_15
; %bb.14:
	s_waitcnt lgkmcnt(0)
	s_mul_hi_i32 s9, s7, s6
	s_mul_i32 s8, s7, s6
	s_lshl_b64 s[8:9], s[8:9], 1
	s_add_u32 s8, s28, s8
	s_addc_u32 s9, s29, s9
	s_mov_b32 s16, 0x7060302
	s_and_b32 s9, s9, 0xffff
	s_mov_b32 s11, 0x20000
	s_waitcnt vmcnt(0)
	v_perm_b32 v5, v23, v22, s16
	v_perm_b32 v4, v21, v20, s16
	;; [unrolled: 1-line block ×4, first 2 shown]
	v_lshlrev_b32_e32 v6, 5, v0
	buffer_store_dwordx4 v[2:5], v6, s[8:11], 0 offen
	;;#ASMSTART
	s_nop 0
	;;#ASMEND
	s_nop 0
	v_perm_b32 v5, v29, v28, s16
	v_perm_b32 v4, v27, v26, s16
	;; [unrolled: 1-line block ×4, first 2 shown]
	buffer_store_dwordx4 v[2:5], v6, s[8:11], 16 offen
	;;#ASMSTART
	s_nop 0
	;;#ASMEND
.LBB784_15:
	s_or_b64 exec, exec, s[14:15]
	s_cbranch_execnz .LBB784_11
.LBB784_16:
	s_load_dwordx4 s[24:27], s[4:5], 0x70
	s_waitcnt vmcnt(0)
	v_mov_b32_e32 v2, 0
	s_and_saveexec_b64 s[14:15], s[2:3]
	s_cbranch_execz .LBB784_18
; %bb.17:
	s_load_dwordx2 s[8:9], s[4:5], 0x10
	s_waitcnt lgkmcnt(0)
	s_mul_hi_i32 s35, s27, s6
	s_mul_i32 s34, s27, s6
	s_lshl_b64 s[34:35], s[34:35], 1
	s_mov_b32 s16, 0x7060302
	s_add_u32 s8, s8, s34
	s_addc_u32 s9, s9, s35
	s_mov_b32 s11, 0x20000
	s_and_b32 s9, s9, 0xffff
	v_perm_b32 v5, v23, v22, s16
	v_perm_b32 v4, v21, v20, s16
	;; [unrolled: 1-line block ×4, first 2 shown]
	v_lshlrev_b32_e32 v6, 5, v0
	buffer_store_dwordx4 v[2:5], v6, s[8:11], 0 offen
	;;#ASMSTART
	s_nop 0
	;;#ASMEND
	s_nop 0
	v_perm_b32 v5, v29, v28, s16
	v_perm_b32 v4, v27, v26, s16
	;; [unrolled: 1-line block ×4, first 2 shown]
	buffer_store_dwordx4 v[2:5], v6, s[8:11], 16 offen
	;;#ASMSTART
	s_nop 0
	;;#ASMEND
	s_nop 0
	v_mov_b32_e32 v2, 0x2edbe6ff
.LBB784_18:
	s_or_b64 exec, exec, s[14:15]
	s_and_saveexec_b64 s[8:9], s[2:3]
	s_cbranch_execz .LBB784_20
; %bb.19:
	v_and_b32_e32 v3, 0x7fffffff, v18
	v_and_b32_e32 v4, 0x7fffffff, v19
	;;#ASMSTART
	v_max3_f32 v2, v2, v3, v4

	;;#ASMEND
	v_and_b32_e32 v3, 0x7fffffff, v24
	v_and_b32_e32 v4, 0x7fffffff, v25
	;;#ASMSTART
	v_max3_f32 v2, v2, v3, v4

	;;#ASMEND
	;; [unrolled: 6-line block ×8, first 2 shown]
.LBB784_20:
	s_or_b64 exec, exec, s[8:9]
	;;#ASMSTART
	v_max_f32 v3, v2, v2 quad_perm:[1,0,3,2] row_mask:0xf bank_mask:0xf bound_ctrl:1
	;;#ASMEND
	;;#ASMSTART
	v_max_f32 v4, v3, v3 quad_perm:[2,3,0,1] row_mask:0xf bank_mask:0xf bound_ctrl:1
	;;#ASMEND
	v_and_b32_e32 v3, 7, v0
	v_cmp_eq_u32_e32 vcc, 0, v3
	v_cmp_gt_i32_e64 s[8:9], s19, v1
	s_and_b64 s[10:11], vcc, s[8:9]
	;;#ASMSTART
	v_max_f32 v2, v4, v4 row_half_mirror row_mask:0xf bank_mask:0xf bound_ctrl:1
	;;#ASMEND
	s_and_saveexec_b64 s[8:9], s[10:11]
	s_cbranch_execz .LBB784_22
; %bb.21:
	s_load_dwordx2 s[10:11], s[4:5], 0x8
	v_mul_f32_e32 v2, 0x3e2aaaab, v2
	v_lshrrev_b32_e32 v3, 23, v2
	v_and_b32_e32 v4, 0x7f800000, v2
	v_and_b32_e32 v2, 0x7fffff, v2
	v_cmp_ne_u32_e32 vcc, 0, v2
	s_waitcnt lgkmcnt(0)
	s_mul_i32 s16, s25, s6
	s_mov_b32 s14, 0x7f800000
	v_addc_co_u32_e32 v2, vcc, 0, v3, vcc
	s_mul_hi_i32 s15, s25, s6
	s_add_u32 s10, s10, s16
	v_cmp_ne_u32_e32 vcc, s14, v4
	s_addc_u32 s11, s11, s15
	v_lshrrev_b32_e32 v5, 3, v0
	v_cndmask_b32_e32 v4, -1, v2, vcc
	v_pk_mov_b32 v[2:3], s[10:11], s[10:11] op_sel:[0,1]
	v_mad_i64_i32 v[2:3], s[10:11], s26, v5, v[2:3]
	global_store_byte v[2:3], v4, off
.LBB784_22:
	s_or_b64 exec, exec, s[8:9]
	s_and_saveexec_b64 s[8:9], s[2:3]
	s_cbranch_execz .LBB784_24
; %bb.23:
	s_load_dwordx2 s[2:3], s[4:5], 0x0
	s_waitcnt lgkmcnt(0)
	s_mul_i32 s11, s24, s6
	s_mul_hi_i32 s10, s24, s6
	v_mov_b32_e32 v2, 0
	v_lshlrev_b32_e32 v4, 3, v0
	s_add_u32 s24, s2, s11
	s_addc_u32 s2, s3, s10
	s_lshr_b32 s3, s19, 31
	s_add_i32 s3, s19, s3
	s_ashr_i32 s3, s3, 1
	s_add_i32 s3, s3, 3
	s_ashr_i32 s10, s3, 31
	s_lshr_b32 s10, s10, 30
	s_add_i32 s3, s3, s10
	s_and_b32 s26, s3, -4
	s_and_b32 s25, s2, 0xffff
	s_mov_b32 s27, 0x20000
	v_mov_b32_e32 v3, v2
	buffer_store_dwordx2 v[2:3], v4, s[24:27], 0 offen
	;;#ASMSTART
	s_nop 0
	;;#ASMEND
.LBB784_24:
	s_or_b64 exec, exec, s[8:9]
	s_cmp_lt_i32 s20, 1
	s_cbranch_scc1 .LBB784_12
.LBB784_25:
	s_load_dword s2, s[4:5], 0x94
	s_waitcnt lgkmcnt(0)
	s_cmp_lg_u32 s2, 1
	s_cbranch_scc1 .LBB784_12
; %bb.26:
	s_lshl_b32 s2, s20, 1
	s_add_i32 s2, s2, 2
	v_cmp_gt_u32_e32 vcc, s20, v1
	s_and_b32 s14, s2, -4
	v_mov_b32_e32 v18, 0
	v_lshlrev_b32_e32 v1, 5, v0
	v_mov_b32_e32 v14, 0
	v_mov_b32_e32 v15, 0
	;; [unrolled: 1-line block ×8, first 2 shown]
	s_waitcnt vmcnt(1)
	v_mov_b32_e32 v6, 0
	v_mov_b32_e32 v7, 0
	;; [unrolled: 1-line block ×4, first 2 shown]
	s_waitcnt vmcnt(0)
	v_mov_b32_e32 v2, 0
	v_mov_b32_e32 v3, 0
	;; [unrolled: 1-line block ×4, first 2 shown]
	s_barrier
	s_and_saveexec_b64 s[2:3], vcc
	s_cbranch_execz .LBB784_28
; %bb.27:
	s_mul_hi_i32 s5, s22, s6
	s_mul_i32 s4, s22, s6
	s_and_b32 s13, s13, 0xffff
	s_lshl_b64 s[4:5], s[4:5], 1
	s_add_u32 s8, s30, s4
	s_mov_b32 s15, 0x20000
	s_addc_u32 s4, s31, s5
	s_and_b32 s9, s4, 0xffff
	s_mov_b32 s10, s14
	s_mov_b32 s11, s15
	buffer_load_dwordx4 v[14:17], v1, s[8:11], 0 offen
	buffer_load_dwordx4 v[10:13], v1, s[8:11], 16 offen
	;; [unrolled: 1-line block ×4, first 2 shown]
.LBB784_28:
	s_or_b64 exec, exec, s[2:3]
	v_mov_b32_e32 v19, 0
	v_mov_b32_e32 v32, 0
	;; [unrolled: 1-line block ×15, first 2 shown]
	s_and_saveexec_b64 s[2:3], vcc
	s_cbranch_execz .LBB784_30
; %bb.29:
	s_waitcnt vmcnt(3)
	v_cvt_f32_u32_sdwa v18, v14 dst_sel:DWORD dst_unused:UNUSED_PAD src0_sel:WORD_0
	v_cvt_f32_u32_sdwa v19, v14 dst_sel:DWORD dst_unused:UNUSED_PAD src0_sel:WORD_1
	v_cvt_f32_u32_sdwa v32, v15 dst_sel:DWORD dst_unused:UNUSED_PAD src0_sel:WORD_0
	v_cvt_f32_u32_sdwa v33, v15 dst_sel:DWORD dst_unused:UNUSED_PAD src0_sel:WORD_1
	;; [unrolled: 2-line block ×4, first 2 shown]
	s_waitcnt vmcnt(2)
	v_cvt_f32_u32_sdwa v26, v10 dst_sel:DWORD dst_unused:UNUSED_PAD src0_sel:WORD_0
	v_cvt_f32_u32_sdwa v27, v10 dst_sel:DWORD dst_unused:UNUSED_PAD src0_sel:WORD_1
	v_cvt_f32_u32_sdwa v24, v11 dst_sel:DWORD dst_unused:UNUSED_PAD src0_sel:WORD_0
	v_cvt_f32_u32_sdwa v25, v11 dst_sel:DWORD dst_unused:UNUSED_PAD src0_sel:WORD_1
	;; [unrolled: 2-line block ×4, first 2 shown]
.LBB784_30:
	s_or_b64 exec, exec, s[2:3]
	s_waitcnt vmcnt(2)
	v_mul_f32_e32 v10, v19, v19
	v_fmac_f32_e32 v10, v18, v18
	v_fmac_f32_e32 v10, v32, v32
	;; [unrolled: 1-line block ×15, first 2 shown]
	s_nop 1
	v_mov_b32_dpp v11, v10 quad_perm:[1,0,3,2] row_mask:0xf bank_mask:0xf
	v_add_f32_e32 v10, v10, v11
	s_nop 1
	v_mov_b32_dpp v11, v10 quad_perm:[2,3,0,1] row_mask:0xf bank_mask:0xf
	v_add_f32_e32 v10, v10, v11
	s_nop 1
	v_mov_b32_dpp v11, v10 row_half_mirror row_mask:0xf bank_mask:0xf
	v_add_f32_e32 v10, v10, v11
	s_nop 1
	v_mov_b32_dpp v11, v10 row_mirror row_mask:0xf bank_mask:0xf
	v_add_f32_e32 v10, v10, v11
	s_nop 1
	v_mov_b32_dpp v11, v10 row_bcast:15 row_mask:0xf bank_mask:0xf
	v_add_f32_e32 v10, v10, v11
	s_nop 1
	v_mov_b32_dpp v11, v10 row_bcast:31 row_mask:0xf bank_mask:0xf
	s_and_saveexec_b64 s[2:3], s[0:1]
	s_cbranch_execz .LBB784_32
; %bb.31:
	v_lshrrev_b32_e32 v0, 4, v0
	v_add_f32_e32 v10, v10, v11
	v_and_b32_e32 v0, 60, v0
	ds_write_b32 v0, v10
.LBB784_32:
	s_or_b64 exec, exec, s[2:3]
	s_waitcnt lgkmcnt(0)
	s_barrier
	ds_read_b32 v0, v34
	s_waitcnt lgkmcnt(0)
	s_nop 0
	v_mov_b32_dpp v10, v0 quad_perm:[1,0,3,2] row_mask:0xf bank_mask:0xf
	v_add_f32_e32 v0, v0, v10
	s_nop 1
	v_mov_b32_dpp v10, v0 quad_perm:[2,3,0,1] row_mask:0xf bank_mask:0xf
	s_and_saveexec_b64 s[0:1], vcc
	s_cbranch_execz .LBB784_12
; %bb.33:
	v_cvt_f32_u32_e32 v11, s20
	v_add_f32_e32 v0, v0, v10
	s_mov_b32 s15, 0x20000
	v_div_scale_f32 v10, s[0:1], v11, v11, v0
	v_rcp_f32_e32 v12, v10
	v_div_scale_f32 v13, vcc, v0, v11, v0
	s_mov_b32 s0, 0x800000
	v_fma_f32 v14, -v10, v12, 1.0
	v_fmac_f32_e32 v12, v14, v12
	v_mul_f32_e32 v14, v13, v12
	v_fma_f32 v15, -v10, v14, v13
	v_fmac_f32_e32 v14, v15, v12
	v_fma_f32 v10, -v10, v14, v13
	v_div_fmas_f32 v10, v10, v12, v14
	v_div_fixup_f32 v0, v10, v11, v0
	v_add_f32_e32 v0, s17, v0
	v_mul_f32_e32 v10, 0x4b800000, v0
	v_cmp_gt_f32_e32 vcc, s0, v0
	v_cndmask_b32_e32 v0, v0, v10, vcc
	v_rsq_f32_e32 v0, v0
	s_mul_hi_i32 s1, s7, s6
	s_mul_i32 s0, s7, s6
	s_lshl_b64 s[0:1], s[0:1], 1
	v_mul_f32_e32 v10, 0x45800000, v0
	v_cndmask_b32_e32 v10, v0, v10, vcc
	v_mov_b32_e32 v11, v10
	s_add_u32 s12, s28, s0
	;;#ASMSTART
	v_pk_mul_f32 v[12:13], v[18:19], v[10:11]
	;;#ASMEND
	;;#ASMSTART
	v_pk_mul_f32 v[14:15], v[32:33], v[10:11]
	;;#ASMEND
	;; [unrolled: 3-line block ×8, first 2 shown]
	s_waitcnt vmcnt(1)
	v_cvt_f32_u32_sdwa v21, v6 dst_sel:DWORD dst_unused:UNUSED_PAD src0_sel:WORD_1
	v_cvt_f32_u32_sdwa v20, v6 dst_sel:DWORD dst_unused:UNUSED_PAD src0_sel:WORD_0
	v_cvt_f32_u32_sdwa v29, v7 dst_sel:DWORD dst_unused:UNUSED_PAD src0_sel:WORD_1
	v_cvt_f32_u32_sdwa v28, v7 dst_sel:DWORD dst_unused:UNUSED_PAD src0_sel:WORD_0
	v_cvt_f32_u32_sdwa v7, v8 dst_sel:DWORD dst_unused:UNUSED_PAD src0_sel:WORD_1
	v_cvt_f32_u32_sdwa v6, v8 dst_sel:DWORD dst_unused:UNUSED_PAD src0_sel:WORD_0
	s_addc_u32 s0, s29, s1
	v_cvt_f32_u32_sdwa v31, v9 dst_sel:DWORD dst_unused:UNUSED_PAD src0_sel:WORD_1
	v_cvt_f32_u32_sdwa v30, v9 dst_sel:DWORD dst_unused:UNUSED_PAD src0_sel:WORD_0
	;;#ASMSTART
	v_pk_mul_f32 v[8:9], v[12:13], v[20:21]
	;;#ASMEND
	;;#ASMSTART
	v_pk_mul_f32 v[12:13], v[14:15], v[28:29]
	;;#ASMEND
	;;#ASMSTART
	v_pk_mul_f32 v[6:7], v[16:17], v[6:7]
	;;#ASMEND
	;;#ASMSTART
	v_pk_mul_f32 v[14:15], v[18:19], v[30:31]
	;;#ASMEND
	s_waitcnt vmcnt(0)
	v_cvt_f32_u32_sdwa v17, v2 dst_sel:DWORD dst_unused:UNUSED_PAD src0_sel:WORD_1
	v_cvt_f32_u32_sdwa v16, v2 dst_sel:DWORD dst_unused:UNUSED_PAD src0_sel:WORD_0
	v_cvt_f32_u32_sdwa v19, v3 dst_sel:DWORD dst_unused:UNUSED_PAD src0_sel:WORD_1
	v_cvt_f32_u32_sdwa v18, v3 dst_sel:DWORD dst_unused:UNUSED_PAD src0_sel:WORD_0
	;; [unrolled: 2-line block ×3, first 2 shown]
	s_and_b32 s13, s0, 0xffff
	s_mov_b32 s0, 0x7060302
	v_cvt_f32_u32_sdwa v21, v5 dst_sel:DWORD dst_unused:UNUSED_PAD src0_sel:WORD_1
	v_cvt_f32_u32_sdwa v20, v5 dst_sel:DWORD dst_unused:UNUSED_PAD src0_sel:WORD_0
	;;#ASMSTART
	v_pk_mul_f32 v[16:17], v[26:27], v[16:17]
	;;#ASMEND
	;;#ASMSTART
	v_pk_mul_f32 v[18:19], v[24:25], v[18:19]
	;;#ASMEND
	;;#ASMSTART
	v_pk_mul_f32 v[22:23], v[22:23], v[2:3]
	;;#ASMEND
	v_perm_b32 v2, v9, v8, s0
	v_perm_b32 v3, v13, v12, s0
	;; [unrolled: 1-line block ×4, first 2 shown]
	;;#ASMSTART
	v_pk_mul_f32 v[10:11], v[10:11], v[20:21]
	;;#ASMEND
	buffer_store_dwordx4 v[2:5], v1, s[12:15], 0 offen
	;;#ASMSTART
	s_nop 0
	;;#ASMEND
	s_nop 0
	v_perm_b32 v2, v17, v16, s0
	v_perm_b32 v3, v19, v18, s0
	;; [unrolled: 1-line block ×4, first 2 shown]
	buffer_store_dwordx4 v[2:5], v1, s[12:15], 16 offen
	;;#ASMSTART
	s_nop 0
	;;#ASMEND
	s_endpgm
	.section	.rodata,"a",@progbits
	.p2align	6, 0x0
	.amdhsa_kernel _ZN5aiter35fused_qk_rmsnorm_group_quant_kernelItN4opus5fp4_tELi256ELi16ELi8ELb0ELb1ELb0ELb0ELb0ELb0EEEvPT0_PvPT_S7_S7_PKS6_S9_S9_S9_S9_ffiiiiiiiiiiiii
		.amdhsa_group_segment_fixed_size 32
		.amdhsa_private_segment_fixed_size 0
		.amdhsa_kernarg_size 400
		.amdhsa_user_sgpr_count 6
		.amdhsa_user_sgpr_private_segment_buffer 1
		.amdhsa_user_sgpr_dispatch_ptr 0
		.amdhsa_user_sgpr_queue_ptr 0
		.amdhsa_user_sgpr_kernarg_segment_ptr 1
		.amdhsa_user_sgpr_dispatch_id 0
		.amdhsa_user_sgpr_flat_scratch_init 0
		.amdhsa_user_sgpr_kernarg_preload_length 0
		.amdhsa_user_sgpr_kernarg_preload_offset 0
		.amdhsa_user_sgpr_private_segment_size 0
		.amdhsa_uses_dynamic_stack 0
		.amdhsa_system_sgpr_private_segment_wavefront_offset 0
		.amdhsa_system_sgpr_workgroup_id_x 1
		.amdhsa_system_sgpr_workgroup_id_y 1
		.amdhsa_system_sgpr_workgroup_id_z 0
		.amdhsa_system_sgpr_workgroup_info 0
		.amdhsa_system_vgpr_workitem_id 0
		.amdhsa_next_free_vgpr 35
		.amdhsa_next_free_sgpr 36
		.amdhsa_accum_offset 36
		.amdhsa_reserve_vcc 1
		.amdhsa_reserve_flat_scratch 0
		.amdhsa_float_round_mode_32 0
		.amdhsa_float_round_mode_16_64 0
		.amdhsa_float_denorm_mode_32 3
		.amdhsa_float_denorm_mode_16_64 3
		.amdhsa_dx10_clamp 1
		.amdhsa_ieee_mode 1
		.amdhsa_fp16_overflow 0
		.amdhsa_tg_split 0
		.amdhsa_exception_fp_ieee_invalid_op 0
		.amdhsa_exception_fp_denorm_src 0
		.amdhsa_exception_fp_ieee_div_zero 0
		.amdhsa_exception_fp_ieee_overflow 0
		.amdhsa_exception_fp_ieee_underflow 0
		.amdhsa_exception_fp_ieee_inexact 0
		.amdhsa_exception_int_div_zero 0
	.end_amdhsa_kernel
	.section	.text._ZN5aiter35fused_qk_rmsnorm_group_quant_kernelItN4opus5fp4_tELi256ELi16ELi8ELb0ELb1ELb0ELb0ELb0ELb0EEEvPT0_PvPT_S7_S7_PKS6_S9_S9_S9_S9_ffiiiiiiiiiiiii,"axG",@progbits,_ZN5aiter35fused_qk_rmsnorm_group_quant_kernelItN4opus5fp4_tELi256ELi16ELi8ELb0ELb1ELb0ELb0ELb0ELb0EEEvPT0_PvPT_S7_S7_PKS6_S9_S9_S9_S9_ffiiiiiiiiiiiii,comdat
.Lfunc_end784:
	.size	_ZN5aiter35fused_qk_rmsnorm_group_quant_kernelItN4opus5fp4_tELi256ELi16ELi8ELb0ELb1ELb0ELb0ELb0ELb0EEEvPT0_PvPT_S7_S7_PKS6_S9_S9_S9_S9_ffiiiiiiiiiiiii, .Lfunc_end784-_ZN5aiter35fused_qk_rmsnorm_group_quant_kernelItN4opus5fp4_tELi256ELi16ELi8ELb0ELb1ELb0ELb0ELb0ELb0EEEvPT0_PvPT_S7_S7_PKS6_S9_S9_S9_S9_ffiiiiiiiiiiiii
                                        ; -- End function
	.section	.AMDGPU.csdata,"",@progbits
; Kernel info:
; codeLenInByte = 3320
; NumSgprs: 40
; NumVgprs: 35
; NumAgprs: 0
; TotalNumVgprs: 35
; ScratchSize: 0
; MemoryBound: 0
; FloatMode: 240
; IeeeMode: 1
; LDSByteSize: 32 bytes/workgroup (compile time only)
; SGPRBlocks: 4
; VGPRBlocks: 4
; NumSGPRsForWavesPerEU: 40
; NumVGPRsForWavesPerEU: 35
; AccumOffset: 36
; Occupancy: 8
; WaveLimiterHint : 0
; COMPUTE_PGM_RSRC2:SCRATCH_EN: 0
; COMPUTE_PGM_RSRC2:USER_SGPR: 6
; COMPUTE_PGM_RSRC2:TRAP_HANDLER: 0
; COMPUTE_PGM_RSRC2:TGID_X_EN: 1
; COMPUTE_PGM_RSRC2:TGID_Y_EN: 1
; COMPUTE_PGM_RSRC2:TGID_Z_EN: 0
; COMPUTE_PGM_RSRC2:TIDIG_COMP_CNT: 0
; COMPUTE_PGM_RSRC3_GFX90A:ACCUM_OFFSET: 8
; COMPUTE_PGM_RSRC3_GFX90A:TG_SPLIT: 0
	.section	.text._ZN5aiter35fused_qk_rmsnorm_group_quant_kernelIDF16_DB8_Li256ELi16ELi8ELb0ELb0ELb1ELb0ELb0ELb0EEEvPT0_PvPT_S6_S6_PKS5_S8_S8_S8_S8_ffiiiiiiiiiiiii,"axG",@progbits,_ZN5aiter35fused_qk_rmsnorm_group_quant_kernelIDF16_DB8_Li256ELi16ELi8ELb0ELb0ELb1ELb0ELb0ELb0EEEvPT0_PvPT_S6_S6_PKS5_S8_S8_S8_S8_ffiiiiiiiiiiiii,comdat
	.protected	_ZN5aiter35fused_qk_rmsnorm_group_quant_kernelIDF16_DB8_Li256ELi16ELi8ELb0ELb0ELb1ELb0ELb0ELb0EEEvPT0_PvPT_S6_S6_PKS5_S8_S8_S8_S8_ffiiiiiiiiiiiii ; -- Begin function _ZN5aiter35fused_qk_rmsnorm_group_quant_kernelIDF16_DB8_Li256ELi16ELi8ELb0ELb0ELb1ELb0ELb0ELb0EEEvPT0_PvPT_S6_S6_PKS5_S8_S8_S8_S8_ffiiiiiiiiiiiii
	.globl	_ZN5aiter35fused_qk_rmsnorm_group_quant_kernelIDF16_DB8_Li256ELi16ELi8ELb0ELb0ELb1ELb0ELb0ELb0EEEvPT0_PvPT_S6_S6_PKS5_S8_S8_S8_S8_ffiiiiiiiiiiiii
	.p2align	8
	.type	_ZN5aiter35fused_qk_rmsnorm_group_quant_kernelIDF16_DB8_Li256ELi16ELi8ELb0ELb0ELb1ELb0ELb0ELb0EEEvPT0_PvPT_S6_S6_PKS5_S8_S8_S8_S8_ffiiiiiiiiiiiii,@function
_ZN5aiter35fused_qk_rmsnorm_group_quant_kernelIDF16_DB8_Li256ELi16ELi8ELb0ELb0ELb1ELb0ELb0ELb0EEEvPT0_PvPT_S6_S6_PKS5_S8_S8_S8_S8_ffiiiiiiiiiiiii: ; @_ZN5aiter35fused_qk_rmsnorm_group_quant_kernelIDF16_DB8_Li256ELi16ELi8ELb0ELb0ELb1ELb0ELb0ELb0EEEvPT0_PvPT_S6_S6_PKS5_S8_S8_S8_S8_ffiiiiiiiiiiiii
; %bb.0:
	s_load_dwordx4 s[16:19], s[4:5], 0x50
	s_waitcnt lgkmcnt(0)
	s_cmp_ge_i32 s6, s18
	s_cbranch_scc1 .LBB785_12
; %bb.1:
	s_load_dwordx2 s[12:13], s[4:5], 0x48
	s_load_dwordx2 s[30:31], s[4:5], 0x30
	s_load_dwordx4 s[20:23], s[4:5], 0x60
	s_cmp_lg_u32 s7, 0
	s_cselect_b64 s[14:15], -1, 0
	s_cmp_eq_u32 s7, 0
	s_cselect_b64 vcc, -1, 0
	s_and_b64 s[0:1], vcc, exec
	s_waitcnt lgkmcnt(0)
	s_cselect_b32 s7, s19, s20
	s_add_i32 s0, s7, 1
	s_lshr_b32 s1, s0, 31
	s_add_i32 s0, s0, s1
	s_lshl_b32 s0, s0, 1
	v_lshlrev_b32_e32 v1, 4, v0
	s_and_b32 s10, s0, -4
	v_cmp_gt_i32_e64 s[2:3], s7, v1
	v_mov_b32_e32 v18, 0
	v_mov_b32_e32 v6, 0
	;; [unrolled: 1-line block ×17, first 2 shown]
	s_and_saveexec_b64 s[0:1], s[2:3]
	s_cbranch_execz .LBB785_3
; %bb.2:
	s_load_dwordx2 s[8:9], s[4:5], 0x28
	s_load_dwordx2 s[26:27], s[4:5], 0x40
	s_and_b64 s[24:25], vcc, exec
	s_cselect_b32 s11, s21, s22
	v_lshlrev_b32_e32 v19, 5, v0
	s_waitcnt lgkmcnt(0)
	s_cselect_b32 s18, s9, s31
	s_cselect_b32 s21, s8, s30
	s_mul_hi_i32 s9, s11, s6
	s_mul_i32 s8, s11, s6
	s_lshl_b64 s[8:9], s[8:9], 1
	s_add_u32 s24, s21, s8
	s_addc_u32 s18, s18, s9
	s_and_b64 s[8:9], vcc, exec
	s_mov_b32 s11, 0x20000
	s_cselect_b32 s8, s26, s12
	s_cselect_b32 s9, s27, s13
	s_and_b32 s25, s18, 0xffff
	s_mov_b32 s26, s10
	s_mov_b32 s27, s11
	s_and_b32 s9, s9, 0xffff
	buffer_load_dwordx4 v[14:17], v19, s[24:27], 0 offen
	buffer_load_dwordx4 v[10:13], v19, s[24:27], 16 offen
	;; [unrolled: 1-line block ×4, first 2 shown]
.LBB785_3:
	s_or_b64 exec, exec, s[0:1]
	v_mov_b32_e32 v19, 0
	v_mov_b32_e32 v32, 0
	;; [unrolled: 1-line block ×15, first 2 shown]
	s_and_saveexec_b64 s[0:1], s[2:3]
	s_cbranch_execz .LBB785_5
; %bb.4:
	s_waitcnt vmcnt(3)
	v_cvt_f32_f16_sdwa v19, v14 dst_sel:DWORD dst_unused:UNUSED_PAD src0_sel:WORD_1
	v_cvt_f32_f16_e32 v18, v14
	v_cvt_f32_f16_sdwa v33, v15 dst_sel:DWORD dst_unused:UNUSED_PAD src0_sel:WORD_1
	v_cvt_f32_f16_e32 v32, v15
	;; [unrolled: 2-line block ×4, first 2 shown]
	s_waitcnt vmcnt(2)
	v_cvt_f32_f16_sdwa v25, v10 dst_sel:DWORD dst_unused:UNUSED_PAD src0_sel:WORD_1
	v_cvt_f32_f16_e32 v24, v10
	v_cvt_f32_f16_sdwa v29, v11 dst_sel:DWORD dst_unused:UNUSED_PAD src0_sel:WORD_1
	v_cvt_f32_f16_e32 v28, v11
	;; [unrolled: 2-line block ×4, first 2 shown]
.LBB785_5:
	s_or_b64 exec, exec, s[0:1]
	s_waitcnt vmcnt(2)
	v_mul_f32_e32 v10, v19, v19
	v_fmac_f32_e32 v10, v18, v18
	v_fmac_f32_e32 v10, v32, v32
	;; [unrolled: 1-line block ×15, first 2 shown]
	v_and_b32_e32 v12, 63, v0
	v_cmp_eq_u32_e64 s[0:1], 63, v12
	v_mov_b32_dpp v11, v10 quad_perm:[1,0,3,2] row_mask:0xf bank_mask:0xf
	v_add_f32_e32 v10, v10, v11
	s_nop 1
	v_mov_b32_dpp v11, v10 quad_perm:[2,3,0,1] row_mask:0xf bank_mask:0xf
	v_add_f32_e32 v10, v10, v11
	s_nop 1
	v_mov_b32_dpp v11, v10 row_half_mirror row_mask:0xf bank_mask:0xf
	v_add_f32_e32 v10, v10, v11
	s_nop 1
	v_mov_b32_dpp v11, v10 row_mirror row_mask:0xf bank_mask:0xf
	v_add_f32_e32 v10, v10, v11
	s_nop 1
	v_mov_b32_dpp v11, v10 row_bcast:15 row_mask:0xf bank_mask:0xf
	v_add_f32_e32 v10, v10, v11
	s_nop 1
	v_mov_b32_dpp v11, v10 row_bcast:31 row_mask:0xf bank_mask:0xf
	s_and_saveexec_b64 s[8:9], s[0:1]
	s_cbranch_execz .LBB785_7
; %bb.6:
	v_add_f32_e32 v10, v10, v11
	v_lshrrev_b32_e32 v11, 4, v0
	v_and_b32_e32 v11, 60, v11
	ds_write_b32 v11, v10 offset:16
.LBB785_7:
	s_or_b64 exec, exec, s[8:9]
	v_and_b32_e32 v10, 3, v0
	v_lshlrev_b32_e32 v34, 2, v10
	s_waitcnt lgkmcnt(0)
	s_barrier
	ds_read_b32 v10, v34 offset:16
	s_load_dwordx2 s[28:29], s[4:5], 0x18
	s_waitcnt lgkmcnt(0)
	v_mov_b32_dpp v11, v10 quad_perm:[1,0,3,2] row_mask:0xf bank_mask:0xf
	v_add_f32_e32 v10, v10, v11
	s_nop 1
	v_mov_b32_dpp v11, v10 quad_perm:[2,3,0,1] row_mask:0xf bank_mask:0xf
	s_and_saveexec_b64 s[8:9], s[2:3]
	s_cbranch_execz .LBB785_9
; %bb.8:
	v_cvt_f32_u32_e32 v12, s7
	v_add_f32_e32 v10, v10, v11
	v_mov_b32_e32 v14, s17
	v_mov_b32_e32 v15, s16
	v_div_scale_f32 v11, s[24:25], v12, v12, v10
	v_rcp_f32_e32 v13, v11
	v_cndmask_b32_e32 v14, v14, v15, vcc
	s_mov_b32 s7, 0x800000
	v_fma_f32 v15, -v11, v13, 1.0
	v_fmac_f32_e32 v13, v15, v13
	v_div_scale_f32 v15, vcc, v10, v12, v10
	v_mul_f32_e32 v16, v15, v13
	v_fma_f32 v17, -v11, v16, v15
	v_fmac_f32_e32 v16, v17, v13
	v_fma_f32 v11, -v11, v16, v15
	v_div_fmas_f32 v11, v11, v13, v16
	v_div_fixup_f32 v10, v11, v12, v10
	v_add_f32_e32 v10, v14, v10
	v_mul_f32_e32 v11, 0x4b800000, v10
	v_cmp_gt_f32_e32 vcc, s7, v10
	v_cndmask_b32_e32 v10, v10, v11, vcc
	v_rsq_f32_e32 v10, v10
	v_mul_f32_e32 v11, 0x45800000, v10
	v_cndmask_b32_e32 v10, v10, v11, vcc
	v_mov_b32_e32 v11, v10
	;;#ASMSTART
	v_pk_mul_f32 v[12:13], v[18:19], v[10:11]
	;;#ASMEND
	s_waitcnt vmcnt(1)
	v_cvt_f32_f16_sdwa v19, v6 dst_sel:DWORD dst_unused:UNUSED_PAD src0_sel:WORD_1
	v_cvt_f32_f16_e32 v18, v6
	;;#ASMSTART
	v_pk_mul_f32 v[14:15], v[32:33], v[10:11]
	;;#ASMEND
	;;#ASMSTART
	v_pk_mul_f32 v[16:17], v[26:27], v[10:11]
	;;#ASMEND
	v_cvt_f32_f16_sdwa v27, v7 dst_sel:DWORD dst_unused:UNUSED_PAD src0_sel:WORD_1
	v_cvt_f32_f16_e32 v26, v7
	;;#ASMSTART
	v_pk_mul_f32 v[30:31], v[30:31], v[10:11]
	;;#ASMEND
	;;#ASMSTART
	v_pk_mul_f32 v[24:25], v[24:25], v[10:11]
	;;#ASMEND
	;;#ASMSTART
	v_pk_mul_f32 v[28:29], v[28:29], v[10:11]
	;;#ASMEND
	;;#ASMSTART
	v_pk_mul_f32 v[22:23], v[22:23], v[10:11]
	;;#ASMEND
	;;#ASMSTART
	v_pk_mul_f32 v[6:7], v[20:21], v[10:11]
	;;#ASMEND
	v_pk_add_f32 v[10:11], v[18:19], 1.0 op_sel_hi:[1,0]
	;;#ASMSTART
	v_pk_mul_f32 v[18:19], v[12:13], v[10:11]
	;;#ASMEND
	v_cvt_f32_f16_sdwa v13, v8 dst_sel:DWORD dst_unused:UNUSED_PAD src0_sel:WORD_1
	v_cvt_f32_f16_e32 v12, v8
	v_cvt_f32_f16_sdwa v21, v9 dst_sel:DWORD dst_unused:UNUSED_PAD src0_sel:WORD_1
	v_cvt_f32_f16_e32 v20, v9
	v_pk_add_f32 v[10:11], v[26:27], 1.0 op_sel_hi:[1,0]
	;;#ASMSTART
	v_pk_mul_f32 v[32:33], v[14:15], v[10:11]
	;;#ASMEND
	s_waitcnt vmcnt(0)
	v_cvt_f32_f16_sdwa v11, v2 dst_sel:DWORD dst_unused:UNUSED_PAD src0_sel:WORD_1
	v_cvt_f32_f16_e32 v10, v2
	v_pk_add_f32 v[8:9], v[12:13], 1.0 op_sel_hi:[1,0]
	;;#ASMSTART
	v_pk_mul_f32 v[26:27], v[16:17], v[8:9]
	;;#ASMEND
	v_pk_add_f32 v[8:9], v[20:21], 1.0 op_sel_hi:[1,0]
	v_cvt_f32_f16_sdwa v13, v3 dst_sel:DWORD dst_unused:UNUSED_PAD src0_sel:WORD_1
	v_cvt_f32_f16_e32 v12, v3
	;;#ASMSTART
	v_pk_mul_f32 v[30:31], v[30:31], v[8:9]
	;;#ASMEND
	v_cvt_f32_f16_sdwa v9, v4 dst_sel:DWORD dst_unused:UNUSED_PAD src0_sel:WORD_1
	v_cvt_f32_f16_e32 v8, v4
	v_pk_add_f32 v[2:3], v[10:11], 1.0 op_sel_hi:[1,0]
	v_cvt_f32_f16_sdwa v11, v5 dst_sel:DWORD dst_unused:UNUSED_PAD src0_sel:WORD_1
	v_cvt_f32_f16_e32 v10, v5
	;;#ASMSTART
	v_pk_mul_f32 v[24:25], v[24:25], v[2:3]
	;;#ASMEND
	v_pk_add_f32 v[2:3], v[12:13], 1.0 op_sel_hi:[1,0]
	;;#ASMSTART
	v_pk_mul_f32 v[28:29], v[28:29], v[2:3]
	;;#ASMEND
	v_pk_add_f32 v[2:3], v[8:9], 1.0 op_sel_hi:[1,0]
	;; [unrolled: 4-line block ×3, first 2 shown]
	;;#ASMSTART
	v_pk_mul_f32 v[20:21], v[6:7], v[2:3]
	;;#ASMEND
.LBB785_9:
	s_or_b64 exec, exec, s[8:9]
	s_load_dword s7, s[4:5], 0x80
	s_mov_b64 s[8:9], -1
	s_and_b64 vcc, exec, s[14:15]
	s_cbranch_vccnz .LBB785_13
; %bb.10:
	s_andn2_b64 vcc, exec, s[8:9]
	s_cbranch_vccz .LBB785_16
.LBB785_11:
	s_cmp_lt_i32 s20, 1
	s_cbranch_scc0 .LBB785_23
.LBB785_12:
	s_endpgm
.LBB785_13:
	s_and_saveexec_b64 s[14:15], s[2:3]
	s_cbranch_execz .LBB785_15
; %bb.14:
	s_waitcnt lgkmcnt(0)
	s_mul_hi_i32 s9, s7, s6
	s_mul_i32 s8, s7, s6
	s_waitcnt vmcnt(0)
	v_cvt_f16_f32_e32 v2, v18
	v_cvt_f16_f32_e32 v3, v32
	;; [unrolled: 1-line block ×8, first 2 shown]
	s_lshl_b64 s[8:9], s[8:9], 1
	s_add_u32 s8, s28, s8
	s_addc_u32 s9, s29, s9
	s_and_b32 s9, s9, 0xffff
	s_mov_b32 s11, 0x20000
	v_pack_b32_f16 v5, v5, v6
	v_pack_b32_f16 v4, v4, v7
	;; [unrolled: 1-line block ×4, first 2 shown]
	v_lshlrev_b32_e32 v6, 5, v0
	buffer_store_dwordx4 v[2:5], v6, s[8:11], 0 offen
	v_cvt_f16_f32_e32 v7, v21
	v_cvt_f16_f32_e32 v2, v24
	;; [unrolled: 1-line block ×8, first 2 shown]
	v_pack_b32_f16 v5, v5, v7
	v_pack_b32_f16 v4, v4, v8
	;; [unrolled: 1-line block ×4, first 2 shown]
	;;#ASMSTART
	s_nop 0
	;;#ASMEND
	buffer_store_dwordx4 v[2:5], v6, s[8:11], 16 offen
	;;#ASMSTART
	s_nop 0
	;;#ASMEND
.LBB785_15:
	s_or_b64 exec, exec, s[14:15]
	s_cbranch_execnz .LBB785_11
.LBB785_16:
	s_waitcnt vmcnt(0)
	v_mov_b32_e32 v2, 0
	s_and_saveexec_b64 s[8:9], s[2:3]
	s_cbranch_execz .LBB785_18
; %bb.17:
	v_and_b32_e32 v2, 0x7fffffff, v18
	v_and_b32_e32 v3, 0x7fffffff, v19
	v_mov_b32_e32 v4, 0x2edbe6ff
	;;#ASMSTART
	v_max3_f32 v2, v4, v2, v3

	;;#ASMEND
	v_and_b32_e32 v3, 0x7fffffff, v32
	v_and_b32_e32 v4, 0x7fffffff, v33
	;;#ASMSTART
	v_max3_f32 v2, v2, v3, v4

	;;#ASMEND
	v_and_b32_e32 v3, 0x7fffffff, v26
	v_and_b32_e32 v4, 0x7fffffff, v27
	;; [unrolled: 6-line block ×7, first 2 shown]
	;;#ASMSTART
	v_max3_f32 v2, v2, v3, v4

	;;#ASMEND
.LBB785_18:
	s_or_b64 exec, exec, s[8:9]
	s_load_dwordx4 s[24:27], s[4:5], 0x70
	;;#ASMSTART
	v_max_f32 v3, v2, v2 quad_perm:[1,0,3,2] row_mask:0xf bank_mask:0xf bound_ctrl:1
	;;#ASMEND
	;;#ASMSTART
	v_max_f32 v2, v3, v3 quad_perm:[2,3,0,1] row_mask:0xf bank_mask:0xf bound_ctrl:1
	;;#ASMEND
	;;#ASMSTART
	v_max_f32 v3, v2, v2 row_half_mirror row_mask:0xf bank_mask:0xf bound_ctrl:1
	;;#ASMEND
	v_mul_f32_e32 v2, 0x3b124925, v3
	v_and_b32_e32 v3, 7, v0
	v_cmp_eq_u32_e32 vcc, 0, v3
	v_cmp_gt_i32_e64 s[8:9], s19, v1
	s_and_b64 s[10:11], vcc, s[8:9]
	s_and_saveexec_b64 s[8:9], s[10:11]
	s_cbranch_execz .LBB785_20
; %bb.19:
	s_load_dwordx2 s[10:11], s[4:5], 0x8
	s_waitcnt lgkmcnt(0)
	s_mul_hi_i32 s15, s25, s6
	s_mul_i32 s14, s25, s6
	v_lshrrev_b32_e32 v3, 3, v0
	s_lshl_b64 s[14:15], s[14:15], 2
	v_mad_i64_i32 v[4:5], s[26:27], s26, v3, 0
	s_add_u32 s10, s10, s14
	s_addc_u32 s11, s11, s15
	v_lshlrev_b64 v[4:5], 2, v[4:5]
	v_mov_b32_e32 v3, s11
	v_add_co_u32_e32 v4, vcc, s10, v4
	v_addc_co_u32_e32 v5, vcc, v3, v5, vcc
	global_store_dword v[4:5], v2, off
.LBB785_20:
	s_or_b64 exec, exec, s[8:9]
	;;#ASMSTART
	v_rcp_f32 v2, v2
	;;#ASMEND
	s_and_saveexec_b64 s[14:15], s[2:3]
	s_cbranch_execz .LBB785_22
; %bb.21:
	s_load_dwordx2 s[2:3], s[4:5], 0x0
	s_waitcnt lgkmcnt(0)
	s_mul_i32 s8, s24, s6
	s_mul_hi_i32 s9, s24, s6
	v_mov_b32_e32 v3, v2
	;;#ASMSTART
	v_pk_mul_f32 v[4:5], v[18:19], v[2:3]
	;;#ASMEND
	s_add_u32 s8, s2, s8
	s_addc_u32 s2, s3, s9
	s_add_i32 s3, s19, 3
	s_ashr_i32 s10, s3, 31
	v_mov_b32_e32 v10, 0xc3e00000
	v_mov_b32_e32 v11, 0x43e00000
	;;#ASMSTART
	v_med3_f32 v4, v4, v10, v11
v_med3_f32 v5, v5, v10, v11
v_cvt_pk_fp8_f32 v6, v4, v5
	;;#ASMEND
	s_and_b32 s9, s2, 0xffff
	s_lshr_b32 s2, s10, 30
	;;#ASMSTART
	v_pk_mul_f32 v[4:5], v[32:33], v[2:3]
	;;#ASMEND
	s_add_i32 s3, s3, s2
	;;#ASMSTART
	v_med3_f32 v4, v4, v10, v11
v_med3_f32 v5, v5, v10, v11
v_cvt_pk_fp8_f32 v7, v4, v5
	;;#ASMEND
	s_mov_b32 s2, 0x5040100
	v_perm_b32 v4, v7, v6, s2
	s_mov_b32 s2, 0x1060504
	v_perm_b32 v4, v4, v7, s2
	;;#ASMSTART
	v_pk_mul_f32 v[6:7], v[26:27], v[2:3]
	;;#ASMEND
	v_mov_b32_e32 v5, v6
	;;#ASMSTART
	v_med3_f32 v5, v5, v10, v11
v_med3_f32 v7, v7, v10, v11
v_cvt_pk_fp8_f32 v8, v5, v7
	;;#ASMEND
	;;#ASMSTART
	v_pk_mul_f32 v[6:7], v[30:31], v[2:3]
	;;#ASMEND
	v_mov_b32_e32 v5, v7
	;;#ASMSTART
	v_med3_f32 v6, v6, v10, v11
v_med3_f32 v5, v5, v10, v11
v_cvt_pk_fp8_f32 v7, v6, v5
	;;#ASMEND
	s_mov_b32 s2, 0x1000504
	v_perm_b32 v5, v8, v7, s2
	;;#ASMSTART
	v_pk_mul_f32 v[6:7], v[24:25], v[2:3]
	;;#ASMEND
	;;#ASMSTART
	v_med3_f32 v6, v6, v10, v11
v_med3_f32 v7, v7, v10, v11
v_cvt_pk_fp8_f32 v8, v6, v7
	;;#ASMEND
	;;#ASMSTART
	v_pk_mul_f32 v[6:7], v[28:29], v[2:3]
	;;#ASMEND
	;;#ASMSTART
	v_med3_f32 v6, v6, v10, v11
v_med3_f32 v7, v7, v10, v11
v_cvt_pk_fp8_f32 v9, v6, v7
	;;#ASMEND
	v_perm_b32 v6, v8, v9, s2
	;;#ASMSTART
	v_pk_mul_f32 v[8:9], v[22:23], v[2:3]
	;;#ASMEND
	v_mov_b32_e32 v7, v8
	;;#ASMSTART
	v_med3_f32 v7, v7, v10, v11
v_med3_f32 v9, v9, v10, v11
v_cvt_pk_fp8_f32 v8, v7, v9
	;;#ASMEND
	;;#ASMSTART
	v_pk_mul_f32 v[2:3], v[20:21], v[2:3]
	;;#ASMEND
	;;#ASMSTART
	v_med3_f32 v2, v2, v10, v11
v_med3_f32 v3, v3, v10, v11
v_cvt_pk_fp8_f32 v7, v2, v3
	;;#ASMEND
	s_and_b32 s10, s3, -4
	s_mov_b32 s11, 0x20000
	v_perm_b32 v7, v8, v7, s2
	buffer_store_dwordx4 v[4:7], v1, s[8:11], 0 offen
	;;#ASMSTART
	s_nop 0
	;;#ASMEND
.LBB785_22:
	s_or_b64 exec, exec, s[14:15]
	s_cmp_lt_i32 s20, 1
	s_cbranch_scc1 .LBB785_12
.LBB785_23:
	s_load_dword s2, s[4:5], 0x94
	s_waitcnt lgkmcnt(0)
	s_cmp_lg_u32 s2, 1
	s_cbranch_scc1 .LBB785_12
; %bb.24:
	s_lshl_b32 s2, s20, 1
	s_add_i32 s2, s2, 2
	v_cmp_gt_u32_e32 vcc, s20, v1
	s_and_b32 s14, s2, -4
	v_mov_b32_e32 v18, 0
	v_lshlrev_b32_e32 v1, 5, v0
	v_mov_b32_e32 v14, 0
	v_mov_b32_e32 v15, 0
	;; [unrolled: 1-line block ×8, first 2 shown]
	s_waitcnt vmcnt(1)
	v_mov_b32_e32 v6, 0
	v_mov_b32_e32 v7, 0
	v_mov_b32_e32 v8, 0
	v_mov_b32_e32 v9, 0
	s_waitcnt vmcnt(0)
	v_mov_b32_e32 v2, 0
	v_mov_b32_e32 v3, 0
	;; [unrolled: 1-line block ×4, first 2 shown]
	s_barrier
	s_and_saveexec_b64 s[2:3], vcc
	s_cbranch_execz .LBB785_26
; %bb.25:
	s_mul_hi_i32 s5, s22, s6
	s_mul_i32 s4, s22, s6
	s_and_b32 s13, s13, 0xffff
	s_lshl_b64 s[4:5], s[4:5], 1
	s_add_u32 s8, s30, s4
	s_mov_b32 s15, 0x20000
	s_addc_u32 s4, s31, s5
	s_and_b32 s9, s4, 0xffff
	s_mov_b32 s10, s14
	s_mov_b32 s11, s15
	buffer_load_dwordx4 v[14:17], v1, s[8:11], 0 offen
	buffer_load_dwordx4 v[10:13], v1, s[8:11], 16 offen
	buffer_load_dwordx4 v[6:9], v1, s[12:15], 0 offen
	buffer_load_dwordx4 v[2:5], v1, s[12:15], 16 offen
.LBB785_26:
	s_or_b64 exec, exec, s[2:3]
	v_mov_b32_e32 v19, 0
	v_mov_b32_e32 v32, 0
	;; [unrolled: 1-line block ×15, first 2 shown]
	s_and_saveexec_b64 s[2:3], vcc
	s_cbranch_execz .LBB785_28
; %bb.27:
	s_waitcnt vmcnt(3)
	v_cvt_f32_f16_sdwa v19, v14 dst_sel:DWORD dst_unused:UNUSED_PAD src0_sel:WORD_1
	v_cvt_f32_f16_e32 v18, v14
	v_cvt_f32_f16_sdwa v33, v15 dst_sel:DWORD dst_unused:UNUSED_PAD src0_sel:WORD_1
	v_cvt_f32_f16_e32 v32, v15
	;; [unrolled: 2-line block ×4, first 2 shown]
	s_waitcnt vmcnt(2)
	v_cvt_f32_f16_sdwa v27, v10 dst_sel:DWORD dst_unused:UNUSED_PAD src0_sel:WORD_1
	v_cvt_f32_f16_e32 v26, v10
	v_cvt_f32_f16_sdwa v25, v11 dst_sel:DWORD dst_unused:UNUSED_PAD src0_sel:WORD_1
	v_cvt_f32_f16_e32 v24, v11
	;; [unrolled: 2-line block ×4, first 2 shown]
.LBB785_28:
	s_or_b64 exec, exec, s[2:3]
	s_waitcnt vmcnt(2)
	v_mul_f32_e32 v10, v19, v19
	v_fmac_f32_e32 v10, v18, v18
	v_fmac_f32_e32 v10, v32, v32
	v_fmac_f32_e32 v10, v33, v33
	v_fmac_f32_e32 v10, v30, v30
	v_fmac_f32_e32 v10, v31, v31
	v_fmac_f32_e32 v10, v28, v28
	v_fmac_f32_e32 v10, v29, v29
	v_fmac_f32_e32 v10, v26, v26
	v_fmac_f32_e32 v10, v27, v27
	v_fmac_f32_e32 v10, v24, v24
	v_fmac_f32_e32 v10, v25, v25
	v_fmac_f32_e32 v10, v22, v22
	v_fmac_f32_e32 v10, v23, v23
	v_fmac_f32_e32 v10, v20, v20
	v_fmac_f32_e32 v10, v21, v21
	s_nop 1
	v_mov_b32_dpp v11, v10 quad_perm:[1,0,3,2] row_mask:0xf bank_mask:0xf
	v_add_f32_e32 v10, v10, v11
	s_nop 1
	v_mov_b32_dpp v11, v10 quad_perm:[2,3,0,1] row_mask:0xf bank_mask:0xf
	v_add_f32_e32 v10, v10, v11
	s_nop 1
	v_mov_b32_dpp v11, v10 row_half_mirror row_mask:0xf bank_mask:0xf
	v_add_f32_e32 v10, v10, v11
	s_nop 1
	v_mov_b32_dpp v11, v10 row_mirror row_mask:0xf bank_mask:0xf
	v_add_f32_e32 v10, v10, v11
	s_nop 1
	v_mov_b32_dpp v11, v10 row_bcast:15 row_mask:0xf bank_mask:0xf
	v_add_f32_e32 v10, v10, v11
	s_nop 1
	v_mov_b32_dpp v11, v10 row_bcast:31 row_mask:0xf bank_mask:0xf
	s_and_saveexec_b64 s[2:3], s[0:1]
	s_cbranch_execz .LBB785_30
; %bb.29:
	v_lshrrev_b32_e32 v0, 4, v0
	v_add_f32_e32 v10, v10, v11
	v_and_b32_e32 v0, 60, v0
	ds_write_b32 v0, v10
.LBB785_30:
	s_or_b64 exec, exec, s[2:3]
	s_waitcnt lgkmcnt(0)
	s_barrier
	ds_read_b32 v0, v34
	s_waitcnt lgkmcnt(0)
	s_nop 0
	v_mov_b32_dpp v10, v0 quad_perm:[1,0,3,2] row_mask:0xf bank_mask:0xf
	v_add_f32_e32 v0, v0, v10
	s_nop 1
	v_mov_b32_dpp v10, v0 quad_perm:[2,3,0,1] row_mask:0xf bank_mask:0xf
	s_and_saveexec_b64 s[0:1], vcc
	s_cbranch_execz .LBB785_12
; %bb.31:
	v_cvt_f32_u32_e32 v11, s20
	v_add_f32_e32 v0, v0, v10
	s_mov_b32 s15, 0x20000
	v_div_scale_f32 v10, s[0:1], v11, v11, v0
	v_rcp_f32_e32 v12, v10
	v_div_scale_f32 v13, vcc, v0, v11, v0
	s_mov_b32 s0, 0x800000
	v_fma_f32 v14, -v10, v12, 1.0
	v_fmac_f32_e32 v12, v14, v12
	v_mul_f32_e32 v14, v13, v12
	v_fma_f32 v15, -v10, v14, v13
	v_fmac_f32_e32 v14, v15, v12
	v_fma_f32 v10, -v10, v14, v13
	v_div_fmas_f32 v10, v10, v12, v14
	v_div_fixup_f32 v0, v10, v11, v0
	v_add_f32_e32 v0, s17, v0
	v_mul_f32_e32 v10, 0x4b800000, v0
	v_cmp_gt_f32_e32 vcc, s0, v0
	v_cndmask_b32_e32 v0, v0, v10, vcc
	v_rsq_f32_e32 v0, v0
	s_mul_hi_i32 s1, s7, s6
	s_mul_i32 s0, s7, s6
	s_lshl_b64 s[0:1], s[0:1], 1
	v_mul_f32_e32 v10, 0x45800000, v0
	v_cndmask_b32_e32 v10, v0, v10, vcc
	v_mov_b32_e32 v11, v10
	;;#ASMSTART
	v_pk_mul_f32 v[12:13], v[18:19], v[10:11]
	;;#ASMEND
	;;#ASMSTART
	v_pk_mul_f32 v[14:15], v[32:33], v[10:11]
	;;#ASMEND
	;; [unrolled: 3-line block ×4, first 2 shown]
	s_waitcnt vmcnt(1)
	v_cvt_f32_f16_sdwa v29, v6 dst_sel:DWORD dst_unused:UNUSED_PAD src0_sel:WORD_1
	v_cvt_f32_f16_e32 v28, v6
	v_cvt_f32_f16_sdwa v31, v7 dst_sel:DWORD dst_unused:UNUSED_PAD src0_sel:WORD_1
	v_cvt_f32_f16_e32 v30, v7
	;;#ASMSTART
	v_pk_mul_f32 v[26:27], v[26:27], v[10:11]
	;;#ASMEND
	;;#ASMSTART
	v_pk_mul_f32 v[24:25], v[24:25], v[10:11]
	;;#ASMEND
	;; [unrolled: 3-line block ×4, first 2 shown]
	v_cvt_f32_f16_sdwa v21, v8 dst_sel:DWORD dst_unused:UNUSED_PAD src0_sel:WORD_1
	v_cvt_f32_f16_e32 v20, v8
	v_pk_add_f32 v[10:11], v[28:29], 1.0 op_sel_hi:[1,0]
	;;#ASMSTART
	v_pk_mul_f32 v[10:11], v[12:13], v[10:11]
	;;#ASMEND
	v_pk_add_f32 v[12:13], v[30:31], 1.0 op_sel_hi:[1,0]
	v_cvt_f32_f16_sdwa v29, v9 dst_sel:DWORD dst_unused:UNUSED_PAD src0_sel:WORD_1
	v_cvt_f32_f16_e32 v28, v9
	;;#ASMSTART
	v_pk_mul_f32 v[8:9], v[14:15], v[12:13]
	;;#ASMEND
	v_pk_add_f32 v[12:13], v[20:21], 1.0 op_sel_hi:[1,0]
	;;#ASMSTART
	v_pk_mul_f32 v[12:13], v[16:17], v[12:13]
	;;#ASMEND
	s_waitcnt vmcnt(0)
	v_cvt_f32_f16_sdwa v17, v2 dst_sel:DWORD dst_unused:UNUSED_PAD src0_sel:WORD_1
	v_cvt_f32_f16_e32 v16, v2
	v_cvt_f32_f16_sdwa v21, v3 dst_sel:DWORD dst_unused:UNUSED_PAD src0_sel:WORD_1
	v_cvt_f32_f16_e32 v20, v3
	v_pk_add_f32 v[14:15], v[28:29], 1.0 op_sel_hi:[1,0]
	;;#ASMSTART
	v_pk_mul_f32 v[2:3], v[18:19], v[14:15]
	;;#ASMEND
	v_cvt_f32_f16_sdwa v19, v4 dst_sel:DWORD dst_unused:UNUSED_PAD src0_sel:WORD_1
	v_cvt_f32_f16_e32 v18, v4
	v_pk_add_f32 v[14:15], v[16:17], 1.0 op_sel_hi:[1,0]
	v_pk_add_f32 v[16:17], v[20:21], 1.0 op_sel_hi:[1,0]
	v_cvt_f32_f16_sdwa v21, v5 dst_sel:DWORD dst_unused:UNUSED_PAD src0_sel:WORD_1
	v_cvt_f32_f16_e32 v20, v5
	v_pk_add_f32 v[4:5], v[18:19], 1.0 op_sel_hi:[1,0]
	;;#ASMSTART
	v_pk_mul_f32 v[14:15], v[26:27], v[14:15]
	;;#ASMEND
	;;#ASMSTART
	v_pk_mul_f32 v[16:17], v[24:25], v[16:17]
	;;#ASMEND
	;; [unrolled: 3-line block ×3, first 2 shown]
	v_pk_add_f32 v[4:5], v[20:21], 1.0 op_sel_hi:[1,0]
	;;#ASMSTART
	v_pk_mul_f32 v[6:7], v[6:7], v[4:5]
	;;#ASMEND
	v_cvt_f16_f32_e32 v0, v10
	v_cvt_f16_f32_e32 v4, v11
	;; [unrolled: 1-line block ×8, first 2 shown]
	s_add_u32 s12, s28, s0
	s_addc_u32 s0, s29, s1
	s_and_b32 s13, s0, 0xffff
	v_pack_b32_f16 v2, v0, v4
	v_pack_b32_f16 v3, v5, v8
	;; [unrolled: 1-line block ×4, first 2 shown]
	buffer_store_dwordx4 v[2:5], v1, s[12:15], 0 offen
	v_cvt_f16_f32_e32 v0, v14
	v_cvt_f16_f32_e32 v2, v15
	;; [unrolled: 1-line block ×8, first 2 shown]
	v_pack_b32_f16 v2, v0, v2
	v_pack_b32_f16 v3, v3, v4
	;; [unrolled: 1-line block ×4, first 2 shown]
	;;#ASMSTART
	s_nop 0
	;;#ASMEND
	buffer_store_dwordx4 v[2:5], v1, s[12:15], 16 offen
	;;#ASMSTART
	s_nop 0
	;;#ASMEND
	s_endpgm
	.section	.rodata,"a",@progbits
	.p2align	6, 0x0
	.amdhsa_kernel _ZN5aiter35fused_qk_rmsnorm_group_quant_kernelIDF16_DB8_Li256ELi16ELi8ELb0ELb0ELb1ELb0ELb0ELb0EEEvPT0_PvPT_S6_S6_PKS5_S8_S8_S8_S8_ffiiiiiiiiiiiii
		.amdhsa_group_segment_fixed_size 32
		.amdhsa_private_segment_fixed_size 0
		.amdhsa_kernarg_size 400
		.amdhsa_user_sgpr_count 6
		.amdhsa_user_sgpr_private_segment_buffer 1
		.amdhsa_user_sgpr_dispatch_ptr 0
		.amdhsa_user_sgpr_queue_ptr 0
		.amdhsa_user_sgpr_kernarg_segment_ptr 1
		.amdhsa_user_sgpr_dispatch_id 0
		.amdhsa_user_sgpr_flat_scratch_init 0
		.amdhsa_user_sgpr_kernarg_preload_length 0
		.amdhsa_user_sgpr_kernarg_preload_offset 0
		.amdhsa_user_sgpr_private_segment_size 0
		.amdhsa_uses_dynamic_stack 0
		.amdhsa_system_sgpr_private_segment_wavefront_offset 0
		.amdhsa_system_sgpr_workgroup_id_x 1
		.amdhsa_system_sgpr_workgroup_id_y 1
		.amdhsa_system_sgpr_workgroup_id_z 0
		.amdhsa_system_sgpr_workgroup_info 0
		.amdhsa_system_vgpr_workitem_id 0
		.amdhsa_next_free_vgpr 35
		.amdhsa_next_free_sgpr 32
		.amdhsa_accum_offset 36
		.amdhsa_reserve_vcc 1
		.amdhsa_reserve_flat_scratch 0
		.amdhsa_float_round_mode_32 0
		.amdhsa_float_round_mode_16_64 0
		.amdhsa_float_denorm_mode_32 3
		.amdhsa_float_denorm_mode_16_64 3
		.amdhsa_dx10_clamp 1
		.amdhsa_ieee_mode 1
		.amdhsa_fp16_overflow 0
		.amdhsa_tg_split 0
		.amdhsa_exception_fp_ieee_invalid_op 0
		.amdhsa_exception_fp_denorm_src 0
		.amdhsa_exception_fp_ieee_div_zero 0
		.amdhsa_exception_fp_ieee_overflow 0
		.amdhsa_exception_fp_ieee_underflow 0
		.amdhsa_exception_fp_ieee_inexact 0
		.amdhsa_exception_int_div_zero 0
	.end_amdhsa_kernel
	.section	.text._ZN5aiter35fused_qk_rmsnorm_group_quant_kernelIDF16_DB8_Li256ELi16ELi8ELb0ELb0ELb1ELb0ELb0ELb0EEEvPT0_PvPT_S6_S6_PKS5_S8_S8_S8_S8_ffiiiiiiiiiiiii,"axG",@progbits,_ZN5aiter35fused_qk_rmsnorm_group_quant_kernelIDF16_DB8_Li256ELi16ELi8ELb0ELb0ELb1ELb0ELb0ELb0EEEvPT0_PvPT_S6_S6_PKS5_S8_S8_S8_S8_ffiiiiiiiiiiiii,comdat
.Lfunc_end785:
	.size	_ZN5aiter35fused_qk_rmsnorm_group_quant_kernelIDF16_DB8_Li256ELi16ELi8ELb0ELb0ELb1ELb0ELb0ELb0EEEvPT0_PvPT_S6_S6_PKS5_S8_S8_S8_S8_ffiiiiiiiiiiiii, .Lfunc_end785-_ZN5aiter35fused_qk_rmsnorm_group_quant_kernelIDF16_DB8_Li256ELi16ELi8ELb0ELb0ELb1ELb0ELb0ELb0EEEvPT0_PvPT_S6_S6_PKS5_S8_S8_S8_S8_ffiiiiiiiiiiiii
                                        ; -- End function
	.section	.AMDGPU.csdata,"",@progbits
; Kernel info:
; codeLenInByte = 3556
; NumSgprs: 36
; NumVgprs: 35
; NumAgprs: 0
; TotalNumVgprs: 35
; ScratchSize: 0
; MemoryBound: 0
; FloatMode: 240
; IeeeMode: 1
; LDSByteSize: 32 bytes/workgroup (compile time only)
; SGPRBlocks: 4
; VGPRBlocks: 4
; NumSGPRsForWavesPerEU: 36
; NumVGPRsForWavesPerEU: 35
; AccumOffset: 36
; Occupancy: 8
; WaveLimiterHint : 0
; COMPUTE_PGM_RSRC2:SCRATCH_EN: 0
; COMPUTE_PGM_RSRC2:USER_SGPR: 6
; COMPUTE_PGM_RSRC2:TRAP_HANDLER: 0
; COMPUTE_PGM_RSRC2:TGID_X_EN: 1
; COMPUTE_PGM_RSRC2:TGID_Y_EN: 1
; COMPUTE_PGM_RSRC2:TGID_Z_EN: 0
; COMPUTE_PGM_RSRC2:TIDIG_COMP_CNT: 0
; COMPUTE_PGM_RSRC3_GFX90A:ACCUM_OFFSET: 8
; COMPUTE_PGM_RSRC3_GFX90A:TG_SPLIT: 0
	.section	.text._ZN5aiter35fused_qk_rmsnorm_group_quant_kernelItDB8_Li256ELi16ELi8ELb0ELb0ELb1ELb0ELb0ELb0EEEvPT0_PvPT_S6_S6_PKS5_S8_S8_S8_S8_ffiiiiiiiiiiiii,"axG",@progbits,_ZN5aiter35fused_qk_rmsnorm_group_quant_kernelItDB8_Li256ELi16ELi8ELb0ELb0ELb1ELb0ELb0ELb0EEEvPT0_PvPT_S6_S6_PKS5_S8_S8_S8_S8_ffiiiiiiiiiiiii,comdat
	.protected	_ZN5aiter35fused_qk_rmsnorm_group_quant_kernelItDB8_Li256ELi16ELi8ELb0ELb0ELb1ELb0ELb0ELb0EEEvPT0_PvPT_S6_S6_PKS5_S8_S8_S8_S8_ffiiiiiiiiiiiii ; -- Begin function _ZN5aiter35fused_qk_rmsnorm_group_quant_kernelItDB8_Li256ELi16ELi8ELb0ELb0ELb1ELb0ELb0ELb0EEEvPT0_PvPT_S6_S6_PKS5_S8_S8_S8_S8_ffiiiiiiiiiiiii
	.globl	_ZN5aiter35fused_qk_rmsnorm_group_quant_kernelItDB8_Li256ELi16ELi8ELb0ELb0ELb1ELb0ELb0ELb0EEEvPT0_PvPT_S6_S6_PKS5_S8_S8_S8_S8_ffiiiiiiiiiiiii
	.p2align	8
	.type	_ZN5aiter35fused_qk_rmsnorm_group_quant_kernelItDB8_Li256ELi16ELi8ELb0ELb0ELb1ELb0ELb0ELb0EEEvPT0_PvPT_S6_S6_PKS5_S8_S8_S8_S8_ffiiiiiiiiiiiii,@function
_ZN5aiter35fused_qk_rmsnorm_group_quant_kernelItDB8_Li256ELi16ELi8ELb0ELb0ELb1ELb0ELb0ELb0EEEvPT0_PvPT_S6_S6_PKS5_S8_S8_S8_S8_ffiiiiiiiiiiiii: ; @_ZN5aiter35fused_qk_rmsnorm_group_quant_kernelItDB8_Li256ELi16ELi8ELb0ELb0ELb1ELb0ELb0ELb0EEEvPT0_PvPT_S6_S6_PKS5_S8_S8_S8_S8_ffiiiiiiiiiiiii
; %bb.0:
	s_load_dwordx4 s[16:19], s[4:5], 0x50
	s_waitcnt lgkmcnt(0)
	s_cmp_ge_i32 s6, s18
	s_cbranch_scc1 .LBB786_12
; %bb.1:
	s_load_dwordx2 s[12:13], s[4:5], 0x48
	s_load_dwordx2 s[30:31], s[4:5], 0x30
	s_load_dwordx4 s[20:23], s[4:5], 0x60
	s_cmp_lg_u32 s7, 0
	s_cselect_b64 s[14:15], -1, 0
	s_cmp_eq_u32 s7, 0
	s_cselect_b64 vcc, -1, 0
	s_and_b64 s[0:1], vcc, exec
	s_waitcnt lgkmcnt(0)
	s_cselect_b32 s7, s19, s20
	s_add_i32 s0, s7, 1
	s_lshr_b32 s1, s0, 31
	s_add_i32 s0, s0, s1
	s_lshl_b32 s0, s0, 1
	v_lshlrev_b32_e32 v1, 4, v0
	s_and_b32 s10, s0, -4
	v_cmp_gt_i32_e64 s[2:3], s7, v1
	v_mov_b32_e32 v18, 0
	v_mov_b32_e32 v6, 0
	;; [unrolled: 1-line block ×17, first 2 shown]
	s_and_saveexec_b64 s[0:1], s[2:3]
	s_cbranch_execz .LBB786_3
; %bb.2:
	s_load_dwordx2 s[8:9], s[4:5], 0x28
	s_load_dwordx2 s[26:27], s[4:5], 0x40
	s_and_b64 s[24:25], vcc, exec
	s_cselect_b32 s11, s21, s22
	v_lshlrev_b32_e32 v19, 5, v0
	s_waitcnt lgkmcnt(0)
	s_cselect_b32 s18, s9, s31
	s_cselect_b32 s21, s8, s30
	s_mul_hi_i32 s9, s11, s6
	s_mul_i32 s8, s11, s6
	s_lshl_b64 s[8:9], s[8:9], 1
	s_add_u32 s24, s21, s8
	s_addc_u32 s18, s18, s9
	s_and_b64 s[8:9], vcc, exec
	s_mov_b32 s11, 0x20000
	s_cselect_b32 s8, s26, s12
	s_cselect_b32 s9, s27, s13
	s_and_b32 s25, s18, 0xffff
	s_mov_b32 s26, s10
	s_mov_b32 s27, s11
	s_and_b32 s9, s9, 0xffff
	buffer_load_dwordx4 v[14:17], v19, s[24:27], 0 offen
	buffer_load_dwordx4 v[10:13], v19, s[24:27], 16 offen
	;; [unrolled: 1-line block ×4, first 2 shown]
.LBB786_3:
	s_or_b64 exec, exec, s[0:1]
	v_mov_b32_e32 v19, 0
	v_mov_b32_e32 v32, 0
	;; [unrolled: 1-line block ×15, first 2 shown]
	s_and_saveexec_b64 s[0:1], s[2:3]
	s_cbranch_execz .LBB786_5
; %bb.4:
	s_waitcnt vmcnt(3)
	v_cvt_f32_u32_sdwa v18, v14 dst_sel:DWORD dst_unused:UNUSED_PAD src0_sel:WORD_0
	v_cvt_f32_u32_sdwa v19, v14 dst_sel:DWORD dst_unused:UNUSED_PAD src0_sel:WORD_1
	v_cvt_f32_u32_sdwa v32, v15 dst_sel:DWORD dst_unused:UNUSED_PAD src0_sel:WORD_0
	v_cvt_f32_u32_sdwa v33, v15 dst_sel:DWORD dst_unused:UNUSED_PAD src0_sel:WORD_1
	;; [unrolled: 2-line block ×4, first 2 shown]
	s_waitcnt vmcnt(2)
	v_cvt_f32_u32_sdwa v24, v10 dst_sel:DWORD dst_unused:UNUSED_PAD src0_sel:WORD_0
	v_cvt_f32_u32_sdwa v25, v10 dst_sel:DWORD dst_unused:UNUSED_PAD src0_sel:WORD_1
	v_cvt_f32_u32_sdwa v28, v11 dst_sel:DWORD dst_unused:UNUSED_PAD src0_sel:WORD_0
	v_cvt_f32_u32_sdwa v29, v11 dst_sel:DWORD dst_unused:UNUSED_PAD src0_sel:WORD_1
	;; [unrolled: 2-line block ×4, first 2 shown]
.LBB786_5:
	s_or_b64 exec, exec, s[0:1]
	s_waitcnt vmcnt(2)
	v_mul_f32_e32 v10, v19, v19
	v_fmac_f32_e32 v10, v18, v18
	v_fmac_f32_e32 v10, v32, v32
	;; [unrolled: 1-line block ×15, first 2 shown]
	v_and_b32_e32 v12, 63, v0
	v_cmp_eq_u32_e64 s[0:1], 63, v12
	v_mov_b32_dpp v11, v10 quad_perm:[1,0,3,2] row_mask:0xf bank_mask:0xf
	v_add_f32_e32 v10, v10, v11
	s_nop 1
	v_mov_b32_dpp v11, v10 quad_perm:[2,3,0,1] row_mask:0xf bank_mask:0xf
	v_add_f32_e32 v10, v10, v11
	s_nop 1
	v_mov_b32_dpp v11, v10 row_half_mirror row_mask:0xf bank_mask:0xf
	v_add_f32_e32 v10, v10, v11
	s_nop 1
	v_mov_b32_dpp v11, v10 row_mirror row_mask:0xf bank_mask:0xf
	v_add_f32_e32 v10, v10, v11
	s_nop 1
	v_mov_b32_dpp v11, v10 row_bcast:15 row_mask:0xf bank_mask:0xf
	v_add_f32_e32 v10, v10, v11
	s_nop 1
	v_mov_b32_dpp v11, v10 row_bcast:31 row_mask:0xf bank_mask:0xf
	s_and_saveexec_b64 s[8:9], s[0:1]
	s_cbranch_execz .LBB786_7
; %bb.6:
	v_add_f32_e32 v10, v10, v11
	v_lshrrev_b32_e32 v11, 4, v0
	v_and_b32_e32 v11, 60, v11
	ds_write_b32 v11, v10 offset:16
.LBB786_7:
	s_or_b64 exec, exec, s[8:9]
	v_and_b32_e32 v10, 3, v0
	v_lshlrev_b32_e32 v34, 2, v10
	s_waitcnt lgkmcnt(0)
	s_barrier
	ds_read_b32 v10, v34 offset:16
	s_load_dwordx2 s[28:29], s[4:5], 0x18
	s_waitcnt lgkmcnt(0)
	v_mov_b32_dpp v11, v10 quad_perm:[1,0,3,2] row_mask:0xf bank_mask:0xf
	v_add_f32_e32 v10, v10, v11
	s_nop 1
	v_mov_b32_dpp v11, v10 quad_perm:[2,3,0,1] row_mask:0xf bank_mask:0xf
	s_and_saveexec_b64 s[8:9], s[2:3]
	s_cbranch_execz .LBB786_9
; %bb.8:
	v_cvt_f32_u32_e32 v12, s7
	v_add_f32_e32 v10, v10, v11
	v_mov_b32_e32 v14, s17
	v_mov_b32_e32 v15, s16
	v_div_scale_f32 v11, s[24:25], v12, v12, v10
	v_rcp_f32_e32 v13, v11
	v_cndmask_b32_e32 v14, v14, v15, vcc
	s_mov_b32 s7, 0x800000
	v_fma_f32 v15, -v11, v13, 1.0
	v_fmac_f32_e32 v13, v15, v13
	v_div_scale_f32 v15, vcc, v10, v12, v10
	v_mul_f32_e32 v16, v15, v13
	v_fma_f32 v17, -v11, v16, v15
	v_fmac_f32_e32 v16, v17, v13
	v_fma_f32 v11, -v11, v16, v15
	v_div_fmas_f32 v11, v11, v13, v16
	v_div_fixup_f32 v10, v11, v12, v10
	v_add_f32_e32 v10, v14, v10
	v_mul_f32_e32 v11, 0x4b800000, v10
	v_cmp_gt_f32_e32 vcc, s7, v10
	v_cndmask_b32_e32 v10, v10, v11, vcc
	v_rsq_f32_e32 v10, v10
	v_mul_f32_e32 v11, 0x45800000, v10
	v_cndmask_b32_e32 v10, v10, v11, vcc
	v_mov_b32_e32 v11, v10
	;;#ASMSTART
	v_pk_mul_f32 v[12:13], v[18:19], v[10:11]
	;;#ASMEND
	s_waitcnt vmcnt(1)
	v_cvt_f32_u32_sdwa v19, v6 dst_sel:DWORD dst_unused:UNUSED_PAD src0_sel:WORD_1
	v_cvt_f32_u32_sdwa v18, v6 dst_sel:DWORD dst_unused:UNUSED_PAD src0_sel:WORD_0
	;;#ASMSTART
	v_pk_mul_f32 v[14:15], v[32:33], v[10:11]
	;;#ASMEND
	;;#ASMSTART
	v_pk_mul_f32 v[16:17], v[26:27], v[10:11]
	;;#ASMEND
	v_cvt_f32_u32_sdwa v27, v7 dst_sel:DWORD dst_unused:UNUSED_PAD src0_sel:WORD_1
	v_cvt_f32_u32_sdwa v26, v7 dst_sel:DWORD dst_unused:UNUSED_PAD src0_sel:WORD_0
	;;#ASMSTART
	v_pk_mul_f32 v[30:31], v[30:31], v[10:11]
	;;#ASMEND
	;;#ASMSTART
	v_pk_mul_f32 v[24:25], v[24:25], v[10:11]
	;;#ASMEND
	;;#ASMSTART
	v_pk_mul_f32 v[28:29], v[28:29], v[10:11]
	;;#ASMEND
	;;#ASMSTART
	v_pk_mul_f32 v[22:23], v[22:23], v[10:11]
	;;#ASMEND
	;;#ASMSTART
	v_pk_mul_f32 v[6:7], v[20:21], v[10:11]
	;;#ASMEND
	v_pk_add_f32 v[10:11], v[18:19], 1.0 op_sel_hi:[1,0]
	;;#ASMSTART
	v_pk_mul_f32 v[18:19], v[12:13], v[10:11]
	;;#ASMEND
	v_cvt_f32_u32_sdwa v13, v8 dst_sel:DWORD dst_unused:UNUSED_PAD src0_sel:WORD_1
	v_cvt_f32_u32_sdwa v12, v8 dst_sel:DWORD dst_unused:UNUSED_PAD src0_sel:WORD_0
	v_cvt_f32_u32_sdwa v21, v9 dst_sel:DWORD dst_unused:UNUSED_PAD src0_sel:WORD_1
	v_cvt_f32_u32_sdwa v20, v9 dst_sel:DWORD dst_unused:UNUSED_PAD src0_sel:WORD_0
	v_pk_add_f32 v[10:11], v[26:27], 1.0 op_sel_hi:[1,0]
	;;#ASMSTART
	v_pk_mul_f32 v[32:33], v[14:15], v[10:11]
	;;#ASMEND
	s_waitcnt vmcnt(0)
	v_cvt_f32_u32_sdwa v11, v2 dst_sel:DWORD dst_unused:UNUSED_PAD src0_sel:WORD_1
	v_cvt_f32_u32_sdwa v10, v2 dst_sel:DWORD dst_unused:UNUSED_PAD src0_sel:WORD_0
	v_pk_add_f32 v[8:9], v[12:13], 1.0 op_sel_hi:[1,0]
	;;#ASMSTART
	v_pk_mul_f32 v[26:27], v[16:17], v[8:9]
	;;#ASMEND
	v_pk_add_f32 v[8:9], v[20:21], 1.0 op_sel_hi:[1,0]
	v_cvt_f32_u32_sdwa v13, v3 dst_sel:DWORD dst_unused:UNUSED_PAD src0_sel:WORD_1
	v_cvt_f32_u32_sdwa v12, v3 dst_sel:DWORD dst_unused:UNUSED_PAD src0_sel:WORD_0
	;;#ASMSTART
	v_pk_mul_f32 v[30:31], v[30:31], v[8:9]
	;;#ASMEND
	v_cvt_f32_u32_sdwa v9, v4 dst_sel:DWORD dst_unused:UNUSED_PAD src0_sel:WORD_1
	v_cvt_f32_u32_sdwa v8, v4 dst_sel:DWORD dst_unused:UNUSED_PAD src0_sel:WORD_0
	v_pk_add_f32 v[2:3], v[10:11], 1.0 op_sel_hi:[1,0]
	v_cvt_f32_u32_sdwa v11, v5 dst_sel:DWORD dst_unused:UNUSED_PAD src0_sel:WORD_1
	v_cvt_f32_u32_sdwa v10, v5 dst_sel:DWORD dst_unused:UNUSED_PAD src0_sel:WORD_0
	;;#ASMSTART
	v_pk_mul_f32 v[24:25], v[24:25], v[2:3]
	;;#ASMEND
	v_pk_add_f32 v[2:3], v[12:13], 1.0 op_sel_hi:[1,0]
	;;#ASMSTART
	v_pk_mul_f32 v[28:29], v[28:29], v[2:3]
	;;#ASMEND
	v_pk_add_f32 v[2:3], v[8:9], 1.0 op_sel_hi:[1,0]
	;; [unrolled: 4-line block ×3, first 2 shown]
	;;#ASMSTART
	v_pk_mul_f32 v[20:21], v[6:7], v[2:3]
	;;#ASMEND
.LBB786_9:
	s_or_b64 exec, exec, s[8:9]
	s_load_dword s7, s[4:5], 0x80
	s_mov_b64 s[8:9], -1
	s_and_b64 vcc, exec, s[14:15]
	s_cbranch_vccnz .LBB786_13
; %bb.10:
	s_andn2_b64 vcc, exec, s[8:9]
	s_cbranch_vccz .LBB786_16
.LBB786_11:
	s_cmp_lt_i32 s20, 1
	s_cbranch_scc0 .LBB786_23
.LBB786_12:
	s_endpgm
.LBB786_13:
	s_and_saveexec_b64 s[14:15], s[2:3]
	s_cbranch_execz .LBB786_15
; %bb.14:
	s_waitcnt lgkmcnt(0)
	s_mul_hi_i32 s9, s7, s6
	s_mul_i32 s8, s7, s6
	s_lshl_b64 s[8:9], s[8:9], 1
	s_add_u32 s8, s28, s8
	s_addc_u32 s9, s29, s9
	s_mov_b32 s16, 0x7060302
	s_and_b32 s9, s9, 0xffff
	s_mov_b32 s11, 0x20000
	s_waitcnt vmcnt(0)
	v_perm_b32 v5, v31, v30, s16
	v_perm_b32 v4, v27, v26, s16
	v_perm_b32 v3, v33, v32, s16
	v_perm_b32 v2, v19, v18, s16
	v_lshlrev_b32_e32 v6, 5, v0
	buffer_store_dwordx4 v[2:5], v6, s[8:11], 0 offen
	;;#ASMSTART
	s_nop 0
	;;#ASMEND
	s_nop 0
	v_perm_b32 v5, v21, v20, s16
	v_perm_b32 v4, v23, v22, s16
	;; [unrolled: 1-line block ×4, first 2 shown]
	buffer_store_dwordx4 v[2:5], v6, s[8:11], 16 offen
	;;#ASMSTART
	s_nop 0
	;;#ASMEND
.LBB786_15:
	s_or_b64 exec, exec, s[14:15]
	s_cbranch_execnz .LBB786_11
.LBB786_16:
	s_waitcnt vmcnt(0)
	v_mov_b32_e32 v2, 0
	s_and_saveexec_b64 s[8:9], s[2:3]
	s_cbranch_execz .LBB786_18
; %bb.17:
	v_and_b32_e32 v2, 0x7fffffff, v18
	v_and_b32_e32 v3, 0x7fffffff, v19
	v_mov_b32_e32 v4, 0x2edbe6ff
	;;#ASMSTART
	v_max3_f32 v2, v4, v2, v3

	;;#ASMEND
	v_and_b32_e32 v3, 0x7fffffff, v32
	v_and_b32_e32 v4, 0x7fffffff, v33
	;;#ASMSTART
	v_max3_f32 v2, v2, v3, v4

	;;#ASMEND
	v_and_b32_e32 v3, 0x7fffffff, v26
	v_and_b32_e32 v4, 0x7fffffff, v27
	;; [unrolled: 6-line block ×7, first 2 shown]
	;;#ASMSTART
	v_max3_f32 v2, v2, v3, v4

	;;#ASMEND
.LBB786_18:
	s_or_b64 exec, exec, s[8:9]
	s_load_dwordx4 s[24:27], s[4:5], 0x70
	;;#ASMSTART
	v_max_f32 v3, v2, v2 quad_perm:[1,0,3,2] row_mask:0xf bank_mask:0xf bound_ctrl:1
	;;#ASMEND
	;;#ASMSTART
	v_max_f32 v2, v3, v3 quad_perm:[2,3,0,1] row_mask:0xf bank_mask:0xf bound_ctrl:1
	;;#ASMEND
	;;#ASMSTART
	v_max_f32 v3, v2, v2 row_half_mirror row_mask:0xf bank_mask:0xf bound_ctrl:1
	;;#ASMEND
	v_mul_f32_e32 v2, 0x3b124925, v3
	v_and_b32_e32 v3, 7, v0
	v_cmp_eq_u32_e32 vcc, 0, v3
	v_cmp_gt_i32_e64 s[8:9], s19, v1
	s_and_b64 s[10:11], vcc, s[8:9]
	s_and_saveexec_b64 s[8:9], s[10:11]
	s_cbranch_execz .LBB786_20
; %bb.19:
	s_load_dwordx2 s[10:11], s[4:5], 0x8
	s_waitcnt lgkmcnt(0)
	s_mul_hi_i32 s15, s25, s6
	s_mul_i32 s14, s25, s6
	v_lshrrev_b32_e32 v3, 3, v0
	s_lshl_b64 s[14:15], s[14:15], 2
	v_mad_i64_i32 v[4:5], s[26:27], s26, v3, 0
	s_add_u32 s10, s10, s14
	s_addc_u32 s11, s11, s15
	v_lshlrev_b64 v[4:5], 2, v[4:5]
	v_mov_b32_e32 v3, s11
	v_add_co_u32_e32 v4, vcc, s10, v4
	v_addc_co_u32_e32 v5, vcc, v3, v5, vcc
	global_store_dword v[4:5], v2, off
.LBB786_20:
	s_or_b64 exec, exec, s[8:9]
	;;#ASMSTART
	v_rcp_f32 v2, v2
	;;#ASMEND
	s_and_saveexec_b64 s[14:15], s[2:3]
	s_cbranch_execz .LBB786_22
; %bb.21:
	s_load_dwordx2 s[2:3], s[4:5], 0x0
	s_waitcnt lgkmcnt(0)
	s_mul_i32 s8, s24, s6
	s_mul_hi_i32 s9, s24, s6
	v_mov_b32_e32 v3, v2
	;;#ASMSTART
	v_pk_mul_f32 v[4:5], v[18:19], v[2:3]
	;;#ASMEND
	s_add_u32 s8, s2, s8
	s_addc_u32 s2, s3, s9
	s_add_i32 s3, s19, 3
	s_ashr_i32 s10, s3, 31
	v_mov_b32_e32 v10, 0xc3e00000
	v_mov_b32_e32 v11, 0x43e00000
	;;#ASMSTART
	v_med3_f32 v4, v4, v10, v11
v_med3_f32 v5, v5, v10, v11
v_cvt_pk_fp8_f32 v6, v4, v5
	;;#ASMEND
	s_and_b32 s9, s2, 0xffff
	s_lshr_b32 s2, s10, 30
	;;#ASMSTART
	v_pk_mul_f32 v[4:5], v[32:33], v[2:3]
	;;#ASMEND
	s_add_i32 s3, s3, s2
	;;#ASMSTART
	v_med3_f32 v4, v4, v10, v11
v_med3_f32 v5, v5, v10, v11
v_cvt_pk_fp8_f32 v7, v4, v5
	;;#ASMEND
	s_mov_b32 s2, 0x5040100
	v_perm_b32 v4, v7, v6, s2
	s_mov_b32 s2, 0x1060504
	v_perm_b32 v4, v4, v7, s2
	;;#ASMSTART
	v_pk_mul_f32 v[6:7], v[26:27], v[2:3]
	;;#ASMEND
	v_mov_b32_e32 v5, v7
	;;#ASMSTART
	v_med3_f32 v6, v6, v10, v11
v_med3_f32 v5, v5, v10, v11
v_cvt_pk_fp8_f32 v8, v6, v5
	;;#ASMEND
	;;#ASMSTART
	v_pk_mul_f32 v[6:7], v[30:31], v[2:3]
	;;#ASMEND
	v_mov_b32_e32 v5, v7
	;;#ASMSTART
	v_med3_f32 v6, v6, v10, v11
v_med3_f32 v5, v5, v10, v11
v_cvt_pk_fp8_f32 v7, v6, v5
	;;#ASMEND
	s_mov_b32 s2, 0x1000504
	v_perm_b32 v5, v8, v7, s2
	;;#ASMSTART
	v_pk_mul_f32 v[6:7], v[24:25], v[2:3]
	;;#ASMEND
	;;#ASMSTART
	v_med3_f32 v6, v6, v10, v11
v_med3_f32 v7, v7, v10, v11
v_cvt_pk_fp8_f32 v8, v6, v7
	;;#ASMEND
	;;#ASMSTART
	v_pk_mul_f32 v[6:7], v[28:29], v[2:3]
	;;#ASMEND
	;;#ASMSTART
	v_med3_f32 v6, v6, v10, v11
v_med3_f32 v7, v7, v10, v11
v_cvt_pk_fp8_f32 v9, v6, v7
	;;#ASMEND
	v_perm_b32 v6, v8, v9, s2
	;;#ASMSTART
	v_pk_mul_f32 v[8:9], v[22:23], v[2:3]
	;;#ASMEND
	v_mov_b32_e32 v7, v9
	;;#ASMSTART
	v_med3_f32 v8, v8, v10, v11
v_med3_f32 v7, v7, v10, v11
v_cvt_pk_fp8_f32 v9, v8, v7
	;;#ASMEND
	;;#ASMSTART
	v_pk_mul_f32 v[2:3], v[20:21], v[2:3]
	;;#ASMEND
	;;#ASMSTART
	v_med3_f32 v2, v2, v10, v11
v_med3_f32 v3, v3, v10, v11
v_cvt_pk_fp8_f32 v7, v2, v3
	;;#ASMEND
	s_and_b32 s10, s3, -4
	s_mov_b32 s11, 0x20000
	v_perm_b32 v7, v9, v7, s2
	buffer_store_dwordx4 v[4:7], v1, s[8:11], 0 offen
	;;#ASMSTART
	s_nop 0
	;;#ASMEND
.LBB786_22:
	s_or_b64 exec, exec, s[14:15]
	s_cmp_lt_i32 s20, 1
	s_cbranch_scc1 .LBB786_12
.LBB786_23:
	s_load_dword s2, s[4:5], 0x94
	s_waitcnt lgkmcnt(0)
	s_cmp_lg_u32 s2, 1
	s_cbranch_scc1 .LBB786_12
; %bb.24:
	s_lshl_b32 s2, s20, 1
	s_add_i32 s2, s2, 2
	v_cmp_gt_u32_e32 vcc, s20, v1
	s_and_b32 s14, s2, -4
	v_mov_b32_e32 v18, 0
	v_lshlrev_b32_e32 v1, 5, v0
	v_mov_b32_e32 v14, 0
	v_mov_b32_e32 v15, 0
	;; [unrolled: 1-line block ×8, first 2 shown]
	s_waitcnt vmcnt(1)
	v_mov_b32_e32 v6, 0
	v_mov_b32_e32 v7, 0
	;; [unrolled: 1-line block ×4, first 2 shown]
	s_waitcnt vmcnt(0)
	v_mov_b32_e32 v2, 0
	v_mov_b32_e32 v3, 0
	;; [unrolled: 1-line block ×4, first 2 shown]
	s_barrier
	s_and_saveexec_b64 s[2:3], vcc
	s_cbranch_execz .LBB786_26
; %bb.25:
	s_mul_hi_i32 s5, s22, s6
	s_mul_i32 s4, s22, s6
	s_and_b32 s13, s13, 0xffff
	s_lshl_b64 s[4:5], s[4:5], 1
	s_add_u32 s8, s30, s4
	s_mov_b32 s15, 0x20000
	s_addc_u32 s4, s31, s5
	s_and_b32 s9, s4, 0xffff
	s_mov_b32 s10, s14
	s_mov_b32 s11, s15
	buffer_load_dwordx4 v[14:17], v1, s[8:11], 0 offen
	buffer_load_dwordx4 v[10:13], v1, s[8:11], 16 offen
	;; [unrolled: 1-line block ×4, first 2 shown]
.LBB786_26:
	s_or_b64 exec, exec, s[2:3]
	v_mov_b32_e32 v19, 0
	v_mov_b32_e32 v32, 0
	;; [unrolled: 1-line block ×15, first 2 shown]
	s_and_saveexec_b64 s[2:3], vcc
	s_cbranch_execz .LBB786_28
; %bb.27:
	s_waitcnt vmcnt(3)
	v_cvt_f32_u32_sdwa v18, v14 dst_sel:DWORD dst_unused:UNUSED_PAD src0_sel:WORD_0
	v_cvt_f32_u32_sdwa v19, v14 dst_sel:DWORD dst_unused:UNUSED_PAD src0_sel:WORD_1
	v_cvt_f32_u32_sdwa v32, v15 dst_sel:DWORD dst_unused:UNUSED_PAD src0_sel:WORD_0
	v_cvt_f32_u32_sdwa v33, v15 dst_sel:DWORD dst_unused:UNUSED_PAD src0_sel:WORD_1
	;; [unrolled: 2-line block ×4, first 2 shown]
	s_waitcnt vmcnt(2)
	v_cvt_f32_u32_sdwa v26, v10 dst_sel:DWORD dst_unused:UNUSED_PAD src0_sel:WORD_0
	v_cvt_f32_u32_sdwa v27, v10 dst_sel:DWORD dst_unused:UNUSED_PAD src0_sel:WORD_1
	v_cvt_f32_u32_sdwa v24, v11 dst_sel:DWORD dst_unused:UNUSED_PAD src0_sel:WORD_0
	v_cvt_f32_u32_sdwa v25, v11 dst_sel:DWORD dst_unused:UNUSED_PAD src0_sel:WORD_1
	;; [unrolled: 2-line block ×4, first 2 shown]
.LBB786_28:
	s_or_b64 exec, exec, s[2:3]
	s_waitcnt vmcnt(2)
	v_mul_f32_e32 v10, v19, v19
	v_fmac_f32_e32 v10, v18, v18
	v_fmac_f32_e32 v10, v32, v32
	;; [unrolled: 1-line block ×15, first 2 shown]
	s_nop 1
	v_mov_b32_dpp v11, v10 quad_perm:[1,0,3,2] row_mask:0xf bank_mask:0xf
	v_add_f32_e32 v10, v10, v11
	s_nop 1
	v_mov_b32_dpp v11, v10 quad_perm:[2,3,0,1] row_mask:0xf bank_mask:0xf
	v_add_f32_e32 v10, v10, v11
	s_nop 1
	v_mov_b32_dpp v11, v10 row_half_mirror row_mask:0xf bank_mask:0xf
	v_add_f32_e32 v10, v10, v11
	s_nop 1
	v_mov_b32_dpp v11, v10 row_mirror row_mask:0xf bank_mask:0xf
	v_add_f32_e32 v10, v10, v11
	s_nop 1
	v_mov_b32_dpp v11, v10 row_bcast:15 row_mask:0xf bank_mask:0xf
	v_add_f32_e32 v10, v10, v11
	s_nop 1
	v_mov_b32_dpp v11, v10 row_bcast:31 row_mask:0xf bank_mask:0xf
	s_and_saveexec_b64 s[2:3], s[0:1]
	s_cbranch_execz .LBB786_30
; %bb.29:
	v_lshrrev_b32_e32 v0, 4, v0
	v_add_f32_e32 v10, v10, v11
	v_and_b32_e32 v0, 60, v0
	ds_write_b32 v0, v10
.LBB786_30:
	s_or_b64 exec, exec, s[2:3]
	s_waitcnt lgkmcnt(0)
	s_barrier
	ds_read_b32 v0, v34
	s_waitcnt lgkmcnt(0)
	s_nop 0
	v_mov_b32_dpp v10, v0 quad_perm:[1,0,3,2] row_mask:0xf bank_mask:0xf
	v_add_f32_e32 v0, v0, v10
	s_nop 1
	v_mov_b32_dpp v10, v0 quad_perm:[2,3,0,1] row_mask:0xf bank_mask:0xf
	s_and_saveexec_b64 s[0:1], vcc
	s_cbranch_execz .LBB786_12
; %bb.31:
	v_cvt_f32_u32_e32 v11, s20
	v_add_f32_e32 v0, v0, v10
	s_mov_b32 s15, 0x20000
	v_div_scale_f32 v10, s[0:1], v11, v11, v0
	v_rcp_f32_e32 v12, v10
	v_div_scale_f32 v13, vcc, v0, v11, v0
	s_mov_b32 s0, 0x800000
	v_fma_f32 v14, -v10, v12, 1.0
	v_fmac_f32_e32 v12, v14, v12
	v_mul_f32_e32 v14, v13, v12
	v_fma_f32 v15, -v10, v14, v13
	v_fmac_f32_e32 v14, v15, v12
	v_fma_f32 v10, -v10, v14, v13
	v_div_fmas_f32 v10, v10, v12, v14
	v_div_fixup_f32 v0, v10, v11, v0
	v_add_f32_e32 v0, s17, v0
	v_mul_f32_e32 v10, 0x4b800000, v0
	v_cmp_gt_f32_e32 vcc, s0, v0
	v_cndmask_b32_e32 v0, v0, v10, vcc
	v_rsq_f32_e32 v0, v0
	s_mul_hi_i32 s1, s7, s6
	s_mul_i32 s0, s7, s6
	s_lshl_b64 s[0:1], s[0:1], 1
	v_mul_f32_e32 v10, 0x45800000, v0
	v_cndmask_b32_e32 v10, v0, v10, vcc
	v_mov_b32_e32 v11, v10
	;;#ASMSTART
	v_pk_mul_f32 v[12:13], v[18:19], v[10:11]
	;;#ASMEND
	;;#ASMSTART
	v_pk_mul_f32 v[14:15], v[32:33], v[10:11]
	;;#ASMEND
	;; [unrolled: 3-line block ×4, first 2 shown]
	s_waitcnt vmcnt(1)
	v_cvt_f32_u32_sdwa v29, v6 dst_sel:DWORD dst_unused:UNUSED_PAD src0_sel:WORD_1
	v_cvt_f32_u32_sdwa v28, v6 dst_sel:DWORD dst_unused:UNUSED_PAD src0_sel:WORD_0
	v_cvt_f32_u32_sdwa v31, v7 dst_sel:DWORD dst_unused:UNUSED_PAD src0_sel:WORD_1
	v_cvt_f32_u32_sdwa v30, v7 dst_sel:DWORD dst_unused:UNUSED_PAD src0_sel:WORD_0
	;;#ASMSTART
	v_pk_mul_f32 v[26:27], v[26:27], v[10:11]
	;;#ASMEND
	;;#ASMSTART
	v_pk_mul_f32 v[24:25], v[24:25], v[10:11]
	;;#ASMEND
	;; [unrolled: 3-line block ×4, first 2 shown]
	v_cvt_f32_u32_sdwa v21, v8 dst_sel:DWORD dst_unused:UNUSED_PAD src0_sel:WORD_1
	v_cvt_f32_u32_sdwa v20, v8 dst_sel:DWORD dst_unused:UNUSED_PAD src0_sel:WORD_0
	v_pk_add_f32 v[10:11], v[28:29], 1.0 op_sel_hi:[1,0]
	;;#ASMSTART
	v_pk_mul_f32 v[10:11], v[12:13], v[10:11]
	;;#ASMEND
	v_pk_add_f32 v[12:13], v[30:31], 1.0 op_sel_hi:[1,0]
	v_cvt_f32_u32_sdwa v29, v9 dst_sel:DWORD dst_unused:UNUSED_PAD src0_sel:WORD_1
	v_cvt_f32_u32_sdwa v28, v9 dst_sel:DWORD dst_unused:UNUSED_PAD src0_sel:WORD_0
	;;#ASMSTART
	v_pk_mul_f32 v[8:9], v[14:15], v[12:13]
	;;#ASMEND
	v_pk_add_f32 v[12:13], v[20:21], 1.0 op_sel_hi:[1,0]
	;;#ASMSTART
	v_pk_mul_f32 v[12:13], v[16:17], v[12:13]
	;;#ASMEND
	s_waitcnt vmcnt(0)
	v_cvt_f32_u32_sdwa v17, v2 dst_sel:DWORD dst_unused:UNUSED_PAD src0_sel:WORD_1
	v_cvt_f32_u32_sdwa v16, v2 dst_sel:DWORD dst_unused:UNUSED_PAD src0_sel:WORD_0
	v_cvt_f32_u32_sdwa v21, v3 dst_sel:DWORD dst_unused:UNUSED_PAD src0_sel:WORD_1
	v_cvt_f32_u32_sdwa v20, v3 dst_sel:DWORD dst_unused:UNUSED_PAD src0_sel:WORD_0
	v_pk_add_f32 v[14:15], v[28:29], 1.0 op_sel_hi:[1,0]
	;;#ASMSTART
	v_pk_mul_f32 v[14:15], v[18:19], v[14:15]
	;;#ASMEND
	v_pk_add_f32 v[2:3], v[16:17], 1.0 op_sel_hi:[1,0]
	v_cvt_f32_u32_sdwa v19, v4 dst_sel:DWORD dst_unused:UNUSED_PAD src0_sel:WORD_1
	v_cvt_f32_u32_sdwa v18, v4 dst_sel:DWORD dst_unused:UNUSED_PAD src0_sel:WORD_0
	;;#ASMSTART
	v_pk_mul_f32 v[16:17], v[26:27], v[2:3]
	;;#ASMEND
	v_pk_add_f32 v[2:3], v[20:21], 1.0 op_sel_hi:[1,0]
	v_cvt_f32_u32_sdwa v21, v5 dst_sel:DWORD dst_unused:UNUSED_PAD src0_sel:WORD_1
	v_cvt_f32_u32_sdwa v20, v5 dst_sel:DWORD dst_unused:UNUSED_PAD src0_sel:WORD_0
	s_add_u32 s12, s28, s0
	;;#ASMSTART
	v_pk_mul_f32 v[24:25], v[24:25], v[2:3]
	;;#ASMEND
	v_pk_add_f32 v[2:3], v[18:19], 1.0 op_sel_hi:[1,0]
	s_addc_u32 s0, s29, s1
	;;#ASMSTART
	v_pk_mul_f32 v[18:19], v[22:23], v[2:3]
	;;#ASMEND
	v_pk_add_f32 v[2:3], v[20:21], 1.0 op_sel_hi:[1,0]
	s_and_b32 s13, s0, 0xffff
	s_mov_b32 s0, 0x7060302
	;;#ASMSTART
	v_pk_mul_f32 v[6:7], v[6:7], v[2:3]
	;;#ASMEND
	v_perm_b32 v2, v11, v10, s0
	v_perm_b32 v3, v9, v8, s0
	;; [unrolled: 1-line block ×4, first 2 shown]
	buffer_store_dwordx4 v[2:5], v1, s[12:15], 0 offen
	;;#ASMSTART
	s_nop 0
	;;#ASMEND
	s_nop 0
	v_perm_b32 v2, v17, v16, s0
	v_perm_b32 v3, v25, v24, s0
	;; [unrolled: 1-line block ×4, first 2 shown]
	buffer_store_dwordx4 v[2:5], v1, s[12:15], 16 offen
	;;#ASMSTART
	s_nop 0
	;;#ASMEND
	s_endpgm
	.section	.rodata,"a",@progbits
	.p2align	6, 0x0
	.amdhsa_kernel _ZN5aiter35fused_qk_rmsnorm_group_quant_kernelItDB8_Li256ELi16ELi8ELb0ELb0ELb1ELb0ELb0ELb0EEEvPT0_PvPT_S6_S6_PKS5_S8_S8_S8_S8_ffiiiiiiiiiiiii
		.amdhsa_group_segment_fixed_size 32
		.amdhsa_private_segment_fixed_size 0
		.amdhsa_kernarg_size 400
		.amdhsa_user_sgpr_count 6
		.amdhsa_user_sgpr_private_segment_buffer 1
		.amdhsa_user_sgpr_dispatch_ptr 0
		.amdhsa_user_sgpr_queue_ptr 0
		.amdhsa_user_sgpr_kernarg_segment_ptr 1
		.amdhsa_user_sgpr_dispatch_id 0
		.amdhsa_user_sgpr_flat_scratch_init 0
		.amdhsa_user_sgpr_kernarg_preload_length 0
		.amdhsa_user_sgpr_kernarg_preload_offset 0
		.amdhsa_user_sgpr_private_segment_size 0
		.amdhsa_uses_dynamic_stack 0
		.amdhsa_system_sgpr_private_segment_wavefront_offset 0
		.amdhsa_system_sgpr_workgroup_id_x 1
		.amdhsa_system_sgpr_workgroup_id_y 1
		.amdhsa_system_sgpr_workgroup_id_z 0
		.amdhsa_system_sgpr_workgroup_info 0
		.amdhsa_system_vgpr_workitem_id 0
		.amdhsa_next_free_vgpr 35
		.amdhsa_next_free_sgpr 32
		.amdhsa_accum_offset 36
		.amdhsa_reserve_vcc 1
		.amdhsa_reserve_flat_scratch 0
		.amdhsa_float_round_mode_32 0
		.amdhsa_float_round_mode_16_64 0
		.amdhsa_float_denorm_mode_32 3
		.amdhsa_float_denorm_mode_16_64 3
		.amdhsa_dx10_clamp 1
		.amdhsa_ieee_mode 1
		.amdhsa_fp16_overflow 0
		.amdhsa_tg_split 0
		.amdhsa_exception_fp_ieee_invalid_op 0
		.amdhsa_exception_fp_denorm_src 0
		.amdhsa_exception_fp_ieee_div_zero 0
		.amdhsa_exception_fp_ieee_overflow 0
		.amdhsa_exception_fp_ieee_underflow 0
		.amdhsa_exception_fp_ieee_inexact 0
		.amdhsa_exception_int_div_zero 0
	.end_amdhsa_kernel
	.section	.text._ZN5aiter35fused_qk_rmsnorm_group_quant_kernelItDB8_Li256ELi16ELi8ELb0ELb0ELb1ELb0ELb0ELb0EEEvPT0_PvPT_S6_S6_PKS5_S8_S8_S8_S8_ffiiiiiiiiiiiii,"axG",@progbits,_ZN5aiter35fused_qk_rmsnorm_group_quant_kernelItDB8_Li256ELi16ELi8ELb0ELb0ELb1ELb0ELb0ELb0EEEvPT0_PvPT_S6_S6_PKS5_S8_S8_S8_S8_ffiiiiiiiiiiiii,comdat
.Lfunc_end786:
	.size	_ZN5aiter35fused_qk_rmsnorm_group_quant_kernelItDB8_Li256ELi16ELi8ELb0ELb0ELb1ELb0ELb0ELb0EEEvPT0_PvPT_S6_S6_PKS5_S8_S8_S8_S8_ffiiiiiiiiiiiii, .Lfunc_end786-_ZN5aiter35fused_qk_rmsnorm_group_quant_kernelItDB8_Li256ELi16ELi8ELb0ELb0ELb1ELb0ELb0ELb0EEEvPT0_PvPT_S6_S6_PKS5_S8_S8_S8_S8_ffiiiiiiiiiiiii
                                        ; -- End function
	.section	.AMDGPU.csdata,"",@progbits
; Kernel info:
; codeLenInByte = 3580
; NumSgprs: 36
; NumVgprs: 35
; NumAgprs: 0
; TotalNumVgprs: 35
; ScratchSize: 0
; MemoryBound: 0
; FloatMode: 240
; IeeeMode: 1
; LDSByteSize: 32 bytes/workgroup (compile time only)
; SGPRBlocks: 4
; VGPRBlocks: 4
; NumSGPRsForWavesPerEU: 36
; NumVGPRsForWavesPerEU: 35
; AccumOffset: 36
; Occupancy: 8
; WaveLimiterHint : 0
; COMPUTE_PGM_RSRC2:SCRATCH_EN: 0
; COMPUTE_PGM_RSRC2:USER_SGPR: 6
; COMPUTE_PGM_RSRC2:TRAP_HANDLER: 0
; COMPUTE_PGM_RSRC2:TGID_X_EN: 1
; COMPUTE_PGM_RSRC2:TGID_Y_EN: 1
; COMPUTE_PGM_RSRC2:TGID_Z_EN: 0
; COMPUTE_PGM_RSRC2:TIDIG_COMP_CNT: 0
; COMPUTE_PGM_RSRC3_GFX90A:ACCUM_OFFSET: 8
; COMPUTE_PGM_RSRC3_GFX90A:TG_SPLIT: 0
	.section	.text._ZN5aiter35fused_qk_rmsnorm_group_quant_kernelIDF16_N4opus5fp4_tELi256ELi16ELi8ELb0ELb0ELb1ELb0ELb0ELb0EEEvPT0_PvPT_S7_S7_PKS6_S9_S9_S9_S9_ffiiiiiiiiiiiii,"axG",@progbits,_ZN5aiter35fused_qk_rmsnorm_group_quant_kernelIDF16_N4opus5fp4_tELi256ELi16ELi8ELb0ELb0ELb1ELb0ELb0ELb0EEEvPT0_PvPT_S7_S7_PKS6_S9_S9_S9_S9_ffiiiiiiiiiiiii,comdat
	.protected	_ZN5aiter35fused_qk_rmsnorm_group_quant_kernelIDF16_N4opus5fp4_tELi256ELi16ELi8ELb0ELb0ELb1ELb0ELb0ELb0EEEvPT0_PvPT_S7_S7_PKS6_S9_S9_S9_S9_ffiiiiiiiiiiiii ; -- Begin function _ZN5aiter35fused_qk_rmsnorm_group_quant_kernelIDF16_N4opus5fp4_tELi256ELi16ELi8ELb0ELb0ELb1ELb0ELb0ELb0EEEvPT0_PvPT_S7_S7_PKS6_S9_S9_S9_S9_ffiiiiiiiiiiiii
	.globl	_ZN5aiter35fused_qk_rmsnorm_group_quant_kernelIDF16_N4opus5fp4_tELi256ELi16ELi8ELb0ELb0ELb1ELb0ELb0ELb0EEEvPT0_PvPT_S7_S7_PKS6_S9_S9_S9_S9_ffiiiiiiiiiiiii
	.p2align	8
	.type	_ZN5aiter35fused_qk_rmsnorm_group_quant_kernelIDF16_N4opus5fp4_tELi256ELi16ELi8ELb0ELb0ELb1ELb0ELb0ELb0EEEvPT0_PvPT_S7_S7_PKS6_S9_S9_S9_S9_ffiiiiiiiiiiiii,@function
_ZN5aiter35fused_qk_rmsnorm_group_quant_kernelIDF16_N4opus5fp4_tELi256ELi16ELi8ELb0ELb0ELb1ELb0ELb0ELb0EEEvPT0_PvPT_S7_S7_PKS6_S9_S9_S9_S9_ffiiiiiiiiiiiii: ; @_ZN5aiter35fused_qk_rmsnorm_group_quant_kernelIDF16_N4opus5fp4_tELi256ELi16ELi8ELb0ELb0ELb1ELb0ELb0ELb0EEEvPT0_PvPT_S7_S7_PKS6_S9_S9_S9_S9_ffiiiiiiiiiiiii
; %bb.0:
	s_load_dwordx4 s[16:19], s[4:5], 0x50
	s_waitcnt lgkmcnt(0)
	s_cmp_ge_i32 s6, s18
	s_cbranch_scc1 .LBB787_12
; %bb.1:
	s_load_dwordx2 s[12:13], s[4:5], 0x48
	s_load_dwordx2 s[30:31], s[4:5], 0x30
	s_load_dwordx4 s[20:23], s[4:5], 0x60
	s_cmp_lg_u32 s7, 0
	s_cselect_b64 s[14:15], -1, 0
	s_cmp_eq_u32 s7, 0
	s_cselect_b64 vcc, -1, 0
	s_and_b64 s[0:1], vcc, exec
	s_waitcnt lgkmcnt(0)
	s_cselect_b32 s7, s19, s20
	s_add_i32 s0, s7, 1
	s_lshr_b32 s1, s0, 31
	s_add_i32 s0, s0, s1
	s_lshl_b32 s0, s0, 1
	v_lshlrev_b32_e32 v1, 4, v0
	s_and_b32 s10, s0, -4
	v_cmp_gt_i32_e64 s[2:3], s7, v1
	v_mov_b32_e32 v18, 0
	v_mov_b32_e32 v6, 0
	;; [unrolled: 1-line block ×17, first 2 shown]
	s_and_saveexec_b64 s[0:1], s[2:3]
	s_cbranch_execz .LBB787_3
; %bb.2:
	s_load_dwordx2 s[8:9], s[4:5], 0x28
	s_load_dwordx2 s[26:27], s[4:5], 0x40
	s_and_b64 s[24:25], vcc, exec
	s_cselect_b32 s11, s21, s22
	v_lshlrev_b32_e32 v19, 5, v0
	s_waitcnt lgkmcnt(0)
	s_cselect_b32 s18, s9, s31
	s_cselect_b32 s21, s8, s30
	s_mul_hi_i32 s9, s11, s6
	s_mul_i32 s8, s11, s6
	s_lshl_b64 s[8:9], s[8:9], 1
	s_add_u32 s24, s21, s8
	s_addc_u32 s18, s18, s9
	s_and_b64 s[8:9], vcc, exec
	s_mov_b32 s11, 0x20000
	s_cselect_b32 s8, s26, s12
	s_cselect_b32 s9, s27, s13
	s_and_b32 s25, s18, 0xffff
	s_mov_b32 s26, s10
	s_mov_b32 s27, s11
	s_and_b32 s9, s9, 0xffff
	buffer_load_dwordx4 v[14:17], v19, s[24:27], 0 offen
	buffer_load_dwordx4 v[10:13], v19, s[24:27], 16 offen
	;; [unrolled: 1-line block ×4, first 2 shown]
.LBB787_3:
	s_or_b64 exec, exec, s[0:1]
	v_mov_b32_e32 v19, 0
	v_mov_b32_e32 v22, 0
	v_mov_b32_e32 v23, 0
	v_mov_b32_e32 v20, 0
	v_mov_b32_e32 v21, 0
	v_mov_b32_e32 v28, 0
	v_mov_b32_e32 v29, 0
	v_mov_b32_e32 v26, 0
	v_mov_b32_e32 v27, 0
	v_mov_b32_e32 v32, 0
	v_mov_b32_e32 v33, 0
	v_mov_b32_e32 v30, 0
	v_mov_b32_e32 v31, 0
	v_mov_b32_e32 v24, 0
	v_mov_b32_e32 v25, 0
	s_and_saveexec_b64 s[0:1], s[2:3]
	s_cbranch_execz .LBB787_5
; %bb.4:
	s_waitcnt vmcnt(3)
	v_cvt_f32_f16_sdwa v19, v14 dst_sel:DWORD dst_unused:UNUSED_PAD src0_sel:WORD_1
	v_cvt_f32_f16_e32 v18, v14
	v_cvt_f32_f16_sdwa v23, v15 dst_sel:DWORD dst_unused:UNUSED_PAD src0_sel:WORD_1
	v_cvt_f32_f16_e32 v22, v15
	;; [unrolled: 2-line block ×4, first 2 shown]
	s_waitcnt vmcnt(2)
	v_cvt_f32_f16_sdwa v27, v10 dst_sel:DWORD dst_unused:UNUSED_PAD src0_sel:WORD_1
	v_cvt_f32_f16_e32 v26, v10
	v_cvt_f32_f16_sdwa v33, v11 dst_sel:DWORD dst_unused:UNUSED_PAD src0_sel:WORD_1
	v_cvt_f32_f16_e32 v32, v11
	;; [unrolled: 2-line block ×4, first 2 shown]
.LBB787_5:
	s_or_b64 exec, exec, s[0:1]
	s_waitcnt vmcnt(2)
	v_mul_f32_e32 v10, v19, v19
	v_fmac_f32_e32 v10, v18, v18
	v_fmac_f32_e32 v10, v22, v22
	;; [unrolled: 1-line block ×15, first 2 shown]
	v_and_b32_e32 v12, 63, v0
	v_cmp_eq_u32_e64 s[0:1], 63, v12
	v_mov_b32_dpp v11, v10 quad_perm:[1,0,3,2] row_mask:0xf bank_mask:0xf
	v_add_f32_e32 v10, v10, v11
	s_nop 1
	v_mov_b32_dpp v11, v10 quad_perm:[2,3,0,1] row_mask:0xf bank_mask:0xf
	v_add_f32_e32 v10, v10, v11
	s_nop 1
	v_mov_b32_dpp v11, v10 row_half_mirror row_mask:0xf bank_mask:0xf
	v_add_f32_e32 v10, v10, v11
	s_nop 1
	v_mov_b32_dpp v11, v10 row_mirror row_mask:0xf bank_mask:0xf
	v_add_f32_e32 v10, v10, v11
	s_nop 1
	v_mov_b32_dpp v11, v10 row_bcast:15 row_mask:0xf bank_mask:0xf
	v_add_f32_e32 v10, v10, v11
	s_nop 1
	v_mov_b32_dpp v11, v10 row_bcast:31 row_mask:0xf bank_mask:0xf
	s_and_saveexec_b64 s[8:9], s[0:1]
	s_cbranch_execz .LBB787_7
; %bb.6:
	v_add_f32_e32 v10, v10, v11
	v_lshrrev_b32_e32 v11, 4, v0
	v_and_b32_e32 v11, 60, v11
	ds_write_b32 v11, v10 offset:16
.LBB787_7:
	s_or_b64 exec, exec, s[8:9]
	v_and_b32_e32 v10, 3, v0
	v_lshlrev_b32_e32 v34, 2, v10
	s_waitcnt lgkmcnt(0)
	s_barrier
	ds_read_b32 v10, v34 offset:16
	s_load_dwordx2 s[28:29], s[4:5], 0x18
	s_waitcnt lgkmcnt(0)
	v_mov_b32_dpp v11, v10 quad_perm:[1,0,3,2] row_mask:0xf bank_mask:0xf
	v_add_f32_e32 v10, v10, v11
	s_nop 1
	v_mov_b32_dpp v11, v10 quad_perm:[2,3,0,1] row_mask:0xf bank_mask:0xf
	s_and_saveexec_b64 s[8:9], s[2:3]
	s_cbranch_execz .LBB787_9
; %bb.8:
	v_cvt_f32_u32_e32 v12, s7
	v_add_f32_e32 v10, v10, v11
	v_mov_b32_e32 v14, s17
	v_mov_b32_e32 v15, s16
	v_div_scale_f32 v11, s[24:25], v12, v12, v10
	v_rcp_f32_e32 v13, v11
	v_cndmask_b32_e32 v14, v14, v15, vcc
	s_mov_b32 s7, 0x800000
	v_fma_f32 v15, -v11, v13, 1.0
	v_fmac_f32_e32 v13, v15, v13
	v_div_scale_f32 v15, vcc, v10, v12, v10
	v_mul_f32_e32 v16, v15, v13
	v_fma_f32 v17, -v11, v16, v15
	v_fmac_f32_e32 v16, v17, v13
	v_fma_f32 v11, -v11, v16, v15
	v_div_fmas_f32 v11, v11, v13, v16
	v_div_fixup_f32 v10, v11, v12, v10
	v_add_f32_e32 v10, v14, v10
	v_mul_f32_e32 v11, 0x4b800000, v10
	v_cmp_gt_f32_e32 vcc, s7, v10
	v_cndmask_b32_e32 v10, v10, v11, vcc
	v_rsq_f32_e32 v10, v10
	v_mul_f32_e32 v11, 0x45800000, v10
	v_cndmask_b32_e32 v10, v10, v11, vcc
	v_mov_b32_e32 v11, v10
	;;#ASMSTART
	v_pk_mul_f32 v[12:13], v[18:19], v[10:11]
	;;#ASMEND
	s_waitcnt vmcnt(1)
	v_cvt_f32_f16_sdwa v19, v6 dst_sel:DWORD dst_unused:UNUSED_PAD src0_sel:WORD_1
	v_cvt_f32_f16_e32 v18, v6
	;;#ASMSTART
	v_pk_mul_f32 v[14:15], v[22:23], v[10:11]
	;;#ASMEND
	;;#ASMSTART
	v_pk_mul_f32 v[16:17], v[20:21], v[10:11]
	;;#ASMEND
	v_cvt_f32_f16_sdwa v21, v7 dst_sel:DWORD dst_unused:UNUSED_PAD src0_sel:WORD_1
	v_cvt_f32_f16_e32 v20, v7
	;;#ASMSTART
	v_pk_mul_f32 v[28:29], v[28:29], v[10:11]
	;;#ASMEND
	;;#ASMSTART
	v_pk_mul_f32 v[26:27], v[26:27], v[10:11]
	;;#ASMEND
	;; [unrolled: 3-line block ×5, first 2 shown]
	v_pk_add_f32 v[10:11], v[18:19], 1.0 op_sel_hi:[1,0]
	;;#ASMSTART
	v_pk_mul_f32 v[18:19], v[12:13], v[10:11]
	;;#ASMEND
	v_cvt_f32_f16_sdwa v13, v8 dst_sel:DWORD dst_unused:UNUSED_PAD src0_sel:WORD_1
	v_cvt_f32_f16_e32 v12, v8
	v_cvt_f32_f16_sdwa v25, v9 dst_sel:DWORD dst_unused:UNUSED_PAD src0_sel:WORD_1
	v_cvt_f32_f16_e32 v24, v9
	v_pk_add_f32 v[10:11], v[20:21], 1.0 op_sel_hi:[1,0]
	;;#ASMSTART
	v_pk_mul_f32 v[22:23], v[14:15], v[10:11]
	;;#ASMEND
	s_waitcnt vmcnt(0)
	v_cvt_f32_f16_sdwa v11, v2 dst_sel:DWORD dst_unused:UNUSED_PAD src0_sel:WORD_1
	v_cvt_f32_f16_e32 v10, v2
	v_pk_add_f32 v[8:9], v[12:13], 1.0 op_sel_hi:[1,0]
	;;#ASMSTART
	v_pk_mul_f32 v[20:21], v[16:17], v[8:9]
	;;#ASMEND
	v_pk_add_f32 v[8:9], v[24:25], 1.0 op_sel_hi:[1,0]
	v_cvt_f32_f16_sdwa v13, v3 dst_sel:DWORD dst_unused:UNUSED_PAD src0_sel:WORD_1
	v_cvt_f32_f16_e32 v12, v3
	;;#ASMSTART
	v_pk_mul_f32 v[28:29], v[28:29], v[8:9]
	;;#ASMEND
	v_cvt_f32_f16_sdwa v9, v4 dst_sel:DWORD dst_unused:UNUSED_PAD src0_sel:WORD_1
	v_cvt_f32_f16_e32 v8, v4
	v_pk_add_f32 v[2:3], v[10:11], 1.0 op_sel_hi:[1,0]
	v_cvt_f32_f16_sdwa v11, v5 dst_sel:DWORD dst_unused:UNUSED_PAD src0_sel:WORD_1
	v_cvt_f32_f16_e32 v10, v5
	;;#ASMSTART
	v_pk_mul_f32 v[26:27], v[26:27], v[2:3]
	;;#ASMEND
	v_pk_add_f32 v[2:3], v[12:13], 1.0 op_sel_hi:[1,0]
	;;#ASMSTART
	v_pk_mul_f32 v[32:33], v[32:33], v[2:3]
	;;#ASMEND
	v_pk_add_f32 v[2:3], v[8:9], 1.0 op_sel_hi:[1,0]
	;;#ASMSTART
	v_pk_mul_f32 v[30:31], v[30:31], v[2:3]
	;;#ASMEND
	v_pk_add_f32 v[2:3], v[10:11], 1.0 op_sel_hi:[1,0]
	;;#ASMSTART
	v_pk_mul_f32 v[24:25], v[6:7], v[2:3]
	;;#ASMEND
.LBB787_9:
	s_or_b64 exec, exec, s[8:9]
	s_load_dword s7, s[4:5], 0x80
	s_mov_b64 s[8:9], -1
	s_and_b64 vcc, exec, s[14:15]
	s_cbranch_vccnz .LBB787_13
; %bb.10:
	s_andn2_b64 vcc, exec, s[8:9]
	s_cbranch_vccz .LBB787_16
.LBB787_11:
	s_cmp_lt_i32 s20, 1
	s_cbranch_scc0 .LBB787_23
.LBB787_12:
	s_endpgm
.LBB787_13:
	s_and_saveexec_b64 s[14:15], s[2:3]
	s_cbranch_execz .LBB787_15
; %bb.14:
	s_waitcnt lgkmcnt(0)
	s_mul_hi_i32 s9, s7, s6
	s_mul_i32 s8, s7, s6
	s_waitcnt vmcnt(0)
	v_cvt_f16_f32_e32 v2, v18
	v_cvt_f16_f32_e32 v3, v22
	v_cvt_f16_f32_e32 v4, v20
	v_cvt_f16_f32_e32 v5, v28
	v_cvt_f16_f32_e32 v6, v29
	v_cvt_f16_f32_e32 v7, v21
	v_cvt_f16_f32_e32 v8, v23
	v_cvt_f16_f32_e32 v9, v19
	s_lshl_b64 s[8:9], s[8:9], 1
	s_add_u32 s8, s28, s8
	s_addc_u32 s9, s29, s9
	s_and_b32 s9, s9, 0xffff
	s_mov_b32 s11, 0x20000
	v_pack_b32_f16 v5, v5, v6
	v_pack_b32_f16 v4, v4, v7
	;; [unrolled: 1-line block ×4, first 2 shown]
	v_lshlrev_b32_e32 v6, 5, v0
	buffer_store_dwordx4 v[2:5], v6, s[8:11], 0 offen
	v_cvt_f16_f32_e32 v7, v25
	v_cvt_f16_f32_e32 v2, v26
	;; [unrolled: 1-line block ×8, first 2 shown]
	v_pack_b32_f16 v5, v5, v7
	v_pack_b32_f16 v4, v4, v8
	;; [unrolled: 1-line block ×4, first 2 shown]
	;;#ASMSTART
	s_nop 0
	;;#ASMEND
	buffer_store_dwordx4 v[2:5], v6, s[8:11], 16 offen
	;;#ASMSTART
	s_nop 0
	;;#ASMEND
.LBB787_15:
	s_or_b64 exec, exec, s[14:15]
	s_cbranch_execnz .LBB787_11
.LBB787_16:
	s_waitcnt vmcnt(0)
	v_mov_b32_e32 v2, 0
	s_and_saveexec_b64 s[8:9], s[2:3]
	s_cbranch_execz .LBB787_18
; %bb.17:
	v_and_b32_e32 v2, 0x7fffffff, v18
	v_and_b32_e32 v3, 0x7fffffff, v19
	v_mov_b32_e32 v4, 0x2edbe6ff
	;;#ASMSTART
	v_max3_f32 v2, v4, v2, v3

	;;#ASMEND
	v_and_b32_e32 v3, 0x7fffffff, v22
	v_and_b32_e32 v4, 0x7fffffff, v23
	;;#ASMSTART
	v_max3_f32 v2, v2, v3, v4

	;;#ASMEND
	v_and_b32_e32 v3, 0x7fffffff, v20
	v_and_b32_e32 v4, 0x7fffffff, v21
	;; [unrolled: 6-line block ×7, first 2 shown]
	;;#ASMSTART
	v_max3_f32 v2, v2, v3, v4

	;;#ASMEND
.LBB787_18:
	s_or_b64 exec, exec, s[8:9]
	s_load_dwordx4 s[24:27], s[4:5], 0x70
	;;#ASMSTART
	v_max_f32 v3, v2, v2 quad_perm:[1,0,3,2] row_mask:0xf bank_mask:0xf bound_ctrl:1
	;;#ASMEND
	;;#ASMSTART
	v_max_f32 v4, v3, v3 quad_perm:[2,3,0,1] row_mask:0xf bank_mask:0xf bound_ctrl:1
	;;#ASMEND
	v_and_b32_e32 v3, 7, v0
	v_cmp_eq_u32_e32 vcc, 0, v3
	v_cmp_gt_i32_e64 s[8:9], s19, v1
	s_and_b64 s[10:11], vcc, s[8:9]
	;;#ASMSTART
	v_max_f32 v2, v4, v4 row_half_mirror row_mask:0xf bank_mask:0xf bound_ctrl:1
	;;#ASMEND
	s_and_saveexec_b64 s[8:9], s[10:11]
	s_cbranch_execz .LBB787_20
; %bb.19:
	s_load_dwordx2 s[10:11], s[4:5], 0x8
	v_mul_f32_e32 v2, 0x3e2aaaab, v2
	v_lshrrev_b32_e32 v3, 23, v2
	v_and_b32_e32 v4, 0x7f800000, v2
	v_and_b32_e32 v2, 0x7fffff, v2
	v_cmp_ne_u32_e32 vcc, 0, v2
	s_waitcnt lgkmcnt(0)
	s_mul_i32 s16, s25, s6
	s_mov_b32 s14, 0x7f800000
	v_addc_co_u32_e32 v2, vcc, 0, v3, vcc
	s_mul_hi_i32 s15, s25, s6
	s_add_u32 s10, s10, s16
	v_cmp_ne_u32_e32 vcc, s14, v4
	s_addc_u32 s11, s11, s15
	v_lshrrev_b32_e32 v5, 3, v0
	v_cndmask_b32_e32 v4, -1, v2, vcc
	v_pk_mov_b32 v[2:3], s[10:11], s[10:11] op_sel:[0,1]
	v_mad_i64_i32 v[2:3], s[10:11], s26, v5, v[2:3]
	global_store_byte v[2:3], v4, off
.LBB787_20:
	s_or_b64 exec, exec, s[8:9]
	s_and_saveexec_b64 s[8:9], s[2:3]
	s_cbranch_execz .LBB787_22
; %bb.21:
	s_load_dwordx2 s[2:3], s[4:5], 0x0
	s_waitcnt lgkmcnt(0)
	s_mul_i32 s11, s24, s6
	s_mul_hi_i32 s10, s24, s6
	v_mov_b32_e32 v2, 0
	v_lshlrev_b32_e32 v4, 3, v0
	s_add_u32 s24, s2, s11
	s_addc_u32 s2, s3, s10
	s_lshr_b32 s3, s19, 31
	s_add_i32 s3, s19, s3
	s_ashr_i32 s3, s3, 1
	s_add_i32 s3, s3, 3
	s_ashr_i32 s10, s3, 31
	s_lshr_b32 s10, s10, 30
	s_add_i32 s3, s3, s10
	s_and_b32 s26, s3, -4
	s_and_b32 s25, s2, 0xffff
	s_mov_b32 s27, 0x20000
	v_mov_b32_e32 v3, v2
	buffer_store_dwordx2 v[2:3], v4, s[24:27], 0 offen
	;;#ASMSTART
	s_nop 0
	;;#ASMEND
.LBB787_22:
	s_or_b64 exec, exec, s[8:9]
	s_cmp_lt_i32 s20, 1
	s_cbranch_scc1 .LBB787_12
.LBB787_23:
	s_load_dword s2, s[4:5], 0x94
	s_waitcnt lgkmcnt(0)
	s_cmp_lg_u32 s2, 1
	s_cbranch_scc1 .LBB787_12
; %bb.24:
	s_lshl_b32 s2, s20, 1
	s_add_i32 s2, s2, 2
	v_cmp_gt_u32_e32 vcc, s20, v1
	s_and_b32 s14, s2, -4
	v_mov_b32_e32 v18, 0
	v_lshlrev_b32_e32 v1, 5, v0
	v_mov_b32_e32 v14, 0
	v_mov_b32_e32 v15, 0
	;; [unrolled: 1-line block ×8, first 2 shown]
	s_waitcnt vmcnt(1)
	v_mov_b32_e32 v6, 0
	v_mov_b32_e32 v7, 0
	;; [unrolled: 1-line block ×4, first 2 shown]
	s_waitcnt vmcnt(0)
	v_mov_b32_e32 v2, 0
	v_mov_b32_e32 v3, 0
	;; [unrolled: 1-line block ×4, first 2 shown]
	s_barrier
	s_and_saveexec_b64 s[2:3], vcc
	s_cbranch_execz .LBB787_26
; %bb.25:
	s_mul_hi_i32 s5, s22, s6
	s_mul_i32 s4, s22, s6
	s_and_b32 s13, s13, 0xffff
	s_lshl_b64 s[4:5], s[4:5], 1
	s_add_u32 s8, s30, s4
	s_mov_b32 s15, 0x20000
	s_addc_u32 s4, s31, s5
	s_and_b32 s9, s4, 0xffff
	s_mov_b32 s10, s14
	s_mov_b32 s11, s15
	buffer_load_dwordx4 v[14:17], v1, s[8:11], 0 offen
	buffer_load_dwordx4 v[10:13], v1, s[8:11], 16 offen
	;; [unrolled: 1-line block ×4, first 2 shown]
.LBB787_26:
	s_or_b64 exec, exec, s[2:3]
	v_mov_b32_e32 v19, 0
	v_mov_b32_e32 v32, 0
	;; [unrolled: 1-line block ×15, first 2 shown]
	s_and_saveexec_b64 s[2:3], vcc
	s_cbranch_execz .LBB787_28
; %bb.27:
	s_waitcnt vmcnt(3)
	v_cvt_f32_f16_sdwa v19, v14 dst_sel:DWORD dst_unused:UNUSED_PAD src0_sel:WORD_1
	v_cvt_f32_f16_e32 v18, v14
	v_cvt_f32_f16_sdwa v33, v15 dst_sel:DWORD dst_unused:UNUSED_PAD src0_sel:WORD_1
	v_cvt_f32_f16_e32 v32, v15
	;; [unrolled: 2-line block ×4, first 2 shown]
	s_waitcnt vmcnt(2)
	v_cvt_f32_f16_sdwa v27, v10 dst_sel:DWORD dst_unused:UNUSED_PAD src0_sel:WORD_1
	v_cvt_f32_f16_e32 v26, v10
	v_cvt_f32_f16_sdwa v25, v11 dst_sel:DWORD dst_unused:UNUSED_PAD src0_sel:WORD_1
	v_cvt_f32_f16_e32 v24, v11
	;; [unrolled: 2-line block ×4, first 2 shown]
.LBB787_28:
	s_or_b64 exec, exec, s[2:3]
	s_waitcnt vmcnt(2)
	v_mul_f32_e32 v10, v19, v19
	v_fmac_f32_e32 v10, v18, v18
	v_fmac_f32_e32 v10, v32, v32
	;; [unrolled: 1-line block ×15, first 2 shown]
	s_nop 1
	v_mov_b32_dpp v11, v10 quad_perm:[1,0,3,2] row_mask:0xf bank_mask:0xf
	v_add_f32_e32 v10, v10, v11
	s_nop 1
	v_mov_b32_dpp v11, v10 quad_perm:[2,3,0,1] row_mask:0xf bank_mask:0xf
	v_add_f32_e32 v10, v10, v11
	s_nop 1
	v_mov_b32_dpp v11, v10 row_half_mirror row_mask:0xf bank_mask:0xf
	v_add_f32_e32 v10, v10, v11
	s_nop 1
	v_mov_b32_dpp v11, v10 row_mirror row_mask:0xf bank_mask:0xf
	v_add_f32_e32 v10, v10, v11
	s_nop 1
	v_mov_b32_dpp v11, v10 row_bcast:15 row_mask:0xf bank_mask:0xf
	v_add_f32_e32 v10, v10, v11
	s_nop 1
	v_mov_b32_dpp v11, v10 row_bcast:31 row_mask:0xf bank_mask:0xf
	s_and_saveexec_b64 s[2:3], s[0:1]
	s_cbranch_execz .LBB787_30
; %bb.29:
	v_lshrrev_b32_e32 v0, 4, v0
	v_add_f32_e32 v10, v10, v11
	v_and_b32_e32 v0, 60, v0
	ds_write_b32 v0, v10
.LBB787_30:
	s_or_b64 exec, exec, s[2:3]
	s_waitcnt lgkmcnt(0)
	s_barrier
	ds_read_b32 v0, v34
	s_waitcnt lgkmcnt(0)
	s_nop 0
	v_mov_b32_dpp v10, v0 quad_perm:[1,0,3,2] row_mask:0xf bank_mask:0xf
	v_add_f32_e32 v0, v0, v10
	s_nop 1
	v_mov_b32_dpp v10, v0 quad_perm:[2,3,0,1] row_mask:0xf bank_mask:0xf
	s_and_saveexec_b64 s[0:1], vcc
	s_cbranch_execz .LBB787_12
; %bb.31:
	v_cvt_f32_u32_e32 v11, s20
	v_add_f32_e32 v0, v0, v10
	s_mov_b32 s15, 0x20000
	v_div_scale_f32 v10, s[0:1], v11, v11, v0
	v_rcp_f32_e32 v12, v10
	v_div_scale_f32 v13, vcc, v0, v11, v0
	s_mov_b32 s0, 0x800000
	v_fma_f32 v14, -v10, v12, 1.0
	v_fmac_f32_e32 v12, v14, v12
	v_mul_f32_e32 v14, v13, v12
	v_fma_f32 v15, -v10, v14, v13
	v_fmac_f32_e32 v14, v15, v12
	v_fma_f32 v10, -v10, v14, v13
	v_div_fmas_f32 v10, v10, v12, v14
	v_div_fixup_f32 v0, v10, v11, v0
	v_add_f32_e32 v0, s17, v0
	v_mul_f32_e32 v10, 0x4b800000, v0
	v_cmp_gt_f32_e32 vcc, s0, v0
	v_cndmask_b32_e32 v0, v0, v10, vcc
	v_rsq_f32_e32 v0, v0
	s_mul_hi_i32 s1, s7, s6
	s_mul_i32 s0, s7, s6
	s_lshl_b64 s[0:1], s[0:1], 1
	v_mul_f32_e32 v10, 0x45800000, v0
	v_cndmask_b32_e32 v10, v0, v10, vcc
	v_mov_b32_e32 v11, v10
	;;#ASMSTART
	v_pk_mul_f32 v[12:13], v[18:19], v[10:11]
	;;#ASMEND
	;;#ASMSTART
	v_pk_mul_f32 v[14:15], v[32:33], v[10:11]
	;;#ASMEND
	;; [unrolled: 3-line block ×4, first 2 shown]
	s_waitcnt vmcnt(1)
	v_cvt_f32_f16_sdwa v29, v6 dst_sel:DWORD dst_unused:UNUSED_PAD src0_sel:WORD_1
	v_cvt_f32_f16_e32 v28, v6
	v_cvt_f32_f16_sdwa v31, v7 dst_sel:DWORD dst_unused:UNUSED_PAD src0_sel:WORD_1
	v_cvt_f32_f16_e32 v30, v7
	;;#ASMSTART
	v_pk_mul_f32 v[26:27], v[26:27], v[10:11]
	;;#ASMEND
	;;#ASMSTART
	v_pk_mul_f32 v[24:25], v[24:25], v[10:11]
	;;#ASMEND
	;; [unrolled: 3-line block ×4, first 2 shown]
	v_cvt_f32_f16_sdwa v21, v8 dst_sel:DWORD dst_unused:UNUSED_PAD src0_sel:WORD_1
	v_cvt_f32_f16_e32 v20, v8
	v_pk_add_f32 v[10:11], v[28:29], 1.0 op_sel_hi:[1,0]
	;;#ASMSTART
	v_pk_mul_f32 v[10:11], v[12:13], v[10:11]
	;;#ASMEND
	v_pk_add_f32 v[12:13], v[30:31], 1.0 op_sel_hi:[1,0]
	v_cvt_f32_f16_sdwa v29, v9 dst_sel:DWORD dst_unused:UNUSED_PAD src0_sel:WORD_1
	v_cvt_f32_f16_e32 v28, v9
	;;#ASMSTART
	v_pk_mul_f32 v[8:9], v[14:15], v[12:13]
	;;#ASMEND
	v_pk_add_f32 v[12:13], v[20:21], 1.0 op_sel_hi:[1,0]
	;;#ASMSTART
	v_pk_mul_f32 v[12:13], v[16:17], v[12:13]
	;;#ASMEND
	s_waitcnt vmcnt(0)
	v_cvt_f32_f16_sdwa v17, v2 dst_sel:DWORD dst_unused:UNUSED_PAD src0_sel:WORD_1
	v_cvt_f32_f16_e32 v16, v2
	v_cvt_f32_f16_sdwa v21, v3 dst_sel:DWORD dst_unused:UNUSED_PAD src0_sel:WORD_1
	v_cvt_f32_f16_e32 v20, v3
	v_pk_add_f32 v[14:15], v[28:29], 1.0 op_sel_hi:[1,0]
	;;#ASMSTART
	v_pk_mul_f32 v[2:3], v[18:19], v[14:15]
	;;#ASMEND
	v_cvt_f32_f16_sdwa v19, v4 dst_sel:DWORD dst_unused:UNUSED_PAD src0_sel:WORD_1
	v_cvt_f32_f16_e32 v18, v4
	v_pk_add_f32 v[14:15], v[16:17], 1.0 op_sel_hi:[1,0]
	v_pk_add_f32 v[16:17], v[20:21], 1.0 op_sel_hi:[1,0]
	v_cvt_f32_f16_sdwa v21, v5 dst_sel:DWORD dst_unused:UNUSED_PAD src0_sel:WORD_1
	v_cvt_f32_f16_e32 v20, v5
	v_pk_add_f32 v[4:5], v[18:19], 1.0 op_sel_hi:[1,0]
	;;#ASMSTART
	v_pk_mul_f32 v[14:15], v[26:27], v[14:15]
	;;#ASMEND
	;;#ASMSTART
	v_pk_mul_f32 v[16:17], v[24:25], v[16:17]
	;;#ASMEND
	;;#ASMSTART
	v_pk_mul_f32 v[18:19], v[22:23], v[4:5]
	;;#ASMEND
	v_pk_add_f32 v[4:5], v[20:21], 1.0 op_sel_hi:[1,0]
	;;#ASMSTART
	v_pk_mul_f32 v[6:7], v[6:7], v[4:5]
	;;#ASMEND
	v_cvt_f16_f32_e32 v0, v10
	v_cvt_f16_f32_e32 v4, v11
	;; [unrolled: 1-line block ×8, first 2 shown]
	s_add_u32 s12, s28, s0
	s_addc_u32 s0, s29, s1
	s_and_b32 s13, s0, 0xffff
	v_pack_b32_f16 v2, v0, v4
	v_pack_b32_f16 v3, v5, v8
	;; [unrolled: 1-line block ×4, first 2 shown]
	buffer_store_dwordx4 v[2:5], v1, s[12:15], 0 offen
	v_cvt_f16_f32_e32 v0, v14
	v_cvt_f16_f32_e32 v2, v15
	;; [unrolled: 1-line block ×8, first 2 shown]
	v_pack_b32_f16 v2, v0, v2
	v_pack_b32_f16 v3, v3, v4
	;; [unrolled: 1-line block ×4, first 2 shown]
	;;#ASMSTART
	s_nop 0
	;;#ASMEND
	buffer_store_dwordx4 v[2:5], v1, s[12:15], 16 offen
	;;#ASMSTART
	s_nop 0
	;;#ASMEND
	s_endpgm
	.section	.rodata,"a",@progbits
	.p2align	6, 0x0
	.amdhsa_kernel _ZN5aiter35fused_qk_rmsnorm_group_quant_kernelIDF16_N4opus5fp4_tELi256ELi16ELi8ELb0ELb0ELb1ELb0ELb0ELb0EEEvPT0_PvPT_S7_S7_PKS6_S9_S9_S9_S9_ffiiiiiiiiiiiii
		.amdhsa_group_segment_fixed_size 32
		.amdhsa_private_segment_fixed_size 0
		.amdhsa_kernarg_size 400
		.amdhsa_user_sgpr_count 6
		.amdhsa_user_sgpr_private_segment_buffer 1
		.amdhsa_user_sgpr_dispatch_ptr 0
		.amdhsa_user_sgpr_queue_ptr 0
		.amdhsa_user_sgpr_kernarg_segment_ptr 1
		.amdhsa_user_sgpr_dispatch_id 0
		.amdhsa_user_sgpr_flat_scratch_init 0
		.amdhsa_user_sgpr_kernarg_preload_length 0
		.amdhsa_user_sgpr_kernarg_preload_offset 0
		.amdhsa_user_sgpr_private_segment_size 0
		.amdhsa_uses_dynamic_stack 0
		.amdhsa_system_sgpr_private_segment_wavefront_offset 0
		.amdhsa_system_sgpr_workgroup_id_x 1
		.amdhsa_system_sgpr_workgroup_id_y 1
		.amdhsa_system_sgpr_workgroup_id_z 0
		.amdhsa_system_sgpr_workgroup_info 0
		.amdhsa_system_vgpr_workitem_id 0
		.amdhsa_next_free_vgpr 35
		.amdhsa_next_free_sgpr 32
		.amdhsa_accum_offset 36
		.amdhsa_reserve_vcc 1
		.amdhsa_reserve_flat_scratch 0
		.amdhsa_float_round_mode_32 0
		.amdhsa_float_round_mode_16_64 0
		.amdhsa_float_denorm_mode_32 3
		.amdhsa_float_denorm_mode_16_64 3
		.amdhsa_dx10_clamp 1
		.amdhsa_ieee_mode 1
		.amdhsa_fp16_overflow 0
		.amdhsa_tg_split 0
		.amdhsa_exception_fp_ieee_invalid_op 0
		.amdhsa_exception_fp_denorm_src 0
		.amdhsa_exception_fp_ieee_div_zero 0
		.amdhsa_exception_fp_ieee_overflow 0
		.amdhsa_exception_fp_ieee_underflow 0
		.amdhsa_exception_fp_ieee_inexact 0
		.amdhsa_exception_int_div_zero 0
	.end_amdhsa_kernel
	.section	.text._ZN5aiter35fused_qk_rmsnorm_group_quant_kernelIDF16_N4opus5fp4_tELi256ELi16ELi8ELb0ELb0ELb1ELb0ELb0ELb0EEEvPT0_PvPT_S7_S7_PKS6_S9_S9_S9_S9_ffiiiiiiiiiiiii,"axG",@progbits,_ZN5aiter35fused_qk_rmsnorm_group_quant_kernelIDF16_N4opus5fp4_tELi256ELi16ELi8ELb0ELb0ELb1ELb0ELb0ELb0EEEvPT0_PvPT_S7_S7_PKS6_S9_S9_S9_S9_ffiiiiiiiiiiiii,comdat
.Lfunc_end787:
	.size	_ZN5aiter35fused_qk_rmsnorm_group_quant_kernelIDF16_N4opus5fp4_tELi256ELi16ELi8ELb0ELb0ELb1ELb0ELb0ELb0EEEvPT0_PvPT_S7_S7_PKS6_S9_S9_S9_S9_ffiiiiiiiiiiiii, .Lfunc_end787-_ZN5aiter35fused_qk_rmsnorm_group_quant_kernelIDF16_N4opus5fp4_tELi256ELi16ELi8ELb0ELb0ELb1ELb0ELb0ELb0EEEvPT0_PvPT_S7_S7_PKS6_S9_S9_S9_S9_ffiiiiiiiiiiiii
                                        ; -- End function
	.section	.AMDGPU.csdata,"",@progbits
; Kernel info:
; codeLenInByte = 3248
; NumSgprs: 36
; NumVgprs: 35
; NumAgprs: 0
; TotalNumVgprs: 35
; ScratchSize: 0
; MemoryBound: 0
; FloatMode: 240
; IeeeMode: 1
; LDSByteSize: 32 bytes/workgroup (compile time only)
; SGPRBlocks: 4
; VGPRBlocks: 4
; NumSGPRsForWavesPerEU: 36
; NumVGPRsForWavesPerEU: 35
; AccumOffset: 36
; Occupancy: 8
; WaveLimiterHint : 0
; COMPUTE_PGM_RSRC2:SCRATCH_EN: 0
; COMPUTE_PGM_RSRC2:USER_SGPR: 6
; COMPUTE_PGM_RSRC2:TRAP_HANDLER: 0
; COMPUTE_PGM_RSRC2:TGID_X_EN: 1
; COMPUTE_PGM_RSRC2:TGID_Y_EN: 1
; COMPUTE_PGM_RSRC2:TGID_Z_EN: 0
; COMPUTE_PGM_RSRC2:TIDIG_COMP_CNT: 0
; COMPUTE_PGM_RSRC3_GFX90A:ACCUM_OFFSET: 8
; COMPUTE_PGM_RSRC3_GFX90A:TG_SPLIT: 0
	.section	.text._ZN5aiter35fused_qk_rmsnorm_group_quant_kernelItN4opus5fp4_tELi256ELi16ELi8ELb0ELb0ELb1ELb0ELb0ELb0EEEvPT0_PvPT_S7_S7_PKS6_S9_S9_S9_S9_ffiiiiiiiiiiiii,"axG",@progbits,_ZN5aiter35fused_qk_rmsnorm_group_quant_kernelItN4opus5fp4_tELi256ELi16ELi8ELb0ELb0ELb1ELb0ELb0ELb0EEEvPT0_PvPT_S7_S7_PKS6_S9_S9_S9_S9_ffiiiiiiiiiiiii,comdat
	.protected	_ZN5aiter35fused_qk_rmsnorm_group_quant_kernelItN4opus5fp4_tELi256ELi16ELi8ELb0ELb0ELb1ELb0ELb0ELb0EEEvPT0_PvPT_S7_S7_PKS6_S9_S9_S9_S9_ffiiiiiiiiiiiii ; -- Begin function _ZN5aiter35fused_qk_rmsnorm_group_quant_kernelItN4opus5fp4_tELi256ELi16ELi8ELb0ELb0ELb1ELb0ELb0ELb0EEEvPT0_PvPT_S7_S7_PKS6_S9_S9_S9_S9_ffiiiiiiiiiiiii
	.globl	_ZN5aiter35fused_qk_rmsnorm_group_quant_kernelItN4opus5fp4_tELi256ELi16ELi8ELb0ELb0ELb1ELb0ELb0ELb0EEEvPT0_PvPT_S7_S7_PKS6_S9_S9_S9_S9_ffiiiiiiiiiiiii
	.p2align	8
	.type	_ZN5aiter35fused_qk_rmsnorm_group_quant_kernelItN4opus5fp4_tELi256ELi16ELi8ELb0ELb0ELb1ELb0ELb0ELb0EEEvPT0_PvPT_S7_S7_PKS6_S9_S9_S9_S9_ffiiiiiiiiiiiii,@function
_ZN5aiter35fused_qk_rmsnorm_group_quant_kernelItN4opus5fp4_tELi256ELi16ELi8ELb0ELb0ELb1ELb0ELb0ELb0EEEvPT0_PvPT_S7_S7_PKS6_S9_S9_S9_S9_ffiiiiiiiiiiiii: ; @_ZN5aiter35fused_qk_rmsnorm_group_quant_kernelItN4opus5fp4_tELi256ELi16ELi8ELb0ELb0ELb1ELb0ELb0ELb0EEEvPT0_PvPT_S7_S7_PKS6_S9_S9_S9_S9_ffiiiiiiiiiiiii
; %bb.0:
	s_load_dwordx4 s[16:19], s[4:5], 0x50
	s_waitcnt lgkmcnt(0)
	s_cmp_ge_i32 s6, s18
	s_cbranch_scc1 .LBB788_12
; %bb.1:
	s_load_dwordx2 s[12:13], s[4:5], 0x48
	s_load_dwordx2 s[30:31], s[4:5], 0x30
	s_load_dwordx4 s[20:23], s[4:5], 0x60
	s_cmp_lg_u32 s7, 0
	s_cselect_b64 s[14:15], -1, 0
	s_cmp_eq_u32 s7, 0
	s_cselect_b64 vcc, -1, 0
	s_and_b64 s[0:1], vcc, exec
	s_waitcnt lgkmcnt(0)
	s_cselect_b32 s7, s19, s20
	s_add_i32 s0, s7, 1
	s_lshr_b32 s1, s0, 31
	s_add_i32 s0, s0, s1
	s_lshl_b32 s0, s0, 1
	v_lshlrev_b32_e32 v1, 4, v0
	s_and_b32 s10, s0, -4
	v_cmp_gt_i32_e64 s[2:3], s7, v1
	v_mov_b32_e32 v18, 0
	v_mov_b32_e32 v6, 0
	;; [unrolled: 1-line block ×17, first 2 shown]
	s_and_saveexec_b64 s[0:1], s[2:3]
	s_cbranch_execz .LBB788_3
; %bb.2:
	s_load_dwordx2 s[8:9], s[4:5], 0x28
	s_load_dwordx2 s[26:27], s[4:5], 0x40
	s_and_b64 s[24:25], vcc, exec
	s_cselect_b32 s11, s21, s22
	v_lshlrev_b32_e32 v19, 5, v0
	s_waitcnt lgkmcnt(0)
	s_cselect_b32 s18, s9, s31
	s_cselect_b32 s21, s8, s30
	s_mul_hi_i32 s9, s11, s6
	s_mul_i32 s8, s11, s6
	s_lshl_b64 s[8:9], s[8:9], 1
	s_add_u32 s24, s21, s8
	s_addc_u32 s18, s18, s9
	s_and_b64 s[8:9], vcc, exec
	s_mov_b32 s11, 0x20000
	s_cselect_b32 s8, s26, s12
	s_cselect_b32 s9, s27, s13
	s_and_b32 s25, s18, 0xffff
	s_mov_b32 s26, s10
	s_mov_b32 s27, s11
	s_and_b32 s9, s9, 0xffff
	buffer_load_dwordx4 v[14:17], v19, s[24:27], 0 offen
	buffer_load_dwordx4 v[10:13], v19, s[24:27], 16 offen
	;; [unrolled: 1-line block ×4, first 2 shown]
.LBB788_3:
	s_or_b64 exec, exec, s[0:1]
	v_mov_b32_e32 v19, 0
	v_mov_b32_e32 v22, 0
	;; [unrolled: 1-line block ×15, first 2 shown]
	s_and_saveexec_b64 s[0:1], s[2:3]
	s_cbranch_execz .LBB788_5
; %bb.4:
	s_waitcnt vmcnt(3)
	v_cvt_f32_u32_sdwa v18, v14 dst_sel:DWORD dst_unused:UNUSED_PAD src0_sel:WORD_0
	v_cvt_f32_u32_sdwa v19, v14 dst_sel:DWORD dst_unused:UNUSED_PAD src0_sel:WORD_1
	v_cvt_f32_u32_sdwa v22, v15 dst_sel:DWORD dst_unused:UNUSED_PAD src0_sel:WORD_0
	v_cvt_f32_u32_sdwa v23, v15 dst_sel:DWORD dst_unused:UNUSED_PAD src0_sel:WORD_1
	;; [unrolled: 2-line block ×4, first 2 shown]
	s_waitcnt vmcnt(2)
	v_cvt_f32_u32_sdwa v24, v10 dst_sel:DWORD dst_unused:UNUSED_PAD src0_sel:WORD_0
	v_cvt_f32_u32_sdwa v25, v10 dst_sel:DWORD dst_unused:UNUSED_PAD src0_sel:WORD_1
	v_cvt_f32_u32_sdwa v32, v11 dst_sel:DWORD dst_unused:UNUSED_PAD src0_sel:WORD_0
	v_cvt_f32_u32_sdwa v33, v11 dst_sel:DWORD dst_unused:UNUSED_PAD src0_sel:WORD_1
	;; [unrolled: 2-line block ×4, first 2 shown]
.LBB788_5:
	s_or_b64 exec, exec, s[0:1]
	s_waitcnt vmcnt(2)
	v_mul_f32_e32 v10, v19, v19
	v_fmac_f32_e32 v10, v18, v18
	v_fmac_f32_e32 v10, v22, v22
	v_fmac_f32_e32 v10, v23, v23
	v_fmac_f32_e32 v10, v20, v20
	v_fmac_f32_e32 v10, v21, v21
	v_fmac_f32_e32 v10, v28, v28
	v_fmac_f32_e32 v10, v29, v29
	v_fmac_f32_e32 v10, v24, v24
	v_fmac_f32_e32 v10, v25, v25
	v_fmac_f32_e32 v10, v32, v32
	v_fmac_f32_e32 v10, v33, v33
	v_fmac_f32_e32 v10, v30, v30
	v_fmac_f32_e32 v10, v31, v31
	v_fmac_f32_e32 v10, v26, v26
	v_fmac_f32_e32 v10, v27, v27
	v_and_b32_e32 v12, 63, v0
	v_cmp_eq_u32_e64 s[0:1], 63, v12
	v_mov_b32_dpp v11, v10 quad_perm:[1,0,3,2] row_mask:0xf bank_mask:0xf
	v_add_f32_e32 v10, v10, v11
	s_nop 1
	v_mov_b32_dpp v11, v10 quad_perm:[2,3,0,1] row_mask:0xf bank_mask:0xf
	v_add_f32_e32 v10, v10, v11
	s_nop 1
	v_mov_b32_dpp v11, v10 row_half_mirror row_mask:0xf bank_mask:0xf
	v_add_f32_e32 v10, v10, v11
	s_nop 1
	v_mov_b32_dpp v11, v10 row_mirror row_mask:0xf bank_mask:0xf
	v_add_f32_e32 v10, v10, v11
	s_nop 1
	v_mov_b32_dpp v11, v10 row_bcast:15 row_mask:0xf bank_mask:0xf
	v_add_f32_e32 v10, v10, v11
	s_nop 1
	v_mov_b32_dpp v11, v10 row_bcast:31 row_mask:0xf bank_mask:0xf
	s_and_saveexec_b64 s[8:9], s[0:1]
	s_cbranch_execz .LBB788_7
; %bb.6:
	v_add_f32_e32 v10, v10, v11
	v_lshrrev_b32_e32 v11, 4, v0
	v_and_b32_e32 v11, 60, v11
	ds_write_b32 v11, v10 offset:16
.LBB788_7:
	s_or_b64 exec, exec, s[8:9]
	v_and_b32_e32 v10, 3, v0
	v_lshlrev_b32_e32 v34, 2, v10
	s_waitcnt lgkmcnt(0)
	s_barrier
	ds_read_b32 v10, v34 offset:16
	s_load_dwordx2 s[28:29], s[4:5], 0x18
	s_waitcnt lgkmcnt(0)
	v_mov_b32_dpp v11, v10 quad_perm:[1,0,3,2] row_mask:0xf bank_mask:0xf
	v_add_f32_e32 v10, v10, v11
	s_nop 1
	v_mov_b32_dpp v11, v10 quad_perm:[2,3,0,1] row_mask:0xf bank_mask:0xf
	s_and_saveexec_b64 s[8:9], s[2:3]
	s_cbranch_execz .LBB788_9
; %bb.8:
	v_cvt_f32_u32_e32 v12, s7
	v_add_f32_e32 v10, v10, v11
	v_mov_b32_e32 v14, s17
	v_mov_b32_e32 v15, s16
	v_div_scale_f32 v11, s[24:25], v12, v12, v10
	v_rcp_f32_e32 v13, v11
	v_cndmask_b32_e32 v14, v14, v15, vcc
	s_mov_b32 s7, 0x800000
	v_fma_f32 v15, -v11, v13, 1.0
	v_fmac_f32_e32 v13, v15, v13
	v_div_scale_f32 v15, vcc, v10, v12, v10
	v_mul_f32_e32 v16, v15, v13
	v_fma_f32 v17, -v11, v16, v15
	v_fmac_f32_e32 v16, v17, v13
	v_fma_f32 v11, -v11, v16, v15
	v_div_fmas_f32 v11, v11, v13, v16
	v_div_fixup_f32 v10, v11, v12, v10
	v_add_f32_e32 v10, v14, v10
	v_mul_f32_e32 v11, 0x4b800000, v10
	v_cmp_gt_f32_e32 vcc, s7, v10
	v_cndmask_b32_e32 v10, v10, v11, vcc
	v_rsq_f32_e32 v10, v10
	v_mul_f32_e32 v11, 0x45800000, v10
	v_cndmask_b32_e32 v10, v10, v11, vcc
	v_mov_b32_e32 v11, v10
	;;#ASMSTART
	v_pk_mul_f32 v[12:13], v[18:19], v[10:11]
	;;#ASMEND
	s_waitcnt vmcnt(1)
	v_cvt_f32_u32_sdwa v19, v6 dst_sel:DWORD dst_unused:UNUSED_PAD src0_sel:WORD_1
	v_cvt_f32_u32_sdwa v18, v6 dst_sel:DWORD dst_unused:UNUSED_PAD src0_sel:WORD_0
	;;#ASMSTART
	v_pk_mul_f32 v[14:15], v[22:23], v[10:11]
	;;#ASMEND
	;;#ASMSTART
	v_pk_mul_f32 v[16:17], v[20:21], v[10:11]
	;;#ASMEND
	v_cvt_f32_u32_sdwa v21, v7 dst_sel:DWORD dst_unused:UNUSED_PAD src0_sel:WORD_1
	v_cvt_f32_u32_sdwa v20, v7 dst_sel:DWORD dst_unused:UNUSED_PAD src0_sel:WORD_0
	;;#ASMSTART
	v_pk_mul_f32 v[28:29], v[28:29], v[10:11]
	;;#ASMEND
	;;#ASMSTART
	v_pk_mul_f32 v[24:25], v[24:25], v[10:11]
	;;#ASMEND
	;; [unrolled: 3-line block ×5, first 2 shown]
	v_pk_add_f32 v[10:11], v[18:19], 1.0 op_sel_hi:[1,0]
	;;#ASMSTART
	v_pk_mul_f32 v[18:19], v[12:13], v[10:11]
	;;#ASMEND
	v_cvt_f32_u32_sdwa v13, v8 dst_sel:DWORD dst_unused:UNUSED_PAD src0_sel:WORD_1
	v_cvt_f32_u32_sdwa v12, v8 dst_sel:DWORD dst_unused:UNUSED_PAD src0_sel:WORD_0
	v_cvt_f32_u32_sdwa v27, v9 dst_sel:DWORD dst_unused:UNUSED_PAD src0_sel:WORD_1
	v_cvt_f32_u32_sdwa v26, v9 dst_sel:DWORD dst_unused:UNUSED_PAD src0_sel:WORD_0
	v_pk_add_f32 v[10:11], v[20:21], 1.0 op_sel_hi:[1,0]
	;;#ASMSTART
	v_pk_mul_f32 v[22:23], v[14:15], v[10:11]
	;;#ASMEND
	s_waitcnt vmcnt(0)
	v_cvt_f32_u32_sdwa v11, v2 dst_sel:DWORD dst_unused:UNUSED_PAD src0_sel:WORD_1
	v_cvt_f32_u32_sdwa v10, v2 dst_sel:DWORD dst_unused:UNUSED_PAD src0_sel:WORD_0
	v_pk_add_f32 v[8:9], v[12:13], 1.0 op_sel_hi:[1,0]
	;;#ASMSTART
	v_pk_mul_f32 v[20:21], v[16:17], v[8:9]
	;;#ASMEND
	v_pk_add_f32 v[8:9], v[26:27], 1.0 op_sel_hi:[1,0]
	v_cvt_f32_u32_sdwa v13, v3 dst_sel:DWORD dst_unused:UNUSED_PAD src0_sel:WORD_1
	v_cvt_f32_u32_sdwa v12, v3 dst_sel:DWORD dst_unused:UNUSED_PAD src0_sel:WORD_0
	;;#ASMSTART
	v_pk_mul_f32 v[28:29], v[28:29], v[8:9]
	;;#ASMEND
	v_cvt_f32_u32_sdwa v9, v4 dst_sel:DWORD dst_unused:UNUSED_PAD src0_sel:WORD_1
	v_cvt_f32_u32_sdwa v8, v4 dst_sel:DWORD dst_unused:UNUSED_PAD src0_sel:WORD_0
	v_pk_add_f32 v[2:3], v[10:11], 1.0 op_sel_hi:[1,0]
	v_cvt_f32_u32_sdwa v11, v5 dst_sel:DWORD dst_unused:UNUSED_PAD src0_sel:WORD_1
	v_cvt_f32_u32_sdwa v10, v5 dst_sel:DWORD dst_unused:UNUSED_PAD src0_sel:WORD_0
	;;#ASMSTART
	v_pk_mul_f32 v[24:25], v[24:25], v[2:3]
	;;#ASMEND
	v_pk_add_f32 v[2:3], v[12:13], 1.0 op_sel_hi:[1,0]
	;;#ASMSTART
	v_pk_mul_f32 v[32:33], v[32:33], v[2:3]
	;;#ASMEND
	v_pk_add_f32 v[2:3], v[8:9], 1.0 op_sel_hi:[1,0]
	;; [unrolled: 4-line block ×3, first 2 shown]
	;;#ASMSTART
	v_pk_mul_f32 v[26:27], v[6:7], v[2:3]
	;;#ASMEND
.LBB788_9:
	s_or_b64 exec, exec, s[8:9]
	s_load_dword s7, s[4:5], 0x80
	s_mov_b64 s[8:9], -1
	s_and_b64 vcc, exec, s[14:15]
	s_cbranch_vccnz .LBB788_13
; %bb.10:
	s_andn2_b64 vcc, exec, s[8:9]
	s_cbranch_vccz .LBB788_16
.LBB788_11:
	s_cmp_lt_i32 s20, 1
	s_cbranch_scc0 .LBB788_23
.LBB788_12:
	s_endpgm
.LBB788_13:
	s_and_saveexec_b64 s[14:15], s[2:3]
	s_cbranch_execz .LBB788_15
; %bb.14:
	s_waitcnt lgkmcnt(0)
	s_mul_hi_i32 s9, s7, s6
	s_mul_i32 s8, s7, s6
	s_lshl_b64 s[8:9], s[8:9], 1
	s_add_u32 s8, s28, s8
	s_addc_u32 s9, s29, s9
	s_mov_b32 s16, 0x7060302
	s_and_b32 s9, s9, 0xffff
	s_mov_b32 s11, 0x20000
	s_waitcnt vmcnt(0)
	v_perm_b32 v5, v29, v28, s16
	v_perm_b32 v4, v21, v20, s16
	;; [unrolled: 1-line block ×4, first 2 shown]
	v_lshlrev_b32_e32 v6, 5, v0
	buffer_store_dwordx4 v[2:5], v6, s[8:11], 0 offen
	;;#ASMSTART
	s_nop 0
	;;#ASMEND
	s_nop 0
	v_perm_b32 v5, v27, v26, s16
	v_perm_b32 v4, v31, v30, s16
	v_perm_b32 v3, v33, v32, s16
	v_perm_b32 v2, v25, v24, s16
	buffer_store_dwordx4 v[2:5], v6, s[8:11], 16 offen
	;;#ASMSTART
	s_nop 0
	;;#ASMEND
.LBB788_15:
	s_or_b64 exec, exec, s[14:15]
	s_cbranch_execnz .LBB788_11
.LBB788_16:
	s_waitcnt vmcnt(0)
	v_mov_b32_e32 v2, 0
	s_and_saveexec_b64 s[8:9], s[2:3]
	s_cbranch_execz .LBB788_18
; %bb.17:
	v_and_b32_e32 v2, 0x7fffffff, v18
	v_and_b32_e32 v3, 0x7fffffff, v19
	v_mov_b32_e32 v4, 0x2edbe6ff
	;;#ASMSTART
	v_max3_f32 v2, v4, v2, v3

	;;#ASMEND
	v_and_b32_e32 v3, 0x7fffffff, v22
	v_and_b32_e32 v4, 0x7fffffff, v23
	;;#ASMSTART
	v_max3_f32 v2, v2, v3, v4

	;;#ASMEND
	v_and_b32_e32 v3, 0x7fffffff, v20
	v_and_b32_e32 v4, 0x7fffffff, v21
	;; [unrolled: 6-line block ×7, first 2 shown]
	;;#ASMSTART
	v_max3_f32 v2, v2, v3, v4

	;;#ASMEND
.LBB788_18:
	s_or_b64 exec, exec, s[8:9]
	s_load_dwordx4 s[24:27], s[4:5], 0x70
	;;#ASMSTART
	v_max_f32 v3, v2, v2 quad_perm:[1,0,3,2] row_mask:0xf bank_mask:0xf bound_ctrl:1
	;;#ASMEND
	;;#ASMSTART
	v_max_f32 v4, v3, v3 quad_perm:[2,3,0,1] row_mask:0xf bank_mask:0xf bound_ctrl:1
	;;#ASMEND
	v_and_b32_e32 v3, 7, v0
	v_cmp_eq_u32_e32 vcc, 0, v3
	v_cmp_gt_i32_e64 s[8:9], s19, v1
	s_and_b64 s[10:11], vcc, s[8:9]
	;;#ASMSTART
	v_max_f32 v2, v4, v4 row_half_mirror row_mask:0xf bank_mask:0xf bound_ctrl:1
	;;#ASMEND
	s_and_saveexec_b64 s[8:9], s[10:11]
	s_cbranch_execz .LBB788_20
; %bb.19:
	s_load_dwordx2 s[10:11], s[4:5], 0x8
	v_mul_f32_e32 v2, 0x3e2aaaab, v2
	v_lshrrev_b32_e32 v3, 23, v2
	v_and_b32_e32 v4, 0x7f800000, v2
	v_and_b32_e32 v2, 0x7fffff, v2
	v_cmp_ne_u32_e32 vcc, 0, v2
	s_waitcnt lgkmcnt(0)
	s_mul_i32 s16, s25, s6
	s_mov_b32 s14, 0x7f800000
	v_addc_co_u32_e32 v2, vcc, 0, v3, vcc
	s_mul_hi_i32 s15, s25, s6
	s_add_u32 s10, s10, s16
	v_cmp_ne_u32_e32 vcc, s14, v4
	s_addc_u32 s11, s11, s15
	v_lshrrev_b32_e32 v5, 3, v0
	v_cndmask_b32_e32 v4, -1, v2, vcc
	v_pk_mov_b32 v[2:3], s[10:11], s[10:11] op_sel:[0,1]
	v_mad_i64_i32 v[2:3], s[10:11], s26, v5, v[2:3]
	global_store_byte v[2:3], v4, off
.LBB788_20:
	s_or_b64 exec, exec, s[8:9]
	s_and_saveexec_b64 s[8:9], s[2:3]
	s_cbranch_execz .LBB788_22
; %bb.21:
	s_load_dwordx2 s[2:3], s[4:5], 0x0
	s_waitcnt lgkmcnt(0)
	s_mul_i32 s11, s24, s6
	s_mul_hi_i32 s10, s24, s6
	v_mov_b32_e32 v2, 0
	v_lshlrev_b32_e32 v4, 3, v0
	s_add_u32 s24, s2, s11
	s_addc_u32 s2, s3, s10
	s_lshr_b32 s3, s19, 31
	s_add_i32 s3, s19, s3
	s_ashr_i32 s3, s3, 1
	s_add_i32 s3, s3, 3
	s_ashr_i32 s10, s3, 31
	s_lshr_b32 s10, s10, 30
	s_add_i32 s3, s3, s10
	s_and_b32 s26, s3, -4
	s_and_b32 s25, s2, 0xffff
	s_mov_b32 s27, 0x20000
	v_mov_b32_e32 v3, v2
	buffer_store_dwordx2 v[2:3], v4, s[24:27], 0 offen
	;;#ASMSTART
	s_nop 0
	;;#ASMEND
.LBB788_22:
	s_or_b64 exec, exec, s[8:9]
	s_cmp_lt_i32 s20, 1
	s_cbranch_scc1 .LBB788_12
.LBB788_23:
	s_load_dword s2, s[4:5], 0x94
	s_waitcnt lgkmcnt(0)
	s_cmp_lg_u32 s2, 1
	s_cbranch_scc1 .LBB788_12
; %bb.24:
	s_lshl_b32 s2, s20, 1
	s_add_i32 s2, s2, 2
	v_cmp_gt_u32_e32 vcc, s20, v1
	s_and_b32 s14, s2, -4
	v_mov_b32_e32 v18, 0
	v_lshlrev_b32_e32 v1, 5, v0
	v_mov_b32_e32 v14, 0
	v_mov_b32_e32 v15, 0
	;; [unrolled: 1-line block ×8, first 2 shown]
	s_waitcnt vmcnt(1)
	v_mov_b32_e32 v6, 0
	v_mov_b32_e32 v7, 0
	;; [unrolled: 1-line block ×4, first 2 shown]
	s_waitcnt vmcnt(0)
	v_mov_b32_e32 v2, 0
	v_mov_b32_e32 v3, 0
	v_mov_b32_e32 v4, 0
	v_mov_b32_e32 v5, 0
	s_barrier
	s_and_saveexec_b64 s[2:3], vcc
	s_cbranch_execz .LBB788_26
; %bb.25:
	s_mul_hi_i32 s5, s22, s6
	s_mul_i32 s4, s22, s6
	s_and_b32 s13, s13, 0xffff
	s_lshl_b64 s[4:5], s[4:5], 1
	s_add_u32 s8, s30, s4
	s_mov_b32 s15, 0x20000
	s_addc_u32 s4, s31, s5
	s_and_b32 s9, s4, 0xffff
	s_mov_b32 s10, s14
	s_mov_b32 s11, s15
	buffer_load_dwordx4 v[14:17], v1, s[8:11], 0 offen
	buffer_load_dwordx4 v[10:13], v1, s[8:11], 16 offen
	;; [unrolled: 1-line block ×4, first 2 shown]
.LBB788_26:
	s_or_b64 exec, exec, s[2:3]
	v_mov_b32_e32 v19, 0
	v_mov_b32_e32 v32, 0
	;; [unrolled: 1-line block ×15, first 2 shown]
	s_and_saveexec_b64 s[2:3], vcc
	s_cbranch_execz .LBB788_28
; %bb.27:
	s_waitcnt vmcnt(3)
	v_cvt_f32_u32_sdwa v18, v14 dst_sel:DWORD dst_unused:UNUSED_PAD src0_sel:WORD_0
	v_cvt_f32_u32_sdwa v19, v14 dst_sel:DWORD dst_unused:UNUSED_PAD src0_sel:WORD_1
	v_cvt_f32_u32_sdwa v32, v15 dst_sel:DWORD dst_unused:UNUSED_PAD src0_sel:WORD_0
	v_cvt_f32_u32_sdwa v33, v15 dst_sel:DWORD dst_unused:UNUSED_PAD src0_sel:WORD_1
	;; [unrolled: 2-line block ×4, first 2 shown]
	s_waitcnt vmcnt(2)
	v_cvt_f32_u32_sdwa v26, v10 dst_sel:DWORD dst_unused:UNUSED_PAD src0_sel:WORD_0
	v_cvt_f32_u32_sdwa v27, v10 dst_sel:DWORD dst_unused:UNUSED_PAD src0_sel:WORD_1
	v_cvt_f32_u32_sdwa v24, v11 dst_sel:DWORD dst_unused:UNUSED_PAD src0_sel:WORD_0
	v_cvt_f32_u32_sdwa v25, v11 dst_sel:DWORD dst_unused:UNUSED_PAD src0_sel:WORD_1
	;; [unrolled: 2-line block ×4, first 2 shown]
.LBB788_28:
	s_or_b64 exec, exec, s[2:3]
	s_waitcnt vmcnt(2)
	v_mul_f32_e32 v10, v19, v19
	v_fmac_f32_e32 v10, v18, v18
	v_fmac_f32_e32 v10, v32, v32
	;; [unrolled: 1-line block ×15, first 2 shown]
	s_nop 1
	v_mov_b32_dpp v11, v10 quad_perm:[1,0,3,2] row_mask:0xf bank_mask:0xf
	v_add_f32_e32 v10, v10, v11
	s_nop 1
	v_mov_b32_dpp v11, v10 quad_perm:[2,3,0,1] row_mask:0xf bank_mask:0xf
	v_add_f32_e32 v10, v10, v11
	s_nop 1
	v_mov_b32_dpp v11, v10 row_half_mirror row_mask:0xf bank_mask:0xf
	v_add_f32_e32 v10, v10, v11
	s_nop 1
	v_mov_b32_dpp v11, v10 row_mirror row_mask:0xf bank_mask:0xf
	v_add_f32_e32 v10, v10, v11
	s_nop 1
	v_mov_b32_dpp v11, v10 row_bcast:15 row_mask:0xf bank_mask:0xf
	v_add_f32_e32 v10, v10, v11
	s_nop 1
	v_mov_b32_dpp v11, v10 row_bcast:31 row_mask:0xf bank_mask:0xf
	s_and_saveexec_b64 s[2:3], s[0:1]
	s_cbranch_execz .LBB788_30
; %bb.29:
	v_lshrrev_b32_e32 v0, 4, v0
	v_add_f32_e32 v10, v10, v11
	v_and_b32_e32 v0, 60, v0
	ds_write_b32 v0, v10
.LBB788_30:
	s_or_b64 exec, exec, s[2:3]
	s_waitcnt lgkmcnt(0)
	s_barrier
	ds_read_b32 v0, v34
	s_waitcnt lgkmcnt(0)
	s_nop 0
	v_mov_b32_dpp v10, v0 quad_perm:[1,0,3,2] row_mask:0xf bank_mask:0xf
	v_add_f32_e32 v0, v0, v10
	s_nop 1
	v_mov_b32_dpp v10, v0 quad_perm:[2,3,0,1] row_mask:0xf bank_mask:0xf
	s_and_saveexec_b64 s[0:1], vcc
	s_cbranch_execz .LBB788_12
; %bb.31:
	v_cvt_f32_u32_e32 v11, s20
	v_add_f32_e32 v0, v0, v10
	s_mov_b32 s15, 0x20000
	v_div_scale_f32 v10, s[0:1], v11, v11, v0
	v_rcp_f32_e32 v12, v10
	v_div_scale_f32 v13, vcc, v0, v11, v0
	s_mov_b32 s0, 0x800000
	v_fma_f32 v14, -v10, v12, 1.0
	v_fmac_f32_e32 v12, v14, v12
	v_mul_f32_e32 v14, v13, v12
	v_fma_f32 v15, -v10, v14, v13
	v_fmac_f32_e32 v14, v15, v12
	v_fma_f32 v10, -v10, v14, v13
	v_div_fmas_f32 v10, v10, v12, v14
	v_div_fixup_f32 v0, v10, v11, v0
	v_add_f32_e32 v0, s17, v0
	v_mul_f32_e32 v10, 0x4b800000, v0
	v_cmp_gt_f32_e32 vcc, s0, v0
	v_cndmask_b32_e32 v0, v0, v10, vcc
	v_rsq_f32_e32 v0, v0
	s_mul_hi_i32 s1, s7, s6
	s_mul_i32 s0, s7, s6
	s_lshl_b64 s[0:1], s[0:1], 1
	v_mul_f32_e32 v10, 0x45800000, v0
	v_cndmask_b32_e32 v10, v0, v10, vcc
	v_mov_b32_e32 v11, v10
	;;#ASMSTART
	v_pk_mul_f32 v[12:13], v[18:19], v[10:11]
	;;#ASMEND
	;;#ASMSTART
	v_pk_mul_f32 v[14:15], v[32:33], v[10:11]
	;;#ASMEND
	;; [unrolled: 3-line block ×4, first 2 shown]
	s_waitcnt vmcnt(1)
	v_cvt_f32_u32_sdwa v29, v6 dst_sel:DWORD dst_unused:UNUSED_PAD src0_sel:WORD_1
	v_cvt_f32_u32_sdwa v28, v6 dst_sel:DWORD dst_unused:UNUSED_PAD src0_sel:WORD_0
	v_cvt_f32_u32_sdwa v31, v7 dst_sel:DWORD dst_unused:UNUSED_PAD src0_sel:WORD_1
	v_cvt_f32_u32_sdwa v30, v7 dst_sel:DWORD dst_unused:UNUSED_PAD src0_sel:WORD_0
	;;#ASMSTART
	v_pk_mul_f32 v[26:27], v[26:27], v[10:11]
	;;#ASMEND
	;;#ASMSTART
	v_pk_mul_f32 v[24:25], v[24:25], v[10:11]
	;;#ASMEND
	;; [unrolled: 3-line block ×4, first 2 shown]
	v_cvt_f32_u32_sdwa v21, v8 dst_sel:DWORD dst_unused:UNUSED_PAD src0_sel:WORD_1
	v_cvt_f32_u32_sdwa v20, v8 dst_sel:DWORD dst_unused:UNUSED_PAD src0_sel:WORD_0
	v_pk_add_f32 v[10:11], v[28:29], 1.0 op_sel_hi:[1,0]
	;;#ASMSTART
	v_pk_mul_f32 v[10:11], v[12:13], v[10:11]
	;;#ASMEND
	v_pk_add_f32 v[12:13], v[30:31], 1.0 op_sel_hi:[1,0]
	v_cvt_f32_u32_sdwa v29, v9 dst_sel:DWORD dst_unused:UNUSED_PAD src0_sel:WORD_1
	v_cvt_f32_u32_sdwa v28, v9 dst_sel:DWORD dst_unused:UNUSED_PAD src0_sel:WORD_0
	;;#ASMSTART
	v_pk_mul_f32 v[8:9], v[14:15], v[12:13]
	;;#ASMEND
	v_pk_add_f32 v[12:13], v[20:21], 1.0 op_sel_hi:[1,0]
	;;#ASMSTART
	v_pk_mul_f32 v[12:13], v[16:17], v[12:13]
	;;#ASMEND
	s_waitcnt vmcnt(0)
	v_cvt_f32_u32_sdwa v17, v2 dst_sel:DWORD dst_unused:UNUSED_PAD src0_sel:WORD_1
	v_cvt_f32_u32_sdwa v16, v2 dst_sel:DWORD dst_unused:UNUSED_PAD src0_sel:WORD_0
	v_cvt_f32_u32_sdwa v21, v3 dst_sel:DWORD dst_unused:UNUSED_PAD src0_sel:WORD_1
	v_cvt_f32_u32_sdwa v20, v3 dst_sel:DWORD dst_unused:UNUSED_PAD src0_sel:WORD_0
	v_pk_add_f32 v[14:15], v[28:29], 1.0 op_sel_hi:[1,0]
	;;#ASMSTART
	v_pk_mul_f32 v[14:15], v[18:19], v[14:15]
	;;#ASMEND
	v_pk_add_f32 v[2:3], v[16:17], 1.0 op_sel_hi:[1,0]
	v_cvt_f32_u32_sdwa v19, v4 dst_sel:DWORD dst_unused:UNUSED_PAD src0_sel:WORD_1
	v_cvt_f32_u32_sdwa v18, v4 dst_sel:DWORD dst_unused:UNUSED_PAD src0_sel:WORD_0
	;;#ASMSTART
	v_pk_mul_f32 v[16:17], v[26:27], v[2:3]
	;;#ASMEND
	v_pk_add_f32 v[2:3], v[20:21], 1.0 op_sel_hi:[1,0]
	v_cvt_f32_u32_sdwa v21, v5 dst_sel:DWORD dst_unused:UNUSED_PAD src0_sel:WORD_1
	v_cvt_f32_u32_sdwa v20, v5 dst_sel:DWORD dst_unused:UNUSED_PAD src0_sel:WORD_0
	s_add_u32 s12, s28, s0
	;;#ASMSTART
	v_pk_mul_f32 v[24:25], v[24:25], v[2:3]
	;;#ASMEND
	v_pk_add_f32 v[2:3], v[18:19], 1.0 op_sel_hi:[1,0]
	s_addc_u32 s0, s29, s1
	;;#ASMSTART
	v_pk_mul_f32 v[18:19], v[22:23], v[2:3]
	;;#ASMEND
	v_pk_add_f32 v[2:3], v[20:21], 1.0 op_sel_hi:[1,0]
	s_and_b32 s13, s0, 0xffff
	s_mov_b32 s0, 0x7060302
	;;#ASMSTART
	v_pk_mul_f32 v[6:7], v[6:7], v[2:3]
	;;#ASMEND
	v_perm_b32 v2, v11, v10, s0
	v_perm_b32 v3, v9, v8, s0
	;; [unrolled: 1-line block ×4, first 2 shown]
	buffer_store_dwordx4 v[2:5], v1, s[12:15], 0 offen
	;;#ASMSTART
	s_nop 0
	;;#ASMEND
	s_nop 0
	v_perm_b32 v2, v17, v16, s0
	v_perm_b32 v3, v25, v24, s0
	v_perm_b32 v4, v19, v18, s0
	v_perm_b32 v5, v7, v6, s0
	buffer_store_dwordx4 v[2:5], v1, s[12:15], 16 offen
	;;#ASMSTART
	s_nop 0
	;;#ASMEND
	s_endpgm
	.section	.rodata,"a",@progbits
	.p2align	6, 0x0
	.amdhsa_kernel _ZN5aiter35fused_qk_rmsnorm_group_quant_kernelItN4opus5fp4_tELi256ELi16ELi8ELb0ELb0ELb1ELb0ELb0ELb0EEEvPT0_PvPT_S7_S7_PKS6_S9_S9_S9_S9_ffiiiiiiiiiiiii
		.amdhsa_group_segment_fixed_size 32
		.amdhsa_private_segment_fixed_size 0
		.amdhsa_kernarg_size 400
		.amdhsa_user_sgpr_count 6
		.amdhsa_user_sgpr_private_segment_buffer 1
		.amdhsa_user_sgpr_dispatch_ptr 0
		.amdhsa_user_sgpr_queue_ptr 0
		.amdhsa_user_sgpr_kernarg_segment_ptr 1
		.amdhsa_user_sgpr_dispatch_id 0
		.amdhsa_user_sgpr_flat_scratch_init 0
		.amdhsa_user_sgpr_kernarg_preload_length 0
		.amdhsa_user_sgpr_kernarg_preload_offset 0
		.amdhsa_user_sgpr_private_segment_size 0
		.amdhsa_uses_dynamic_stack 0
		.amdhsa_system_sgpr_private_segment_wavefront_offset 0
		.amdhsa_system_sgpr_workgroup_id_x 1
		.amdhsa_system_sgpr_workgroup_id_y 1
		.amdhsa_system_sgpr_workgroup_id_z 0
		.amdhsa_system_sgpr_workgroup_info 0
		.amdhsa_system_vgpr_workitem_id 0
		.amdhsa_next_free_vgpr 35
		.amdhsa_next_free_sgpr 32
		.amdhsa_accum_offset 36
		.amdhsa_reserve_vcc 1
		.amdhsa_reserve_flat_scratch 0
		.amdhsa_float_round_mode_32 0
		.amdhsa_float_round_mode_16_64 0
		.amdhsa_float_denorm_mode_32 3
		.amdhsa_float_denorm_mode_16_64 3
		.amdhsa_dx10_clamp 1
		.amdhsa_ieee_mode 1
		.amdhsa_fp16_overflow 0
		.amdhsa_tg_split 0
		.amdhsa_exception_fp_ieee_invalid_op 0
		.amdhsa_exception_fp_denorm_src 0
		.amdhsa_exception_fp_ieee_div_zero 0
		.amdhsa_exception_fp_ieee_overflow 0
		.amdhsa_exception_fp_ieee_underflow 0
		.amdhsa_exception_fp_ieee_inexact 0
		.amdhsa_exception_int_div_zero 0
	.end_amdhsa_kernel
	.section	.text._ZN5aiter35fused_qk_rmsnorm_group_quant_kernelItN4opus5fp4_tELi256ELi16ELi8ELb0ELb0ELb1ELb0ELb0ELb0EEEvPT0_PvPT_S7_S7_PKS6_S9_S9_S9_S9_ffiiiiiiiiiiiii,"axG",@progbits,_ZN5aiter35fused_qk_rmsnorm_group_quant_kernelItN4opus5fp4_tELi256ELi16ELi8ELb0ELb0ELb1ELb0ELb0ELb0EEEvPT0_PvPT_S7_S7_PKS6_S9_S9_S9_S9_ffiiiiiiiiiiiii,comdat
.Lfunc_end788:
	.size	_ZN5aiter35fused_qk_rmsnorm_group_quant_kernelItN4opus5fp4_tELi256ELi16ELi8ELb0ELb0ELb1ELb0ELb0ELb0EEEvPT0_PvPT_S7_S7_PKS6_S9_S9_S9_S9_ffiiiiiiiiiiiii, .Lfunc_end788-_ZN5aiter35fused_qk_rmsnorm_group_quant_kernelItN4opus5fp4_tELi256ELi16ELi8ELb0ELb0ELb1ELb0ELb0ELb0EEEvPT0_PvPT_S7_S7_PKS6_S9_S9_S9_S9_ffiiiiiiiiiiiii
                                        ; -- End function
	.section	.AMDGPU.csdata,"",@progbits
; Kernel info:
; codeLenInByte = 3272
; NumSgprs: 36
; NumVgprs: 35
; NumAgprs: 0
; TotalNumVgprs: 35
; ScratchSize: 0
; MemoryBound: 0
; FloatMode: 240
; IeeeMode: 1
; LDSByteSize: 32 bytes/workgroup (compile time only)
; SGPRBlocks: 4
; VGPRBlocks: 4
; NumSGPRsForWavesPerEU: 36
; NumVGPRsForWavesPerEU: 35
; AccumOffset: 36
; Occupancy: 8
; WaveLimiterHint : 0
; COMPUTE_PGM_RSRC2:SCRATCH_EN: 0
; COMPUTE_PGM_RSRC2:USER_SGPR: 6
; COMPUTE_PGM_RSRC2:TRAP_HANDLER: 0
; COMPUTE_PGM_RSRC2:TGID_X_EN: 1
; COMPUTE_PGM_RSRC2:TGID_Y_EN: 1
; COMPUTE_PGM_RSRC2:TGID_Z_EN: 0
; COMPUTE_PGM_RSRC2:TIDIG_COMP_CNT: 0
; COMPUTE_PGM_RSRC3_GFX90A:ACCUM_OFFSET: 8
; COMPUTE_PGM_RSRC3_GFX90A:TG_SPLIT: 0
	.section	.text._ZN5aiter35fused_qk_rmsnorm_group_quant_kernelIDF16_DB8_Li256ELi16ELi8ELb0ELb0ELb0ELb0ELb0ELb0EEEvPT0_PvPT_S6_S6_PKS5_S8_S8_S8_S8_ffiiiiiiiiiiiii,"axG",@progbits,_ZN5aiter35fused_qk_rmsnorm_group_quant_kernelIDF16_DB8_Li256ELi16ELi8ELb0ELb0ELb0ELb0ELb0ELb0EEEvPT0_PvPT_S6_S6_PKS5_S8_S8_S8_S8_ffiiiiiiiiiiiii,comdat
	.protected	_ZN5aiter35fused_qk_rmsnorm_group_quant_kernelIDF16_DB8_Li256ELi16ELi8ELb0ELb0ELb0ELb0ELb0ELb0EEEvPT0_PvPT_S6_S6_PKS5_S8_S8_S8_S8_ffiiiiiiiiiiiii ; -- Begin function _ZN5aiter35fused_qk_rmsnorm_group_quant_kernelIDF16_DB8_Li256ELi16ELi8ELb0ELb0ELb0ELb0ELb0ELb0EEEvPT0_PvPT_S6_S6_PKS5_S8_S8_S8_S8_ffiiiiiiiiiiiii
	.globl	_ZN5aiter35fused_qk_rmsnorm_group_quant_kernelIDF16_DB8_Li256ELi16ELi8ELb0ELb0ELb0ELb0ELb0ELb0EEEvPT0_PvPT_S6_S6_PKS5_S8_S8_S8_S8_ffiiiiiiiiiiiii
	.p2align	8
	.type	_ZN5aiter35fused_qk_rmsnorm_group_quant_kernelIDF16_DB8_Li256ELi16ELi8ELb0ELb0ELb0ELb0ELb0ELb0EEEvPT0_PvPT_S6_S6_PKS5_S8_S8_S8_S8_ffiiiiiiiiiiiii,@function
_ZN5aiter35fused_qk_rmsnorm_group_quant_kernelIDF16_DB8_Li256ELi16ELi8ELb0ELb0ELb0ELb0ELb0ELb0EEEvPT0_PvPT_S6_S6_PKS5_S8_S8_S8_S8_ffiiiiiiiiiiiii: ; @_ZN5aiter35fused_qk_rmsnorm_group_quant_kernelIDF16_DB8_Li256ELi16ELi8ELb0ELb0ELb0ELb0ELb0ELb0EEEvPT0_PvPT_S6_S6_PKS5_S8_S8_S8_S8_ffiiiiiiiiiiiii
; %bb.0:
	s_load_dwordx4 s[16:19], s[4:5], 0x50
	s_waitcnt lgkmcnt(0)
	s_cmp_ge_i32 s6, s18
	s_cbranch_scc1 .LBB789_12
; %bb.1:
	s_load_dwordx2 s[12:13], s[4:5], 0x48
	s_load_dwordx2 s[30:31], s[4:5], 0x30
	s_load_dwordx4 s[20:23], s[4:5], 0x60
	s_cmp_lg_u32 s7, 0
	s_cselect_b64 s[14:15], -1, 0
	s_cmp_eq_u32 s7, 0
	s_cselect_b64 vcc, -1, 0
	s_and_b64 s[0:1], vcc, exec
	s_waitcnt lgkmcnt(0)
	s_cselect_b32 s7, s19, s20
	s_add_i32 s0, s7, 1
	s_lshr_b32 s1, s0, 31
	s_add_i32 s0, s0, s1
	s_lshl_b32 s0, s0, 1
	v_lshlrev_b32_e32 v1, 4, v0
	s_and_b32 s10, s0, -4
	v_cmp_gt_i32_e64 s[2:3], s7, v1
	v_mov_b32_e32 v18, 0
	v_mov_b32_e32 v6, 0
	;; [unrolled: 1-line block ×17, first 2 shown]
	s_and_saveexec_b64 s[0:1], s[2:3]
	s_cbranch_execz .LBB789_3
; %bb.2:
	s_load_dwordx2 s[8:9], s[4:5], 0x28
	s_load_dwordx2 s[26:27], s[4:5], 0x40
	s_and_b64 s[24:25], vcc, exec
	s_cselect_b32 s11, s21, s22
	v_lshlrev_b32_e32 v19, 5, v0
	s_waitcnt lgkmcnt(0)
	s_cselect_b32 s18, s9, s31
	s_cselect_b32 s21, s8, s30
	s_mul_hi_i32 s9, s11, s6
	s_mul_i32 s8, s11, s6
	s_lshl_b64 s[8:9], s[8:9], 1
	s_add_u32 s24, s21, s8
	s_addc_u32 s18, s18, s9
	s_and_b64 s[8:9], vcc, exec
	s_mov_b32 s11, 0x20000
	s_cselect_b32 s8, s26, s12
	s_cselect_b32 s9, s27, s13
	s_and_b32 s25, s18, 0xffff
	s_mov_b32 s26, s10
	s_mov_b32 s27, s11
	s_and_b32 s9, s9, 0xffff
	buffer_load_dwordx4 v[14:17], v19, s[24:27], 0 offen
	buffer_load_dwordx4 v[10:13], v19, s[24:27], 16 offen
	;; [unrolled: 1-line block ×4, first 2 shown]
.LBB789_3:
	s_or_b64 exec, exec, s[0:1]
	v_mov_b32_e32 v19, 0
	v_mov_b32_e32 v32, 0
	;; [unrolled: 1-line block ×15, first 2 shown]
	s_and_saveexec_b64 s[0:1], s[2:3]
	s_cbranch_execz .LBB789_5
; %bb.4:
	s_waitcnt vmcnt(3)
	v_cvt_f32_f16_sdwa v19, v14 dst_sel:DWORD dst_unused:UNUSED_PAD src0_sel:WORD_1
	v_cvt_f32_f16_e32 v18, v14
	v_cvt_f32_f16_sdwa v33, v15 dst_sel:DWORD dst_unused:UNUSED_PAD src0_sel:WORD_1
	v_cvt_f32_f16_e32 v32, v15
	;; [unrolled: 2-line block ×4, first 2 shown]
	s_waitcnt vmcnt(2)
	v_cvt_f32_f16_sdwa v31, v10 dst_sel:DWORD dst_unused:UNUSED_PAD src0_sel:WORD_1
	v_cvt_f32_f16_e32 v30, v10
	v_cvt_f32_f16_sdwa v29, v11 dst_sel:DWORD dst_unused:UNUSED_PAD src0_sel:WORD_1
	v_cvt_f32_f16_e32 v28, v11
	;; [unrolled: 2-line block ×4, first 2 shown]
.LBB789_5:
	s_or_b64 exec, exec, s[0:1]
	s_waitcnt vmcnt(2)
	v_mul_f32_e32 v10, v19, v19
	v_fmac_f32_e32 v10, v18, v18
	v_fmac_f32_e32 v10, v32, v32
	v_fmac_f32_e32 v10, v33, v33
	v_fmac_f32_e32 v10, v26, v26
	v_fmac_f32_e32 v10, v27, v27
	v_fmac_f32_e32 v10, v24, v24
	v_fmac_f32_e32 v10, v25, v25
	v_fmac_f32_e32 v10, v30, v30
	v_fmac_f32_e32 v10, v31, v31
	v_fmac_f32_e32 v10, v28, v28
	v_fmac_f32_e32 v10, v29, v29
	v_fmac_f32_e32 v10, v22, v22
	v_fmac_f32_e32 v10, v23, v23
	v_fmac_f32_e32 v10, v20, v20
	v_fmac_f32_e32 v10, v21, v21
	v_and_b32_e32 v12, 63, v0
	v_cmp_eq_u32_e64 s[0:1], 63, v12
	v_mov_b32_dpp v11, v10 quad_perm:[1,0,3,2] row_mask:0xf bank_mask:0xf
	v_add_f32_e32 v10, v10, v11
	s_nop 1
	v_mov_b32_dpp v11, v10 quad_perm:[2,3,0,1] row_mask:0xf bank_mask:0xf
	v_add_f32_e32 v10, v10, v11
	s_nop 1
	v_mov_b32_dpp v11, v10 row_half_mirror row_mask:0xf bank_mask:0xf
	v_add_f32_e32 v10, v10, v11
	s_nop 1
	v_mov_b32_dpp v11, v10 row_mirror row_mask:0xf bank_mask:0xf
	v_add_f32_e32 v10, v10, v11
	s_nop 1
	v_mov_b32_dpp v11, v10 row_bcast:15 row_mask:0xf bank_mask:0xf
	v_add_f32_e32 v10, v10, v11
	s_nop 1
	v_mov_b32_dpp v11, v10 row_bcast:31 row_mask:0xf bank_mask:0xf
	s_and_saveexec_b64 s[8:9], s[0:1]
	s_cbranch_execz .LBB789_7
; %bb.6:
	v_add_f32_e32 v10, v10, v11
	v_lshrrev_b32_e32 v11, 4, v0
	v_and_b32_e32 v11, 60, v11
	ds_write_b32 v11, v10 offset:16
.LBB789_7:
	s_or_b64 exec, exec, s[8:9]
	v_and_b32_e32 v10, 3, v0
	v_lshlrev_b32_e32 v34, 2, v10
	s_waitcnt lgkmcnt(0)
	s_barrier
	ds_read_b32 v10, v34 offset:16
	s_load_dwordx2 s[28:29], s[4:5], 0x18
	s_waitcnt lgkmcnt(0)
	v_mov_b32_dpp v11, v10 quad_perm:[1,0,3,2] row_mask:0xf bank_mask:0xf
	v_add_f32_e32 v10, v10, v11
	s_nop 1
	v_mov_b32_dpp v11, v10 quad_perm:[2,3,0,1] row_mask:0xf bank_mask:0xf
	s_and_saveexec_b64 s[8:9], s[2:3]
	s_cbranch_execz .LBB789_9
; %bb.8:
	v_cvt_f32_u32_e32 v12, s7
	v_add_f32_e32 v10, v10, v11
	v_mov_b32_e32 v14, s17
	v_mov_b32_e32 v15, s16
	v_div_scale_f32 v11, s[24:25], v12, v12, v10
	v_rcp_f32_e32 v13, v11
	v_cndmask_b32_e32 v14, v14, v15, vcc
	s_mov_b32 s7, 0x800000
	s_waitcnt vmcnt(1)
	v_cvt_f32_f16_sdwa v37, v9 dst_sel:DWORD dst_unused:UNUSED_PAD src0_sel:WORD_1
	v_fma_f32 v15, -v11, v13, 1.0
	v_fmac_f32_e32 v13, v15, v13
	v_div_scale_f32 v15, vcc, v10, v12, v10
	v_mul_f32_e32 v16, v15, v13
	v_fma_f32 v17, -v11, v16, v15
	v_fmac_f32_e32 v16, v17, v13
	v_fma_f32 v11, -v11, v16, v15
	v_div_fmas_f32 v11, v11, v13, v16
	v_div_fixup_f32 v10, v11, v12, v10
	v_add_f32_e32 v10, v14, v10
	v_mul_f32_e32 v11, 0x4b800000, v10
	v_cmp_gt_f32_e32 vcc, s7, v10
	v_cndmask_b32_e32 v10, v10, v11, vcc
	v_rsq_f32_e32 v10, v10
	v_cvt_f32_f16_e32 v36, v9
	s_waitcnt vmcnt(0)
	v_cvt_f32_f16_sdwa v9, v3 dst_sel:DWORD dst_unused:UNUSED_PAD src0_sel:WORD_1
	v_mul_f32_e32 v11, 0x45800000, v10
	v_cndmask_b32_e32 v10, v10, v11, vcc
	v_mov_b32_e32 v11, v10
	;;#ASMSTART
	v_pk_mul_f32 v[12:13], v[18:19], v[10:11]
	;;#ASMEND
	;;#ASMSTART
	v_pk_mul_f32 v[14:15], v[32:33], v[10:11]
	;;#ASMEND
	;; [unrolled: 3-line block ×8, first 2 shown]
	v_cvt_f32_f16_sdwa v19, v6 dst_sel:DWORD dst_unused:UNUSED_PAD src0_sel:WORD_1
	v_cvt_f32_f16_e32 v18, v6
	v_cvt_f32_f16_sdwa v21, v7 dst_sel:DWORD dst_unused:UNUSED_PAD src0_sel:WORD_1
	v_cvt_f32_f16_e32 v20, v7
	;; [unrolled: 2-line block ×3, first 2 shown]
	;;#ASMSTART
	v_pk_mul_f32 v[18:19], v[12:13], v[18:19]
	;;#ASMEND
	;;#ASMSTART
	v_pk_mul_f32 v[32:33], v[14:15], v[20:21]
	;;#ASMEND
	;; [unrolled: 3-line block ×4, first 2 shown]
	v_cvt_f32_f16_sdwa v7, v2 dst_sel:DWORD dst_unused:UNUSED_PAD src0_sel:WORD_1
	v_cvt_f32_f16_e32 v6, v2
	v_cvt_f32_f16_e32 v8, v3
	v_cvt_f32_f16_sdwa v3, v4 dst_sel:DWORD dst_unused:UNUSED_PAD src0_sel:WORD_1
	v_cvt_f32_f16_e32 v2, v4
	v_cvt_f32_f16_sdwa v13, v5 dst_sel:DWORD dst_unused:UNUSED_PAD src0_sel:WORD_1
	v_cvt_f32_f16_e32 v12, v5
	;;#ASMSTART
	v_pk_mul_f32 v[30:31], v[30:31], v[6:7]
	;;#ASMEND
	;;#ASMSTART
	v_pk_mul_f32 v[28:29], v[28:29], v[8:9]
	;;#ASMEND
	;; [unrolled: 3-line block ×4, first 2 shown]
.LBB789_9:
	s_or_b64 exec, exec, s[8:9]
	s_load_dword s7, s[4:5], 0x80
	s_mov_b64 s[8:9], -1
	s_and_b64 vcc, exec, s[14:15]
	s_cbranch_vccnz .LBB789_13
; %bb.10:
	s_andn2_b64 vcc, exec, s[8:9]
	s_cbranch_vccz .LBB789_16
.LBB789_11:
	s_cmp_lt_i32 s20, 1
	s_cbranch_scc0 .LBB789_23
.LBB789_12:
	s_endpgm
.LBB789_13:
	s_and_saveexec_b64 s[14:15], s[2:3]
	s_cbranch_execz .LBB789_15
; %bb.14:
	s_waitcnt lgkmcnt(0)
	s_mul_hi_i32 s9, s7, s6
	s_mul_i32 s8, s7, s6
	s_waitcnt vmcnt(0)
	v_cvt_f16_f32_e32 v2, v18
	v_cvt_f16_f32_e32 v3, v32
	;; [unrolled: 1-line block ×8, first 2 shown]
	s_lshl_b64 s[8:9], s[8:9], 1
	s_add_u32 s8, s28, s8
	s_addc_u32 s9, s29, s9
	s_and_b32 s9, s9, 0xffff
	s_mov_b32 s11, 0x20000
	v_pack_b32_f16 v5, v5, v6
	v_pack_b32_f16 v4, v4, v7
	;; [unrolled: 1-line block ×4, first 2 shown]
	v_lshlrev_b32_e32 v6, 5, v0
	buffer_store_dwordx4 v[2:5], v6, s[8:11], 0 offen
	v_cvt_f16_f32_e32 v7, v21
	v_cvt_f16_f32_e32 v2, v30
	;; [unrolled: 1-line block ×8, first 2 shown]
	v_pack_b32_f16 v5, v5, v7
	v_pack_b32_f16 v4, v4, v8
	;; [unrolled: 1-line block ×4, first 2 shown]
	;;#ASMSTART
	s_nop 0
	;;#ASMEND
	buffer_store_dwordx4 v[2:5], v6, s[8:11], 16 offen
	;;#ASMSTART
	s_nop 0
	;;#ASMEND
.LBB789_15:
	s_or_b64 exec, exec, s[14:15]
	s_cbranch_execnz .LBB789_11
.LBB789_16:
	s_waitcnt vmcnt(0)
	v_mov_b32_e32 v2, 0
	s_and_saveexec_b64 s[8:9], s[2:3]
	s_cbranch_execz .LBB789_18
; %bb.17:
	v_and_b32_e32 v2, 0x7fffffff, v18
	v_and_b32_e32 v3, 0x7fffffff, v19
	v_mov_b32_e32 v4, 0x2edbe6ff
	;;#ASMSTART
	v_max3_f32 v2, v4, v2, v3

	;;#ASMEND
	v_and_b32_e32 v3, 0x7fffffff, v32
	v_and_b32_e32 v4, 0x7fffffff, v33
	;;#ASMSTART
	v_max3_f32 v2, v2, v3, v4

	;;#ASMEND
	v_and_b32_e32 v3, 0x7fffffff, v26
	v_and_b32_e32 v4, 0x7fffffff, v27
	;; [unrolled: 6-line block ×7, first 2 shown]
	;;#ASMSTART
	v_max3_f32 v2, v2, v3, v4

	;;#ASMEND
.LBB789_18:
	s_or_b64 exec, exec, s[8:9]
	s_load_dwordx4 s[24:27], s[4:5], 0x70
	;;#ASMSTART
	v_max_f32 v3, v2, v2 quad_perm:[1,0,3,2] row_mask:0xf bank_mask:0xf bound_ctrl:1
	;;#ASMEND
	;;#ASMSTART
	v_max_f32 v2, v3, v3 quad_perm:[2,3,0,1] row_mask:0xf bank_mask:0xf bound_ctrl:1
	;;#ASMEND
	;;#ASMSTART
	v_max_f32 v3, v2, v2 row_half_mirror row_mask:0xf bank_mask:0xf bound_ctrl:1
	;;#ASMEND
	v_mul_f32_e32 v2, 0x3b124925, v3
	v_and_b32_e32 v3, 7, v0
	v_cmp_eq_u32_e32 vcc, 0, v3
	v_cmp_gt_i32_e64 s[8:9], s19, v1
	s_and_b64 s[10:11], vcc, s[8:9]
	s_and_saveexec_b64 s[8:9], s[10:11]
	s_cbranch_execz .LBB789_20
; %bb.19:
	s_load_dwordx2 s[10:11], s[4:5], 0x8
	s_waitcnt lgkmcnt(0)
	s_mul_hi_i32 s15, s25, s6
	s_mul_i32 s14, s25, s6
	v_lshrrev_b32_e32 v3, 3, v0
	s_lshl_b64 s[14:15], s[14:15], 2
	v_mad_i64_i32 v[4:5], s[26:27], s26, v3, 0
	s_add_u32 s10, s10, s14
	s_addc_u32 s11, s11, s15
	v_lshlrev_b64 v[4:5], 2, v[4:5]
	v_mov_b32_e32 v3, s11
	v_add_co_u32_e32 v4, vcc, s10, v4
	v_addc_co_u32_e32 v5, vcc, v3, v5, vcc
	global_store_dword v[4:5], v2, off
.LBB789_20:
	s_or_b64 exec, exec, s[8:9]
	;;#ASMSTART
	v_rcp_f32 v2, v2
	;;#ASMEND
	s_and_saveexec_b64 s[14:15], s[2:3]
	s_cbranch_execz .LBB789_22
; %bb.21:
	s_load_dwordx2 s[2:3], s[4:5], 0x0
	s_waitcnt lgkmcnt(0)
	s_mul_i32 s8, s24, s6
	s_mul_hi_i32 s9, s24, s6
	v_mov_b32_e32 v3, v2
	;;#ASMSTART
	v_pk_mul_f32 v[4:5], v[18:19], v[2:3]
	;;#ASMEND
	s_add_u32 s8, s2, s8
	s_addc_u32 s2, s3, s9
	s_add_i32 s3, s19, 3
	s_ashr_i32 s10, s3, 31
	v_mov_b32_e32 v10, 0xc3e00000
	v_mov_b32_e32 v11, 0x43e00000
	;;#ASMSTART
	v_med3_f32 v4, v4, v10, v11
v_med3_f32 v5, v5, v10, v11
v_cvt_pk_fp8_f32 v6, v4, v5
	;;#ASMEND
	s_and_b32 s9, s2, 0xffff
	s_lshr_b32 s2, s10, 30
	;;#ASMSTART
	v_pk_mul_f32 v[4:5], v[32:33], v[2:3]
	;;#ASMEND
	s_add_i32 s3, s3, s2
	;;#ASMSTART
	v_med3_f32 v4, v4, v10, v11
v_med3_f32 v5, v5, v10, v11
v_cvt_pk_fp8_f32 v7, v4, v5
	;;#ASMEND
	s_mov_b32 s2, 0x5040100
	v_perm_b32 v4, v7, v6, s2
	s_mov_b32 s2, 0x1060504
	v_perm_b32 v4, v4, v7, s2
	;;#ASMSTART
	v_pk_mul_f32 v[6:7], v[26:27], v[2:3]
	;;#ASMEND
	v_mov_b32_e32 v5, v6
	;;#ASMSTART
	v_med3_f32 v5, v5, v10, v11
v_med3_f32 v7, v7, v10, v11
v_cvt_pk_fp8_f32 v8, v5, v7
	;;#ASMEND
	;;#ASMSTART
	v_pk_mul_f32 v[6:7], v[24:25], v[2:3]
	;;#ASMEND
	v_mov_b32_e32 v5, v7
	;;#ASMSTART
	v_med3_f32 v6, v6, v10, v11
v_med3_f32 v5, v5, v10, v11
v_cvt_pk_fp8_f32 v7, v6, v5
	;;#ASMEND
	s_mov_b32 s2, 0x1000504
	v_perm_b32 v5, v8, v7, s2
	;;#ASMSTART
	v_pk_mul_f32 v[6:7], v[30:31], v[2:3]
	;;#ASMEND
	;;#ASMSTART
	v_med3_f32 v6, v6, v10, v11
v_med3_f32 v7, v7, v10, v11
v_cvt_pk_fp8_f32 v8, v6, v7
	;;#ASMEND
	;;#ASMSTART
	v_pk_mul_f32 v[6:7], v[28:29], v[2:3]
	;;#ASMEND
	;;#ASMSTART
	v_med3_f32 v6, v6, v10, v11
v_med3_f32 v7, v7, v10, v11
v_cvt_pk_fp8_f32 v9, v6, v7
	;;#ASMEND
	v_perm_b32 v6, v8, v9, s2
	;;#ASMSTART
	v_pk_mul_f32 v[8:9], v[22:23], v[2:3]
	;;#ASMEND
	v_mov_b32_e32 v7, v8
	;;#ASMSTART
	v_med3_f32 v7, v7, v10, v11
v_med3_f32 v9, v9, v10, v11
v_cvt_pk_fp8_f32 v8, v7, v9
	;;#ASMEND
	;;#ASMSTART
	v_pk_mul_f32 v[2:3], v[20:21], v[2:3]
	;;#ASMEND
	;;#ASMSTART
	v_med3_f32 v2, v2, v10, v11
v_med3_f32 v3, v3, v10, v11
v_cvt_pk_fp8_f32 v7, v2, v3
	;;#ASMEND
	s_and_b32 s10, s3, -4
	s_mov_b32 s11, 0x20000
	v_perm_b32 v7, v8, v7, s2
	buffer_store_dwordx4 v[4:7], v1, s[8:11], 0 offen
	;;#ASMSTART
	s_nop 0
	;;#ASMEND
.LBB789_22:
	s_or_b64 exec, exec, s[14:15]
	s_cmp_lt_i32 s20, 1
	s_cbranch_scc1 .LBB789_12
.LBB789_23:
	s_load_dword s2, s[4:5], 0x94
	s_waitcnt lgkmcnt(0)
	s_cmp_lg_u32 s2, 1
	s_cbranch_scc1 .LBB789_12
; %bb.24:
	s_lshl_b32 s2, s20, 1
	s_add_i32 s2, s2, 2
	v_cmp_gt_u32_e32 vcc, s20, v1
	s_and_b32 s14, s2, -4
	v_mov_b32_e32 v18, 0
	v_lshlrev_b32_e32 v1, 5, v0
	v_mov_b32_e32 v14, 0
	v_mov_b32_e32 v15, 0
	;; [unrolled: 1-line block ×8, first 2 shown]
	s_waitcnt vmcnt(1)
	v_mov_b32_e32 v6, 0
	v_mov_b32_e32 v7, 0
	;; [unrolled: 1-line block ×4, first 2 shown]
	s_waitcnt vmcnt(0)
	v_mov_b32_e32 v2, 0
	v_mov_b32_e32 v3, 0
	;; [unrolled: 1-line block ×4, first 2 shown]
	s_barrier
	s_and_saveexec_b64 s[2:3], vcc
	s_cbranch_execz .LBB789_26
; %bb.25:
	s_mul_hi_i32 s5, s22, s6
	s_mul_i32 s4, s22, s6
	s_and_b32 s13, s13, 0xffff
	s_lshl_b64 s[4:5], s[4:5], 1
	s_add_u32 s8, s30, s4
	s_mov_b32 s15, 0x20000
	s_addc_u32 s4, s31, s5
	s_and_b32 s9, s4, 0xffff
	s_mov_b32 s10, s14
	s_mov_b32 s11, s15
	buffer_load_dwordx4 v[14:17], v1, s[8:11], 0 offen
	buffer_load_dwordx4 v[10:13], v1, s[8:11], 16 offen
	;; [unrolled: 1-line block ×4, first 2 shown]
.LBB789_26:
	s_or_b64 exec, exec, s[2:3]
	v_mov_b32_e32 v19, 0
	v_mov_b32_e32 v32, 0
	;; [unrolled: 1-line block ×15, first 2 shown]
	s_and_saveexec_b64 s[2:3], vcc
	s_cbranch_execz .LBB789_28
; %bb.27:
	s_waitcnt vmcnt(3)
	v_cvt_f32_f16_sdwa v19, v14 dst_sel:DWORD dst_unused:UNUSED_PAD src0_sel:WORD_1
	v_cvt_f32_f16_e32 v18, v14
	v_cvt_f32_f16_sdwa v33, v15 dst_sel:DWORD dst_unused:UNUSED_PAD src0_sel:WORD_1
	v_cvt_f32_f16_e32 v32, v15
	;; [unrolled: 2-line block ×4, first 2 shown]
	s_waitcnt vmcnt(2)
	v_cvt_f32_f16_sdwa v27, v10 dst_sel:DWORD dst_unused:UNUSED_PAD src0_sel:WORD_1
	v_cvt_f32_f16_e32 v26, v10
	v_cvt_f32_f16_sdwa v25, v11 dst_sel:DWORD dst_unused:UNUSED_PAD src0_sel:WORD_1
	v_cvt_f32_f16_e32 v24, v11
	;; [unrolled: 2-line block ×4, first 2 shown]
.LBB789_28:
	s_or_b64 exec, exec, s[2:3]
	s_waitcnt vmcnt(2)
	v_mul_f32_e32 v10, v19, v19
	v_fmac_f32_e32 v10, v18, v18
	v_fmac_f32_e32 v10, v32, v32
	;; [unrolled: 1-line block ×15, first 2 shown]
	s_nop 1
	v_mov_b32_dpp v11, v10 quad_perm:[1,0,3,2] row_mask:0xf bank_mask:0xf
	v_add_f32_e32 v10, v10, v11
	s_nop 1
	v_mov_b32_dpp v11, v10 quad_perm:[2,3,0,1] row_mask:0xf bank_mask:0xf
	v_add_f32_e32 v10, v10, v11
	s_nop 1
	v_mov_b32_dpp v11, v10 row_half_mirror row_mask:0xf bank_mask:0xf
	v_add_f32_e32 v10, v10, v11
	s_nop 1
	v_mov_b32_dpp v11, v10 row_mirror row_mask:0xf bank_mask:0xf
	v_add_f32_e32 v10, v10, v11
	s_nop 1
	v_mov_b32_dpp v11, v10 row_bcast:15 row_mask:0xf bank_mask:0xf
	v_add_f32_e32 v10, v10, v11
	s_nop 1
	v_mov_b32_dpp v11, v10 row_bcast:31 row_mask:0xf bank_mask:0xf
	s_and_saveexec_b64 s[2:3], s[0:1]
	s_cbranch_execz .LBB789_30
; %bb.29:
	v_lshrrev_b32_e32 v0, 4, v0
	v_add_f32_e32 v10, v10, v11
	v_and_b32_e32 v0, 60, v0
	ds_write_b32 v0, v10
.LBB789_30:
	s_or_b64 exec, exec, s[2:3]
	s_waitcnt lgkmcnt(0)
	s_barrier
	ds_read_b32 v0, v34
	s_waitcnt lgkmcnt(0)
	s_nop 0
	v_mov_b32_dpp v10, v0 quad_perm:[1,0,3,2] row_mask:0xf bank_mask:0xf
	v_add_f32_e32 v0, v0, v10
	s_nop 1
	v_mov_b32_dpp v10, v0 quad_perm:[2,3,0,1] row_mask:0xf bank_mask:0xf
	s_and_saveexec_b64 s[0:1], vcc
	s_cbranch_execz .LBB789_12
; %bb.31:
	v_cvt_f32_u32_e32 v11, s20
	v_add_f32_e32 v0, v0, v10
	s_mov_b32 s15, 0x20000
	v_div_scale_f32 v10, s[0:1], v11, v11, v0
	v_rcp_f32_e32 v12, v10
	v_div_scale_f32 v13, vcc, v0, v11, v0
	s_mov_b32 s0, 0x800000
	v_fma_f32 v14, -v10, v12, 1.0
	v_fmac_f32_e32 v12, v14, v12
	v_mul_f32_e32 v14, v13, v12
	v_fma_f32 v15, -v10, v14, v13
	v_fmac_f32_e32 v14, v15, v12
	v_fma_f32 v10, -v10, v14, v13
	v_div_fmas_f32 v10, v10, v12, v14
	v_div_fixup_f32 v0, v10, v11, v0
	v_add_f32_e32 v0, s17, v0
	v_mul_f32_e32 v10, 0x4b800000, v0
	v_cmp_gt_f32_e32 vcc, s0, v0
	v_cndmask_b32_e32 v0, v0, v10, vcc
	v_rsq_f32_e32 v0, v0
	s_mul_hi_i32 s1, s7, s6
	s_mul_i32 s0, s7, s6
	s_lshl_b64 s[0:1], s[0:1], 1
	v_mul_f32_e32 v10, 0x45800000, v0
	v_cndmask_b32_e32 v10, v0, v10, vcc
	v_mov_b32_e32 v11, v10
	;;#ASMSTART
	v_pk_mul_f32 v[12:13], v[18:19], v[10:11]
	;;#ASMEND
	;;#ASMSTART
	v_pk_mul_f32 v[14:15], v[32:33], v[10:11]
	;;#ASMEND
	;; [unrolled: 3-line block ×8, first 2 shown]
	s_waitcnt vmcnt(1)
	v_cvt_f32_f16_sdwa v21, v6 dst_sel:DWORD dst_unused:UNUSED_PAD src0_sel:WORD_1
	v_cvt_f32_f16_e32 v20, v6
	v_cvt_f32_f16_sdwa v29, v7 dst_sel:DWORD dst_unused:UNUSED_PAD src0_sel:WORD_1
	v_cvt_f32_f16_e32 v28, v7
	;; [unrolled: 2-line block ×4, first 2 shown]
	;;#ASMSTART
	v_pk_mul_f32 v[8:9], v[12:13], v[20:21]
	;;#ASMEND
	;;#ASMSTART
	v_pk_mul_f32 v[12:13], v[14:15], v[28:29]
	;;#ASMEND
	;;#ASMSTART
	v_pk_mul_f32 v[6:7], v[16:17], v[6:7]
	;;#ASMEND
	;;#ASMSTART
	v_pk_mul_f32 v[14:15], v[18:19], v[30:31]
	;;#ASMEND
	s_waitcnt vmcnt(0)
	v_cvt_f32_f16_sdwa v17, v2 dst_sel:DWORD dst_unused:UNUSED_PAD src0_sel:WORD_1
	v_cvt_f32_f16_e32 v16, v2
	v_cvt_f32_f16_sdwa v19, v3 dst_sel:DWORD dst_unused:UNUSED_PAD src0_sel:WORD_1
	v_cvt_f32_f16_e32 v18, v3
	;; [unrolled: 2-line block ×4, first 2 shown]
	;;#ASMSTART
	v_pk_mul_f32 v[16:17], v[26:27], v[16:17]
	;;#ASMEND
	;;#ASMSTART
	v_pk_mul_f32 v[18:19], v[24:25], v[18:19]
	;;#ASMEND
	;; [unrolled: 3-line block ×3, first 2 shown]
	v_cvt_f16_f32_e32 v0, v8
	v_cvt_f16_f32_e32 v2, v9
	;; [unrolled: 1-line block ×8, first 2 shown]
	s_add_u32 s12, s28, s0
	s_addc_u32 s0, s29, s1
	s_and_b32 s13, s0, 0xffff
	v_pack_b32_f16 v2, v0, v2
	v_pack_b32_f16 v3, v3, v4
	;; [unrolled: 1-line block ×4, first 2 shown]
	;;#ASMSTART
	v_pk_mul_f32 v[10:11], v[10:11], v[20:21]
	;;#ASMEND
	buffer_store_dwordx4 v[2:5], v1, s[12:15], 0 offen
	v_cvt_f16_f32_e32 v0, v16
	v_cvt_f16_f32_e32 v2, v17
	;; [unrolled: 1-line block ×8, first 2 shown]
	v_pack_b32_f16 v2, v0, v2
	v_pack_b32_f16 v3, v3, v4
	;; [unrolled: 1-line block ×4, first 2 shown]
	;;#ASMSTART
	s_nop 0
	;;#ASMEND
	buffer_store_dwordx4 v[2:5], v1, s[12:15], 16 offen
	;;#ASMSTART
	s_nop 0
	;;#ASMEND
	s_endpgm
	.section	.rodata,"a",@progbits
	.p2align	6, 0x0
	.amdhsa_kernel _ZN5aiter35fused_qk_rmsnorm_group_quant_kernelIDF16_DB8_Li256ELi16ELi8ELb0ELb0ELb0ELb0ELb0ELb0EEEvPT0_PvPT_S6_S6_PKS5_S8_S8_S8_S8_ffiiiiiiiiiiiii
		.amdhsa_group_segment_fixed_size 32
		.amdhsa_private_segment_fixed_size 0
		.amdhsa_kernarg_size 400
		.amdhsa_user_sgpr_count 6
		.amdhsa_user_sgpr_private_segment_buffer 1
		.amdhsa_user_sgpr_dispatch_ptr 0
		.amdhsa_user_sgpr_queue_ptr 0
		.amdhsa_user_sgpr_kernarg_segment_ptr 1
		.amdhsa_user_sgpr_dispatch_id 0
		.amdhsa_user_sgpr_flat_scratch_init 0
		.amdhsa_user_sgpr_kernarg_preload_length 0
		.amdhsa_user_sgpr_kernarg_preload_offset 0
		.amdhsa_user_sgpr_private_segment_size 0
		.amdhsa_uses_dynamic_stack 0
		.amdhsa_system_sgpr_private_segment_wavefront_offset 0
		.amdhsa_system_sgpr_workgroup_id_x 1
		.amdhsa_system_sgpr_workgroup_id_y 1
		.amdhsa_system_sgpr_workgroup_id_z 0
		.amdhsa_system_sgpr_workgroup_info 0
		.amdhsa_system_vgpr_workitem_id 0
		.amdhsa_next_free_vgpr 38
		.amdhsa_next_free_sgpr 32
		.amdhsa_accum_offset 40
		.amdhsa_reserve_vcc 1
		.amdhsa_reserve_flat_scratch 0
		.amdhsa_float_round_mode_32 0
		.amdhsa_float_round_mode_16_64 0
		.amdhsa_float_denorm_mode_32 3
		.amdhsa_float_denorm_mode_16_64 3
		.amdhsa_dx10_clamp 1
		.amdhsa_ieee_mode 1
		.amdhsa_fp16_overflow 0
		.amdhsa_tg_split 0
		.amdhsa_exception_fp_ieee_invalid_op 0
		.amdhsa_exception_fp_denorm_src 0
		.amdhsa_exception_fp_ieee_div_zero 0
		.amdhsa_exception_fp_ieee_overflow 0
		.amdhsa_exception_fp_ieee_underflow 0
		.amdhsa_exception_fp_ieee_inexact 0
		.amdhsa_exception_int_div_zero 0
	.end_amdhsa_kernel
	.section	.text._ZN5aiter35fused_qk_rmsnorm_group_quant_kernelIDF16_DB8_Li256ELi16ELi8ELb0ELb0ELb0ELb0ELb0ELb0EEEvPT0_PvPT_S6_S6_PKS5_S8_S8_S8_S8_ffiiiiiiiiiiiii,"axG",@progbits,_ZN5aiter35fused_qk_rmsnorm_group_quant_kernelIDF16_DB8_Li256ELi16ELi8ELb0ELb0ELb0ELb0ELb0ELb0EEEvPT0_PvPT_S6_S6_PKS5_S8_S8_S8_S8_ffiiiiiiiiiiiii,comdat
.Lfunc_end789:
	.size	_ZN5aiter35fused_qk_rmsnorm_group_quant_kernelIDF16_DB8_Li256ELi16ELi8ELb0ELb0ELb0ELb0ELb0ELb0EEEvPT0_PvPT_S6_S6_PKS5_S8_S8_S8_S8_ffiiiiiiiiiiiii, .Lfunc_end789-_ZN5aiter35fused_qk_rmsnorm_group_quant_kernelIDF16_DB8_Li256ELi16ELi8ELb0ELb0ELb0ELb0ELb0ELb0EEEvPT0_PvPT_S6_S6_PKS5_S8_S8_S8_S8_ffiiiiiiiiiiiii
                                        ; -- End function
	.section	.AMDGPU.csdata,"",@progbits
; Kernel info:
; codeLenInByte = 3428
; NumSgprs: 36
; NumVgprs: 38
; NumAgprs: 0
; TotalNumVgprs: 38
; ScratchSize: 0
; MemoryBound: 0
; FloatMode: 240
; IeeeMode: 1
; LDSByteSize: 32 bytes/workgroup (compile time only)
; SGPRBlocks: 4
; VGPRBlocks: 4
; NumSGPRsForWavesPerEU: 36
; NumVGPRsForWavesPerEU: 38
; AccumOffset: 40
; Occupancy: 8
; WaveLimiterHint : 0
; COMPUTE_PGM_RSRC2:SCRATCH_EN: 0
; COMPUTE_PGM_RSRC2:USER_SGPR: 6
; COMPUTE_PGM_RSRC2:TRAP_HANDLER: 0
; COMPUTE_PGM_RSRC2:TGID_X_EN: 1
; COMPUTE_PGM_RSRC2:TGID_Y_EN: 1
; COMPUTE_PGM_RSRC2:TGID_Z_EN: 0
; COMPUTE_PGM_RSRC2:TIDIG_COMP_CNT: 0
; COMPUTE_PGM_RSRC3_GFX90A:ACCUM_OFFSET: 9
; COMPUTE_PGM_RSRC3_GFX90A:TG_SPLIT: 0
	.section	.text._ZN5aiter35fused_qk_rmsnorm_group_quant_kernelItDB8_Li256ELi16ELi8ELb0ELb0ELb0ELb0ELb0ELb0EEEvPT0_PvPT_S6_S6_PKS5_S8_S8_S8_S8_ffiiiiiiiiiiiii,"axG",@progbits,_ZN5aiter35fused_qk_rmsnorm_group_quant_kernelItDB8_Li256ELi16ELi8ELb0ELb0ELb0ELb0ELb0ELb0EEEvPT0_PvPT_S6_S6_PKS5_S8_S8_S8_S8_ffiiiiiiiiiiiii,comdat
	.protected	_ZN5aiter35fused_qk_rmsnorm_group_quant_kernelItDB8_Li256ELi16ELi8ELb0ELb0ELb0ELb0ELb0ELb0EEEvPT0_PvPT_S6_S6_PKS5_S8_S8_S8_S8_ffiiiiiiiiiiiii ; -- Begin function _ZN5aiter35fused_qk_rmsnorm_group_quant_kernelItDB8_Li256ELi16ELi8ELb0ELb0ELb0ELb0ELb0ELb0EEEvPT0_PvPT_S6_S6_PKS5_S8_S8_S8_S8_ffiiiiiiiiiiiii
	.globl	_ZN5aiter35fused_qk_rmsnorm_group_quant_kernelItDB8_Li256ELi16ELi8ELb0ELb0ELb0ELb0ELb0ELb0EEEvPT0_PvPT_S6_S6_PKS5_S8_S8_S8_S8_ffiiiiiiiiiiiii
	.p2align	8
	.type	_ZN5aiter35fused_qk_rmsnorm_group_quant_kernelItDB8_Li256ELi16ELi8ELb0ELb0ELb0ELb0ELb0ELb0EEEvPT0_PvPT_S6_S6_PKS5_S8_S8_S8_S8_ffiiiiiiiiiiiii,@function
_ZN5aiter35fused_qk_rmsnorm_group_quant_kernelItDB8_Li256ELi16ELi8ELb0ELb0ELb0ELb0ELb0ELb0EEEvPT0_PvPT_S6_S6_PKS5_S8_S8_S8_S8_ffiiiiiiiiiiiii: ; @_ZN5aiter35fused_qk_rmsnorm_group_quant_kernelItDB8_Li256ELi16ELi8ELb0ELb0ELb0ELb0ELb0ELb0EEEvPT0_PvPT_S6_S6_PKS5_S8_S8_S8_S8_ffiiiiiiiiiiiii
; %bb.0:
	s_load_dwordx4 s[16:19], s[4:5], 0x50
	s_waitcnt lgkmcnt(0)
	s_cmp_ge_i32 s6, s18
	s_cbranch_scc1 .LBB790_12
; %bb.1:
	s_load_dwordx2 s[12:13], s[4:5], 0x48
	s_load_dwordx2 s[30:31], s[4:5], 0x30
	s_load_dwordx4 s[20:23], s[4:5], 0x60
	s_cmp_lg_u32 s7, 0
	s_cselect_b64 s[14:15], -1, 0
	s_cmp_eq_u32 s7, 0
	s_cselect_b64 vcc, -1, 0
	s_and_b64 s[0:1], vcc, exec
	s_waitcnt lgkmcnt(0)
	s_cselect_b32 s7, s19, s20
	s_add_i32 s0, s7, 1
	s_lshr_b32 s1, s0, 31
	s_add_i32 s0, s0, s1
	s_lshl_b32 s0, s0, 1
	v_lshlrev_b32_e32 v1, 4, v0
	s_and_b32 s10, s0, -4
	v_cmp_gt_i32_e64 s[2:3], s7, v1
	v_mov_b32_e32 v18, 0
	v_mov_b32_e32 v6, 0
	;; [unrolled: 1-line block ×17, first 2 shown]
	s_and_saveexec_b64 s[0:1], s[2:3]
	s_cbranch_execz .LBB790_3
; %bb.2:
	s_load_dwordx2 s[8:9], s[4:5], 0x28
	s_load_dwordx2 s[26:27], s[4:5], 0x40
	s_and_b64 s[24:25], vcc, exec
	s_cselect_b32 s11, s21, s22
	v_lshlrev_b32_e32 v19, 5, v0
	s_waitcnt lgkmcnt(0)
	s_cselect_b32 s18, s9, s31
	s_cselect_b32 s21, s8, s30
	s_mul_hi_i32 s9, s11, s6
	s_mul_i32 s8, s11, s6
	s_lshl_b64 s[8:9], s[8:9], 1
	s_add_u32 s24, s21, s8
	s_addc_u32 s18, s18, s9
	s_and_b64 s[8:9], vcc, exec
	s_mov_b32 s11, 0x20000
	s_cselect_b32 s8, s26, s12
	s_cselect_b32 s9, s27, s13
	s_and_b32 s25, s18, 0xffff
	s_mov_b32 s26, s10
	s_mov_b32 s27, s11
	s_and_b32 s9, s9, 0xffff
	buffer_load_dwordx4 v[14:17], v19, s[24:27], 0 offen
	buffer_load_dwordx4 v[10:13], v19, s[24:27], 16 offen
	;; [unrolled: 1-line block ×4, first 2 shown]
.LBB790_3:
	s_or_b64 exec, exec, s[0:1]
	v_mov_b32_e32 v19, 0
	v_mov_b32_e32 v32, 0
	;; [unrolled: 1-line block ×15, first 2 shown]
	s_and_saveexec_b64 s[0:1], s[2:3]
	s_cbranch_execz .LBB790_5
; %bb.4:
	s_waitcnt vmcnt(3)
	v_cvt_f32_u32_sdwa v18, v14 dst_sel:DWORD dst_unused:UNUSED_PAD src0_sel:WORD_0
	v_cvt_f32_u32_sdwa v19, v14 dst_sel:DWORD dst_unused:UNUSED_PAD src0_sel:WORD_1
	v_cvt_f32_u32_sdwa v32, v15 dst_sel:DWORD dst_unused:UNUSED_PAD src0_sel:WORD_0
	v_cvt_f32_u32_sdwa v33, v15 dst_sel:DWORD dst_unused:UNUSED_PAD src0_sel:WORD_1
	;; [unrolled: 2-line block ×4, first 2 shown]
	s_waitcnt vmcnt(2)
	v_cvt_f32_u32_sdwa v30, v10 dst_sel:DWORD dst_unused:UNUSED_PAD src0_sel:WORD_0
	v_cvt_f32_u32_sdwa v31, v10 dst_sel:DWORD dst_unused:UNUSED_PAD src0_sel:WORD_1
	v_cvt_f32_u32_sdwa v28, v11 dst_sel:DWORD dst_unused:UNUSED_PAD src0_sel:WORD_0
	v_cvt_f32_u32_sdwa v29, v11 dst_sel:DWORD dst_unused:UNUSED_PAD src0_sel:WORD_1
	;; [unrolled: 2-line block ×4, first 2 shown]
.LBB790_5:
	s_or_b64 exec, exec, s[0:1]
	s_waitcnt vmcnt(2)
	v_mul_f32_e32 v10, v19, v19
	v_fmac_f32_e32 v10, v18, v18
	v_fmac_f32_e32 v10, v32, v32
	;; [unrolled: 1-line block ×15, first 2 shown]
	v_and_b32_e32 v12, 63, v0
	v_cmp_eq_u32_e64 s[0:1], 63, v12
	v_mov_b32_dpp v11, v10 quad_perm:[1,0,3,2] row_mask:0xf bank_mask:0xf
	v_add_f32_e32 v10, v10, v11
	s_nop 1
	v_mov_b32_dpp v11, v10 quad_perm:[2,3,0,1] row_mask:0xf bank_mask:0xf
	v_add_f32_e32 v10, v10, v11
	s_nop 1
	v_mov_b32_dpp v11, v10 row_half_mirror row_mask:0xf bank_mask:0xf
	v_add_f32_e32 v10, v10, v11
	s_nop 1
	v_mov_b32_dpp v11, v10 row_mirror row_mask:0xf bank_mask:0xf
	v_add_f32_e32 v10, v10, v11
	s_nop 1
	v_mov_b32_dpp v11, v10 row_bcast:15 row_mask:0xf bank_mask:0xf
	v_add_f32_e32 v10, v10, v11
	s_nop 1
	v_mov_b32_dpp v11, v10 row_bcast:31 row_mask:0xf bank_mask:0xf
	s_and_saveexec_b64 s[8:9], s[0:1]
	s_cbranch_execz .LBB790_7
; %bb.6:
	v_add_f32_e32 v10, v10, v11
	v_lshrrev_b32_e32 v11, 4, v0
	v_and_b32_e32 v11, 60, v11
	ds_write_b32 v11, v10 offset:16
.LBB790_7:
	s_or_b64 exec, exec, s[8:9]
	v_and_b32_e32 v10, 3, v0
	v_lshlrev_b32_e32 v34, 2, v10
	s_waitcnt lgkmcnt(0)
	s_barrier
	ds_read_b32 v10, v34 offset:16
	s_load_dwordx2 s[28:29], s[4:5], 0x18
	s_waitcnt lgkmcnt(0)
	v_mov_b32_dpp v11, v10 quad_perm:[1,0,3,2] row_mask:0xf bank_mask:0xf
	v_add_f32_e32 v10, v10, v11
	s_nop 1
	v_mov_b32_dpp v11, v10 quad_perm:[2,3,0,1] row_mask:0xf bank_mask:0xf
	s_and_saveexec_b64 s[8:9], s[2:3]
	s_cbranch_execz .LBB790_9
; %bb.8:
	v_cvt_f32_u32_e32 v12, s7
	v_add_f32_e32 v10, v10, v11
	v_mov_b32_e32 v14, s17
	v_mov_b32_e32 v15, s16
	v_div_scale_f32 v11, s[24:25], v12, v12, v10
	v_rcp_f32_e32 v13, v11
	v_cndmask_b32_e32 v14, v14, v15, vcc
	s_mov_b32 s7, 0x800000
	s_waitcnt vmcnt(1)
	v_cvt_f32_u32_sdwa v37, v9 dst_sel:DWORD dst_unused:UNUSED_PAD src0_sel:WORD_1
	v_fma_f32 v15, -v11, v13, 1.0
	v_fmac_f32_e32 v13, v15, v13
	v_div_scale_f32 v15, vcc, v10, v12, v10
	v_mul_f32_e32 v16, v15, v13
	v_fma_f32 v17, -v11, v16, v15
	v_fmac_f32_e32 v16, v17, v13
	v_fma_f32 v11, -v11, v16, v15
	v_div_fmas_f32 v11, v11, v13, v16
	v_div_fixup_f32 v10, v11, v12, v10
	v_add_f32_e32 v10, v14, v10
	v_mul_f32_e32 v11, 0x4b800000, v10
	v_cmp_gt_f32_e32 vcc, s7, v10
	v_cndmask_b32_e32 v10, v10, v11, vcc
	v_rsq_f32_e32 v10, v10
	v_cvt_f32_u32_sdwa v36, v9 dst_sel:DWORD dst_unused:UNUSED_PAD src0_sel:WORD_0
	s_waitcnt vmcnt(0)
	v_cvt_f32_u32_sdwa v9, v3 dst_sel:DWORD dst_unused:UNUSED_PAD src0_sel:WORD_1
	v_mul_f32_e32 v11, 0x45800000, v10
	v_cndmask_b32_e32 v10, v10, v11, vcc
	v_mov_b32_e32 v11, v10
	;;#ASMSTART
	v_pk_mul_f32 v[12:13], v[18:19], v[10:11]
	;;#ASMEND
	;;#ASMSTART
	v_pk_mul_f32 v[14:15], v[32:33], v[10:11]
	;;#ASMEND
	;; [unrolled: 3-line block ×8, first 2 shown]
	v_cvt_f32_u32_sdwa v19, v6 dst_sel:DWORD dst_unused:UNUSED_PAD src0_sel:WORD_1
	v_cvt_f32_u32_sdwa v18, v6 dst_sel:DWORD dst_unused:UNUSED_PAD src0_sel:WORD_0
	v_cvt_f32_u32_sdwa v21, v7 dst_sel:DWORD dst_unused:UNUSED_PAD src0_sel:WORD_1
	v_cvt_f32_u32_sdwa v20, v7 dst_sel:DWORD dst_unused:UNUSED_PAD src0_sel:WORD_0
	;; [unrolled: 2-line block ×3, first 2 shown]
	;;#ASMSTART
	v_pk_mul_f32 v[18:19], v[12:13], v[18:19]
	;;#ASMEND
	;;#ASMSTART
	v_pk_mul_f32 v[32:33], v[14:15], v[20:21]
	;;#ASMEND
	;; [unrolled: 3-line block ×4, first 2 shown]
	v_cvt_f32_u32_sdwa v7, v2 dst_sel:DWORD dst_unused:UNUSED_PAD src0_sel:WORD_1
	v_cvt_f32_u32_sdwa v6, v2 dst_sel:DWORD dst_unused:UNUSED_PAD src0_sel:WORD_0
	v_cvt_f32_u32_sdwa v8, v3 dst_sel:DWORD dst_unused:UNUSED_PAD src0_sel:WORD_0
	v_cvt_f32_u32_sdwa v3, v4 dst_sel:DWORD dst_unused:UNUSED_PAD src0_sel:WORD_1
	v_cvt_f32_u32_sdwa v2, v4 dst_sel:DWORD dst_unused:UNUSED_PAD src0_sel:WORD_0
	v_cvt_f32_u32_sdwa v13, v5 dst_sel:DWORD dst_unused:UNUSED_PAD src0_sel:WORD_1
	v_cvt_f32_u32_sdwa v12, v5 dst_sel:DWORD dst_unused:UNUSED_PAD src0_sel:WORD_0
	;;#ASMSTART
	v_pk_mul_f32 v[30:31], v[30:31], v[6:7]
	;;#ASMEND
	;;#ASMSTART
	v_pk_mul_f32 v[28:29], v[28:29], v[8:9]
	;;#ASMEND
	;; [unrolled: 3-line block ×4, first 2 shown]
.LBB790_9:
	s_or_b64 exec, exec, s[8:9]
	s_load_dword s7, s[4:5], 0x80
	s_mov_b64 s[8:9], -1
	s_and_b64 vcc, exec, s[14:15]
	s_cbranch_vccnz .LBB790_13
; %bb.10:
	s_andn2_b64 vcc, exec, s[8:9]
	s_cbranch_vccz .LBB790_16
.LBB790_11:
	s_cmp_lt_i32 s20, 1
	s_cbranch_scc0 .LBB790_23
.LBB790_12:
	s_endpgm
.LBB790_13:
	s_and_saveexec_b64 s[14:15], s[2:3]
	s_cbranch_execz .LBB790_15
; %bb.14:
	s_waitcnt lgkmcnt(0)
	s_mul_hi_i32 s9, s7, s6
	s_mul_i32 s8, s7, s6
	s_lshl_b64 s[8:9], s[8:9], 1
	s_add_u32 s8, s28, s8
	s_addc_u32 s9, s29, s9
	s_mov_b32 s16, 0x7060302
	s_and_b32 s9, s9, 0xffff
	s_mov_b32 s11, 0x20000
	s_waitcnt vmcnt(0)
	v_perm_b32 v5, v25, v24, s16
	v_perm_b32 v4, v27, v26, s16
	;; [unrolled: 1-line block ×4, first 2 shown]
	v_lshlrev_b32_e32 v6, 5, v0
	buffer_store_dwordx4 v[2:5], v6, s[8:11], 0 offen
	;;#ASMSTART
	s_nop 0
	;;#ASMEND
	s_nop 0
	v_perm_b32 v5, v21, v20, s16
	v_perm_b32 v4, v23, v22, s16
	;; [unrolled: 1-line block ×4, first 2 shown]
	buffer_store_dwordx4 v[2:5], v6, s[8:11], 16 offen
	;;#ASMSTART
	s_nop 0
	;;#ASMEND
.LBB790_15:
	s_or_b64 exec, exec, s[14:15]
	s_cbranch_execnz .LBB790_11
.LBB790_16:
	s_waitcnt vmcnt(0)
	v_mov_b32_e32 v2, 0
	s_and_saveexec_b64 s[8:9], s[2:3]
	s_cbranch_execz .LBB790_18
; %bb.17:
	v_and_b32_e32 v2, 0x7fffffff, v18
	v_and_b32_e32 v3, 0x7fffffff, v19
	v_mov_b32_e32 v4, 0x2edbe6ff
	;;#ASMSTART
	v_max3_f32 v2, v4, v2, v3

	;;#ASMEND
	v_and_b32_e32 v3, 0x7fffffff, v32
	v_and_b32_e32 v4, 0x7fffffff, v33
	;;#ASMSTART
	v_max3_f32 v2, v2, v3, v4

	;;#ASMEND
	v_and_b32_e32 v3, 0x7fffffff, v26
	v_and_b32_e32 v4, 0x7fffffff, v27
	;; [unrolled: 6-line block ×7, first 2 shown]
	;;#ASMSTART
	v_max3_f32 v2, v2, v3, v4

	;;#ASMEND
.LBB790_18:
	s_or_b64 exec, exec, s[8:9]
	s_load_dwordx4 s[24:27], s[4:5], 0x70
	;;#ASMSTART
	v_max_f32 v3, v2, v2 quad_perm:[1,0,3,2] row_mask:0xf bank_mask:0xf bound_ctrl:1
	;;#ASMEND
	;;#ASMSTART
	v_max_f32 v2, v3, v3 quad_perm:[2,3,0,1] row_mask:0xf bank_mask:0xf bound_ctrl:1
	;;#ASMEND
	;;#ASMSTART
	v_max_f32 v3, v2, v2 row_half_mirror row_mask:0xf bank_mask:0xf bound_ctrl:1
	;;#ASMEND
	v_mul_f32_e32 v2, 0x3b124925, v3
	v_and_b32_e32 v3, 7, v0
	v_cmp_eq_u32_e32 vcc, 0, v3
	v_cmp_gt_i32_e64 s[8:9], s19, v1
	s_and_b64 s[10:11], vcc, s[8:9]
	s_and_saveexec_b64 s[8:9], s[10:11]
	s_cbranch_execz .LBB790_20
; %bb.19:
	s_load_dwordx2 s[10:11], s[4:5], 0x8
	s_waitcnt lgkmcnt(0)
	s_mul_hi_i32 s15, s25, s6
	s_mul_i32 s14, s25, s6
	v_lshrrev_b32_e32 v3, 3, v0
	s_lshl_b64 s[14:15], s[14:15], 2
	v_mad_i64_i32 v[4:5], s[26:27], s26, v3, 0
	s_add_u32 s10, s10, s14
	s_addc_u32 s11, s11, s15
	v_lshlrev_b64 v[4:5], 2, v[4:5]
	v_mov_b32_e32 v3, s11
	v_add_co_u32_e32 v4, vcc, s10, v4
	v_addc_co_u32_e32 v5, vcc, v3, v5, vcc
	global_store_dword v[4:5], v2, off
.LBB790_20:
	s_or_b64 exec, exec, s[8:9]
	;;#ASMSTART
	v_rcp_f32 v2, v2
	;;#ASMEND
	s_and_saveexec_b64 s[14:15], s[2:3]
	s_cbranch_execz .LBB790_22
; %bb.21:
	s_load_dwordx2 s[2:3], s[4:5], 0x0
	s_waitcnt lgkmcnt(0)
	s_mul_i32 s8, s24, s6
	s_mul_hi_i32 s9, s24, s6
	v_mov_b32_e32 v3, v2
	;;#ASMSTART
	v_pk_mul_f32 v[4:5], v[18:19], v[2:3]
	;;#ASMEND
	s_add_u32 s8, s2, s8
	s_addc_u32 s2, s3, s9
	s_add_i32 s3, s19, 3
	s_ashr_i32 s10, s3, 31
	v_mov_b32_e32 v10, 0xc3e00000
	v_mov_b32_e32 v11, 0x43e00000
	;;#ASMSTART
	v_med3_f32 v4, v4, v10, v11
v_med3_f32 v5, v5, v10, v11
v_cvt_pk_fp8_f32 v6, v4, v5
	;;#ASMEND
	s_and_b32 s9, s2, 0xffff
	s_lshr_b32 s2, s10, 30
	;;#ASMSTART
	v_pk_mul_f32 v[4:5], v[32:33], v[2:3]
	;;#ASMEND
	s_add_i32 s3, s3, s2
	;;#ASMSTART
	v_med3_f32 v4, v4, v10, v11
v_med3_f32 v5, v5, v10, v11
v_cvt_pk_fp8_f32 v7, v4, v5
	;;#ASMEND
	s_mov_b32 s2, 0x5040100
	v_perm_b32 v4, v7, v6, s2
	s_mov_b32 s2, 0x1060504
	v_perm_b32 v4, v4, v7, s2
	;;#ASMSTART
	v_pk_mul_f32 v[6:7], v[26:27], v[2:3]
	;;#ASMEND
	v_mov_b32_e32 v5, v7
	;;#ASMSTART
	v_med3_f32 v6, v6, v10, v11
v_med3_f32 v5, v5, v10, v11
v_cvt_pk_fp8_f32 v8, v6, v5
	;;#ASMEND
	;;#ASMSTART
	v_pk_mul_f32 v[6:7], v[24:25], v[2:3]
	;;#ASMEND
	v_mov_b32_e32 v5, v7
	;;#ASMSTART
	v_med3_f32 v6, v6, v10, v11
v_med3_f32 v5, v5, v10, v11
v_cvt_pk_fp8_f32 v7, v6, v5
	;;#ASMEND
	s_mov_b32 s2, 0x1000504
	v_perm_b32 v5, v8, v7, s2
	;;#ASMSTART
	v_pk_mul_f32 v[6:7], v[30:31], v[2:3]
	;;#ASMEND
	;;#ASMSTART
	v_med3_f32 v6, v6, v10, v11
v_med3_f32 v7, v7, v10, v11
v_cvt_pk_fp8_f32 v8, v6, v7
	;;#ASMEND
	;;#ASMSTART
	v_pk_mul_f32 v[6:7], v[28:29], v[2:3]
	;;#ASMEND
	;;#ASMSTART
	v_med3_f32 v6, v6, v10, v11
v_med3_f32 v7, v7, v10, v11
v_cvt_pk_fp8_f32 v9, v6, v7
	;;#ASMEND
	v_perm_b32 v6, v8, v9, s2
	;;#ASMSTART
	v_pk_mul_f32 v[8:9], v[22:23], v[2:3]
	;;#ASMEND
	v_mov_b32_e32 v7, v9
	;;#ASMSTART
	v_med3_f32 v8, v8, v10, v11
v_med3_f32 v7, v7, v10, v11
v_cvt_pk_fp8_f32 v9, v8, v7
	;;#ASMEND
	;;#ASMSTART
	v_pk_mul_f32 v[2:3], v[20:21], v[2:3]
	;;#ASMEND
	;;#ASMSTART
	v_med3_f32 v2, v2, v10, v11
v_med3_f32 v3, v3, v10, v11
v_cvt_pk_fp8_f32 v7, v2, v3
	;;#ASMEND
	s_and_b32 s10, s3, -4
	s_mov_b32 s11, 0x20000
	v_perm_b32 v7, v9, v7, s2
	buffer_store_dwordx4 v[4:7], v1, s[8:11], 0 offen
	;;#ASMSTART
	s_nop 0
	;;#ASMEND
.LBB790_22:
	s_or_b64 exec, exec, s[14:15]
	s_cmp_lt_i32 s20, 1
	s_cbranch_scc1 .LBB790_12
.LBB790_23:
	s_load_dword s2, s[4:5], 0x94
	s_waitcnt lgkmcnt(0)
	s_cmp_lg_u32 s2, 1
	s_cbranch_scc1 .LBB790_12
; %bb.24:
	s_lshl_b32 s2, s20, 1
	s_add_i32 s2, s2, 2
	v_cmp_gt_u32_e32 vcc, s20, v1
	s_and_b32 s14, s2, -4
	v_mov_b32_e32 v18, 0
	v_lshlrev_b32_e32 v1, 5, v0
	v_mov_b32_e32 v14, 0
	v_mov_b32_e32 v15, 0
	;; [unrolled: 1-line block ×8, first 2 shown]
	s_waitcnt vmcnt(1)
	v_mov_b32_e32 v6, 0
	v_mov_b32_e32 v7, 0
	;; [unrolled: 1-line block ×4, first 2 shown]
	s_waitcnt vmcnt(0)
	v_mov_b32_e32 v2, 0
	v_mov_b32_e32 v3, 0
	;; [unrolled: 1-line block ×4, first 2 shown]
	s_barrier
	s_and_saveexec_b64 s[2:3], vcc
	s_cbranch_execz .LBB790_26
; %bb.25:
	s_mul_hi_i32 s5, s22, s6
	s_mul_i32 s4, s22, s6
	s_and_b32 s13, s13, 0xffff
	s_lshl_b64 s[4:5], s[4:5], 1
	s_add_u32 s8, s30, s4
	s_mov_b32 s15, 0x20000
	s_addc_u32 s4, s31, s5
	s_and_b32 s9, s4, 0xffff
	s_mov_b32 s10, s14
	s_mov_b32 s11, s15
	buffer_load_dwordx4 v[14:17], v1, s[8:11], 0 offen
	buffer_load_dwordx4 v[10:13], v1, s[8:11], 16 offen
	;; [unrolled: 1-line block ×4, first 2 shown]
.LBB790_26:
	s_or_b64 exec, exec, s[2:3]
	v_mov_b32_e32 v19, 0
	v_mov_b32_e32 v32, 0
	;; [unrolled: 1-line block ×15, first 2 shown]
	s_and_saveexec_b64 s[2:3], vcc
	s_cbranch_execz .LBB790_28
; %bb.27:
	s_waitcnt vmcnt(3)
	v_cvt_f32_u32_sdwa v18, v14 dst_sel:DWORD dst_unused:UNUSED_PAD src0_sel:WORD_0
	v_cvt_f32_u32_sdwa v19, v14 dst_sel:DWORD dst_unused:UNUSED_PAD src0_sel:WORD_1
	v_cvt_f32_u32_sdwa v32, v15 dst_sel:DWORD dst_unused:UNUSED_PAD src0_sel:WORD_0
	v_cvt_f32_u32_sdwa v33, v15 dst_sel:DWORD dst_unused:UNUSED_PAD src0_sel:WORD_1
	;; [unrolled: 2-line block ×4, first 2 shown]
	s_waitcnt vmcnt(2)
	v_cvt_f32_u32_sdwa v26, v10 dst_sel:DWORD dst_unused:UNUSED_PAD src0_sel:WORD_0
	v_cvt_f32_u32_sdwa v27, v10 dst_sel:DWORD dst_unused:UNUSED_PAD src0_sel:WORD_1
	v_cvt_f32_u32_sdwa v24, v11 dst_sel:DWORD dst_unused:UNUSED_PAD src0_sel:WORD_0
	v_cvt_f32_u32_sdwa v25, v11 dst_sel:DWORD dst_unused:UNUSED_PAD src0_sel:WORD_1
	v_cvt_f32_u32_sdwa v22, v12 dst_sel:DWORD dst_unused:UNUSED_PAD src0_sel:WORD_0
	v_cvt_f32_u32_sdwa v23, v12 dst_sel:DWORD dst_unused:UNUSED_PAD src0_sel:WORD_1
	v_cvt_f32_u32_sdwa v20, v13 dst_sel:DWORD dst_unused:UNUSED_PAD src0_sel:WORD_0
	v_cvt_f32_u32_sdwa v21, v13 dst_sel:DWORD dst_unused:UNUSED_PAD src0_sel:WORD_1
.LBB790_28:
	s_or_b64 exec, exec, s[2:3]
	s_waitcnt vmcnt(2)
	v_mul_f32_e32 v10, v19, v19
	v_fmac_f32_e32 v10, v18, v18
	v_fmac_f32_e32 v10, v32, v32
	;; [unrolled: 1-line block ×15, first 2 shown]
	s_nop 1
	v_mov_b32_dpp v11, v10 quad_perm:[1,0,3,2] row_mask:0xf bank_mask:0xf
	v_add_f32_e32 v10, v10, v11
	s_nop 1
	v_mov_b32_dpp v11, v10 quad_perm:[2,3,0,1] row_mask:0xf bank_mask:0xf
	v_add_f32_e32 v10, v10, v11
	s_nop 1
	v_mov_b32_dpp v11, v10 row_half_mirror row_mask:0xf bank_mask:0xf
	v_add_f32_e32 v10, v10, v11
	s_nop 1
	v_mov_b32_dpp v11, v10 row_mirror row_mask:0xf bank_mask:0xf
	v_add_f32_e32 v10, v10, v11
	s_nop 1
	v_mov_b32_dpp v11, v10 row_bcast:15 row_mask:0xf bank_mask:0xf
	v_add_f32_e32 v10, v10, v11
	s_nop 1
	v_mov_b32_dpp v11, v10 row_bcast:31 row_mask:0xf bank_mask:0xf
	s_and_saveexec_b64 s[2:3], s[0:1]
	s_cbranch_execz .LBB790_30
; %bb.29:
	v_lshrrev_b32_e32 v0, 4, v0
	v_add_f32_e32 v10, v10, v11
	v_and_b32_e32 v0, 60, v0
	ds_write_b32 v0, v10
.LBB790_30:
	s_or_b64 exec, exec, s[2:3]
	s_waitcnt lgkmcnt(0)
	s_barrier
	ds_read_b32 v0, v34
	s_waitcnt lgkmcnt(0)
	s_nop 0
	v_mov_b32_dpp v10, v0 quad_perm:[1,0,3,2] row_mask:0xf bank_mask:0xf
	v_add_f32_e32 v0, v0, v10
	s_nop 1
	v_mov_b32_dpp v10, v0 quad_perm:[2,3,0,1] row_mask:0xf bank_mask:0xf
	s_and_saveexec_b64 s[0:1], vcc
	s_cbranch_execz .LBB790_12
; %bb.31:
	v_cvt_f32_u32_e32 v11, s20
	v_add_f32_e32 v0, v0, v10
	s_mov_b32 s15, 0x20000
	v_div_scale_f32 v10, s[0:1], v11, v11, v0
	v_rcp_f32_e32 v12, v10
	v_div_scale_f32 v13, vcc, v0, v11, v0
	s_mov_b32 s0, 0x800000
	v_fma_f32 v14, -v10, v12, 1.0
	v_fmac_f32_e32 v12, v14, v12
	v_mul_f32_e32 v14, v13, v12
	v_fma_f32 v15, -v10, v14, v13
	v_fmac_f32_e32 v14, v15, v12
	v_fma_f32 v10, -v10, v14, v13
	v_div_fmas_f32 v10, v10, v12, v14
	v_div_fixup_f32 v0, v10, v11, v0
	v_add_f32_e32 v0, s17, v0
	v_mul_f32_e32 v10, 0x4b800000, v0
	v_cmp_gt_f32_e32 vcc, s0, v0
	v_cndmask_b32_e32 v0, v0, v10, vcc
	v_rsq_f32_e32 v0, v0
	s_mul_hi_i32 s1, s7, s6
	s_mul_i32 s0, s7, s6
	s_lshl_b64 s[0:1], s[0:1], 1
	v_mul_f32_e32 v10, 0x45800000, v0
	v_cndmask_b32_e32 v10, v0, v10, vcc
	v_mov_b32_e32 v11, v10
	s_add_u32 s12, s28, s0
	;;#ASMSTART
	v_pk_mul_f32 v[12:13], v[18:19], v[10:11]
	;;#ASMEND
	;;#ASMSTART
	v_pk_mul_f32 v[14:15], v[32:33], v[10:11]
	;;#ASMEND
	;; [unrolled: 3-line block ×8, first 2 shown]
	s_waitcnt vmcnt(1)
	v_cvt_f32_u32_sdwa v21, v6 dst_sel:DWORD dst_unused:UNUSED_PAD src0_sel:WORD_1
	v_cvt_f32_u32_sdwa v20, v6 dst_sel:DWORD dst_unused:UNUSED_PAD src0_sel:WORD_0
	v_cvt_f32_u32_sdwa v29, v7 dst_sel:DWORD dst_unused:UNUSED_PAD src0_sel:WORD_1
	v_cvt_f32_u32_sdwa v28, v7 dst_sel:DWORD dst_unused:UNUSED_PAD src0_sel:WORD_0
	;; [unrolled: 2-line block ×3, first 2 shown]
	s_addc_u32 s0, s29, s1
	v_cvt_f32_u32_sdwa v31, v9 dst_sel:DWORD dst_unused:UNUSED_PAD src0_sel:WORD_1
	v_cvt_f32_u32_sdwa v30, v9 dst_sel:DWORD dst_unused:UNUSED_PAD src0_sel:WORD_0
	;;#ASMSTART
	v_pk_mul_f32 v[8:9], v[12:13], v[20:21]
	;;#ASMEND
	;;#ASMSTART
	v_pk_mul_f32 v[12:13], v[14:15], v[28:29]
	;;#ASMEND
	;; [unrolled: 3-line block ×4, first 2 shown]
	s_waitcnt vmcnt(0)
	v_cvt_f32_u32_sdwa v17, v2 dst_sel:DWORD dst_unused:UNUSED_PAD src0_sel:WORD_1
	v_cvt_f32_u32_sdwa v16, v2 dst_sel:DWORD dst_unused:UNUSED_PAD src0_sel:WORD_0
	v_cvt_f32_u32_sdwa v19, v3 dst_sel:DWORD dst_unused:UNUSED_PAD src0_sel:WORD_1
	v_cvt_f32_u32_sdwa v18, v3 dst_sel:DWORD dst_unused:UNUSED_PAD src0_sel:WORD_0
	;; [unrolled: 2-line block ×3, first 2 shown]
	s_and_b32 s13, s0, 0xffff
	s_mov_b32 s0, 0x7060302
	v_cvt_f32_u32_sdwa v21, v5 dst_sel:DWORD dst_unused:UNUSED_PAD src0_sel:WORD_1
	v_cvt_f32_u32_sdwa v20, v5 dst_sel:DWORD dst_unused:UNUSED_PAD src0_sel:WORD_0
	;;#ASMSTART
	v_pk_mul_f32 v[16:17], v[26:27], v[16:17]
	;;#ASMEND
	;;#ASMSTART
	v_pk_mul_f32 v[18:19], v[24:25], v[18:19]
	;;#ASMEND
	;; [unrolled: 3-line block ×3, first 2 shown]
	v_perm_b32 v2, v9, v8, s0
	v_perm_b32 v3, v13, v12, s0
	;; [unrolled: 1-line block ×4, first 2 shown]
	;;#ASMSTART
	v_pk_mul_f32 v[10:11], v[10:11], v[20:21]
	;;#ASMEND
	buffer_store_dwordx4 v[2:5], v1, s[12:15], 0 offen
	;;#ASMSTART
	s_nop 0
	;;#ASMEND
	s_nop 0
	v_perm_b32 v2, v17, v16, s0
	v_perm_b32 v3, v19, v18, s0
	;; [unrolled: 1-line block ×4, first 2 shown]
	buffer_store_dwordx4 v[2:5], v1, s[12:15], 16 offen
	;;#ASMSTART
	s_nop 0
	;;#ASMEND
	s_endpgm
	.section	.rodata,"a",@progbits
	.p2align	6, 0x0
	.amdhsa_kernel _ZN5aiter35fused_qk_rmsnorm_group_quant_kernelItDB8_Li256ELi16ELi8ELb0ELb0ELb0ELb0ELb0ELb0EEEvPT0_PvPT_S6_S6_PKS5_S8_S8_S8_S8_ffiiiiiiiiiiiii
		.amdhsa_group_segment_fixed_size 32
		.amdhsa_private_segment_fixed_size 0
		.amdhsa_kernarg_size 400
		.amdhsa_user_sgpr_count 6
		.amdhsa_user_sgpr_private_segment_buffer 1
		.amdhsa_user_sgpr_dispatch_ptr 0
		.amdhsa_user_sgpr_queue_ptr 0
		.amdhsa_user_sgpr_kernarg_segment_ptr 1
		.amdhsa_user_sgpr_dispatch_id 0
		.amdhsa_user_sgpr_flat_scratch_init 0
		.amdhsa_user_sgpr_kernarg_preload_length 0
		.amdhsa_user_sgpr_kernarg_preload_offset 0
		.amdhsa_user_sgpr_private_segment_size 0
		.amdhsa_uses_dynamic_stack 0
		.amdhsa_system_sgpr_private_segment_wavefront_offset 0
		.amdhsa_system_sgpr_workgroup_id_x 1
		.amdhsa_system_sgpr_workgroup_id_y 1
		.amdhsa_system_sgpr_workgroup_id_z 0
		.amdhsa_system_sgpr_workgroup_info 0
		.amdhsa_system_vgpr_workitem_id 0
		.amdhsa_next_free_vgpr 38
		.amdhsa_next_free_sgpr 32
		.amdhsa_accum_offset 40
		.amdhsa_reserve_vcc 1
		.amdhsa_reserve_flat_scratch 0
		.amdhsa_float_round_mode_32 0
		.amdhsa_float_round_mode_16_64 0
		.amdhsa_float_denorm_mode_32 3
		.amdhsa_float_denorm_mode_16_64 3
		.amdhsa_dx10_clamp 1
		.amdhsa_ieee_mode 1
		.amdhsa_fp16_overflow 0
		.amdhsa_tg_split 0
		.amdhsa_exception_fp_ieee_invalid_op 0
		.amdhsa_exception_fp_denorm_src 0
		.amdhsa_exception_fp_ieee_div_zero 0
		.amdhsa_exception_fp_ieee_overflow 0
		.amdhsa_exception_fp_ieee_underflow 0
		.amdhsa_exception_fp_ieee_inexact 0
		.amdhsa_exception_int_div_zero 0
	.end_amdhsa_kernel
	.section	.text._ZN5aiter35fused_qk_rmsnorm_group_quant_kernelItDB8_Li256ELi16ELi8ELb0ELb0ELb0ELb0ELb0ELb0EEEvPT0_PvPT_S6_S6_PKS5_S8_S8_S8_S8_ffiiiiiiiiiiiii,"axG",@progbits,_ZN5aiter35fused_qk_rmsnorm_group_quant_kernelItDB8_Li256ELi16ELi8ELb0ELb0ELb0ELb0ELb0ELb0EEEvPT0_PvPT_S6_S6_PKS5_S8_S8_S8_S8_ffiiiiiiiiiiiii,comdat
.Lfunc_end790:
	.size	_ZN5aiter35fused_qk_rmsnorm_group_quant_kernelItDB8_Li256ELi16ELi8ELb0ELb0ELb0ELb0ELb0ELb0EEEvPT0_PvPT_S6_S6_PKS5_S8_S8_S8_S8_ffiiiiiiiiiiiii, .Lfunc_end790-_ZN5aiter35fused_qk_rmsnorm_group_quant_kernelItDB8_Li256ELi16ELi8ELb0ELb0ELb0ELb0ELb0ELb0EEEvPT0_PvPT_S6_S6_PKS5_S8_S8_S8_S8_ffiiiiiiiiiiiii
                                        ; -- End function
	.section	.AMDGPU.csdata,"",@progbits
; Kernel info:
; codeLenInByte = 3452
; NumSgprs: 36
; NumVgprs: 38
; NumAgprs: 0
; TotalNumVgprs: 38
; ScratchSize: 0
; MemoryBound: 0
; FloatMode: 240
; IeeeMode: 1
; LDSByteSize: 32 bytes/workgroup (compile time only)
; SGPRBlocks: 4
; VGPRBlocks: 4
; NumSGPRsForWavesPerEU: 36
; NumVGPRsForWavesPerEU: 38
; AccumOffset: 40
; Occupancy: 8
; WaveLimiterHint : 0
; COMPUTE_PGM_RSRC2:SCRATCH_EN: 0
; COMPUTE_PGM_RSRC2:USER_SGPR: 6
; COMPUTE_PGM_RSRC2:TRAP_HANDLER: 0
; COMPUTE_PGM_RSRC2:TGID_X_EN: 1
; COMPUTE_PGM_RSRC2:TGID_Y_EN: 1
; COMPUTE_PGM_RSRC2:TGID_Z_EN: 0
; COMPUTE_PGM_RSRC2:TIDIG_COMP_CNT: 0
; COMPUTE_PGM_RSRC3_GFX90A:ACCUM_OFFSET: 9
; COMPUTE_PGM_RSRC3_GFX90A:TG_SPLIT: 0
	.section	.text._ZN5aiter35fused_qk_rmsnorm_group_quant_kernelIDF16_N4opus5fp4_tELi256ELi16ELi8ELb0ELb0ELb0ELb0ELb0ELb0EEEvPT0_PvPT_S7_S7_PKS6_S9_S9_S9_S9_ffiiiiiiiiiiiii,"axG",@progbits,_ZN5aiter35fused_qk_rmsnorm_group_quant_kernelIDF16_N4opus5fp4_tELi256ELi16ELi8ELb0ELb0ELb0ELb0ELb0ELb0EEEvPT0_PvPT_S7_S7_PKS6_S9_S9_S9_S9_ffiiiiiiiiiiiii,comdat
	.protected	_ZN5aiter35fused_qk_rmsnorm_group_quant_kernelIDF16_N4opus5fp4_tELi256ELi16ELi8ELb0ELb0ELb0ELb0ELb0ELb0EEEvPT0_PvPT_S7_S7_PKS6_S9_S9_S9_S9_ffiiiiiiiiiiiii ; -- Begin function _ZN5aiter35fused_qk_rmsnorm_group_quant_kernelIDF16_N4opus5fp4_tELi256ELi16ELi8ELb0ELb0ELb0ELb0ELb0ELb0EEEvPT0_PvPT_S7_S7_PKS6_S9_S9_S9_S9_ffiiiiiiiiiiiii
	.globl	_ZN5aiter35fused_qk_rmsnorm_group_quant_kernelIDF16_N4opus5fp4_tELi256ELi16ELi8ELb0ELb0ELb0ELb0ELb0ELb0EEEvPT0_PvPT_S7_S7_PKS6_S9_S9_S9_S9_ffiiiiiiiiiiiii
	.p2align	8
	.type	_ZN5aiter35fused_qk_rmsnorm_group_quant_kernelIDF16_N4opus5fp4_tELi256ELi16ELi8ELb0ELb0ELb0ELb0ELb0ELb0EEEvPT0_PvPT_S7_S7_PKS6_S9_S9_S9_S9_ffiiiiiiiiiiiii,@function
_ZN5aiter35fused_qk_rmsnorm_group_quant_kernelIDF16_N4opus5fp4_tELi256ELi16ELi8ELb0ELb0ELb0ELb0ELb0ELb0EEEvPT0_PvPT_S7_S7_PKS6_S9_S9_S9_S9_ffiiiiiiiiiiiii: ; @_ZN5aiter35fused_qk_rmsnorm_group_quant_kernelIDF16_N4opus5fp4_tELi256ELi16ELi8ELb0ELb0ELb0ELb0ELb0ELb0EEEvPT0_PvPT_S7_S7_PKS6_S9_S9_S9_S9_ffiiiiiiiiiiiii
; %bb.0:
	s_load_dwordx4 s[16:19], s[4:5], 0x50
	s_waitcnt lgkmcnt(0)
	s_cmp_ge_i32 s6, s18
	s_cbranch_scc1 .LBB791_12
; %bb.1:
	s_load_dwordx2 s[12:13], s[4:5], 0x48
	s_load_dwordx2 s[30:31], s[4:5], 0x30
	s_load_dwordx4 s[20:23], s[4:5], 0x60
	s_cmp_lg_u32 s7, 0
	s_cselect_b64 s[14:15], -1, 0
	s_cmp_eq_u32 s7, 0
	s_cselect_b64 vcc, -1, 0
	s_and_b64 s[0:1], vcc, exec
	s_waitcnt lgkmcnt(0)
	s_cselect_b32 s7, s19, s20
	s_add_i32 s0, s7, 1
	s_lshr_b32 s1, s0, 31
	s_add_i32 s0, s0, s1
	s_lshl_b32 s0, s0, 1
	v_lshlrev_b32_e32 v1, 4, v0
	s_and_b32 s10, s0, -4
	v_cmp_gt_i32_e64 s[2:3], s7, v1
	v_mov_b32_e32 v18, 0
	v_mov_b32_e32 v6, 0
	;; [unrolled: 1-line block ×17, first 2 shown]
	s_and_saveexec_b64 s[0:1], s[2:3]
	s_cbranch_execz .LBB791_3
; %bb.2:
	s_load_dwordx2 s[8:9], s[4:5], 0x28
	s_load_dwordx2 s[26:27], s[4:5], 0x40
	s_and_b64 s[24:25], vcc, exec
	s_cselect_b32 s11, s21, s22
	v_lshlrev_b32_e32 v19, 5, v0
	s_waitcnt lgkmcnt(0)
	s_cselect_b32 s18, s9, s31
	s_cselect_b32 s21, s8, s30
	s_mul_hi_i32 s9, s11, s6
	s_mul_i32 s8, s11, s6
	s_lshl_b64 s[8:9], s[8:9], 1
	s_add_u32 s24, s21, s8
	s_addc_u32 s18, s18, s9
	s_and_b64 s[8:9], vcc, exec
	s_mov_b32 s11, 0x20000
	s_cselect_b32 s8, s26, s12
	s_cselect_b32 s9, s27, s13
	s_and_b32 s25, s18, 0xffff
	s_mov_b32 s26, s10
	s_mov_b32 s27, s11
	s_and_b32 s9, s9, 0xffff
	buffer_load_dwordx4 v[14:17], v19, s[24:27], 0 offen
	buffer_load_dwordx4 v[10:13], v19, s[24:27], 16 offen
	;; [unrolled: 1-line block ×4, first 2 shown]
.LBB791_3:
	s_or_b64 exec, exec, s[0:1]
	v_mov_b32_e32 v19, 0
	v_mov_b32_e32 v24, 0
	;; [unrolled: 1-line block ×15, first 2 shown]
	s_and_saveexec_b64 s[0:1], s[2:3]
	s_cbranch_execz .LBB791_5
; %bb.4:
	s_waitcnt vmcnt(3)
	v_cvt_f32_f16_sdwa v19, v14 dst_sel:DWORD dst_unused:UNUSED_PAD src0_sel:WORD_1
	v_cvt_f32_f16_e32 v18, v14
	v_cvt_f32_f16_sdwa v25, v15 dst_sel:DWORD dst_unused:UNUSED_PAD src0_sel:WORD_1
	v_cvt_f32_f16_e32 v24, v15
	;; [unrolled: 2-line block ×4, first 2 shown]
	s_waitcnt vmcnt(2)
	v_cvt_f32_f16_sdwa v33, v10 dst_sel:DWORD dst_unused:UNUSED_PAD src0_sel:WORD_1
	v_cvt_f32_f16_e32 v32, v10
	v_cvt_f32_f16_sdwa v31, v11 dst_sel:DWORD dst_unused:UNUSED_PAD src0_sel:WORD_1
	v_cvt_f32_f16_e32 v30, v11
	;; [unrolled: 2-line block ×4, first 2 shown]
.LBB791_5:
	s_or_b64 exec, exec, s[0:1]
	s_waitcnt vmcnt(2)
	v_mul_f32_e32 v10, v19, v19
	v_fmac_f32_e32 v10, v18, v18
	v_fmac_f32_e32 v10, v24, v24
	;; [unrolled: 1-line block ×15, first 2 shown]
	v_and_b32_e32 v12, 63, v0
	v_cmp_eq_u32_e64 s[0:1], 63, v12
	v_mov_b32_dpp v11, v10 quad_perm:[1,0,3,2] row_mask:0xf bank_mask:0xf
	v_add_f32_e32 v10, v10, v11
	s_nop 1
	v_mov_b32_dpp v11, v10 quad_perm:[2,3,0,1] row_mask:0xf bank_mask:0xf
	v_add_f32_e32 v10, v10, v11
	s_nop 1
	v_mov_b32_dpp v11, v10 row_half_mirror row_mask:0xf bank_mask:0xf
	v_add_f32_e32 v10, v10, v11
	s_nop 1
	v_mov_b32_dpp v11, v10 row_mirror row_mask:0xf bank_mask:0xf
	v_add_f32_e32 v10, v10, v11
	s_nop 1
	v_mov_b32_dpp v11, v10 row_bcast:15 row_mask:0xf bank_mask:0xf
	v_add_f32_e32 v10, v10, v11
	s_nop 1
	v_mov_b32_dpp v11, v10 row_bcast:31 row_mask:0xf bank_mask:0xf
	s_and_saveexec_b64 s[8:9], s[0:1]
	s_cbranch_execz .LBB791_7
; %bb.6:
	v_add_f32_e32 v10, v10, v11
	v_lshrrev_b32_e32 v11, 4, v0
	v_and_b32_e32 v11, 60, v11
	ds_write_b32 v11, v10 offset:16
.LBB791_7:
	s_or_b64 exec, exec, s[8:9]
	v_and_b32_e32 v10, 3, v0
	v_lshlrev_b32_e32 v34, 2, v10
	s_waitcnt lgkmcnt(0)
	s_barrier
	ds_read_b32 v10, v34 offset:16
	s_load_dwordx2 s[28:29], s[4:5], 0x18
	s_waitcnt lgkmcnt(0)
	v_mov_b32_dpp v11, v10 quad_perm:[1,0,3,2] row_mask:0xf bank_mask:0xf
	v_add_f32_e32 v10, v10, v11
	s_nop 1
	v_mov_b32_dpp v11, v10 quad_perm:[2,3,0,1] row_mask:0xf bank_mask:0xf
	s_and_saveexec_b64 s[8:9], s[2:3]
	s_cbranch_execz .LBB791_9
; %bb.8:
	v_cvt_f32_u32_e32 v12, s7
	v_add_f32_e32 v10, v10, v11
	v_mov_b32_e32 v14, s17
	v_mov_b32_e32 v15, s16
	v_div_scale_f32 v11, s[24:25], v12, v12, v10
	v_rcp_f32_e32 v13, v11
	v_cndmask_b32_e32 v14, v14, v15, vcc
	s_mov_b32 s7, 0x800000
	v_fma_f32 v15, -v11, v13, 1.0
	v_fmac_f32_e32 v13, v15, v13
	v_div_scale_f32 v15, vcc, v10, v12, v10
	v_mul_f32_e32 v16, v15, v13
	v_fma_f32 v17, -v11, v16, v15
	v_fmac_f32_e32 v16, v17, v13
	v_fma_f32 v11, -v11, v16, v15
	v_div_fmas_f32 v11, v11, v13, v16
	v_div_fixup_f32 v10, v11, v12, v10
	v_add_f32_e32 v10, v14, v10
	v_mul_f32_e32 v11, 0x4b800000, v10
	v_cmp_gt_f32_e32 vcc, s7, v10
	v_cndmask_b32_e32 v10, v10, v11, vcc
	v_rsq_f32_e32 v10, v10
	v_mul_f32_e32 v11, 0x45800000, v10
	v_cndmask_b32_e32 v10, v10, v11, vcc
	v_mov_b32_e32 v11, v10
	;;#ASMSTART
	v_pk_mul_f32 v[12:13], v[18:19], v[10:11]
	;;#ASMEND
	;;#ASMSTART
	v_pk_mul_f32 v[14:15], v[24:25], v[10:11]
	;;#ASMEND
	;; [unrolled: 3-line block ×8, first 2 shown]
	s_waitcnt vmcnt(1)
	v_cvt_f32_f16_sdwa v19, v6 dst_sel:DWORD dst_unused:UNUSED_PAD src0_sel:WORD_1
	v_cvt_f32_f16_e32 v18, v6
	v_cvt_f32_f16_sdwa v21, v7 dst_sel:DWORD dst_unused:UNUSED_PAD src0_sel:WORD_1
	v_cvt_f32_f16_e32 v20, v7
	;; [unrolled: 2-line block ×4, first 2 shown]
	;;#ASMSTART
	v_pk_mul_f32 v[18:19], v[12:13], v[18:19]
	;;#ASMEND
	;;#ASMSTART
	v_pk_mul_f32 v[24:25], v[14:15], v[20:21]
	;;#ASMEND
	;; [unrolled: 3-line block ×4, first 2 shown]
	s_waitcnt vmcnt(0)
	v_cvt_f32_f16_sdwa v7, v2 dst_sel:DWORD dst_unused:UNUSED_PAD src0_sel:WORD_1
	v_cvt_f32_f16_e32 v6, v2
	v_cvt_f32_f16_sdwa v9, v3 dst_sel:DWORD dst_unused:UNUSED_PAD src0_sel:WORD_1
	v_cvt_f32_f16_e32 v8, v3
	;; [unrolled: 2-line block ×4, first 2 shown]
	;;#ASMSTART
	v_pk_mul_f32 v[32:33], v[32:33], v[6:7]
	;;#ASMEND
	;;#ASMSTART
	v_pk_mul_f32 v[30:31], v[30:31], v[8:9]
	;;#ASMEND
	;; [unrolled: 3-line block ×4, first 2 shown]
.LBB791_9:
	s_or_b64 exec, exec, s[8:9]
	s_load_dword s7, s[4:5], 0x80
	s_mov_b64 s[8:9], -1
	s_and_b64 vcc, exec, s[14:15]
	s_cbranch_vccnz .LBB791_13
; %bb.10:
	s_andn2_b64 vcc, exec, s[8:9]
	s_cbranch_vccz .LBB791_16
.LBB791_11:
	s_cmp_lt_i32 s20, 1
	s_cbranch_scc0 .LBB791_23
.LBB791_12:
	s_endpgm
.LBB791_13:
	s_and_saveexec_b64 s[14:15], s[2:3]
	s_cbranch_execz .LBB791_15
; %bb.14:
	s_waitcnt lgkmcnt(0)
	s_mul_hi_i32 s9, s7, s6
	s_mul_i32 s8, s7, s6
	s_waitcnt vmcnt(0)
	v_cvt_f16_f32_e32 v2, v18
	v_cvt_f16_f32_e32 v3, v24
	v_cvt_f16_f32_e32 v4, v20
	v_cvt_f16_f32_e32 v5, v22
	v_cvt_f16_f32_e32 v6, v23
	v_cvt_f16_f32_e32 v7, v21
	v_cvt_f16_f32_e32 v8, v25
	v_cvt_f16_f32_e32 v9, v19
	s_lshl_b64 s[8:9], s[8:9], 1
	s_add_u32 s8, s28, s8
	s_addc_u32 s9, s29, s9
	s_and_b32 s9, s9, 0xffff
	s_mov_b32 s11, 0x20000
	v_pack_b32_f16 v5, v5, v6
	v_pack_b32_f16 v4, v4, v7
	;; [unrolled: 1-line block ×4, first 2 shown]
	v_lshlrev_b32_e32 v6, 5, v0
	buffer_store_dwordx4 v[2:5], v6, s[8:11], 0 offen
	v_cvt_f16_f32_e32 v7, v29
	v_cvt_f16_f32_e32 v2, v32
	;; [unrolled: 1-line block ×8, first 2 shown]
	v_pack_b32_f16 v5, v5, v7
	v_pack_b32_f16 v4, v4, v8
	;; [unrolled: 1-line block ×4, first 2 shown]
	;;#ASMSTART
	s_nop 0
	;;#ASMEND
	buffer_store_dwordx4 v[2:5], v6, s[8:11], 16 offen
	;;#ASMSTART
	s_nop 0
	;;#ASMEND
.LBB791_15:
	s_or_b64 exec, exec, s[14:15]
	s_cbranch_execnz .LBB791_11
.LBB791_16:
	s_waitcnt vmcnt(0)
	v_mov_b32_e32 v2, 0
	s_and_saveexec_b64 s[8:9], s[2:3]
	s_cbranch_execz .LBB791_18
; %bb.17:
	v_and_b32_e32 v2, 0x7fffffff, v18
	v_and_b32_e32 v3, 0x7fffffff, v19
	v_mov_b32_e32 v4, 0x2edbe6ff
	;;#ASMSTART
	v_max3_f32 v2, v4, v2, v3

	;;#ASMEND
	v_and_b32_e32 v3, 0x7fffffff, v24
	v_and_b32_e32 v4, 0x7fffffff, v25
	;;#ASMSTART
	v_max3_f32 v2, v2, v3, v4

	;;#ASMEND
	v_and_b32_e32 v3, 0x7fffffff, v20
	v_and_b32_e32 v4, 0x7fffffff, v21
	;; [unrolled: 6-line block ×7, first 2 shown]
	;;#ASMSTART
	v_max3_f32 v2, v2, v3, v4

	;;#ASMEND
.LBB791_18:
	s_or_b64 exec, exec, s[8:9]
	s_load_dwordx4 s[24:27], s[4:5], 0x70
	;;#ASMSTART
	v_max_f32 v3, v2, v2 quad_perm:[1,0,3,2] row_mask:0xf bank_mask:0xf bound_ctrl:1
	;;#ASMEND
	;;#ASMSTART
	v_max_f32 v4, v3, v3 quad_perm:[2,3,0,1] row_mask:0xf bank_mask:0xf bound_ctrl:1
	;;#ASMEND
	v_and_b32_e32 v3, 7, v0
	v_cmp_eq_u32_e32 vcc, 0, v3
	v_cmp_gt_i32_e64 s[8:9], s19, v1
	s_and_b64 s[10:11], vcc, s[8:9]
	;;#ASMSTART
	v_max_f32 v2, v4, v4 row_half_mirror row_mask:0xf bank_mask:0xf bound_ctrl:1
	;;#ASMEND
	s_and_saveexec_b64 s[8:9], s[10:11]
	s_cbranch_execz .LBB791_20
; %bb.19:
	s_load_dwordx2 s[10:11], s[4:5], 0x8
	v_mul_f32_e32 v2, 0x3e2aaaab, v2
	v_lshrrev_b32_e32 v3, 23, v2
	v_and_b32_e32 v4, 0x7f800000, v2
	v_and_b32_e32 v2, 0x7fffff, v2
	v_cmp_ne_u32_e32 vcc, 0, v2
	s_waitcnt lgkmcnt(0)
	s_mul_i32 s16, s25, s6
	s_mov_b32 s14, 0x7f800000
	v_addc_co_u32_e32 v2, vcc, 0, v3, vcc
	s_mul_hi_i32 s15, s25, s6
	s_add_u32 s10, s10, s16
	v_cmp_ne_u32_e32 vcc, s14, v4
	s_addc_u32 s11, s11, s15
	v_lshrrev_b32_e32 v5, 3, v0
	v_cndmask_b32_e32 v4, -1, v2, vcc
	v_pk_mov_b32 v[2:3], s[10:11], s[10:11] op_sel:[0,1]
	v_mad_i64_i32 v[2:3], s[10:11], s26, v5, v[2:3]
	global_store_byte v[2:3], v4, off
.LBB791_20:
	s_or_b64 exec, exec, s[8:9]
	s_and_saveexec_b64 s[8:9], s[2:3]
	s_cbranch_execz .LBB791_22
; %bb.21:
	s_load_dwordx2 s[2:3], s[4:5], 0x0
	s_waitcnt lgkmcnt(0)
	s_mul_i32 s11, s24, s6
	s_mul_hi_i32 s10, s24, s6
	v_mov_b32_e32 v2, 0
	v_lshlrev_b32_e32 v4, 3, v0
	s_add_u32 s24, s2, s11
	s_addc_u32 s2, s3, s10
	s_lshr_b32 s3, s19, 31
	s_add_i32 s3, s19, s3
	s_ashr_i32 s3, s3, 1
	s_add_i32 s3, s3, 3
	s_ashr_i32 s10, s3, 31
	s_lshr_b32 s10, s10, 30
	s_add_i32 s3, s3, s10
	s_and_b32 s26, s3, -4
	s_and_b32 s25, s2, 0xffff
	s_mov_b32 s27, 0x20000
	v_mov_b32_e32 v3, v2
	buffer_store_dwordx2 v[2:3], v4, s[24:27], 0 offen
	;;#ASMSTART
	s_nop 0
	;;#ASMEND
.LBB791_22:
	s_or_b64 exec, exec, s[8:9]
	s_cmp_lt_i32 s20, 1
	s_cbranch_scc1 .LBB791_12
.LBB791_23:
	s_load_dword s2, s[4:5], 0x94
	s_waitcnt lgkmcnt(0)
	s_cmp_lg_u32 s2, 1
	s_cbranch_scc1 .LBB791_12
; %bb.24:
	s_lshl_b32 s2, s20, 1
	s_add_i32 s2, s2, 2
	v_cmp_gt_u32_e32 vcc, s20, v1
	s_and_b32 s14, s2, -4
	v_mov_b32_e32 v18, 0
	v_lshlrev_b32_e32 v1, 5, v0
	v_mov_b32_e32 v14, 0
	v_mov_b32_e32 v15, 0
	;; [unrolled: 1-line block ×8, first 2 shown]
	s_waitcnt vmcnt(1)
	v_mov_b32_e32 v6, 0
	v_mov_b32_e32 v7, 0
	;; [unrolled: 1-line block ×4, first 2 shown]
	s_waitcnt vmcnt(0)
	v_mov_b32_e32 v2, 0
	v_mov_b32_e32 v3, 0
	;; [unrolled: 1-line block ×4, first 2 shown]
	s_barrier
	s_and_saveexec_b64 s[2:3], vcc
	s_cbranch_execz .LBB791_26
; %bb.25:
	s_mul_hi_i32 s5, s22, s6
	s_mul_i32 s4, s22, s6
	s_and_b32 s13, s13, 0xffff
	s_lshl_b64 s[4:5], s[4:5], 1
	s_add_u32 s8, s30, s4
	s_mov_b32 s15, 0x20000
	s_addc_u32 s4, s31, s5
	s_and_b32 s9, s4, 0xffff
	s_mov_b32 s10, s14
	s_mov_b32 s11, s15
	buffer_load_dwordx4 v[14:17], v1, s[8:11], 0 offen
	buffer_load_dwordx4 v[10:13], v1, s[8:11], 16 offen
	;; [unrolled: 1-line block ×4, first 2 shown]
.LBB791_26:
	s_or_b64 exec, exec, s[2:3]
	v_mov_b32_e32 v19, 0
	v_mov_b32_e32 v32, 0
	;; [unrolled: 1-line block ×15, first 2 shown]
	s_and_saveexec_b64 s[2:3], vcc
	s_cbranch_execz .LBB791_28
; %bb.27:
	s_waitcnt vmcnt(3)
	v_cvt_f32_f16_sdwa v19, v14 dst_sel:DWORD dst_unused:UNUSED_PAD src0_sel:WORD_1
	v_cvt_f32_f16_e32 v18, v14
	v_cvt_f32_f16_sdwa v33, v15 dst_sel:DWORD dst_unused:UNUSED_PAD src0_sel:WORD_1
	v_cvt_f32_f16_e32 v32, v15
	;; [unrolled: 2-line block ×4, first 2 shown]
	s_waitcnt vmcnt(2)
	v_cvt_f32_f16_sdwa v27, v10 dst_sel:DWORD dst_unused:UNUSED_PAD src0_sel:WORD_1
	v_cvt_f32_f16_e32 v26, v10
	v_cvt_f32_f16_sdwa v25, v11 dst_sel:DWORD dst_unused:UNUSED_PAD src0_sel:WORD_1
	v_cvt_f32_f16_e32 v24, v11
	;; [unrolled: 2-line block ×4, first 2 shown]
.LBB791_28:
	s_or_b64 exec, exec, s[2:3]
	s_waitcnt vmcnt(2)
	v_mul_f32_e32 v10, v19, v19
	v_fmac_f32_e32 v10, v18, v18
	v_fmac_f32_e32 v10, v32, v32
	;; [unrolled: 1-line block ×15, first 2 shown]
	s_nop 1
	v_mov_b32_dpp v11, v10 quad_perm:[1,0,3,2] row_mask:0xf bank_mask:0xf
	v_add_f32_e32 v10, v10, v11
	s_nop 1
	v_mov_b32_dpp v11, v10 quad_perm:[2,3,0,1] row_mask:0xf bank_mask:0xf
	v_add_f32_e32 v10, v10, v11
	s_nop 1
	v_mov_b32_dpp v11, v10 row_half_mirror row_mask:0xf bank_mask:0xf
	v_add_f32_e32 v10, v10, v11
	s_nop 1
	v_mov_b32_dpp v11, v10 row_mirror row_mask:0xf bank_mask:0xf
	v_add_f32_e32 v10, v10, v11
	s_nop 1
	v_mov_b32_dpp v11, v10 row_bcast:15 row_mask:0xf bank_mask:0xf
	v_add_f32_e32 v10, v10, v11
	s_nop 1
	v_mov_b32_dpp v11, v10 row_bcast:31 row_mask:0xf bank_mask:0xf
	s_and_saveexec_b64 s[2:3], s[0:1]
	s_cbranch_execz .LBB791_30
; %bb.29:
	v_lshrrev_b32_e32 v0, 4, v0
	v_add_f32_e32 v10, v10, v11
	v_and_b32_e32 v0, 60, v0
	ds_write_b32 v0, v10
.LBB791_30:
	s_or_b64 exec, exec, s[2:3]
	s_waitcnt lgkmcnt(0)
	s_barrier
	ds_read_b32 v0, v34
	s_waitcnt lgkmcnt(0)
	s_nop 0
	v_mov_b32_dpp v10, v0 quad_perm:[1,0,3,2] row_mask:0xf bank_mask:0xf
	v_add_f32_e32 v0, v0, v10
	s_nop 1
	v_mov_b32_dpp v10, v0 quad_perm:[2,3,0,1] row_mask:0xf bank_mask:0xf
	s_and_saveexec_b64 s[0:1], vcc
	s_cbranch_execz .LBB791_12
; %bb.31:
	v_cvt_f32_u32_e32 v11, s20
	v_add_f32_e32 v0, v0, v10
	s_mov_b32 s15, 0x20000
	v_div_scale_f32 v10, s[0:1], v11, v11, v0
	v_rcp_f32_e32 v12, v10
	v_div_scale_f32 v13, vcc, v0, v11, v0
	s_mov_b32 s0, 0x800000
	v_fma_f32 v14, -v10, v12, 1.0
	v_fmac_f32_e32 v12, v14, v12
	v_mul_f32_e32 v14, v13, v12
	v_fma_f32 v15, -v10, v14, v13
	v_fmac_f32_e32 v14, v15, v12
	v_fma_f32 v10, -v10, v14, v13
	v_div_fmas_f32 v10, v10, v12, v14
	v_div_fixup_f32 v0, v10, v11, v0
	v_add_f32_e32 v0, s17, v0
	v_mul_f32_e32 v10, 0x4b800000, v0
	v_cmp_gt_f32_e32 vcc, s0, v0
	v_cndmask_b32_e32 v0, v0, v10, vcc
	v_rsq_f32_e32 v0, v0
	s_mul_hi_i32 s1, s7, s6
	s_mul_i32 s0, s7, s6
	s_lshl_b64 s[0:1], s[0:1], 1
	v_mul_f32_e32 v10, 0x45800000, v0
	v_cndmask_b32_e32 v10, v0, v10, vcc
	v_mov_b32_e32 v11, v10
	;;#ASMSTART
	v_pk_mul_f32 v[12:13], v[18:19], v[10:11]
	;;#ASMEND
	;;#ASMSTART
	v_pk_mul_f32 v[14:15], v[32:33], v[10:11]
	;;#ASMEND
	;; [unrolled: 3-line block ×8, first 2 shown]
	s_waitcnt vmcnt(1)
	v_cvt_f32_f16_sdwa v21, v6 dst_sel:DWORD dst_unused:UNUSED_PAD src0_sel:WORD_1
	v_cvt_f32_f16_e32 v20, v6
	v_cvt_f32_f16_sdwa v29, v7 dst_sel:DWORD dst_unused:UNUSED_PAD src0_sel:WORD_1
	v_cvt_f32_f16_e32 v28, v7
	;; [unrolled: 2-line block ×4, first 2 shown]
	;;#ASMSTART
	v_pk_mul_f32 v[8:9], v[12:13], v[20:21]
	;;#ASMEND
	;;#ASMSTART
	v_pk_mul_f32 v[12:13], v[14:15], v[28:29]
	;;#ASMEND
	;; [unrolled: 3-line block ×4, first 2 shown]
	s_waitcnt vmcnt(0)
	v_cvt_f32_f16_sdwa v17, v2 dst_sel:DWORD dst_unused:UNUSED_PAD src0_sel:WORD_1
	v_cvt_f32_f16_e32 v16, v2
	v_cvt_f32_f16_sdwa v19, v3 dst_sel:DWORD dst_unused:UNUSED_PAD src0_sel:WORD_1
	v_cvt_f32_f16_e32 v18, v3
	;; [unrolled: 2-line block ×4, first 2 shown]
	;;#ASMSTART
	v_pk_mul_f32 v[16:17], v[26:27], v[16:17]
	;;#ASMEND
	;;#ASMSTART
	v_pk_mul_f32 v[18:19], v[24:25], v[18:19]
	;;#ASMEND
	;; [unrolled: 3-line block ×3, first 2 shown]
	v_cvt_f16_f32_e32 v0, v8
	v_cvt_f16_f32_e32 v2, v9
	;; [unrolled: 1-line block ×8, first 2 shown]
	s_add_u32 s12, s28, s0
	s_addc_u32 s0, s29, s1
	s_and_b32 s13, s0, 0xffff
	v_pack_b32_f16 v2, v0, v2
	v_pack_b32_f16 v3, v3, v4
	;; [unrolled: 1-line block ×4, first 2 shown]
	;;#ASMSTART
	v_pk_mul_f32 v[10:11], v[10:11], v[20:21]
	;;#ASMEND
	buffer_store_dwordx4 v[2:5], v1, s[12:15], 0 offen
	v_cvt_f16_f32_e32 v0, v16
	v_cvt_f16_f32_e32 v2, v17
	;; [unrolled: 1-line block ×8, first 2 shown]
	v_pack_b32_f16 v2, v0, v2
	v_pack_b32_f16 v3, v3, v4
	;; [unrolled: 1-line block ×4, first 2 shown]
	;;#ASMSTART
	s_nop 0
	;;#ASMEND
	buffer_store_dwordx4 v[2:5], v1, s[12:15], 16 offen
	;;#ASMSTART
	s_nop 0
	;;#ASMEND
	s_endpgm
	.section	.rodata,"a",@progbits
	.p2align	6, 0x0
	.amdhsa_kernel _ZN5aiter35fused_qk_rmsnorm_group_quant_kernelIDF16_N4opus5fp4_tELi256ELi16ELi8ELb0ELb0ELb0ELb0ELb0ELb0EEEvPT0_PvPT_S7_S7_PKS6_S9_S9_S9_S9_ffiiiiiiiiiiiii
		.amdhsa_group_segment_fixed_size 32
		.amdhsa_private_segment_fixed_size 0
		.amdhsa_kernarg_size 400
		.amdhsa_user_sgpr_count 6
		.amdhsa_user_sgpr_private_segment_buffer 1
		.amdhsa_user_sgpr_dispatch_ptr 0
		.amdhsa_user_sgpr_queue_ptr 0
		.amdhsa_user_sgpr_kernarg_segment_ptr 1
		.amdhsa_user_sgpr_dispatch_id 0
		.amdhsa_user_sgpr_flat_scratch_init 0
		.amdhsa_user_sgpr_kernarg_preload_length 0
		.amdhsa_user_sgpr_kernarg_preload_offset 0
		.amdhsa_user_sgpr_private_segment_size 0
		.amdhsa_uses_dynamic_stack 0
		.amdhsa_system_sgpr_private_segment_wavefront_offset 0
		.amdhsa_system_sgpr_workgroup_id_x 1
		.amdhsa_system_sgpr_workgroup_id_y 1
		.amdhsa_system_sgpr_workgroup_id_z 0
		.amdhsa_system_sgpr_workgroup_info 0
		.amdhsa_system_vgpr_workitem_id 0
		.amdhsa_next_free_vgpr 35
		.amdhsa_next_free_sgpr 32
		.amdhsa_accum_offset 36
		.amdhsa_reserve_vcc 1
		.amdhsa_reserve_flat_scratch 0
		.amdhsa_float_round_mode_32 0
		.amdhsa_float_round_mode_16_64 0
		.amdhsa_float_denorm_mode_32 3
		.amdhsa_float_denorm_mode_16_64 3
		.amdhsa_dx10_clamp 1
		.amdhsa_ieee_mode 1
		.amdhsa_fp16_overflow 0
		.amdhsa_tg_split 0
		.amdhsa_exception_fp_ieee_invalid_op 0
		.amdhsa_exception_fp_denorm_src 0
		.amdhsa_exception_fp_ieee_div_zero 0
		.amdhsa_exception_fp_ieee_overflow 0
		.amdhsa_exception_fp_ieee_underflow 0
		.amdhsa_exception_fp_ieee_inexact 0
		.amdhsa_exception_int_div_zero 0
	.end_amdhsa_kernel
	.section	.text._ZN5aiter35fused_qk_rmsnorm_group_quant_kernelIDF16_N4opus5fp4_tELi256ELi16ELi8ELb0ELb0ELb0ELb0ELb0ELb0EEEvPT0_PvPT_S7_S7_PKS6_S9_S9_S9_S9_ffiiiiiiiiiiiii,"axG",@progbits,_ZN5aiter35fused_qk_rmsnorm_group_quant_kernelIDF16_N4opus5fp4_tELi256ELi16ELi8ELb0ELb0ELb0ELb0ELb0ELb0EEEvPT0_PvPT_S7_S7_PKS6_S9_S9_S9_S9_ffiiiiiiiiiiiii,comdat
.Lfunc_end791:
	.size	_ZN5aiter35fused_qk_rmsnorm_group_quant_kernelIDF16_N4opus5fp4_tELi256ELi16ELi8ELb0ELb0ELb0ELb0ELb0ELb0EEEvPT0_PvPT_S7_S7_PKS6_S9_S9_S9_S9_ffiiiiiiiiiiiii, .Lfunc_end791-_ZN5aiter35fused_qk_rmsnorm_group_quant_kernelIDF16_N4opus5fp4_tELi256ELi16ELi8ELb0ELb0ELb0ELb0ELb0ELb0EEEvPT0_PvPT_S7_S7_PKS6_S9_S9_S9_S9_ffiiiiiiiiiiiii
                                        ; -- End function
	.section	.AMDGPU.csdata,"",@progbits
; Kernel info:
; codeLenInByte = 3120
; NumSgprs: 36
; NumVgprs: 35
; NumAgprs: 0
; TotalNumVgprs: 35
; ScratchSize: 0
; MemoryBound: 0
; FloatMode: 240
; IeeeMode: 1
; LDSByteSize: 32 bytes/workgroup (compile time only)
; SGPRBlocks: 4
; VGPRBlocks: 4
; NumSGPRsForWavesPerEU: 36
; NumVGPRsForWavesPerEU: 35
; AccumOffset: 36
; Occupancy: 8
; WaveLimiterHint : 0
; COMPUTE_PGM_RSRC2:SCRATCH_EN: 0
; COMPUTE_PGM_RSRC2:USER_SGPR: 6
; COMPUTE_PGM_RSRC2:TRAP_HANDLER: 0
; COMPUTE_PGM_RSRC2:TGID_X_EN: 1
; COMPUTE_PGM_RSRC2:TGID_Y_EN: 1
; COMPUTE_PGM_RSRC2:TGID_Z_EN: 0
; COMPUTE_PGM_RSRC2:TIDIG_COMP_CNT: 0
; COMPUTE_PGM_RSRC3_GFX90A:ACCUM_OFFSET: 8
; COMPUTE_PGM_RSRC3_GFX90A:TG_SPLIT: 0
	.section	.text._ZN5aiter35fused_qk_rmsnorm_group_quant_kernelItN4opus5fp4_tELi256ELi16ELi8ELb0ELb0ELb0ELb0ELb0ELb0EEEvPT0_PvPT_S7_S7_PKS6_S9_S9_S9_S9_ffiiiiiiiiiiiii,"axG",@progbits,_ZN5aiter35fused_qk_rmsnorm_group_quant_kernelItN4opus5fp4_tELi256ELi16ELi8ELb0ELb0ELb0ELb0ELb0ELb0EEEvPT0_PvPT_S7_S7_PKS6_S9_S9_S9_S9_ffiiiiiiiiiiiii,comdat
	.protected	_ZN5aiter35fused_qk_rmsnorm_group_quant_kernelItN4opus5fp4_tELi256ELi16ELi8ELb0ELb0ELb0ELb0ELb0ELb0EEEvPT0_PvPT_S7_S7_PKS6_S9_S9_S9_S9_ffiiiiiiiiiiiii ; -- Begin function _ZN5aiter35fused_qk_rmsnorm_group_quant_kernelItN4opus5fp4_tELi256ELi16ELi8ELb0ELb0ELb0ELb0ELb0ELb0EEEvPT0_PvPT_S7_S7_PKS6_S9_S9_S9_S9_ffiiiiiiiiiiiii
	.globl	_ZN5aiter35fused_qk_rmsnorm_group_quant_kernelItN4opus5fp4_tELi256ELi16ELi8ELb0ELb0ELb0ELb0ELb0ELb0EEEvPT0_PvPT_S7_S7_PKS6_S9_S9_S9_S9_ffiiiiiiiiiiiii
	.p2align	8
	.type	_ZN5aiter35fused_qk_rmsnorm_group_quant_kernelItN4opus5fp4_tELi256ELi16ELi8ELb0ELb0ELb0ELb0ELb0ELb0EEEvPT0_PvPT_S7_S7_PKS6_S9_S9_S9_S9_ffiiiiiiiiiiiii,@function
_ZN5aiter35fused_qk_rmsnorm_group_quant_kernelItN4opus5fp4_tELi256ELi16ELi8ELb0ELb0ELb0ELb0ELb0ELb0EEEvPT0_PvPT_S7_S7_PKS6_S9_S9_S9_S9_ffiiiiiiiiiiiii: ; @_ZN5aiter35fused_qk_rmsnorm_group_quant_kernelItN4opus5fp4_tELi256ELi16ELi8ELb0ELb0ELb0ELb0ELb0ELb0EEEvPT0_PvPT_S7_S7_PKS6_S9_S9_S9_S9_ffiiiiiiiiiiiii
; %bb.0:
	s_load_dwordx4 s[16:19], s[4:5], 0x50
	s_waitcnt lgkmcnt(0)
	s_cmp_ge_i32 s6, s18
	s_cbranch_scc1 .LBB792_12
; %bb.1:
	s_load_dwordx2 s[12:13], s[4:5], 0x48
	s_load_dwordx2 s[30:31], s[4:5], 0x30
	s_load_dwordx4 s[20:23], s[4:5], 0x60
	s_cmp_lg_u32 s7, 0
	s_cselect_b64 s[14:15], -1, 0
	s_cmp_eq_u32 s7, 0
	s_cselect_b64 vcc, -1, 0
	s_and_b64 s[0:1], vcc, exec
	s_waitcnt lgkmcnt(0)
	s_cselect_b32 s7, s19, s20
	s_add_i32 s0, s7, 1
	s_lshr_b32 s1, s0, 31
	s_add_i32 s0, s0, s1
	s_lshl_b32 s0, s0, 1
	v_lshlrev_b32_e32 v1, 4, v0
	s_and_b32 s10, s0, -4
	v_cmp_gt_i32_e64 s[2:3], s7, v1
	v_mov_b32_e32 v18, 0
	v_mov_b32_e32 v6, 0
	;; [unrolled: 1-line block ×17, first 2 shown]
	s_and_saveexec_b64 s[0:1], s[2:3]
	s_cbranch_execz .LBB792_3
; %bb.2:
	s_load_dwordx2 s[8:9], s[4:5], 0x28
	s_load_dwordx2 s[26:27], s[4:5], 0x40
	s_and_b64 s[24:25], vcc, exec
	s_cselect_b32 s11, s21, s22
	v_lshlrev_b32_e32 v19, 5, v0
	s_waitcnt lgkmcnt(0)
	s_cselect_b32 s18, s9, s31
	s_cselect_b32 s21, s8, s30
	s_mul_hi_i32 s9, s11, s6
	s_mul_i32 s8, s11, s6
	s_lshl_b64 s[8:9], s[8:9], 1
	s_add_u32 s24, s21, s8
	s_addc_u32 s18, s18, s9
	s_and_b64 s[8:9], vcc, exec
	s_mov_b32 s11, 0x20000
	s_cselect_b32 s8, s26, s12
	s_cselect_b32 s9, s27, s13
	s_and_b32 s25, s18, 0xffff
	s_mov_b32 s26, s10
	s_mov_b32 s27, s11
	s_and_b32 s9, s9, 0xffff
	buffer_load_dwordx4 v[14:17], v19, s[24:27], 0 offen
	buffer_load_dwordx4 v[10:13], v19, s[24:27], 16 offen
	;; [unrolled: 1-line block ×4, first 2 shown]
.LBB792_3:
	s_or_b64 exec, exec, s[0:1]
	v_mov_b32_e32 v19, 0
	v_mov_b32_e32 v24, 0
	v_mov_b32_e32 v25, 0
	v_mov_b32_e32 v20, 0
	v_mov_b32_e32 v21, 0
	v_mov_b32_e32 v22, 0
	v_mov_b32_e32 v23, 0
	v_mov_b32_e32 v32, 0
	v_mov_b32_e32 v33, 0
	v_mov_b32_e32 v30, 0
	v_mov_b32_e32 v31, 0
	v_mov_b32_e32 v26, 0
	v_mov_b32_e32 v27, 0
	v_mov_b32_e32 v28, 0
	v_mov_b32_e32 v29, 0
	s_and_saveexec_b64 s[0:1], s[2:3]
	s_cbranch_execz .LBB792_5
; %bb.4:
	s_waitcnt vmcnt(3)
	v_cvt_f32_u32_sdwa v18, v14 dst_sel:DWORD dst_unused:UNUSED_PAD src0_sel:WORD_0
	v_cvt_f32_u32_sdwa v19, v14 dst_sel:DWORD dst_unused:UNUSED_PAD src0_sel:WORD_1
	v_cvt_f32_u32_sdwa v24, v15 dst_sel:DWORD dst_unused:UNUSED_PAD src0_sel:WORD_0
	v_cvt_f32_u32_sdwa v25, v15 dst_sel:DWORD dst_unused:UNUSED_PAD src0_sel:WORD_1
	;; [unrolled: 2-line block ×4, first 2 shown]
	s_waitcnt vmcnt(2)
	v_cvt_f32_u32_sdwa v32, v10 dst_sel:DWORD dst_unused:UNUSED_PAD src0_sel:WORD_0
	v_cvt_f32_u32_sdwa v33, v10 dst_sel:DWORD dst_unused:UNUSED_PAD src0_sel:WORD_1
	v_cvt_f32_u32_sdwa v30, v11 dst_sel:DWORD dst_unused:UNUSED_PAD src0_sel:WORD_0
	v_cvt_f32_u32_sdwa v31, v11 dst_sel:DWORD dst_unused:UNUSED_PAD src0_sel:WORD_1
	;; [unrolled: 2-line block ×4, first 2 shown]
.LBB792_5:
	s_or_b64 exec, exec, s[0:1]
	s_waitcnt vmcnt(2)
	v_mul_f32_e32 v10, v19, v19
	v_fmac_f32_e32 v10, v18, v18
	v_fmac_f32_e32 v10, v24, v24
	;; [unrolled: 1-line block ×15, first 2 shown]
	v_and_b32_e32 v12, 63, v0
	v_cmp_eq_u32_e64 s[0:1], 63, v12
	v_mov_b32_dpp v11, v10 quad_perm:[1,0,3,2] row_mask:0xf bank_mask:0xf
	v_add_f32_e32 v10, v10, v11
	s_nop 1
	v_mov_b32_dpp v11, v10 quad_perm:[2,3,0,1] row_mask:0xf bank_mask:0xf
	v_add_f32_e32 v10, v10, v11
	s_nop 1
	v_mov_b32_dpp v11, v10 row_half_mirror row_mask:0xf bank_mask:0xf
	v_add_f32_e32 v10, v10, v11
	s_nop 1
	v_mov_b32_dpp v11, v10 row_mirror row_mask:0xf bank_mask:0xf
	v_add_f32_e32 v10, v10, v11
	s_nop 1
	v_mov_b32_dpp v11, v10 row_bcast:15 row_mask:0xf bank_mask:0xf
	v_add_f32_e32 v10, v10, v11
	s_nop 1
	v_mov_b32_dpp v11, v10 row_bcast:31 row_mask:0xf bank_mask:0xf
	s_and_saveexec_b64 s[8:9], s[0:1]
	s_cbranch_execz .LBB792_7
; %bb.6:
	v_add_f32_e32 v10, v10, v11
	v_lshrrev_b32_e32 v11, 4, v0
	v_and_b32_e32 v11, 60, v11
	ds_write_b32 v11, v10 offset:16
.LBB792_7:
	s_or_b64 exec, exec, s[8:9]
	v_and_b32_e32 v10, 3, v0
	v_lshlrev_b32_e32 v34, 2, v10
	s_waitcnt lgkmcnt(0)
	s_barrier
	ds_read_b32 v10, v34 offset:16
	s_load_dwordx2 s[28:29], s[4:5], 0x18
	s_waitcnt lgkmcnt(0)
	v_mov_b32_dpp v11, v10 quad_perm:[1,0,3,2] row_mask:0xf bank_mask:0xf
	v_add_f32_e32 v10, v10, v11
	s_nop 1
	v_mov_b32_dpp v11, v10 quad_perm:[2,3,0,1] row_mask:0xf bank_mask:0xf
	s_and_saveexec_b64 s[8:9], s[2:3]
	s_cbranch_execz .LBB792_9
; %bb.8:
	v_cvt_f32_u32_e32 v12, s7
	v_add_f32_e32 v10, v10, v11
	v_mov_b32_e32 v14, s17
	v_mov_b32_e32 v15, s16
	v_div_scale_f32 v11, s[24:25], v12, v12, v10
	v_rcp_f32_e32 v13, v11
	v_cndmask_b32_e32 v14, v14, v15, vcc
	s_mov_b32 s7, 0x800000
	v_fma_f32 v15, -v11, v13, 1.0
	v_fmac_f32_e32 v13, v15, v13
	v_div_scale_f32 v15, vcc, v10, v12, v10
	v_mul_f32_e32 v16, v15, v13
	v_fma_f32 v17, -v11, v16, v15
	v_fmac_f32_e32 v16, v17, v13
	v_fma_f32 v11, -v11, v16, v15
	v_div_fmas_f32 v11, v11, v13, v16
	v_div_fixup_f32 v10, v11, v12, v10
	v_add_f32_e32 v10, v14, v10
	v_mul_f32_e32 v11, 0x4b800000, v10
	v_cmp_gt_f32_e32 vcc, s7, v10
	v_cndmask_b32_e32 v10, v10, v11, vcc
	v_rsq_f32_e32 v10, v10
	v_mul_f32_e32 v11, 0x45800000, v10
	v_cndmask_b32_e32 v10, v10, v11, vcc
	v_mov_b32_e32 v11, v10
	;;#ASMSTART
	v_pk_mul_f32 v[12:13], v[18:19], v[10:11]
	;;#ASMEND
	;;#ASMSTART
	v_pk_mul_f32 v[14:15], v[24:25], v[10:11]
	;;#ASMEND
	;;#ASMSTART
	v_pk_mul_f32 v[16:17], v[20:21], v[10:11]
	;;#ASMEND
	;;#ASMSTART
	v_pk_mul_f32 v[22:23], v[22:23], v[10:11]
	;;#ASMEND
	;;#ASMSTART
	v_pk_mul_f32 v[32:33], v[32:33], v[10:11]
	;;#ASMEND
	;;#ASMSTART
	v_pk_mul_f32 v[30:31], v[30:31], v[10:11]
	;;#ASMEND
	;;#ASMSTART
	v_pk_mul_f32 v[26:27], v[26:27], v[10:11]
	;;#ASMEND
	;;#ASMSTART
	v_pk_mul_f32 v[10:11], v[28:29], v[10:11]
	;;#ASMEND
	s_waitcnt vmcnt(1)
	v_cvt_f32_u32_sdwa v19, v6 dst_sel:DWORD dst_unused:UNUSED_PAD src0_sel:WORD_1
	v_cvt_f32_u32_sdwa v18, v6 dst_sel:DWORD dst_unused:UNUSED_PAD src0_sel:WORD_0
	v_cvt_f32_u32_sdwa v21, v7 dst_sel:DWORD dst_unused:UNUSED_PAD src0_sel:WORD_1
	v_cvt_f32_u32_sdwa v20, v7 dst_sel:DWORD dst_unused:UNUSED_PAD src0_sel:WORD_0
	v_cvt_f32_u32_sdwa v7, v8 dst_sel:DWORD dst_unused:UNUSED_PAD src0_sel:WORD_1
	v_cvt_f32_u32_sdwa v6, v8 dst_sel:DWORD dst_unused:UNUSED_PAD src0_sel:WORD_0
	v_cvt_f32_u32_sdwa v29, v9 dst_sel:DWORD dst_unused:UNUSED_PAD src0_sel:WORD_1
	v_cvt_f32_u32_sdwa v28, v9 dst_sel:DWORD dst_unused:UNUSED_PAD src0_sel:WORD_0
	;;#ASMSTART
	v_pk_mul_f32 v[18:19], v[12:13], v[18:19]
	;;#ASMEND
	;;#ASMSTART
	v_pk_mul_f32 v[24:25], v[14:15], v[20:21]
	;;#ASMEND
	;; [unrolled: 3-line block ×4, first 2 shown]
	s_waitcnt vmcnt(0)
	v_cvt_f32_u32_sdwa v7, v2 dst_sel:DWORD dst_unused:UNUSED_PAD src0_sel:WORD_1
	v_cvt_f32_u32_sdwa v6, v2 dst_sel:DWORD dst_unused:UNUSED_PAD src0_sel:WORD_0
	v_cvt_f32_u32_sdwa v9, v3 dst_sel:DWORD dst_unused:UNUSED_PAD src0_sel:WORD_1
	v_cvt_f32_u32_sdwa v8, v3 dst_sel:DWORD dst_unused:UNUSED_PAD src0_sel:WORD_0
	;; [unrolled: 2-line block ×4, first 2 shown]
	;;#ASMSTART
	v_pk_mul_f32 v[32:33], v[32:33], v[6:7]
	;;#ASMEND
	;;#ASMSTART
	v_pk_mul_f32 v[30:31], v[30:31], v[8:9]
	;;#ASMEND
	;; [unrolled: 3-line block ×4, first 2 shown]
.LBB792_9:
	s_or_b64 exec, exec, s[8:9]
	s_load_dword s7, s[4:5], 0x80
	s_mov_b64 s[8:9], -1
	s_and_b64 vcc, exec, s[14:15]
	s_cbranch_vccnz .LBB792_13
; %bb.10:
	s_andn2_b64 vcc, exec, s[8:9]
	s_cbranch_vccz .LBB792_16
.LBB792_11:
	s_cmp_lt_i32 s20, 1
	s_cbranch_scc0 .LBB792_23
.LBB792_12:
	s_endpgm
.LBB792_13:
	s_and_saveexec_b64 s[14:15], s[2:3]
	s_cbranch_execz .LBB792_15
; %bb.14:
	s_waitcnt lgkmcnt(0)
	s_mul_hi_i32 s9, s7, s6
	s_mul_i32 s8, s7, s6
	s_lshl_b64 s[8:9], s[8:9], 1
	s_add_u32 s8, s28, s8
	s_addc_u32 s9, s29, s9
	s_mov_b32 s16, 0x7060302
	s_and_b32 s9, s9, 0xffff
	s_mov_b32 s11, 0x20000
	s_waitcnt vmcnt(0)
	v_perm_b32 v5, v23, v22, s16
	v_perm_b32 v4, v21, v20, s16
	;; [unrolled: 1-line block ×4, first 2 shown]
	v_lshlrev_b32_e32 v6, 5, v0
	buffer_store_dwordx4 v[2:5], v6, s[8:11], 0 offen
	;;#ASMSTART
	s_nop 0
	;;#ASMEND
	s_nop 0
	v_perm_b32 v5, v29, v28, s16
	v_perm_b32 v4, v27, v26, s16
	v_perm_b32 v3, v31, v30, s16
	v_perm_b32 v2, v33, v32, s16
	buffer_store_dwordx4 v[2:5], v6, s[8:11], 16 offen
	;;#ASMSTART
	s_nop 0
	;;#ASMEND
.LBB792_15:
	s_or_b64 exec, exec, s[14:15]
	s_cbranch_execnz .LBB792_11
.LBB792_16:
	s_waitcnt vmcnt(0)
	v_mov_b32_e32 v2, 0
	s_and_saveexec_b64 s[8:9], s[2:3]
	s_cbranch_execz .LBB792_18
; %bb.17:
	v_and_b32_e32 v2, 0x7fffffff, v18
	v_and_b32_e32 v3, 0x7fffffff, v19
	v_mov_b32_e32 v4, 0x2edbe6ff
	;;#ASMSTART
	v_max3_f32 v2, v4, v2, v3

	;;#ASMEND
	v_and_b32_e32 v3, 0x7fffffff, v24
	v_and_b32_e32 v4, 0x7fffffff, v25
	;;#ASMSTART
	v_max3_f32 v2, v2, v3, v4

	;;#ASMEND
	v_and_b32_e32 v3, 0x7fffffff, v20
	v_and_b32_e32 v4, 0x7fffffff, v21
	;; [unrolled: 6-line block ×7, first 2 shown]
	;;#ASMSTART
	v_max3_f32 v2, v2, v3, v4

	;;#ASMEND
.LBB792_18:
	s_or_b64 exec, exec, s[8:9]
	s_load_dwordx4 s[24:27], s[4:5], 0x70
	;;#ASMSTART
	v_max_f32 v3, v2, v2 quad_perm:[1,0,3,2] row_mask:0xf bank_mask:0xf bound_ctrl:1
	;;#ASMEND
	;;#ASMSTART
	v_max_f32 v4, v3, v3 quad_perm:[2,3,0,1] row_mask:0xf bank_mask:0xf bound_ctrl:1
	;;#ASMEND
	v_and_b32_e32 v3, 7, v0
	v_cmp_eq_u32_e32 vcc, 0, v3
	v_cmp_gt_i32_e64 s[8:9], s19, v1
	s_and_b64 s[10:11], vcc, s[8:9]
	;;#ASMSTART
	v_max_f32 v2, v4, v4 row_half_mirror row_mask:0xf bank_mask:0xf bound_ctrl:1
	;;#ASMEND
	s_and_saveexec_b64 s[8:9], s[10:11]
	s_cbranch_execz .LBB792_20
; %bb.19:
	s_load_dwordx2 s[10:11], s[4:5], 0x8
	v_mul_f32_e32 v2, 0x3e2aaaab, v2
	v_lshrrev_b32_e32 v3, 23, v2
	v_and_b32_e32 v4, 0x7f800000, v2
	v_and_b32_e32 v2, 0x7fffff, v2
	v_cmp_ne_u32_e32 vcc, 0, v2
	s_waitcnt lgkmcnt(0)
	s_mul_i32 s16, s25, s6
	s_mov_b32 s14, 0x7f800000
	v_addc_co_u32_e32 v2, vcc, 0, v3, vcc
	s_mul_hi_i32 s15, s25, s6
	s_add_u32 s10, s10, s16
	v_cmp_ne_u32_e32 vcc, s14, v4
	s_addc_u32 s11, s11, s15
	v_lshrrev_b32_e32 v5, 3, v0
	v_cndmask_b32_e32 v4, -1, v2, vcc
	v_pk_mov_b32 v[2:3], s[10:11], s[10:11] op_sel:[0,1]
	v_mad_i64_i32 v[2:3], s[10:11], s26, v5, v[2:3]
	global_store_byte v[2:3], v4, off
.LBB792_20:
	s_or_b64 exec, exec, s[8:9]
	s_and_saveexec_b64 s[8:9], s[2:3]
	s_cbranch_execz .LBB792_22
; %bb.21:
	s_load_dwordx2 s[2:3], s[4:5], 0x0
	s_waitcnt lgkmcnt(0)
	s_mul_i32 s11, s24, s6
	s_mul_hi_i32 s10, s24, s6
	v_mov_b32_e32 v2, 0
	v_lshlrev_b32_e32 v4, 3, v0
	s_add_u32 s24, s2, s11
	s_addc_u32 s2, s3, s10
	s_lshr_b32 s3, s19, 31
	s_add_i32 s3, s19, s3
	s_ashr_i32 s3, s3, 1
	s_add_i32 s3, s3, 3
	s_ashr_i32 s10, s3, 31
	s_lshr_b32 s10, s10, 30
	s_add_i32 s3, s3, s10
	s_and_b32 s26, s3, -4
	s_and_b32 s25, s2, 0xffff
	s_mov_b32 s27, 0x20000
	v_mov_b32_e32 v3, v2
	buffer_store_dwordx2 v[2:3], v4, s[24:27], 0 offen
	;;#ASMSTART
	s_nop 0
	;;#ASMEND
.LBB792_22:
	s_or_b64 exec, exec, s[8:9]
	s_cmp_lt_i32 s20, 1
	s_cbranch_scc1 .LBB792_12
.LBB792_23:
	s_load_dword s2, s[4:5], 0x94
	s_waitcnt lgkmcnt(0)
	s_cmp_lg_u32 s2, 1
	s_cbranch_scc1 .LBB792_12
; %bb.24:
	s_lshl_b32 s2, s20, 1
	s_add_i32 s2, s2, 2
	v_cmp_gt_u32_e32 vcc, s20, v1
	s_and_b32 s14, s2, -4
	v_mov_b32_e32 v18, 0
	v_lshlrev_b32_e32 v1, 5, v0
	v_mov_b32_e32 v14, 0
	v_mov_b32_e32 v15, 0
	;; [unrolled: 1-line block ×8, first 2 shown]
	s_waitcnt vmcnt(1)
	v_mov_b32_e32 v6, 0
	v_mov_b32_e32 v7, 0
	;; [unrolled: 1-line block ×4, first 2 shown]
	s_waitcnt vmcnt(0)
	v_mov_b32_e32 v2, 0
	v_mov_b32_e32 v3, 0
	;; [unrolled: 1-line block ×4, first 2 shown]
	s_barrier
	s_and_saveexec_b64 s[2:3], vcc
	s_cbranch_execz .LBB792_26
; %bb.25:
	s_mul_hi_i32 s5, s22, s6
	s_mul_i32 s4, s22, s6
	s_and_b32 s13, s13, 0xffff
	s_lshl_b64 s[4:5], s[4:5], 1
	s_add_u32 s8, s30, s4
	s_mov_b32 s15, 0x20000
	s_addc_u32 s4, s31, s5
	s_and_b32 s9, s4, 0xffff
	s_mov_b32 s10, s14
	s_mov_b32 s11, s15
	buffer_load_dwordx4 v[14:17], v1, s[8:11], 0 offen
	buffer_load_dwordx4 v[10:13], v1, s[8:11], 16 offen
	;; [unrolled: 1-line block ×4, first 2 shown]
.LBB792_26:
	s_or_b64 exec, exec, s[2:3]
	v_mov_b32_e32 v19, 0
	v_mov_b32_e32 v32, 0
	;; [unrolled: 1-line block ×15, first 2 shown]
	s_and_saveexec_b64 s[2:3], vcc
	s_cbranch_execz .LBB792_28
; %bb.27:
	s_waitcnt vmcnt(3)
	v_cvt_f32_u32_sdwa v18, v14 dst_sel:DWORD dst_unused:UNUSED_PAD src0_sel:WORD_0
	v_cvt_f32_u32_sdwa v19, v14 dst_sel:DWORD dst_unused:UNUSED_PAD src0_sel:WORD_1
	v_cvt_f32_u32_sdwa v32, v15 dst_sel:DWORD dst_unused:UNUSED_PAD src0_sel:WORD_0
	v_cvt_f32_u32_sdwa v33, v15 dst_sel:DWORD dst_unused:UNUSED_PAD src0_sel:WORD_1
	;; [unrolled: 2-line block ×4, first 2 shown]
	s_waitcnt vmcnt(2)
	v_cvt_f32_u32_sdwa v26, v10 dst_sel:DWORD dst_unused:UNUSED_PAD src0_sel:WORD_0
	v_cvt_f32_u32_sdwa v27, v10 dst_sel:DWORD dst_unused:UNUSED_PAD src0_sel:WORD_1
	v_cvt_f32_u32_sdwa v24, v11 dst_sel:DWORD dst_unused:UNUSED_PAD src0_sel:WORD_0
	v_cvt_f32_u32_sdwa v25, v11 dst_sel:DWORD dst_unused:UNUSED_PAD src0_sel:WORD_1
	v_cvt_f32_u32_sdwa v22, v12 dst_sel:DWORD dst_unused:UNUSED_PAD src0_sel:WORD_0
	v_cvt_f32_u32_sdwa v23, v12 dst_sel:DWORD dst_unused:UNUSED_PAD src0_sel:WORD_1
	v_cvt_f32_u32_sdwa v20, v13 dst_sel:DWORD dst_unused:UNUSED_PAD src0_sel:WORD_0
	v_cvt_f32_u32_sdwa v21, v13 dst_sel:DWORD dst_unused:UNUSED_PAD src0_sel:WORD_1
.LBB792_28:
	s_or_b64 exec, exec, s[2:3]
	s_waitcnt vmcnt(2)
	v_mul_f32_e32 v10, v19, v19
	v_fmac_f32_e32 v10, v18, v18
	v_fmac_f32_e32 v10, v32, v32
	;; [unrolled: 1-line block ×15, first 2 shown]
	s_nop 1
	v_mov_b32_dpp v11, v10 quad_perm:[1,0,3,2] row_mask:0xf bank_mask:0xf
	v_add_f32_e32 v10, v10, v11
	s_nop 1
	v_mov_b32_dpp v11, v10 quad_perm:[2,3,0,1] row_mask:0xf bank_mask:0xf
	v_add_f32_e32 v10, v10, v11
	s_nop 1
	v_mov_b32_dpp v11, v10 row_half_mirror row_mask:0xf bank_mask:0xf
	v_add_f32_e32 v10, v10, v11
	s_nop 1
	v_mov_b32_dpp v11, v10 row_mirror row_mask:0xf bank_mask:0xf
	v_add_f32_e32 v10, v10, v11
	s_nop 1
	v_mov_b32_dpp v11, v10 row_bcast:15 row_mask:0xf bank_mask:0xf
	v_add_f32_e32 v10, v10, v11
	s_nop 1
	v_mov_b32_dpp v11, v10 row_bcast:31 row_mask:0xf bank_mask:0xf
	s_and_saveexec_b64 s[2:3], s[0:1]
	s_cbranch_execz .LBB792_30
; %bb.29:
	v_lshrrev_b32_e32 v0, 4, v0
	v_add_f32_e32 v10, v10, v11
	v_and_b32_e32 v0, 60, v0
	ds_write_b32 v0, v10
.LBB792_30:
	s_or_b64 exec, exec, s[2:3]
	s_waitcnt lgkmcnt(0)
	s_barrier
	ds_read_b32 v0, v34
	s_waitcnt lgkmcnt(0)
	s_nop 0
	v_mov_b32_dpp v10, v0 quad_perm:[1,0,3,2] row_mask:0xf bank_mask:0xf
	v_add_f32_e32 v0, v0, v10
	s_nop 1
	v_mov_b32_dpp v10, v0 quad_perm:[2,3,0,1] row_mask:0xf bank_mask:0xf
	s_and_saveexec_b64 s[0:1], vcc
	s_cbranch_execz .LBB792_12
; %bb.31:
	v_cvt_f32_u32_e32 v11, s20
	v_add_f32_e32 v0, v0, v10
	s_mov_b32 s15, 0x20000
	v_div_scale_f32 v10, s[0:1], v11, v11, v0
	v_rcp_f32_e32 v12, v10
	v_div_scale_f32 v13, vcc, v0, v11, v0
	s_mov_b32 s0, 0x800000
	v_fma_f32 v14, -v10, v12, 1.0
	v_fmac_f32_e32 v12, v14, v12
	v_mul_f32_e32 v14, v13, v12
	v_fma_f32 v15, -v10, v14, v13
	v_fmac_f32_e32 v14, v15, v12
	v_fma_f32 v10, -v10, v14, v13
	v_div_fmas_f32 v10, v10, v12, v14
	v_div_fixup_f32 v0, v10, v11, v0
	v_add_f32_e32 v0, s17, v0
	v_mul_f32_e32 v10, 0x4b800000, v0
	v_cmp_gt_f32_e32 vcc, s0, v0
	v_cndmask_b32_e32 v0, v0, v10, vcc
	v_rsq_f32_e32 v0, v0
	s_mul_hi_i32 s1, s7, s6
	s_mul_i32 s0, s7, s6
	s_lshl_b64 s[0:1], s[0:1], 1
	v_mul_f32_e32 v10, 0x45800000, v0
	v_cndmask_b32_e32 v10, v0, v10, vcc
	v_mov_b32_e32 v11, v10
	s_add_u32 s12, s28, s0
	;;#ASMSTART
	v_pk_mul_f32 v[12:13], v[18:19], v[10:11]
	;;#ASMEND
	;;#ASMSTART
	v_pk_mul_f32 v[14:15], v[32:33], v[10:11]
	;;#ASMEND
	;; [unrolled: 3-line block ×8, first 2 shown]
	s_waitcnt vmcnt(1)
	v_cvt_f32_u32_sdwa v21, v6 dst_sel:DWORD dst_unused:UNUSED_PAD src0_sel:WORD_1
	v_cvt_f32_u32_sdwa v20, v6 dst_sel:DWORD dst_unused:UNUSED_PAD src0_sel:WORD_0
	v_cvt_f32_u32_sdwa v29, v7 dst_sel:DWORD dst_unused:UNUSED_PAD src0_sel:WORD_1
	v_cvt_f32_u32_sdwa v28, v7 dst_sel:DWORD dst_unused:UNUSED_PAD src0_sel:WORD_0
	;; [unrolled: 2-line block ×3, first 2 shown]
	s_addc_u32 s0, s29, s1
	v_cvt_f32_u32_sdwa v31, v9 dst_sel:DWORD dst_unused:UNUSED_PAD src0_sel:WORD_1
	v_cvt_f32_u32_sdwa v30, v9 dst_sel:DWORD dst_unused:UNUSED_PAD src0_sel:WORD_0
	;;#ASMSTART
	v_pk_mul_f32 v[8:9], v[12:13], v[20:21]
	;;#ASMEND
	;;#ASMSTART
	v_pk_mul_f32 v[12:13], v[14:15], v[28:29]
	;;#ASMEND
	;; [unrolled: 3-line block ×4, first 2 shown]
	s_waitcnt vmcnt(0)
	v_cvt_f32_u32_sdwa v17, v2 dst_sel:DWORD dst_unused:UNUSED_PAD src0_sel:WORD_1
	v_cvt_f32_u32_sdwa v16, v2 dst_sel:DWORD dst_unused:UNUSED_PAD src0_sel:WORD_0
	v_cvt_f32_u32_sdwa v19, v3 dst_sel:DWORD dst_unused:UNUSED_PAD src0_sel:WORD_1
	v_cvt_f32_u32_sdwa v18, v3 dst_sel:DWORD dst_unused:UNUSED_PAD src0_sel:WORD_0
	v_cvt_f32_u32_sdwa v3, v4 dst_sel:DWORD dst_unused:UNUSED_PAD src0_sel:WORD_1
	v_cvt_f32_u32_sdwa v2, v4 dst_sel:DWORD dst_unused:UNUSED_PAD src0_sel:WORD_0
	s_and_b32 s13, s0, 0xffff
	s_mov_b32 s0, 0x7060302
	v_cvt_f32_u32_sdwa v21, v5 dst_sel:DWORD dst_unused:UNUSED_PAD src0_sel:WORD_1
	v_cvt_f32_u32_sdwa v20, v5 dst_sel:DWORD dst_unused:UNUSED_PAD src0_sel:WORD_0
	;;#ASMSTART
	v_pk_mul_f32 v[16:17], v[26:27], v[16:17]
	;;#ASMEND
	;;#ASMSTART
	v_pk_mul_f32 v[18:19], v[24:25], v[18:19]
	;;#ASMEND
	;; [unrolled: 3-line block ×3, first 2 shown]
	v_perm_b32 v2, v9, v8, s0
	v_perm_b32 v3, v13, v12, s0
	;; [unrolled: 1-line block ×4, first 2 shown]
	;;#ASMSTART
	v_pk_mul_f32 v[10:11], v[10:11], v[20:21]
	;;#ASMEND
	buffer_store_dwordx4 v[2:5], v1, s[12:15], 0 offen
	;;#ASMSTART
	s_nop 0
	;;#ASMEND
	s_nop 0
	v_perm_b32 v2, v17, v16, s0
	v_perm_b32 v3, v19, v18, s0
	;; [unrolled: 1-line block ×4, first 2 shown]
	buffer_store_dwordx4 v[2:5], v1, s[12:15], 16 offen
	;;#ASMSTART
	s_nop 0
	;;#ASMEND
	s_endpgm
	.section	.rodata,"a",@progbits
	.p2align	6, 0x0
	.amdhsa_kernel _ZN5aiter35fused_qk_rmsnorm_group_quant_kernelItN4opus5fp4_tELi256ELi16ELi8ELb0ELb0ELb0ELb0ELb0ELb0EEEvPT0_PvPT_S7_S7_PKS6_S9_S9_S9_S9_ffiiiiiiiiiiiii
		.amdhsa_group_segment_fixed_size 32
		.amdhsa_private_segment_fixed_size 0
		.amdhsa_kernarg_size 400
		.amdhsa_user_sgpr_count 6
		.amdhsa_user_sgpr_private_segment_buffer 1
		.amdhsa_user_sgpr_dispatch_ptr 0
		.amdhsa_user_sgpr_queue_ptr 0
		.amdhsa_user_sgpr_kernarg_segment_ptr 1
		.amdhsa_user_sgpr_dispatch_id 0
		.amdhsa_user_sgpr_flat_scratch_init 0
		.amdhsa_user_sgpr_kernarg_preload_length 0
		.amdhsa_user_sgpr_kernarg_preload_offset 0
		.amdhsa_user_sgpr_private_segment_size 0
		.amdhsa_uses_dynamic_stack 0
		.amdhsa_system_sgpr_private_segment_wavefront_offset 0
		.amdhsa_system_sgpr_workgroup_id_x 1
		.amdhsa_system_sgpr_workgroup_id_y 1
		.amdhsa_system_sgpr_workgroup_id_z 0
		.amdhsa_system_sgpr_workgroup_info 0
		.amdhsa_system_vgpr_workitem_id 0
		.amdhsa_next_free_vgpr 35
		.amdhsa_next_free_sgpr 32
		.amdhsa_accum_offset 36
		.amdhsa_reserve_vcc 1
		.amdhsa_reserve_flat_scratch 0
		.amdhsa_float_round_mode_32 0
		.amdhsa_float_round_mode_16_64 0
		.amdhsa_float_denorm_mode_32 3
		.amdhsa_float_denorm_mode_16_64 3
		.amdhsa_dx10_clamp 1
		.amdhsa_ieee_mode 1
		.amdhsa_fp16_overflow 0
		.amdhsa_tg_split 0
		.amdhsa_exception_fp_ieee_invalid_op 0
		.amdhsa_exception_fp_denorm_src 0
		.amdhsa_exception_fp_ieee_div_zero 0
		.amdhsa_exception_fp_ieee_overflow 0
		.amdhsa_exception_fp_ieee_underflow 0
		.amdhsa_exception_fp_ieee_inexact 0
		.amdhsa_exception_int_div_zero 0
	.end_amdhsa_kernel
	.section	.text._ZN5aiter35fused_qk_rmsnorm_group_quant_kernelItN4opus5fp4_tELi256ELi16ELi8ELb0ELb0ELb0ELb0ELb0ELb0EEEvPT0_PvPT_S7_S7_PKS6_S9_S9_S9_S9_ffiiiiiiiiiiiii,"axG",@progbits,_ZN5aiter35fused_qk_rmsnorm_group_quant_kernelItN4opus5fp4_tELi256ELi16ELi8ELb0ELb0ELb0ELb0ELb0ELb0EEEvPT0_PvPT_S7_S7_PKS6_S9_S9_S9_S9_ffiiiiiiiiiiiii,comdat
.Lfunc_end792:
	.size	_ZN5aiter35fused_qk_rmsnorm_group_quant_kernelItN4opus5fp4_tELi256ELi16ELi8ELb0ELb0ELb0ELb0ELb0ELb0EEEvPT0_PvPT_S7_S7_PKS6_S9_S9_S9_S9_ffiiiiiiiiiiiii, .Lfunc_end792-_ZN5aiter35fused_qk_rmsnorm_group_quant_kernelItN4opus5fp4_tELi256ELi16ELi8ELb0ELb0ELb0ELb0ELb0ELb0EEEvPT0_PvPT_S7_S7_PKS6_S9_S9_S9_S9_ffiiiiiiiiiiiii
                                        ; -- End function
	.section	.AMDGPU.csdata,"",@progbits
; Kernel info:
; codeLenInByte = 3144
; NumSgprs: 36
; NumVgprs: 35
; NumAgprs: 0
; TotalNumVgprs: 35
; ScratchSize: 0
; MemoryBound: 0
; FloatMode: 240
; IeeeMode: 1
; LDSByteSize: 32 bytes/workgroup (compile time only)
; SGPRBlocks: 4
; VGPRBlocks: 4
; NumSGPRsForWavesPerEU: 36
; NumVGPRsForWavesPerEU: 35
; AccumOffset: 36
; Occupancy: 8
; WaveLimiterHint : 0
; COMPUTE_PGM_RSRC2:SCRATCH_EN: 0
; COMPUTE_PGM_RSRC2:USER_SGPR: 6
; COMPUTE_PGM_RSRC2:TRAP_HANDLER: 0
; COMPUTE_PGM_RSRC2:TGID_X_EN: 1
; COMPUTE_PGM_RSRC2:TGID_Y_EN: 1
; COMPUTE_PGM_RSRC2:TGID_Z_EN: 0
; COMPUTE_PGM_RSRC2:TIDIG_COMP_CNT: 0
; COMPUTE_PGM_RSRC3_GFX90A:ACCUM_OFFSET: 8
; COMPUTE_PGM_RSRC3_GFX90A:TG_SPLIT: 0
	.section	.text._ZN5aiter35fused_qk_rmsnorm_group_quant_kernelIDF16_DB8_Li256ELi16ELi4ELb1ELb1ELb1ELb1ELb0ELb0EEEvPT0_PvPT_S6_S6_PKS5_S8_S8_S8_S8_ffiiiiiiiiiiiii,"axG",@progbits,_ZN5aiter35fused_qk_rmsnorm_group_quant_kernelIDF16_DB8_Li256ELi16ELi4ELb1ELb1ELb1ELb1ELb0ELb0EEEvPT0_PvPT_S6_S6_PKS5_S8_S8_S8_S8_ffiiiiiiiiiiiii,comdat
	.protected	_ZN5aiter35fused_qk_rmsnorm_group_quant_kernelIDF16_DB8_Li256ELi16ELi4ELb1ELb1ELb1ELb1ELb0ELb0EEEvPT0_PvPT_S6_S6_PKS5_S8_S8_S8_S8_ffiiiiiiiiiiiii ; -- Begin function _ZN5aiter35fused_qk_rmsnorm_group_quant_kernelIDF16_DB8_Li256ELi16ELi4ELb1ELb1ELb1ELb1ELb0ELb0EEEvPT0_PvPT_S6_S6_PKS5_S8_S8_S8_S8_ffiiiiiiiiiiiii
	.globl	_ZN5aiter35fused_qk_rmsnorm_group_quant_kernelIDF16_DB8_Li256ELi16ELi4ELb1ELb1ELb1ELb1ELb0ELb0EEEvPT0_PvPT_S6_S6_PKS5_S8_S8_S8_S8_ffiiiiiiiiiiiii
	.p2align	8
	.type	_ZN5aiter35fused_qk_rmsnorm_group_quant_kernelIDF16_DB8_Li256ELi16ELi4ELb1ELb1ELb1ELb1ELb0ELb0EEEvPT0_PvPT_S6_S6_PKS5_S8_S8_S8_S8_ffiiiiiiiiiiiii,@function
_ZN5aiter35fused_qk_rmsnorm_group_quant_kernelIDF16_DB8_Li256ELi16ELi4ELb1ELb1ELb1ELb1ELb0ELb0EEEvPT0_PvPT_S6_S6_PKS5_S8_S8_S8_S8_ffiiiiiiiiiiiii: ; @_ZN5aiter35fused_qk_rmsnorm_group_quant_kernelIDF16_DB8_Li256ELi16ELi4ELb1ELb1ELb1ELb1ELb0ELb0EEEvPT0_PvPT_S6_S6_PKS5_S8_S8_S8_S8_ffiiiiiiiiiiiii
; %bb.0:
	s_load_dwordx8 s[12:19], s[4:5], 0x50
	s_waitcnt lgkmcnt(0)
	s_cmp_ge_i32 s6, s14
	s_cbranch_scc1 .LBB793_17
; %bb.1:
	s_cmp_lg_u32 s7, 0
	s_cselect_b64 s[22:23], -1, 0
	s_cmp_eq_u32 s7, 0
	s_cselect_b64 s[2:3], -1, 0
	s_and_b64 s[0:1], s[2:3], exec
	s_cselect_b32 s7, s15, s16
	s_load_dwordx2 s[10:11], s[4:5], 0x30
	s_load_dwordx2 s[20:21], s[4:5], 0x48
	s_add_i32 s0, s7, 1
	s_lshr_b32 s1, s0, 31
	s_add_i32 s0, s0, s1
	s_lshl_b32 s0, s0, 1
	v_lshlrev_b32_e32 v1, 4, v0
	s_and_b32 s30, s0, -4
	v_cmp_gt_i32_e64 s[0:1], s7, v1
	v_mov_b32_e32 v6, 0
	v_mov_b32_e32 v7, 0
	;; [unrolled: 1-line block ×16, first 2 shown]
	s_and_saveexec_b64 s[8:9], s[0:1]
	s_cbranch_execz .LBB793_3
; %bb.2:
	s_load_dwordx2 s[14:15], s[4:5], 0x28
	s_load_dwordx2 s[26:27], s[4:5], 0x40
	s_and_b64 s[24:25], s[2:3], exec
	s_cselect_b32 s17, s17, s18
	s_mov_b32 s31, 0x20000
	s_waitcnt lgkmcnt(0)
	s_cselect_b32 s25, s15, s11
	s_cselect_b32 s24, s14, s10
	s_mul_hi_i32 s15, s17, s6
	s_mul_i32 s14, s17, s6
	s_lshl_b64 s[14:15], s[14:15], 1
	s_add_u32 s24, s24, s14
	s_addc_u32 s17, s25, s15
	s_and_b64 s[14:15], s[2:3], exec
	s_cselect_b32 s28, s26, s20
	s_cselect_b32 s14, s27, s21
	s_and_b32 s25, s17, 0xffff
	s_mov_b32 s26, s30
	s_mov_b32 s27, s31
	v_lshlrev_b32_e32 v18, 5, v0
	s_and_b32 s29, s14, 0xffff
	buffer_load_dwordx4 v[10:13], v18, s[24:27], 0 offen
	buffer_load_dwordx4 v[14:17], v18, s[24:27], 16 offen
	;; [unrolled: 1-line block ×4, first 2 shown]
.LBB793_3:
	s_or_b64 exec, exec, s[8:9]
	s_load_dwordx4 s[24:27], s[4:5], 0x7c
	s_and_b64 vcc, exec, s[22:23]
	s_cbranch_vccz .LBB793_7
; %bb.4:
	v_mov_b32_e32 v19, 0
	v_mov_b32_e32 v18, 0
	;; [unrolled: 1-line block ×16, first 2 shown]
	s_and_saveexec_b64 s[8:9], s[0:1]
	s_cbranch_execz .LBB793_6
; %bb.5:
	s_waitcnt vmcnt(3)
	v_cvt_f32_f16_sdwa v27, v10 dst_sel:DWORD dst_unused:UNUSED_PAD src0_sel:WORD_1
	v_cvt_f32_f16_e32 v26, v10
	v_cvt_f32_f16_sdwa v31, v11 dst_sel:DWORD dst_unused:UNUSED_PAD src0_sel:WORD_1
	v_cvt_f32_f16_e32 v30, v11
	;; [unrolled: 2-line block ×4, first 2 shown]
	s_waitcnt vmcnt(2)
	v_cvt_f32_f16_sdwa v21, v14 dst_sel:DWORD dst_unused:UNUSED_PAD src0_sel:WORD_1
	v_cvt_f32_f16_e32 v20, v14
	v_cvt_f32_f16_sdwa v25, v15 dst_sel:DWORD dst_unused:UNUSED_PAD src0_sel:WORD_1
	v_cvt_f32_f16_e32 v24, v15
	;; [unrolled: 2-line block ×4, first 2 shown]
.LBB793_6:
	s_or_b64 exec, exec, s[8:9]
	s_cbranch_execz .LBB793_8
	s_branch .LBB793_11
.LBB793_7:
                                        ; implicit-def: $vgpr19
                                        ; implicit-def: $vgpr23
                                        ; implicit-def: $vgpr25
                                        ; implicit-def: $vgpr21
                                        ; implicit-def: $vgpr33
                                        ; implicit-def: $vgpr29
                                        ; implicit-def: $vgpr31
                                        ; implicit-def: $vgpr27
.LBB793_8:
	v_mov_b32_e32 v19, 0
	v_mov_b32_e32 v18, 0
	;; [unrolled: 1-line block ×16, first 2 shown]
	s_and_saveexec_b64 s[8:9], s[0:1]
	s_cbranch_execz .LBB793_10
; %bb.9:
	s_load_dwordx2 s[14:15], s[4:5], 0x38
	s_mul_hi_i32 s29, s19, s6
	s_mul_i32 s28, s19, s6
	s_lshl_b64 s[28:29], s[28:29], 1
	s_mov_b32 s31, 0x20000
	s_waitcnt lgkmcnt(0)
	s_add_u32 s28, s14, s28
	s_addc_u32 s14, s15, s29
	s_and_b32 s29, s14, 0xffff
	v_lshlrev_b32_e32 v48, 5, v0
	buffer_load_dwordx4 v[18:21], v48, s[28:31], 16 offen
	buffer_load_dwordx4 v[22:25], v48, s[28:31], 0 offen
	s_waitcnt vmcnt(4)
	v_cvt_f32_f16_sdwa v27, v14 dst_sel:DWORD dst_unused:UNUSED_PAD src0_sel:WORD_1
	v_cvt_f32_f16_e32 v26, v14
	v_cvt_f32_f16_sdwa v29, v15 dst_sel:DWORD dst_unused:UNUSED_PAD src0_sel:WORD_1
	v_cvt_f32_f16_e32 v28, v15
	;; [unrolled: 2-line block ×8, first 2 shown]
	s_load_dwordx2 s[14:15], s[4:5], 0x20
	s_mul_hi_i32 s27, s26, s6
	s_mul_i32 s26, s26, s6
	s_lshl_b64 s[26:27], s[26:27], 1
	s_waitcnt lgkmcnt(0)
	s_add_u32 s28, s14, s26
	s_addc_u32 s14, s15, s27
	s_and_b32 s29, s14, 0xffff
	s_waitcnt vmcnt(1)
	v_cvt_f32_f16_e32 v12, v18
	v_cvt_f32_f16_sdwa v13, v18 dst_sel:DWORD dst_unused:UNUSED_PAD src0_sel:WORD_1
	v_cvt_f32_f16_e32 v18, v19
	v_cvt_f32_f16_sdwa v19, v19 dst_sel:DWORD dst_unused:UNUSED_PAD src0_sel:WORD_1
	;; [unrolled: 2-line block ×4, first 2 shown]
	s_waitcnt vmcnt(0)
	v_cvt_f32_f16_e32 v40, v22
	v_cvt_f32_f16_sdwa v41, v22 dst_sel:DWORD dst_unused:UNUSED_PAD src0_sel:WORD_1
	v_cvt_f32_f16_e32 v42, v23
	v_cvt_f32_f16_sdwa v43, v23 dst_sel:DWORD dst_unused:UNUSED_PAD src0_sel:WORD_1
	;; [unrolled: 2-line block ×4, first 2 shown]
	v_pk_add_f32 v[20:21], v[26:27], v[12:13]
	v_pk_add_f32 v[24:25], v[28:29], v[18:19]
	;; [unrolled: 1-line block ×8, first 2 shown]
	v_cvt_f16_f32_e32 v10, v27
	v_cvt_f16_f32_e32 v14, v26
	;; [unrolled: 1-line block ×16, first 2 shown]
	v_pack_b32_f16 v13, v17, v13
	v_pack_b32_f16 v12, v16, v12
	;; [unrolled: 1-line block ×8, first 2 shown]
	buffer_store_dwordx4 v[10:13], v48, s[28:31], 0 offen
	;;#ASMSTART
	s_nop 0
	;;#ASMEND
	buffer_store_dwordx4 v[14:17], v48, s[28:31], 16 offen
	;;#ASMSTART
	s_nop 0
	;;#ASMEND
.LBB793_10:
	s_or_b64 exec, exec, s[8:9]
.LBB793_11:
	s_waitcnt vmcnt(3)
	v_mul_f32_e32 v10, v27, v27
	v_fmac_f32_e32 v10, v26, v26
	v_fmac_f32_e32 v10, v30, v30
	v_fmac_f32_e32 v10, v31, v31
	v_fmac_f32_e32 v10, v28, v28
	v_fmac_f32_e32 v10, v29, v29
	v_fmac_f32_e32 v10, v32, v32
	v_fmac_f32_e32 v10, v33, v33
	v_fmac_f32_e32 v10, v20, v20
	v_fmac_f32_e32 v10, v21, v21
	v_fmac_f32_e32 v10, v24, v24
	v_fmac_f32_e32 v10, v25, v25
	v_fmac_f32_e32 v10, v22, v22
	v_fmac_f32_e32 v10, v23, v23
	v_fmac_f32_e32 v10, v18, v18
	v_fmac_f32_e32 v10, v19, v19
	v_and_b32_e32 v12, 63, v0
	v_cmp_eq_u32_e64 s[8:9], 63, v12
	v_mov_b32_dpp v11, v10 quad_perm:[1,0,3,2] row_mask:0xf bank_mask:0xf
	v_add_f32_e32 v10, v10, v11
	s_nop 1
	v_mov_b32_dpp v11, v10 quad_perm:[2,3,0,1] row_mask:0xf bank_mask:0xf
	v_add_f32_e32 v10, v10, v11
	s_nop 1
	v_mov_b32_dpp v11, v10 row_half_mirror row_mask:0xf bank_mask:0xf
	v_add_f32_e32 v10, v10, v11
	s_nop 1
	v_mov_b32_dpp v11, v10 row_mirror row_mask:0xf bank_mask:0xf
	v_add_f32_e32 v10, v10, v11
	s_nop 1
	v_mov_b32_dpp v11, v10 row_bcast:15 row_mask:0xf bank_mask:0xf
	v_add_f32_e32 v10, v10, v11
	s_nop 1
	v_mov_b32_dpp v11, v10 row_bcast:31 row_mask:0xf bank_mask:0xf
	s_and_saveexec_b64 s[14:15], s[8:9]
	s_cbranch_execz .LBB793_13
; %bb.12:
	v_add_f32_e32 v10, v10, v11
	v_lshrrev_b32_e32 v11, 4, v0
	v_and_b32_e32 v11, 60, v11
	ds_write_b32 v11, v10 offset:16
.LBB793_13:
	s_or_b64 exec, exec, s[14:15]
	v_and_b32_e32 v10, 3, v0
	v_lshlrev_b32_e32 v34, 2, v10
	s_waitcnt lgkmcnt(0)
	s_barrier
	ds_read_b32 v10, v34 offset:16
	s_load_dwordx2 s[14:15], s[4:5], 0x18
	s_waitcnt lgkmcnt(0)
	v_mov_b32_dpp v11, v10 quad_perm:[1,0,3,2] row_mask:0xf bank_mask:0xf
	v_add_f32_e32 v10, v10, v11
	s_nop 1
	v_mov_b32_dpp v11, v10 quad_perm:[2,3,0,1] row_mask:0xf bank_mask:0xf
	s_and_saveexec_b64 s[26:27], s[0:1]
	s_cbranch_execnz .LBB793_18
; %bb.14:
	s_or_b64 exec, exec, s[26:27]
	s_mov_b64 s[2:3], -1
	s_and_b64 vcc, exec, s[22:23]
	s_cbranch_vccnz .LBB793_19
.LBB793_15:
	s_andn2_b64 vcc, exec, s[2:3]
	s_cbranch_vccz .LBB793_22
.LBB793_16:
	s_cmp_lt_i32 s16, 1
	s_cbranch_scc0 .LBB793_25
.LBB793_17:
	s_endpgm
.LBB793_18:
	v_cvt_f32_u32_e32 v12, s7
	v_add_f32_e32 v10, v10, v11
	s_waitcnt vmcnt(2)
	v_mov_b32_e32 v14, s13
	v_mov_b32_e32 v15, s12
	v_div_scale_f32 v11, s[28:29], v12, v12, v10
	v_rcp_f32_e32 v13, v11
	v_cndmask_b32_e64 v14, v14, v15, s[2:3]
	s_mov_b32 s2, 0x800000
	v_fma_f32 v15, -v11, v13, 1.0
	v_fmac_f32_e32 v13, v15, v13
	v_div_scale_f32 v15, vcc, v10, v12, v10
	v_mul_f32_e32 v16, v15, v13
	v_fma_f32 v17, -v11, v16, v15
	v_fmac_f32_e32 v16, v17, v13
	v_fma_f32 v11, -v11, v16, v15
	v_div_fmas_f32 v11, v11, v13, v16
	v_div_fixup_f32 v10, v11, v12, v10
	v_add_f32_e32 v10, v14, v10
	v_mul_f32_e32 v11, 0x4b800000, v10
	v_cmp_gt_f32_e32 vcc, s2, v10
	v_cndmask_b32_e32 v10, v10, v11, vcc
	v_rsq_f32_e32 v10, v10
	v_mul_f32_e32 v11, 0x45800000, v10
	v_cndmask_b32_e32 v10, v10, v11, vcc
	v_mov_b32_e32 v11, v10
	;;#ASMSTART
	v_pk_mul_f32 v[12:13], v[26:27], v[10:11]
	;;#ASMEND
	s_waitcnt vmcnt(1)
	v_cvt_f32_f16_sdwa v27, v6 dst_sel:DWORD dst_unused:UNUSED_PAD src0_sel:WORD_1
	v_cvt_f32_f16_e32 v26, v6
	;;#ASMSTART
	v_pk_mul_f32 v[14:15], v[30:31], v[10:11]
	;;#ASMEND
	;;#ASMSTART
	v_pk_mul_f32 v[16:17], v[28:29], v[10:11]
	;;#ASMEND
	v_cvt_f32_f16_sdwa v29, v7 dst_sel:DWORD dst_unused:UNUSED_PAD src0_sel:WORD_1
	v_cvt_f32_f16_e32 v28, v7
	;;#ASMSTART
	v_pk_mul_f32 v[32:33], v[32:33], v[10:11]
	;;#ASMEND
	;;#ASMSTART
	v_pk_mul_f32 v[20:21], v[20:21], v[10:11]
	;;#ASMEND
	;; [unrolled: 3-line block ×5, first 2 shown]
	v_pk_add_f32 v[10:11], v[26:27], 1.0 op_sel_hi:[1,0]
	;;#ASMSTART
	v_pk_mul_f32 v[26:27], v[12:13], v[10:11]
	;;#ASMEND
	v_cvt_f32_f16_sdwa v13, v8 dst_sel:DWORD dst_unused:UNUSED_PAD src0_sel:WORD_1
	v_cvt_f32_f16_e32 v12, v8
	v_cvt_f32_f16_sdwa v19, v9 dst_sel:DWORD dst_unused:UNUSED_PAD src0_sel:WORD_1
	v_cvt_f32_f16_e32 v18, v9
	v_pk_add_f32 v[10:11], v[28:29], 1.0 op_sel_hi:[1,0]
	;;#ASMSTART
	v_pk_mul_f32 v[30:31], v[14:15], v[10:11]
	;;#ASMEND
	s_waitcnt vmcnt(0)
	v_cvt_f32_f16_sdwa v11, v2 dst_sel:DWORD dst_unused:UNUSED_PAD src0_sel:WORD_1
	v_cvt_f32_f16_e32 v10, v2
	v_pk_add_f32 v[8:9], v[12:13], 1.0 op_sel_hi:[1,0]
	;;#ASMSTART
	v_pk_mul_f32 v[28:29], v[16:17], v[8:9]
	;;#ASMEND
	v_pk_add_f32 v[8:9], v[18:19], 1.0 op_sel_hi:[1,0]
	v_cvt_f32_f16_sdwa v13, v3 dst_sel:DWORD dst_unused:UNUSED_PAD src0_sel:WORD_1
	v_cvt_f32_f16_e32 v12, v3
	;;#ASMSTART
	v_pk_mul_f32 v[32:33], v[32:33], v[8:9]
	;;#ASMEND
	v_cvt_f32_f16_sdwa v9, v4 dst_sel:DWORD dst_unused:UNUSED_PAD src0_sel:WORD_1
	v_cvt_f32_f16_e32 v8, v4
	v_pk_add_f32 v[2:3], v[10:11], 1.0 op_sel_hi:[1,0]
	v_cvt_f32_f16_sdwa v11, v5 dst_sel:DWORD dst_unused:UNUSED_PAD src0_sel:WORD_1
	v_cvt_f32_f16_e32 v10, v5
	;;#ASMSTART
	v_pk_mul_f32 v[20:21], v[20:21], v[2:3]
	;;#ASMEND
	v_pk_add_f32 v[2:3], v[12:13], 1.0 op_sel_hi:[1,0]
	;;#ASMSTART
	v_pk_mul_f32 v[24:25], v[24:25], v[2:3]
	;;#ASMEND
	v_pk_add_f32 v[2:3], v[8:9], 1.0 op_sel_hi:[1,0]
	;;#ASMSTART
	v_pk_mul_f32 v[22:23], v[22:23], v[2:3]
	;;#ASMEND
	v_pk_add_f32 v[2:3], v[10:11], 1.0 op_sel_hi:[1,0]
	;;#ASMSTART
	v_pk_mul_f32 v[18:19], v[6:7], v[2:3]
	;;#ASMEND
	s_or_b64 exec, exec, s[26:27]
	s_mov_b64 s[2:3], -1
	s_and_b64 vcc, exec, s[22:23]
	s_cbranch_vccz .LBB793_15
.LBB793_19:
	s_and_saveexec_b64 s[2:3], s[0:1]
	s_cbranch_execz .LBB793_21
; %bb.20:
	s_mul_hi_i32 s23, s25, s6
	s_mul_i32 s22, s25, s6
	s_waitcnt vmcnt(0)
	v_cvt_f16_f32_e32 v2, v26
	v_cvt_f16_f32_e32 v3, v30
	;; [unrolled: 1-line block ×8, first 2 shown]
	s_lshl_b64 s[22:23], s[22:23], 1
	s_add_u32 s28, s14, s22
	s_addc_u32 s7, s15, s23
	s_and_b32 s29, s7, 0xffff
	s_mov_b32 s31, 0x20000
	v_pack_b32_f16 v5, v5, v6
	v_pack_b32_f16 v4, v4, v7
	;; [unrolled: 1-line block ×4, first 2 shown]
	v_lshlrev_b32_e32 v6, 5, v0
	buffer_store_dwordx4 v[2:5], v6, s[28:31], 0 offen
	v_cvt_f16_f32_e32 v7, v19
	v_cvt_f16_f32_e32 v2, v20
	;; [unrolled: 1-line block ×8, first 2 shown]
	v_pack_b32_f16 v5, v5, v7
	v_pack_b32_f16 v4, v4, v8
	;; [unrolled: 1-line block ×4, first 2 shown]
	;;#ASMSTART
	s_nop 0
	;;#ASMEND
	buffer_store_dwordx4 v[2:5], v6, s[28:31], 16 offen
	;;#ASMSTART
	s_nop 0
	;;#ASMEND
.LBB793_21:
	s_or_b64 exec, exec, s[2:3]
	s_cbranch_execnz .LBB793_16
.LBB793_22:
	s_and_saveexec_b64 s[2:3], s[0:1]
	s_cbranch_execz .LBB793_24
; %bb.23:
	s_load_dwordx2 s[0:1], s[4:5], 0x10
	s_mul_hi_i32 s23, s24, s6
	s_mul_i32 s22, s24, s6
	s_waitcnt vmcnt(0)
	v_cvt_f16_f32_e32 v2, v26
	v_cvt_f16_f32_e32 v3, v30
	;; [unrolled: 1-line block ×8, first 2 shown]
	s_lshl_b64 s[22:23], s[22:23], 1
	s_waitcnt lgkmcnt(0)
	s_add_u32 s28, s0, s22
	s_addc_u32 s0, s1, s23
	s_mov_b32 s31, 0x20000
	s_and_b32 s29, s0, 0xffff
	v_pack_b32_f16 v5, v5, v6
	v_pack_b32_f16 v4, v4, v7
	;; [unrolled: 1-line block ×4, first 2 shown]
	v_lshlrev_b32_e32 v6, 5, v0
	buffer_store_dwordx4 v[2:5], v6, s[28:31], 0 offen
	v_cvt_f16_f32_e32 v7, v19
	v_cvt_f16_f32_e32 v2, v20
	;; [unrolled: 1-line block ×8, first 2 shown]
	v_pack_b32_f16 v5, v5, v7
	v_pack_b32_f16 v4, v4, v8
	;; [unrolled: 1-line block ×4, first 2 shown]
	;;#ASMSTART
	s_nop 0
	;;#ASMEND
	buffer_store_dwordx4 v[2:5], v6, s[28:31], 16 offen
	;;#ASMSTART
	s_nop 0
	;;#ASMEND
.LBB793_24:
	s_or_b64 exec, exec, s[2:3]
	s_cmp_lt_i32 s16, 1
	s_cbranch_scc1 .LBB793_17
.LBB793_25:
	s_load_dword s0, s[4:5], 0x94
	s_waitcnt lgkmcnt(0)
	s_cmp_lg_u32 s0, 1
	s_cbranch_scc1 .LBB793_17
; %bb.26:
	s_lshl_b32 s0, s16, 1
	s_add_i32 s0, s0, 2
	v_cmp_gt_u32_e32 vcc, s16, v1
	s_and_b32 s22, s0, -4
	v_mov_b32_e32 v18, 0
	v_lshlrev_b32_e32 v1, 5, v0
	s_waitcnt vmcnt(2)
	v_mov_b32_e32 v14, 0
	v_mov_b32_e32 v15, 0
	;; [unrolled: 1-line block ×8, first 2 shown]
	s_waitcnt vmcnt(1)
	v_mov_b32_e32 v6, 0
	v_mov_b32_e32 v7, 0
	;; [unrolled: 1-line block ×4, first 2 shown]
	s_waitcnt vmcnt(0)
	v_mov_b32_e32 v2, 0
	v_mov_b32_e32 v3, 0
	;; [unrolled: 1-line block ×4, first 2 shown]
	s_barrier
	s_and_saveexec_b64 s[0:1], vcc
	s_cbranch_execz .LBB793_28
; %bb.27:
	s_mul_hi_i32 s3, s18, s6
	s_mul_i32 s2, s18, s6
	s_and_b32 s21, s21, 0xffff
	s_lshl_b64 s[2:3], s[2:3], 1
	s_add_u32 s28, s10, s2
	s_mov_b32 s23, 0x20000
	s_addc_u32 s2, s11, s3
	s_and_b32 s29, s2, 0xffff
	s_mov_b32 s30, s22
	s_mov_b32 s31, s23
	buffer_load_dwordx4 v[14:17], v1, s[28:31], 0 offen
	buffer_load_dwordx4 v[10:13], v1, s[28:31], 16 offen
	;; [unrolled: 1-line block ×4, first 2 shown]
.LBB793_28:
	s_or_b64 exec, exec, s[0:1]
	v_mov_b32_e32 v19, 0
	v_mov_b32_e32 v32, 0
	;; [unrolled: 1-line block ×15, first 2 shown]
	s_and_saveexec_b64 s[0:1], vcc
	s_cbranch_execz .LBB793_30
; %bb.29:
	s_waitcnt vmcnt(3)
	v_cvt_f32_f16_sdwa v19, v14 dst_sel:DWORD dst_unused:UNUSED_PAD src0_sel:WORD_1
	v_cvt_f32_f16_e32 v18, v14
	v_cvt_f32_f16_sdwa v33, v15 dst_sel:DWORD dst_unused:UNUSED_PAD src0_sel:WORD_1
	v_cvt_f32_f16_e32 v32, v15
	;; [unrolled: 2-line block ×4, first 2 shown]
	s_waitcnt vmcnt(2)
	v_cvt_f32_f16_sdwa v27, v10 dst_sel:DWORD dst_unused:UNUSED_PAD src0_sel:WORD_1
	v_cvt_f32_f16_e32 v26, v10
	v_cvt_f32_f16_sdwa v25, v11 dst_sel:DWORD dst_unused:UNUSED_PAD src0_sel:WORD_1
	v_cvt_f32_f16_e32 v24, v11
	;; [unrolled: 2-line block ×4, first 2 shown]
.LBB793_30:
	s_or_b64 exec, exec, s[0:1]
	s_waitcnt vmcnt(2)
	v_mul_f32_e32 v10, v19, v19
	v_fmac_f32_e32 v10, v18, v18
	v_fmac_f32_e32 v10, v32, v32
	;; [unrolled: 1-line block ×15, first 2 shown]
	s_nop 1
	v_mov_b32_dpp v11, v10 quad_perm:[1,0,3,2] row_mask:0xf bank_mask:0xf
	v_add_f32_e32 v10, v10, v11
	s_nop 1
	v_mov_b32_dpp v11, v10 quad_perm:[2,3,0,1] row_mask:0xf bank_mask:0xf
	v_add_f32_e32 v10, v10, v11
	s_nop 1
	v_mov_b32_dpp v11, v10 row_half_mirror row_mask:0xf bank_mask:0xf
	v_add_f32_e32 v10, v10, v11
	s_nop 1
	v_mov_b32_dpp v11, v10 row_mirror row_mask:0xf bank_mask:0xf
	v_add_f32_e32 v10, v10, v11
	s_nop 1
	v_mov_b32_dpp v11, v10 row_bcast:15 row_mask:0xf bank_mask:0xf
	v_add_f32_e32 v10, v10, v11
	s_nop 1
	v_mov_b32_dpp v11, v10 row_bcast:31 row_mask:0xf bank_mask:0xf
	s_and_saveexec_b64 s[0:1], s[8:9]
	s_cbranch_execz .LBB793_32
; %bb.31:
	v_lshrrev_b32_e32 v0, 4, v0
	v_add_f32_e32 v10, v10, v11
	v_and_b32_e32 v0, 60, v0
	ds_write_b32 v0, v10
.LBB793_32:
	s_or_b64 exec, exec, s[0:1]
	s_waitcnt lgkmcnt(0)
	s_barrier
	ds_read_b32 v0, v34
	s_waitcnt lgkmcnt(0)
	s_nop 0
	v_mov_b32_dpp v10, v0 quad_perm:[1,0,3,2] row_mask:0xf bank_mask:0xf
	v_add_f32_e32 v0, v0, v10
	s_nop 1
	v_mov_b32_dpp v10, v0 quad_perm:[2,3,0,1] row_mask:0xf bank_mask:0xf
	s_and_saveexec_b64 s[0:1], vcc
	s_cbranch_execz .LBB793_17
; %bb.33:
	v_cvt_f32_u32_e32 v11, s16
	v_add_f32_e32 v0, v0, v10
	s_mov_b32 s23, 0x20000
	v_div_scale_f32 v10, s[0:1], v11, v11, v0
	v_rcp_f32_e32 v12, v10
	v_div_scale_f32 v13, vcc, v0, v11, v0
	s_mov_b32 s0, 0x800000
	v_fma_f32 v14, -v10, v12, 1.0
	v_fmac_f32_e32 v12, v14, v12
	v_mul_f32_e32 v14, v13, v12
	v_fma_f32 v15, -v10, v14, v13
	v_fmac_f32_e32 v14, v15, v12
	v_fma_f32 v10, -v10, v14, v13
	v_div_fmas_f32 v10, v10, v12, v14
	v_div_fixup_f32 v0, v10, v11, v0
	v_add_f32_e32 v0, s13, v0
	v_mul_f32_e32 v10, 0x4b800000, v0
	v_cmp_gt_f32_e32 vcc, s0, v0
	v_cndmask_b32_e32 v0, v0, v10, vcc
	v_rsq_f32_e32 v0, v0
	s_mul_hi_i32 s1, s25, s6
	s_mul_i32 s0, s25, s6
	s_lshl_b64 s[0:1], s[0:1], 1
	v_mul_f32_e32 v10, 0x45800000, v0
	v_cndmask_b32_e32 v10, v0, v10, vcc
	v_mov_b32_e32 v11, v10
	;;#ASMSTART
	v_pk_mul_f32 v[12:13], v[18:19], v[10:11]
	;;#ASMEND
	;;#ASMSTART
	v_pk_mul_f32 v[14:15], v[32:33], v[10:11]
	;;#ASMEND
	;; [unrolled: 3-line block ×4, first 2 shown]
	s_waitcnt vmcnt(1)
	v_cvt_f32_f16_sdwa v29, v6 dst_sel:DWORD dst_unused:UNUSED_PAD src0_sel:WORD_1
	v_cvt_f32_f16_e32 v28, v6
	v_cvt_f32_f16_sdwa v31, v7 dst_sel:DWORD dst_unused:UNUSED_PAD src0_sel:WORD_1
	v_cvt_f32_f16_e32 v30, v7
	;;#ASMSTART
	v_pk_mul_f32 v[26:27], v[26:27], v[10:11]
	;;#ASMEND
	;;#ASMSTART
	v_pk_mul_f32 v[24:25], v[24:25], v[10:11]
	;;#ASMEND
	;; [unrolled: 3-line block ×4, first 2 shown]
	v_cvt_f32_f16_sdwa v21, v8 dst_sel:DWORD dst_unused:UNUSED_PAD src0_sel:WORD_1
	v_cvt_f32_f16_e32 v20, v8
	v_pk_add_f32 v[10:11], v[28:29], 1.0 op_sel_hi:[1,0]
	;;#ASMSTART
	v_pk_mul_f32 v[10:11], v[12:13], v[10:11]
	;;#ASMEND
	v_pk_add_f32 v[12:13], v[30:31], 1.0 op_sel_hi:[1,0]
	v_cvt_f32_f16_sdwa v29, v9 dst_sel:DWORD dst_unused:UNUSED_PAD src0_sel:WORD_1
	v_cvt_f32_f16_e32 v28, v9
	;;#ASMSTART
	v_pk_mul_f32 v[8:9], v[14:15], v[12:13]
	;;#ASMEND
	v_pk_add_f32 v[12:13], v[20:21], 1.0 op_sel_hi:[1,0]
	;;#ASMSTART
	v_pk_mul_f32 v[12:13], v[16:17], v[12:13]
	;;#ASMEND
	s_waitcnt vmcnt(0)
	v_cvt_f32_f16_sdwa v17, v2 dst_sel:DWORD dst_unused:UNUSED_PAD src0_sel:WORD_1
	v_cvt_f32_f16_e32 v16, v2
	v_cvt_f32_f16_sdwa v21, v3 dst_sel:DWORD dst_unused:UNUSED_PAD src0_sel:WORD_1
	v_cvt_f32_f16_e32 v20, v3
	v_pk_add_f32 v[14:15], v[28:29], 1.0 op_sel_hi:[1,0]
	;;#ASMSTART
	v_pk_mul_f32 v[2:3], v[18:19], v[14:15]
	;;#ASMEND
	v_cvt_f32_f16_sdwa v19, v4 dst_sel:DWORD dst_unused:UNUSED_PAD src0_sel:WORD_1
	v_cvt_f32_f16_e32 v18, v4
	v_pk_add_f32 v[14:15], v[16:17], 1.0 op_sel_hi:[1,0]
	v_pk_add_f32 v[16:17], v[20:21], 1.0 op_sel_hi:[1,0]
	v_cvt_f32_f16_sdwa v21, v5 dst_sel:DWORD dst_unused:UNUSED_PAD src0_sel:WORD_1
	v_cvt_f32_f16_e32 v20, v5
	v_pk_add_f32 v[4:5], v[18:19], 1.0 op_sel_hi:[1,0]
	;;#ASMSTART
	v_pk_mul_f32 v[14:15], v[26:27], v[14:15]
	;;#ASMEND
	;;#ASMSTART
	v_pk_mul_f32 v[16:17], v[24:25], v[16:17]
	;;#ASMEND
	;; [unrolled: 3-line block ×3, first 2 shown]
	v_pk_add_f32 v[4:5], v[20:21], 1.0 op_sel_hi:[1,0]
	;;#ASMSTART
	v_pk_mul_f32 v[6:7], v[6:7], v[4:5]
	;;#ASMEND
	v_cvt_f16_f32_e32 v0, v10
	v_cvt_f16_f32_e32 v4, v11
	;; [unrolled: 1-line block ×8, first 2 shown]
	s_add_u32 s20, s14, s0
	s_addc_u32 s0, s15, s1
	s_and_b32 s21, s0, 0xffff
	v_pack_b32_f16 v2, v0, v4
	v_pack_b32_f16 v3, v5, v8
	;; [unrolled: 1-line block ×4, first 2 shown]
	buffer_store_dwordx4 v[2:5], v1, s[20:23], 0 offen
	v_cvt_f16_f32_e32 v0, v14
	v_cvt_f16_f32_e32 v2, v15
	;; [unrolled: 1-line block ×8, first 2 shown]
	v_pack_b32_f16 v2, v0, v2
	v_pack_b32_f16 v3, v3, v4
	;; [unrolled: 1-line block ×4, first 2 shown]
	;;#ASMSTART
	s_nop 0
	;;#ASMEND
	buffer_store_dwordx4 v[2:5], v1, s[20:23], 16 offen
	;;#ASMSTART
	s_nop 0
	;;#ASMEND
	s_endpgm
	.section	.rodata,"a",@progbits
	.p2align	6, 0x0
	.amdhsa_kernel _ZN5aiter35fused_qk_rmsnorm_group_quant_kernelIDF16_DB8_Li256ELi16ELi4ELb1ELb1ELb1ELb1ELb0ELb0EEEvPT0_PvPT_S6_S6_PKS5_S8_S8_S8_S8_ffiiiiiiiiiiiii
		.amdhsa_group_segment_fixed_size 32
		.amdhsa_private_segment_fixed_size 0
		.amdhsa_kernarg_size 400
		.amdhsa_user_sgpr_count 6
		.amdhsa_user_sgpr_private_segment_buffer 1
		.amdhsa_user_sgpr_dispatch_ptr 0
		.amdhsa_user_sgpr_queue_ptr 0
		.amdhsa_user_sgpr_kernarg_segment_ptr 1
		.amdhsa_user_sgpr_dispatch_id 0
		.amdhsa_user_sgpr_flat_scratch_init 0
		.amdhsa_user_sgpr_kernarg_preload_length 0
		.amdhsa_user_sgpr_kernarg_preload_offset 0
		.amdhsa_user_sgpr_private_segment_size 0
		.amdhsa_uses_dynamic_stack 0
		.amdhsa_system_sgpr_private_segment_wavefront_offset 0
		.amdhsa_system_sgpr_workgroup_id_x 1
		.amdhsa_system_sgpr_workgroup_id_y 1
		.amdhsa_system_sgpr_workgroup_id_z 0
		.amdhsa_system_sgpr_workgroup_info 0
		.amdhsa_system_vgpr_workitem_id 0
		.amdhsa_next_free_vgpr 49
		.amdhsa_next_free_sgpr 32
		.amdhsa_accum_offset 52
		.amdhsa_reserve_vcc 1
		.amdhsa_reserve_flat_scratch 0
		.amdhsa_float_round_mode_32 0
		.amdhsa_float_round_mode_16_64 0
		.amdhsa_float_denorm_mode_32 3
		.amdhsa_float_denorm_mode_16_64 3
		.amdhsa_dx10_clamp 1
		.amdhsa_ieee_mode 1
		.amdhsa_fp16_overflow 0
		.amdhsa_tg_split 0
		.amdhsa_exception_fp_ieee_invalid_op 0
		.amdhsa_exception_fp_denorm_src 0
		.amdhsa_exception_fp_ieee_div_zero 0
		.amdhsa_exception_fp_ieee_overflow 0
		.amdhsa_exception_fp_ieee_underflow 0
		.amdhsa_exception_fp_ieee_inexact 0
		.amdhsa_exception_int_div_zero 0
	.end_amdhsa_kernel
	.section	.text._ZN5aiter35fused_qk_rmsnorm_group_quant_kernelIDF16_DB8_Li256ELi16ELi4ELb1ELb1ELb1ELb1ELb0ELb0EEEvPT0_PvPT_S6_S6_PKS5_S8_S8_S8_S8_ffiiiiiiiiiiiii,"axG",@progbits,_ZN5aiter35fused_qk_rmsnorm_group_quant_kernelIDF16_DB8_Li256ELi16ELi4ELb1ELb1ELb1ELb1ELb0ELb0EEEvPT0_PvPT_S6_S6_PKS5_S8_S8_S8_S8_ffiiiiiiiiiiiii,comdat
.Lfunc_end793:
	.size	_ZN5aiter35fused_qk_rmsnorm_group_quant_kernelIDF16_DB8_Li256ELi16ELi4ELb1ELb1ELb1ELb1ELb0ELb0EEEvPT0_PvPT_S6_S6_PKS5_S8_S8_S8_S8_ffiiiiiiiiiiiii, .Lfunc_end793-_ZN5aiter35fused_qk_rmsnorm_group_quant_kernelIDF16_DB8_Li256ELi16ELi4ELb1ELb1ELb1ELb1ELb0ELb0EEEvPT0_PvPT_S6_S6_PKS5_S8_S8_S8_S8_ffiiiiiiiiiiiii
                                        ; -- End function
	.section	.AMDGPU.csdata,"",@progbits
; Kernel info:
; codeLenInByte = 3608
; NumSgprs: 36
; NumVgprs: 49
; NumAgprs: 0
; TotalNumVgprs: 49
; ScratchSize: 0
; MemoryBound: 0
; FloatMode: 240
; IeeeMode: 1
; LDSByteSize: 32 bytes/workgroup (compile time only)
; SGPRBlocks: 4
; VGPRBlocks: 6
; NumSGPRsForWavesPerEU: 36
; NumVGPRsForWavesPerEU: 49
; AccumOffset: 52
; Occupancy: 8
; WaveLimiterHint : 0
; COMPUTE_PGM_RSRC2:SCRATCH_EN: 0
; COMPUTE_PGM_RSRC2:USER_SGPR: 6
; COMPUTE_PGM_RSRC2:TRAP_HANDLER: 0
; COMPUTE_PGM_RSRC2:TGID_X_EN: 1
; COMPUTE_PGM_RSRC2:TGID_Y_EN: 1
; COMPUTE_PGM_RSRC2:TGID_Z_EN: 0
; COMPUTE_PGM_RSRC2:TIDIG_COMP_CNT: 0
; COMPUTE_PGM_RSRC3_GFX90A:ACCUM_OFFSET: 12
; COMPUTE_PGM_RSRC3_GFX90A:TG_SPLIT: 0
	.section	.text._ZN5aiter35fused_qk_rmsnorm_group_quant_kernelItDB8_Li256ELi16ELi4ELb1ELb1ELb1ELb1ELb0ELb0EEEvPT0_PvPT_S6_S6_PKS5_S8_S8_S8_S8_ffiiiiiiiiiiiii,"axG",@progbits,_ZN5aiter35fused_qk_rmsnorm_group_quant_kernelItDB8_Li256ELi16ELi4ELb1ELb1ELb1ELb1ELb0ELb0EEEvPT0_PvPT_S6_S6_PKS5_S8_S8_S8_S8_ffiiiiiiiiiiiii,comdat
	.protected	_ZN5aiter35fused_qk_rmsnorm_group_quant_kernelItDB8_Li256ELi16ELi4ELb1ELb1ELb1ELb1ELb0ELb0EEEvPT0_PvPT_S6_S6_PKS5_S8_S8_S8_S8_ffiiiiiiiiiiiii ; -- Begin function _ZN5aiter35fused_qk_rmsnorm_group_quant_kernelItDB8_Li256ELi16ELi4ELb1ELb1ELb1ELb1ELb0ELb0EEEvPT0_PvPT_S6_S6_PKS5_S8_S8_S8_S8_ffiiiiiiiiiiiii
	.globl	_ZN5aiter35fused_qk_rmsnorm_group_quant_kernelItDB8_Li256ELi16ELi4ELb1ELb1ELb1ELb1ELb0ELb0EEEvPT0_PvPT_S6_S6_PKS5_S8_S8_S8_S8_ffiiiiiiiiiiiii
	.p2align	8
	.type	_ZN5aiter35fused_qk_rmsnorm_group_quant_kernelItDB8_Li256ELi16ELi4ELb1ELb1ELb1ELb1ELb0ELb0EEEvPT0_PvPT_S6_S6_PKS5_S8_S8_S8_S8_ffiiiiiiiiiiiii,@function
_ZN5aiter35fused_qk_rmsnorm_group_quant_kernelItDB8_Li256ELi16ELi4ELb1ELb1ELb1ELb1ELb0ELb0EEEvPT0_PvPT_S6_S6_PKS5_S8_S8_S8_S8_ffiiiiiiiiiiiii: ; @_ZN5aiter35fused_qk_rmsnorm_group_quant_kernelItDB8_Li256ELi16ELi4ELb1ELb1ELb1ELb1ELb0ELb0EEEvPT0_PvPT_S6_S6_PKS5_S8_S8_S8_S8_ffiiiiiiiiiiiii
; %bb.0:
	s_load_dwordx8 s[12:19], s[4:5], 0x50
	s_waitcnt lgkmcnt(0)
	s_cmp_ge_i32 s6, s14
	s_cbranch_scc1 .LBB794_17
; %bb.1:
	s_cmp_lg_u32 s7, 0
	s_cselect_b64 s[22:23], -1, 0
	s_cmp_eq_u32 s7, 0
	s_cselect_b64 s[2:3], -1, 0
	s_and_b64 s[0:1], s[2:3], exec
	s_cselect_b32 s7, s15, s16
	s_load_dwordx2 s[10:11], s[4:5], 0x30
	s_load_dwordx2 s[20:21], s[4:5], 0x48
	s_add_i32 s0, s7, 1
	s_lshr_b32 s1, s0, 31
	s_add_i32 s0, s0, s1
	s_lshl_b32 s0, s0, 1
	v_lshlrev_b32_e32 v1, 4, v0
	s_and_b32 s30, s0, -4
	v_cmp_gt_i32_e64 s[0:1], s7, v1
	v_mov_b32_e32 v62, 0
	v_mov_b32_e32 v63, 0
	v_mov_b32_e32 v64, 0
	v_mov_b32_e32 v65, 0
	v_mov_b32_e32 v58, 0
	v_mov_b32_e32 v59, 0
	v_mov_b32_e32 v60, 0
	v_mov_b32_e32 v61, 0
	v_mov_b32_e32 v66, 0
	v_mov_b32_e32 v67, 0
	v_mov_b32_e32 v68, 0
	v_mov_b32_e32 v69, 0
	v_mov_b32_e32 v70, 0
	v_mov_b32_e32 v71, 0
	v_mov_b32_e32 v72, 0
	v_mov_b32_e32 v73, 0
	s_and_saveexec_b64 s[8:9], s[0:1]
	s_cbranch_execz .LBB794_3
; %bb.2:
	s_load_dwordx2 s[14:15], s[4:5], 0x28
	s_load_dwordx2 s[26:27], s[4:5], 0x40
	s_and_b64 s[24:25], s[2:3], exec
	s_cselect_b32 s17, s17, s18
	s_mov_b32 s31, 0x20000
	s_waitcnt lgkmcnt(0)
	s_cselect_b32 s25, s15, s11
	s_cselect_b32 s24, s14, s10
	s_mul_hi_i32 s15, s17, s6
	s_mul_i32 s14, s17, s6
	s_lshl_b64 s[14:15], s[14:15], 1
	s_add_u32 s24, s24, s14
	s_addc_u32 s17, s25, s15
	s_and_b64 s[14:15], s[2:3], exec
	s_cselect_b32 s28, s26, s20
	s_cselect_b32 s14, s27, s21
	s_and_b32 s25, s17, 0xffff
	s_mov_b32 s26, s30
	s_mov_b32 s27, s31
	v_lshlrev_b32_e32 v2, 5, v0
	s_and_b32 s29, s14, 0xffff
	buffer_load_dwordx4 v[66:69], v2, s[24:27], 0 offen
	buffer_load_dwordx4 v[70:73], v2, s[24:27], 16 offen
	buffer_load_dwordx4 v[62:65], v2, s[28:31], 0 offen
	buffer_load_dwordx4 v[58:61], v2, s[28:31], 16 offen
.LBB794_3:
	s_or_b64 exec, exec, s[8:9]
	s_load_dwordx4 s[24:27], s[4:5], 0x7c
	s_and_b64 vcc, exec, s[22:23]
	s_cbranch_vccz .LBB794_7
; %bb.4:
	v_mov_b32_e32 v75, 0
	v_mov_b32_e32 v74, 0
	;; [unrolled: 1-line block ×16, first 2 shown]
	s_and_saveexec_b64 s[8:9], s[0:1]
	s_cbranch_execz .LBB794_6
; %bb.5:
	s_waitcnt vmcnt(3)
	v_cvt_f32_u32_sdwa v2, v66 dst_sel:DWORD dst_unused:UNUSED_PAD src0_sel:WORD_0
	v_cvt_f32_u32_sdwa v3, v66 dst_sel:DWORD dst_unused:UNUSED_PAD src0_sel:WORD_1
	v_cvt_f32_u32_sdwa v6, v67 dst_sel:DWORD dst_unused:UNUSED_PAD src0_sel:WORD_0
	v_cvt_f32_u32_sdwa v7, v67 dst_sel:DWORD dst_unused:UNUSED_PAD src0_sel:WORD_1
	;; [unrolled: 2-line block ×4, first 2 shown]
	s_waitcnt vmcnt(2)
	v_cvt_f32_u32_sdwa v50, v70 dst_sel:DWORD dst_unused:UNUSED_PAD src0_sel:WORD_0
	v_cvt_f32_u32_sdwa v51, v70 dst_sel:DWORD dst_unused:UNUSED_PAD src0_sel:WORD_1
	v_cvt_f32_u32_sdwa v24, v71 dst_sel:DWORD dst_unused:UNUSED_PAD src0_sel:WORD_0
	v_cvt_f32_u32_sdwa v25, v71 dst_sel:DWORD dst_unused:UNUSED_PAD src0_sel:WORD_1
	v_cvt_f32_u32_sdwa v20, v72 dst_sel:DWORD dst_unused:UNUSED_PAD src0_sel:WORD_0
	v_cvt_f32_u32_sdwa v21, v72 dst_sel:DWORD dst_unused:UNUSED_PAD src0_sel:WORD_1
	v_cvt_f32_u32_sdwa v74, v73 dst_sel:DWORD dst_unused:UNUSED_PAD src0_sel:WORD_0
	v_cvt_f32_u32_sdwa v75, v73 dst_sel:DWORD dst_unused:UNUSED_PAD src0_sel:WORD_1
.LBB794_6:
	s_or_b64 exec, exec, s[8:9]
	s_cbranch_execz .LBB794_8
	s_branch .LBB794_11
.LBB794_7:
                                        ; implicit-def: $vgpr2_vgpr3_vgpr4_vgpr5_vgpr6_vgpr7_vgpr8_vgpr9_vgpr10_vgpr11_vgpr12_vgpr13_vgpr14_vgpr15_vgpr16_vgpr17
                                        ; implicit-def: $vgpr36_vgpr37_vgpr38_vgpr39_vgpr40_vgpr41_vgpr42_vgpr43_vgpr44_vgpr45_vgpr46_vgpr47_vgpr48_vgpr49_vgpr50_vgpr51
                                        ; implicit-def: $vgpr4_vgpr5_vgpr6_vgpr7_vgpr8_vgpr9_vgpr10_vgpr11_vgpr12_vgpr13_vgpr14_vgpr15_vgpr16_vgpr17_vgpr18_vgpr19
                                        ; implicit-def: $vgpr24_vgpr25_vgpr26_vgpr27_vgpr28_vgpr29_vgpr30_vgpr31_vgpr32_vgpr33_vgpr34_vgpr35_vgpr36_vgpr37_vgpr38_vgpr39
                                        ; implicit-def: $vgpr75
                                        ; implicit-def: $vgpr42_vgpr43_vgpr44_vgpr45_vgpr46_vgpr47_vgpr48_vgpr49_vgpr50_vgpr51_vgpr52_vgpr53_vgpr54_vgpr55_vgpr56_vgpr57
                                        ; implicit-def: $vgpr14_vgpr15_vgpr16_vgpr17_vgpr18_vgpr19_vgpr20_vgpr21_vgpr22_vgpr23_vgpr24_vgpr25_vgpr26_vgpr27_vgpr28_vgpr29
                                        ; implicit-def: $vgpr8_vgpr9_vgpr10_vgpr11_vgpr12_vgpr13_vgpr14_vgpr15_vgpr16_vgpr17_vgpr18_vgpr19_vgpr20_vgpr21_vgpr22_vgpr23
.LBB794_8:
	v_mov_b32_e32 v75, 0
	v_mov_b32_e32 v74, 0
	v_mov_b32_e32 v21, 0
	v_mov_b32_e32 v20, 0
	v_mov_b32_e32 v25, 0
	v_mov_b32_e32 v24, 0
	v_mov_b32_e32 v51, 0
	v_mov_b32_e32 v50, 0
	v_mov_b32_e32 v31, 0
	v_mov_b32_e32 v30, 0
	v_mov_b32_e32 v41, 0
	v_mov_b32_e32 v40, 0
	v_mov_b32_e32 v7, 0
	v_mov_b32_e32 v6, 0
	v_mov_b32_e32 v3, 0
	v_mov_b32_e32 v2, 0
	s_and_saveexec_b64 s[8:9], s[0:1]
	s_cbranch_execz .LBB794_10
; %bb.9:
	s_load_dwordx2 s[14:15], s[4:5], 0x38
	s_mul_hi_i32 s29, s19, s6
	s_mul_i32 s28, s19, s6
	s_lshl_b64 s[28:29], s[28:29], 1
	s_mov_b32 s31, 0x20000
	s_waitcnt lgkmcnt(0)
	s_add_u32 s28, s14, s28
	s_addc_u32 s14, s15, s29
	s_and_b32 s29, s14, 0xffff
	v_lshlrev_b32_e32 v38, 5, v0
	buffer_load_dwordx4 v[6:9], v38, s[28:31], 16 offen
	buffer_load_dwordx4 v[10:13], v38, s[28:31], 0 offen
	s_load_dwordx2 s[14:15], s[4:5], 0x20
	s_waitcnt vmcnt(5)
	v_cvt_f32_u32_sdwa v3, v66 dst_sel:DWORD dst_unused:UNUSED_PAD src0_sel:WORD_1
	v_cvt_f32_u32_sdwa v2, v66 dst_sel:DWORD dst_unused:UNUSED_PAD src0_sel:WORD_0
	v_cvt_f32_u32_sdwa v21, v67 dst_sel:DWORD dst_unused:UNUSED_PAD src0_sel:WORD_1
	v_cvt_f32_u32_sdwa v20, v67 dst_sel:DWORD dst_unused:UNUSED_PAD src0_sel:WORD_0
	;; [unrolled: 2-line block ×4, first 2 shown]
	s_waitcnt vmcnt(4)
	v_cvt_f32_u32_sdwa v5, v70 dst_sel:DWORD dst_unused:UNUSED_PAD src0_sel:WORD_1
	v_cvt_f32_u32_sdwa v4, v70 dst_sel:DWORD dst_unused:UNUSED_PAD src0_sel:WORD_0
	v_cvt_f32_u32_sdwa v15, v71 dst_sel:DWORD dst_unused:UNUSED_PAD src0_sel:WORD_1
	v_cvt_f32_u32_sdwa v14, v71 dst_sel:DWORD dst_unused:UNUSED_PAD src0_sel:WORD_0
	;; [unrolled: 2-line block ×3, first 2 shown]
	v_cvt_f32_u32_sdwa v18, v73 dst_sel:DWORD dst_unused:UNUSED_PAD src0_sel:WORD_0
	v_cvt_f32_u32_sdwa v19, v73 dst_sel:DWORD dst_unused:UNUSED_PAD src0_sel:WORD_1
	s_mul_hi_i32 s27, s26, s6
	s_mul_i32 s26, s26, s6
	s_lshl_b64 s[26:27], s[26:27], 1
	s_waitcnt lgkmcnt(0)
	s_add_u32 s28, s14, s26
	s_mov_b32 s17, 0x7060302
	s_addc_u32 s14, s15, s27
	s_and_b32 s29, s14, 0xffff
	s_waitcnt vmcnt(1)
	v_cvt_f32_u32_sdwa v27, v6 dst_sel:DWORD dst_unused:UNUSED_PAD src0_sel:WORD_1
	v_cvt_f32_u32_sdwa v26, v6 dst_sel:DWORD dst_unused:UNUSED_PAD src0_sel:WORD_0
	v_cvt_f32_u32_sdwa v29, v7 dst_sel:DWORD dst_unused:UNUSED_PAD src0_sel:WORD_1
	v_cvt_f32_u32_sdwa v28, v7 dst_sel:DWORD dst_unused:UNUSED_PAD src0_sel:WORD_0
	;; [unrolled: 2-line block ×3, first 2 shown]
	v_cvt_f32_u32_sdwa v34, v9 dst_sel:DWORD dst_unused:UNUSED_PAD src0_sel:WORD_0
	v_cvt_f32_u32_sdwa v35, v9 dst_sel:DWORD dst_unused:UNUSED_PAD src0_sel:WORD_1
	s_waitcnt vmcnt(0)
	v_cvt_f32_u32_sdwa v37, v10 dst_sel:DWORD dst_unused:UNUSED_PAD src0_sel:WORD_1
	v_cvt_f32_u32_sdwa v36, v10 dst_sel:DWORD dst_unused:UNUSED_PAD src0_sel:WORD_0
	v_cvt_f32_u32_sdwa v7, v12 dst_sel:DWORD dst_unused:UNUSED_PAD src0_sel:WORD_1
	v_cvt_f32_u32_sdwa v6, v12 dst_sel:DWORD dst_unused:UNUSED_PAD src0_sel:WORD_0
	v_cvt_f32_u32_sdwa v9, v13 dst_sel:DWORD dst_unused:UNUSED_PAD src0_sel:WORD_1
	v_cvt_f32_u32_sdwa v8, v13 dst_sel:DWORD dst_unused:UNUSED_PAD src0_sel:WORD_0
	v_cvt_f32_u32_sdwa v13, v11 dst_sel:DWORD dst_unused:UNUSED_PAD src0_sel:WORD_1
	v_cvt_f32_u32_sdwa v12, v11 dst_sel:DWORD dst_unused:UNUSED_PAD src0_sel:WORD_0
	v_pk_add_f32 v[40:41], v[22:23], v[6:7]
	v_pk_add_f32 v[30:31], v[24:25], v[8:9]
	;; [unrolled: 1-line block ×4, first 2 shown]
	v_perm_b32 v11, v31, v30, s17
	v_perm_b32 v10, v41, v40, s17
	;; [unrolled: 1-line block ×4, first 2 shown]
	v_pk_add_f32 v[74:75], v[18:19], v[34:35]
	v_pk_add_f32 v[20:21], v[16:17], v[32:33]
	;; [unrolled: 1-line block ×4, first 2 shown]
	buffer_store_dwordx4 v[8:11], v38, s[28:31], 0 offen
	;;#ASMSTART
	s_nop 0
	;;#ASMEND
	s_nop 0
	v_perm_b32 v11, v75, v74, s17
	v_perm_b32 v10, v21, v20, s17
	;; [unrolled: 1-line block ×4, first 2 shown]
	buffer_store_dwordx4 v[8:11], v38, s[28:31], 16 offen
	;;#ASMSTART
	s_nop 0
	;;#ASMEND
.LBB794_10:
	s_or_b64 exec, exec, s[8:9]
.LBB794_11:
	v_mul_f32_e32 v4, v3, v3
	v_fmac_f32_e32 v4, v2, v2
	v_fmac_f32_e32 v4, v6, v6
	;; [unrolled: 1-line block ×15, first 2 shown]
	s_nop 1
	v_mov_b32_dpp v5, v4 quad_perm:[1,0,3,2] row_mask:0xf bank_mask:0xf
	v_add_f32_e32 v4, v4, v5
	s_nop 1
	v_mov_b32_dpp v5, v4 quad_perm:[2,3,0,1] row_mask:0xf bank_mask:0xf
	v_add_f32_e32 v4, v4, v5
	s_nop 1
	v_mov_b32_dpp v5, v4 row_half_mirror row_mask:0xf bank_mask:0xf
	v_add_f32_e32 v4, v4, v5
	s_nop 1
	v_mov_b32_dpp v5, v4 row_mirror row_mask:0xf bank_mask:0xf
	v_add_f32_e32 v4, v4, v5
	s_nop 1
	v_mov_b32_dpp v5, v4 row_bcast:15 row_mask:0xf bank_mask:0xf
	v_add_f32_e32 v4, v4, v5
	v_and_b32_e32 v5, 63, v0
	v_cmp_eq_u32_e64 s[8:9], 63, v5
	s_nop 0
	v_mov_b32_dpp v5, v4 row_bcast:31 row_mask:0xf bank_mask:0xf
	s_and_saveexec_b64 s[14:15], s[8:9]
	s_cbranch_execz .LBB794_13
; %bb.12:
	v_add_f32_e32 v4, v4, v5
	v_lshrrev_b32_e32 v5, 4, v0
	v_and_b32_e32 v5, 60, v5
	ds_write_b32 v5, v4 offset:16
.LBB794_13:
	s_or_b64 exec, exec, s[14:15]
	v_and_b32_e32 v4, 3, v0
	v_lshlrev_b32_e32 v34, 2, v4
	s_waitcnt lgkmcnt(0)
	s_barrier
	ds_read_b32 v4, v34 offset:16
	s_load_dwordx2 s[14:15], s[4:5], 0x18
	s_waitcnt lgkmcnt(0)
	v_mov_b32_dpp v5, v4 quad_perm:[1,0,3,2] row_mask:0xf bank_mask:0xf
	v_add_f32_e32 v4, v4, v5
	s_nop 1
	v_mov_b32_dpp v5, v4 quad_perm:[2,3,0,1] row_mask:0xf bank_mask:0xf
	s_and_saveexec_b64 s[26:27], s[0:1]
	s_cbranch_execnz .LBB794_18
; %bb.14:
	s_or_b64 exec, exec, s[26:27]
	s_mov_b64 s[2:3], -1
	s_and_b64 vcc, exec, s[22:23]
	s_cbranch_vccnz .LBB794_19
.LBB794_15:
	s_andn2_b64 vcc, exec, s[2:3]
	s_cbranch_vccz .LBB794_22
.LBB794_16:
	s_cmp_lt_i32 s16, 1
	s_cbranch_scc0 .LBB794_25
.LBB794_17:
	s_endpgm
.LBB794_18:
	v_add_f32_e32 v4, v4, v5
	v_cvt_f32_u32_e32 v5, s7
	s_waitcnt vmcnt(1)
	v_cvt_f32_u32_sdwa v15, v62 dst_sel:DWORD dst_unused:UNUSED_PAD src0_sel:WORD_1
	v_cvt_f32_u32_sdwa v14, v62 dst_sel:DWORD dst_unused:UNUSED_PAD src0_sel:WORD_0
	v_cvt_f32_u32_sdwa v23, v65 dst_sel:DWORD dst_unused:UNUSED_PAD src0_sel:WORD_1
	v_div_scale_f32 v8, s[28:29], v5, v5, v4
	v_rcp_f32_e32 v9, v8
	v_pk_add_f32 v[14:15], v[14:15], 1.0 op_sel_hi:[1,0]
	v_cvt_f32_u32_sdwa v22, v65 dst_sel:DWORD dst_unused:UNUSED_PAD src0_sel:WORD_0
	s_waitcnt vmcnt(0)
	v_cvt_f32_u32_sdwa v27, v60 dst_sel:DWORD dst_unused:UNUSED_PAD src0_sel:WORD_1
	v_fma_f32 v10, -v8, v9, 1.0
	v_fmac_f32_e32 v9, v10, v9
	v_div_scale_f32 v10, vcc, v4, v5, v4
	v_mul_f32_e32 v11, v10, v9
	v_fma_f32 v12, -v8, v11, v10
	v_fmac_f32_e32 v11, v12, v9
	v_fma_f32 v8, -v8, v11, v10
	v_div_fmas_f32 v8, v8, v9, v11
	v_div_fixup_f32 v4, v8, v5, v4
	v_mov_b32_e32 v5, s13
	v_mov_b32_e32 v8, s12
	v_cndmask_b32_e64 v5, v5, v8, s[2:3]
	v_add_f32_e32 v4, v5, v4
	s_mov_b32 s2, 0x800000
	v_mul_f32_e32 v5, 0x4b800000, v4
	v_cmp_gt_f32_e32 vcc, s2, v4
	v_cndmask_b32_e32 v4, v4, v5, vcc
	v_rsq_f32_e32 v4, v4
	v_cvt_f32_u32_sdwa v26, v60 dst_sel:DWORD dst_unused:UNUSED_PAD src0_sel:WORD_0
	v_cvt_f32_u32_sdwa v29, v61 dst_sel:DWORD dst_unused:UNUSED_PAD src0_sel:WORD_1
	v_cvt_f32_u32_sdwa v28, v61 dst_sel:DWORD dst_unused:UNUSED_PAD src0_sel:WORD_0
	v_mul_f32_e32 v5, 0x45800000, v4
	v_cndmask_b32_e32 v4, v4, v5, vcc
	v_mov_b32_e32 v5, v4
	;;#ASMSTART
	v_pk_mul_f32 v[2:3], v[2:3], v[4:5]
	;;#ASMEND
	;;#ASMSTART
	v_pk_mul_f32 v[6:7], v[6:7], v[4:5]
	;;#ASMEND
	;; [unrolled: 3-line block ×9, first 2 shown]
	v_cvt_f32_u32_sdwa v15, v63 dst_sel:DWORD dst_unused:UNUSED_PAD src0_sel:WORD_1
	v_cvt_f32_u32_sdwa v14, v63 dst_sel:DWORD dst_unused:UNUSED_PAD src0_sel:WORD_0
	v_cvt_f32_u32_sdwa v21, v64 dst_sel:DWORD dst_unused:UNUSED_PAD src0_sel:WORD_1
	v_cvt_f32_u32_sdwa v20, v64 dst_sel:DWORD dst_unused:UNUSED_PAD src0_sel:WORD_0
	v_cvt_f32_u32_sdwa v25, v59 dst_sel:DWORD dst_unused:UNUSED_PAD src0_sel:WORD_1
	v_pk_add_f32 v[14:15], v[14:15], 1.0 op_sel_hi:[1,0]
	v_cvt_f32_u32_sdwa v24, v59 dst_sel:DWORD dst_unused:UNUSED_PAD src0_sel:WORD_0
	;;#ASMSTART
	v_pk_mul_f32 v[6:7], v[6:7], v[14:15]
	;;#ASMEND
	v_pk_add_f32 v[14:15], v[20:21], 1.0 op_sel_hi:[1,0]
	v_pk_add_f32 v[20:21], v[22:23], 1.0 op_sel_hi:[1,0]
	v_cvt_f32_u32_sdwa v23, v58 dst_sel:DWORD dst_unused:UNUSED_PAD src0_sel:WORD_1
	v_cvt_f32_u32_sdwa v22, v58 dst_sel:DWORD dst_unused:UNUSED_PAD src0_sel:WORD_0
	v_pk_add_f32 v[24:25], v[24:25], 1.0 op_sel_hi:[1,0]
	v_pk_add_f32 v[26:27], v[26:27], 1.0 op_sel_hi:[1,0]
	;; [unrolled: 1-line block ×4, first 2 shown]
	;;#ASMSTART
	v_pk_mul_f32 v[40:41], v[8:9], v[14:15]
	;;#ASMEND
	;;#ASMSTART
	v_pk_mul_f32 v[30:31], v[10:11], v[20:21]
	;;#ASMEND
	;; [unrolled: 3-line block ×6, first 2 shown]
	s_or_b64 exec, exec, s[26:27]
	s_mov_b64 s[2:3], -1
	s_and_b64 vcc, exec, s[22:23]
	s_cbranch_vccz .LBB794_15
.LBB794_19:
	s_and_saveexec_b64 s[2:3], s[0:1]
	s_cbranch_execz .LBB794_21
; %bb.20:
	s_mul_hi_i32 s23, s25, s6
	s_mul_i32 s22, s25, s6
	s_lshl_b64 s[22:23], s[22:23], 1
	s_add_u32 s28, s14, s22
	s_addc_u32 s7, s15, s23
	s_and_b32 s29, s7, 0xffff
	s_mov_b32 s7, 0x7060302
	s_mov_b32 s31, 0x20000
	v_perm_b32 v11, v31, v30, s7
	v_perm_b32 v10, v41, v40, s7
	;; [unrolled: 1-line block ×4, first 2 shown]
	v_lshlrev_b32_e32 v4, 5, v0
	buffer_store_dwordx4 v[8:11], v4, s[28:31], 0 offen
	;;#ASMSTART
	s_nop 0
	;;#ASMEND
	s_nop 0
	v_perm_b32 v11, v75, v74, s7
	v_perm_b32 v10, v21, v20, s7
	;; [unrolled: 1-line block ×4, first 2 shown]
	buffer_store_dwordx4 v[8:11], v4, s[28:31], 16 offen
	;;#ASMSTART
	s_nop 0
	;;#ASMEND
.LBB794_21:
	s_or_b64 exec, exec, s[2:3]
	s_cbranch_execnz .LBB794_16
.LBB794_22:
	s_and_saveexec_b64 s[2:3], s[0:1]
	s_cbranch_execz .LBB794_24
; %bb.23:
	s_load_dwordx2 s[0:1], s[4:5], 0x10
	s_mul_hi_i32 s23, s24, s6
	s_mul_i32 s22, s24, s6
	s_lshl_b64 s[22:23], s[22:23], 1
	s_mov_b32 s7, 0x7060302
	s_waitcnt lgkmcnt(0)
	s_add_u32 s28, s0, s22
	s_addc_u32 s0, s1, s23
	v_perm_b32 v9, v31, v30, s7
	v_perm_b32 v8, v41, v40, s7
	;; [unrolled: 1-line block ×4, first 2 shown]
	s_and_b32 s29, s0, 0xffff
	s_mov_b32 s31, 0x20000
	v_lshlrev_b32_e32 v10, 5, v0
	v_perm_b32 v5, v75, v74, s7
	v_perm_b32 v4, v21, v20, s7
	;; [unrolled: 1-line block ×4, first 2 shown]
	buffer_store_dwordx4 v[6:9], v10, s[28:31], 0 offen
	;;#ASMSTART
	s_nop 0
	;;#ASMEND
	buffer_store_dwordx4 v[2:5], v10, s[28:31], 16 offen
	;;#ASMSTART
	s_nop 0
	;;#ASMEND
.LBB794_24:
	s_or_b64 exec, exec, s[2:3]
	s_cmp_lt_i32 s16, 1
	s_cbranch_scc1 .LBB794_17
.LBB794_25:
	s_load_dword s0, s[4:5], 0x94
	s_waitcnt lgkmcnt(0)
	s_cmp_lg_u32 s0, 1
	s_cbranch_scc1 .LBB794_17
; %bb.26:
	s_lshl_b32 s0, s16, 1
	s_add_i32 s0, s0, 2
	v_cmp_gt_u32_e32 vcc, s16, v1
	s_and_b32 s22, s0, -4
	v_mov_b32_e32 v18, 0
	v_lshlrev_b32_e32 v1, 5, v0
	v_mov_b32_e32 v14, 0
	v_mov_b32_e32 v15, 0
	;; [unrolled: 1-line block ×16, first 2 shown]
	s_barrier
	s_and_saveexec_b64 s[0:1], vcc
	s_cbranch_execz .LBB794_28
; %bb.27:
	s_mul_hi_i32 s3, s18, s6
	s_mul_i32 s2, s18, s6
	s_and_b32 s21, s21, 0xffff
	s_lshl_b64 s[2:3], s[2:3], 1
	s_add_u32 s28, s10, s2
	s_mov_b32 s23, 0x20000
	s_addc_u32 s2, s11, s3
	s_and_b32 s29, s2, 0xffff
	s_mov_b32 s30, s22
	s_mov_b32 s31, s23
	buffer_load_dwordx4 v[14:17], v1, s[28:31], 0 offen
	buffer_load_dwordx4 v[10:13], v1, s[28:31], 16 offen
	buffer_load_dwordx4 v[6:9], v1, s[20:23], 0 offen
	buffer_load_dwordx4 v[2:5], v1, s[20:23], 16 offen
.LBB794_28:
	s_or_b64 exec, exec, s[0:1]
	v_mov_b32_e32 v19, 0
	v_mov_b32_e32 v32, 0
	;; [unrolled: 1-line block ×15, first 2 shown]
	s_and_saveexec_b64 s[0:1], vcc
	s_cbranch_execz .LBB794_30
; %bb.29:
	s_waitcnt vmcnt(3)
	v_cvt_f32_u32_sdwa v18, v14 dst_sel:DWORD dst_unused:UNUSED_PAD src0_sel:WORD_0
	v_cvt_f32_u32_sdwa v19, v14 dst_sel:DWORD dst_unused:UNUSED_PAD src0_sel:WORD_1
	v_cvt_f32_u32_sdwa v32, v15 dst_sel:DWORD dst_unused:UNUSED_PAD src0_sel:WORD_0
	v_cvt_f32_u32_sdwa v33, v15 dst_sel:DWORD dst_unused:UNUSED_PAD src0_sel:WORD_1
	;; [unrolled: 2-line block ×4, first 2 shown]
	s_waitcnt vmcnt(2)
	v_cvt_f32_u32_sdwa v26, v10 dst_sel:DWORD dst_unused:UNUSED_PAD src0_sel:WORD_0
	v_cvt_f32_u32_sdwa v27, v10 dst_sel:DWORD dst_unused:UNUSED_PAD src0_sel:WORD_1
	v_cvt_f32_u32_sdwa v24, v11 dst_sel:DWORD dst_unused:UNUSED_PAD src0_sel:WORD_0
	v_cvt_f32_u32_sdwa v25, v11 dst_sel:DWORD dst_unused:UNUSED_PAD src0_sel:WORD_1
	;; [unrolled: 2-line block ×4, first 2 shown]
.LBB794_30:
	s_or_b64 exec, exec, s[0:1]
	s_waitcnt vmcnt(2)
	v_mul_f32_e32 v10, v19, v19
	v_fmac_f32_e32 v10, v18, v18
	v_fmac_f32_e32 v10, v32, v32
	v_fmac_f32_e32 v10, v33, v33
	v_fmac_f32_e32 v10, v30, v30
	v_fmac_f32_e32 v10, v31, v31
	v_fmac_f32_e32 v10, v28, v28
	v_fmac_f32_e32 v10, v29, v29
	v_fmac_f32_e32 v10, v26, v26
	v_fmac_f32_e32 v10, v27, v27
	v_fmac_f32_e32 v10, v24, v24
	v_fmac_f32_e32 v10, v25, v25
	v_fmac_f32_e32 v10, v22, v22
	v_fmac_f32_e32 v10, v23, v23
	v_fmac_f32_e32 v10, v20, v20
	v_fmac_f32_e32 v10, v21, v21
	s_nop 1
	v_mov_b32_dpp v11, v10 quad_perm:[1,0,3,2] row_mask:0xf bank_mask:0xf
	v_add_f32_e32 v10, v10, v11
	s_nop 1
	v_mov_b32_dpp v11, v10 quad_perm:[2,3,0,1] row_mask:0xf bank_mask:0xf
	v_add_f32_e32 v10, v10, v11
	s_nop 1
	v_mov_b32_dpp v11, v10 row_half_mirror row_mask:0xf bank_mask:0xf
	v_add_f32_e32 v10, v10, v11
	s_nop 1
	v_mov_b32_dpp v11, v10 row_mirror row_mask:0xf bank_mask:0xf
	v_add_f32_e32 v10, v10, v11
	s_nop 1
	v_mov_b32_dpp v11, v10 row_bcast:15 row_mask:0xf bank_mask:0xf
	v_add_f32_e32 v10, v10, v11
	s_nop 1
	v_mov_b32_dpp v11, v10 row_bcast:31 row_mask:0xf bank_mask:0xf
	s_and_saveexec_b64 s[0:1], s[8:9]
	s_cbranch_execz .LBB794_32
; %bb.31:
	v_lshrrev_b32_e32 v0, 4, v0
	v_add_f32_e32 v10, v10, v11
	v_and_b32_e32 v0, 60, v0
	ds_write_b32 v0, v10
.LBB794_32:
	s_or_b64 exec, exec, s[0:1]
	s_waitcnt lgkmcnt(0)
	s_barrier
	ds_read_b32 v0, v34
	s_waitcnt lgkmcnt(0)
	s_nop 0
	v_mov_b32_dpp v10, v0 quad_perm:[1,0,3,2] row_mask:0xf bank_mask:0xf
	v_add_f32_e32 v0, v0, v10
	s_nop 1
	v_mov_b32_dpp v10, v0 quad_perm:[2,3,0,1] row_mask:0xf bank_mask:0xf
	s_and_saveexec_b64 s[0:1], vcc
	s_cbranch_execz .LBB794_17
; %bb.33:
	v_cvt_f32_u32_e32 v11, s16
	v_add_f32_e32 v0, v0, v10
	s_mov_b32 s23, 0x20000
	v_div_scale_f32 v10, s[0:1], v11, v11, v0
	v_rcp_f32_e32 v12, v10
	v_div_scale_f32 v13, vcc, v0, v11, v0
	s_mov_b32 s0, 0x800000
	v_fma_f32 v14, -v10, v12, 1.0
	v_fmac_f32_e32 v12, v14, v12
	v_mul_f32_e32 v14, v13, v12
	v_fma_f32 v15, -v10, v14, v13
	v_fmac_f32_e32 v14, v15, v12
	v_fma_f32 v10, -v10, v14, v13
	v_div_fmas_f32 v10, v10, v12, v14
	v_div_fixup_f32 v0, v10, v11, v0
	v_add_f32_e32 v0, s13, v0
	v_mul_f32_e32 v10, 0x4b800000, v0
	v_cmp_gt_f32_e32 vcc, s0, v0
	v_cndmask_b32_e32 v0, v0, v10, vcc
	v_rsq_f32_e32 v0, v0
	s_mul_hi_i32 s1, s25, s6
	s_mul_i32 s0, s25, s6
	s_lshl_b64 s[0:1], s[0:1], 1
	v_mul_f32_e32 v10, 0x45800000, v0
	v_cndmask_b32_e32 v10, v0, v10, vcc
	v_mov_b32_e32 v11, v10
	;;#ASMSTART
	v_pk_mul_f32 v[12:13], v[18:19], v[10:11]
	;;#ASMEND
	;;#ASMSTART
	v_pk_mul_f32 v[14:15], v[32:33], v[10:11]
	;;#ASMEND
	;; [unrolled: 3-line block ×4, first 2 shown]
	s_waitcnt vmcnt(1)
	v_cvt_f32_u32_sdwa v29, v6 dst_sel:DWORD dst_unused:UNUSED_PAD src0_sel:WORD_1
	v_cvt_f32_u32_sdwa v28, v6 dst_sel:DWORD dst_unused:UNUSED_PAD src0_sel:WORD_0
	v_cvt_f32_u32_sdwa v31, v7 dst_sel:DWORD dst_unused:UNUSED_PAD src0_sel:WORD_1
	v_cvt_f32_u32_sdwa v30, v7 dst_sel:DWORD dst_unused:UNUSED_PAD src0_sel:WORD_0
	;;#ASMSTART
	v_pk_mul_f32 v[26:27], v[26:27], v[10:11]
	;;#ASMEND
	;;#ASMSTART
	v_pk_mul_f32 v[24:25], v[24:25], v[10:11]
	;;#ASMEND
	;; [unrolled: 3-line block ×4, first 2 shown]
	v_cvt_f32_u32_sdwa v21, v8 dst_sel:DWORD dst_unused:UNUSED_PAD src0_sel:WORD_1
	v_cvt_f32_u32_sdwa v20, v8 dst_sel:DWORD dst_unused:UNUSED_PAD src0_sel:WORD_0
	v_pk_add_f32 v[10:11], v[28:29], 1.0 op_sel_hi:[1,0]
	;;#ASMSTART
	v_pk_mul_f32 v[10:11], v[12:13], v[10:11]
	;;#ASMEND
	v_pk_add_f32 v[12:13], v[30:31], 1.0 op_sel_hi:[1,0]
	v_cvt_f32_u32_sdwa v29, v9 dst_sel:DWORD dst_unused:UNUSED_PAD src0_sel:WORD_1
	v_cvt_f32_u32_sdwa v28, v9 dst_sel:DWORD dst_unused:UNUSED_PAD src0_sel:WORD_0
	;;#ASMSTART
	v_pk_mul_f32 v[8:9], v[14:15], v[12:13]
	;;#ASMEND
	v_pk_add_f32 v[12:13], v[20:21], 1.0 op_sel_hi:[1,0]
	;;#ASMSTART
	v_pk_mul_f32 v[12:13], v[16:17], v[12:13]
	;;#ASMEND
	s_waitcnt vmcnt(0)
	v_cvt_f32_u32_sdwa v17, v2 dst_sel:DWORD dst_unused:UNUSED_PAD src0_sel:WORD_1
	v_cvt_f32_u32_sdwa v16, v2 dst_sel:DWORD dst_unused:UNUSED_PAD src0_sel:WORD_0
	v_cvt_f32_u32_sdwa v21, v3 dst_sel:DWORD dst_unused:UNUSED_PAD src0_sel:WORD_1
	v_cvt_f32_u32_sdwa v20, v3 dst_sel:DWORD dst_unused:UNUSED_PAD src0_sel:WORD_0
	v_pk_add_f32 v[14:15], v[28:29], 1.0 op_sel_hi:[1,0]
	;;#ASMSTART
	v_pk_mul_f32 v[14:15], v[18:19], v[14:15]
	;;#ASMEND
	v_pk_add_f32 v[2:3], v[16:17], 1.0 op_sel_hi:[1,0]
	v_cvt_f32_u32_sdwa v19, v4 dst_sel:DWORD dst_unused:UNUSED_PAD src0_sel:WORD_1
	v_cvt_f32_u32_sdwa v18, v4 dst_sel:DWORD dst_unused:UNUSED_PAD src0_sel:WORD_0
	;;#ASMSTART
	v_pk_mul_f32 v[16:17], v[26:27], v[2:3]
	;;#ASMEND
	v_pk_add_f32 v[2:3], v[20:21], 1.0 op_sel_hi:[1,0]
	v_cvt_f32_u32_sdwa v21, v5 dst_sel:DWORD dst_unused:UNUSED_PAD src0_sel:WORD_1
	v_cvt_f32_u32_sdwa v20, v5 dst_sel:DWORD dst_unused:UNUSED_PAD src0_sel:WORD_0
	s_add_u32 s20, s14, s0
	;;#ASMSTART
	v_pk_mul_f32 v[24:25], v[24:25], v[2:3]
	;;#ASMEND
	v_pk_add_f32 v[2:3], v[18:19], 1.0 op_sel_hi:[1,0]
	s_addc_u32 s0, s15, s1
	;;#ASMSTART
	v_pk_mul_f32 v[18:19], v[22:23], v[2:3]
	;;#ASMEND
	v_pk_add_f32 v[2:3], v[20:21], 1.0 op_sel_hi:[1,0]
	s_and_b32 s21, s0, 0xffff
	s_mov_b32 s0, 0x7060302
	;;#ASMSTART
	v_pk_mul_f32 v[6:7], v[6:7], v[2:3]
	;;#ASMEND
	v_perm_b32 v2, v11, v10, s0
	v_perm_b32 v3, v9, v8, s0
	;; [unrolled: 1-line block ×4, first 2 shown]
	buffer_store_dwordx4 v[2:5], v1, s[20:23], 0 offen
	;;#ASMSTART
	s_nop 0
	;;#ASMEND
	s_nop 0
	v_perm_b32 v2, v17, v16, s0
	v_perm_b32 v3, v25, v24, s0
	;; [unrolled: 1-line block ×4, first 2 shown]
	buffer_store_dwordx4 v[2:5], v1, s[20:23], 16 offen
	;;#ASMSTART
	s_nop 0
	;;#ASMEND
	s_endpgm
	.section	.rodata,"a",@progbits
	.p2align	6, 0x0
	.amdhsa_kernel _ZN5aiter35fused_qk_rmsnorm_group_quant_kernelItDB8_Li256ELi16ELi4ELb1ELb1ELb1ELb1ELb0ELb0EEEvPT0_PvPT_S6_S6_PKS5_S8_S8_S8_S8_ffiiiiiiiiiiiii
		.amdhsa_group_segment_fixed_size 32
		.amdhsa_private_segment_fixed_size 0
		.amdhsa_kernarg_size 400
		.amdhsa_user_sgpr_count 6
		.amdhsa_user_sgpr_private_segment_buffer 1
		.amdhsa_user_sgpr_dispatch_ptr 0
		.amdhsa_user_sgpr_queue_ptr 0
		.amdhsa_user_sgpr_kernarg_segment_ptr 1
		.amdhsa_user_sgpr_dispatch_id 0
		.amdhsa_user_sgpr_flat_scratch_init 0
		.amdhsa_user_sgpr_kernarg_preload_length 0
		.amdhsa_user_sgpr_kernarg_preload_offset 0
		.amdhsa_user_sgpr_private_segment_size 0
		.amdhsa_uses_dynamic_stack 0
		.amdhsa_system_sgpr_private_segment_wavefront_offset 0
		.amdhsa_system_sgpr_workgroup_id_x 1
		.amdhsa_system_sgpr_workgroup_id_y 1
		.amdhsa_system_sgpr_workgroup_id_z 0
		.amdhsa_system_sgpr_workgroup_info 0
		.amdhsa_system_vgpr_workitem_id 0
		.amdhsa_next_free_vgpr 76
		.amdhsa_next_free_sgpr 32
		.amdhsa_accum_offset 76
		.amdhsa_reserve_vcc 1
		.amdhsa_reserve_flat_scratch 0
		.amdhsa_float_round_mode_32 0
		.amdhsa_float_round_mode_16_64 0
		.amdhsa_float_denorm_mode_32 3
		.amdhsa_float_denorm_mode_16_64 3
		.amdhsa_dx10_clamp 1
		.amdhsa_ieee_mode 1
		.amdhsa_fp16_overflow 0
		.amdhsa_tg_split 0
		.amdhsa_exception_fp_ieee_invalid_op 0
		.amdhsa_exception_fp_denorm_src 0
		.amdhsa_exception_fp_ieee_div_zero 0
		.amdhsa_exception_fp_ieee_overflow 0
		.amdhsa_exception_fp_ieee_underflow 0
		.amdhsa_exception_fp_ieee_inexact 0
		.amdhsa_exception_int_div_zero 0
	.end_amdhsa_kernel
	.section	.text._ZN5aiter35fused_qk_rmsnorm_group_quant_kernelItDB8_Li256ELi16ELi4ELb1ELb1ELb1ELb1ELb0ELb0EEEvPT0_PvPT_S6_S6_PKS5_S8_S8_S8_S8_ffiiiiiiiiiiiii,"axG",@progbits,_ZN5aiter35fused_qk_rmsnorm_group_quant_kernelItDB8_Li256ELi16ELi4ELb1ELb1ELb1ELb1ELb0ELb0EEEvPT0_PvPT_S6_S6_PKS5_S8_S8_S8_S8_ffiiiiiiiiiiiii,comdat
.Lfunc_end794:
	.size	_ZN5aiter35fused_qk_rmsnorm_group_quant_kernelItDB8_Li256ELi16ELi4ELb1ELb1ELb1ELb1ELb0ELb0EEEvPT0_PvPT_S6_S6_PKS5_S8_S8_S8_S8_ffiiiiiiiiiiiii, .Lfunc_end794-_ZN5aiter35fused_qk_rmsnorm_group_quant_kernelItDB8_Li256ELi16ELi4ELb1ELb1ELb1ELb1ELb0ELb0EEEvPT0_PvPT_S6_S6_PKS5_S8_S8_S8_S8_ffiiiiiiiiiiiii
                                        ; -- End function
	.section	.AMDGPU.csdata,"",@progbits
; Kernel info:
; codeLenInByte = 3568
; NumSgprs: 36
; NumVgprs: 76
; NumAgprs: 0
; TotalNumVgprs: 76
; ScratchSize: 0
; MemoryBound: 0
; FloatMode: 240
; IeeeMode: 1
; LDSByteSize: 32 bytes/workgroup (compile time only)
; SGPRBlocks: 4
; VGPRBlocks: 9
; NumSGPRsForWavesPerEU: 36
; NumVGPRsForWavesPerEU: 76
; AccumOffset: 76
; Occupancy: 6
; WaveLimiterHint : 0
; COMPUTE_PGM_RSRC2:SCRATCH_EN: 0
; COMPUTE_PGM_RSRC2:USER_SGPR: 6
; COMPUTE_PGM_RSRC2:TRAP_HANDLER: 0
; COMPUTE_PGM_RSRC2:TGID_X_EN: 1
; COMPUTE_PGM_RSRC2:TGID_Y_EN: 1
; COMPUTE_PGM_RSRC2:TGID_Z_EN: 0
; COMPUTE_PGM_RSRC2:TIDIG_COMP_CNT: 0
; COMPUTE_PGM_RSRC3_GFX90A:ACCUM_OFFSET: 18
; COMPUTE_PGM_RSRC3_GFX90A:TG_SPLIT: 0
	.section	.text._ZN5aiter35fused_qk_rmsnorm_group_quant_kernelIDF16_N4opus5fp4_tELi256ELi16ELi4ELb1ELb1ELb1ELb1ELb0ELb0EEEvPT0_PvPT_S7_S7_PKS6_S9_S9_S9_S9_ffiiiiiiiiiiiii,"axG",@progbits,_ZN5aiter35fused_qk_rmsnorm_group_quant_kernelIDF16_N4opus5fp4_tELi256ELi16ELi4ELb1ELb1ELb1ELb1ELb0ELb0EEEvPT0_PvPT_S7_S7_PKS6_S9_S9_S9_S9_ffiiiiiiiiiiiii,comdat
	.protected	_ZN5aiter35fused_qk_rmsnorm_group_quant_kernelIDF16_N4opus5fp4_tELi256ELi16ELi4ELb1ELb1ELb1ELb1ELb0ELb0EEEvPT0_PvPT_S7_S7_PKS6_S9_S9_S9_S9_ffiiiiiiiiiiiii ; -- Begin function _ZN5aiter35fused_qk_rmsnorm_group_quant_kernelIDF16_N4opus5fp4_tELi256ELi16ELi4ELb1ELb1ELb1ELb1ELb0ELb0EEEvPT0_PvPT_S7_S7_PKS6_S9_S9_S9_S9_ffiiiiiiiiiiiii
	.globl	_ZN5aiter35fused_qk_rmsnorm_group_quant_kernelIDF16_N4opus5fp4_tELi256ELi16ELi4ELb1ELb1ELb1ELb1ELb0ELb0EEEvPT0_PvPT_S7_S7_PKS6_S9_S9_S9_S9_ffiiiiiiiiiiiii
	.p2align	8
	.type	_ZN5aiter35fused_qk_rmsnorm_group_quant_kernelIDF16_N4opus5fp4_tELi256ELi16ELi4ELb1ELb1ELb1ELb1ELb0ELb0EEEvPT0_PvPT_S7_S7_PKS6_S9_S9_S9_S9_ffiiiiiiiiiiiii,@function
_ZN5aiter35fused_qk_rmsnorm_group_quant_kernelIDF16_N4opus5fp4_tELi256ELi16ELi4ELb1ELb1ELb1ELb1ELb0ELb0EEEvPT0_PvPT_S7_S7_PKS6_S9_S9_S9_S9_ffiiiiiiiiiiiii: ; @_ZN5aiter35fused_qk_rmsnorm_group_quant_kernelIDF16_N4opus5fp4_tELi256ELi16ELi4ELb1ELb1ELb1ELb1ELb0ELb0EEEvPT0_PvPT_S7_S7_PKS6_S9_S9_S9_S9_ffiiiiiiiiiiiii
; %bb.0:
	s_load_dwordx8 s[12:19], s[4:5], 0x50
	s_waitcnt lgkmcnt(0)
	s_cmp_ge_i32 s6, s14
	s_cbranch_scc1 .LBB795_17
; %bb.1:
	s_cmp_lg_u32 s7, 0
	s_cselect_b64 s[22:23], -1, 0
	s_cmp_eq_u32 s7, 0
	s_cselect_b64 s[2:3], -1, 0
	s_and_b64 s[0:1], s[2:3], exec
	s_cselect_b32 s7, s15, s16
	s_load_dwordx2 s[10:11], s[4:5], 0x30
	s_load_dwordx2 s[20:21], s[4:5], 0x48
	s_add_i32 s0, s7, 1
	s_lshr_b32 s1, s0, 31
	s_add_i32 s0, s0, s1
	s_lshl_b32 s0, s0, 1
	v_lshlrev_b32_e32 v1, 4, v0
	s_and_b32 s30, s0, -4
	v_cmp_gt_i32_e64 s[0:1], s7, v1
	v_mov_b32_e32 v6, 0
	v_mov_b32_e32 v7, 0
	;; [unrolled: 1-line block ×16, first 2 shown]
	s_and_saveexec_b64 s[8:9], s[0:1]
	s_cbranch_execz .LBB795_3
; %bb.2:
	s_load_dwordx2 s[14:15], s[4:5], 0x28
	s_load_dwordx2 s[26:27], s[4:5], 0x40
	s_and_b64 s[24:25], s[2:3], exec
	s_cselect_b32 s17, s17, s18
	s_mov_b32 s31, 0x20000
	s_waitcnt lgkmcnt(0)
	s_cselect_b32 s25, s15, s11
	s_cselect_b32 s24, s14, s10
	s_mul_hi_i32 s15, s17, s6
	s_mul_i32 s14, s17, s6
	s_lshl_b64 s[14:15], s[14:15], 1
	s_add_u32 s24, s24, s14
	s_addc_u32 s17, s25, s15
	s_and_b64 s[14:15], s[2:3], exec
	s_cselect_b32 s28, s26, s20
	s_cselect_b32 s14, s27, s21
	s_and_b32 s25, s17, 0xffff
	s_mov_b32 s26, s30
	s_mov_b32 s27, s31
	v_lshlrev_b32_e32 v18, 5, v0
	s_and_b32 s29, s14, 0xffff
	buffer_load_dwordx4 v[10:13], v18, s[24:27], 0 offen
	buffer_load_dwordx4 v[14:17], v18, s[24:27], 16 offen
	;; [unrolled: 1-line block ×4, first 2 shown]
.LBB795_3:
	s_or_b64 exec, exec, s[8:9]
	s_load_dwordx4 s[24:27], s[4:5], 0x7c
	s_and_b64 vcc, exec, s[22:23]
	s_cbranch_vccz .LBB795_7
; %bb.4:
	v_mov_b32_e32 v19, 0
	v_mov_b32_e32 v18, 0
	;; [unrolled: 1-line block ×16, first 2 shown]
	s_and_saveexec_b64 s[8:9], s[0:1]
	s_cbranch_execz .LBB795_6
; %bb.5:
	s_waitcnt vmcnt(3)
	v_cvt_f32_f16_sdwa v27, v10 dst_sel:DWORD dst_unused:UNUSED_PAD src0_sel:WORD_1
	v_cvt_f32_f16_e32 v26, v10
	v_cvt_f32_f16_sdwa v31, v11 dst_sel:DWORD dst_unused:UNUSED_PAD src0_sel:WORD_1
	v_cvt_f32_f16_e32 v30, v11
	;; [unrolled: 2-line block ×4, first 2 shown]
	s_waitcnt vmcnt(2)
	v_cvt_f32_f16_sdwa v21, v14 dst_sel:DWORD dst_unused:UNUSED_PAD src0_sel:WORD_1
	v_cvt_f32_f16_e32 v20, v14
	v_cvt_f32_f16_sdwa v25, v15 dst_sel:DWORD dst_unused:UNUSED_PAD src0_sel:WORD_1
	v_cvt_f32_f16_e32 v24, v15
	;; [unrolled: 2-line block ×4, first 2 shown]
.LBB795_6:
	s_or_b64 exec, exec, s[8:9]
	s_cbranch_execz .LBB795_8
	s_branch .LBB795_11
.LBB795_7:
                                        ; implicit-def: $vgpr19
                                        ; implicit-def: $vgpr23
                                        ; implicit-def: $vgpr25
                                        ; implicit-def: $vgpr21
                                        ; implicit-def: $vgpr33
                                        ; implicit-def: $vgpr29
                                        ; implicit-def: $vgpr31
                                        ; implicit-def: $vgpr27
.LBB795_8:
	v_mov_b32_e32 v19, 0
	v_mov_b32_e32 v18, 0
	;; [unrolled: 1-line block ×16, first 2 shown]
	s_and_saveexec_b64 s[8:9], s[0:1]
	s_cbranch_execz .LBB795_10
; %bb.9:
	s_load_dwordx2 s[14:15], s[4:5], 0x38
	s_mul_hi_i32 s29, s19, s6
	s_mul_i32 s28, s19, s6
	s_lshl_b64 s[28:29], s[28:29], 1
	s_mov_b32 s31, 0x20000
	s_waitcnt lgkmcnt(0)
	s_add_u32 s28, s14, s28
	s_addc_u32 s14, s15, s29
	s_and_b32 s29, s14, 0xffff
	v_lshlrev_b32_e32 v48, 5, v0
	buffer_load_dwordx4 v[18:21], v48, s[28:31], 16 offen
	buffer_load_dwordx4 v[22:25], v48, s[28:31], 0 offen
	s_waitcnt vmcnt(4)
	v_cvt_f32_f16_sdwa v27, v14 dst_sel:DWORD dst_unused:UNUSED_PAD src0_sel:WORD_1
	v_cvt_f32_f16_e32 v26, v14
	v_cvt_f32_f16_sdwa v29, v15 dst_sel:DWORD dst_unused:UNUSED_PAD src0_sel:WORD_1
	v_cvt_f32_f16_e32 v28, v15
	;; [unrolled: 2-line block ×8, first 2 shown]
	s_load_dwordx2 s[14:15], s[4:5], 0x20
	s_mul_hi_i32 s27, s26, s6
	s_mul_i32 s26, s26, s6
	s_lshl_b64 s[26:27], s[26:27], 1
	s_waitcnt lgkmcnt(0)
	s_add_u32 s28, s14, s26
	s_addc_u32 s14, s15, s27
	s_and_b32 s29, s14, 0xffff
	s_waitcnt vmcnt(1)
	v_cvt_f32_f16_e32 v12, v18
	v_cvt_f32_f16_sdwa v13, v18 dst_sel:DWORD dst_unused:UNUSED_PAD src0_sel:WORD_1
	v_cvt_f32_f16_e32 v18, v19
	v_cvt_f32_f16_sdwa v19, v19 dst_sel:DWORD dst_unused:UNUSED_PAD src0_sel:WORD_1
	;; [unrolled: 2-line block ×4, first 2 shown]
	s_waitcnt vmcnt(0)
	v_cvt_f32_f16_e32 v40, v22
	v_cvt_f32_f16_sdwa v41, v22 dst_sel:DWORD dst_unused:UNUSED_PAD src0_sel:WORD_1
	v_cvt_f32_f16_e32 v42, v23
	v_cvt_f32_f16_sdwa v43, v23 dst_sel:DWORD dst_unused:UNUSED_PAD src0_sel:WORD_1
	;; [unrolled: 2-line block ×4, first 2 shown]
	v_pk_add_f32 v[20:21], v[26:27], v[12:13]
	v_pk_add_f32 v[24:25], v[28:29], v[18:19]
	;; [unrolled: 1-line block ×8, first 2 shown]
	v_cvt_f16_f32_e32 v10, v27
	v_cvt_f16_f32_e32 v14, v26
	;; [unrolled: 1-line block ×16, first 2 shown]
	v_pack_b32_f16 v13, v17, v13
	v_pack_b32_f16 v12, v16, v12
	;; [unrolled: 1-line block ×8, first 2 shown]
	buffer_store_dwordx4 v[10:13], v48, s[28:31], 0 offen
	;;#ASMSTART
	s_nop 0
	;;#ASMEND
	buffer_store_dwordx4 v[14:17], v48, s[28:31], 16 offen
	;;#ASMSTART
	s_nop 0
	;;#ASMEND
.LBB795_10:
	s_or_b64 exec, exec, s[8:9]
.LBB795_11:
	s_waitcnt vmcnt(3)
	v_mul_f32_e32 v10, v27, v27
	v_fmac_f32_e32 v10, v26, v26
	v_fmac_f32_e32 v10, v30, v30
	;; [unrolled: 1-line block ×15, first 2 shown]
	v_and_b32_e32 v12, 63, v0
	v_cmp_eq_u32_e64 s[8:9], 63, v12
	v_mov_b32_dpp v11, v10 quad_perm:[1,0,3,2] row_mask:0xf bank_mask:0xf
	v_add_f32_e32 v10, v10, v11
	s_nop 1
	v_mov_b32_dpp v11, v10 quad_perm:[2,3,0,1] row_mask:0xf bank_mask:0xf
	v_add_f32_e32 v10, v10, v11
	s_nop 1
	v_mov_b32_dpp v11, v10 row_half_mirror row_mask:0xf bank_mask:0xf
	v_add_f32_e32 v10, v10, v11
	s_nop 1
	v_mov_b32_dpp v11, v10 row_mirror row_mask:0xf bank_mask:0xf
	v_add_f32_e32 v10, v10, v11
	s_nop 1
	v_mov_b32_dpp v11, v10 row_bcast:15 row_mask:0xf bank_mask:0xf
	v_add_f32_e32 v10, v10, v11
	s_nop 1
	v_mov_b32_dpp v11, v10 row_bcast:31 row_mask:0xf bank_mask:0xf
	s_and_saveexec_b64 s[14:15], s[8:9]
	s_cbranch_execz .LBB795_13
; %bb.12:
	v_add_f32_e32 v10, v10, v11
	v_lshrrev_b32_e32 v11, 4, v0
	v_and_b32_e32 v11, 60, v11
	ds_write_b32 v11, v10 offset:16
.LBB795_13:
	s_or_b64 exec, exec, s[14:15]
	v_and_b32_e32 v10, 3, v0
	v_lshlrev_b32_e32 v34, 2, v10
	s_waitcnt lgkmcnt(0)
	s_barrier
	ds_read_b32 v10, v34 offset:16
	s_load_dwordx2 s[14:15], s[4:5], 0x18
	s_waitcnt lgkmcnt(0)
	v_mov_b32_dpp v11, v10 quad_perm:[1,0,3,2] row_mask:0xf bank_mask:0xf
	v_add_f32_e32 v10, v10, v11
	s_nop 1
	v_mov_b32_dpp v11, v10 quad_perm:[2,3,0,1] row_mask:0xf bank_mask:0xf
	s_and_saveexec_b64 s[26:27], s[0:1]
	s_cbranch_execnz .LBB795_18
; %bb.14:
	s_or_b64 exec, exec, s[26:27]
	s_mov_b64 s[2:3], -1
	s_and_b64 vcc, exec, s[22:23]
	s_cbranch_vccnz .LBB795_19
.LBB795_15:
	s_andn2_b64 vcc, exec, s[2:3]
	s_cbranch_vccz .LBB795_22
.LBB795_16:
	s_cmp_lt_i32 s16, 1
	s_cbranch_scc0 .LBB795_25
.LBB795_17:
	s_endpgm
.LBB795_18:
	v_cvt_f32_u32_e32 v12, s7
	v_add_f32_e32 v10, v10, v11
	s_waitcnt vmcnt(2)
	v_mov_b32_e32 v14, s13
	v_mov_b32_e32 v15, s12
	v_div_scale_f32 v11, s[28:29], v12, v12, v10
	v_rcp_f32_e32 v13, v11
	v_cndmask_b32_e64 v14, v14, v15, s[2:3]
	s_mov_b32 s2, 0x800000
	v_fma_f32 v15, -v11, v13, 1.0
	v_fmac_f32_e32 v13, v15, v13
	v_div_scale_f32 v15, vcc, v10, v12, v10
	v_mul_f32_e32 v16, v15, v13
	v_fma_f32 v17, -v11, v16, v15
	v_fmac_f32_e32 v16, v17, v13
	v_fma_f32 v11, -v11, v16, v15
	v_div_fmas_f32 v11, v11, v13, v16
	v_div_fixup_f32 v10, v11, v12, v10
	v_add_f32_e32 v10, v14, v10
	v_mul_f32_e32 v11, 0x4b800000, v10
	v_cmp_gt_f32_e32 vcc, s2, v10
	v_cndmask_b32_e32 v10, v10, v11, vcc
	v_rsq_f32_e32 v10, v10
	v_mul_f32_e32 v11, 0x45800000, v10
	v_cndmask_b32_e32 v10, v10, v11, vcc
	v_mov_b32_e32 v11, v10
	;;#ASMSTART
	v_pk_mul_f32 v[12:13], v[26:27], v[10:11]
	;;#ASMEND
	s_waitcnt vmcnt(1)
	v_cvt_f32_f16_sdwa v27, v6 dst_sel:DWORD dst_unused:UNUSED_PAD src0_sel:WORD_1
	v_cvt_f32_f16_e32 v26, v6
	;;#ASMSTART
	v_pk_mul_f32 v[14:15], v[30:31], v[10:11]
	;;#ASMEND
	;;#ASMSTART
	v_pk_mul_f32 v[16:17], v[28:29], v[10:11]
	;;#ASMEND
	v_cvt_f32_f16_sdwa v29, v7 dst_sel:DWORD dst_unused:UNUSED_PAD src0_sel:WORD_1
	v_cvt_f32_f16_e32 v28, v7
	;;#ASMSTART
	v_pk_mul_f32 v[32:33], v[32:33], v[10:11]
	;;#ASMEND
	;;#ASMSTART
	v_pk_mul_f32 v[20:21], v[20:21], v[10:11]
	;;#ASMEND
	;; [unrolled: 3-line block ×5, first 2 shown]
	v_pk_add_f32 v[10:11], v[26:27], 1.0 op_sel_hi:[1,0]
	;;#ASMSTART
	v_pk_mul_f32 v[26:27], v[12:13], v[10:11]
	;;#ASMEND
	v_cvt_f32_f16_sdwa v13, v8 dst_sel:DWORD dst_unused:UNUSED_PAD src0_sel:WORD_1
	v_cvt_f32_f16_e32 v12, v8
	v_cvt_f32_f16_sdwa v19, v9 dst_sel:DWORD dst_unused:UNUSED_PAD src0_sel:WORD_1
	v_cvt_f32_f16_e32 v18, v9
	v_pk_add_f32 v[10:11], v[28:29], 1.0 op_sel_hi:[1,0]
	;;#ASMSTART
	v_pk_mul_f32 v[30:31], v[14:15], v[10:11]
	;;#ASMEND
	s_waitcnt vmcnt(0)
	v_cvt_f32_f16_sdwa v11, v2 dst_sel:DWORD dst_unused:UNUSED_PAD src0_sel:WORD_1
	v_cvt_f32_f16_e32 v10, v2
	v_pk_add_f32 v[8:9], v[12:13], 1.0 op_sel_hi:[1,0]
	;;#ASMSTART
	v_pk_mul_f32 v[28:29], v[16:17], v[8:9]
	;;#ASMEND
	v_pk_add_f32 v[8:9], v[18:19], 1.0 op_sel_hi:[1,0]
	v_cvt_f32_f16_sdwa v13, v3 dst_sel:DWORD dst_unused:UNUSED_PAD src0_sel:WORD_1
	v_cvt_f32_f16_e32 v12, v3
	;;#ASMSTART
	v_pk_mul_f32 v[32:33], v[32:33], v[8:9]
	;;#ASMEND
	v_cvt_f32_f16_sdwa v9, v4 dst_sel:DWORD dst_unused:UNUSED_PAD src0_sel:WORD_1
	v_cvt_f32_f16_e32 v8, v4
	v_pk_add_f32 v[2:3], v[10:11], 1.0 op_sel_hi:[1,0]
	v_cvt_f32_f16_sdwa v11, v5 dst_sel:DWORD dst_unused:UNUSED_PAD src0_sel:WORD_1
	v_cvt_f32_f16_e32 v10, v5
	;;#ASMSTART
	v_pk_mul_f32 v[20:21], v[20:21], v[2:3]
	;;#ASMEND
	v_pk_add_f32 v[2:3], v[12:13], 1.0 op_sel_hi:[1,0]
	;;#ASMSTART
	v_pk_mul_f32 v[24:25], v[24:25], v[2:3]
	;;#ASMEND
	v_pk_add_f32 v[2:3], v[8:9], 1.0 op_sel_hi:[1,0]
	;; [unrolled: 4-line block ×3, first 2 shown]
	;;#ASMSTART
	v_pk_mul_f32 v[18:19], v[6:7], v[2:3]
	;;#ASMEND
	s_or_b64 exec, exec, s[26:27]
	s_mov_b64 s[2:3], -1
	s_and_b64 vcc, exec, s[22:23]
	s_cbranch_vccz .LBB795_15
.LBB795_19:
	s_and_saveexec_b64 s[2:3], s[0:1]
	s_cbranch_execz .LBB795_21
; %bb.20:
	s_mul_hi_i32 s23, s25, s6
	s_mul_i32 s22, s25, s6
	s_waitcnt vmcnt(0)
	v_cvt_f16_f32_e32 v2, v26
	v_cvt_f16_f32_e32 v3, v30
	;; [unrolled: 1-line block ×8, first 2 shown]
	s_lshl_b64 s[22:23], s[22:23], 1
	s_add_u32 s28, s14, s22
	s_addc_u32 s7, s15, s23
	s_and_b32 s29, s7, 0xffff
	s_mov_b32 s31, 0x20000
	v_pack_b32_f16 v5, v5, v6
	v_pack_b32_f16 v4, v4, v7
	;; [unrolled: 1-line block ×4, first 2 shown]
	v_lshlrev_b32_e32 v6, 5, v0
	buffer_store_dwordx4 v[2:5], v6, s[28:31], 0 offen
	v_cvt_f16_f32_e32 v7, v19
	v_cvt_f16_f32_e32 v2, v20
	;; [unrolled: 1-line block ×8, first 2 shown]
	v_pack_b32_f16 v5, v5, v7
	v_pack_b32_f16 v4, v4, v8
	;; [unrolled: 1-line block ×4, first 2 shown]
	;;#ASMSTART
	s_nop 0
	;;#ASMEND
	buffer_store_dwordx4 v[2:5], v6, s[28:31], 16 offen
	;;#ASMSTART
	s_nop 0
	;;#ASMEND
.LBB795_21:
	s_or_b64 exec, exec, s[2:3]
	s_cbranch_execnz .LBB795_16
.LBB795_22:
	s_and_saveexec_b64 s[2:3], s[0:1]
	s_cbranch_execz .LBB795_24
; %bb.23:
	s_load_dwordx2 s[0:1], s[4:5], 0x10
	s_mul_hi_i32 s23, s24, s6
	s_mul_i32 s22, s24, s6
	s_waitcnt vmcnt(0)
	v_cvt_f16_f32_e32 v2, v26
	v_cvt_f16_f32_e32 v3, v30
	;; [unrolled: 1-line block ×8, first 2 shown]
	s_lshl_b64 s[22:23], s[22:23], 1
	s_waitcnt lgkmcnt(0)
	s_add_u32 s28, s0, s22
	s_addc_u32 s0, s1, s23
	s_mov_b32 s31, 0x20000
	s_and_b32 s29, s0, 0xffff
	v_pack_b32_f16 v5, v5, v6
	v_pack_b32_f16 v4, v4, v7
	;; [unrolled: 1-line block ×4, first 2 shown]
	v_lshlrev_b32_e32 v6, 5, v0
	buffer_store_dwordx4 v[2:5], v6, s[28:31], 0 offen
	v_cvt_f16_f32_e32 v7, v19
	v_cvt_f16_f32_e32 v2, v20
	;; [unrolled: 1-line block ×8, first 2 shown]
	v_pack_b32_f16 v5, v5, v7
	v_pack_b32_f16 v4, v4, v8
	;; [unrolled: 1-line block ×4, first 2 shown]
	;;#ASMSTART
	s_nop 0
	;;#ASMEND
	buffer_store_dwordx4 v[2:5], v6, s[28:31], 16 offen
	;;#ASMSTART
	s_nop 0
	;;#ASMEND
.LBB795_24:
	s_or_b64 exec, exec, s[2:3]
	s_cmp_lt_i32 s16, 1
	s_cbranch_scc1 .LBB795_17
.LBB795_25:
	s_load_dword s0, s[4:5], 0x94
	s_waitcnt lgkmcnt(0)
	s_cmp_lg_u32 s0, 1
	s_cbranch_scc1 .LBB795_17
; %bb.26:
	s_lshl_b32 s0, s16, 1
	s_add_i32 s0, s0, 2
	v_cmp_gt_u32_e32 vcc, s16, v1
	s_and_b32 s22, s0, -4
	v_mov_b32_e32 v18, 0
	v_lshlrev_b32_e32 v1, 5, v0
	s_waitcnt vmcnt(2)
	v_mov_b32_e32 v14, 0
	v_mov_b32_e32 v15, 0
	;; [unrolled: 1-line block ×8, first 2 shown]
	s_waitcnt vmcnt(1)
	v_mov_b32_e32 v6, 0
	v_mov_b32_e32 v7, 0
	;; [unrolled: 1-line block ×4, first 2 shown]
	s_waitcnt vmcnt(0)
	v_mov_b32_e32 v2, 0
	v_mov_b32_e32 v3, 0
	;; [unrolled: 1-line block ×4, first 2 shown]
	s_barrier
	s_and_saveexec_b64 s[0:1], vcc
	s_cbranch_execz .LBB795_28
; %bb.27:
	s_mul_hi_i32 s3, s18, s6
	s_mul_i32 s2, s18, s6
	s_and_b32 s21, s21, 0xffff
	s_lshl_b64 s[2:3], s[2:3], 1
	s_add_u32 s28, s10, s2
	s_mov_b32 s23, 0x20000
	s_addc_u32 s2, s11, s3
	s_and_b32 s29, s2, 0xffff
	s_mov_b32 s30, s22
	s_mov_b32 s31, s23
	buffer_load_dwordx4 v[14:17], v1, s[28:31], 0 offen
	buffer_load_dwordx4 v[10:13], v1, s[28:31], 16 offen
	;; [unrolled: 1-line block ×4, first 2 shown]
.LBB795_28:
	s_or_b64 exec, exec, s[0:1]
	v_mov_b32_e32 v19, 0
	v_mov_b32_e32 v32, 0
	;; [unrolled: 1-line block ×15, first 2 shown]
	s_and_saveexec_b64 s[0:1], vcc
	s_cbranch_execz .LBB795_30
; %bb.29:
	s_waitcnt vmcnt(3)
	v_cvt_f32_f16_sdwa v19, v14 dst_sel:DWORD dst_unused:UNUSED_PAD src0_sel:WORD_1
	v_cvt_f32_f16_e32 v18, v14
	v_cvt_f32_f16_sdwa v33, v15 dst_sel:DWORD dst_unused:UNUSED_PAD src0_sel:WORD_1
	v_cvt_f32_f16_e32 v32, v15
	;; [unrolled: 2-line block ×4, first 2 shown]
	s_waitcnt vmcnt(2)
	v_cvt_f32_f16_sdwa v27, v10 dst_sel:DWORD dst_unused:UNUSED_PAD src0_sel:WORD_1
	v_cvt_f32_f16_e32 v26, v10
	v_cvt_f32_f16_sdwa v25, v11 dst_sel:DWORD dst_unused:UNUSED_PAD src0_sel:WORD_1
	v_cvt_f32_f16_e32 v24, v11
	;; [unrolled: 2-line block ×4, first 2 shown]
.LBB795_30:
	s_or_b64 exec, exec, s[0:1]
	s_waitcnt vmcnt(2)
	v_mul_f32_e32 v10, v19, v19
	v_fmac_f32_e32 v10, v18, v18
	v_fmac_f32_e32 v10, v32, v32
	;; [unrolled: 1-line block ×15, first 2 shown]
	s_nop 1
	v_mov_b32_dpp v11, v10 quad_perm:[1,0,3,2] row_mask:0xf bank_mask:0xf
	v_add_f32_e32 v10, v10, v11
	s_nop 1
	v_mov_b32_dpp v11, v10 quad_perm:[2,3,0,1] row_mask:0xf bank_mask:0xf
	v_add_f32_e32 v10, v10, v11
	s_nop 1
	v_mov_b32_dpp v11, v10 row_half_mirror row_mask:0xf bank_mask:0xf
	v_add_f32_e32 v10, v10, v11
	s_nop 1
	v_mov_b32_dpp v11, v10 row_mirror row_mask:0xf bank_mask:0xf
	v_add_f32_e32 v10, v10, v11
	s_nop 1
	v_mov_b32_dpp v11, v10 row_bcast:15 row_mask:0xf bank_mask:0xf
	v_add_f32_e32 v10, v10, v11
	s_nop 1
	v_mov_b32_dpp v11, v10 row_bcast:31 row_mask:0xf bank_mask:0xf
	s_and_saveexec_b64 s[0:1], s[8:9]
	s_cbranch_execz .LBB795_32
; %bb.31:
	v_lshrrev_b32_e32 v0, 4, v0
	v_add_f32_e32 v10, v10, v11
	v_and_b32_e32 v0, 60, v0
	ds_write_b32 v0, v10
.LBB795_32:
	s_or_b64 exec, exec, s[0:1]
	s_waitcnt lgkmcnt(0)
	s_barrier
	ds_read_b32 v0, v34
	s_waitcnt lgkmcnt(0)
	s_nop 0
	v_mov_b32_dpp v10, v0 quad_perm:[1,0,3,2] row_mask:0xf bank_mask:0xf
	v_add_f32_e32 v0, v0, v10
	s_nop 1
	v_mov_b32_dpp v10, v0 quad_perm:[2,3,0,1] row_mask:0xf bank_mask:0xf
	s_and_saveexec_b64 s[0:1], vcc
	s_cbranch_execz .LBB795_17
; %bb.33:
	v_cvt_f32_u32_e32 v11, s16
	v_add_f32_e32 v0, v0, v10
	s_mov_b32 s23, 0x20000
	v_div_scale_f32 v10, s[0:1], v11, v11, v0
	v_rcp_f32_e32 v12, v10
	v_div_scale_f32 v13, vcc, v0, v11, v0
	s_mov_b32 s0, 0x800000
	v_fma_f32 v14, -v10, v12, 1.0
	v_fmac_f32_e32 v12, v14, v12
	v_mul_f32_e32 v14, v13, v12
	v_fma_f32 v15, -v10, v14, v13
	v_fmac_f32_e32 v14, v15, v12
	v_fma_f32 v10, -v10, v14, v13
	v_div_fmas_f32 v10, v10, v12, v14
	v_div_fixup_f32 v0, v10, v11, v0
	v_add_f32_e32 v0, s13, v0
	v_mul_f32_e32 v10, 0x4b800000, v0
	v_cmp_gt_f32_e32 vcc, s0, v0
	v_cndmask_b32_e32 v0, v0, v10, vcc
	v_rsq_f32_e32 v0, v0
	s_mul_hi_i32 s1, s25, s6
	s_mul_i32 s0, s25, s6
	s_lshl_b64 s[0:1], s[0:1], 1
	v_mul_f32_e32 v10, 0x45800000, v0
	v_cndmask_b32_e32 v10, v0, v10, vcc
	v_mov_b32_e32 v11, v10
	;;#ASMSTART
	v_pk_mul_f32 v[12:13], v[18:19], v[10:11]
	;;#ASMEND
	;;#ASMSTART
	v_pk_mul_f32 v[14:15], v[32:33], v[10:11]
	;;#ASMEND
	;; [unrolled: 3-line block ×4, first 2 shown]
	s_waitcnt vmcnt(1)
	v_cvt_f32_f16_sdwa v29, v6 dst_sel:DWORD dst_unused:UNUSED_PAD src0_sel:WORD_1
	v_cvt_f32_f16_e32 v28, v6
	v_cvt_f32_f16_sdwa v31, v7 dst_sel:DWORD dst_unused:UNUSED_PAD src0_sel:WORD_1
	v_cvt_f32_f16_e32 v30, v7
	;;#ASMSTART
	v_pk_mul_f32 v[26:27], v[26:27], v[10:11]
	;;#ASMEND
	;;#ASMSTART
	v_pk_mul_f32 v[24:25], v[24:25], v[10:11]
	;;#ASMEND
	;; [unrolled: 3-line block ×4, first 2 shown]
	v_cvt_f32_f16_sdwa v21, v8 dst_sel:DWORD dst_unused:UNUSED_PAD src0_sel:WORD_1
	v_cvt_f32_f16_e32 v20, v8
	v_pk_add_f32 v[10:11], v[28:29], 1.0 op_sel_hi:[1,0]
	;;#ASMSTART
	v_pk_mul_f32 v[10:11], v[12:13], v[10:11]
	;;#ASMEND
	v_pk_add_f32 v[12:13], v[30:31], 1.0 op_sel_hi:[1,0]
	v_cvt_f32_f16_sdwa v29, v9 dst_sel:DWORD dst_unused:UNUSED_PAD src0_sel:WORD_1
	v_cvt_f32_f16_e32 v28, v9
	;;#ASMSTART
	v_pk_mul_f32 v[8:9], v[14:15], v[12:13]
	;;#ASMEND
	v_pk_add_f32 v[12:13], v[20:21], 1.0 op_sel_hi:[1,0]
	;;#ASMSTART
	v_pk_mul_f32 v[12:13], v[16:17], v[12:13]
	;;#ASMEND
	s_waitcnt vmcnt(0)
	v_cvt_f32_f16_sdwa v17, v2 dst_sel:DWORD dst_unused:UNUSED_PAD src0_sel:WORD_1
	v_cvt_f32_f16_e32 v16, v2
	v_cvt_f32_f16_sdwa v21, v3 dst_sel:DWORD dst_unused:UNUSED_PAD src0_sel:WORD_1
	v_cvt_f32_f16_e32 v20, v3
	v_pk_add_f32 v[14:15], v[28:29], 1.0 op_sel_hi:[1,0]
	;;#ASMSTART
	v_pk_mul_f32 v[2:3], v[18:19], v[14:15]
	;;#ASMEND
	v_cvt_f32_f16_sdwa v19, v4 dst_sel:DWORD dst_unused:UNUSED_PAD src0_sel:WORD_1
	v_cvt_f32_f16_e32 v18, v4
	v_pk_add_f32 v[14:15], v[16:17], 1.0 op_sel_hi:[1,0]
	v_pk_add_f32 v[16:17], v[20:21], 1.0 op_sel_hi:[1,0]
	v_cvt_f32_f16_sdwa v21, v5 dst_sel:DWORD dst_unused:UNUSED_PAD src0_sel:WORD_1
	v_cvt_f32_f16_e32 v20, v5
	v_pk_add_f32 v[4:5], v[18:19], 1.0 op_sel_hi:[1,0]
	;;#ASMSTART
	v_pk_mul_f32 v[14:15], v[26:27], v[14:15]
	;;#ASMEND
	;;#ASMSTART
	v_pk_mul_f32 v[16:17], v[24:25], v[16:17]
	;;#ASMEND
	;; [unrolled: 3-line block ×3, first 2 shown]
	v_pk_add_f32 v[4:5], v[20:21], 1.0 op_sel_hi:[1,0]
	;;#ASMSTART
	v_pk_mul_f32 v[6:7], v[6:7], v[4:5]
	;;#ASMEND
	v_cvt_f16_f32_e32 v0, v10
	v_cvt_f16_f32_e32 v4, v11
	v_cvt_f16_f32_e32 v5, v8
	v_cvt_f16_f32_e32 v8, v9
	v_cvt_f16_f32_e32 v9, v12
	v_cvt_f16_f32_e32 v10, v13
	v_cvt_f16_f32_e32 v11, v2
	v_cvt_f16_f32_e32 v12, v3
	s_add_u32 s20, s14, s0
	s_addc_u32 s0, s15, s1
	s_and_b32 s21, s0, 0xffff
	v_pack_b32_f16 v2, v0, v4
	v_pack_b32_f16 v3, v5, v8
	;; [unrolled: 1-line block ×4, first 2 shown]
	buffer_store_dwordx4 v[2:5], v1, s[20:23], 0 offen
	v_cvt_f16_f32_e32 v0, v14
	v_cvt_f16_f32_e32 v2, v15
	;; [unrolled: 1-line block ×8, first 2 shown]
	v_pack_b32_f16 v2, v0, v2
	v_pack_b32_f16 v3, v3, v4
	;; [unrolled: 1-line block ×4, first 2 shown]
	;;#ASMSTART
	s_nop 0
	;;#ASMEND
	buffer_store_dwordx4 v[2:5], v1, s[20:23], 16 offen
	;;#ASMSTART
	s_nop 0
	;;#ASMEND
	s_endpgm
	.section	.rodata,"a",@progbits
	.p2align	6, 0x0
	.amdhsa_kernel _ZN5aiter35fused_qk_rmsnorm_group_quant_kernelIDF16_N4opus5fp4_tELi256ELi16ELi4ELb1ELb1ELb1ELb1ELb0ELb0EEEvPT0_PvPT_S7_S7_PKS6_S9_S9_S9_S9_ffiiiiiiiiiiiii
		.amdhsa_group_segment_fixed_size 32
		.amdhsa_private_segment_fixed_size 0
		.amdhsa_kernarg_size 400
		.amdhsa_user_sgpr_count 6
		.amdhsa_user_sgpr_private_segment_buffer 1
		.amdhsa_user_sgpr_dispatch_ptr 0
		.amdhsa_user_sgpr_queue_ptr 0
		.amdhsa_user_sgpr_kernarg_segment_ptr 1
		.amdhsa_user_sgpr_dispatch_id 0
		.amdhsa_user_sgpr_flat_scratch_init 0
		.amdhsa_user_sgpr_kernarg_preload_length 0
		.amdhsa_user_sgpr_kernarg_preload_offset 0
		.amdhsa_user_sgpr_private_segment_size 0
		.amdhsa_uses_dynamic_stack 0
		.amdhsa_system_sgpr_private_segment_wavefront_offset 0
		.amdhsa_system_sgpr_workgroup_id_x 1
		.amdhsa_system_sgpr_workgroup_id_y 1
		.amdhsa_system_sgpr_workgroup_id_z 0
		.amdhsa_system_sgpr_workgroup_info 0
		.amdhsa_system_vgpr_workitem_id 0
		.amdhsa_next_free_vgpr 49
		.amdhsa_next_free_sgpr 32
		.amdhsa_accum_offset 52
		.amdhsa_reserve_vcc 1
		.amdhsa_reserve_flat_scratch 0
		.amdhsa_float_round_mode_32 0
		.amdhsa_float_round_mode_16_64 0
		.amdhsa_float_denorm_mode_32 3
		.amdhsa_float_denorm_mode_16_64 3
		.amdhsa_dx10_clamp 1
		.amdhsa_ieee_mode 1
		.amdhsa_fp16_overflow 0
		.amdhsa_tg_split 0
		.amdhsa_exception_fp_ieee_invalid_op 0
		.amdhsa_exception_fp_denorm_src 0
		.amdhsa_exception_fp_ieee_div_zero 0
		.amdhsa_exception_fp_ieee_overflow 0
		.amdhsa_exception_fp_ieee_underflow 0
		.amdhsa_exception_fp_ieee_inexact 0
		.amdhsa_exception_int_div_zero 0
	.end_amdhsa_kernel
	.section	.text._ZN5aiter35fused_qk_rmsnorm_group_quant_kernelIDF16_N4opus5fp4_tELi256ELi16ELi4ELb1ELb1ELb1ELb1ELb0ELb0EEEvPT0_PvPT_S7_S7_PKS6_S9_S9_S9_S9_ffiiiiiiiiiiiii,"axG",@progbits,_ZN5aiter35fused_qk_rmsnorm_group_quant_kernelIDF16_N4opus5fp4_tELi256ELi16ELi4ELb1ELb1ELb1ELb1ELb0ELb0EEEvPT0_PvPT_S7_S7_PKS6_S9_S9_S9_S9_ffiiiiiiiiiiiii,comdat
.Lfunc_end795:
	.size	_ZN5aiter35fused_qk_rmsnorm_group_quant_kernelIDF16_N4opus5fp4_tELi256ELi16ELi4ELb1ELb1ELb1ELb1ELb0ELb0EEEvPT0_PvPT_S7_S7_PKS6_S9_S9_S9_S9_ffiiiiiiiiiiiii, .Lfunc_end795-_ZN5aiter35fused_qk_rmsnorm_group_quant_kernelIDF16_N4opus5fp4_tELi256ELi16ELi4ELb1ELb1ELb1ELb1ELb0ELb0EEEvPT0_PvPT_S7_S7_PKS6_S9_S9_S9_S9_ffiiiiiiiiiiiii
                                        ; -- End function
	.section	.AMDGPU.csdata,"",@progbits
; Kernel info:
; codeLenInByte = 3608
; NumSgprs: 36
; NumVgprs: 49
; NumAgprs: 0
; TotalNumVgprs: 49
; ScratchSize: 0
; MemoryBound: 0
; FloatMode: 240
; IeeeMode: 1
; LDSByteSize: 32 bytes/workgroup (compile time only)
; SGPRBlocks: 4
; VGPRBlocks: 6
; NumSGPRsForWavesPerEU: 36
; NumVGPRsForWavesPerEU: 49
; AccumOffset: 52
; Occupancy: 8
; WaveLimiterHint : 0
; COMPUTE_PGM_RSRC2:SCRATCH_EN: 0
; COMPUTE_PGM_RSRC2:USER_SGPR: 6
; COMPUTE_PGM_RSRC2:TRAP_HANDLER: 0
; COMPUTE_PGM_RSRC2:TGID_X_EN: 1
; COMPUTE_PGM_RSRC2:TGID_Y_EN: 1
; COMPUTE_PGM_RSRC2:TGID_Z_EN: 0
; COMPUTE_PGM_RSRC2:TIDIG_COMP_CNT: 0
; COMPUTE_PGM_RSRC3_GFX90A:ACCUM_OFFSET: 12
; COMPUTE_PGM_RSRC3_GFX90A:TG_SPLIT: 0
	.section	.text._ZN5aiter35fused_qk_rmsnorm_group_quant_kernelItN4opus5fp4_tELi256ELi16ELi4ELb1ELb1ELb1ELb1ELb0ELb0EEEvPT0_PvPT_S7_S7_PKS6_S9_S9_S9_S9_ffiiiiiiiiiiiii,"axG",@progbits,_ZN5aiter35fused_qk_rmsnorm_group_quant_kernelItN4opus5fp4_tELi256ELi16ELi4ELb1ELb1ELb1ELb1ELb0ELb0EEEvPT0_PvPT_S7_S7_PKS6_S9_S9_S9_S9_ffiiiiiiiiiiiii,comdat
	.protected	_ZN5aiter35fused_qk_rmsnorm_group_quant_kernelItN4opus5fp4_tELi256ELi16ELi4ELb1ELb1ELb1ELb1ELb0ELb0EEEvPT0_PvPT_S7_S7_PKS6_S9_S9_S9_S9_ffiiiiiiiiiiiii ; -- Begin function _ZN5aiter35fused_qk_rmsnorm_group_quant_kernelItN4opus5fp4_tELi256ELi16ELi4ELb1ELb1ELb1ELb1ELb0ELb0EEEvPT0_PvPT_S7_S7_PKS6_S9_S9_S9_S9_ffiiiiiiiiiiiii
	.globl	_ZN5aiter35fused_qk_rmsnorm_group_quant_kernelItN4opus5fp4_tELi256ELi16ELi4ELb1ELb1ELb1ELb1ELb0ELb0EEEvPT0_PvPT_S7_S7_PKS6_S9_S9_S9_S9_ffiiiiiiiiiiiii
	.p2align	8
	.type	_ZN5aiter35fused_qk_rmsnorm_group_quant_kernelItN4opus5fp4_tELi256ELi16ELi4ELb1ELb1ELb1ELb1ELb0ELb0EEEvPT0_PvPT_S7_S7_PKS6_S9_S9_S9_S9_ffiiiiiiiiiiiii,@function
_ZN5aiter35fused_qk_rmsnorm_group_quant_kernelItN4opus5fp4_tELi256ELi16ELi4ELb1ELb1ELb1ELb1ELb0ELb0EEEvPT0_PvPT_S7_S7_PKS6_S9_S9_S9_S9_ffiiiiiiiiiiiii: ; @_ZN5aiter35fused_qk_rmsnorm_group_quant_kernelItN4opus5fp4_tELi256ELi16ELi4ELb1ELb1ELb1ELb1ELb0ELb0EEEvPT0_PvPT_S7_S7_PKS6_S9_S9_S9_S9_ffiiiiiiiiiiiii
; %bb.0:
	s_load_dwordx8 s[12:19], s[4:5], 0x50
	s_waitcnt lgkmcnt(0)
	s_cmp_ge_i32 s6, s14
	s_cbranch_scc1 .LBB796_17
; %bb.1:
	s_cmp_lg_u32 s7, 0
	s_cselect_b64 s[22:23], -1, 0
	s_cmp_eq_u32 s7, 0
	s_cselect_b64 s[2:3], -1, 0
	s_and_b64 s[0:1], s[2:3], exec
	s_cselect_b32 s7, s15, s16
	s_load_dwordx2 s[10:11], s[4:5], 0x30
	s_load_dwordx2 s[20:21], s[4:5], 0x48
	s_add_i32 s0, s7, 1
	s_lshr_b32 s1, s0, 31
	s_add_i32 s0, s0, s1
	s_lshl_b32 s0, s0, 1
	v_lshlrev_b32_e32 v1, 4, v0
	s_and_b32 s30, s0, -4
	v_cmp_gt_i32_e64 s[0:1], s7, v1
	v_mov_b32_e32 v62, 0
	v_mov_b32_e32 v63, 0
	v_mov_b32_e32 v64, 0
	v_mov_b32_e32 v65, 0
	v_mov_b32_e32 v58, 0
	v_mov_b32_e32 v59, 0
	v_mov_b32_e32 v60, 0
	v_mov_b32_e32 v61, 0
	v_mov_b32_e32 v66, 0
	v_mov_b32_e32 v67, 0
	v_mov_b32_e32 v68, 0
	v_mov_b32_e32 v69, 0
	v_mov_b32_e32 v70, 0
	v_mov_b32_e32 v71, 0
	v_mov_b32_e32 v72, 0
	v_mov_b32_e32 v73, 0
	s_and_saveexec_b64 s[8:9], s[0:1]
	s_cbranch_execz .LBB796_3
; %bb.2:
	s_load_dwordx2 s[14:15], s[4:5], 0x28
	s_load_dwordx2 s[26:27], s[4:5], 0x40
	s_and_b64 s[24:25], s[2:3], exec
	s_cselect_b32 s17, s17, s18
	s_mov_b32 s31, 0x20000
	s_waitcnt lgkmcnt(0)
	s_cselect_b32 s25, s15, s11
	s_cselect_b32 s24, s14, s10
	s_mul_hi_i32 s15, s17, s6
	s_mul_i32 s14, s17, s6
	s_lshl_b64 s[14:15], s[14:15], 1
	s_add_u32 s24, s24, s14
	s_addc_u32 s17, s25, s15
	s_and_b64 s[14:15], s[2:3], exec
	s_cselect_b32 s28, s26, s20
	s_cselect_b32 s14, s27, s21
	s_and_b32 s25, s17, 0xffff
	s_mov_b32 s26, s30
	s_mov_b32 s27, s31
	v_lshlrev_b32_e32 v2, 5, v0
	s_and_b32 s29, s14, 0xffff
	buffer_load_dwordx4 v[66:69], v2, s[24:27], 0 offen
	buffer_load_dwordx4 v[70:73], v2, s[24:27], 16 offen
	;; [unrolled: 1-line block ×4, first 2 shown]
.LBB796_3:
	s_or_b64 exec, exec, s[8:9]
	s_load_dwordx4 s[24:27], s[4:5], 0x7c
	s_and_b64 vcc, exec, s[22:23]
	s_cbranch_vccz .LBB796_7
; %bb.4:
	v_mov_b32_e32 v75, 0
	v_mov_b32_e32 v74, 0
	;; [unrolled: 1-line block ×16, first 2 shown]
	s_and_saveexec_b64 s[8:9], s[0:1]
	s_cbranch_execz .LBB796_6
; %bb.5:
	s_waitcnt vmcnt(3)
	v_cvt_f32_u32_sdwa v2, v66 dst_sel:DWORD dst_unused:UNUSED_PAD src0_sel:WORD_0
	v_cvt_f32_u32_sdwa v3, v66 dst_sel:DWORD dst_unused:UNUSED_PAD src0_sel:WORD_1
	v_cvt_f32_u32_sdwa v6, v67 dst_sel:DWORD dst_unused:UNUSED_PAD src0_sel:WORD_0
	v_cvt_f32_u32_sdwa v7, v67 dst_sel:DWORD dst_unused:UNUSED_PAD src0_sel:WORD_1
	;; [unrolled: 2-line block ×4, first 2 shown]
	s_waitcnt vmcnt(2)
	v_cvt_f32_u32_sdwa v50, v70 dst_sel:DWORD dst_unused:UNUSED_PAD src0_sel:WORD_0
	v_cvt_f32_u32_sdwa v51, v70 dst_sel:DWORD dst_unused:UNUSED_PAD src0_sel:WORD_1
	v_cvt_f32_u32_sdwa v24, v71 dst_sel:DWORD dst_unused:UNUSED_PAD src0_sel:WORD_0
	v_cvt_f32_u32_sdwa v25, v71 dst_sel:DWORD dst_unused:UNUSED_PAD src0_sel:WORD_1
	;; [unrolled: 2-line block ×4, first 2 shown]
.LBB796_6:
	s_or_b64 exec, exec, s[8:9]
	s_cbranch_execz .LBB796_8
	s_branch .LBB796_11
.LBB796_7:
                                        ; implicit-def: $vgpr2_vgpr3_vgpr4_vgpr5_vgpr6_vgpr7_vgpr8_vgpr9_vgpr10_vgpr11_vgpr12_vgpr13_vgpr14_vgpr15_vgpr16_vgpr17
                                        ; implicit-def: $vgpr36_vgpr37_vgpr38_vgpr39_vgpr40_vgpr41_vgpr42_vgpr43_vgpr44_vgpr45_vgpr46_vgpr47_vgpr48_vgpr49_vgpr50_vgpr51
                                        ; implicit-def: $vgpr4_vgpr5_vgpr6_vgpr7_vgpr8_vgpr9_vgpr10_vgpr11_vgpr12_vgpr13_vgpr14_vgpr15_vgpr16_vgpr17_vgpr18_vgpr19
                                        ; implicit-def: $vgpr24_vgpr25_vgpr26_vgpr27_vgpr28_vgpr29_vgpr30_vgpr31_vgpr32_vgpr33_vgpr34_vgpr35_vgpr36_vgpr37_vgpr38_vgpr39
                                        ; implicit-def: $vgpr75
                                        ; implicit-def: $vgpr42_vgpr43_vgpr44_vgpr45_vgpr46_vgpr47_vgpr48_vgpr49_vgpr50_vgpr51_vgpr52_vgpr53_vgpr54_vgpr55_vgpr56_vgpr57
                                        ; implicit-def: $vgpr14_vgpr15_vgpr16_vgpr17_vgpr18_vgpr19_vgpr20_vgpr21_vgpr22_vgpr23_vgpr24_vgpr25_vgpr26_vgpr27_vgpr28_vgpr29
                                        ; implicit-def: $vgpr8_vgpr9_vgpr10_vgpr11_vgpr12_vgpr13_vgpr14_vgpr15_vgpr16_vgpr17_vgpr18_vgpr19_vgpr20_vgpr21_vgpr22_vgpr23
.LBB796_8:
	v_mov_b32_e32 v75, 0
	v_mov_b32_e32 v74, 0
	;; [unrolled: 1-line block ×16, first 2 shown]
	s_and_saveexec_b64 s[8:9], s[0:1]
	s_cbranch_execz .LBB796_10
; %bb.9:
	s_load_dwordx2 s[14:15], s[4:5], 0x38
	s_mul_hi_i32 s29, s19, s6
	s_mul_i32 s28, s19, s6
	s_lshl_b64 s[28:29], s[28:29], 1
	s_mov_b32 s31, 0x20000
	s_waitcnt lgkmcnt(0)
	s_add_u32 s28, s14, s28
	s_addc_u32 s14, s15, s29
	s_and_b32 s29, s14, 0xffff
	v_lshlrev_b32_e32 v38, 5, v0
	buffer_load_dwordx4 v[6:9], v38, s[28:31], 16 offen
	buffer_load_dwordx4 v[10:13], v38, s[28:31], 0 offen
	s_load_dwordx2 s[14:15], s[4:5], 0x20
	s_waitcnt vmcnt(5)
	v_cvt_f32_u32_sdwa v3, v66 dst_sel:DWORD dst_unused:UNUSED_PAD src0_sel:WORD_1
	v_cvt_f32_u32_sdwa v2, v66 dst_sel:DWORD dst_unused:UNUSED_PAD src0_sel:WORD_0
	v_cvt_f32_u32_sdwa v21, v67 dst_sel:DWORD dst_unused:UNUSED_PAD src0_sel:WORD_1
	v_cvt_f32_u32_sdwa v20, v67 dst_sel:DWORD dst_unused:UNUSED_PAD src0_sel:WORD_0
	v_cvt_f32_u32_sdwa v23, v68 dst_sel:DWORD dst_unused:UNUSED_PAD src0_sel:WORD_1
	v_cvt_f32_u32_sdwa v22, v68 dst_sel:DWORD dst_unused:UNUSED_PAD src0_sel:WORD_0
	v_cvt_f32_u32_sdwa v25, v69 dst_sel:DWORD dst_unused:UNUSED_PAD src0_sel:WORD_1
	v_cvt_f32_u32_sdwa v24, v69 dst_sel:DWORD dst_unused:UNUSED_PAD src0_sel:WORD_0
	s_waitcnt vmcnt(4)
	v_cvt_f32_u32_sdwa v5, v70 dst_sel:DWORD dst_unused:UNUSED_PAD src0_sel:WORD_1
	v_cvt_f32_u32_sdwa v4, v70 dst_sel:DWORD dst_unused:UNUSED_PAD src0_sel:WORD_0
	v_cvt_f32_u32_sdwa v15, v71 dst_sel:DWORD dst_unused:UNUSED_PAD src0_sel:WORD_1
	v_cvt_f32_u32_sdwa v14, v71 dst_sel:DWORD dst_unused:UNUSED_PAD src0_sel:WORD_0
	;; [unrolled: 2-line block ×3, first 2 shown]
	v_cvt_f32_u32_sdwa v18, v73 dst_sel:DWORD dst_unused:UNUSED_PAD src0_sel:WORD_0
	v_cvt_f32_u32_sdwa v19, v73 dst_sel:DWORD dst_unused:UNUSED_PAD src0_sel:WORD_1
	s_mul_hi_i32 s27, s26, s6
	s_mul_i32 s26, s26, s6
	s_lshl_b64 s[26:27], s[26:27], 1
	s_waitcnt lgkmcnt(0)
	s_add_u32 s28, s14, s26
	s_mov_b32 s17, 0x7060302
	s_addc_u32 s14, s15, s27
	s_and_b32 s29, s14, 0xffff
	s_waitcnt vmcnt(1)
	v_cvt_f32_u32_sdwa v27, v6 dst_sel:DWORD dst_unused:UNUSED_PAD src0_sel:WORD_1
	v_cvt_f32_u32_sdwa v26, v6 dst_sel:DWORD dst_unused:UNUSED_PAD src0_sel:WORD_0
	v_cvt_f32_u32_sdwa v29, v7 dst_sel:DWORD dst_unused:UNUSED_PAD src0_sel:WORD_1
	v_cvt_f32_u32_sdwa v28, v7 dst_sel:DWORD dst_unused:UNUSED_PAD src0_sel:WORD_0
	v_cvt_f32_u32_sdwa v33, v8 dst_sel:DWORD dst_unused:UNUSED_PAD src0_sel:WORD_1
	v_cvt_f32_u32_sdwa v32, v8 dst_sel:DWORD dst_unused:UNUSED_PAD src0_sel:WORD_0
	v_cvt_f32_u32_sdwa v34, v9 dst_sel:DWORD dst_unused:UNUSED_PAD src0_sel:WORD_0
	v_cvt_f32_u32_sdwa v35, v9 dst_sel:DWORD dst_unused:UNUSED_PAD src0_sel:WORD_1
	s_waitcnt vmcnt(0)
	v_cvt_f32_u32_sdwa v37, v10 dst_sel:DWORD dst_unused:UNUSED_PAD src0_sel:WORD_1
	v_cvt_f32_u32_sdwa v36, v10 dst_sel:DWORD dst_unused:UNUSED_PAD src0_sel:WORD_0
	v_cvt_f32_u32_sdwa v7, v12 dst_sel:DWORD dst_unused:UNUSED_PAD src0_sel:WORD_1
	v_cvt_f32_u32_sdwa v6, v12 dst_sel:DWORD dst_unused:UNUSED_PAD src0_sel:WORD_0
	;; [unrolled: 2-line block ×4, first 2 shown]
	v_pk_add_f32 v[40:41], v[22:23], v[6:7]
	v_pk_add_f32 v[30:31], v[24:25], v[8:9]
	;; [unrolled: 1-line block ×4, first 2 shown]
	v_perm_b32 v11, v31, v30, s17
	v_perm_b32 v10, v41, v40, s17
	;; [unrolled: 1-line block ×4, first 2 shown]
	v_pk_add_f32 v[74:75], v[18:19], v[34:35]
	v_pk_add_f32 v[20:21], v[16:17], v[32:33]
	;; [unrolled: 1-line block ×4, first 2 shown]
	buffer_store_dwordx4 v[8:11], v38, s[28:31], 0 offen
	;;#ASMSTART
	s_nop 0
	;;#ASMEND
	s_nop 0
	v_perm_b32 v11, v75, v74, s17
	v_perm_b32 v10, v21, v20, s17
	v_perm_b32 v9, v25, v24, s17
	v_perm_b32 v8, v51, v50, s17
	buffer_store_dwordx4 v[8:11], v38, s[28:31], 16 offen
	;;#ASMSTART
	s_nop 0
	;;#ASMEND
.LBB796_10:
	s_or_b64 exec, exec, s[8:9]
.LBB796_11:
	v_mul_f32_e32 v4, v3, v3
	v_fmac_f32_e32 v4, v2, v2
	v_fmac_f32_e32 v4, v6, v6
	;; [unrolled: 1-line block ×15, first 2 shown]
	s_nop 1
	v_mov_b32_dpp v5, v4 quad_perm:[1,0,3,2] row_mask:0xf bank_mask:0xf
	v_add_f32_e32 v4, v4, v5
	s_nop 1
	v_mov_b32_dpp v5, v4 quad_perm:[2,3,0,1] row_mask:0xf bank_mask:0xf
	v_add_f32_e32 v4, v4, v5
	s_nop 1
	v_mov_b32_dpp v5, v4 row_half_mirror row_mask:0xf bank_mask:0xf
	v_add_f32_e32 v4, v4, v5
	s_nop 1
	v_mov_b32_dpp v5, v4 row_mirror row_mask:0xf bank_mask:0xf
	v_add_f32_e32 v4, v4, v5
	s_nop 1
	v_mov_b32_dpp v5, v4 row_bcast:15 row_mask:0xf bank_mask:0xf
	v_add_f32_e32 v4, v4, v5
	v_and_b32_e32 v5, 63, v0
	v_cmp_eq_u32_e64 s[8:9], 63, v5
	s_nop 0
	v_mov_b32_dpp v5, v4 row_bcast:31 row_mask:0xf bank_mask:0xf
	s_and_saveexec_b64 s[14:15], s[8:9]
	s_cbranch_execz .LBB796_13
; %bb.12:
	v_add_f32_e32 v4, v4, v5
	v_lshrrev_b32_e32 v5, 4, v0
	v_and_b32_e32 v5, 60, v5
	ds_write_b32 v5, v4 offset:16
.LBB796_13:
	s_or_b64 exec, exec, s[14:15]
	v_and_b32_e32 v4, 3, v0
	v_lshlrev_b32_e32 v34, 2, v4
	s_waitcnt lgkmcnt(0)
	s_barrier
	ds_read_b32 v4, v34 offset:16
	s_load_dwordx2 s[14:15], s[4:5], 0x18
	s_waitcnt lgkmcnt(0)
	v_mov_b32_dpp v5, v4 quad_perm:[1,0,3,2] row_mask:0xf bank_mask:0xf
	v_add_f32_e32 v4, v4, v5
	s_nop 1
	v_mov_b32_dpp v5, v4 quad_perm:[2,3,0,1] row_mask:0xf bank_mask:0xf
	s_and_saveexec_b64 s[26:27], s[0:1]
	s_cbranch_execnz .LBB796_18
; %bb.14:
	s_or_b64 exec, exec, s[26:27]
	s_mov_b64 s[2:3], -1
	s_and_b64 vcc, exec, s[22:23]
	s_cbranch_vccnz .LBB796_19
.LBB796_15:
	s_andn2_b64 vcc, exec, s[2:3]
	s_cbranch_vccz .LBB796_22
.LBB796_16:
	s_cmp_lt_i32 s16, 1
	s_cbranch_scc0 .LBB796_25
.LBB796_17:
	s_endpgm
.LBB796_18:
	v_add_f32_e32 v4, v4, v5
	v_cvt_f32_u32_e32 v5, s7
	s_waitcnt vmcnt(1)
	v_cvt_f32_u32_sdwa v15, v62 dst_sel:DWORD dst_unused:UNUSED_PAD src0_sel:WORD_1
	v_cvt_f32_u32_sdwa v14, v62 dst_sel:DWORD dst_unused:UNUSED_PAD src0_sel:WORD_0
	v_cvt_f32_u32_sdwa v23, v65 dst_sel:DWORD dst_unused:UNUSED_PAD src0_sel:WORD_1
	v_div_scale_f32 v8, s[28:29], v5, v5, v4
	v_rcp_f32_e32 v9, v8
	v_pk_add_f32 v[14:15], v[14:15], 1.0 op_sel_hi:[1,0]
	v_cvt_f32_u32_sdwa v22, v65 dst_sel:DWORD dst_unused:UNUSED_PAD src0_sel:WORD_0
	s_waitcnt vmcnt(0)
	v_cvt_f32_u32_sdwa v27, v60 dst_sel:DWORD dst_unused:UNUSED_PAD src0_sel:WORD_1
	v_fma_f32 v10, -v8, v9, 1.0
	v_fmac_f32_e32 v9, v10, v9
	v_div_scale_f32 v10, vcc, v4, v5, v4
	v_mul_f32_e32 v11, v10, v9
	v_fma_f32 v12, -v8, v11, v10
	v_fmac_f32_e32 v11, v12, v9
	v_fma_f32 v8, -v8, v11, v10
	v_div_fmas_f32 v8, v8, v9, v11
	v_div_fixup_f32 v4, v8, v5, v4
	v_mov_b32_e32 v5, s13
	v_mov_b32_e32 v8, s12
	v_cndmask_b32_e64 v5, v5, v8, s[2:3]
	v_add_f32_e32 v4, v5, v4
	s_mov_b32 s2, 0x800000
	v_mul_f32_e32 v5, 0x4b800000, v4
	v_cmp_gt_f32_e32 vcc, s2, v4
	v_cndmask_b32_e32 v4, v4, v5, vcc
	v_rsq_f32_e32 v4, v4
	v_cvt_f32_u32_sdwa v26, v60 dst_sel:DWORD dst_unused:UNUSED_PAD src0_sel:WORD_0
	v_cvt_f32_u32_sdwa v29, v61 dst_sel:DWORD dst_unused:UNUSED_PAD src0_sel:WORD_1
	v_cvt_f32_u32_sdwa v28, v61 dst_sel:DWORD dst_unused:UNUSED_PAD src0_sel:WORD_0
	v_mul_f32_e32 v5, 0x45800000, v4
	v_cndmask_b32_e32 v4, v4, v5, vcc
	v_mov_b32_e32 v5, v4
	;;#ASMSTART
	v_pk_mul_f32 v[2:3], v[2:3], v[4:5]
	;;#ASMEND
	;;#ASMSTART
	v_pk_mul_f32 v[6:7], v[6:7], v[4:5]
	;;#ASMEND
	;; [unrolled: 3-line block ×9, first 2 shown]
	v_cvt_f32_u32_sdwa v15, v63 dst_sel:DWORD dst_unused:UNUSED_PAD src0_sel:WORD_1
	v_cvt_f32_u32_sdwa v14, v63 dst_sel:DWORD dst_unused:UNUSED_PAD src0_sel:WORD_0
	v_cvt_f32_u32_sdwa v21, v64 dst_sel:DWORD dst_unused:UNUSED_PAD src0_sel:WORD_1
	v_cvt_f32_u32_sdwa v20, v64 dst_sel:DWORD dst_unused:UNUSED_PAD src0_sel:WORD_0
	v_cvt_f32_u32_sdwa v25, v59 dst_sel:DWORD dst_unused:UNUSED_PAD src0_sel:WORD_1
	v_pk_add_f32 v[14:15], v[14:15], 1.0 op_sel_hi:[1,0]
	v_cvt_f32_u32_sdwa v24, v59 dst_sel:DWORD dst_unused:UNUSED_PAD src0_sel:WORD_0
	;;#ASMSTART
	v_pk_mul_f32 v[6:7], v[6:7], v[14:15]
	;;#ASMEND
	v_pk_add_f32 v[14:15], v[20:21], 1.0 op_sel_hi:[1,0]
	v_pk_add_f32 v[20:21], v[22:23], 1.0 op_sel_hi:[1,0]
	v_cvt_f32_u32_sdwa v23, v58 dst_sel:DWORD dst_unused:UNUSED_PAD src0_sel:WORD_1
	v_cvt_f32_u32_sdwa v22, v58 dst_sel:DWORD dst_unused:UNUSED_PAD src0_sel:WORD_0
	v_pk_add_f32 v[24:25], v[24:25], 1.0 op_sel_hi:[1,0]
	v_pk_add_f32 v[26:27], v[26:27], 1.0 op_sel_hi:[1,0]
	;; [unrolled: 1-line block ×4, first 2 shown]
	;;#ASMSTART
	v_pk_mul_f32 v[40:41], v[8:9], v[14:15]
	;;#ASMEND
	;;#ASMSTART
	v_pk_mul_f32 v[30:31], v[10:11], v[20:21]
	;;#ASMEND
	;; [unrolled: 3-line block ×6, first 2 shown]
	s_or_b64 exec, exec, s[26:27]
	s_mov_b64 s[2:3], -1
	s_and_b64 vcc, exec, s[22:23]
	s_cbranch_vccz .LBB796_15
.LBB796_19:
	s_and_saveexec_b64 s[2:3], s[0:1]
	s_cbranch_execz .LBB796_21
; %bb.20:
	s_mul_hi_i32 s23, s25, s6
	s_mul_i32 s22, s25, s6
	s_lshl_b64 s[22:23], s[22:23], 1
	s_add_u32 s28, s14, s22
	s_addc_u32 s7, s15, s23
	s_and_b32 s29, s7, 0xffff
	s_mov_b32 s7, 0x7060302
	s_mov_b32 s31, 0x20000
	v_perm_b32 v11, v31, v30, s7
	v_perm_b32 v10, v41, v40, s7
	;; [unrolled: 1-line block ×4, first 2 shown]
	v_lshlrev_b32_e32 v4, 5, v0
	buffer_store_dwordx4 v[8:11], v4, s[28:31], 0 offen
	;;#ASMSTART
	s_nop 0
	;;#ASMEND
	s_nop 0
	v_perm_b32 v11, v75, v74, s7
	v_perm_b32 v10, v21, v20, s7
	;; [unrolled: 1-line block ×4, first 2 shown]
	buffer_store_dwordx4 v[8:11], v4, s[28:31], 16 offen
	;;#ASMSTART
	s_nop 0
	;;#ASMEND
.LBB796_21:
	s_or_b64 exec, exec, s[2:3]
	s_cbranch_execnz .LBB796_16
.LBB796_22:
	s_and_saveexec_b64 s[2:3], s[0:1]
	s_cbranch_execz .LBB796_24
; %bb.23:
	s_load_dwordx2 s[0:1], s[4:5], 0x10
	s_mul_hi_i32 s23, s24, s6
	s_mul_i32 s22, s24, s6
	s_lshl_b64 s[22:23], s[22:23], 1
	s_mov_b32 s7, 0x7060302
	s_waitcnt lgkmcnt(0)
	s_add_u32 s28, s0, s22
	s_addc_u32 s0, s1, s23
	v_perm_b32 v9, v31, v30, s7
	v_perm_b32 v8, v41, v40, s7
	;; [unrolled: 1-line block ×4, first 2 shown]
	s_and_b32 s29, s0, 0xffff
	s_mov_b32 s31, 0x20000
	v_lshlrev_b32_e32 v10, 5, v0
	v_perm_b32 v5, v75, v74, s7
	v_perm_b32 v4, v21, v20, s7
	;; [unrolled: 1-line block ×4, first 2 shown]
	buffer_store_dwordx4 v[6:9], v10, s[28:31], 0 offen
	;;#ASMSTART
	s_nop 0
	;;#ASMEND
	buffer_store_dwordx4 v[2:5], v10, s[28:31], 16 offen
	;;#ASMSTART
	s_nop 0
	;;#ASMEND
.LBB796_24:
	s_or_b64 exec, exec, s[2:3]
	s_cmp_lt_i32 s16, 1
	s_cbranch_scc1 .LBB796_17
.LBB796_25:
	s_load_dword s0, s[4:5], 0x94
	s_waitcnt lgkmcnt(0)
	s_cmp_lg_u32 s0, 1
	s_cbranch_scc1 .LBB796_17
; %bb.26:
	s_lshl_b32 s0, s16, 1
	s_add_i32 s0, s0, 2
	v_cmp_gt_u32_e32 vcc, s16, v1
	s_and_b32 s22, s0, -4
	v_mov_b32_e32 v18, 0
	v_lshlrev_b32_e32 v1, 5, v0
	v_mov_b32_e32 v14, 0
	v_mov_b32_e32 v15, 0
	v_mov_b32_e32 v16, 0
	v_mov_b32_e32 v17, 0
	v_mov_b32_e32 v10, 0
	v_mov_b32_e32 v11, 0
	v_mov_b32_e32 v12, 0
	v_mov_b32_e32 v13, 0
	v_mov_b32_e32 v6, 0
	v_mov_b32_e32 v7, 0
	v_mov_b32_e32 v8, 0
	v_mov_b32_e32 v9, 0
	v_mov_b32_e32 v2, 0
	v_mov_b32_e32 v3, 0
	v_mov_b32_e32 v4, 0
	v_mov_b32_e32 v5, 0
	s_barrier
	s_and_saveexec_b64 s[0:1], vcc
	s_cbranch_execz .LBB796_28
; %bb.27:
	s_mul_hi_i32 s3, s18, s6
	s_mul_i32 s2, s18, s6
	s_and_b32 s21, s21, 0xffff
	s_lshl_b64 s[2:3], s[2:3], 1
	s_add_u32 s28, s10, s2
	s_mov_b32 s23, 0x20000
	s_addc_u32 s2, s11, s3
	s_and_b32 s29, s2, 0xffff
	s_mov_b32 s30, s22
	s_mov_b32 s31, s23
	buffer_load_dwordx4 v[14:17], v1, s[28:31], 0 offen
	buffer_load_dwordx4 v[10:13], v1, s[28:31], 16 offen
	;; [unrolled: 1-line block ×4, first 2 shown]
.LBB796_28:
	s_or_b64 exec, exec, s[0:1]
	v_mov_b32_e32 v19, 0
	v_mov_b32_e32 v32, 0
	v_mov_b32_e32 v33, 0
	v_mov_b32_e32 v30, 0
	v_mov_b32_e32 v31, 0
	v_mov_b32_e32 v28, 0
	v_mov_b32_e32 v29, 0
	v_mov_b32_e32 v26, 0
	v_mov_b32_e32 v27, 0
	v_mov_b32_e32 v24, 0
	v_mov_b32_e32 v25, 0
	v_mov_b32_e32 v22, 0
	v_mov_b32_e32 v23, 0
	v_mov_b32_e32 v20, 0
	v_mov_b32_e32 v21, 0
	s_and_saveexec_b64 s[0:1], vcc
	s_cbranch_execz .LBB796_30
; %bb.29:
	s_waitcnt vmcnt(3)
	v_cvt_f32_u32_sdwa v18, v14 dst_sel:DWORD dst_unused:UNUSED_PAD src0_sel:WORD_0
	v_cvt_f32_u32_sdwa v19, v14 dst_sel:DWORD dst_unused:UNUSED_PAD src0_sel:WORD_1
	v_cvt_f32_u32_sdwa v32, v15 dst_sel:DWORD dst_unused:UNUSED_PAD src0_sel:WORD_0
	v_cvt_f32_u32_sdwa v33, v15 dst_sel:DWORD dst_unused:UNUSED_PAD src0_sel:WORD_1
	;; [unrolled: 2-line block ×4, first 2 shown]
	s_waitcnt vmcnt(2)
	v_cvt_f32_u32_sdwa v26, v10 dst_sel:DWORD dst_unused:UNUSED_PAD src0_sel:WORD_0
	v_cvt_f32_u32_sdwa v27, v10 dst_sel:DWORD dst_unused:UNUSED_PAD src0_sel:WORD_1
	v_cvt_f32_u32_sdwa v24, v11 dst_sel:DWORD dst_unused:UNUSED_PAD src0_sel:WORD_0
	v_cvt_f32_u32_sdwa v25, v11 dst_sel:DWORD dst_unused:UNUSED_PAD src0_sel:WORD_1
	;; [unrolled: 2-line block ×4, first 2 shown]
.LBB796_30:
	s_or_b64 exec, exec, s[0:1]
	s_waitcnt vmcnt(2)
	v_mul_f32_e32 v10, v19, v19
	v_fmac_f32_e32 v10, v18, v18
	v_fmac_f32_e32 v10, v32, v32
	;; [unrolled: 1-line block ×15, first 2 shown]
	s_nop 1
	v_mov_b32_dpp v11, v10 quad_perm:[1,0,3,2] row_mask:0xf bank_mask:0xf
	v_add_f32_e32 v10, v10, v11
	s_nop 1
	v_mov_b32_dpp v11, v10 quad_perm:[2,3,0,1] row_mask:0xf bank_mask:0xf
	v_add_f32_e32 v10, v10, v11
	s_nop 1
	v_mov_b32_dpp v11, v10 row_half_mirror row_mask:0xf bank_mask:0xf
	v_add_f32_e32 v10, v10, v11
	s_nop 1
	v_mov_b32_dpp v11, v10 row_mirror row_mask:0xf bank_mask:0xf
	v_add_f32_e32 v10, v10, v11
	s_nop 1
	v_mov_b32_dpp v11, v10 row_bcast:15 row_mask:0xf bank_mask:0xf
	v_add_f32_e32 v10, v10, v11
	s_nop 1
	v_mov_b32_dpp v11, v10 row_bcast:31 row_mask:0xf bank_mask:0xf
	s_and_saveexec_b64 s[0:1], s[8:9]
	s_cbranch_execz .LBB796_32
; %bb.31:
	v_lshrrev_b32_e32 v0, 4, v0
	v_add_f32_e32 v10, v10, v11
	v_and_b32_e32 v0, 60, v0
	ds_write_b32 v0, v10
.LBB796_32:
	s_or_b64 exec, exec, s[0:1]
	s_waitcnt lgkmcnt(0)
	s_barrier
	ds_read_b32 v0, v34
	s_waitcnt lgkmcnt(0)
	s_nop 0
	v_mov_b32_dpp v10, v0 quad_perm:[1,0,3,2] row_mask:0xf bank_mask:0xf
	v_add_f32_e32 v0, v0, v10
	s_nop 1
	v_mov_b32_dpp v10, v0 quad_perm:[2,3,0,1] row_mask:0xf bank_mask:0xf
	s_and_saveexec_b64 s[0:1], vcc
	s_cbranch_execz .LBB796_17
; %bb.33:
	v_cvt_f32_u32_e32 v11, s16
	v_add_f32_e32 v0, v0, v10
	s_mov_b32 s23, 0x20000
	v_div_scale_f32 v10, s[0:1], v11, v11, v0
	v_rcp_f32_e32 v12, v10
	v_div_scale_f32 v13, vcc, v0, v11, v0
	s_mov_b32 s0, 0x800000
	v_fma_f32 v14, -v10, v12, 1.0
	v_fmac_f32_e32 v12, v14, v12
	v_mul_f32_e32 v14, v13, v12
	v_fma_f32 v15, -v10, v14, v13
	v_fmac_f32_e32 v14, v15, v12
	v_fma_f32 v10, -v10, v14, v13
	v_div_fmas_f32 v10, v10, v12, v14
	v_div_fixup_f32 v0, v10, v11, v0
	v_add_f32_e32 v0, s13, v0
	v_mul_f32_e32 v10, 0x4b800000, v0
	v_cmp_gt_f32_e32 vcc, s0, v0
	v_cndmask_b32_e32 v0, v0, v10, vcc
	v_rsq_f32_e32 v0, v0
	s_mul_hi_i32 s1, s25, s6
	s_mul_i32 s0, s25, s6
	s_lshl_b64 s[0:1], s[0:1], 1
	v_mul_f32_e32 v10, 0x45800000, v0
	v_cndmask_b32_e32 v10, v0, v10, vcc
	v_mov_b32_e32 v11, v10
	;;#ASMSTART
	v_pk_mul_f32 v[12:13], v[18:19], v[10:11]
	;;#ASMEND
	;;#ASMSTART
	v_pk_mul_f32 v[14:15], v[32:33], v[10:11]
	;;#ASMEND
	;; [unrolled: 3-line block ×4, first 2 shown]
	s_waitcnt vmcnt(1)
	v_cvt_f32_u32_sdwa v29, v6 dst_sel:DWORD dst_unused:UNUSED_PAD src0_sel:WORD_1
	v_cvt_f32_u32_sdwa v28, v6 dst_sel:DWORD dst_unused:UNUSED_PAD src0_sel:WORD_0
	v_cvt_f32_u32_sdwa v31, v7 dst_sel:DWORD dst_unused:UNUSED_PAD src0_sel:WORD_1
	v_cvt_f32_u32_sdwa v30, v7 dst_sel:DWORD dst_unused:UNUSED_PAD src0_sel:WORD_0
	;;#ASMSTART
	v_pk_mul_f32 v[26:27], v[26:27], v[10:11]
	;;#ASMEND
	;;#ASMSTART
	v_pk_mul_f32 v[24:25], v[24:25], v[10:11]
	;;#ASMEND
	;; [unrolled: 3-line block ×4, first 2 shown]
	v_cvt_f32_u32_sdwa v21, v8 dst_sel:DWORD dst_unused:UNUSED_PAD src0_sel:WORD_1
	v_cvt_f32_u32_sdwa v20, v8 dst_sel:DWORD dst_unused:UNUSED_PAD src0_sel:WORD_0
	v_pk_add_f32 v[10:11], v[28:29], 1.0 op_sel_hi:[1,0]
	;;#ASMSTART
	v_pk_mul_f32 v[10:11], v[12:13], v[10:11]
	;;#ASMEND
	v_pk_add_f32 v[12:13], v[30:31], 1.0 op_sel_hi:[1,0]
	v_cvt_f32_u32_sdwa v29, v9 dst_sel:DWORD dst_unused:UNUSED_PAD src0_sel:WORD_1
	v_cvt_f32_u32_sdwa v28, v9 dst_sel:DWORD dst_unused:UNUSED_PAD src0_sel:WORD_0
	;;#ASMSTART
	v_pk_mul_f32 v[8:9], v[14:15], v[12:13]
	;;#ASMEND
	v_pk_add_f32 v[12:13], v[20:21], 1.0 op_sel_hi:[1,0]
	;;#ASMSTART
	v_pk_mul_f32 v[12:13], v[16:17], v[12:13]
	;;#ASMEND
	s_waitcnt vmcnt(0)
	v_cvt_f32_u32_sdwa v17, v2 dst_sel:DWORD dst_unused:UNUSED_PAD src0_sel:WORD_1
	v_cvt_f32_u32_sdwa v16, v2 dst_sel:DWORD dst_unused:UNUSED_PAD src0_sel:WORD_0
	v_cvt_f32_u32_sdwa v21, v3 dst_sel:DWORD dst_unused:UNUSED_PAD src0_sel:WORD_1
	v_cvt_f32_u32_sdwa v20, v3 dst_sel:DWORD dst_unused:UNUSED_PAD src0_sel:WORD_0
	v_pk_add_f32 v[14:15], v[28:29], 1.0 op_sel_hi:[1,0]
	;;#ASMSTART
	v_pk_mul_f32 v[14:15], v[18:19], v[14:15]
	;;#ASMEND
	v_pk_add_f32 v[2:3], v[16:17], 1.0 op_sel_hi:[1,0]
	v_cvt_f32_u32_sdwa v19, v4 dst_sel:DWORD dst_unused:UNUSED_PAD src0_sel:WORD_1
	v_cvt_f32_u32_sdwa v18, v4 dst_sel:DWORD dst_unused:UNUSED_PAD src0_sel:WORD_0
	;;#ASMSTART
	v_pk_mul_f32 v[16:17], v[26:27], v[2:3]
	;;#ASMEND
	v_pk_add_f32 v[2:3], v[20:21], 1.0 op_sel_hi:[1,0]
	v_cvt_f32_u32_sdwa v21, v5 dst_sel:DWORD dst_unused:UNUSED_PAD src0_sel:WORD_1
	v_cvt_f32_u32_sdwa v20, v5 dst_sel:DWORD dst_unused:UNUSED_PAD src0_sel:WORD_0
	s_add_u32 s20, s14, s0
	;;#ASMSTART
	v_pk_mul_f32 v[24:25], v[24:25], v[2:3]
	;;#ASMEND
	v_pk_add_f32 v[2:3], v[18:19], 1.0 op_sel_hi:[1,0]
	s_addc_u32 s0, s15, s1
	;;#ASMSTART
	v_pk_mul_f32 v[18:19], v[22:23], v[2:3]
	;;#ASMEND
	v_pk_add_f32 v[2:3], v[20:21], 1.0 op_sel_hi:[1,0]
	s_and_b32 s21, s0, 0xffff
	s_mov_b32 s0, 0x7060302
	;;#ASMSTART
	v_pk_mul_f32 v[6:7], v[6:7], v[2:3]
	;;#ASMEND
	v_perm_b32 v2, v11, v10, s0
	v_perm_b32 v3, v9, v8, s0
	v_perm_b32 v4, v13, v12, s0
	v_perm_b32 v5, v15, v14, s0
	buffer_store_dwordx4 v[2:5], v1, s[20:23], 0 offen
	;;#ASMSTART
	s_nop 0
	;;#ASMEND
	s_nop 0
	v_perm_b32 v2, v17, v16, s0
	v_perm_b32 v3, v25, v24, s0
	;; [unrolled: 1-line block ×4, first 2 shown]
	buffer_store_dwordx4 v[2:5], v1, s[20:23], 16 offen
	;;#ASMSTART
	s_nop 0
	;;#ASMEND
	s_endpgm
	.section	.rodata,"a",@progbits
	.p2align	6, 0x0
	.amdhsa_kernel _ZN5aiter35fused_qk_rmsnorm_group_quant_kernelItN4opus5fp4_tELi256ELi16ELi4ELb1ELb1ELb1ELb1ELb0ELb0EEEvPT0_PvPT_S7_S7_PKS6_S9_S9_S9_S9_ffiiiiiiiiiiiii
		.amdhsa_group_segment_fixed_size 32
		.amdhsa_private_segment_fixed_size 0
		.amdhsa_kernarg_size 400
		.amdhsa_user_sgpr_count 6
		.amdhsa_user_sgpr_private_segment_buffer 1
		.amdhsa_user_sgpr_dispatch_ptr 0
		.amdhsa_user_sgpr_queue_ptr 0
		.amdhsa_user_sgpr_kernarg_segment_ptr 1
		.amdhsa_user_sgpr_dispatch_id 0
		.amdhsa_user_sgpr_flat_scratch_init 0
		.amdhsa_user_sgpr_kernarg_preload_length 0
		.amdhsa_user_sgpr_kernarg_preload_offset 0
		.amdhsa_user_sgpr_private_segment_size 0
		.amdhsa_uses_dynamic_stack 0
		.amdhsa_system_sgpr_private_segment_wavefront_offset 0
		.amdhsa_system_sgpr_workgroup_id_x 1
		.amdhsa_system_sgpr_workgroup_id_y 1
		.amdhsa_system_sgpr_workgroup_id_z 0
		.amdhsa_system_sgpr_workgroup_info 0
		.amdhsa_system_vgpr_workitem_id 0
		.amdhsa_next_free_vgpr 76
		.amdhsa_next_free_sgpr 32
		.amdhsa_accum_offset 76
		.amdhsa_reserve_vcc 1
		.amdhsa_reserve_flat_scratch 0
		.amdhsa_float_round_mode_32 0
		.amdhsa_float_round_mode_16_64 0
		.amdhsa_float_denorm_mode_32 3
		.amdhsa_float_denorm_mode_16_64 3
		.amdhsa_dx10_clamp 1
		.amdhsa_ieee_mode 1
		.amdhsa_fp16_overflow 0
		.amdhsa_tg_split 0
		.amdhsa_exception_fp_ieee_invalid_op 0
		.amdhsa_exception_fp_denorm_src 0
		.amdhsa_exception_fp_ieee_div_zero 0
		.amdhsa_exception_fp_ieee_overflow 0
		.amdhsa_exception_fp_ieee_underflow 0
		.amdhsa_exception_fp_ieee_inexact 0
		.amdhsa_exception_int_div_zero 0
	.end_amdhsa_kernel
	.section	.text._ZN5aiter35fused_qk_rmsnorm_group_quant_kernelItN4opus5fp4_tELi256ELi16ELi4ELb1ELb1ELb1ELb1ELb0ELb0EEEvPT0_PvPT_S7_S7_PKS6_S9_S9_S9_S9_ffiiiiiiiiiiiii,"axG",@progbits,_ZN5aiter35fused_qk_rmsnorm_group_quant_kernelItN4opus5fp4_tELi256ELi16ELi4ELb1ELb1ELb1ELb1ELb0ELb0EEEvPT0_PvPT_S7_S7_PKS6_S9_S9_S9_S9_ffiiiiiiiiiiiii,comdat
.Lfunc_end796:
	.size	_ZN5aiter35fused_qk_rmsnorm_group_quant_kernelItN4opus5fp4_tELi256ELi16ELi4ELb1ELb1ELb1ELb1ELb0ELb0EEEvPT0_PvPT_S7_S7_PKS6_S9_S9_S9_S9_ffiiiiiiiiiiiii, .Lfunc_end796-_ZN5aiter35fused_qk_rmsnorm_group_quant_kernelItN4opus5fp4_tELi256ELi16ELi4ELb1ELb1ELb1ELb1ELb0ELb0EEEvPT0_PvPT_S7_S7_PKS6_S9_S9_S9_S9_ffiiiiiiiiiiiii
                                        ; -- End function
	.section	.AMDGPU.csdata,"",@progbits
; Kernel info:
; codeLenInByte = 3568
; NumSgprs: 36
; NumVgprs: 76
; NumAgprs: 0
; TotalNumVgprs: 76
; ScratchSize: 0
; MemoryBound: 0
; FloatMode: 240
; IeeeMode: 1
; LDSByteSize: 32 bytes/workgroup (compile time only)
; SGPRBlocks: 4
; VGPRBlocks: 9
; NumSGPRsForWavesPerEU: 36
; NumVGPRsForWavesPerEU: 76
; AccumOffset: 76
; Occupancy: 6
; WaveLimiterHint : 0
; COMPUTE_PGM_RSRC2:SCRATCH_EN: 0
; COMPUTE_PGM_RSRC2:USER_SGPR: 6
; COMPUTE_PGM_RSRC2:TRAP_HANDLER: 0
; COMPUTE_PGM_RSRC2:TGID_X_EN: 1
; COMPUTE_PGM_RSRC2:TGID_Y_EN: 1
; COMPUTE_PGM_RSRC2:TGID_Z_EN: 0
; COMPUTE_PGM_RSRC2:TIDIG_COMP_CNT: 0
; COMPUTE_PGM_RSRC3_GFX90A:ACCUM_OFFSET: 18
; COMPUTE_PGM_RSRC3_GFX90A:TG_SPLIT: 0
	.section	.text._ZN5aiter35fused_qk_rmsnorm_group_quant_kernelIDF16_DB8_Li256ELi16ELi4ELb1ELb1ELb0ELb1ELb0ELb0EEEvPT0_PvPT_S6_S6_PKS5_S8_S8_S8_S8_ffiiiiiiiiiiiii,"axG",@progbits,_ZN5aiter35fused_qk_rmsnorm_group_quant_kernelIDF16_DB8_Li256ELi16ELi4ELb1ELb1ELb0ELb1ELb0ELb0EEEvPT0_PvPT_S6_S6_PKS5_S8_S8_S8_S8_ffiiiiiiiiiiiii,comdat
	.protected	_ZN5aiter35fused_qk_rmsnorm_group_quant_kernelIDF16_DB8_Li256ELi16ELi4ELb1ELb1ELb0ELb1ELb0ELb0EEEvPT0_PvPT_S6_S6_PKS5_S8_S8_S8_S8_ffiiiiiiiiiiiii ; -- Begin function _ZN5aiter35fused_qk_rmsnorm_group_quant_kernelIDF16_DB8_Li256ELi16ELi4ELb1ELb1ELb0ELb1ELb0ELb0EEEvPT0_PvPT_S6_S6_PKS5_S8_S8_S8_S8_ffiiiiiiiiiiiii
	.globl	_ZN5aiter35fused_qk_rmsnorm_group_quant_kernelIDF16_DB8_Li256ELi16ELi4ELb1ELb1ELb0ELb1ELb0ELb0EEEvPT0_PvPT_S6_S6_PKS5_S8_S8_S8_S8_ffiiiiiiiiiiiii
	.p2align	8
	.type	_ZN5aiter35fused_qk_rmsnorm_group_quant_kernelIDF16_DB8_Li256ELi16ELi4ELb1ELb1ELb0ELb1ELb0ELb0EEEvPT0_PvPT_S6_S6_PKS5_S8_S8_S8_S8_ffiiiiiiiiiiiii,@function
_ZN5aiter35fused_qk_rmsnorm_group_quant_kernelIDF16_DB8_Li256ELi16ELi4ELb1ELb1ELb0ELb1ELb0ELb0EEEvPT0_PvPT_S6_S6_PKS5_S8_S8_S8_S8_ffiiiiiiiiiiiii: ; @_ZN5aiter35fused_qk_rmsnorm_group_quant_kernelIDF16_DB8_Li256ELi16ELi4ELb1ELb1ELb0ELb1ELb0ELb0EEEvPT0_PvPT_S6_S6_PKS5_S8_S8_S8_S8_ffiiiiiiiiiiiii
; %bb.0:
	s_load_dwordx8 s[12:19], s[4:5], 0x50
	s_waitcnt lgkmcnt(0)
	s_cmp_ge_i32 s6, s14
	s_cbranch_scc1 .LBB797_17
; %bb.1:
	s_cmp_lg_u32 s7, 0
	s_cselect_b64 s[22:23], -1, 0
	s_cmp_eq_u32 s7, 0
	s_cselect_b64 s[2:3], -1, 0
	s_and_b64 s[0:1], s[2:3], exec
	s_cselect_b32 s7, s15, s16
	s_load_dwordx2 s[10:11], s[4:5], 0x30
	s_load_dwordx2 s[20:21], s[4:5], 0x48
	s_add_i32 s0, s7, 1
	s_lshr_b32 s1, s0, 31
	s_add_i32 s0, s0, s1
	s_lshl_b32 s0, s0, 1
	v_lshlrev_b32_e32 v1, 4, v0
	s_and_b32 s30, s0, -4
	v_cmp_gt_i32_e64 s[0:1], s7, v1
	v_mov_b32_e32 v6, 0
	v_mov_b32_e32 v7, 0
	;; [unrolled: 1-line block ×16, first 2 shown]
	s_and_saveexec_b64 s[8:9], s[0:1]
	s_cbranch_execz .LBB797_3
; %bb.2:
	s_load_dwordx2 s[14:15], s[4:5], 0x28
	s_load_dwordx2 s[26:27], s[4:5], 0x40
	s_and_b64 s[24:25], s[2:3], exec
	s_cselect_b32 s17, s17, s18
	s_mov_b32 s31, 0x20000
	s_waitcnt lgkmcnt(0)
	s_cselect_b32 s25, s15, s11
	s_cselect_b32 s24, s14, s10
	s_mul_hi_i32 s15, s17, s6
	s_mul_i32 s14, s17, s6
	s_lshl_b64 s[14:15], s[14:15], 1
	s_add_u32 s24, s24, s14
	s_addc_u32 s17, s25, s15
	s_and_b64 s[14:15], s[2:3], exec
	s_cselect_b32 s28, s26, s20
	s_cselect_b32 s14, s27, s21
	s_and_b32 s25, s17, 0xffff
	s_mov_b32 s26, s30
	s_mov_b32 s27, s31
	v_lshlrev_b32_e32 v18, 5, v0
	s_and_b32 s29, s14, 0xffff
	buffer_load_dwordx4 v[10:13], v18, s[24:27], 0 offen
	buffer_load_dwordx4 v[14:17], v18, s[24:27], 16 offen
	;; [unrolled: 1-line block ×4, first 2 shown]
.LBB797_3:
	s_or_b64 exec, exec, s[8:9]
	s_load_dwordx4 s[24:27], s[4:5], 0x7c
	s_and_b64 vcc, exec, s[22:23]
	s_cbranch_vccz .LBB797_7
; %bb.4:
	v_mov_b32_e32 v19, 0
	v_mov_b32_e32 v18, 0
	;; [unrolled: 1-line block ×16, first 2 shown]
	s_and_saveexec_b64 s[8:9], s[0:1]
	s_cbranch_execz .LBB797_6
; %bb.5:
	s_waitcnt vmcnt(3)
	v_cvt_f32_f16_sdwa v33, v10 dst_sel:DWORD dst_unused:UNUSED_PAD src0_sel:WORD_1
	v_cvt_f32_f16_e32 v32, v10
	v_cvt_f32_f16_sdwa v31, v11 dst_sel:DWORD dst_unused:UNUSED_PAD src0_sel:WORD_1
	v_cvt_f32_f16_e32 v30, v11
	;; [unrolled: 2-line block ×4, first 2 shown]
	s_waitcnt vmcnt(2)
	v_cvt_f32_f16_sdwa v25, v14 dst_sel:DWORD dst_unused:UNUSED_PAD src0_sel:WORD_1
	v_cvt_f32_f16_e32 v24, v14
	v_cvt_f32_f16_sdwa v23, v15 dst_sel:DWORD dst_unused:UNUSED_PAD src0_sel:WORD_1
	v_cvt_f32_f16_e32 v22, v15
	;; [unrolled: 2-line block ×4, first 2 shown]
.LBB797_6:
	s_or_b64 exec, exec, s[8:9]
	s_cbranch_execz .LBB797_8
	s_branch .LBB797_11
.LBB797_7:
                                        ; implicit-def: $vgpr19
                                        ; implicit-def: $vgpr21
                                        ; implicit-def: $vgpr23
                                        ; implicit-def: $vgpr25
                                        ; implicit-def: $vgpr29
                                        ; implicit-def: $vgpr27
                                        ; implicit-def: $vgpr31
                                        ; implicit-def: $vgpr33
.LBB797_8:
	v_mov_b32_e32 v19, 0
	v_mov_b32_e32 v18, 0
	;; [unrolled: 1-line block ×16, first 2 shown]
	s_and_saveexec_b64 s[8:9], s[0:1]
	s_cbranch_execz .LBB797_10
; %bb.9:
	s_load_dwordx2 s[14:15], s[4:5], 0x38
	s_mul_hi_i32 s29, s19, s6
	s_mul_i32 s28, s19, s6
	s_lshl_b64 s[28:29], s[28:29], 1
	s_mov_b32 s31, 0x20000
	s_waitcnt lgkmcnt(0)
	s_add_u32 s28, s14, s28
	s_addc_u32 s14, s15, s29
	s_and_b32 s29, s14, 0xffff
	v_lshlrev_b32_e32 v48, 5, v0
	buffer_load_dwordx4 v[18:21], v48, s[28:31], 16 offen
	buffer_load_dwordx4 v[22:25], v48, s[28:31], 0 offen
	s_waitcnt vmcnt(4)
	v_cvt_f32_f16_sdwa v27, v14 dst_sel:DWORD dst_unused:UNUSED_PAD src0_sel:WORD_1
	v_cvt_f32_f16_e32 v26, v14
	v_cvt_f32_f16_sdwa v29, v15 dst_sel:DWORD dst_unused:UNUSED_PAD src0_sel:WORD_1
	v_cvt_f32_f16_e32 v28, v15
	;; [unrolled: 2-line block ×8, first 2 shown]
	s_load_dwordx2 s[14:15], s[4:5], 0x20
	s_mul_hi_i32 s27, s26, s6
	s_mul_i32 s26, s26, s6
	s_lshl_b64 s[26:27], s[26:27], 1
	s_waitcnt lgkmcnt(0)
	s_add_u32 s28, s14, s26
	s_addc_u32 s14, s15, s27
	s_and_b32 s29, s14, 0xffff
	s_waitcnt vmcnt(1)
	v_cvt_f32_f16_e32 v12, v18
	v_cvt_f32_f16_sdwa v13, v18 dst_sel:DWORD dst_unused:UNUSED_PAD src0_sel:WORD_1
	v_cvt_f32_f16_e32 v18, v19
	v_cvt_f32_f16_sdwa v19, v19 dst_sel:DWORD dst_unused:UNUSED_PAD src0_sel:WORD_1
	;; [unrolled: 2-line block ×4, first 2 shown]
	s_waitcnt vmcnt(0)
	v_cvt_f32_f16_e32 v40, v22
	v_cvt_f32_f16_sdwa v41, v22 dst_sel:DWORD dst_unused:UNUSED_PAD src0_sel:WORD_1
	v_cvt_f32_f16_e32 v42, v23
	v_cvt_f32_f16_sdwa v43, v23 dst_sel:DWORD dst_unused:UNUSED_PAD src0_sel:WORD_1
	;; [unrolled: 2-line block ×4, first 2 shown]
	v_pk_add_f32 v[24:25], v[26:27], v[12:13]
	v_pk_add_f32 v[22:23], v[28:29], v[18:19]
	;; [unrolled: 1-line block ×8, first 2 shown]
	v_cvt_f16_f32_e32 v10, v33
	v_cvt_f16_f32_e32 v14, v32
	;; [unrolled: 1-line block ×16, first 2 shown]
	v_pack_b32_f16 v13, v17, v13
	v_pack_b32_f16 v12, v16, v12
	;; [unrolled: 1-line block ×8, first 2 shown]
	buffer_store_dwordx4 v[10:13], v48, s[28:31], 0 offen
	;;#ASMSTART
	s_nop 0
	;;#ASMEND
	buffer_store_dwordx4 v[14:17], v48, s[28:31], 16 offen
	;;#ASMSTART
	s_nop 0
	;;#ASMEND
.LBB797_10:
	s_or_b64 exec, exec, s[8:9]
.LBB797_11:
	s_waitcnt vmcnt(3)
	v_mul_f32_e32 v10, v33, v33
	v_fmac_f32_e32 v10, v32, v32
	v_fmac_f32_e32 v10, v30, v30
	;; [unrolled: 1-line block ×15, first 2 shown]
	v_and_b32_e32 v12, 63, v0
	v_cmp_eq_u32_e64 s[8:9], 63, v12
	v_mov_b32_dpp v11, v10 quad_perm:[1,0,3,2] row_mask:0xf bank_mask:0xf
	v_add_f32_e32 v10, v10, v11
	s_nop 1
	v_mov_b32_dpp v11, v10 quad_perm:[2,3,0,1] row_mask:0xf bank_mask:0xf
	v_add_f32_e32 v10, v10, v11
	s_nop 1
	v_mov_b32_dpp v11, v10 row_half_mirror row_mask:0xf bank_mask:0xf
	v_add_f32_e32 v10, v10, v11
	s_nop 1
	v_mov_b32_dpp v11, v10 row_mirror row_mask:0xf bank_mask:0xf
	v_add_f32_e32 v10, v10, v11
	s_nop 1
	v_mov_b32_dpp v11, v10 row_bcast:15 row_mask:0xf bank_mask:0xf
	v_add_f32_e32 v10, v10, v11
	s_nop 1
	v_mov_b32_dpp v11, v10 row_bcast:31 row_mask:0xf bank_mask:0xf
	s_and_saveexec_b64 s[14:15], s[8:9]
	s_cbranch_execz .LBB797_13
; %bb.12:
	v_add_f32_e32 v10, v10, v11
	v_lshrrev_b32_e32 v11, 4, v0
	v_and_b32_e32 v11, 60, v11
	ds_write_b32 v11, v10 offset:16
.LBB797_13:
	s_or_b64 exec, exec, s[14:15]
	v_and_b32_e32 v10, 3, v0
	v_lshlrev_b32_e32 v34, 2, v10
	s_waitcnt lgkmcnt(0)
	s_barrier
	ds_read_b32 v10, v34 offset:16
	s_load_dwordx2 s[14:15], s[4:5], 0x18
	s_waitcnt lgkmcnt(0)
	v_mov_b32_dpp v11, v10 quad_perm:[1,0,3,2] row_mask:0xf bank_mask:0xf
	v_add_f32_e32 v10, v10, v11
	s_nop 1
	v_mov_b32_dpp v11, v10 quad_perm:[2,3,0,1] row_mask:0xf bank_mask:0xf
	s_and_saveexec_b64 s[26:27], s[0:1]
	s_cbranch_execnz .LBB797_18
; %bb.14:
	s_or_b64 exec, exec, s[26:27]
	s_mov_b64 s[2:3], -1
	s_and_b64 vcc, exec, s[22:23]
	s_cbranch_vccnz .LBB797_19
.LBB797_15:
	s_andn2_b64 vcc, exec, s[2:3]
	s_cbranch_vccz .LBB797_22
.LBB797_16:
	s_cmp_lt_i32 s16, 1
	s_cbranch_scc0 .LBB797_25
.LBB797_17:
	s_endpgm
.LBB797_18:
	v_cvt_f32_u32_e32 v12, s7
	v_add_f32_e32 v10, v10, v11
	s_waitcnt vmcnt(2)
	v_mov_b32_e32 v14, s13
	v_mov_b32_e32 v15, s12
	v_div_scale_f32 v11, s[28:29], v12, v12, v10
	v_rcp_f32_e32 v13, v11
	v_cndmask_b32_e64 v14, v14, v15, s[2:3]
	s_mov_b32 s2, 0x800000
	s_waitcnt vmcnt(1)
	v_cvt_f32_f16_sdwa v37, v9 dst_sel:DWORD dst_unused:UNUSED_PAD src0_sel:WORD_1
	v_fma_f32 v15, -v11, v13, 1.0
	v_fmac_f32_e32 v13, v15, v13
	v_div_scale_f32 v15, vcc, v10, v12, v10
	v_mul_f32_e32 v16, v15, v13
	v_fma_f32 v17, -v11, v16, v15
	v_fmac_f32_e32 v16, v17, v13
	v_fma_f32 v11, -v11, v16, v15
	v_div_fmas_f32 v11, v11, v13, v16
	v_div_fixup_f32 v10, v11, v12, v10
	v_add_f32_e32 v10, v14, v10
	v_mul_f32_e32 v11, 0x4b800000, v10
	v_cmp_gt_f32_e32 vcc, s2, v10
	v_cndmask_b32_e32 v10, v10, v11, vcc
	v_rsq_f32_e32 v10, v10
	v_cvt_f32_f16_e32 v36, v9
	s_waitcnt vmcnt(0)
	v_cvt_f32_f16_sdwa v9, v3 dst_sel:DWORD dst_unused:UNUSED_PAD src0_sel:WORD_1
	v_mul_f32_e32 v11, 0x45800000, v10
	v_cndmask_b32_e32 v10, v10, v11, vcc
	v_mov_b32_e32 v11, v10
	;;#ASMSTART
	v_pk_mul_f32 v[12:13], v[32:33], v[10:11]
	;;#ASMEND
	;;#ASMSTART
	v_pk_mul_f32 v[14:15], v[30:31], v[10:11]
	;;#ASMEND
	;; [unrolled: 3-line block ×8, first 2 shown]
	v_cvt_f32_f16_sdwa v19, v6 dst_sel:DWORD dst_unused:UNUSED_PAD src0_sel:WORD_1
	v_cvt_f32_f16_e32 v18, v6
	v_cvt_f32_f16_sdwa v27, v7 dst_sel:DWORD dst_unused:UNUSED_PAD src0_sel:WORD_1
	v_cvt_f32_f16_e32 v26, v7
	;; [unrolled: 2-line block ×3, first 2 shown]
	;;#ASMSTART
	v_pk_mul_f32 v[32:33], v[12:13], v[18:19]
	;;#ASMEND
	;;#ASMSTART
	v_pk_mul_f32 v[30:31], v[14:15], v[26:27]
	;;#ASMEND
	;; [unrolled: 3-line block ×4, first 2 shown]
	v_cvt_f32_f16_sdwa v7, v2 dst_sel:DWORD dst_unused:UNUSED_PAD src0_sel:WORD_1
	v_cvt_f32_f16_e32 v6, v2
	v_cvt_f32_f16_e32 v8, v3
	v_cvt_f32_f16_sdwa v3, v4 dst_sel:DWORD dst_unused:UNUSED_PAD src0_sel:WORD_1
	v_cvt_f32_f16_e32 v2, v4
	v_cvt_f32_f16_sdwa v13, v5 dst_sel:DWORD dst_unused:UNUSED_PAD src0_sel:WORD_1
	v_cvt_f32_f16_e32 v12, v5
	;;#ASMSTART
	v_pk_mul_f32 v[24:25], v[24:25], v[6:7]
	;;#ASMEND
	;;#ASMSTART
	v_pk_mul_f32 v[22:23], v[22:23], v[8:9]
	;;#ASMEND
	;; [unrolled: 3-line block ×4, first 2 shown]
	s_or_b64 exec, exec, s[26:27]
	s_mov_b64 s[2:3], -1
	s_and_b64 vcc, exec, s[22:23]
	s_cbranch_vccz .LBB797_15
.LBB797_19:
	s_and_saveexec_b64 s[2:3], s[0:1]
	s_cbranch_execz .LBB797_21
; %bb.20:
	s_mul_hi_i32 s23, s25, s6
	s_mul_i32 s22, s25, s6
	s_waitcnt vmcnt(0)
	v_cvt_f16_f32_e32 v2, v32
	v_cvt_f16_f32_e32 v3, v30
	;; [unrolled: 1-line block ×8, first 2 shown]
	s_lshl_b64 s[22:23], s[22:23], 1
	s_add_u32 s28, s14, s22
	s_addc_u32 s7, s15, s23
	s_and_b32 s29, s7, 0xffff
	s_mov_b32 s31, 0x20000
	v_pack_b32_f16 v5, v5, v6
	v_pack_b32_f16 v4, v4, v7
	;; [unrolled: 1-line block ×4, first 2 shown]
	v_lshlrev_b32_e32 v6, 5, v0
	buffer_store_dwordx4 v[2:5], v6, s[28:31], 0 offen
	v_cvt_f16_f32_e32 v7, v19
	v_cvt_f16_f32_e32 v2, v24
	;; [unrolled: 1-line block ×8, first 2 shown]
	v_pack_b32_f16 v5, v5, v7
	v_pack_b32_f16 v4, v4, v8
	;; [unrolled: 1-line block ×4, first 2 shown]
	;;#ASMSTART
	s_nop 0
	;;#ASMEND
	buffer_store_dwordx4 v[2:5], v6, s[28:31], 16 offen
	;;#ASMSTART
	s_nop 0
	;;#ASMEND
.LBB797_21:
	s_or_b64 exec, exec, s[2:3]
	s_cbranch_execnz .LBB797_16
.LBB797_22:
	s_and_saveexec_b64 s[2:3], s[0:1]
	s_cbranch_execz .LBB797_24
; %bb.23:
	s_load_dwordx2 s[0:1], s[4:5], 0x10
	s_mul_hi_i32 s23, s24, s6
	s_mul_i32 s22, s24, s6
	s_waitcnt vmcnt(0)
	v_cvt_f16_f32_e32 v2, v32
	v_cvt_f16_f32_e32 v3, v30
	;; [unrolled: 1-line block ×8, first 2 shown]
	s_lshl_b64 s[22:23], s[22:23], 1
	s_waitcnt lgkmcnt(0)
	s_add_u32 s28, s0, s22
	s_addc_u32 s0, s1, s23
	s_mov_b32 s31, 0x20000
	s_and_b32 s29, s0, 0xffff
	v_pack_b32_f16 v5, v5, v6
	v_pack_b32_f16 v4, v4, v7
	;; [unrolled: 1-line block ×4, first 2 shown]
	v_lshlrev_b32_e32 v6, 5, v0
	buffer_store_dwordx4 v[2:5], v6, s[28:31], 0 offen
	v_cvt_f16_f32_e32 v7, v19
	v_cvt_f16_f32_e32 v2, v24
	;; [unrolled: 1-line block ×8, first 2 shown]
	v_pack_b32_f16 v5, v5, v7
	v_pack_b32_f16 v4, v4, v8
	;; [unrolled: 1-line block ×4, first 2 shown]
	;;#ASMSTART
	s_nop 0
	;;#ASMEND
	buffer_store_dwordx4 v[2:5], v6, s[28:31], 16 offen
	;;#ASMSTART
	s_nop 0
	;;#ASMEND
.LBB797_24:
	s_or_b64 exec, exec, s[2:3]
	s_cmp_lt_i32 s16, 1
	s_cbranch_scc1 .LBB797_17
.LBB797_25:
	s_load_dword s0, s[4:5], 0x94
	s_waitcnt lgkmcnt(0)
	s_cmp_lg_u32 s0, 1
	s_cbranch_scc1 .LBB797_17
; %bb.26:
	s_lshl_b32 s0, s16, 1
	s_add_i32 s0, s0, 2
	v_cmp_gt_u32_e32 vcc, s16, v1
	s_and_b32 s22, s0, -4
	v_mov_b32_e32 v18, 0
	v_lshlrev_b32_e32 v1, 5, v0
	s_waitcnt vmcnt(2)
	v_mov_b32_e32 v14, 0
	v_mov_b32_e32 v15, 0
	v_mov_b32_e32 v16, 0
	v_mov_b32_e32 v17, 0
	v_mov_b32_e32 v10, 0
	v_mov_b32_e32 v11, 0
	v_mov_b32_e32 v12, 0
	v_mov_b32_e32 v13, 0
	s_waitcnt vmcnt(1)
	v_mov_b32_e32 v6, 0
	v_mov_b32_e32 v7, 0
	;; [unrolled: 1-line block ×4, first 2 shown]
	s_waitcnt vmcnt(0)
	v_mov_b32_e32 v2, 0
	v_mov_b32_e32 v3, 0
	;; [unrolled: 1-line block ×4, first 2 shown]
	s_barrier
	s_and_saveexec_b64 s[0:1], vcc
	s_cbranch_execz .LBB797_28
; %bb.27:
	s_mul_hi_i32 s3, s18, s6
	s_mul_i32 s2, s18, s6
	s_and_b32 s21, s21, 0xffff
	s_lshl_b64 s[2:3], s[2:3], 1
	s_add_u32 s28, s10, s2
	s_mov_b32 s23, 0x20000
	s_addc_u32 s2, s11, s3
	s_and_b32 s29, s2, 0xffff
	s_mov_b32 s30, s22
	s_mov_b32 s31, s23
	buffer_load_dwordx4 v[14:17], v1, s[28:31], 0 offen
	buffer_load_dwordx4 v[10:13], v1, s[28:31], 16 offen
	;; [unrolled: 1-line block ×4, first 2 shown]
.LBB797_28:
	s_or_b64 exec, exec, s[0:1]
	v_mov_b32_e32 v19, 0
	v_mov_b32_e32 v32, 0
	;; [unrolled: 1-line block ×15, first 2 shown]
	s_and_saveexec_b64 s[0:1], vcc
	s_cbranch_execz .LBB797_30
; %bb.29:
	s_waitcnt vmcnt(3)
	v_cvt_f32_f16_sdwa v19, v14 dst_sel:DWORD dst_unused:UNUSED_PAD src0_sel:WORD_1
	v_cvt_f32_f16_e32 v18, v14
	v_cvt_f32_f16_sdwa v33, v15 dst_sel:DWORD dst_unused:UNUSED_PAD src0_sel:WORD_1
	v_cvt_f32_f16_e32 v32, v15
	;; [unrolled: 2-line block ×4, first 2 shown]
	s_waitcnt vmcnt(2)
	v_cvt_f32_f16_sdwa v27, v10 dst_sel:DWORD dst_unused:UNUSED_PAD src0_sel:WORD_1
	v_cvt_f32_f16_e32 v26, v10
	v_cvt_f32_f16_sdwa v25, v11 dst_sel:DWORD dst_unused:UNUSED_PAD src0_sel:WORD_1
	v_cvt_f32_f16_e32 v24, v11
	;; [unrolled: 2-line block ×4, first 2 shown]
.LBB797_30:
	s_or_b64 exec, exec, s[0:1]
	s_waitcnt vmcnt(2)
	v_mul_f32_e32 v10, v19, v19
	v_fmac_f32_e32 v10, v18, v18
	v_fmac_f32_e32 v10, v32, v32
	;; [unrolled: 1-line block ×15, first 2 shown]
	s_nop 1
	v_mov_b32_dpp v11, v10 quad_perm:[1,0,3,2] row_mask:0xf bank_mask:0xf
	v_add_f32_e32 v10, v10, v11
	s_nop 1
	v_mov_b32_dpp v11, v10 quad_perm:[2,3,0,1] row_mask:0xf bank_mask:0xf
	v_add_f32_e32 v10, v10, v11
	s_nop 1
	v_mov_b32_dpp v11, v10 row_half_mirror row_mask:0xf bank_mask:0xf
	v_add_f32_e32 v10, v10, v11
	s_nop 1
	v_mov_b32_dpp v11, v10 row_mirror row_mask:0xf bank_mask:0xf
	v_add_f32_e32 v10, v10, v11
	s_nop 1
	v_mov_b32_dpp v11, v10 row_bcast:15 row_mask:0xf bank_mask:0xf
	v_add_f32_e32 v10, v10, v11
	s_nop 1
	v_mov_b32_dpp v11, v10 row_bcast:31 row_mask:0xf bank_mask:0xf
	s_and_saveexec_b64 s[0:1], s[8:9]
	s_cbranch_execz .LBB797_32
; %bb.31:
	v_lshrrev_b32_e32 v0, 4, v0
	v_add_f32_e32 v10, v10, v11
	v_and_b32_e32 v0, 60, v0
	ds_write_b32 v0, v10
.LBB797_32:
	s_or_b64 exec, exec, s[0:1]
	s_waitcnt lgkmcnt(0)
	s_barrier
	ds_read_b32 v0, v34
	s_waitcnt lgkmcnt(0)
	s_nop 0
	v_mov_b32_dpp v10, v0 quad_perm:[1,0,3,2] row_mask:0xf bank_mask:0xf
	v_add_f32_e32 v0, v0, v10
	s_nop 1
	v_mov_b32_dpp v10, v0 quad_perm:[2,3,0,1] row_mask:0xf bank_mask:0xf
	s_and_saveexec_b64 s[0:1], vcc
	s_cbranch_execz .LBB797_17
; %bb.33:
	v_cvt_f32_u32_e32 v11, s16
	v_add_f32_e32 v0, v0, v10
	s_mov_b32 s23, 0x20000
	v_div_scale_f32 v10, s[0:1], v11, v11, v0
	v_rcp_f32_e32 v12, v10
	v_div_scale_f32 v13, vcc, v0, v11, v0
	s_mov_b32 s0, 0x800000
	v_fma_f32 v14, -v10, v12, 1.0
	v_fmac_f32_e32 v12, v14, v12
	v_mul_f32_e32 v14, v13, v12
	v_fma_f32 v15, -v10, v14, v13
	v_fmac_f32_e32 v14, v15, v12
	v_fma_f32 v10, -v10, v14, v13
	v_div_fmas_f32 v10, v10, v12, v14
	v_div_fixup_f32 v0, v10, v11, v0
	v_add_f32_e32 v0, s13, v0
	v_mul_f32_e32 v10, 0x4b800000, v0
	v_cmp_gt_f32_e32 vcc, s0, v0
	v_cndmask_b32_e32 v0, v0, v10, vcc
	v_rsq_f32_e32 v0, v0
	s_mul_hi_i32 s1, s25, s6
	s_mul_i32 s0, s25, s6
	s_lshl_b64 s[0:1], s[0:1], 1
	v_mul_f32_e32 v10, 0x45800000, v0
	v_cndmask_b32_e32 v10, v0, v10, vcc
	v_mov_b32_e32 v11, v10
	;;#ASMSTART
	v_pk_mul_f32 v[12:13], v[18:19], v[10:11]
	;;#ASMEND
	;;#ASMSTART
	v_pk_mul_f32 v[14:15], v[32:33], v[10:11]
	;;#ASMEND
	;; [unrolled: 3-line block ×8, first 2 shown]
	s_waitcnt vmcnt(1)
	v_cvt_f32_f16_sdwa v21, v6 dst_sel:DWORD dst_unused:UNUSED_PAD src0_sel:WORD_1
	v_cvt_f32_f16_e32 v20, v6
	v_cvt_f32_f16_sdwa v29, v7 dst_sel:DWORD dst_unused:UNUSED_PAD src0_sel:WORD_1
	v_cvt_f32_f16_e32 v28, v7
	;; [unrolled: 2-line block ×4, first 2 shown]
	;;#ASMSTART
	v_pk_mul_f32 v[8:9], v[12:13], v[20:21]
	;;#ASMEND
	;;#ASMSTART
	v_pk_mul_f32 v[12:13], v[14:15], v[28:29]
	;;#ASMEND
	;; [unrolled: 3-line block ×4, first 2 shown]
	s_waitcnt vmcnt(0)
	v_cvt_f32_f16_sdwa v17, v2 dst_sel:DWORD dst_unused:UNUSED_PAD src0_sel:WORD_1
	v_cvt_f32_f16_e32 v16, v2
	v_cvt_f32_f16_sdwa v19, v3 dst_sel:DWORD dst_unused:UNUSED_PAD src0_sel:WORD_1
	v_cvt_f32_f16_e32 v18, v3
	;; [unrolled: 2-line block ×4, first 2 shown]
	;;#ASMSTART
	v_pk_mul_f32 v[16:17], v[26:27], v[16:17]
	;;#ASMEND
	;;#ASMSTART
	v_pk_mul_f32 v[18:19], v[24:25], v[18:19]
	;;#ASMEND
	;; [unrolled: 3-line block ×3, first 2 shown]
	v_cvt_f16_f32_e32 v0, v8
	v_cvt_f16_f32_e32 v2, v9
	;; [unrolled: 1-line block ×8, first 2 shown]
	s_add_u32 s20, s14, s0
	s_addc_u32 s0, s15, s1
	s_and_b32 s21, s0, 0xffff
	v_pack_b32_f16 v2, v0, v2
	v_pack_b32_f16 v3, v3, v4
	;; [unrolled: 1-line block ×4, first 2 shown]
	;;#ASMSTART
	v_pk_mul_f32 v[10:11], v[10:11], v[20:21]
	;;#ASMEND
	buffer_store_dwordx4 v[2:5], v1, s[20:23], 0 offen
	v_cvt_f16_f32_e32 v0, v16
	v_cvt_f16_f32_e32 v2, v17
	;; [unrolled: 1-line block ×8, first 2 shown]
	v_pack_b32_f16 v2, v0, v2
	v_pack_b32_f16 v3, v3, v4
	;; [unrolled: 1-line block ×4, first 2 shown]
	;;#ASMSTART
	s_nop 0
	;;#ASMEND
	buffer_store_dwordx4 v[2:5], v1, s[20:23], 16 offen
	;;#ASMSTART
	s_nop 0
	;;#ASMEND
	s_endpgm
	.section	.rodata,"a",@progbits
	.p2align	6, 0x0
	.amdhsa_kernel _ZN5aiter35fused_qk_rmsnorm_group_quant_kernelIDF16_DB8_Li256ELi16ELi4ELb1ELb1ELb0ELb1ELb0ELb0EEEvPT0_PvPT_S6_S6_PKS5_S8_S8_S8_S8_ffiiiiiiiiiiiii
		.amdhsa_group_segment_fixed_size 32
		.amdhsa_private_segment_fixed_size 0
		.amdhsa_kernarg_size 400
		.amdhsa_user_sgpr_count 6
		.amdhsa_user_sgpr_private_segment_buffer 1
		.amdhsa_user_sgpr_dispatch_ptr 0
		.amdhsa_user_sgpr_queue_ptr 0
		.amdhsa_user_sgpr_kernarg_segment_ptr 1
		.amdhsa_user_sgpr_dispatch_id 0
		.amdhsa_user_sgpr_flat_scratch_init 0
		.amdhsa_user_sgpr_kernarg_preload_length 0
		.amdhsa_user_sgpr_kernarg_preload_offset 0
		.amdhsa_user_sgpr_private_segment_size 0
		.amdhsa_uses_dynamic_stack 0
		.amdhsa_system_sgpr_private_segment_wavefront_offset 0
		.amdhsa_system_sgpr_workgroup_id_x 1
		.amdhsa_system_sgpr_workgroup_id_y 1
		.amdhsa_system_sgpr_workgroup_id_z 0
		.amdhsa_system_sgpr_workgroup_info 0
		.amdhsa_system_vgpr_workitem_id 0
		.amdhsa_next_free_vgpr 49
		.amdhsa_next_free_sgpr 32
		.amdhsa_accum_offset 52
		.amdhsa_reserve_vcc 1
		.amdhsa_reserve_flat_scratch 0
		.amdhsa_float_round_mode_32 0
		.amdhsa_float_round_mode_16_64 0
		.amdhsa_float_denorm_mode_32 3
		.amdhsa_float_denorm_mode_16_64 3
		.amdhsa_dx10_clamp 1
		.amdhsa_ieee_mode 1
		.amdhsa_fp16_overflow 0
		.amdhsa_tg_split 0
		.amdhsa_exception_fp_ieee_invalid_op 0
		.amdhsa_exception_fp_denorm_src 0
		.amdhsa_exception_fp_ieee_div_zero 0
		.amdhsa_exception_fp_ieee_overflow 0
		.amdhsa_exception_fp_ieee_underflow 0
		.amdhsa_exception_fp_ieee_inexact 0
		.amdhsa_exception_int_div_zero 0
	.end_amdhsa_kernel
	.section	.text._ZN5aiter35fused_qk_rmsnorm_group_quant_kernelIDF16_DB8_Li256ELi16ELi4ELb1ELb1ELb0ELb1ELb0ELb0EEEvPT0_PvPT_S6_S6_PKS5_S8_S8_S8_S8_ffiiiiiiiiiiiii,"axG",@progbits,_ZN5aiter35fused_qk_rmsnorm_group_quant_kernelIDF16_DB8_Li256ELi16ELi4ELb1ELb1ELb0ELb1ELb0ELb0EEEvPT0_PvPT_S6_S6_PKS5_S8_S8_S8_S8_ffiiiiiiiiiiiii,comdat
.Lfunc_end797:
	.size	_ZN5aiter35fused_qk_rmsnorm_group_quant_kernelIDF16_DB8_Li256ELi16ELi4ELb1ELb1ELb0ELb1ELb0ELb0EEEvPT0_PvPT_S6_S6_PKS5_S8_S8_S8_S8_ffiiiiiiiiiiiii, .Lfunc_end797-_ZN5aiter35fused_qk_rmsnorm_group_quant_kernelIDF16_DB8_Li256ELi16ELi4ELb1ELb1ELb0ELb1ELb0ELb0EEEvPT0_PvPT_S6_S6_PKS5_S8_S8_S8_S8_ffiiiiiiiiiiiii
                                        ; -- End function
	.section	.AMDGPU.csdata,"",@progbits
; Kernel info:
; codeLenInByte = 3480
; NumSgprs: 36
; NumVgprs: 49
; NumAgprs: 0
; TotalNumVgprs: 49
; ScratchSize: 0
; MemoryBound: 0
; FloatMode: 240
; IeeeMode: 1
; LDSByteSize: 32 bytes/workgroup (compile time only)
; SGPRBlocks: 4
; VGPRBlocks: 6
; NumSGPRsForWavesPerEU: 36
; NumVGPRsForWavesPerEU: 49
; AccumOffset: 52
; Occupancy: 8
; WaveLimiterHint : 0
; COMPUTE_PGM_RSRC2:SCRATCH_EN: 0
; COMPUTE_PGM_RSRC2:USER_SGPR: 6
; COMPUTE_PGM_RSRC2:TRAP_HANDLER: 0
; COMPUTE_PGM_RSRC2:TGID_X_EN: 1
; COMPUTE_PGM_RSRC2:TGID_Y_EN: 1
; COMPUTE_PGM_RSRC2:TGID_Z_EN: 0
; COMPUTE_PGM_RSRC2:TIDIG_COMP_CNT: 0
; COMPUTE_PGM_RSRC3_GFX90A:ACCUM_OFFSET: 12
; COMPUTE_PGM_RSRC3_GFX90A:TG_SPLIT: 0
	.section	.text._ZN5aiter35fused_qk_rmsnorm_group_quant_kernelItDB8_Li256ELi16ELi4ELb1ELb1ELb0ELb1ELb0ELb0EEEvPT0_PvPT_S6_S6_PKS5_S8_S8_S8_S8_ffiiiiiiiiiiiii,"axG",@progbits,_ZN5aiter35fused_qk_rmsnorm_group_quant_kernelItDB8_Li256ELi16ELi4ELb1ELb1ELb0ELb1ELb0ELb0EEEvPT0_PvPT_S6_S6_PKS5_S8_S8_S8_S8_ffiiiiiiiiiiiii,comdat
	.protected	_ZN5aiter35fused_qk_rmsnorm_group_quant_kernelItDB8_Li256ELi16ELi4ELb1ELb1ELb0ELb1ELb0ELb0EEEvPT0_PvPT_S6_S6_PKS5_S8_S8_S8_S8_ffiiiiiiiiiiiii ; -- Begin function _ZN5aiter35fused_qk_rmsnorm_group_quant_kernelItDB8_Li256ELi16ELi4ELb1ELb1ELb0ELb1ELb0ELb0EEEvPT0_PvPT_S6_S6_PKS5_S8_S8_S8_S8_ffiiiiiiiiiiiii
	.globl	_ZN5aiter35fused_qk_rmsnorm_group_quant_kernelItDB8_Li256ELi16ELi4ELb1ELb1ELb0ELb1ELb0ELb0EEEvPT0_PvPT_S6_S6_PKS5_S8_S8_S8_S8_ffiiiiiiiiiiiii
	.p2align	8
	.type	_ZN5aiter35fused_qk_rmsnorm_group_quant_kernelItDB8_Li256ELi16ELi4ELb1ELb1ELb0ELb1ELb0ELb0EEEvPT0_PvPT_S6_S6_PKS5_S8_S8_S8_S8_ffiiiiiiiiiiiii,@function
_ZN5aiter35fused_qk_rmsnorm_group_quant_kernelItDB8_Li256ELi16ELi4ELb1ELb1ELb0ELb1ELb0ELb0EEEvPT0_PvPT_S6_S6_PKS5_S8_S8_S8_S8_ffiiiiiiiiiiiii: ; @_ZN5aiter35fused_qk_rmsnorm_group_quant_kernelItDB8_Li256ELi16ELi4ELb1ELb1ELb0ELb1ELb0ELb0EEEvPT0_PvPT_S6_S6_PKS5_S8_S8_S8_S8_ffiiiiiiiiiiiii
; %bb.0:
	s_load_dwordx8 s[12:19], s[4:5], 0x50
	s_waitcnt lgkmcnt(0)
	s_cmp_ge_i32 s6, s14
	s_cbranch_scc1 .LBB798_17
; %bb.1:
	s_cmp_lg_u32 s7, 0
	s_cselect_b64 s[22:23], -1, 0
	s_cmp_eq_u32 s7, 0
	s_cselect_b64 s[2:3], -1, 0
	s_and_b64 s[0:1], s[2:3], exec
	s_cselect_b32 s7, s15, s16
	s_load_dwordx2 s[10:11], s[4:5], 0x30
	s_load_dwordx2 s[20:21], s[4:5], 0x48
	s_add_i32 s0, s7, 1
	s_lshr_b32 s1, s0, 31
	s_add_i32 s0, s0, s1
	s_lshl_b32 s0, s0, 1
	v_lshlrev_b32_e32 v1, 4, v0
	s_and_b32 s30, s0, -4
	v_cmp_gt_i32_e64 s[0:1], s7, v1
	v_mov_b32_e32 v76, 0
	v_mov_b32_e32 v77, 0
	v_mov_b32_e32 v78, 0
	v_mov_b32_e32 v79, 0
	v_mov_b32_e32 v72, 0
	v_mov_b32_e32 v73, 0
	v_mov_b32_e32 v74, 0
	v_mov_b32_e32 v75, 0
	v_mov_b32_e32 v80, 0
	v_mov_b32_e32 v81, 0
	v_mov_b32_e32 v82, 0
	v_mov_b32_e32 v83, 0
	v_mov_b32_e32 v84, 0
	v_mov_b32_e32 v85, 0
	v_mov_b32_e32 v86, 0
	v_mov_b32_e32 v87, 0
	s_and_saveexec_b64 s[8:9], s[0:1]
	s_cbranch_execz .LBB798_3
; %bb.2:
	s_load_dwordx2 s[14:15], s[4:5], 0x28
	s_load_dwordx2 s[26:27], s[4:5], 0x40
	s_and_b64 s[24:25], s[2:3], exec
	s_cselect_b32 s17, s17, s18
	s_mov_b32 s31, 0x20000
	s_waitcnt lgkmcnt(0)
	s_cselect_b32 s25, s15, s11
	s_cselect_b32 s24, s14, s10
	s_mul_hi_i32 s15, s17, s6
	s_mul_i32 s14, s17, s6
	s_lshl_b64 s[14:15], s[14:15], 1
	s_add_u32 s24, s24, s14
	s_addc_u32 s17, s25, s15
	s_and_b64 s[14:15], s[2:3], exec
	s_cselect_b32 s28, s26, s20
	s_cselect_b32 s14, s27, s21
	s_and_b32 s25, s17, 0xffff
	s_mov_b32 s26, s30
	s_mov_b32 s27, s31
	v_lshlrev_b32_e32 v2, 5, v0
	s_and_b32 s29, s14, 0xffff
	buffer_load_dwordx4 v[80:83], v2, s[24:27], 0 offen
	buffer_load_dwordx4 v[84:87], v2, s[24:27], 16 offen
	;; [unrolled: 1-line block ×4, first 2 shown]
.LBB798_3:
	s_or_b64 exec, exec, s[8:9]
	s_load_dwordx4 s[24:27], s[4:5], 0x7c
	s_and_b64 vcc, exec, s[22:23]
	s_cbranch_vccz .LBB798_7
; %bb.4:
	v_mov_b32_e32 v89, 0
	v_mov_b32_e32 v88, 0
	;; [unrolled: 1-line block ×16, first 2 shown]
	s_and_saveexec_b64 s[8:9], s[0:1]
	s_cbranch_execz .LBB798_6
; %bb.5:
	s_waitcnt vmcnt(3)
	v_cvt_f32_u32_sdwa v18, v80 dst_sel:DWORD dst_unused:UNUSED_PAD src0_sel:WORD_0
	v_cvt_f32_u32_sdwa v19, v80 dst_sel:DWORD dst_unused:UNUSED_PAD src0_sel:WORD_1
	v_cvt_f32_u32_sdwa v4, v81 dst_sel:DWORD dst_unused:UNUSED_PAD src0_sel:WORD_0
	v_cvt_f32_u32_sdwa v5, v81 dst_sel:DWORD dst_unused:UNUSED_PAD src0_sel:WORD_1
	;; [unrolled: 2-line block ×4, first 2 shown]
	s_waitcnt vmcnt(2)
	v_cvt_f32_u32_sdwa v64, v84 dst_sel:DWORD dst_unused:UNUSED_PAD src0_sel:WORD_0
	v_cvt_f32_u32_sdwa v65, v84 dst_sel:DWORD dst_unused:UNUSED_PAD src0_sel:WORD_1
	v_cvt_f32_u32_sdwa v48, v85 dst_sel:DWORD dst_unused:UNUSED_PAD src0_sel:WORD_0
	v_cvt_f32_u32_sdwa v49, v85 dst_sel:DWORD dst_unused:UNUSED_PAD src0_sel:WORD_1
	;; [unrolled: 2-line block ×4, first 2 shown]
.LBB798_6:
	s_or_b64 exec, exec, s[8:9]
	s_cbranch_execz .LBB798_8
	s_branch .LBB798_11
.LBB798_7:
                                        ; implicit-def: $vgpr18_vgpr19_vgpr20_vgpr21_vgpr22_vgpr23_vgpr24_vgpr25_vgpr26_vgpr27_vgpr28_vgpr29_vgpr30_vgpr31_vgpr32_vgpr33
                                        ; implicit-def: $vgpr50_vgpr51_vgpr52_vgpr53_vgpr54_vgpr55_vgpr56_vgpr57_vgpr58_vgpr59_vgpr60_vgpr61_vgpr62_vgpr63_vgpr64_vgpr65
                                        ; implicit-def: $vgpr30_vgpr31_vgpr32_vgpr33_vgpr34_vgpr35_vgpr36_vgpr37_vgpr38_vgpr39_vgpr40_vgpr41_vgpr42_vgpr43_vgpr44_vgpr45
                                        ; implicit-def: $vgpr89
                                        ; implicit-def: $vgpr2_vgpr3_vgpr4_vgpr5_vgpr6_vgpr7_vgpr8_vgpr9_vgpr10_vgpr11_vgpr12_vgpr13_vgpr14_vgpr15_vgpr16_vgpr17
                                        ; implicit-def: $vgpr56_vgpr57_vgpr58_vgpr59_vgpr60_vgpr61_vgpr62_vgpr63_vgpr64_vgpr65_vgpr66_vgpr67_vgpr68_vgpr69_vgpr70_vgpr71
                                        ; implicit-def: $vgpr38_vgpr39_vgpr40_vgpr41_vgpr42_vgpr43_vgpr44_vgpr45_vgpr46_vgpr47_vgpr48_vgpr49_vgpr50_vgpr51_vgpr52_vgpr53
                                        ; implicit-def: $vgpr20_vgpr21_vgpr22_vgpr23_vgpr24_vgpr25_vgpr26_vgpr27_vgpr28_vgpr29_vgpr30_vgpr31_vgpr32_vgpr33_vgpr34_vgpr35
.LBB798_8:
	v_mov_b32_e32 v89, 0
	v_mov_b32_e32 v88, 0
	;; [unrolled: 1-line block ×16, first 2 shown]
	s_and_saveexec_b64 s[8:9], s[0:1]
	s_cbranch_execz .LBB798_10
; %bb.9:
	s_load_dwordx2 s[14:15], s[4:5], 0x38
	s_mul_hi_i32 s29, s19, s6
	s_mul_i32 s28, s19, s6
	s_lshl_b64 s[28:29], s[28:29], 1
	s_mov_b32 s31, 0x20000
	s_waitcnt lgkmcnt(0)
	s_add_u32 s28, s14, s28
	s_addc_u32 s14, s15, s29
	s_and_b32 s29, s14, 0xffff
	v_lshlrev_b32_e32 v38, 5, v0
	buffer_load_dwordx4 v[4:7], v38, s[28:31], 16 offen
	buffer_load_dwordx4 v[8:11], v38, s[28:31], 0 offen
	s_load_dwordx2 s[14:15], s[4:5], 0x20
	s_waitcnt vmcnt(5)
	v_cvt_f32_u32_sdwa v19, v80 dst_sel:DWORD dst_unused:UNUSED_PAD src0_sel:WORD_1
	v_cvt_f32_u32_sdwa v18, v80 dst_sel:DWORD dst_unused:UNUSED_PAD src0_sel:WORD_0
	v_cvt_f32_u32_sdwa v21, v81 dst_sel:DWORD dst_unused:UNUSED_PAD src0_sel:WORD_1
	v_cvt_f32_u32_sdwa v20, v81 dst_sel:DWORD dst_unused:UNUSED_PAD src0_sel:WORD_0
	;; [unrolled: 2-line block ×4, first 2 shown]
	s_waitcnt vmcnt(4)
	v_cvt_f32_u32_sdwa v3, v84 dst_sel:DWORD dst_unused:UNUSED_PAD src0_sel:WORD_1
	v_cvt_f32_u32_sdwa v2, v84 dst_sel:DWORD dst_unused:UNUSED_PAD src0_sel:WORD_0
	v_cvt_f32_u32_sdwa v13, v85 dst_sel:DWORD dst_unused:UNUSED_PAD src0_sel:WORD_1
	v_cvt_f32_u32_sdwa v12, v85 dst_sel:DWORD dst_unused:UNUSED_PAD src0_sel:WORD_0
	;; [unrolled: 2-line block ×3, first 2 shown]
	v_cvt_f32_u32_sdwa v16, v87 dst_sel:DWORD dst_unused:UNUSED_PAD src0_sel:WORD_0
	v_cvt_f32_u32_sdwa v17, v87 dst_sel:DWORD dst_unused:UNUSED_PAD src0_sel:WORD_1
	s_mul_hi_i32 s27, s26, s6
	s_mul_i32 s26, s26, s6
	s_lshl_b64 s[26:27], s[26:27], 1
	s_waitcnt lgkmcnt(0)
	s_add_u32 s28, s14, s26
	s_mov_b32 s17, 0x7060302
	s_addc_u32 s14, s15, s27
	s_and_b32 s29, s14, 0xffff
	s_waitcnt vmcnt(1)
	v_cvt_f32_u32_sdwa v27, v4 dst_sel:DWORD dst_unused:UNUSED_PAD src0_sel:WORD_1
	v_cvt_f32_u32_sdwa v26, v4 dst_sel:DWORD dst_unused:UNUSED_PAD src0_sel:WORD_0
	v_cvt_f32_u32_sdwa v29, v5 dst_sel:DWORD dst_unused:UNUSED_PAD src0_sel:WORD_1
	v_cvt_f32_u32_sdwa v28, v5 dst_sel:DWORD dst_unused:UNUSED_PAD src0_sel:WORD_0
	;; [unrolled: 2-line block ×3, first 2 shown]
	v_cvt_f32_u32_sdwa v32, v7 dst_sel:DWORD dst_unused:UNUSED_PAD src0_sel:WORD_0
	v_cvt_f32_u32_sdwa v33, v7 dst_sel:DWORD dst_unused:UNUSED_PAD src0_sel:WORD_1
	s_waitcnt vmcnt(0)
	v_cvt_f32_u32_sdwa v35, v8 dst_sel:DWORD dst_unused:UNUSED_PAD src0_sel:WORD_1
	v_cvt_f32_u32_sdwa v34, v8 dst_sel:DWORD dst_unused:UNUSED_PAD src0_sel:WORD_0
	v_cvt_f32_u32_sdwa v5, v10 dst_sel:DWORD dst_unused:UNUSED_PAD src0_sel:WORD_1
	v_cvt_f32_u32_sdwa v4, v10 dst_sel:DWORD dst_unused:UNUSED_PAD src0_sel:WORD_0
	;; [unrolled: 2-line block ×4, first 2 shown]
	v_pk_add_f32 v[54:55], v[22:23], v[4:5]
	v_pk_add_f32 v[36:37], v[24:25], v[6:7]
	;; [unrolled: 1-line block ×4, first 2 shown]
	v_perm_b32 v9, v37, v36, s17
	v_perm_b32 v8, v55, v54, s17
	;; [unrolled: 1-line block ×4, first 2 shown]
	v_pk_add_f32 v[88:89], v[16:17], v[32:33]
	v_pk_add_f32 v[32:33], v[14:15], v[30:31]
	;; [unrolled: 1-line block ×4, first 2 shown]
	buffer_store_dwordx4 v[6:9], v38, s[28:31], 0 offen
	;;#ASMSTART
	s_nop 0
	;;#ASMEND
	s_nop 0
	v_perm_b32 v9, v89, v88, s17
	v_perm_b32 v8, v33, v32, s17
	;; [unrolled: 1-line block ×4, first 2 shown]
	buffer_store_dwordx4 v[6:9], v38, s[28:31], 16 offen
	;;#ASMSTART
	s_nop 0
	;;#ASMEND
.LBB798_10:
	s_or_b64 exec, exec, s[8:9]
.LBB798_11:
	v_mul_f32_e32 v2, v19, v19
	v_fmac_f32_e32 v2, v18, v18
	v_fmac_f32_e32 v2, v4, v4
	;; [unrolled: 1-line block ×15, first 2 shown]
	s_nop 1
	v_mov_b32_dpp v3, v2 quad_perm:[1,0,3,2] row_mask:0xf bank_mask:0xf
	v_add_f32_e32 v2, v2, v3
	s_nop 1
	v_mov_b32_dpp v3, v2 quad_perm:[2,3,0,1] row_mask:0xf bank_mask:0xf
	v_add_f32_e32 v2, v2, v3
	s_nop 1
	v_mov_b32_dpp v3, v2 row_half_mirror row_mask:0xf bank_mask:0xf
	v_add_f32_e32 v2, v2, v3
	s_nop 1
	v_mov_b32_dpp v3, v2 row_mirror row_mask:0xf bank_mask:0xf
	v_add_f32_e32 v2, v2, v3
	s_nop 1
	v_mov_b32_dpp v3, v2 row_bcast:15 row_mask:0xf bank_mask:0xf
	v_add_f32_e32 v2, v2, v3
	v_and_b32_e32 v3, 63, v0
	v_cmp_eq_u32_e64 s[8:9], 63, v3
	s_nop 0
	v_mov_b32_dpp v3, v2 row_bcast:31 row_mask:0xf bank_mask:0xf
	s_and_saveexec_b64 s[14:15], s[8:9]
	s_cbranch_execz .LBB798_13
; %bb.12:
	v_add_f32_e32 v2, v2, v3
	v_lshrrev_b32_e32 v3, 4, v0
	v_and_b32_e32 v3, 60, v3
	ds_write_b32 v3, v2 offset:16
.LBB798_13:
	s_or_b64 exec, exec, s[14:15]
	v_and_b32_e32 v2, 3, v0
	v_lshlrev_b32_e32 v34, 2, v2
	s_waitcnt lgkmcnt(0)
	s_barrier
	ds_read_b32 v2, v34 offset:16
	s_load_dwordx2 s[14:15], s[4:5], 0x18
	s_waitcnt lgkmcnt(0)
	v_mov_b32_dpp v3, v2 quad_perm:[1,0,3,2] row_mask:0xf bank_mask:0xf
	v_add_f32_e32 v2, v2, v3
	s_nop 1
	v_mov_b32_dpp v3, v2 quad_perm:[2,3,0,1] row_mask:0xf bank_mask:0xf
	s_and_saveexec_b64 s[26:27], s[0:1]
	s_cbranch_execnz .LBB798_18
; %bb.14:
	s_or_b64 exec, exec, s[26:27]
	s_mov_b64 s[2:3], -1
	s_and_b64 vcc, exec, s[22:23]
	s_cbranch_vccnz .LBB798_19
.LBB798_15:
	s_andn2_b64 vcc, exec, s[2:3]
	s_cbranch_vccz .LBB798_22
.LBB798_16:
	s_cmp_lt_i32 s16, 1
	s_cbranch_scc0 .LBB798_25
.LBB798_17:
	s_endpgm
.LBB798_18:
	v_add_f32_e32 v2, v2, v3
	v_cvt_f32_u32_e32 v3, s7
	s_waitcnt vmcnt(1)
	v_cvt_f32_u32_sdwa v17, v76 dst_sel:DWORD dst_unused:UNUSED_PAD src0_sel:WORD_1
	v_cvt_f32_u32_sdwa v16, v76 dst_sel:DWORD dst_unused:UNUSED_PAD src0_sel:WORD_0
	v_cvt_f32_u32_sdwa v21, v77 dst_sel:DWORD dst_unused:UNUSED_PAD src0_sel:WORD_1
	v_div_scale_f32 v6, s[28:29], v3, v3, v2
	v_rcp_f32_e32 v7, v6
	v_cvt_f32_u32_sdwa v20, v77 dst_sel:DWORD dst_unused:UNUSED_PAD src0_sel:WORD_0
	s_waitcnt vmcnt(0)
	v_cvt_f32_u32_sdwa v25, v73 dst_sel:DWORD dst_unused:UNUSED_PAD src0_sel:WORD_1
	v_cvt_f32_u32_sdwa v24, v73 dst_sel:DWORD dst_unused:UNUSED_PAD src0_sel:WORD_0
	v_fma_f32 v8, -v6, v7, 1.0
	v_fmac_f32_e32 v7, v8, v7
	v_div_scale_f32 v8, vcc, v2, v3, v2
	v_mul_f32_e32 v9, v8, v7
	v_fma_f32 v10, -v6, v9, v8
	v_fmac_f32_e32 v9, v10, v7
	v_fma_f32 v6, -v6, v9, v8
	v_div_fmas_f32 v6, v6, v7, v9
	v_div_fixup_f32 v2, v6, v3, v2
	v_mov_b32_e32 v3, s13
	v_mov_b32_e32 v6, s12
	v_cndmask_b32_e64 v3, v3, v6, s[2:3]
	v_add_f32_e32 v2, v3, v2
	s_mov_b32 s2, 0x800000
	v_mul_f32_e32 v3, 0x4b800000, v2
	v_cmp_gt_f32_e32 vcc, s2, v2
	v_cndmask_b32_e32 v2, v2, v3, vcc
	v_rsq_f32_e32 v2, v2
	v_cvt_f32_u32_sdwa v27, v74 dst_sel:DWORD dst_unused:UNUSED_PAD src0_sel:WORD_1
	v_cvt_f32_u32_sdwa v26, v74 dst_sel:DWORD dst_unused:UNUSED_PAD src0_sel:WORD_0
	v_cvt_f32_u32_sdwa v29, v75 dst_sel:DWORD dst_unused:UNUSED_PAD src0_sel:WORD_1
	v_mul_f32_e32 v3, 0x45800000, v2
	v_cndmask_b32_e32 v2, v2, v3, vcc
	v_mov_b32_e32 v3, v2
	;;#ASMSTART
	v_pk_mul_f32 v[6:7], v[18:19], v[2:3]
	;;#ASMEND
	;;#ASMSTART
	v_pk_mul_f32 v[4:5], v[4:5], v[2:3]
	;;#ASMEND
	;; [unrolled: 3-line block ×10, first 2 shown]
	v_cvt_f32_u32_sdwa v7, v78 dst_sel:DWORD dst_unused:UNUSED_PAD src0_sel:WORD_1
	v_cvt_f32_u32_sdwa v6, v78 dst_sel:DWORD dst_unused:UNUSED_PAD src0_sel:WORD_0
	v_cvt_f32_u32_sdwa v17, v79 dst_sel:DWORD dst_unused:UNUSED_PAD src0_sel:WORD_1
	v_cvt_f32_u32_sdwa v16, v79 dst_sel:DWORD dst_unused:UNUSED_PAD src0_sel:WORD_0
	;; [unrolled: 2-line block ×3, first 2 shown]
	v_cvt_f32_u32_sdwa v28, v75 dst_sel:DWORD dst_unused:UNUSED_PAD src0_sel:WORD_0
	;;#ASMSTART
	v_pk_mul_f32 v[54:55], v[8:9], v[6:7]
	;;#ASMEND
	;;#ASMSTART
	v_pk_mul_f32 v[36:37], v[10:11], v[16:17]
	;;#ASMEND
	;; [unrolled: 3-line block ×6, first 2 shown]
	s_or_b64 exec, exec, s[26:27]
	s_mov_b64 s[2:3], -1
	s_and_b64 vcc, exec, s[22:23]
	s_cbranch_vccz .LBB798_15
.LBB798_19:
	s_and_saveexec_b64 s[2:3], s[0:1]
	s_cbranch_execz .LBB798_21
; %bb.20:
	s_mul_hi_i32 s23, s25, s6
	s_mul_i32 s22, s25, s6
	s_lshl_b64 s[22:23], s[22:23], 1
	s_add_u32 s28, s14, s22
	s_addc_u32 s7, s15, s23
	s_and_b32 s29, s7, 0xffff
	s_mov_b32 s7, 0x7060302
	s_mov_b32 s31, 0x20000
	v_perm_b32 v9, v37, v36, s7
	v_perm_b32 v8, v55, v54, s7
	;; [unrolled: 1-line block ×4, first 2 shown]
	v_lshlrev_b32_e32 v2, 5, v0
	buffer_store_dwordx4 v[6:9], v2, s[28:31], 0 offen
	;;#ASMSTART
	s_nop 0
	;;#ASMEND
	s_nop 0
	v_perm_b32 v9, v89, v88, s7
	v_perm_b32 v8, v33, v32, s7
	;; [unrolled: 1-line block ×4, first 2 shown]
	buffer_store_dwordx4 v[6:9], v2, s[28:31], 16 offen
	;;#ASMSTART
	s_nop 0
	;;#ASMEND
.LBB798_21:
	s_or_b64 exec, exec, s[2:3]
	s_cbranch_execnz .LBB798_16
.LBB798_22:
	s_and_saveexec_b64 s[2:3], s[0:1]
	s_cbranch_execz .LBB798_24
; %bb.23:
	s_load_dwordx2 s[0:1], s[4:5], 0x10
	s_mul_hi_i32 s23, s24, s6
	s_mul_i32 s22, s24, s6
	s_lshl_b64 s[22:23], s[22:23], 1
	s_mov_b32 s7, 0x7060302
	s_waitcnt lgkmcnt(0)
	s_add_u32 s28, s0, s22
	s_addc_u32 s0, s1, s23
	v_perm_b32 v7, v37, v36, s7
	v_perm_b32 v6, v55, v54, s7
	;; [unrolled: 1-line block ×4, first 2 shown]
	s_and_b32 s29, s0, 0xffff
	s_mov_b32 s31, 0x20000
	v_lshlrev_b32_e32 v8, 5, v0
	buffer_store_dwordx4 v[4:7], v8, s[28:31], 0 offen
	v_perm_b32 v3, v49, v48, s7
	v_perm_b32 v5, v89, v88, s7
	;; [unrolled: 1-line block ×4, first 2 shown]
	;;#ASMSTART
	s_nop 0
	;;#ASMEND
	buffer_store_dwordx4 v[2:5], v8, s[28:31], 16 offen
	;;#ASMSTART
	s_nop 0
	;;#ASMEND
.LBB798_24:
	s_or_b64 exec, exec, s[2:3]
	s_cmp_lt_i32 s16, 1
	s_cbranch_scc1 .LBB798_17
.LBB798_25:
	s_load_dword s0, s[4:5], 0x94
	s_waitcnt lgkmcnt(0)
	s_cmp_lg_u32 s0, 1
	s_cbranch_scc1 .LBB798_17
; %bb.26:
	s_lshl_b32 s0, s16, 1
	s_add_i32 s0, s0, 2
	v_cmp_gt_u32_e32 vcc, s16, v1
	s_and_b32 s22, s0, -4
	v_mov_b32_e32 v18, 0
	v_lshlrev_b32_e32 v1, 5, v0
	v_mov_b32_e32 v14, 0
	v_mov_b32_e32 v15, 0
	;; [unrolled: 1-line block ×16, first 2 shown]
	s_barrier
	s_and_saveexec_b64 s[0:1], vcc
	s_cbranch_execz .LBB798_28
; %bb.27:
	s_mul_hi_i32 s3, s18, s6
	s_mul_i32 s2, s18, s6
	s_and_b32 s21, s21, 0xffff
	s_lshl_b64 s[2:3], s[2:3], 1
	s_add_u32 s28, s10, s2
	s_mov_b32 s23, 0x20000
	s_addc_u32 s2, s11, s3
	s_and_b32 s29, s2, 0xffff
	s_mov_b32 s30, s22
	s_mov_b32 s31, s23
	buffer_load_dwordx4 v[14:17], v1, s[28:31], 0 offen
	buffer_load_dwordx4 v[10:13], v1, s[28:31], 16 offen
	;; [unrolled: 1-line block ×4, first 2 shown]
.LBB798_28:
	s_or_b64 exec, exec, s[0:1]
	v_mov_b32_e32 v19, 0
	v_mov_b32_e32 v32, 0
	;; [unrolled: 1-line block ×15, first 2 shown]
	s_and_saveexec_b64 s[0:1], vcc
	s_cbranch_execz .LBB798_30
; %bb.29:
	s_waitcnt vmcnt(3)
	v_cvt_f32_u32_sdwa v18, v14 dst_sel:DWORD dst_unused:UNUSED_PAD src0_sel:WORD_0
	v_cvt_f32_u32_sdwa v19, v14 dst_sel:DWORD dst_unused:UNUSED_PAD src0_sel:WORD_1
	v_cvt_f32_u32_sdwa v32, v15 dst_sel:DWORD dst_unused:UNUSED_PAD src0_sel:WORD_0
	v_cvt_f32_u32_sdwa v33, v15 dst_sel:DWORD dst_unused:UNUSED_PAD src0_sel:WORD_1
	v_cvt_f32_u32_sdwa v30, v16 dst_sel:DWORD dst_unused:UNUSED_PAD src0_sel:WORD_0
	v_cvt_f32_u32_sdwa v31, v16 dst_sel:DWORD dst_unused:UNUSED_PAD src0_sel:WORD_1
	v_cvt_f32_u32_sdwa v28, v17 dst_sel:DWORD dst_unused:UNUSED_PAD src0_sel:WORD_0
	v_cvt_f32_u32_sdwa v29, v17 dst_sel:DWORD dst_unused:UNUSED_PAD src0_sel:WORD_1
	s_waitcnt vmcnt(2)
	v_cvt_f32_u32_sdwa v26, v10 dst_sel:DWORD dst_unused:UNUSED_PAD src0_sel:WORD_0
	v_cvt_f32_u32_sdwa v27, v10 dst_sel:DWORD dst_unused:UNUSED_PAD src0_sel:WORD_1
	v_cvt_f32_u32_sdwa v24, v11 dst_sel:DWORD dst_unused:UNUSED_PAD src0_sel:WORD_0
	v_cvt_f32_u32_sdwa v25, v11 dst_sel:DWORD dst_unused:UNUSED_PAD src0_sel:WORD_1
	;; [unrolled: 2-line block ×4, first 2 shown]
.LBB798_30:
	s_or_b64 exec, exec, s[0:1]
	s_waitcnt vmcnt(2)
	v_mul_f32_e32 v10, v19, v19
	v_fmac_f32_e32 v10, v18, v18
	v_fmac_f32_e32 v10, v32, v32
	;; [unrolled: 1-line block ×15, first 2 shown]
	s_nop 1
	v_mov_b32_dpp v11, v10 quad_perm:[1,0,3,2] row_mask:0xf bank_mask:0xf
	v_add_f32_e32 v10, v10, v11
	s_nop 1
	v_mov_b32_dpp v11, v10 quad_perm:[2,3,0,1] row_mask:0xf bank_mask:0xf
	v_add_f32_e32 v10, v10, v11
	s_nop 1
	v_mov_b32_dpp v11, v10 row_half_mirror row_mask:0xf bank_mask:0xf
	v_add_f32_e32 v10, v10, v11
	s_nop 1
	v_mov_b32_dpp v11, v10 row_mirror row_mask:0xf bank_mask:0xf
	v_add_f32_e32 v10, v10, v11
	s_nop 1
	v_mov_b32_dpp v11, v10 row_bcast:15 row_mask:0xf bank_mask:0xf
	v_add_f32_e32 v10, v10, v11
	s_nop 1
	v_mov_b32_dpp v11, v10 row_bcast:31 row_mask:0xf bank_mask:0xf
	s_and_saveexec_b64 s[0:1], s[8:9]
	s_cbranch_execz .LBB798_32
; %bb.31:
	v_lshrrev_b32_e32 v0, 4, v0
	v_add_f32_e32 v10, v10, v11
	v_and_b32_e32 v0, 60, v0
	ds_write_b32 v0, v10
.LBB798_32:
	s_or_b64 exec, exec, s[0:1]
	s_waitcnt lgkmcnt(0)
	s_barrier
	ds_read_b32 v0, v34
	s_waitcnt lgkmcnt(0)
	s_nop 0
	v_mov_b32_dpp v10, v0 quad_perm:[1,0,3,2] row_mask:0xf bank_mask:0xf
	v_add_f32_e32 v0, v0, v10
	s_nop 1
	v_mov_b32_dpp v10, v0 quad_perm:[2,3,0,1] row_mask:0xf bank_mask:0xf
	s_and_saveexec_b64 s[0:1], vcc
	s_cbranch_execz .LBB798_17
; %bb.33:
	v_cvt_f32_u32_e32 v11, s16
	v_add_f32_e32 v0, v0, v10
	s_mov_b32 s23, 0x20000
	v_div_scale_f32 v10, s[0:1], v11, v11, v0
	v_rcp_f32_e32 v12, v10
	v_div_scale_f32 v13, vcc, v0, v11, v0
	s_mov_b32 s0, 0x800000
	v_fma_f32 v14, -v10, v12, 1.0
	v_fmac_f32_e32 v12, v14, v12
	v_mul_f32_e32 v14, v13, v12
	v_fma_f32 v15, -v10, v14, v13
	v_fmac_f32_e32 v14, v15, v12
	v_fma_f32 v10, -v10, v14, v13
	v_div_fmas_f32 v10, v10, v12, v14
	v_div_fixup_f32 v0, v10, v11, v0
	v_add_f32_e32 v0, s13, v0
	v_mul_f32_e32 v10, 0x4b800000, v0
	v_cmp_gt_f32_e32 vcc, s0, v0
	v_cndmask_b32_e32 v0, v0, v10, vcc
	v_rsq_f32_e32 v0, v0
	s_mul_hi_i32 s1, s25, s6
	s_mul_i32 s0, s25, s6
	s_lshl_b64 s[0:1], s[0:1], 1
	v_mul_f32_e32 v10, 0x45800000, v0
	v_cndmask_b32_e32 v10, v0, v10, vcc
	v_mov_b32_e32 v11, v10
	s_add_u32 s20, s14, s0
	;;#ASMSTART
	v_pk_mul_f32 v[12:13], v[18:19], v[10:11]
	;;#ASMEND
	;;#ASMSTART
	v_pk_mul_f32 v[14:15], v[32:33], v[10:11]
	;;#ASMEND
	;; [unrolled: 3-line block ×8, first 2 shown]
	s_waitcnt vmcnt(1)
	v_cvt_f32_u32_sdwa v21, v6 dst_sel:DWORD dst_unused:UNUSED_PAD src0_sel:WORD_1
	v_cvt_f32_u32_sdwa v20, v6 dst_sel:DWORD dst_unused:UNUSED_PAD src0_sel:WORD_0
	v_cvt_f32_u32_sdwa v29, v7 dst_sel:DWORD dst_unused:UNUSED_PAD src0_sel:WORD_1
	v_cvt_f32_u32_sdwa v28, v7 dst_sel:DWORD dst_unused:UNUSED_PAD src0_sel:WORD_0
	;; [unrolled: 2-line block ×3, first 2 shown]
	s_addc_u32 s0, s15, s1
	v_cvt_f32_u32_sdwa v31, v9 dst_sel:DWORD dst_unused:UNUSED_PAD src0_sel:WORD_1
	v_cvt_f32_u32_sdwa v30, v9 dst_sel:DWORD dst_unused:UNUSED_PAD src0_sel:WORD_0
	;;#ASMSTART
	v_pk_mul_f32 v[8:9], v[12:13], v[20:21]
	;;#ASMEND
	;;#ASMSTART
	v_pk_mul_f32 v[12:13], v[14:15], v[28:29]
	;;#ASMEND
	;; [unrolled: 3-line block ×4, first 2 shown]
	s_waitcnt vmcnt(0)
	v_cvt_f32_u32_sdwa v17, v2 dst_sel:DWORD dst_unused:UNUSED_PAD src0_sel:WORD_1
	v_cvt_f32_u32_sdwa v16, v2 dst_sel:DWORD dst_unused:UNUSED_PAD src0_sel:WORD_0
	v_cvt_f32_u32_sdwa v19, v3 dst_sel:DWORD dst_unused:UNUSED_PAD src0_sel:WORD_1
	v_cvt_f32_u32_sdwa v18, v3 dst_sel:DWORD dst_unused:UNUSED_PAD src0_sel:WORD_0
	;; [unrolled: 2-line block ×3, first 2 shown]
	s_and_b32 s21, s0, 0xffff
	s_mov_b32 s0, 0x7060302
	v_cvt_f32_u32_sdwa v21, v5 dst_sel:DWORD dst_unused:UNUSED_PAD src0_sel:WORD_1
	v_cvt_f32_u32_sdwa v20, v5 dst_sel:DWORD dst_unused:UNUSED_PAD src0_sel:WORD_0
	;;#ASMSTART
	v_pk_mul_f32 v[16:17], v[26:27], v[16:17]
	;;#ASMEND
	;;#ASMSTART
	v_pk_mul_f32 v[18:19], v[24:25], v[18:19]
	;;#ASMEND
	;; [unrolled: 3-line block ×3, first 2 shown]
	v_perm_b32 v2, v9, v8, s0
	v_perm_b32 v3, v13, v12, s0
	;; [unrolled: 1-line block ×4, first 2 shown]
	;;#ASMSTART
	v_pk_mul_f32 v[10:11], v[10:11], v[20:21]
	;;#ASMEND
	buffer_store_dwordx4 v[2:5], v1, s[20:23], 0 offen
	;;#ASMSTART
	s_nop 0
	;;#ASMEND
	s_nop 0
	v_perm_b32 v2, v17, v16, s0
	v_perm_b32 v3, v19, v18, s0
	v_perm_b32 v4, v23, v22, s0
	v_perm_b32 v5, v11, v10, s0
	buffer_store_dwordx4 v[2:5], v1, s[20:23], 16 offen
	;;#ASMSTART
	s_nop 0
	;;#ASMEND
	s_endpgm
	.section	.rodata,"a",@progbits
	.p2align	6, 0x0
	.amdhsa_kernel _ZN5aiter35fused_qk_rmsnorm_group_quant_kernelItDB8_Li256ELi16ELi4ELb1ELb1ELb0ELb1ELb0ELb0EEEvPT0_PvPT_S6_S6_PKS5_S8_S8_S8_S8_ffiiiiiiiiiiiii
		.amdhsa_group_segment_fixed_size 32
		.amdhsa_private_segment_fixed_size 0
		.amdhsa_kernarg_size 400
		.amdhsa_user_sgpr_count 6
		.amdhsa_user_sgpr_private_segment_buffer 1
		.amdhsa_user_sgpr_dispatch_ptr 0
		.amdhsa_user_sgpr_queue_ptr 0
		.amdhsa_user_sgpr_kernarg_segment_ptr 1
		.amdhsa_user_sgpr_dispatch_id 0
		.amdhsa_user_sgpr_flat_scratch_init 0
		.amdhsa_user_sgpr_kernarg_preload_length 0
		.amdhsa_user_sgpr_kernarg_preload_offset 0
		.amdhsa_user_sgpr_private_segment_size 0
		.amdhsa_uses_dynamic_stack 0
		.amdhsa_system_sgpr_private_segment_wavefront_offset 0
		.amdhsa_system_sgpr_workgroup_id_x 1
		.amdhsa_system_sgpr_workgroup_id_y 1
		.amdhsa_system_sgpr_workgroup_id_z 0
		.amdhsa_system_sgpr_workgroup_info 0
		.amdhsa_system_vgpr_workitem_id 0
		.amdhsa_next_free_vgpr 90
		.amdhsa_next_free_sgpr 32
		.amdhsa_accum_offset 92
		.amdhsa_reserve_vcc 1
		.amdhsa_reserve_flat_scratch 0
		.amdhsa_float_round_mode_32 0
		.amdhsa_float_round_mode_16_64 0
		.amdhsa_float_denorm_mode_32 3
		.amdhsa_float_denorm_mode_16_64 3
		.amdhsa_dx10_clamp 1
		.amdhsa_ieee_mode 1
		.amdhsa_fp16_overflow 0
		.amdhsa_tg_split 0
		.amdhsa_exception_fp_ieee_invalid_op 0
		.amdhsa_exception_fp_denorm_src 0
		.amdhsa_exception_fp_ieee_div_zero 0
		.amdhsa_exception_fp_ieee_overflow 0
		.amdhsa_exception_fp_ieee_underflow 0
		.amdhsa_exception_fp_ieee_inexact 0
		.amdhsa_exception_int_div_zero 0
	.end_amdhsa_kernel
	.section	.text._ZN5aiter35fused_qk_rmsnorm_group_quant_kernelItDB8_Li256ELi16ELi4ELb1ELb1ELb0ELb1ELb0ELb0EEEvPT0_PvPT_S6_S6_PKS5_S8_S8_S8_S8_ffiiiiiiiiiiiii,"axG",@progbits,_ZN5aiter35fused_qk_rmsnorm_group_quant_kernelItDB8_Li256ELi16ELi4ELb1ELb1ELb0ELb1ELb0ELb0EEEvPT0_PvPT_S6_S6_PKS5_S8_S8_S8_S8_ffiiiiiiiiiiiii,comdat
.Lfunc_end798:
	.size	_ZN5aiter35fused_qk_rmsnorm_group_quant_kernelItDB8_Li256ELi16ELi4ELb1ELb1ELb0ELb1ELb0ELb0EEEvPT0_PvPT_S6_S6_PKS5_S8_S8_S8_S8_ffiiiiiiiiiiiii, .Lfunc_end798-_ZN5aiter35fused_qk_rmsnorm_group_quant_kernelItDB8_Li256ELi16ELi4ELb1ELb1ELb0ELb1ELb0ELb0EEEvPT0_PvPT_S6_S6_PKS5_S8_S8_S8_S8_ffiiiiiiiiiiiii
                                        ; -- End function
	.section	.AMDGPU.csdata,"",@progbits
; Kernel info:
; codeLenInByte = 3440
; NumSgprs: 36
; NumVgprs: 90
; NumAgprs: 0
; TotalNumVgprs: 90
; ScratchSize: 0
; MemoryBound: 0
; FloatMode: 240
; IeeeMode: 1
; LDSByteSize: 32 bytes/workgroup (compile time only)
; SGPRBlocks: 4
; VGPRBlocks: 11
; NumSGPRsForWavesPerEU: 36
; NumVGPRsForWavesPerEU: 90
; AccumOffset: 92
; Occupancy: 5
; WaveLimiterHint : 0
; COMPUTE_PGM_RSRC2:SCRATCH_EN: 0
; COMPUTE_PGM_RSRC2:USER_SGPR: 6
; COMPUTE_PGM_RSRC2:TRAP_HANDLER: 0
; COMPUTE_PGM_RSRC2:TGID_X_EN: 1
; COMPUTE_PGM_RSRC2:TGID_Y_EN: 1
; COMPUTE_PGM_RSRC2:TGID_Z_EN: 0
; COMPUTE_PGM_RSRC2:TIDIG_COMP_CNT: 0
; COMPUTE_PGM_RSRC3_GFX90A:ACCUM_OFFSET: 22
; COMPUTE_PGM_RSRC3_GFX90A:TG_SPLIT: 0
	.section	.text._ZN5aiter35fused_qk_rmsnorm_group_quant_kernelIDF16_N4opus5fp4_tELi256ELi16ELi4ELb1ELb1ELb0ELb1ELb0ELb0EEEvPT0_PvPT_S7_S7_PKS6_S9_S9_S9_S9_ffiiiiiiiiiiiii,"axG",@progbits,_ZN5aiter35fused_qk_rmsnorm_group_quant_kernelIDF16_N4opus5fp4_tELi256ELi16ELi4ELb1ELb1ELb0ELb1ELb0ELb0EEEvPT0_PvPT_S7_S7_PKS6_S9_S9_S9_S9_ffiiiiiiiiiiiii,comdat
	.protected	_ZN5aiter35fused_qk_rmsnorm_group_quant_kernelIDF16_N4opus5fp4_tELi256ELi16ELi4ELb1ELb1ELb0ELb1ELb0ELb0EEEvPT0_PvPT_S7_S7_PKS6_S9_S9_S9_S9_ffiiiiiiiiiiiii ; -- Begin function _ZN5aiter35fused_qk_rmsnorm_group_quant_kernelIDF16_N4opus5fp4_tELi256ELi16ELi4ELb1ELb1ELb0ELb1ELb0ELb0EEEvPT0_PvPT_S7_S7_PKS6_S9_S9_S9_S9_ffiiiiiiiiiiiii
	.globl	_ZN5aiter35fused_qk_rmsnorm_group_quant_kernelIDF16_N4opus5fp4_tELi256ELi16ELi4ELb1ELb1ELb0ELb1ELb0ELb0EEEvPT0_PvPT_S7_S7_PKS6_S9_S9_S9_S9_ffiiiiiiiiiiiii
	.p2align	8
	.type	_ZN5aiter35fused_qk_rmsnorm_group_quant_kernelIDF16_N4opus5fp4_tELi256ELi16ELi4ELb1ELb1ELb0ELb1ELb0ELb0EEEvPT0_PvPT_S7_S7_PKS6_S9_S9_S9_S9_ffiiiiiiiiiiiii,@function
_ZN5aiter35fused_qk_rmsnorm_group_quant_kernelIDF16_N4opus5fp4_tELi256ELi16ELi4ELb1ELb1ELb0ELb1ELb0ELb0EEEvPT0_PvPT_S7_S7_PKS6_S9_S9_S9_S9_ffiiiiiiiiiiiii: ; @_ZN5aiter35fused_qk_rmsnorm_group_quant_kernelIDF16_N4opus5fp4_tELi256ELi16ELi4ELb1ELb1ELb0ELb1ELb0ELb0EEEvPT0_PvPT_S7_S7_PKS6_S9_S9_S9_S9_ffiiiiiiiiiiiii
; %bb.0:
	s_load_dwordx8 s[12:19], s[4:5], 0x50
	s_waitcnt lgkmcnt(0)
	s_cmp_ge_i32 s6, s14
	s_cbranch_scc1 .LBB799_17
; %bb.1:
	s_cmp_lg_u32 s7, 0
	s_cselect_b64 s[22:23], -1, 0
	s_cmp_eq_u32 s7, 0
	s_cselect_b64 s[2:3], -1, 0
	s_and_b64 s[0:1], s[2:3], exec
	s_cselect_b32 s7, s15, s16
	s_load_dwordx2 s[10:11], s[4:5], 0x30
	s_load_dwordx2 s[20:21], s[4:5], 0x48
	s_add_i32 s0, s7, 1
	s_lshr_b32 s1, s0, 31
	s_add_i32 s0, s0, s1
	s_lshl_b32 s0, s0, 1
	v_lshlrev_b32_e32 v1, 4, v0
	s_and_b32 s30, s0, -4
	v_cmp_gt_i32_e64 s[0:1], s7, v1
	v_mov_b32_e32 v6, 0
	v_mov_b32_e32 v7, 0
	v_mov_b32_e32 v8, 0
	v_mov_b32_e32 v9, 0
	v_mov_b32_e32 v2, 0
	v_mov_b32_e32 v3, 0
	v_mov_b32_e32 v4, 0
	v_mov_b32_e32 v5, 0
	v_mov_b32_e32 v10, 0
	v_mov_b32_e32 v11, 0
	v_mov_b32_e32 v12, 0
	v_mov_b32_e32 v13, 0
	v_mov_b32_e32 v14, 0
	v_mov_b32_e32 v15, 0
	v_mov_b32_e32 v16, 0
	v_mov_b32_e32 v17, 0
	s_and_saveexec_b64 s[8:9], s[0:1]
	s_cbranch_execz .LBB799_3
; %bb.2:
	s_load_dwordx2 s[14:15], s[4:5], 0x28
	s_load_dwordx2 s[26:27], s[4:5], 0x40
	s_and_b64 s[24:25], s[2:3], exec
	s_cselect_b32 s17, s17, s18
	s_mov_b32 s31, 0x20000
	s_waitcnt lgkmcnt(0)
	s_cselect_b32 s25, s15, s11
	s_cselect_b32 s24, s14, s10
	s_mul_hi_i32 s15, s17, s6
	s_mul_i32 s14, s17, s6
	s_lshl_b64 s[14:15], s[14:15], 1
	s_add_u32 s24, s24, s14
	s_addc_u32 s17, s25, s15
	s_and_b64 s[14:15], s[2:3], exec
	s_cselect_b32 s28, s26, s20
	s_cselect_b32 s14, s27, s21
	s_and_b32 s25, s17, 0xffff
	s_mov_b32 s26, s30
	s_mov_b32 s27, s31
	v_lshlrev_b32_e32 v18, 5, v0
	s_and_b32 s29, s14, 0xffff
	buffer_load_dwordx4 v[10:13], v18, s[24:27], 0 offen
	buffer_load_dwordx4 v[14:17], v18, s[24:27], 16 offen
	;; [unrolled: 1-line block ×4, first 2 shown]
.LBB799_3:
	s_or_b64 exec, exec, s[8:9]
	s_load_dwordx4 s[24:27], s[4:5], 0x7c
	s_and_b64 vcc, exec, s[22:23]
	s_cbranch_vccz .LBB799_7
; %bb.4:
	v_mov_b32_e32 v19, 0
	v_mov_b32_e32 v18, 0
	;; [unrolled: 1-line block ×16, first 2 shown]
	s_and_saveexec_b64 s[8:9], s[0:1]
	s_cbranch_execz .LBB799_6
; %bb.5:
	s_waitcnt vmcnt(3)
	v_cvt_f32_f16_sdwa v33, v10 dst_sel:DWORD dst_unused:UNUSED_PAD src0_sel:WORD_1
	v_cvt_f32_f16_e32 v32, v10
	v_cvt_f32_f16_sdwa v31, v11 dst_sel:DWORD dst_unused:UNUSED_PAD src0_sel:WORD_1
	v_cvt_f32_f16_e32 v30, v11
	;; [unrolled: 2-line block ×4, first 2 shown]
	s_waitcnt vmcnt(2)
	v_cvt_f32_f16_sdwa v25, v14 dst_sel:DWORD dst_unused:UNUSED_PAD src0_sel:WORD_1
	v_cvt_f32_f16_e32 v24, v14
	v_cvt_f32_f16_sdwa v23, v15 dst_sel:DWORD dst_unused:UNUSED_PAD src0_sel:WORD_1
	v_cvt_f32_f16_e32 v22, v15
	;; [unrolled: 2-line block ×4, first 2 shown]
.LBB799_6:
	s_or_b64 exec, exec, s[8:9]
	s_cbranch_execz .LBB799_8
	s_branch .LBB799_11
.LBB799_7:
                                        ; implicit-def: $vgpr19
                                        ; implicit-def: $vgpr21
                                        ; implicit-def: $vgpr23
                                        ; implicit-def: $vgpr25
                                        ; implicit-def: $vgpr29
                                        ; implicit-def: $vgpr27
                                        ; implicit-def: $vgpr31
                                        ; implicit-def: $vgpr33
.LBB799_8:
	v_mov_b32_e32 v19, 0
	v_mov_b32_e32 v18, 0
	;; [unrolled: 1-line block ×16, first 2 shown]
	s_and_saveexec_b64 s[8:9], s[0:1]
	s_cbranch_execz .LBB799_10
; %bb.9:
	s_load_dwordx2 s[14:15], s[4:5], 0x38
	s_mul_hi_i32 s29, s19, s6
	s_mul_i32 s28, s19, s6
	s_lshl_b64 s[28:29], s[28:29], 1
	s_mov_b32 s31, 0x20000
	s_waitcnt lgkmcnt(0)
	s_add_u32 s28, s14, s28
	s_addc_u32 s14, s15, s29
	s_and_b32 s29, s14, 0xffff
	v_lshlrev_b32_e32 v48, 5, v0
	buffer_load_dwordx4 v[18:21], v48, s[28:31], 16 offen
	buffer_load_dwordx4 v[22:25], v48, s[28:31], 0 offen
	s_waitcnt vmcnt(4)
	v_cvt_f32_f16_sdwa v27, v14 dst_sel:DWORD dst_unused:UNUSED_PAD src0_sel:WORD_1
	v_cvt_f32_f16_e32 v26, v14
	v_cvt_f32_f16_sdwa v29, v15 dst_sel:DWORD dst_unused:UNUSED_PAD src0_sel:WORD_1
	v_cvt_f32_f16_e32 v28, v15
	;; [unrolled: 2-line block ×8, first 2 shown]
	s_load_dwordx2 s[14:15], s[4:5], 0x20
	s_mul_hi_i32 s27, s26, s6
	s_mul_i32 s26, s26, s6
	s_lshl_b64 s[26:27], s[26:27], 1
	s_waitcnt lgkmcnt(0)
	s_add_u32 s28, s14, s26
	s_addc_u32 s14, s15, s27
	s_and_b32 s29, s14, 0xffff
	s_waitcnt vmcnt(1)
	v_cvt_f32_f16_e32 v12, v18
	v_cvt_f32_f16_sdwa v13, v18 dst_sel:DWORD dst_unused:UNUSED_PAD src0_sel:WORD_1
	v_cvt_f32_f16_e32 v18, v19
	v_cvt_f32_f16_sdwa v19, v19 dst_sel:DWORD dst_unused:UNUSED_PAD src0_sel:WORD_1
	;; [unrolled: 2-line block ×4, first 2 shown]
	s_waitcnt vmcnt(0)
	v_cvt_f32_f16_e32 v40, v22
	v_cvt_f32_f16_sdwa v41, v22 dst_sel:DWORD dst_unused:UNUSED_PAD src0_sel:WORD_1
	v_cvt_f32_f16_e32 v42, v23
	v_cvt_f32_f16_sdwa v43, v23 dst_sel:DWORD dst_unused:UNUSED_PAD src0_sel:WORD_1
	;; [unrolled: 2-line block ×4, first 2 shown]
	v_pk_add_f32 v[24:25], v[26:27], v[12:13]
	v_pk_add_f32 v[22:23], v[28:29], v[18:19]
	;; [unrolled: 1-line block ×8, first 2 shown]
	v_cvt_f16_f32_e32 v10, v33
	v_cvt_f16_f32_e32 v14, v32
	;; [unrolled: 1-line block ×16, first 2 shown]
	v_pack_b32_f16 v13, v17, v13
	v_pack_b32_f16 v12, v16, v12
	;; [unrolled: 1-line block ×8, first 2 shown]
	buffer_store_dwordx4 v[10:13], v48, s[28:31], 0 offen
	;;#ASMSTART
	s_nop 0
	;;#ASMEND
	buffer_store_dwordx4 v[14:17], v48, s[28:31], 16 offen
	;;#ASMSTART
	s_nop 0
	;;#ASMEND
.LBB799_10:
	s_or_b64 exec, exec, s[8:9]
.LBB799_11:
	s_waitcnt vmcnt(3)
	v_mul_f32_e32 v10, v33, v33
	v_fmac_f32_e32 v10, v32, v32
	v_fmac_f32_e32 v10, v30, v30
	v_fmac_f32_e32 v10, v31, v31
	v_fmac_f32_e32 v10, v26, v26
	v_fmac_f32_e32 v10, v27, v27
	v_fmac_f32_e32 v10, v28, v28
	v_fmac_f32_e32 v10, v29, v29
	v_fmac_f32_e32 v10, v24, v24
	v_fmac_f32_e32 v10, v25, v25
	v_fmac_f32_e32 v10, v22, v22
	v_fmac_f32_e32 v10, v23, v23
	v_fmac_f32_e32 v10, v20, v20
	v_fmac_f32_e32 v10, v21, v21
	v_fmac_f32_e32 v10, v18, v18
	v_fmac_f32_e32 v10, v19, v19
	v_and_b32_e32 v12, 63, v0
	v_cmp_eq_u32_e64 s[8:9], 63, v12
	v_mov_b32_dpp v11, v10 quad_perm:[1,0,3,2] row_mask:0xf bank_mask:0xf
	v_add_f32_e32 v10, v10, v11
	s_nop 1
	v_mov_b32_dpp v11, v10 quad_perm:[2,3,0,1] row_mask:0xf bank_mask:0xf
	v_add_f32_e32 v10, v10, v11
	s_nop 1
	v_mov_b32_dpp v11, v10 row_half_mirror row_mask:0xf bank_mask:0xf
	v_add_f32_e32 v10, v10, v11
	s_nop 1
	v_mov_b32_dpp v11, v10 row_mirror row_mask:0xf bank_mask:0xf
	v_add_f32_e32 v10, v10, v11
	s_nop 1
	v_mov_b32_dpp v11, v10 row_bcast:15 row_mask:0xf bank_mask:0xf
	v_add_f32_e32 v10, v10, v11
	s_nop 1
	v_mov_b32_dpp v11, v10 row_bcast:31 row_mask:0xf bank_mask:0xf
	s_and_saveexec_b64 s[14:15], s[8:9]
	s_cbranch_execz .LBB799_13
; %bb.12:
	v_add_f32_e32 v10, v10, v11
	v_lshrrev_b32_e32 v11, 4, v0
	v_and_b32_e32 v11, 60, v11
	ds_write_b32 v11, v10 offset:16
.LBB799_13:
	s_or_b64 exec, exec, s[14:15]
	v_and_b32_e32 v10, 3, v0
	v_lshlrev_b32_e32 v34, 2, v10
	s_waitcnt lgkmcnt(0)
	s_barrier
	ds_read_b32 v10, v34 offset:16
	s_load_dwordx2 s[14:15], s[4:5], 0x18
	s_waitcnt lgkmcnt(0)
	v_mov_b32_dpp v11, v10 quad_perm:[1,0,3,2] row_mask:0xf bank_mask:0xf
	v_add_f32_e32 v10, v10, v11
	s_nop 1
	v_mov_b32_dpp v11, v10 quad_perm:[2,3,0,1] row_mask:0xf bank_mask:0xf
	s_and_saveexec_b64 s[26:27], s[0:1]
	s_cbranch_execnz .LBB799_18
; %bb.14:
	s_or_b64 exec, exec, s[26:27]
	s_mov_b64 s[2:3], -1
	s_and_b64 vcc, exec, s[22:23]
	s_cbranch_vccnz .LBB799_19
.LBB799_15:
	s_andn2_b64 vcc, exec, s[2:3]
	s_cbranch_vccz .LBB799_22
.LBB799_16:
	s_cmp_lt_i32 s16, 1
	s_cbranch_scc0 .LBB799_25
.LBB799_17:
	s_endpgm
.LBB799_18:
	v_cvt_f32_u32_e32 v12, s7
	v_add_f32_e32 v10, v10, v11
	s_waitcnt vmcnt(2)
	v_mov_b32_e32 v14, s13
	v_mov_b32_e32 v15, s12
	v_div_scale_f32 v11, s[28:29], v12, v12, v10
	v_rcp_f32_e32 v13, v11
	v_cndmask_b32_e64 v14, v14, v15, s[2:3]
	s_mov_b32 s2, 0x800000
	s_waitcnt vmcnt(1)
	v_cvt_f32_f16_sdwa v37, v9 dst_sel:DWORD dst_unused:UNUSED_PAD src0_sel:WORD_1
	v_fma_f32 v15, -v11, v13, 1.0
	v_fmac_f32_e32 v13, v15, v13
	v_div_scale_f32 v15, vcc, v10, v12, v10
	v_mul_f32_e32 v16, v15, v13
	v_fma_f32 v17, -v11, v16, v15
	v_fmac_f32_e32 v16, v17, v13
	v_fma_f32 v11, -v11, v16, v15
	v_div_fmas_f32 v11, v11, v13, v16
	v_div_fixup_f32 v10, v11, v12, v10
	v_add_f32_e32 v10, v14, v10
	v_mul_f32_e32 v11, 0x4b800000, v10
	v_cmp_gt_f32_e32 vcc, s2, v10
	v_cndmask_b32_e32 v10, v10, v11, vcc
	v_rsq_f32_e32 v10, v10
	v_cvt_f32_f16_e32 v36, v9
	s_waitcnt vmcnt(0)
	v_cvt_f32_f16_sdwa v9, v3 dst_sel:DWORD dst_unused:UNUSED_PAD src0_sel:WORD_1
	v_mul_f32_e32 v11, 0x45800000, v10
	v_cndmask_b32_e32 v10, v10, v11, vcc
	v_mov_b32_e32 v11, v10
	;;#ASMSTART
	v_pk_mul_f32 v[12:13], v[32:33], v[10:11]
	;;#ASMEND
	;;#ASMSTART
	v_pk_mul_f32 v[14:15], v[30:31], v[10:11]
	;;#ASMEND
	;; [unrolled: 3-line block ×8, first 2 shown]
	v_cvt_f32_f16_sdwa v19, v6 dst_sel:DWORD dst_unused:UNUSED_PAD src0_sel:WORD_1
	v_cvt_f32_f16_e32 v18, v6
	v_cvt_f32_f16_sdwa v27, v7 dst_sel:DWORD dst_unused:UNUSED_PAD src0_sel:WORD_1
	v_cvt_f32_f16_e32 v26, v7
	;; [unrolled: 2-line block ×3, first 2 shown]
	;;#ASMSTART
	v_pk_mul_f32 v[32:33], v[12:13], v[18:19]
	;;#ASMEND
	;;#ASMSTART
	v_pk_mul_f32 v[30:31], v[14:15], v[26:27]
	;;#ASMEND
	;; [unrolled: 3-line block ×4, first 2 shown]
	v_cvt_f32_f16_sdwa v7, v2 dst_sel:DWORD dst_unused:UNUSED_PAD src0_sel:WORD_1
	v_cvt_f32_f16_e32 v6, v2
	v_cvt_f32_f16_e32 v8, v3
	v_cvt_f32_f16_sdwa v3, v4 dst_sel:DWORD dst_unused:UNUSED_PAD src0_sel:WORD_1
	v_cvt_f32_f16_e32 v2, v4
	v_cvt_f32_f16_sdwa v13, v5 dst_sel:DWORD dst_unused:UNUSED_PAD src0_sel:WORD_1
	v_cvt_f32_f16_e32 v12, v5
	;;#ASMSTART
	v_pk_mul_f32 v[24:25], v[24:25], v[6:7]
	;;#ASMEND
	;;#ASMSTART
	v_pk_mul_f32 v[22:23], v[22:23], v[8:9]
	;;#ASMEND
	;; [unrolled: 3-line block ×4, first 2 shown]
	s_or_b64 exec, exec, s[26:27]
	s_mov_b64 s[2:3], -1
	s_and_b64 vcc, exec, s[22:23]
	s_cbranch_vccz .LBB799_15
.LBB799_19:
	s_and_saveexec_b64 s[2:3], s[0:1]
	s_cbranch_execz .LBB799_21
; %bb.20:
	s_mul_hi_i32 s23, s25, s6
	s_mul_i32 s22, s25, s6
	s_waitcnt vmcnt(0)
	v_cvt_f16_f32_e32 v2, v32
	v_cvt_f16_f32_e32 v3, v30
	v_cvt_f16_f32_e32 v4, v26
	v_cvt_f16_f32_e32 v5, v28
	v_cvt_f16_f32_e32 v6, v29
	v_cvt_f16_f32_e32 v7, v27
	v_cvt_f16_f32_e32 v8, v31
	v_cvt_f16_f32_e32 v9, v33
	s_lshl_b64 s[22:23], s[22:23], 1
	s_add_u32 s28, s14, s22
	s_addc_u32 s7, s15, s23
	s_and_b32 s29, s7, 0xffff
	s_mov_b32 s31, 0x20000
	v_pack_b32_f16 v5, v5, v6
	v_pack_b32_f16 v4, v4, v7
	v_pack_b32_f16 v3, v3, v8
	v_pack_b32_f16 v2, v2, v9
	v_lshlrev_b32_e32 v6, 5, v0
	buffer_store_dwordx4 v[2:5], v6, s[28:31], 0 offen
	v_cvt_f16_f32_e32 v7, v19
	v_cvt_f16_f32_e32 v2, v24
	;; [unrolled: 1-line block ×8, first 2 shown]
	v_pack_b32_f16 v5, v5, v7
	v_pack_b32_f16 v4, v4, v8
	;; [unrolled: 1-line block ×4, first 2 shown]
	;;#ASMSTART
	s_nop 0
	;;#ASMEND
	buffer_store_dwordx4 v[2:5], v6, s[28:31], 16 offen
	;;#ASMSTART
	s_nop 0
	;;#ASMEND
.LBB799_21:
	s_or_b64 exec, exec, s[2:3]
	s_cbranch_execnz .LBB799_16
.LBB799_22:
	s_and_saveexec_b64 s[2:3], s[0:1]
	s_cbranch_execz .LBB799_24
; %bb.23:
	s_load_dwordx2 s[0:1], s[4:5], 0x10
	s_mul_hi_i32 s23, s24, s6
	s_mul_i32 s22, s24, s6
	s_waitcnt vmcnt(0)
	v_cvt_f16_f32_e32 v2, v32
	v_cvt_f16_f32_e32 v3, v30
	;; [unrolled: 1-line block ×8, first 2 shown]
	s_lshl_b64 s[22:23], s[22:23], 1
	s_waitcnt lgkmcnt(0)
	s_add_u32 s28, s0, s22
	s_addc_u32 s0, s1, s23
	s_mov_b32 s31, 0x20000
	s_and_b32 s29, s0, 0xffff
	v_pack_b32_f16 v5, v5, v6
	v_pack_b32_f16 v4, v4, v7
	;; [unrolled: 1-line block ×4, first 2 shown]
	v_lshlrev_b32_e32 v6, 5, v0
	buffer_store_dwordx4 v[2:5], v6, s[28:31], 0 offen
	v_cvt_f16_f32_e32 v7, v19
	v_cvt_f16_f32_e32 v2, v24
	;; [unrolled: 1-line block ×8, first 2 shown]
	v_pack_b32_f16 v5, v5, v7
	v_pack_b32_f16 v4, v4, v8
	;; [unrolled: 1-line block ×4, first 2 shown]
	;;#ASMSTART
	s_nop 0
	;;#ASMEND
	buffer_store_dwordx4 v[2:5], v6, s[28:31], 16 offen
	;;#ASMSTART
	s_nop 0
	;;#ASMEND
.LBB799_24:
	s_or_b64 exec, exec, s[2:3]
	s_cmp_lt_i32 s16, 1
	s_cbranch_scc1 .LBB799_17
.LBB799_25:
	s_load_dword s0, s[4:5], 0x94
	s_waitcnt lgkmcnt(0)
	s_cmp_lg_u32 s0, 1
	s_cbranch_scc1 .LBB799_17
; %bb.26:
	s_lshl_b32 s0, s16, 1
	s_add_i32 s0, s0, 2
	v_cmp_gt_u32_e32 vcc, s16, v1
	s_and_b32 s22, s0, -4
	v_mov_b32_e32 v18, 0
	v_lshlrev_b32_e32 v1, 5, v0
	s_waitcnt vmcnt(2)
	v_mov_b32_e32 v14, 0
	v_mov_b32_e32 v15, 0
	v_mov_b32_e32 v16, 0
	v_mov_b32_e32 v17, 0
	v_mov_b32_e32 v10, 0
	v_mov_b32_e32 v11, 0
	v_mov_b32_e32 v12, 0
	v_mov_b32_e32 v13, 0
	s_waitcnt vmcnt(1)
	v_mov_b32_e32 v6, 0
	v_mov_b32_e32 v7, 0
	;; [unrolled: 1-line block ×4, first 2 shown]
	s_waitcnt vmcnt(0)
	v_mov_b32_e32 v2, 0
	v_mov_b32_e32 v3, 0
	;; [unrolled: 1-line block ×4, first 2 shown]
	s_barrier
	s_and_saveexec_b64 s[0:1], vcc
	s_cbranch_execz .LBB799_28
; %bb.27:
	s_mul_hi_i32 s3, s18, s6
	s_mul_i32 s2, s18, s6
	s_and_b32 s21, s21, 0xffff
	s_lshl_b64 s[2:3], s[2:3], 1
	s_add_u32 s28, s10, s2
	s_mov_b32 s23, 0x20000
	s_addc_u32 s2, s11, s3
	s_and_b32 s29, s2, 0xffff
	s_mov_b32 s30, s22
	s_mov_b32 s31, s23
	buffer_load_dwordx4 v[14:17], v1, s[28:31], 0 offen
	buffer_load_dwordx4 v[10:13], v1, s[28:31], 16 offen
	;; [unrolled: 1-line block ×4, first 2 shown]
.LBB799_28:
	s_or_b64 exec, exec, s[0:1]
	v_mov_b32_e32 v19, 0
	v_mov_b32_e32 v32, 0
	;; [unrolled: 1-line block ×15, first 2 shown]
	s_and_saveexec_b64 s[0:1], vcc
	s_cbranch_execz .LBB799_30
; %bb.29:
	s_waitcnt vmcnt(3)
	v_cvt_f32_f16_sdwa v19, v14 dst_sel:DWORD dst_unused:UNUSED_PAD src0_sel:WORD_1
	v_cvt_f32_f16_e32 v18, v14
	v_cvt_f32_f16_sdwa v33, v15 dst_sel:DWORD dst_unused:UNUSED_PAD src0_sel:WORD_1
	v_cvt_f32_f16_e32 v32, v15
	;; [unrolled: 2-line block ×4, first 2 shown]
	s_waitcnt vmcnt(2)
	v_cvt_f32_f16_sdwa v27, v10 dst_sel:DWORD dst_unused:UNUSED_PAD src0_sel:WORD_1
	v_cvt_f32_f16_e32 v26, v10
	v_cvt_f32_f16_sdwa v25, v11 dst_sel:DWORD dst_unused:UNUSED_PAD src0_sel:WORD_1
	v_cvt_f32_f16_e32 v24, v11
	;; [unrolled: 2-line block ×4, first 2 shown]
.LBB799_30:
	s_or_b64 exec, exec, s[0:1]
	s_waitcnt vmcnt(2)
	v_mul_f32_e32 v10, v19, v19
	v_fmac_f32_e32 v10, v18, v18
	v_fmac_f32_e32 v10, v32, v32
	;; [unrolled: 1-line block ×15, first 2 shown]
	s_nop 1
	v_mov_b32_dpp v11, v10 quad_perm:[1,0,3,2] row_mask:0xf bank_mask:0xf
	v_add_f32_e32 v10, v10, v11
	s_nop 1
	v_mov_b32_dpp v11, v10 quad_perm:[2,3,0,1] row_mask:0xf bank_mask:0xf
	v_add_f32_e32 v10, v10, v11
	s_nop 1
	v_mov_b32_dpp v11, v10 row_half_mirror row_mask:0xf bank_mask:0xf
	v_add_f32_e32 v10, v10, v11
	s_nop 1
	v_mov_b32_dpp v11, v10 row_mirror row_mask:0xf bank_mask:0xf
	v_add_f32_e32 v10, v10, v11
	s_nop 1
	v_mov_b32_dpp v11, v10 row_bcast:15 row_mask:0xf bank_mask:0xf
	v_add_f32_e32 v10, v10, v11
	s_nop 1
	v_mov_b32_dpp v11, v10 row_bcast:31 row_mask:0xf bank_mask:0xf
	s_and_saveexec_b64 s[0:1], s[8:9]
	s_cbranch_execz .LBB799_32
; %bb.31:
	v_lshrrev_b32_e32 v0, 4, v0
	v_add_f32_e32 v10, v10, v11
	v_and_b32_e32 v0, 60, v0
	ds_write_b32 v0, v10
.LBB799_32:
	s_or_b64 exec, exec, s[0:1]
	s_waitcnt lgkmcnt(0)
	s_barrier
	ds_read_b32 v0, v34
	s_waitcnt lgkmcnt(0)
	s_nop 0
	v_mov_b32_dpp v10, v0 quad_perm:[1,0,3,2] row_mask:0xf bank_mask:0xf
	v_add_f32_e32 v0, v0, v10
	s_nop 1
	v_mov_b32_dpp v10, v0 quad_perm:[2,3,0,1] row_mask:0xf bank_mask:0xf
	s_and_saveexec_b64 s[0:1], vcc
	s_cbranch_execz .LBB799_17
; %bb.33:
	v_cvt_f32_u32_e32 v11, s16
	v_add_f32_e32 v0, v0, v10
	s_mov_b32 s23, 0x20000
	v_div_scale_f32 v10, s[0:1], v11, v11, v0
	v_rcp_f32_e32 v12, v10
	v_div_scale_f32 v13, vcc, v0, v11, v0
	s_mov_b32 s0, 0x800000
	v_fma_f32 v14, -v10, v12, 1.0
	v_fmac_f32_e32 v12, v14, v12
	v_mul_f32_e32 v14, v13, v12
	v_fma_f32 v15, -v10, v14, v13
	v_fmac_f32_e32 v14, v15, v12
	v_fma_f32 v10, -v10, v14, v13
	v_div_fmas_f32 v10, v10, v12, v14
	v_div_fixup_f32 v0, v10, v11, v0
	v_add_f32_e32 v0, s13, v0
	v_mul_f32_e32 v10, 0x4b800000, v0
	v_cmp_gt_f32_e32 vcc, s0, v0
	v_cndmask_b32_e32 v0, v0, v10, vcc
	v_rsq_f32_e32 v0, v0
	s_mul_hi_i32 s1, s25, s6
	s_mul_i32 s0, s25, s6
	s_lshl_b64 s[0:1], s[0:1], 1
	v_mul_f32_e32 v10, 0x45800000, v0
	v_cndmask_b32_e32 v10, v0, v10, vcc
	v_mov_b32_e32 v11, v10
	;;#ASMSTART
	v_pk_mul_f32 v[12:13], v[18:19], v[10:11]
	;;#ASMEND
	;;#ASMSTART
	v_pk_mul_f32 v[14:15], v[32:33], v[10:11]
	;;#ASMEND
	;; [unrolled: 3-line block ×8, first 2 shown]
	s_waitcnt vmcnt(1)
	v_cvt_f32_f16_sdwa v21, v6 dst_sel:DWORD dst_unused:UNUSED_PAD src0_sel:WORD_1
	v_cvt_f32_f16_e32 v20, v6
	v_cvt_f32_f16_sdwa v29, v7 dst_sel:DWORD dst_unused:UNUSED_PAD src0_sel:WORD_1
	v_cvt_f32_f16_e32 v28, v7
	;; [unrolled: 2-line block ×4, first 2 shown]
	;;#ASMSTART
	v_pk_mul_f32 v[8:9], v[12:13], v[20:21]
	;;#ASMEND
	;;#ASMSTART
	v_pk_mul_f32 v[12:13], v[14:15], v[28:29]
	;;#ASMEND
	;; [unrolled: 3-line block ×4, first 2 shown]
	s_waitcnt vmcnt(0)
	v_cvt_f32_f16_sdwa v17, v2 dst_sel:DWORD dst_unused:UNUSED_PAD src0_sel:WORD_1
	v_cvt_f32_f16_e32 v16, v2
	v_cvt_f32_f16_sdwa v19, v3 dst_sel:DWORD dst_unused:UNUSED_PAD src0_sel:WORD_1
	v_cvt_f32_f16_e32 v18, v3
	;; [unrolled: 2-line block ×4, first 2 shown]
	;;#ASMSTART
	v_pk_mul_f32 v[16:17], v[26:27], v[16:17]
	;;#ASMEND
	;;#ASMSTART
	v_pk_mul_f32 v[18:19], v[24:25], v[18:19]
	;;#ASMEND
	;; [unrolled: 3-line block ×3, first 2 shown]
	v_cvt_f16_f32_e32 v0, v8
	v_cvt_f16_f32_e32 v2, v9
	;; [unrolled: 1-line block ×8, first 2 shown]
	s_add_u32 s20, s14, s0
	s_addc_u32 s0, s15, s1
	s_and_b32 s21, s0, 0xffff
	v_pack_b32_f16 v2, v0, v2
	v_pack_b32_f16 v3, v3, v4
	;; [unrolled: 1-line block ×4, first 2 shown]
	;;#ASMSTART
	v_pk_mul_f32 v[10:11], v[10:11], v[20:21]
	;;#ASMEND
	buffer_store_dwordx4 v[2:5], v1, s[20:23], 0 offen
	v_cvt_f16_f32_e32 v0, v16
	v_cvt_f16_f32_e32 v2, v17
	;; [unrolled: 1-line block ×8, first 2 shown]
	v_pack_b32_f16 v2, v0, v2
	v_pack_b32_f16 v3, v3, v4
	;; [unrolled: 1-line block ×4, first 2 shown]
	;;#ASMSTART
	s_nop 0
	;;#ASMEND
	buffer_store_dwordx4 v[2:5], v1, s[20:23], 16 offen
	;;#ASMSTART
	s_nop 0
	;;#ASMEND
	s_endpgm
	.section	.rodata,"a",@progbits
	.p2align	6, 0x0
	.amdhsa_kernel _ZN5aiter35fused_qk_rmsnorm_group_quant_kernelIDF16_N4opus5fp4_tELi256ELi16ELi4ELb1ELb1ELb0ELb1ELb0ELb0EEEvPT0_PvPT_S7_S7_PKS6_S9_S9_S9_S9_ffiiiiiiiiiiiii
		.amdhsa_group_segment_fixed_size 32
		.amdhsa_private_segment_fixed_size 0
		.amdhsa_kernarg_size 400
		.amdhsa_user_sgpr_count 6
		.amdhsa_user_sgpr_private_segment_buffer 1
		.amdhsa_user_sgpr_dispatch_ptr 0
		.amdhsa_user_sgpr_queue_ptr 0
		.amdhsa_user_sgpr_kernarg_segment_ptr 1
		.amdhsa_user_sgpr_dispatch_id 0
		.amdhsa_user_sgpr_flat_scratch_init 0
		.amdhsa_user_sgpr_kernarg_preload_length 0
		.amdhsa_user_sgpr_kernarg_preload_offset 0
		.amdhsa_user_sgpr_private_segment_size 0
		.amdhsa_uses_dynamic_stack 0
		.amdhsa_system_sgpr_private_segment_wavefront_offset 0
		.amdhsa_system_sgpr_workgroup_id_x 1
		.amdhsa_system_sgpr_workgroup_id_y 1
		.amdhsa_system_sgpr_workgroup_id_z 0
		.amdhsa_system_sgpr_workgroup_info 0
		.amdhsa_system_vgpr_workitem_id 0
		.amdhsa_next_free_vgpr 49
		.amdhsa_next_free_sgpr 32
		.amdhsa_accum_offset 52
		.amdhsa_reserve_vcc 1
		.amdhsa_reserve_flat_scratch 0
		.amdhsa_float_round_mode_32 0
		.amdhsa_float_round_mode_16_64 0
		.amdhsa_float_denorm_mode_32 3
		.amdhsa_float_denorm_mode_16_64 3
		.amdhsa_dx10_clamp 1
		.amdhsa_ieee_mode 1
		.amdhsa_fp16_overflow 0
		.amdhsa_tg_split 0
		.amdhsa_exception_fp_ieee_invalid_op 0
		.amdhsa_exception_fp_denorm_src 0
		.amdhsa_exception_fp_ieee_div_zero 0
		.amdhsa_exception_fp_ieee_overflow 0
		.amdhsa_exception_fp_ieee_underflow 0
		.amdhsa_exception_fp_ieee_inexact 0
		.amdhsa_exception_int_div_zero 0
	.end_amdhsa_kernel
	.section	.text._ZN5aiter35fused_qk_rmsnorm_group_quant_kernelIDF16_N4opus5fp4_tELi256ELi16ELi4ELb1ELb1ELb0ELb1ELb0ELb0EEEvPT0_PvPT_S7_S7_PKS6_S9_S9_S9_S9_ffiiiiiiiiiiiii,"axG",@progbits,_ZN5aiter35fused_qk_rmsnorm_group_quant_kernelIDF16_N4opus5fp4_tELi256ELi16ELi4ELb1ELb1ELb0ELb1ELb0ELb0EEEvPT0_PvPT_S7_S7_PKS6_S9_S9_S9_S9_ffiiiiiiiiiiiii,comdat
.Lfunc_end799:
	.size	_ZN5aiter35fused_qk_rmsnorm_group_quant_kernelIDF16_N4opus5fp4_tELi256ELi16ELi4ELb1ELb1ELb0ELb1ELb0ELb0EEEvPT0_PvPT_S7_S7_PKS6_S9_S9_S9_S9_ffiiiiiiiiiiiii, .Lfunc_end799-_ZN5aiter35fused_qk_rmsnorm_group_quant_kernelIDF16_N4opus5fp4_tELi256ELi16ELi4ELb1ELb1ELb0ELb1ELb0ELb0EEEvPT0_PvPT_S7_S7_PKS6_S9_S9_S9_S9_ffiiiiiiiiiiiii
                                        ; -- End function
	.section	.AMDGPU.csdata,"",@progbits
; Kernel info:
; codeLenInByte = 3480
; NumSgprs: 36
; NumVgprs: 49
; NumAgprs: 0
; TotalNumVgprs: 49
; ScratchSize: 0
; MemoryBound: 0
; FloatMode: 240
; IeeeMode: 1
; LDSByteSize: 32 bytes/workgroup (compile time only)
; SGPRBlocks: 4
; VGPRBlocks: 6
; NumSGPRsForWavesPerEU: 36
; NumVGPRsForWavesPerEU: 49
; AccumOffset: 52
; Occupancy: 8
; WaveLimiterHint : 0
; COMPUTE_PGM_RSRC2:SCRATCH_EN: 0
; COMPUTE_PGM_RSRC2:USER_SGPR: 6
; COMPUTE_PGM_RSRC2:TRAP_HANDLER: 0
; COMPUTE_PGM_RSRC2:TGID_X_EN: 1
; COMPUTE_PGM_RSRC2:TGID_Y_EN: 1
; COMPUTE_PGM_RSRC2:TGID_Z_EN: 0
; COMPUTE_PGM_RSRC2:TIDIG_COMP_CNT: 0
; COMPUTE_PGM_RSRC3_GFX90A:ACCUM_OFFSET: 12
; COMPUTE_PGM_RSRC3_GFX90A:TG_SPLIT: 0
	.section	.text._ZN5aiter35fused_qk_rmsnorm_group_quant_kernelItN4opus5fp4_tELi256ELi16ELi4ELb1ELb1ELb0ELb1ELb0ELb0EEEvPT0_PvPT_S7_S7_PKS6_S9_S9_S9_S9_ffiiiiiiiiiiiii,"axG",@progbits,_ZN5aiter35fused_qk_rmsnorm_group_quant_kernelItN4opus5fp4_tELi256ELi16ELi4ELb1ELb1ELb0ELb1ELb0ELb0EEEvPT0_PvPT_S7_S7_PKS6_S9_S9_S9_S9_ffiiiiiiiiiiiii,comdat
	.protected	_ZN5aiter35fused_qk_rmsnorm_group_quant_kernelItN4opus5fp4_tELi256ELi16ELi4ELb1ELb1ELb0ELb1ELb0ELb0EEEvPT0_PvPT_S7_S7_PKS6_S9_S9_S9_S9_ffiiiiiiiiiiiii ; -- Begin function _ZN5aiter35fused_qk_rmsnorm_group_quant_kernelItN4opus5fp4_tELi256ELi16ELi4ELb1ELb1ELb0ELb1ELb0ELb0EEEvPT0_PvPT_S7_S7_PKS6_S9_S9_S9_S9_ffiiiiiiiiiiiii
	.globl	_ZN5aiter35fused_qk_rmsnorm_group_quant_kernelItN4opus5fp4_tELi256ELi16ELi4ELb1ELb1ELb0ELb1ELb0ELb0EEEvPT0_PvPT_S7_S7_PKS6_S9_S9_S9_S9_ffiiiiiiiiiiiii
	.p2align	8
	.type	_ZN5aiter35fused_qk_rmsnorm_group_quant_kernelItN4opus5fp4_tELi256ELi16ELi4ELb1ELb1ELb0ELb1ELb0ELb0EEEvPT0_PvPT_S7_S7_PKS6_S9_S9_S9_S9_ffiiiiiiiiiiiii,@function
_ZN5aiter35fused_qk_rmsnorm_group_quant_kernelItN4opus5fp4_tELi256ELi16ELi4ELb1ELb1ELb0ELb1ELb0ELb0EEEvPT0_PvPT_S7_S7_PKS6_S9_S9_S9_S9_ffiiiiiiiiiiiii: ; @_ZN5aiter35fused_qk_rmsnorm_group_quant_kernelItN4opus5fp4_tELi256ELi16ELi4ELb1ELb1ELb0ELb1ELb0ELb0EEEvPT0_PvPT_S7_S7_PKS6_S9_S9_S9_S9_ffiiiiiiiiiiiii
; %bb.0:
	s_load_dwordx8 s[12:19], s[4:5], 0x50
	s_waitcnt lgkmcnt(0)
	s_cmp_ge_i32 s6, s14
	s_cbranch_scc1 .LBB800_17
; %bb.1:
	s_cmp_lg_u32 s7, 0
	s_cselect_b64 s[22:23], -1, 0
	s_cmp_eq_u32 s7, 0
	s_cselect_b64 s[2:3], -1, 0
	s_and_b64 s[0:1], s[2:3], exec
	s_cselect_b32 s7, s15, s16
	s_load_dwordx2 s[10:11], s[4:5], 0x30
	s_load_dwordx2 s[20:21], s[4:5], 0x48
	s_add_i32 s0, s7, 1
	s_lshr_b32 s1, s0, 31
	s_add_i32 s0, s0, s1
	s_lshl_b32 s0, s0, 1
	v_lshlrev_b32_e32 v1, 4, v0
	s_and_b32 s30, s0, -4
	v_cmp_gt_i32_e64 s[0:1], s7, v1
	v_mov_b32_e32 v76, 0
	v_mov_b32_e32 v77, 0
	;; [unrolled: 1-line block ×16, first 2 shown]
	s_and_saveexec_b64 s[8:9], s[0:1]
	s_cbranch_execz .LBB800_3
; %bb.2:
	s_load_dwordx2 s[14:15], s[4:5], 0x28
	s_load_dwordx2 s[26:27], s[4:5], 0x40
	s_and_b64 s[24:25], s[2:3], exec
	s_cselect_b32 s17, s17, s18
	s_mov_b32 s31, 0x20000
	s_waitcnt lgkmcnt(0)
	s_cselect_b32 s25, s15, s11
	s_cselect_b32 s24, s14, s10
	s_mul_hi_i32 s15, s17, s6
	s_mul_i32 s14, s17, s6
	s_lshl_b64 s[14:15], s[14:15], 1
	s_add_u32 s24, s24, s14
	s_addc_u32 s17, s25, s15
	s_and_b64 s[14:15], s[2:3], exec
	s_cselect_b32 s28, s26, s20
	s_cselect_b32 s14, s27, s21
	s_and_b32 s25, s17, 0xffff
	s_mov_b32 s26, s30
	s_mov_b32 s27, s31
	v_lshlrev_b32_e32 v2, 5, v0
	s_and_b32 s29, s14, 0xffff
	buffer_load_dwordx4 v[80:83], v2, s[24:27], 0 offen
	buffer_load_dwordx4 v[84:87], v2, s[24:27], 16 offen
	;; [unrolled: 1-line block ×4, first 2 shown]
.LBB800_3:
	s_or_b64 exec, exec, s[8:9]
	s_load_dwordx4 s[24:27], s[4:5], 0x7c
	s_and_b64 vcc, exec, s[22:23]
	s_cbranch_vccz .LBB800_7
; %bb.4:
	v_mov_b32_e32 v89, 0
	v_mov_b32_e32 v88, 0
	v_mov_b32_e32 v33, 0
	v_mov_b32_e32 v32, 0
	v_mov_b32_e32 v49, 0
	v_mov_b32_e32 v48, 0
	v_mov_b32_e32 v65, 0
	v_mov_b32_e32 v64, 0
	v_mov_b32_e32 v37, 0
	v_mov_b32_e32 v36, 0
	v_mov_b32_e32 v55, 0
	v_mov_b32_e32 v54, 0
	v_mov_b32_e32 v5, 0
	v_mov_b32_e32 v4, 0
	v_mov_b32_e32 v19, 0
	v_mov_b32_e32 v18, 0
	s_and_saveexec_b64 s[8:9], s[0:1]
	s_cbranch_execz .LBB800_6
; %bb.5:
	s_waitcnt vmcnt(3)
	v_cvt_f32_u32_sdwa v18, v80 dst_sel:DWORD dst_unused:UNUSED_PAD src0_sel:WORD_0
	v_cvt_f32_u32_sdwa v19, v80 dst_sel:DWORD dst_unused:UNUSED_PAD src0_sel:WORD_1
	v_cvt_f32_u32_sdwa v4, v81 dst_sel:DWORD dst_unused:UNUSED_PAD src0_sel:WORD_0
	v_cvt_f32_u32_sdwa v5, v81 dst_sel:DWORD dst_unused:UNUSED_PAD src0_sel:WORD_1
	;; [unrolled: 2-line block ×4, first 2 shown]
	s_waitcnt vmcnt(2)
	v_cvt_f32_u32_sdwa v64, v84 dst_sel:DWORD dst_unused:UNUSED_PAD src0_sel:WORD_0
	v_cvt_f32_u32_sdwa v65, v84 dst_sel:DWORD dst_unused:UNUSED_PAD src0_sel:WORD_1
	v_cvt_f32_u32_sdwa v48, v85 dst_sel:DWORD dst_unused:UNUSED_PAD src0_sel:WORD_0
	v_cvt_f32_u32_sdwa v49, v85 dst_sel:DWORD dst_unused:UNUSED_PAD src0_sel:WORD_1
	;; [unrolled: 2-line block ×4, first 2 shown]
.LBB800_6:
	s_or_b64 exec, exec, s[8:9]
	s_cbranch_execz .LBB800_8
	s_branch .LBB800_11
.LBB800_7:
                                        ; implicit-def: $vgpr18_vgpr19_vgpr20_vgpr21_vgpr22_vgpr23_vgpr24_vgpr25_vgpr26_vgpr27_vgpr28_vgpr29_vgpr30_vgpr31_vgpr32_vgpr33
                                        ; implicit-def: $vgpr50_vgpr51_vgpr52_vgpr53_vgpr54_vgpr55_vgpr56_vgpr57_vgpr58_vgpr59_vgpr60_vgpr61_vgpr62_vgpr63_vgpr64_vgpr65
                                        ; implicit-def: $vgpr30_vgpr31_vgpr32_vgpr33_vgpr34_vgpr35_vgpr36_vgpr37_vgpr38_vgpr39_vgpr40_vgpr41_vgpr42_vgpr43_vgpr44_vgpr45
                                        ; implicit-def: $vgpr89
                                        ; implicit-def: $vgpr2_vgpr3_vgpr4_vgpr5_vgpr6_vgpr7_vgpr8_vgpr9_vgpr10_vgpr11_vgpr12_vgpr13_vgpr14_vgpr15_vgpr16_vgpr17
                                        ; implicit-def: $vgpr56_vgpr57_vgpr58_vgpr59_vgpr60_vgpr61_vgpr62_vgpr63_vgpr64_vgpr65_vgpr66_vgpr67_vgpr68_vgpr69_vgpr70_vgpr71
                                        ; implicit-def: $vgpr38_vgpr39_vgpr40_vgpr41_vgpr42_vgpr43_vgpr44_vgpr45_vgpr46_vgpr47_vgpr48_vgpr49_vgpr50_vgpr51_vgpr52_vgpr53
                                        ; implicit-def: $vgpr20_vgpr21_vgpr22_vgpr23_vgpr24_vgpr25_vgpr26_vgpr27_vgpr28_vgpr29_vgpr30_vgpr31_vgpr32_vgpr33_vgpr34_vgpr35
.LBB800_8:
	v_mov_b32_e32 v89, 0
	v_mov_b32_e32 v88, 0
	;; [unrolled: 1-line block ×16, first 2 shown]
	s_and_saveexec_b64 s[8:9], s[0:1]
	s_cbranch_execz .LBB800_10
; %bb.9:
	s_load_dwordx2 s[14:15], s[4:5], 0x38
	s_mul_hi_i32 s29, s19, s6
	s_mul_i32 s28, s19, s6
	s_lshl_b64 s[28:29], s[28:29], 1
	s_mov_b32 s31, 0x20000
	s_waitcnt lgkmcnt(0)
	s_add_u32 s28, s14, s28
	s_addc_u32 s14, s15, s29
	s_and_b32 s29, s14, 0xffff
	v_lshlrev_b32_e32 v38, 5, v0
	buffer_load_dwordx4 v[4:7], v38, s[28:31], 16 offen
	buffer_load_dwordx4 v[8:11], v38, s[28:31], 0 offen
	s_load_dwordx2 s[14:15], s[4:5], 0x20
	s_waitcnt vmcnt(5)
	v_cvt_f32_u32_sdwa v19, v80 dst_sel:DWORD dst_unused:UNUSED_PAD src0_sel:WORD_1
	v_cvt_f32_u32_sdwa v18, v80 dst_sel:DWORD dst_unused:UNUSED_PAD src0_sel:WORD_0
	v_cvt_f32_u32_sdwa v21, v81 dst_sel:DWORD dst_unused:UNUSED_PAD src0_sel:WORD_1
	v_cvt_f32_u32_sdwa v20, v81 dst_sel:DWORD dst_unused:UNUSED_PAD src0_sel:WORD_0
	v_cvt_f32_u32_sdwa v23, v82 dst_sel:DWORD dst_unused:UNUSED_PAD src0_sel:WORD_1
	v_cvt_f32_u32_sdwa v22, v82 dst_sel:DWORD dst_unused:UNUSED_PAD src0_sel:WORD_0
	v_cvt_f32_u32_sdwa v25, v83 dst_sel:DWORD dst_unused:UNUSED_PAD src0_sel:WORD_1
	v_cvt_f32_u32_sdwa v24, v83 dst_sel:DWORD dst_unused:UNUSED_PAD src0_sel:WORD_0
	s_waitcnt vmcnt(4)
	v_cvt_f32_u32_sdwa v3, v84 dst_sel:DWORD dst_unused:UNUSED_PAD src0_sel:WORD_1
	v_cvt_f32_u32_sdwa v2, v84 dst_sel:DWORD dst_unused:UNUSED_PAD src0_sel:WORD_0
	v_cvt_f32_u32_sdwa v13, v85 dst_sel:DWORD dst_unused:UNUSED_PAD src0_sel:WORD_1
	v_cvt_f32_u32_sdwa v12, v85 dst_sel:DWORD dst_unused:UNUSED_PAD src0_sel:WORD_0
	;; [unrolled: 2-line block ×3, first 2 shown]
	v_cvt_f32_u32_sdwa v16, v87 dst_sel:DWORD dst_unused:UNUSED_PAD src0_sel:WORD_0
	v_cvt_f32_u32_sdwa v17, v87 dst_sel:DWORD dst_unused:UNUSED_PAD src0_sel:WORD_1
	s_mul_hi_i32 s27, s26, s6
	s_mul_i32 s26, s26, s6
	s_lshl_b64 s[26:27], s[26:27], 1
	s_waitcnt lgkmcnt(0)
	s_add_u32 s28, s14, s26
	s_mov_b32 s17, 0x7060302
	s_addc_u32 s14, s15, s27
	s_and_b32 s29, s14, 0xffff
	s_waitcnt vmcnt(1)
	v_cvt_f32_u32_sdwa v27, v4 dst_sel:DWORD dst_unused:UNUSED_PAD src0_sel:WORD_1
	v_cvt_f32_u32_sdwa v26, v4 dst_sel:DWORD dst_unused:UNUSED_PAD src0_sel:WORD_0
	v_cvt_f32_u32_sdwa v29, v5 dst_sel:DWORD dst_unused:UNUSED_PAD src0_sel:WORD_1
	v_cvt_f32_u32_sdwa v28, v5 dst_sel:DWORD dst_unused:UNUSED_PAD src0_sel:WORD_0
	;; [unrolled: 2-line block ×3, first 2 shown]
	v_cvt_f32_u32_sdwa v32, v7 dst_sel:DWORD dst_unused:UNUSED_PAD src0_sel:WORD_0
	v_cvt_f32_u32_sdwa v33, v7 dst_sel:DWORD dst_unused:UNUSED_PAD src0_sel:WORD_1
	s_waitcnt vmcnt(0)
	v_cvt_f32_u32_sdwa v35, v8 dst_sel:DWORD dst_unused:UNUSED_PAD src0_sel:WORD_1
	v_cvt_f32_u32_sdwa v34, v8 dst_sel:DWORD dst_unused:UNUSED_PAD src0_sel:WORD_0
	v_cvt_f32_u32_sdwa v5, v10 dst_sel:DWORD dst_unused:UNUSED_PAD src0_sel:WORD_1
	v_cvt_f32_u32_sdwa v4, v10 dst_sel:DWORD dst_unused:UNUSED_PAD src0_sel:WORD_0
	;; [unrolled: 2-line block ×4, first 2 shown]
	v_pk_add_f32 v[54:55], v[22:23], v[4:5]
	v_pk_add_f32 v[36:37], v[24:25], v[6:7]
	;; [unrolled: 1-line block ×4, first 2 shown]
	v_perm_b32 v9, v37, v36, s17
	v_perm_b32 v8, v55, v54, s17
	v_perm_b32 v7, v5, v4, s17
	v_perm_b32 v6, v19, v18, s17
	v_pk_add_f32 v[88:89], v[16:17], v[32:33]
	v_pk_add_f32 v[32:33], v[14:15], v[30:31]
	;; [unrolled: 1-line block ×4, first 2 shown]
	buffer_store_dwordx4 v[6:9], v38, s[28:31], 0 offen
	;;#ASMSTART
	s_nop 0
	;;#ASMEND
	s_nop 0
	v_perm_b32 v9, v89, v88, s17
	v_perm_b32 v8, v33, v32, s17
	;; [unrolled: 1-line block ×4, first 2 shown]
	buffer_store_dwordx4 v[6:9], v38, s[28:31], 16 offen
	;;#ASMSTART
	s_nop 0
	;;#ASMEND
.LBB800_10:
	s_or_b64 exec, exec, s[8:9]
.LBB800_11:
	v_mul_f32_e32 v2, v19, v19
	v_fmac_f32_e32 v2, v18, v18
	v_fmac_f32_e32 v2, v4, v4
	;; [unrolled: 1-line block ×15, first 2 shown]
	s_nop 1
	v_mov_b32_dpp v3, v2 quad_perm:[1,0,3,2] row_mask:0xf bank_mask:0xf
	v_add_f32_e32 v2, v2, v3
	s_nop 1
	v_mov_b32_dpp v3, v2 quad_perm:[2,3,0,1] row_mask:0xf bank_mask:0xf
	v_add_f32_e32 v2, v2, v3
	s_nop 1
	v_mov_b32_dpp v3, v2 row_half_mirror row_mask:0xf bank_mask:0xf
	v_add_f32_e32 v2, v2, v3
	s_nop 1
	v_mov_b32_dpp v3, v2 row_mirror row_mask:0xf bank_mask:0xf
	v_add_f32_e32 v2, v2, v3
	s_nop 1
	v_mov_b32_dpp v3, v2 row_bcast:15 row_mask:0xf bank_mask:0xf
	v_add_f32_e32 v2, v2, v3
	v_and_b32_e32 v3, 63, v0
	v_cmp_eq_u32_e64 s[8:9], 63, v3
	s_nop 0
	v_mov_b32_dpp v3, v2 row_bcast:31 row_mask:0xf bank_mask:0xf
	s_and_saveexec_b64 s[14:15], s[8:9]
	s_cbranch_execz .LBB800_13
; %bb.12:
	v_add_f32_e32 v2, v2, v3
	v_lshrrev_b32_e32 v3, 4, v0
	v_and_b32_e32 v3, 60, v3
	ds_write_b32 v3, v2 offset:16
.LBB800_13:
	s_or_b64 exec, exec, s[14:15]
	v_and_b32_e32 v2, 3, v0
	v_lshlrev_b32_e32 v34, 2, v2
	s_waitcnt lgkmcnt(0)
	s_barrier
	ds_read_b32 v2, v34 offset:16
	s_load_dwordx2 s[14:15], s[4:5], 0x18
	s_waitcnt lgkmcnt(0)
	v_mov_b32_dpp v3, v2 quad_perm:[1,0,3,2] row_mask:0xf bank_mask:0xf
	v_add_f32_e32 v2, v2, v3
	s_nop 1
	v_mov_b32_dpp v3, v2 quad_perm:[2,3,0,1] row_mask:0xf bank_mask:0xf
	s_and_saveexec_b64 s[26:27], s[0:1]
	s_cbranch_execnz .LBB800_18
; %bb.14:
	s_or_b64 exec, exec, s[26:27]
	s_mov_b64 s[2:3], -1
	s_and_b64 vcc, exec, s[22:23]
	s_cbranch_vccnz .LBB800_19
.LBB800_15:
	s_andn2_b64 vcc, exec, s[2:3]
	s_cbranch_vccz .LBB800_22
.LBB800_16:
	s_cmp_lt_i32 s16, 1
	s_cbranch_scc0 .LBB800_25
.LBB800_17:
	s_endpgm
.LBB800_18:
	v_add_f32_e32 v2, v2, v3
	v_cvt_f32_u32_e32 v3, s7
	s_waitcnt vmcnt(1)
	v_cvt_f32_u32_sdwa v17, v76 dst_sel:DWORD dst_unused:UNUSED_PAD src0_sel:WORD_1
	v_cvt_f32_u32_sdwa v16, v76 dst_sel:DWORD dst_unused:UNUSED_PAD src0_sel:WORD_0
	v_cvt_f32_u32_sdwa v21, v77 dst_sel:DWORD dst_unused:UNUSED_PAD src0_sel:WORD_1
	v_div_scale_f32 v6, s[28:29], v3, v3, v2
	v_rcp_f32_e32 v7, v6
	v_cvt_f32_u32_sdwa v20, v77 dst_sel:DWORD dst_unused:UNUSED_PAD src0_sel:WORD_0
	s_waitcnt vmcnt(0)
	v_cvt_f32_u32_sdwa v25, v73 dst_sel:DWORD dst_unused:UNUSED_PAD src0_sel:WORD_1
	v_cvt_f32_u32_sdwa v24, v73 dst_sel:DWORD dst_unused:UNUSED_PAD src0_sel:WORD_0
	v_fma_f32 v8, -v6, v7, 1.0
	v_fmac_f32_e32 v7, v8, v7
	v_div_scale_f32 v8, vcc, v2, v3, v2
	v_mul_f32_e32 v9, v8, v7
	v_fma_f32 v10, -v6, v9, v8
	v_fmac_f32_e32 v9, v10, v7
	v_fma_f32 v6, -v6, v9, v8
	v_div_fmas_f32 v6, v6, v7, v9
	v_div_fixup_f32 v2, v6, v3, v2
	v_mov_b32_e32 v3, s13
	v_mov_b32_e32 v6, s12
	v_cndmask_b32_e64 v3, v3, v6, s[2:3]
	v_add_f32_e32 v2, v3, v2
	s_mov_b32 s2, 0x800000
	v_mul_f32_e32 v3, 0x4b800000, v2
	v_cmp_gt_f32_e32 vcc, s2, v2
	v_cndmask_b32_e32 v2, v2, v3, vcc
	v_rsq_f32_e32 v2, v2
	v_cvt_f32_u32_sdwa v27, v74 dst_sel:DWORD dst_unused:UNUSED_PAD src0_sel:WORD_1
	v_cvt_f32_u32_sdwa v26, v74 dst_sel:DWORD dst_unused:UNUSED_PAD src0_sel:WORD_0
	v_cvt_f32_u32_sdwa v29, v75 dst_sel:DWORD dst_unused:UNUSED_PAD src0_sel:WORD_1
	v_mul_f32_e32 v3, 0x45800000, v2
	v_cndmask_b32_e32 v2, v2, v3, vcc
	v_mov_b32_e32 v3, v2
	;;#ASMSTART
	v_pk_mul_f32 v[6:7], v[18:19], v[2:3]
	;;#ASMEND
	;;#ASMSTART
	v_pk_mul_f32 v[4:5], v[4:5], v[2:3]
	;;#ASMEND
	;; [unrolled: 3-line block ×10, first 2 shown]
	v_cvt_f32_u32_sdwa v7, v78 dst_sel:DWORD dst_unused:UNUSED_PAD src0_sel:WORD_1
	v_cvt_f32_u32_sdwa v6, v78 dst_sel:DWORD dst_unused:UNUSED_PAD src0_sel:WORD_0
	v_cvt_f32_u32_sdwa v17, v79 dst_sel:DWORD dst_unused:UNUSED_PAD src0_sel:WORD_1
	v_cvt_f32_u32_sdwa v16, v79 dst_sel:DWORD dst_unused:UNUSED_PAD src0_sel:WORD_0
	;; [unrolled: 2-line block ×3, first 2 shown]
	v_cvt_f32_u32_sdwa v28, v75 dst_sel:DWORD dst_unused:UNUSED_PAD src0_sel:WORD_0
	;;#ASMSTART
	v_pk_mul_f32 v[54:55], v[8:9], v[6:7]
	;;#ASMEND
	;;#ASMSTART
	v_pk_mul_f32 v[36:37], v[10:11], v[16:17]
	;;#ASMEND
	;; [unrolled: 3-line block ×6, first 2 shown]
	s_or_b64 exec, exec, s[26:27]
	s_mov_b64 s[2:3], -1
	s_and_b64 vcc, exec, s[22:23]
	s_cbranch_vccz .LBB800_15
.LBB800_19:
	s_and_saveexec_b64 s[2:3], s[0:1]
	s_cbranch_execz .LBB800_21
; %bb.20:
	s_mul_hi_i32 s23, s25, s6
	s_mul_i32 s22, s25, s6
	s_lshl_b64 s[22:23], s[22:23], 1
	s_add_u32 s28, s14, s22
	s_addc_u32 s7, s15, s23
	s_and_b32 s29, s7, 0xffff
	s_mov_b32 s7, 0x7060302
	s_mov_b32 s31, 0x20000
	v_perm_b32 v9, v37, v36, s7
	v_perm_b32 v8, v55, v54, s7
	;; [unrolled: 1-line block ×4, first 2 shown]
	v_lshlrev_b32_e32 v2, 5, v0
	buffer_store_dwordx4 v[6:9], v2, s[28:31], 0 offen
	;;#ASMSTART
	s_nop 0
	;;#ASMEND
	s_nop 0
	v_perm_b32 v9, v89, v88, s7
	v_perm_b32 v8, v33, v32, s7
	;; [unrolled: 1-line block ×4, first 2 shown]
	buffer_store_dwordx4 v[6:9], v2, s[28:31], 16 offen
	;;#ASMSTART
	s_nop 0
	;;#ASMEND
.LBB800_21:
	s_or_b64 exec, exec, s[2:3]
	s_cbranch_execnz .LBB800_16
.LBB800_22:
	s_and_saveexec_b64 s[2:3], s[0:1]
	s_cbranch_execz .LBB800_24
; %bb.23:
	s_load_dwordx2 s[0:1], s[4:5], 0x10
	s_mul_hi_i32 s23, s24, s6
	s_mul_i32 s22, s24, s6
	s_lshl_b64 s[22:23], s[22:23], 1
	s_mov_b32 s7, 0x7060302
	s_waitcnt lgkmcnt(0)
	s_add_u32 s28, s0, s22
	s_addc_u32 s0, s1, s23
	v_perm_b32 v7, v37, v36, s7
	v_perm_b32 v6, v55, v54, s7
	;; [unrolled: 1-line block ×4, first 2 shown]
	s_and_b32 s29, s0, 0xffff
	s_mov_b32 s31, 0x20000
	v_lshlrev_b32_e32 v8, 5, v0
	buffer_store_dwordx4 v[4:7], v8, s[28:31], 0 offen
	v_perm_b32 v3, v49, v48, s7
	v_perm_b32 v5, v89, v88, s7
	;; [unrolled: 1-line block ×4, first 2 shown]
	;;#ASMSTART
	s_nop 0
	;;#ASMEND
	buffer_store_dwordx4 v[2:5], v8, s[28:31], 16 offen
	;;#ASMSTART
	s_nop 0
	;;#ASMEND
.LBB800_24:
	s_or_b64 exec, exec, s[2:3]
	s_cmp_lt_i32 s16, 1
	s_cbranch_scc1 .LBB800_17
.LBB800_25:
	s_load_dword s0, s[4:5], 0x94
	s_waitcnt lgkmcnt(0)
	s_cmp_lg_u32 s0, 1
	s_cbranch_scc1 .LBB800_17
; %bb.26:
	s_lshl_b32 s0, s16, 1
	s_add_i32 s0, s0, 2
	v_cmp_gt_u32_e32 vcc, s16, v1
	s_and_b32 s22, s0, -4
	v_mov_b32_e32 v18, 0
	v_lshlrev_b32_e32 v1, 5, v0
	v_mov_b32_e32 v14, 0
	v_mov_b32_e32 v15, 0
	;; [unrolled: 1-line block ×16, first 2 shown]
	s_barrier
	s_and_saveexec_b64 s[0:1], vcc
	s_cbranch_execz .LBB800_28
; %bb.27:
	s_mul_hi_i32 s3, s18, s6
	s_mul_i32 s2, s18, s6
	s_and_b32 s21, s21, 0xffff
	s_lshl_b64 s[2:3], s[2:3], 1
	s_add_u32 s28, s10, s2
	s_mov_b32 s23, 0x20000
	s_addc_u32 s2, s11, s3
	s_and_b32 s29, s2, 0xffff
	s_mov_b32 s30, s22
	s_mov_b32 s31, s23
	buffer_load_dwordx4 v[14:17], v1, s[28:31], 0 offen
	buffer_load_dwordx4 v[10:13], v1, s[28:31], 16 offen
	;; [unrolled: 1-line block ×4, first 2 shown]
.LBB800_28:
	s_or_b64 exec, exec, s[0:1]
	v_mov_b32_e32 v19, 0
	v_mov_b32_e32 v32, 0
	;; [unrolled: 1-line block ×15, first 2 shown]
	s_and_saveexec_b64 s[0:1], vcc
	s_cbranch_execz .LBB800_30
; %bb.29:
	s_waitcnt vmcnt(3)
	v_cvt_f32_u32_sdwa v18, v14 dst_sel:DWORD dst_unused:UNUSED_PAD src0_sel:WORD_0
	v_cvt_f32_u32_sdwa v19, v14 dst_sel:DWORD dst_unused:UNUSED_PAD src0_sel:WORD_1
	v_cvt_f32_u32_sdwa v32, v15 dst_sel:DWORD dst_unused:UNUSED_PAD src0_sel:WORD_0
	v_cvt_f32_u32_sdwa v33, v15 dst_sel:DWORD dst_unused:UNUSED_PAD src0_sel:WORD_1
	;; [unrolled: 2-line block ×4, first 2 shown]
	s_waitcnt vmcnt(2)
	v_cvt_f32_u32_sdwa v26, v10 dst_sel:DWORD dst_unused:UNUSED_PAD src0_sel:WORD_0
	v_cvt_f32_u32_sdwa v27, v10 dst_sel:DWORD dst_unused:UNUSED_PAD src0_sel:WORD_1
	v_cvt_f32_u32_sdwa v24, v11 dst_sel:DWORD dst_unused:UNUSED_PAD src0_sel:WORD_0
	v_cvt_f32_u32_sdwa v25, v11 dst_sel:DWORD dst_unused:UNUSED_PAD src0_sel:WORD_1
	;; [unrolled: 2-line block ×4, first 2 shown]
.LBB800_30:
	s_or_b64 exec, exec, s[0:1]
	s_waitcnt vmcnt(2)
	v_mul_f32_e32 v10, v19, v19
	v_fmac_f32_e32 v10, v18, v18
	v_fmac_f32_e32 v10, v32, v32
	;; [unrolled: 1-line block ×15, first 2 shown]
	s_nop 1
	v_mov_b32_dpp v11, v10 quad_perm:[1,0,3,2] row_mask:0xf bank_mask:0xf
	v_add_f32_e32 v10, v10, v11
	s_nop 1
	v_mov_b32_dpp v11, v10 quad_perm:[2,3,0,1] row_mask:0xf bank_mask:0xf
	v_add_f32_e32 v10, v10, v11
	s_nop 1
	v_mov_b32_dpp v11, v10 row_half_mirror row_mask:0xf bank_mask:0xf
	v_add_f32_e32 v10, v10, v11
	s_nop 1
	v_mov_b32_dpp v11, v10 row_mirror row_mask:0xf bank_mask:0xf
	v_add_f32_e32 v10, v10, v11
	s_nop 1
	v_mov_b32_dpp v11, v10 row_bcast:15 row_mask:0xf bank_mask:0xf
	v_add_f32_e32 v10, v10, v11
	s_nop 1
	v_mov_b32_dpp v11, v10 row_bcast:31 row_mask:0xf bank_mask:0xf
	s_and_saveexec_b64 s[0:1], s[8:9]
	s_cbranch_execz .LBB800_32
; %bb.31:
	v_lshrrev_b32_e32 v0, 4, v0
	v_add_f32_e32 v10, v10, v11
	v_and_b32_e32 v0, 60, v0
	ds_write_b32 v0, v10
.LBB800_32:
	s_or_b64 exec, exec, s[0:1]
	s_waitcnt lgkmcnt(0)
	s_barrier
	ds_read_b32 v0, v34
	s_waitcnt lgkmcnt(0)
	s_nop 0
	v_mov_b32_dpp v10, v0 quad_perm:[1,0,3,2] row_mask:0xf bank_mask:0xf
	v_add_f32_e32 v0, v0, v10
	s_nop 1
	v_mov_b32_dpp v10, v0 quad_perm:[2,3,0,1] row_mask:0xf bank_mask:0xf
	s_and_saveexec_b64 s[0:1], vcc
	s_cbranch_execz .LBB800_17
; %bb.33:
	v_cvt_f32_u32_e32 v11, s16
	v_add_f32_e32 v0, v0, v10
	s_mov_b32 s23, 0x20000
	v_div_scale_f32 v10, s[0:1], v11, v11, v0
	v_rcp_f32_e32 v12, v10
	v_div_scale_f32 v13, vcc, v0, v11, v0
	s_mov_b32 s0, 0x800000
	v_fma_f32 v14, -v10, v12, 1.0
	v_fmac_f32_e32 v12, v14, v12
	v_mul_f32_e32 v14, v13, v12
	v_fma_f32 v15, -v10, v14, v13
	v_fmac_f32_e32 v14, v15, v12
	v_fma_f32 v10, -v10, v14, v13
	v_div_fmas_f32 v10, v10, v12, v14
	v_div_fixup_f32 v0, v10, v11, v0
	v_add_f32_e32 v0, s13, v0
	v_mul_f32_e32 v10, 0x4b800000, v0
	v_cmp_gt_f32_e32 vcc, s0, v0
	v_cndmask_b32_e32 v0, v0, v10, vcc
	v_rsq_f32_e32 v0, v0
	s_mul_hi_i32 s1, s25, s6
	s_mul_i32 s0, s25, s6
	s_lshl_b64 s[0:1], s[0:1], 1
	v_mul_f32_e32 v10, 0x45800000, v0
	v_cndmask_b32_e32 v10, v0, v10, vcc
	v_mov_b32_e32 v11, v10
	s_add_u32 s20, s14, s0
	;;#ASMSTART
	v_pk_mul_f32 v[12:13], v[18:19], v[10:11]
	;;#ASMEND
	;;#ASMSTART
	v_pk_mul_f32 v[14:15], v[32:33], v[10:11]
	;;#ASMEND
	;; [unrolled: 3-line block ×8, first 2 shown]
	s_waitcnt vmcnt(1)
	v_cvt_f32_u32_sdwa v21, v6 dst_sel:DWORD dst_unused:UNUSED_PAD src0_sel:WORD_1
	v_cvt_f32_u32_sdwa v20, v6 dst_sel:DWORD dst_unused:UNUSED_PAD src0_sel:WORD_0
	v_cvt_f32_u32_sdwa v29, v7 dst_sel:DWORD dst_unused:UNUSED_PAD src0_sel:WORD_1
	v_cvt_f32_u32_sdwa v28, v7 dst_sel:DWORD dst_unused:UNUSED_PAD src0_sel:WORD_0
	;; [unrolled: 2-line block ×3, first 2 shown]
	s_addc_u32 s0, s15, s1
	v_cvt_f32_u32_sdwa v31, v9 dst_sel:DWORD dst_unused:UNUSED_PAD src0_sel:WORD_1
	v_cvt_f32_u32_sdwa v30, v9 dst_sel:DWORD dst_unused:UNUSED_PAD src0_sel:WORD_0
	;;#ASMSTART
	v_pk_mul_f32 v[8:9], v[12:13], v[20:21]
	;;#ASMEND
	;;#ASMSTART
	v_pk_mul_f32 v[12:13], v[14:15], v[28:29]
	;;#ASMEND
	;; [unrolled: 3-line block ×4, first 2 shown]
	s_waitcnt vmcnt(0)
	v_cvt_f32_u32_sdwa v17, v2 dst_sel:DWORD dst_unused:UNUSED_PAD src0_sel:WORD_1
	v_cvt_f32_u32_sdwa v16, v2 dst_sel:DWORD dst_unused:UNUSED_PAD src0_sel:WORD_0
	v_cvt_f32_u32_sdwa v19, v3 dst_sel:DWORD dst_unused:UNUSED_PAD src0_sel:WORD_1
	v_cvt_f32_u32_sdwa v18, v3 dst_sel:DWORD dst_unused:UNUSED_PAD src0_sel:WORD_0
	;; [unrolled: 2-line block ×3, first 2 shown]
	s_and_b32 s21, s0, 0xffff
	s_mov_b32 s0, 0x7060302
	v_cvt_f32_u32_sdwa v21, v5 dst_sel:DWORD dst_unused:UNUSED_PAD src0_sel:WORD_1
	v_cvt_f32_u32_sdwa v20, v5 dst_sel:DWORD dst_unused:UNUSED_PAD src0_sel:WORD_0
	;;#ASMSTART
	v_pk_mul_f32 v[16:17], v[26:27], v[16:17]
	;;#ASMEND
	;;#ASMSTART
	v_pk_mul_f32 v[18:19], v[24:25], v[18:19]
	;;#ASMEND
	;; [unrolled: 3-line block ×3, first 2 shown]
	v_perm_b32 v2, v9, v8, s0
	v_perm_b32 v3, v13, v12, s0
	;; [unrolled: 1-line block ×4, first 2 shown]
	;;#ASMSTART
	v_pk_mul_f32 v[10:11], v[10:11], v[20:21]
	;;#ASMEND
	buffer_store_dwordx4 v[2:5], v1, s[20:23], 0 offen
	;;#ASMSTART
	s_nop 0
	;;#ASMEND
	s_nop 0
	v_perm_b32 v2, v17, v16, s0
	v_perm_b32 v3, v19, v18, s0
	v_perm_b32 v4, v23, v22, s0
	v_perm_b32 v5, v11, v10, s0
	buffer_store_dwordx4 v[2:5], v1, s[20:23], 16 offen
	;;#ASMSTART
	s_nop 0
	;;#ASMEND
	s_endpgm
	.section	.rodata,"a",@progbits
	.p2align	6, 0x0
	.amdhsa_kernel _ZN5aiter35fused_qk_rmsnorm_group_quant_kernelItN4opus5fp4_tELi256ELi16ELi4ELb1ELb1ELb0ELb1ELb0ELb0EEEvPT0_PvPT_S7_S7_PKS6_S9_S9_S9_S9_ffiiiiiiiiiiiii
		.amdhsa_group_segment_fixed_size 32
		.amdhsa_private_segment_fixed_size 0
		.amdhsa_kernarg_size 400
		.amdhsa_user_sgpr_count 6
		.amdhsa_user_sgpr_private_segment_buffer 1
		.amdhsa_user_sgpr_dispatch_ptr 0
		.amdhsa_user_sgpr_queue_ptr 0
		.amdhsa_user_sgpr_kernarg_segment_ptr 1
		.amdhsa_user_sgpr_dispatch_id 0
		.amdhsa_user_sgpr_flat_scratch_init 0
		.amdhsa_user_sgpr_kernarg_preload_length 0
		.amdhsa_user_sgpr_kernarg_preload_offset 0
		.amdhsa_user_sgpr_private_segment_size 0
		.amdhsa_uses_dynamic_stack 0
		.amdhsa_system_sgpr_private_segment_wavefront_offset 0
		.amdhsa_system_sgpr_workgroup_id_x 1
		.amdhsa_system_sgpr_workgroup_id_y 1
		.amdhsa_system_sgpr_workgroup_id_z 0
		.amdhsa_system_sgpr_workgroup_info 0
		.amdhsa_system_vgpr_workitem_id 0
		.amdhsa_next_free_vgpr 90
		.amdhsa_next_free_sgpr 32
		.amdhsa_accum_offset 92
		.amdhsa_reserve_vcc 1
		.amdhsa_reserve_flat_scratch 0
		.amdhsa_float_round_mode_32 0
		.amdhsa_float_round_mode_16_64 0
		.amdhsa_float_denorm_mode_32 3
		.amdhsa_float_denorm_mode_16_64 3
		.amdhsa_dx10_clamp 1
		.amdhsa_ieee_mode 1
		.amdhsa_fp16_overflow 0
		.amdhsa_tg_split 0
		.amdhsa_exception_fp_ieee_invalid_op 0
		.amdhsa_exception_fp_denorm_src 0
		.amdhsa_exception_fp_ieee_div_zero 0
		.amdhsa_exception_fp_ieee_overflow 0
		.amdhsa_exception_fp_ieee_underflow 0
		.amdhsa_exception_fp_ieee_inexact 0
		.amdhsa_exception_int_div_zero 0
	.end_amdhsa_kernel
	.section	.text._ZN5aiter35fused_qk_rmsnorm_group_quant_kernelItN4opus5fp4_tELi256ELi16ELi4ELb1ELb1ELb0ELb1ELb0ELb0EEEvPT0_PvPT_S7_S7_PKS6_S9_S9_S9_S9_ffiiiiiiiiiiiii,"axG",@progbits,_ZN5aiter35fused_qk_rmsnorm_group_quant_kernelItN4opus5fp4_tELi256ELi16ELi4ELb1ELb1ELb0ELb1ELb0ELb0EEEvPT0_PvPT_S7_S7_PKS6_S9_S9_S9_S9_ffiiiiiiiiiiiii,comdat
.Lfunc_end800:
	.size	_ZN5aiter35fused_qk_rmsnorm_group_quant_kernelItN4opus5fp4_tELi256ELi16ELi4ELb1ELb1ELb0ELb1ELb0ELb0EEEvPT0_PvPT_S7_S7_PKS6_S9_S9_S9_S9_ffiiiiiiiiiiiii, .Lfunc_end800-_ZN5aiter35fused_qk_rmsnorm_group_quant_kernelItN4opus5fp4_tELi256ELi16ELi4ELb1ELb1ELb0ELb1ELb0ELb0EEEvPT0_PvPT_S7_S7_PKS6_S9_S9_S9_S9_ffiiiiiiiiiiiii
                                        ; -- End function
	.section	.AMDGPU.csdata,"",@progbits
; Kernel info:
; codeLenInByte = 3440
; NumSgprs: 36
; NumVgprs: 90
; NumAgprs: 0
; TotalNumVgprs: 90
; ScratchSize: 0
; MemoryBound: 0
; FloatMode: 240
; IeeeMode: 1
; LDSByteSize: 32 bytes/workgroup (compile time only)
; SGPRBlocks: 4
; VGPRBlocks: 11
; NumSGPRsForWavesPerEU: 36
; NumVGPRsForWavesPerEU: 90
; AccumOffset: 92
; Occupancy: 5
; WaveLimiterHint : 0
; COMPUTE_PGM_RSRC2:SCRATCH_EN: 0
; COMPUTE_PGM_RSRC2:USER_SGPR: 6
; COMPUTE_PGM_RSRC2:TRAP_HANDLER: 0
; COMPUTE_PGM_RSRC2:TGID_X_EN: 1
; COMPUTE_PGM_RSRC2:TGID_Y_EN: 1
; COMPUTE_PGM_RSRC2:TGID_Z_EN: 0
; COMPUTE_PGM_RSRC2:TIDIG_COMP_CNT: 0
; COMPUTE_PGM_RSRC3_GFX90A:ACCUM_OFFSET: 22
; COMPUTE_PGM_RSRC3_GFX90A:TG_SPLIT: 0
	.section	.text._ZN5aiter35fused_qk_rmsnorm_group_quant_kernelIDF16_DB8_Li256ELi16ELi4ELb0ELb1ELb1ELb1ELb0ELb0EEEvPT0_PvPT_S6_S6_PKS5_S8_S8_S8_S8_ffiiiiiiiiiiiii,"axG",@progbits,_ZN5aiter35fused_qk_rmsnorm_group_quant_kernelIDF16_DB8_Li256ELi16ELi4ELb0ELb1ELb1ELb1ELb0ELb0EEEvPT0_PvPT_S6_S6_PKS5_S8_S8_S8_S8_ffiiiiiiiiiiiii,comdat
	.protected	_ZN5aiter35fused_qk_rmsnorm_group_quant_kernelIDF16_DB8_Li256ELi16ELi4ELb0ELb1ELb1ELb1ELb0ELb0EEEvPT0_PvPT_S6_S6_PKS5_S8_S8_S8_S8_ffiiiiiiiiiiiii ; -- Begin function _ZN5aiter35fused_qk_rmsnorm_group_quant_kernelIDF16_DB8_Li256ELi16ELi4ELb0ELb1ELb1ELb1ELb0ELb0EEEvPT0_PvPT_S6_S6_PKS5_S8_S8_S8_S8_ffiiiiiiiiiiiii
	.globl	_ZN5aiter35fused_qk_rmsnorm_group_quant_kernelIDF16_DB8_Li256ELi16ELi4ELb0ELb1ELb1ELb1ELb0ELb0EEEvPT0_PvPT_S6_S6_PKS5_S8_S8_S8_S8_ffiiiiiiiiiiiii
	.p2align	8
	.type	_ZN5aiter35fused_qk_rmsnorm_group_quant_kernelIDF16_DB8_Li256ELi16ELi4ELb0ELb1ELb1ELb1ELb0ELb0EEEvPT0_PvPT_S6_S6_PKS5_S8_S8_S8_S8_ffiiiiiiiiiiiii,@function
_ZN5aiter35fused_qk_rmsnorm_group_quant_kernelIDF16_DB8_Li256ELi16ELi4ELb0ELb1ELb1ELb1ELb0ELb0EEEvPT0_PvPT_S6_S6_PKS5_S8_S8_S8_S8_ffiiiiiiiiiiiii: ; @_ZN5aiter35fused_qk_rmsnorm_group_quant_kernelIDF16_DB8_Li256ELi16ELi4ELb0ELb1ELb1ELb1ELb0ELb0EEEvPT0_PvPT_S6_S6_PKS5_S8_S8_S8_S8_ffiiiiiiiiiiiii
; %bb.0:
	s_load_dwordx4 s[12:15], s[4:5], 0x50
	s_waitcnt lgkmcnt(0)
	s_cmp_ge_i32 s6, s14
	s_cbranch_scc1 .LBB801_12
; %bb.1:
	s_load_dwordx2 s[24:25], s[4:5], 0x30
	s_load_dwordx2 s[8:9], s[4:5], 0x48
	s_load_dwordx4 s[16:19], s[4:5], 0x60
	s_cmp_lg_u32 s7, 0
	s_cselect_b64 s[10:11], -1, 0
	s_cmp_eq_u32 s7, 0
	s_cselect_b64 vcc, -1, 0
	s_and_b64 s[0:1], vcc, exec
	s_waitcnt lgkmcnt(0)
	s_cselect_b32 s7, s15, s16
	s_add_i32 s0, s7, 1
	s_lshr_b32 s1, s0, 31
	s_add_i32 s0, s0, s1
	s_lshl_b32 s0, s0, 1
	v_lshlrev_b32_e32 v1, 4, v0
	s_and_b32 s22, s0, -4
	v_cmp_gt_i32_e64 s[2:3], s7, v1
	v_mov_b32_e32 v18, 0
	v_mov_b32_e32 v6, 0
	;; [unrolled: 1-line block ×17, first 2 shown]
	s_and_saveexec_b64 s[0:1], s[2:3]
	s_cbranch_execz .LBB801_3
; %bb.2:
	s_load_dwordx2 s[14:15], s[4:5], 0x28
	s_load_dwordx2 s[20:21], s[4:5], 0x40
	s_and_b64 s[26:27], vcc, exec
	s_cselect_b32 s17, s17, s18
	s_mov_b32 s30, s22
	s_waitcnt lgkmcnt(0)
	s_cselect_b32 s19, s15, s25
	s_cselect_b32 s23, s14, s24
	s_mul_hi_i32 s15, s17, s6
	s_mul_i32 s14, s17, s6
	s_lshl_b64 s[14:15], s[14:15], 1
	s_add_u32 s28, s23, s14
	s_addc_u32 s17, s19, s15
	s_and_b64 s[14:15], vcc, exec
	s_mov_b32 s23, 0x20000
	s_cselect_b32 s20, s20, s8
	s_cselect_b32 s14, s21, s9
	s_and_b32 s29, s17, 0xffff
	s_mov_b32 s31, s23
	v_lshlrev_b32_e32 v19, 5, v0
	s_and_b32 s21, s14, 0xffff
	buffer_load_dwordx4 v[14:17], v19, s[28:31], 0 offen
	buffer_load_dwordx4 v[10:13], v19, s[28:31], 16 offen
	;; [unrolled: 1-line block ×4, first 2 shown]
.LBB801_3:
	s_or_b64 exec, exec, s[0:1]
	v_mov_b32_e32 v19, 0
	v_mov_b32_e32 v22, 0
	;; [unrolled: 1-line block ×15, first 2 shown]
	s_and_saveexec_b64 s[0:1], s[2:3]
	s_cbranch_execz .LBB801_5
; %bb.4:
	s_waitcnt vmcnt(3)
	v_cvt_f32_f16_sdwa v19, v14 dst_sel:DWORD dst_unused:UNUSED_PAD src0_sel:WORD_1
	v_cvt_f32_f16_e32 v18, v14
	v_cvt_f32_f16_sdwa v23, v15 dst_sel:DWORD dst_unused:UNUSED_PAD src0_sel:WORD_1
	v_cvt_f32_f16_e32 v22, v15
	;; [unrolled: 2-line block ×4, first 2 shown]
	s_waitcnt vmcnt(2)
	v_cvt_f32_f16_sdwa v21, v10 dst_sel:DWORD dst_unused:UNUSED_PAD src0_sel:WORD_1
	v_cvt_f32_f16_e32 v20, v10
	v_cvt_f32_f16_sdwa v29, v11 dst_sel:DWORD dst_unused:UNUSED_PAD src0_sel:WORD_1
	v_cvt_f32_f16_e32 v28, v11
	;; [unrolled: 2-line block ×4, first 2 shown]
.LBB801_5:
	s_or_b64 exec, exec, s[0:1]
	s_waitcnt vmcnt(2)
	v_mul_f32_e32 v10, v19, v19
	v_fmac_f32_e32 v10, v18, v18
	v_fmac_f32_e32 v10, v22, v22
	;; [unrolled: 1-line block ×15, first 2 shown]
	v_and_b32_e32 v12, 63, v0
	v_cmp_eq_u32_e64 s[0:1], 63, v12
	v_mov_b32_dpp v11, v10 quad_perm:[1,0,3,2] row_mask:0xf bank_mask:0xf
	v_add_f32_e32 v10, v10, v11
	s_nop 1
	v_mov_b32_dpp v11, v10 quad_perm:[2,3,0,1] row_mask:0xf bank_mask:0xf
	v_add_f32_e32 v10, v10, v11
	s_nop 1
	v_mov_b32_dpp v11, v10 row_half_mirror row_mask:0xf bank_mask:0xf
	v_add_f32_e32 v10, v10, v11
	s_nop 1
	v_mov_b32_dpp v11, v10 row_mirror row_mask:0xf bank_mask:0xf
	v_add_f32_e32 v10, v10, v11
	s_nop 1
	v_mov_b32_dpp v11, v10 row_bcast:15 row_mask:0xf bank_mask:0xf
	v_add_f32_e32 v10, v10, v11
	s_nop 1
	v_mov_b32_dpp v11, v10 row_bcast:31 row_mask:0xf bank_mask:0xf
	s_and_saveexec_b64 s[14:15], s[0:1]
	s_cbranch_execz .LBB801_7
; %bb.6:
	v_add_f32_e32 v10, v10, v11
	v_lshrrev_b32_e32 v11, 4, v0
	v_and_b32_e32 v11, 60, v11
	ds_write_b32 v11, v10 offset:16
.LBB801_7:
	s_or_b64 exec, exec, s[14:15]
	v_and_b32_e32 v10, 3, v0
	v_lshlrev_b32_e32 v34, 2, v10
	s_waitcnt lgkmcnt(0)
	s_barrier
	ds_read_b32 v10, v34 offset:16
	s_load_dwordx2 s[14:15], s[4:5], 0x18
	s_waitcnt lgkmcnt(0)
	v_mov_b32_dpp v11, v10 quad_perm:[1,0,3,2] row_mask:0xf bank_mask:0xf
	v_add_f32_e32 v10, v10, v11
	s_nop 1
	v_mov_b32_dpp v11, v10 quad_perm:[2,3,0,1] row_mask:0xf bank_mask:0xf
	s_and_saveexec_b64 s[20:21], s[2:3]
	s_cbranch_execz .LBB801_9
; %bb.8:
	v_cvt_f32_u32_e32 v12, s7
	v_add_f32_e32 v10, v10, v11
	v_mov_b32_e32 v14, s13
	v_mov_b32_e32 v15, s12
	v_div_scale_f32 v11, s[26:27], v12, v12, v10
	v_rcp_f32_e32 v13, v11
	v_cndmask_b32_e32 v14, v14, v15, vcc
	s_mov_b32 s7, 0x800000
	v_fma_f32 v15, -v11, v13, 1.0
	v_fmac_f32_e32 v13, v15, v13
	v_div_scale_f32 v15, vcc, v10, v12, v10
	v_mul_f32_e32 v16, v15, v13
	v_fma_f32 v17, -v11, v16, v15
	v_fmac_f32_e32 v16, v17, v13
	v_fma_f32 v11, -v11, v16, v15
	v_div_fmas_f32 v11, v11, v13, v16
	v_div_fixup_f32 v10, v11, v12, v10
	v_add_f32_e32 v10, v14, v10
	v_mul_f32_e32 v11, 0x4b800000, v10
	v_cmp_gt_f32_e32 vcc, s7, v10
	v_cndmask_b32_e32 v10, v10, v11, vcc
	v_rsq_f32_e32 v10, v10
	v_mul_f32_e32 v11, 0x45800000, v10
	v_cndmask_b32_e32 v10, v10, v11, vcc
	v_mov_b32_e32 v11, v10
	;;#ASMSTART
	v_pk_mul_f32 v[12:13], v[18:19], v[10:11]
	;;#ASMEND
	s_waitcnt vmcnt(1)
	v_cvt_f32_f16_sdwa v19, v6 dst_sel:DWORD dst_unused:UNUSED_PAD src0_sel:WORD_1
	v_cvt_f32_f16_e32 v18, v6
	;;#ASMSTART
	v_pk_mul_f32 v[14:15], v[22:23], v[10:11]
	;;#ASMEND
	v_cvt_f32_f16_sdwa v23, v7 dst_sel:DWORD dst_unused:UNUSED_PAD src0_sel:WORD_1
	v_cvt_f32_f16_e32 v22, v7
	;;#ASMSTART
	v_pk_mul_f32 v[16:17], v[24:25], v[10:11]
	;;#ASMEND
	;;#ASMSTART
	v_pk_mul_f32 v[32:33], v[32:33], v[10:11]
	;;#ASMEND
	;; [unrolled: 3-line block ×6, first 2 shown]
	v_pk_add_f32 v[10:11], v[18:19], 1.0 op_sel_hi:[1,0]
	;;#ASMSTART
	v_pk_mul_f32 v[18:19], v[12:13], v[10:11]
	;;#ASMEND
	v_cvt_f32_f16_sdwa v13, v8 dst_sel:DWORD dst_unused:UNUSED_PAD src0_sel:WORD_1
	v_cvt_f32_f16_e32 v12, v8
	v_cvt_f32_f16_sdwa v27, v9 dst_sel:DWORD dst_unused:UNUSED_PAD src0_sel:WORD_1
	v_cvt_f32_f16_e32 v26, v9
	v_pk_add_f32 v[10:11], v[22:23], 1.0 op_sel_hi:[1,0]
	;;#ASMSTART
	v_pk_mul_f32 v[22:23], v[14:15], v[10:11]
	;;#ASMEND
	s_waitcnt vmcnt(0)
	v_cvt_f32_f16_sdwa v11, v2 dst_sel:DWORD dst_unused:UNUSED_PAD src0_sel:WORD_1
	v_cvt_f32_f16_e32 v10, v2
	v_pk_add_f32 v[8:9], v[12:13], 1.0 op_sel_hi:[1,0]
	;;#ASMSTART
	v_pk_mul_f32 v[24:25], v[16:17], v[8:9]
	;;#ASMEND
	v_pk_add_f32 v[8:9], v[26:27], 1.0 op_sel_hi:[1,0]
	v_cvt_f32_f16_sdwa v13, v3 dst_sel:DWORD dst_unused:UNUSED_PAD src0_sel:WORD_1
	v_cvt_f32_f16_e32 v12, v3
	;;#ASMSTART
	v_pk_mul_f32 v[32:33], v[32:33], v[8:9]
	;;#ASMEND
	v_cvt_f32_f16_sdwa v9, v4 dst_sel:DWORD dst_unused:UNUSED_PAD src0_sel:WORD_1
	v_cvt_f32_f16_e32 v8, v4
	v_pk_add_f32 v[2:3], v[10:11], 1.0 op_sel_hi:[1,0]
	v_cvt_f32_f16_sdwa v11, v5 dst_sel:DWORD dst_unused:UNUSED_PAD src0_sel:WORD_1
	v_cvt_f32_f16_e32 v10, v5
	;;#ASMSTART
	v_pk_mul_f32 v[20:21], v[20:21], v[2:3]
	;;#ASMEND
	v_pk_add_f32 v[2:3], v[12:13], 1.0 op_sel_hi:[1,0]
	;;#ASMSTART
	v_pk_mul_f32 v[28:29], v[28:29], v[2:3]
	;;#ASMEND
	v_pk_add_f32 v[2:3], v[8:9], 1.0 op_sel_hi:[1,0]
	;; [unrolled: 4-line block ×3, first 2 shown]
	;;#ASMSTART
	v_pk_mul_f32 v[26:27], v[6:7], v[2:3]
	;;#ASMEND
.LBB801_9:
	s_or_b64 exec, exec, s[20:21]
	s_load_dwordx2 s[26:27], s[4:5], 0x7c
	s_mov_b64 s[20:21], -1
	s_and_b64 vcc, exec, s[10:11]
	s_cbranch_vccnz .LBB801_13
; %bb.10:
	s_andn2_b64 vcc, exec, s[20:21]
	s_cbranch_vccz .LBB801_16
.LBB801_11:
	s_cmp_lt_i32 s16, 1
	s_cbranch_scc0 .LBB801_19
.LBB801_12:
	s_endpgm
.LBB801_13:
	s_and_saveexec_b64 s[10:11], s[2:3]
	s_cbranch_execz .LBB801_15
; %bb.14:
	s_waitcnt lgkmcnt(0)
	s_mul_hi_i32 s21, s27, s6
	s_mul_i32 s20, s27, s6
	s_waitcnt vmcnt(0)
	v_cvt_f16_f32_e32 v2, v18
	v_cvt_f16_f32_e32 v3, v22
	;; [unrolled: 1-line block ×8, first 2 shown]
	s_lshl_b64 s[20:21], s[20:21], 1
	s_add_u32 s20, s14, s20
	s_addc_u32 s7, s15, s21
	s_and_b32 s21, s7, 0xffff
	s_mov_b32 s23, 0x20000
	v_pack_b32_f16 v5, v5, v6
	v_pack_b32_f16 v4, v4, v7
	;; [unrolled: 1-line block ×4, first 2 shown]
	v_lshlrev_b32_e32 v6, 5, v0
	buffer_store_dwordx4 v[2:5], v6, s[20:23], 0 offen
	v_cvt_f16_f32_e32 v7, v27
	v_cvt_f16_f32_e32 v2, v20
	;; [unrolled: 1-line block ×8, first 2 shown]
	v_pack_b32_f16 v5, v5, v7
	v_pack_b32_f16 v4, v4, v8
	;; [unrolled: 1-line block ×4, first 2 shown]
	;;#ASMSTART
	s_nop 0
	;;#ASMEND
	buffer_store_dwordx4 v[2:5], v6, s[20:23], 16 offen
	;;#ASMSTART
	s_nop 0
	;;#ASMEND
.LBB801_15:
	s_or_b64 exec, exec, s[10:11]
	s_cbranch_execnz .LBB801_11
.LBB801_16:
	s_and_saveexec_b64 s[10:11], s[2:3]
	s_cbranch_execz .LBB801_18
; %bb.17:
	s_load_dwordx2 s[2:3], s[4:5], 0x10
	s_waitcnt lgkmcnt(0)
	s_mul_hi_i32 s21, s26, s6
	s_mul_i32 s20, s26, s6
	s_waitcnt vmcnt(0)
	v_cvt_f16_f32_e32 v2, v18
	v_cvt_f16_f32_e32 v3, v22
	;; [unrolled: 1-line block ×8, first 2 shown]
	s_lshl_b64 s[20:21], s[20:21], 1
	s_add_u32 s20, s2, s20
	s_addc_u32 s2, s3, s21
	s_mov_b32 s23, 0x20000
	s_and_b32 s21, s2, 0xffff
	v_pack_b32_f16 v5, v5, v6
	v_pack_b32_f16 v4, v4, v7
	v_pack_b32_f16 v3, v3, v8
	v_pack_b32_f16 v2, v2, v9
	v_lshlrev_b32_e32 v6, 5, v0
	buffer_store_dwordx4 v[2:5], v6, s[20:23], 0 offen
	v_cvt_f16_f32_e32 v7, v27
	v_cvt_f16_f32_e32 v2, v20
	;; [unrolled: 1-line block ×8, first 2 shown]
	v_pack_b32_f16 v5, v5, v7
	v_pack_b32_f16 v4, v4, v8
	;; [unrolled: 1-line block ×4, first 2 shown]
	;;#ASMSTART
	s_nop 0
	;;#ASMEND
	buffer_store_dwordx4 v[2:5], v6, s[20:23], 16 offen
	;;#ASMSTART
	s_nop 0
	;;#ASMEND
.LBB801_18:
	s_or_b64 exec, exec, s[10:11]
	s_cmp_lt_i32 s16, 1
	s_cbranch_scc1 .LBB801_12
.LBB801_19:
	s_load_dword s2, s[4:5], 0x94
	s_waitcnt lgkmcnt(0)
	s_cmp_lg_u32 s2, 1
	s_cbranch_scc1 .LBB801_12
; %bb.20:
	s_lshl_b32 s2, s16, 1
	s_add_i32 s2, s2, 2
	v_cmp_gt_u32_e32 vcc, s16, v1
	s_and_b32 s10, s2, -4
	v_mov_b32_e32 v18, 0
	v_lshlrev_b32_e32 v1, 5, v0
	v_mov_b32_e32 v14, 0
	v_mov_b32_e32 v15, 0
	;; [unrolled: 1-line block ×8, first 2 shown]
	s_waitcnt vmcnt(1)
	v_mov_b32_e32 v6, 0
	v_mov_b32_e32 v7, 0
	;; [unrolled: 1-line block ×4, first 2 shown]
	s_waitcnt vmcnt(0)
	v_mov_b32_e32 v2, 0
	v_mov_b32_e32 v3, 0
	;; [unrolled: 1-line block ×4, first 2 shown]
	s_barrier
	s_and_saveexec_b64 s[2:3], vcc
	s_cbranch_execz .LBB801_22
; %bb.21:
	s_mul_hi_i32 s5, s18, s6
	s_mul_i32 s4, s18, s6
	s_and_b32 s9, s9, 0xffff
	s_lshl_b64 s[4:5], s[4:5], 1
	s_add_u32 s20, s24, s4
	s_mov_b32 s11, 0x20000
	s_addc_u32 s4, s25, s5
	s_and_b32 s21, s4, 0xffff
	s_mov_b32 s22, s10
	s_mov_b32 s23, s11
	buffer_load_dwordx4 v[14:17], v1, s[20:23], 0 offen
	buffer_load_dwordx4 v[10:13], v1, s[20:23], 16 offen
	;; [unrolled: 1-line block ×4, first 2 shown]
.LBB801_22:
	s_or_b64 exec, exec, s[2:3]
	v_mov_b32_e32 v19, 0
	v_mov_b32_e32 v32, 0
	;; [unrolled: 1-line block ×15, first 2 shown]
	s_and_saveexec_b64 s[2:3], vcc
	s_cbranch_execz .LBB801_24
; %bb.23:
	s_waitcnt vmcnt(3)
	v_cvt_f32_f16_sdwa v19, v14 dst_sel:DWORD dst_unused:UNUSED_PAD src0_sel:WORD_1
	v_cvt_f32_f16_e32 v18, v14
	v_cvt_f32_f16_sdwa v33, v15 dst_sel:DWORD dst_unused:UNUSED_PAD src0_sel:WORD_1
	v_cvt_f32_f16_e32 v32, v15
	v_cvt_f32_f16_sdwa v31, v16 dst_sel:DWORD dst_unused:UNUSED_PAD src0_sel:WORD_1
	v_cvt_f32_f16_e32 v30, v16
	v_cvt_f32_f16_sdwa v29, v17 dst_sel:DWORD dst_unused:UNUSED_PAD src0_sel:WORD_1
	v_cvt_f32_f16_e32 v28, v17
	s_waitcnt vmcnt(2)
	v_cvt_f32_f16_sdwa v27, v10 dst_sel:DWORD dst_unused:UNUSED_PAD src0_sel:WORD_1
	v_cvt_f32_f16_e32 v26, v10
	v_cvt_f32_f16_sdwa v25, v11 dst_sel:DWORD dst_unused:UNUSED_PAD src0_sel:WORD_1
	v_cvt_f32_f16_e32 v24, v11
	;; [unrolled: 2-line block ×4, first 2 shown]
.LBB801_24:
	s_or_b64 exec, exec, s[2:3]
	s_waitcnt vmcnt(2)
	v_mul_f32_e32 v10, v19, v19
	v_fmac_f32_e32 v10, v18, v18
	v_fmac_f32_e32 v10, v32, v32
	;; [unrolled: 1-line block ×15, first 2 shown]
	s_nop 1
	v_mov_b32_dpp v11, v10 quad_perm:[1,0,3,2] row_mask:0xf bank_mask:0xf
	v_add_f32_e32 v10, v10, v11
	s_nop 1
	v_mov_b32_dpp v11, v10 quad_perm:[2,3,0,1] row_mask:0xf bank_mask:0xf
	v_add_f32_e32 v10, v10, v11
	s_nop 1
	v_mov_b32_dpp v11, v10 row_half_mirror row_mask:0xf bank_mask:0xf
	v_add_f32_e32 v10, v10, v11
	s_nop 1
	v_mov_b32_dpp v11, v10 row_mirror row_mask:0xf bank_mask:0xf
	v_add_f32_e32 v10, v10, v11
	s_nop 1
	v_mov_b32_dpp v11, v10 row_bcast:15 row_mask:0xf bank_mask:0xf
	v_add_f32_e32 v10, v10, v11
	s_nop 1
	v_mov_b32_dpp v11, v10 row_bcast:31 row_mask:0xf bank_mask:0xf
	s_and_saveexec_b64 s[2:3], s[0:1]
	s_cbranch_execz .LBB801_26
; %bb.25:
	v_lshrrev_b32_e32 v0, 4, v0
	v_add_f32_e32 v10, v10, v11
	v_and_b32_e32 v0, 60, v0
	ds_write_b32 v0, v10
.LBB801_26:
	s_or_b64 exec, exec, s[2:3]
	s_waitcnt lgkmcnt(0)
	s_barrier
	ds_read_b32 v0, v34
	s_waitcnt lgkmcnt(0)
	s_nop 0
	v_mov_b32_dpp v10, v0 quad_perm:[1,0,3,2] row_mask:0xf bank_mask:0xf
	v_add_f32_e32 v0, v0, v10
	s_nop 1
	v_mov_b32_dpp v10, v0 quad_perm:[2,3,0,1] row_mask:0xf bank_mask:0xf
	s_and_saveexec_b64 s[0:1], vcc
	s_cbranch_execz .LBB801_12
; %bb.27:
	v_cvt_f32_u32_e32 v11, s16
	v_add_f32_e32 v0, v0, v10
	s_mov_b32 s11, 0x20000
	v_div_scale_f32 v10, s[0:1], v11, v11, v0
	v_rcp_f32_e32 v12, v10
	v_div_scale_f32 v13, vcc, v0, v11, v0
	s_mov_b32 s0, 0x800000
	v_fma_f32 v14, -v10, v12, 1.0
	v_fmac_f32_e32 v12, v14, v12
	v_mul_f32_e32 v14, v13, v12
	v_fma_f32 v15, -v10, v14, v13
	v_fmac_f32_e32 v14, v15, v12
	v_fma_f32 v10, -v10, v14, v13
	v_div_fmas_f32 v10, v10, v12, v14
	v_div_fixup_f32 v0, v10, v11, v0
	v_add_f32_e32 v0, s13, v0
	v_mul_f32_e32 v10, 0x4b800000, v0
	v_cmp_gt_f32_e32 vcc, s0, v0
	v_cndmask_b32_e32 v0, v0, v10, vcc
	v_rsq_f32_e32 v0, v0
	s_mul_hi_i32 s1, s27, s6
	s_mul_i32 s0, s27, s6
	s_lshl_b64 s[0:1], s[0:1], 1
	v_mul_f32_e32 v10, 0x45800000, v0
	v_cndmask_b32_e32 v10, v0, v10, vcc
	v_mov_b32_e32 v11, v10
	;;#ASMSTART
	v_pk_mul_f32 v[12:13], v[18:19], v[10:11]
	;;#ASMEND
	;;#ASMSTART
	v_pk_mul_f32 v[14:15], v[32:33], v[10:11]
	;;#ASMEND
	;; [unrolled: 3-line block ×4, first 2 shown]
	s_waitcnt vmcnt(1)
	v_cvt_f32_f16_sdwa v29, v6 dst_sel:DWORD dst_unused:UNUSED_PAD src0_sel:WORD_1
	v_cvt_f32_f16_e32 v28, v6
	v_cvt_f32_f16_sdwa v31, v7 dst_sel:DWORD dst_unused:UNUSED_PAD src0_sel:WORD_1
	v_cvt_f32_f16_e32 v30, v7
	;;#ASMSTART
	v_pk_mul_f32 v[26:27], v[26:27], v[10:11]
	;;#ASMEND
	;;#ASMSTART
	v_pk_mul_f32 v[24:25], v[24:25], v[10:11]
	;;#ASMEND
	;; [unrolled: 3-line block ×4, first 2 shown]
	v_cvt_f32_f16_sdwa v21, v8 dst_sel:DWORD dst_unused:UNUSED_PAD src0_sel:WORD_1
	v_cvt_f32_f16_e32 v20, v8
	v_pk_add_f32 v[10:11], v[28:29], 1.0 op_sel_hi:[1,0]
	;;#ASMSTART
	v_pk_mul_f32 v[10:11], v[12:13], v[10:11]
	;;#ASMEND
	v_pk_add_f32 v[12:13], v[30:31], 1.0 op_sel_hi:[1,0]
	v_cvt_f32_f16_sdwa v29, v9 dst_sel:DWORD dst_unused:UNUSED_PAD src0_sel:WORD_1
	v_cvt_f32_f16_e32 v28, v9
	;;#ASMSTART
	v_pk_mul_f32 v[8:9], v[14:15], v[12:13]
	;;#ASMEND
	v_pk_add_f32 v[12:13], v[20:21], 1.0 op_sel_hi:[1,0]
	;;#ASMSTART
	v_pk_mul_f32 v[12:13], v[16:17], v[12:13]
	;;#ASMEND
	s_waitcnt vmcnt(0)
	v_cvt_f32_f16_sdwa v17, v2 dst_sel:DWORD dst_unused:UNUSED_PAD src0_sel:WORD_1
	v_cvt_f32_f16_e32 v16, v2
	v_cvt_f32_f16_sdwa v21, v3 dst_sel:DWORD dst_unused:UNUSED_PAD src0_sel:WORD_1
	v_cvt_f32_f16_e32 v20, v3
	v_pk_add_f32 v[14:15], v[28:29], 1.0 op_sel_hi:[1,0]
	;;#ASMSTART
	v_pk_mul_f32 v[2:3], v[18:19], v[14:15]
	;;#ASMEND
	v_cvt_f32_f16_sdwa v19, v4 dst_sel:DWORD dst_unused:UNUSED_PAD src0_sel:WORD_1
	v_cvt_f32_f16_e32 v18, v4
	v_pk_add_f32 v[14:15], v[16:17], 1.0 op_sel_hi:[1,0]
	v_pk_add_f32 v[16:17], v[20:21], 1.0 op_sel_hi:[1,0]
	v_cvt_f32_f16_sdwa v21, v5 dst_sel:DWORD dst_unused:UNUSED_PAD src0_sel:WORD_1
	v_cvt_f32_f16_e32 v20, v5
	v_pk_add_f32 v[4:5], v[18:19], 1.0 op_sel_hi:[1,0]
	;;#ASMSTART
	v_pk_mul_f32 v[14:15], v[26:27], v[14:15]
	;;#ASMEND
	;;#ASMSTART
	v_pk_mul_f32 v[16:17], v[24:25], v[16:17]
	;;#ASMEND
	;; [unrolled: 3-line block ×3, first 2 shown]
	v_pk_add_f32 v[4:5], v[20:21], 1.0 op_sel_hi:[1,0]
	;;#ASMSTART
	v_pk_mul_f32 v[6:7], v[6:7], v[4:5]
	;;#ASMEND
	v_cvt_f16_f32_e32 v0, v10
	v_cvt_f16_f32_e32 v4, v11
	;; [unrolled: 1-line block ×8, first 2 shown]
	s_add_u32 s8, s14, s0
	s_addc_u32 s0, s15, s1
	s_and_b32 s9, s0, 0xffff
	v_pack_b32_f16 v2, v0, v4
	v_pack_b32_f16 v3, v5, v8
	;; [unrolled: 1-line block ×4, first 2 shown]
	buffer_store_dwordx4 v[2:5], v1, s[8:11], 0 offen
	v_cvt_f16_f32_e32 v0, v14
	v_cvt_f16_f32_e32 v2, v15
	;; [unrolled: 1-line block ×8, first 2 shown]
	v_pack_b32_f16 v2, v0, v2
	v_pack_b32_f16 v3, v3, v4
	;; [unrolled: 1-line block ×4, first 2 shown]
	;;#ASMSTART
	s_nop 0
	;;#ASMEND
	buffer_store_dwordx4 v[2:5], v1, s[8:11], 16 offen
	;;#ASMSTART
	s_nop 0
	;;#ASMEND
	s_endpgm
	.section	.rodata,"a",@progbits
	.p2align	6, 0x0
	.amdhsa_kernel _ZN5aiter35fused_qk_rmsnorm_group_quant_kernelIDF16_DB8_Li256ELi16ELi4ELb0ELb1ELb1ELb1ELb0ELb0EEEvPT0_PvPT_S6_S6_PKS5_S8_S8_S8_S8_ffiiiiiiiiiiiii
		.amdhsa_group_segment_fixed_size 32
		.amdhsa_private_segment_fixed_size 0
		.amdhsa_kernarg_size 400
		.amdhsa_user_sgpr_count 6
		.amdhsa_user_sgpr_private_segment_buffer 1
		.amdhsa_user_sgpr_dispatch_ptr 0
		.amdhsa_user_sgpr_queue_ptr 0
		.amdhsa_user_sgpr_kernarg_segment_ptr 1
		.amdhsa_user_sgpr_dispatch_id 0
		.amdhsa_user_sgpr_flat_scratch_init 0
		.amdhsa_user_sgpr_kernarg_preload_length 0
		.amdhsa_user_sgpr_kernarg_preload_offset 0
		.amdhsa_user_sgpr_private_segment_size 0
		.amdhsa_uses_dynamic_stack 0
		.amdhsa_system_sgpr_private_segment_wavefront_offset 0
		.amdhsa_system_sgpr_workgroup_id_x 1
		.amdhsa_system_sgpr_workgroup_id_y 1
		.amdhsa_system_sgpr_workgroup_id_z 0
		.amdhsa_system_sgpr_workgroup_info 0
		.amdhsa_system_vgpr_workitem_id 0
		.amdhsa_next_free_vgpr 35
		.amdhsa_next_free_sgpr 32
		.amdhsa_accum_offset 36
		.amdhsa_reserve_vcc 1
		.amdhsa_reserve_flat_scratch 0
		.amdhsa_float_round_mode_32 0
		.amdhsa_float_round_mode_16_64 0
		.amdhsa_float_denorm_mode_32 3
		.amdhsa_float_denorm_mode_16_64 3
		.amdhsa_dx10_clamp 1
		.amdhsa_ieee_mode 1
		.amdhsa_fp16_overflow 0
		.amdhsa_tg_split 0
		.amdhsa_exception_fp_ieee_invalid_op 0
		.amdhsa_exception_fp_denorm_src 0
		.amdhsa_exception_fp_ieee_div_zero 0
		.amdhsa_exception_fp_ieee_overflow 0
		.amdhsa_exception_fp_ieee_underflow 0
		.amdhsa_exception_fp_ieee_inexact 0
		.amdhsa_exception_int_div_zero 0
	.end_amdhsa_kernel
	.section	.text._ZN5aiter35fused_qk_rmsnorm_group_quant_kernelIDF16_DB8_Li256ELi16ELi4ELb0ELb1ELb1ELb1ELb0ELb0EEEvPT0_PvPT_S6_S6_PKS5_S8_S8_S8_S8_ffiiiiiiiiiiiii,"axG",@progbits,_ZN5aiter35fused_qk_rmsnorm_group_quant_kernelIDF16_DB8_Li256ELi16ELi4ELb0ELb1ELb1ELb1ELb0ELb0EEEvPT0_PvPT_S6_S6_PKS5_S8_S8_S8_S8_ffiiiiiiiiiiiii,comdat
.Lfunc_end801:
	.size	_ZN5aiter35fused_qk_rmsnorm_group_quant_kernelIDF16_DB8_Li256ELi16ELi4ELb0ELb1ELb1ELb1ELb0ELb0EEEvPT0_PvPT_S6_S6_PKS5_S8_S8_S8_S8_ffiiiiiiiiiiiii, .Lfunc_end801-_ZN5aiter35fused_qk_rmsnorm_group_quant_kernelIDF16_DB8_Li256ELi16ELi4ELb0ELb1ELb1ELb1ELb0ELb0EEEvPT0_PvPT_S6_S6_PKS5_S8_S8_S8_S8_ffiiiiiiiiiiiii
                                        ; -- End function
	.section	.AMDGPU.csdata,"",@progbits
; Kernel info:
; codeLenInByte = 2968
; NumSgprs: 36
; NumVgprs: 35
; NumAgprs: 0
; TotalNumVgprs: 35
; ScratchSize: 0
; MemoryBound: 0
; FloatMode: 240
; IeeeMode: 1
; LDSByteSize: 32 bytes/workgroup (compile time only)
; SGPRBlocks: 4
; VGPRBlocks: 4
; NumSGPRsForWavesPerEU: 36
; NumVGPRsForWavesPerEU: 35
; AccumOffset: 36
; Occupancy: 8
; WaveLimiterHint : 0
; COMPUTE_PGM_RSRC2:SCRATCH_EN: 0
; COMPUTE_PGM_RSRC2:USER_SGPR: 6
; COMPUTE_PGM_RSRC2:TRAP_HANDLER: 0
; COMPUTE_PGM_RSRC2:TGID_X_EN: 1
; COMPUTE_PGM_RSRC2:TGID_Y_EN: 1
; COMPUTE_PGM_RSRC2:TGID_Z_EN: 0
; COMPUTE_PGM_RSRC2:TIDIG_COMP_CNT: 0
; COMPUTE_PGM_RSRC3_GFX90A:ACCUM_OFFSET: 8
; COMPUTE_PGM_RSRC3_GFX90A:TG_SPLIT: 0
	.section	.text._ZN5aiter35fused_qk_rmsnorm_group_quant_kernelItDB8_Li256ELi16ELi4ELb0ELb1ELb1ELb1ELb0ELb0EEEvPT0_PvPT_S6_S6_PKS5_S8_S8_S8_S8_ffiiiiiiiiiiiii,"axG",@progbits,_ZN5aiter35fused_qk_rmsnorm_group_quant_kernelItDB8_Li256ELi16ELi4ELb0ELb1ELb1ELb1ELb0ELb0EEEvPT0_PvPT_S6_S6_PKS5_S8_S8_S8_S8_ffiiiiiiiiiiiii,comdat
	.protected	_ZN5aiter35fused_qk_rmsnorm_group_quant_kernelItDB8_Li256ELi16ELi4ELb0ELb1ELb1ELb1ELb0ELb0EEEvPT0_PvPT_S6_S6_PKS5_S8_S8_S8_S8_ffiiiiiiiiiiiii ; -- Begin function _ZN5aiter35fused_qk_rmsnorm_group_quant_kernelItDB8_Li256ELi16ELi4ELb0ELb1ELb1ELb1ELb0ELb0EEEvPT0_PvPT_S6_S6_PKS5_S8_S8_S8_S8_ffiiiiiiiiiiiii
	.globl	_ZN5aiter35fused_qk_rmsnorm_group_quant_kernelItDB8_Li256ELi16ELi4ELb0ELb1ELb1ELb1ELb0ELb0EEEvPT0_PvPT_S6_S6_PKS5_S8_S8_S8_S8_ffiiiiiiiiiiiii
	.p2align	8
	.type	_ZN5aiter35fused_qk_rmsnorm_group_quant_kernelItDB8_Li256ELi16ELi4ELb0ELb1ELb1ELb1ELb0ELb0EEEvPT0_PvPT_S6_S6_PKS5_S8_S8_S8_S8_ffiiiiiiiiiiiii,@function
_ZN5aiter35fused_qk_rmsnorm_group_quant_kernelItDB8_Li256ELi16ELi4ELb0ELb1ELb1ELb1ELb0ELb0EEEvPT0_PvPT_S6_S6_PKS5_S8_S8_S8_S8_ffiiiiiiiiiiiii: ; @_ZN5aiter35fused_qk_rmsnorm_group_quant_kernelItDB8_Li256ELi16ELi4ELb0ELb1ELb1ELb1ELb0ELb0EEEvPT0_PvPT_S6_S6_PKS5_S8_S8_S8_S8_ffiiiiiiiiiiiii
; %bb.0:
	s_load_dwordx4 s[12:15], s[4:5], 0x50
	s_waitcnt lgkmcnt(0)
	s_cmp_ge_i32 s6, s14
	s_cbranch_scc1 .LBB802_12
; %bb.1:
	s_load_dwordx2 s[24:25], s[4:5], 0x30
	s_load_dwordx2 s[8:9], s[4:5], 0x48
	s_load_dwordx4 s[16:19], s[4:5], 0x60
	s_cmp_lg_u32 s7, 0
	s_cselect_b64 s[10:11], -1, 0
	s_cmp_eq_u32 s7, 0
	s_cselect_b64 vcc, -1, 0
	s_and_b64 s[0:1], vcc, exec
	s_waitcnt lgkmcnt(0)
	s_cselect_b32 s7, s15, s16
	s_add_i32 s0, s7, 1
	s_lshr_b32 s1, s0, 31
	s_add_i32 s0, s0, s1
	s_lshl_b32 s0, s0, 1
	v_lshlrev_b32_e32 v1, 4, v0
	s_and_b32 s22, s0, -4
	v_cmp_gt_i32_e64 s[2:3], s7, v1
	v_mov_b32_e32 v18, 0
	v_mov_b32_e32 v6, 0
	;; [unrolled: 1-line block ×17, first 2 shown]
	s_and_saveexec_b64 s[0:1], s[2:3]
	s_cbranch_execz .LBB802_3
; %bb.2:
	s_load_dwordx2 s[14:15], s[4:5], 0x28
	s_load_dwordx2 s[20:21], s[4:5], 0x40
	s_and_b64 s[26:27], vcc, exec
	s_cselect_b32 s17, s17, s18
	s_mov_b32 s30, s22
	s_waitcnt lgkmcnt(0)
	s_cselect_b32 s19, s15, s25
	s_cselect_b32 s23, s14, s24
	s_mul_hi_i32 s15, s17, s6
	s_mul_i32 s14, s17, s6
	s_lshl_b64 s[14:15], s[14:15], 1
	s_add_u32 s28, s23, s14
	s_addc_u32 s17, s19, s15
	s_and_b64 s[14:15], vcc, exec
	s_mov_b32 s23, 0x20000
	s_cselect_b32 s20, s20, s8
	s_cselect_b32 s14, s21, s9
	s_and_b32 s29, s17, 0xffff
	s_mov_b32 s31, s23
	v_lshlrev_b32_e32 v19, 5, v0
	s_and_b32 s21, s14, 0xffff
	buffer_load_dwordx4 v[14:17], v19, s[28:31], 0 offen
	buffer_load_dwordx4 v[10:13], v19, s[28:31], 16 offen
	;; [unrolled: 1-line block ×4, first 2 shown]
.LBB802_3:
	s_or_b64 exec, exec, s[0:1]
	v_mov_b32_e32 v19, 0
	v_mov_b32_e32 v20, 0
	;; [unrolled: 1-line block ×15, first 2 shown]
	s_and_saveexec_b64 s[0:1], s[2:3]
	s_cbranch_execz .LBB802_5
; %bb.4:
	s_waitcnt vmcnt(3)
	v_cvt_f32_u32_sdwa v18, v14 dst_sel:DWORD dst_unused:UNUSED_PAD src0_sel:WORD_0
	v_cvt_f32_u32_sdwa v19, v14 dst_sel:DWORD dst_unused:UNUSED_PAD src0_sel:WORD_1
	v_cvt_f32_u32_sdwa v20, v15 dst_sel:DWORD dst_unused:UNUSED_PAD src0_sel:WORD_0
	v_cvt_f32_u32_sdwa v21, v15 dst_sel:DWORD dst_unused:UNUSED_PAD src0_sel:WORD_1
	;; [unrolled: 2-line block ×4, first 2 shown]
	s_waitcnt vmcnt(2)
	v_cvt_f32_u32_sdwa v24, v10 dst_sel:DWORD dst_unused:UNUSED_PAD src0_sel:WORD_0
	v_cvt_f32_u32_sdwa v25, v10 dst_sel:DWORD dst_unused:UNUSED_PAD src0_sel:WORD_1
	v_cvt_f32_u32_sdwa v30, v11 dst_sel:DWORD dst_unused:UNUSED_PAD src0_sel:WORD_0
	v_cvt_f32_u32_sdwa v31, v11 dst_sel:DWORD dst_unused:UNUSED_PAD src0_sel:WORD_1
	;; [unrolled: 2-line block ×4, first 2 shown]
.LBB802_5:
	s_or_b64 exec, exec, s[0:1]
	s_waitcnt vmcnt(2)
	v_mul_f32_e32 v10, v19, v19
	v_fmac_f32_e32 v10, v18, v18
	v_fmac_f32_e32 v10, v20, v20
	;; [unrolled: 1-line block ×15, first 2 shown]
	v_and_b32_e32 v12, 63, v0
	v_cmp_eq_u32_e64 s[0:1], 63, v12
	v_mov_b32_dpp v11, v10 quad_perm:[1,0,3,2] row_mask:0xf bank_mask:0xf
	v_add_f32_e32 v10, v10, v11
	s_nop 1
	v_mov_b32_dpp v11, v10 quad_perm:[2,3,0,1] row_mask:0xf bank_mask:0xf
	v_add_f32_e32 v10, v10, v11
	s_nop 1
	v_mov_b32_dpp v11, v10 row_half_mirror row_mask:0xf bank_mask:0xf
	v_add_f32_e32 v10, v10, v11
	s_nop 1
	v_mov_b32_dpp v11, v10 row_mirror row_mask:0xf bank_mask:0xf
	v_add_f32_e32 v10, v10, v11
	s_nop 1
	v_mov_b32_dpp v11, v10 row_bcast:15 row_mask:0xf bank_mask:0xf
	v_add_f32_e32 v10, v10, v11
	s_nop 1
	v_mov_b32_dpp v11, v10 row_bcast:31 row_mask:0xf bank_mask:0xf
	s_and_saveexec_b64 s[14:15], s[0:1]
	s_cbranch_execz .LBB802_7
; %bb.6:
	v_add_f32_e32 v10, v10, v11
	v_lshrrev_b32_e32 v11, 4, v0
	v_and_b32_e32 v11, 60, v11
	ds_write_b32 v11, v10 offset:16
.LBB802_7:
	s_or_b64 exec, exec, s[14:15]
	v_and_b32_e32 v10, 3, v0
	v_lshlrev_b32_e32 v34, 2, v10
	s_waitcnt lgkmcnt(0)
	s_barrier
	ds_read_b32 v10, v34 offset:16
	s_load_dwordx2 s[14:15], s[4:5], 0x18
	s_waitcnt lgkmcnt(0)
	v_mov_b32_dpp v11, v10 quad_perm:[1,0,3,2] row_mask:0xf bank_mask:0xf
	v_add_f32_e32 v10, v10, v11
	s_nop 1
	v_mov_b32_dpp v11, v10 quad_perm:[2,3,0,1] row_mask:0xf bank_mask:0xf
	s_and_saveexec_b64 s[20:21], s[2:3]
	s_cbranch_execz .LBB802_9
; %bb.8:
	v_cvt_f32_u32_e32 v12, s7
	v_add_f32_e32 v10, v10, v11
	v_mov_b32_e32 v14, s13
	v_mov_b32_e32 v15, s12
	v_div_scale_f32 v11, s[26:27], v12, v12, v10
	v_rcp_f32_e32 v13, v11
	v_cndmask_b32_e32 v14, v14, v15, vcc
	s_mov_b32 s7, 0x800000
	v_fma_f32 v15, -v11, v13, 1.0
	v_fmac_f32_e32 v13, v15, v13
	v_div_scale_f32 v15, vcc, v10, v12, v10
	v_mul_f32_e32 v16, v15, v13
	v_fma_f32 v17, -v11, v16, v15
	v_fmac_f32_e32 v16, v17, v13
	v_fma_f32 v11, -v11, v16, v15
	v_div_fmas_f32 v11, v11, v13, v16
	v_div_fixup_f32 v10, v11, v12, v10
	v_add_f32_e32 v10, v14, v10
	v_mul_f32_e32 v11, 0x4b800000, v10
	v_cmp_gt_f32_e32 vcc, s7, v10
	v_cndmask_b32_e32 v10, v10, v11, vcc
	v_rsq_f32_e32 v10, v10
	v_mul_f32_e32 v11, 0x45800000, v10
	v_cndmask_b32_e32 v10, v10, v11, vcc
	v_mov_b32_e32 v11, v10
	;;#ASMSTART
	v_pk_mul_f32 v[12:13], v[18:19], v[10:11]
	;;#ASMEND
	s_waitcnt vmcnt(1)
	v_cvt_f32_u32_sdwa v19, v6 dst_sel:DWORD dst_unused:UNUSED_PAD src0_sel:WORD_1
	v_cvt_f32_u32_sdwa v18, v6 dst_sel:DWORD dst_unused:UNUSED_PAD src0_sel:WORD_0
	;;#ASMSTART
	v_pk_mul_f32 v[14:15], v[20:21], v[10:11]
	;;#ASMEND
	v_cvt_f32_u32_sdwa v21, v7 dst_sel:DWORD dst_unused:UNUSED_PAD src0_sel:WORD_1
	v_cvt_f32_u32_sdwa v20, v7 dst_sel:DWORD dst_unused:UNUSED_PAD src0_sel:WORD_0
	;;#ASMSTART
	v_pk_mul_f32 v[16:17], v[22:23], v[10:11]
	;;#ASMEND
	;;#ASMSTART
	v_pk_mul_f32 v[26:27], v[26:27], v[10:11]
	;;#ASMEND
	;; [unrolled: 3-line block ×6, first 2 shown]
	v_pk_add_f32 v[10:11], v[18:19], 1.0 op_sel_hi:[1,0]
	;;#ASMSTART
	v_pk_mul_f32 v[18:19], v[12:13], v[10:11]
	;;#ASMEND
	v_cvt_f32_u32_sdwa v13, v8 dst_sel:DWORD dst_unused:UNUSED_PAD src0_sel:WORD_1
	v_cvt_f32_u32_sdwa v12, v8 dst_sel:DWORD dst_unused:UNUSED_PAD src0_sel:WORD_0
	v_cvt_f32_u32_sdwa v29, v9 dst_sel:DWORD dst_unused:UNUSED_PAD src0_sel:WORD_1
	v_cvt_f32_u32_sdwa v28, v9 dst_sel:DWORD dst_unused:UNUSED_PAD src0_sel:WORD_0
	v_pk_add_f32 v[10:11], v[20:21], 1.0 op_sel_hi:[1,0]
	;;#ASMSTART
	v_pk_mul_f32 v[20:21], v[14:15], v[10:11]
	;;#ASMEND
	s_waitcnt vmcnt(0)
	v_cvt_f32_u32_sdwa v11, v2 dst_sel:DWORD dst_unused:UNUSED_PAD src0_sel:WORD_1
	v_cvt_f32_u32_sdwa v10, v2 dst_sel:DWORD dst_unused:UNUSED_PAD src0_sel:WORD_0
	v_pk_add_f32 v[8:9], v[12:13], 1.0 op_sel_hi:[1,0]
	;;#ASMSTART
	v_pk_mul_f32 v[22:23], v[16:17], v[8:9]
	;;#ASMEND
	v_pk_add_f32 v[8:9], v[28:29], 1.0 op_sel_hi:[1,0]
	v_cvt_f32_u32_sdwa v13, v3 dst_sel:DWORD dst_unused:UNUSED_PAD src0_sel:WORD_1
	v_cvt_f32_u32_sdwa v12, v3 dst_sel:DWORD dst_unused:UNUSED_PAD src0_sel:WORD_0
	;;#ASMSTART
	v_pk_mul_f32 v[26:27], v[26:27], v[8:9]
	;;#ASMEND
	v_cvt_f32_u32_sdwa v9, v4 dst_sel:DWORD dst_unused:UNUSED_PAD src0_sel:WORD_1
	v_cvt_f32_u32_sdwa v8, v4 dst_sel:DWORD dst_unused:UNUSED_PAD src0_sel:WORD_0
	v_pk_add_f32 v[2:3], v[10:11], 1.0 op_sel_hi:[1,0]
	v_cvt_f32_u32_sdwa v11, v5 dst_sel:DWORD dst_unused:UNUSED_PAD src0_sel:WORD_1
	v_cvt_f32_u32_sdwa v10, v5 dst_sel:DWORD dst_unused:UNUSED_PAD src0_sel:WORD_0
	;;#ASMSTART
	v_pk_mul_f32 v[24:25], v[24:25], v[2:3]
	;;#ASMEND
	v_pk_add_f32 v[2:3], v[12:13], 1.0 op_sel_hi:[1,0]
	;;#ASMSTART
	v_pk_mul_f32 v[30:31], v[30:31], v[2:3]
	;;#ASMEND
	v_pk_add_f32 v[2:3], v[8:9], 1.0 op_sel_hi:[1,0]
	;; [unrolled: 4-line block ×3, first 2 shown]
	;;#ASMSTART
	v_pk_mul_f32 v[28:29], v[6:7], v[2:3]
	;;#ASMEND
.LBB802_9:
	s_or_b64 exec, exec, s[20:21]
	s_load_dwordx2 s[26:27], s[4:5], 0x7c
	s_mov_b64 s[20:21], -1
	s_and_b64 vcc, exec, s[10:11]
	s_cbranch_vccnz .LBB802_13
; %bb.10:
	s_andn2_b64 vcc, exec, s[20:21]
	s_cbranch_vccz .LBB802_16
.LBB802_11:
	s_cmp_lt_i32 s16, 1
	s_cbranch_scc0 .LBB802_19
.LBB802_12:
	s_endpgm
.LBB802_13:
	s_and_saveexec_b64 s[10:11], s[2:3]
	s_cbranch_execz .LBB802_15
; %bb.14:
	s_waitcnt lgkmcnt(0)
	s_mul_hi_i32 s21, s27, s6
	s_mul_i32 s20, s27, s6
	s_lshl_b64 s[20:21], s[20:21], 1
	s_add_u32 s20, s14, s20
	s_addc_u32 s7, s15, s21
	s_and_b32 s21, s7, 0xffff
	s_mov_b32 s7, 0x7060302
	s_mov_b32 s23, 0x20000
	s_waitcnt vmcnt(0)
	v_perm_b32 v5, v27, v26, s7
	v_perm_b32 v4, v23, v22, s7
	;; [unrolled: 1-line block ×4, first 2 shown]
	v_lshlrev_b32_e32 v6, 5, v0
	buffer_store_dwordx4 v[2:5], v6, s[20:23], 0 offen
	;;#ASMSTART
	s_nop 0
	;;#ASMEND
	s_nop 0
	v_perm_b32 v5, v29, v28, s7
	v_perm_b32 v4, v33, v32, s7
	;; [unrolled: 1-line block ×4, first 2 shown]
	buffer_store_dwordx4 v[2:5], v6, s[20:23], 16 offen
	;;#ASMSTART
	s_nop 0
	;;#ASMEND
.LBB802_15:
	s_or_b64 exec, exec, s[10:11]
	s_cbranch_execnz .LBB802_11
.LBB802_16:
	s_and_saveexec_b64 s[10:11], s[2:3]
	s_cbranch_execz .LBB802_18
; %bb.17:
	s_load_dwordx2 s[2:3], s[4:5], 0x10
	s_waitcnt lgkmcnt(0)
	s_mul_hi_i32 s21, s26, s6
	s_mul_i32 s20, s26, s6
	s_lshl_b64 s[20:21], s[20:21], 1
	s_mov_b32 s23, 0x20000
	s_add_u32 s20, s2, s20
	s_addc_u32 s2, s3, s21
	s_and_b32 s21, s2, 0xffff
	s_mov_b32 s2, 0x7060302
	s_waitcnt vmcnt(0)
	v_perm_b32 v5, v27, v26, s2
	v_perm_b32 v4, v23, v22, s2
	;; [unrolled: 1-line block ×4, first 2 shown]
	v_lshlrev_b32_e32 v6, 5, v0
	buffer_store_dwordx4 v[2:5], v6, s[20:23], 0 offen
	;;#ASMSTART
	s_nop 0
	;;#ASMEND
	s_nop 0
	v_perm_b32 v5, v29, v28, s2
	v_perm_b32 v4, v33, v32, s2
	;; [unrolled: 1-line block ×4, first 2 shown]
	buffer_store_dwordx4 v[2:5], v6, s[20:23], 16 offen
	;;#ASMSTART
	s_nop 0
	;;#ASMEND
.LBB802_18:
	s_or_b64 exec, exec, s[10:11]
	s_cmp_lt_i32 s16, 1
	s_cbranch_scc1 .LBB802_12
.LBB802_19:
	s_load_dword s2, s[4:5], 0x94
	s_waitcnt lgkmcnt(0)
	s_cmp_lg_u32 s2, 1
	s_cbranch_scc1 .LBB802_12
; %bb.20:
	s_lshl_b32 s2, s16, 1
	s_add_i32 s2, s2, 2
	v_cmp_gt_u32_e32 vcc, s16, v1
	s_and_b32 s10, s2, -4
	v_mov_b32_e32 v18, 0
	v_lshlrev_b32_e32 v1, 5, v0
	v_mov_b32_e32 v14, 0
	v_mov_b32_e32 v15, 0
	;; [unrolled: 1-line block ×8, first 2 shown]
	s_waitcnt vmcnt(1)
	v_mov_b32_e32 v6, 0
	v_mov_b32_e32 v7, 0
	;; [unrolled: 1-line block ×4, first 2 shown]
	s_waitcnt vmcnt(0)
	v_mov_b32_e32 v2, 0
	v_mov_b32_e32 v3, 0
	;; [unrolled: 1-line block ×4, first 2 shown]
	s_barrier
	s_and_saveexec_b64 s[2:3], vcc
	s_cbranch_execz .LBB802_22
; %bb.21:
	s_mul_hi_i32 s5, s18, s6
	s_mul_i32 s4, s18, s6
	s_and_b32 s9, s9, 0xffff
	s_lshl_b64 s[4:5], s[4:5], 1
	s_add_u32 s20, s24, s4
	s_mov_b32 s11, 0x20000
	s_addc_u32 s4, s25, s5
	s_and_b32 s21, s4, 0xffff
	s_mov_b32 s22, s10
	s_mov_b32 s23, s11
	buffer_load_dwordx4 v[14:17], v1, s[20:23], 0 offen
	buffer_load_dwordx4 v[10:13], v1, s[20:23], 16 offen
	;; [unrolled: 1-line block ×4, first 2 shown]
.LBB802_22:
	s_or_b64 exec, exec, s[2:3]
	v_mov_b32_e32 v19, 0
	v_mov_b32_e32 v32, 0
	;; [unrolled: 1-line block ×15, first 2 shown]
	s_and_saveexec_b64 s[2:3], vcc
	s_cbranch_execz .LBB802_24
; %bb.23:
	s_waitcnt vmcnt(3)
	v_cvt_f32_u32_sdwa v18, v14 dst_sel:DWORD dst_unused:UNUSED_PAD src0_sel:WORD_0
	v_cvt_f32_u32_sdwa v19, v14 dst_sel:DWORD dst_unused:UNUSED_PAD src0_sel:WORD_1
	v_cvt_f32_u32_sdwa v32, v15 dst_sel:DWORD dst_unused:UNUSED_PAD src0_sel:WORD_0
	v_cvt_f32_u32_sdwa v33, v15 dst_sel:DWORD dst_unused:UNUSED_PAD src0_sel:WORD_1
	;; [unrolled: 2-line block ×4, first 2 shown]
	s_waitcnt vmcnt(2)
	v_cvt_f32_u32_sdwa v26, v10 dst_sel:DWORD dst_unused:UNUSED_PAD src0_sel:WORD_0
	v_cvt_f32_u32_sdwa v27, v10 dst_sel:DWORD dst_unused:UNUSED_PAD src0_sel:WORD_1
	v_cvt_f32_u32_sdwa v24, v11 dst_sel:DWORD dst_unused:UNUSED_PAD src0_sel:WORD_0
	v_cvt_f32_u32_sdwa v25, v11 dst_sel:DWORD dst_unused:UNUSED_PAD src0_sel:WORD_1
	v_cvt_f32_u32_sdwa v22, v12 dst_sel:DWORD dst_unused:UNUSED_PAD src0_sel:WORD_0
	v_cvt_f32_u32_sdwa v23, v12 dst_sel:DWORD dst_unused:UNUSED_PAD src0_sel:WORD_1
	v_cvt_f32_u32_sdwa v20, v13 dst_sel:DWORD dst_unused:UNUSED_PAD src0_sel:WORD_0
	v_cvt_f32_u32_sdwa v21, v13 dst_sel:DWORD dst_unused:UNUSED_PAD src0_sel:WORD_1
.LBB802_24:
	s_or_b64 exec, exec, s[2:3]
	s_waitcnt vmcnt(2)
	v_mul_f32_e32 v10, v19, v19
	v_fmac_f32_e32 v10, v18, v18
	v_fmac_f32_e32 v10, v32, v32
	v_fmac_f32_e32 v10, v33, v33
	v_fmac_f32_e32 v10, v30, v30
	v_fmac_f32_e32 v10, v31, v31
	v_fmac_f32_e32 v10, v28, v28
	v_fmac_f32_e32 v10, v29, v29
	v_fmac_f32_e32 v10, v26, v26
	v_fmac_f32_e32 v10, v27, v27
	v_fmac_f32_e32 v10, v24, v24
	v_fmac_f32_e32 v10, v25, v25
	v_fmac_f32_e32 v10, v22, v22
	v_fmac_f32_e32 v10, v23, v23
	v_fmac_f32_e32 v10, v20, v20
	v_fmac_f32_e32 v10, v21, v21
	s_nop 1
	v_mov_b32_dpp v11, v10 quad_perm:[1,0,3,2] row_mask:0xf bank_mask:0xf
	v_add_f32_e32 v10, v10, v11
	s_nop 1
	v_mov_b32_dpp v11, v10 quad_perm:[2,3,0,1] row_mask:0xf bank_mask:0xf
	v_add_f32_e32 v10, v10, v11
	s_nop 1
	v_mov_b32_dpp v11, v10 row_half_mirror row_mask:0xf bank_mask:0xf
	v_add_f32_e32 v10, v10, v11
	s_nop 1
	v_mov_b32_dpp v11, v10 row_mirror row_mask:0xf bank_mask:0xf
	v_add_f32_e32 v10, v10, v11
	s_nop 1
	v_mov_b32_dpp v11, v10 row_bcast:15 row_mask:0xf bank_mask:0xf
	v_add_f32_e32 v10, v10, v11
	s_nop 1
	v_mov_b32_dpp v11, v10 row_bcast:31 row_mask:0xf bank_mask:0xf
	s_and_saveexec_b64 s[2:3], s[0:1]
	s_cbranch_execz .LBB802_26
; %bb.25:
	v_lshrrev_b32_e32 v0, 4, v0
	v_add_f32_e32 v10, v10, v11
	v_and_b32_e32 v0, 60, v0
	ds_write_b32 v0, v10
.LBB802_26:
	s_or_b64 exec, exec, s[2:3]
	s_waitcnt lgkmcnt(0)
	s_barrier
	ds_read_b32 v0, v34
	s_waitcnt lgkmcnt(0)
	s_nop 0
	v_mov_b32_dpp v10, v0 quad_perm:[1,0,3,2] row_mask:0xf bank_mask:0xf
	v_add_f32_e32 v0, v0, v10
	s_nop 1
	v_mov_b32_dpp v10, v0 quad_perm:[2,3,0,1] row_mask:0xf bank_mask:0xf
	s_and_saveexec_b64 s[0:1], vcc
	s_cbranch_execz .LBB802_12
; %bb.27:
	v_cvt_f32_u32_e32 v11, s16
	v_add_f32_e32 v0, v0, v10
	s_mov_b32 s11, 0x20000
	v_div_scale_f32 v10, s[0:1], v11, v11, v0
	v_rcp_f32_e32 v12, v10
	v_div_scale_f32 v13, vcc, v0, v11, v0
	s_mov_b32 s0, 0x800000
	v_fma_f32 v14, -v10, v12, 1.0
	v_fmac_f32_e32 v12, v14, v12
	v_mul_f32_e32 v14, v13, v12
	v_fma_f32 v15, -v10, v14, v13
	v_fmac_f32_e32 v14, v15, v12
	v_fma_f32 v10, -v10, v14, v13
	v_div_fmas_f32 v10, v10, v12, v14
	v_div_fixup_f32 v0, v10, v11, v0
	v_add_f32_e32 v0, s13, v0
	v_mul_f32_e32 v10, 0x4b800000, v0
	v_cmp_gt_f32_e32 vcc, s0, v0
	v_cndmask_b32_e32 v0, v0, v10, vcc
	v_rsq_f32_e32 v0, v0
	s_mul_hi_i32 s1, s27, s6
	s_mul_i32 s0, s27, s6
	s_lshl_b64 s[0:1], s[0:1], 1
	v_mul_f32_e32 v10, 0x45800000, v0
	v_cndmask_b32_e32 v10, v0, v10, vcc
	v_mov_b32_e32 v11, v10
	;;#ASMSTART
	v_pk_mul_f32 v[12:13], v[18:19], v[10:11]
	;;#ASMEND
	;;#ASMSTART
	v_pk_mul_f32 v[14:15], v[32:33], v[10:11]
	;;#ASMEND
	;; [unrolled: 3-line block ×4, first 2 shown]
	s_waitcnt vmcnt(1)
	v_cvt_f32_u32_sdwa v29, v6 dst_sel:DWORD dst_unused:UNUSED_PAD src0_sel:WORD_1
	v_cvt_f32_u32_sdwa v28, v6 dst_sel:DWORD dst_unused:UNUSED_PAD src0_sel:WORD_0
	v_cvt_f32_u32_sdwa v31, v7 dst_sel:DWORD dst_unused:UNUSED_PAD src0_sel:WORD_1
	v_cvt_f32_u32_sdwa v30, v7 dst_sel:DWORD dst_unused:UNUSED_PAD src0_sel:WORD_0
	;;#ASMSTART
	v_pk_mul_f32 v[26:27], v[26:27], v[10:11]
	;;#ASMEND
	;;#ASMSTART
	v_pk_mul_f32 v[24:25], v[24:25], v[10:11]
	;;#ASMEND
	;; [unrolled: 3-line block ×4, first 2 shown]
	v_cvt_f32_u32_sdwa v21, v8 dst_sel:DWORD dst_unused:UNUSED_PAD src0_sel:WORD_1
	v_cvt_f32_u32_sdwa v20, v8 dst_sel:DWORD dst_unused:UNUSED_PAD src0_sel:WORD_0
	v_pk_add_f32 v[10:11], v[28:29], 1.0 op_sel_hi:[1,0]
	;;#ASMSTART
	v_pk_mul_f32 v[10:11], v[12:13], v[10:11]
	;;#ASMEND
	v_pk_add_f32 v[12:13], v[30:31], 1.0 op_sel_hi:[1,0]
	v_cvt_f32_u32_sdwa v29, v9 dst_sel:DWORD dst_unused:UNUSED_PAD src0_sel:WORD_1
	v_cvt_f32_u32_sdwa v28, v9 dst_sel:DWORD dst_unused:UNUSED_PAD src0_sel:WORD_0
	;;#ASMSTART
	v_pk_mul_f32 v[8:9], v[14:15], v[12:13]
	;;#ASMEND
	v_pk_add_f32 v[12:13], v[20:21], 1.0 op_sel_hi:[1,0]
	;;#ASMSTART
	v_pk_mul_f32 v[12:13], v[16:17], v[12:13]
	;;#ASMEND
	s_waitcnt vmcnt(0)
	v_cvt_f32_u32_sdwa v17, v2 dst_sel:DWORD dst_unused:UNUSED_PAD src0_sel:WORD_1
	v_cvt_f32_u32_sdwa v16, v2 dst_sel:DWORD dst_unused:UNUSED_PAD src0_sel:WORD_0
	v_cvt_f32_u32_sdwa v21, v3 dst_sel:DWORD dst_unused:UNUSED_PAD src0_sel:WORD_1
	v_cvt_f32_u32_sdwa v20, v3 dst_sel:DWORD dst_unused:UNUSED_PAD src0_sel:WORD_0
	v_pk_add_f32 v[14:15], v[28:29], 1.0 op_sel_hi:[1,0]
	;;#ASMSTART
	v_pk_mul_f32 v[14:15], v[18:19], v[14:15]
	;;#ASMEND
	v_pk_add_f32 v[2:3], v[16:17], 1.0 op_sel_hi:[1,0]
	v_cvt_f32_u32_sdwa v19, v4 dst_sel:DWORD dst_unused:UNUSED_PAD src0_sel:WORD_1
	v_cvt_f32_u32_sdwa v18, v4 dst_sel:DWORD dst_unused:UNUSED_PAD src0_sel:WORD_0
	;;#ASMSTART
	v_pk_mul_f32 v[16:17], v[26:27], v[2:3]
	;;#ASMEND
	v_pk_add_f32 v[2:3], v[20:21], 1.0 op_sel_hi:[1,0]
	v_cvt_f32_u32_sdwa v21, v5 dst_sel:DWORD dst_unused:UNUSED_PAD src0_sel:WORD_1
	v_cvt_f32_u32_sdwa v20, v5 dst_sel:DWORD dst_unused:UNUSED_PAD src0_sel:WORD_0
	s_add_u32 s8, s14, s0
	;;#ASMSTART
	v_pk_mul_f32 v[24:25], v[24:25], v[2:3]
	;;#ASMEND
	v_pk_add_f32 v[2:3], v[18:19], 1.0 op_sel_hi:[1,0]
	s_addc_u32 s0, s15, s1
	;;#ASMSTART
	v_pk_mul_f32 v[18:19], v[22:23], v[2:3]
	;;#ASMEND
	v_pk_add_f32 v[2:3], v[20:21], 1.0 op_sel_hi:[1,0]
	s_and_b32 s9, s0, 0xffff
	s_mov_b32 s0, 0x7060302
	;;#ASMSTART
	v_pk_mul_f32 v[6:7], v[6:7], v[2:3]
	;;#ASMEND
	v_perm_b32 v2, v11, v10, s0
	v_perm_b32 v3, v9, v8, s0
	;; [unrolled: 1-line block ×4, first 2 shown]
	buffer_store_dwordx4 v[2:5], v1, s[8:11], 0 offen
	;;#ASMSTART
	s_nop 0
	;;#ASMEND
	s_nop 0
	v_perm_b32 v2, v17, v16, s0
	v_perm_b32 v3, v25, v24, s0
	;; [unrolled: 1-line block ×4, first 2 shown]
	buffer_store_dwordx4 v[2:5], v1, s[8:11], 16 offen
	;;#ASMSTART
	s_nop 0
	;;#ASMEND
	s_endpgm
	.section	.rodata,"a",@progbits
	.p2align	6, 0x0
	.amdhsa_kernel _ZN5aiter35fused_qk_rmsnorm_group_quant_kernelItDB8_Li256ELi16ELi4ELb0ELb1ELb1ELb1ELb0ELb0EEEvPT0_PvPT_S6_S6_PKS5_S8_S8_S8_S8_ffiiiiiiiiiiiii
		.amdhsa_group_segment_fixed_size 32
		.amdhsa_private_segment_fixed_size 0
		.amdhsa_kernarg_size 400
		.amdhsa_user_sgpr_count 6
		.amdhsa_user_sgpr_private_segment_buffer 1
		.amdhsa_user_sgpr_dispatch_ptr 0
		.amdhsa_user_sgpr_queue_ptr 0
		.amdhsa_user_sgpr_kernarg_segment_ptr 1
		.amdhsa_user_sgpr_dispatch_id 0
		.amdhsa_user_sgpr_flat_scratch_init 0
		.amdhsa_user_sgpr_kernarg_preload_length 0
		.amdhsa_user_sgpr_kernarg_preload_offset 0
		.amdhsa_user_sgpr_private_segment_size 0
		.amdhsa_uses_dynamic_stack 0
		.amdhsa_system_sgpr_private_segment_wavefront_offset 0
		.amdhsa_system_sgpr_workgroup_id_x 1
		.amdhsa_system_sgpr_workgroup_id_y 1
		.amdhsa_system_sgpr_workgroup_id_z 0
		.amdhsa_system_sgpr_workgroup_info 0
		.amdhsa_system_vgpr_workitem_id 0
		.amdhsa_next_free_vgpr 35
		.amdhsa_next_free_sgpr 32
		.amdhsa_accum_offset 36
		.amdhsa_reserve_vcc 1
		.amdhsa_reserve_flat_scratch 0
		.amdhsa_float_round_mode_32 0
		.amdhsa_float_round_mode_16_64 0
		.amdhsa_float_denorm_mode_32 3
		.amdhsa_float_denorm_mode_16_64 3
		.amdhsa_dx10_clamp 1
		.amdhsa_ieee_mode 1
		.amdhsa_fp16_overflow 0
		.amdhsa_tg_split 0
		.amdhsa_exception_fp_ieee_invalid_op 0
		.amdhsa_exception_fp_denorm_src 0
		.amdhsa_exception_fp_ieee_div_zero 0
		.amdhsa_exception_fp_ieee_overflow 0
		.amdhsa_exception_fp_ieee_underflow 0
		.amdhsa_exception_fp_ieee_inexact 0
		.amdhsa_exception_int_div_zero 0
	.end_amdhsa_kernel
	.section	.text._ZN5aiter35fused_qk_rmsnorm_group_quant_kernelItDB8_Li256ELi16ELi4ELb0ELb1ELb1ELb1ELb0ELb0EEEvPT0_PvPT_S6_S6_PKS5_S8_S8_S8_S8_ffiiiiiiiiiiiii,"axG",@progbits,_ZN5aiter35fused_qk_rmsnorm_group_quant_kernelItDB8_Li256ELi16ELi4ELb0ELb1ELb1ELb1ELb0ELb0EEEvPT0_PvPT_S6_S6_PKS5_S8_S8_S8_S8_ffiiiiiiiiiiiii,comdat
.Lfunc_end802:
	.size	_ZN5aiter35fused_qk_rmsnorm_group_quant_kernelItDB8_Li256ELi16ELi4ELb0ELb1ELb1ELb1ELb0ELb0EEEvPT0_PvPT_S6_S6_PKS5_S8_S8_S8_S8_ffiiiiiiiiiiiii, .Lfunc_end802-_ZN5aiter35fused_qk_rmsnorm_group_quant_kernelItDB8_Li256ELi16ELi4ELb0ELb1ELb1ELb1ELb0ELb0EEEvPT0_PvPT_S6_S6_PKS5_S8_S8_S8_S8_ffiiiiiiiiiiiii
                                        ; -- End function
	.section	.AMDGPU.csdata,"",@progbits
; Kernel info:
; codeLenInByte = 2940
; NumSgprs: 36
; NumVgprs: 35
; NumAgprs: 0
; TotalNumVgprs: 35
; ScratchSize: 0
; MemoryBound: 0
; FloatMode: 240
; IeeeMode: 1
; LDSByteSize: 32 bytes/workgroup (compile time only)
; SGPRBlocks: 4
; VGPRBlocks: 4
; NumSGPRsForWavesPerEU: 36
; NumVGPRsForWavesPerEU: 35
; AccumOffset: 36
; Occupancy: 8
; WaveLimiterHint : 0
; COMPUTE_PGM_RSRC2:SCRATCH_EN: 0
; COMPUTE_PGM_RSRC2:USER_SGPR: 6
; COMPUTE_PGM_RSRC2:TRAP_HANDLER: 0
; COMPUTE_PGM_RSRC2:TGID_X_EN: 1
; COMPUTE_PGM_RSRC2:TGID_Y_EN: 1
; COMPUTE_PGM_RSRC2:TGID_Z_EN: 0
; COMPUTE_PGM_RSRC2:TIDIG_COMP_CNT: 0
; COMPUTE_PGM_RSRC3_GFX90A:ACCUM_OFFSET: 8
; COMPUTE_PGM_RSRC3_GFX90A:TG_SPLIT: 0
	.section	.text._ZN5aiter35fused_qk_rmsnorm_group_quant_kernelIDF16_N4opus5fp4_tELi256ELi16ELi4ELb0ELb1ELb1ELb1ELb0ELb0EEEvPT0_PvPT_S7_S7_PKS6_S9_S9_S9_S9_ffiiiiiiiiiiiii,"axG",@progbits,_ZN5aiter35fused_qk_rmsnorm_group_quant_kernelIDF16_N4opus5fp4_tELi256ELi16ELi4ELb0ELb1ELb1ELb1ELb0ELb0EEEvPT0_PvPT_S7_S7_PKS6_S9_S9_S9_S9_ffiiiiiiiiiiiii,comdat
	.protected	_ZN5aiter35fused_qk_rmsnorm_group_quant_kernelIDF16_N4opus5fp4_tELi256ELi16ELi4ELb0ELb1ELb1ELb1ELb0ELb0EEEvPT0_PvPT_S7_S7_PKS6_S9_S9_S9_S9_ffiiiiiiiiiiiii ; -- Begin function _ZN5aiter35fused_qk_rmsnorm_group_quant_kernelIDF16_N4opus5fp4_tELi256ELi16ELi4ELb0ELb1ELb1ELb1ELb0ELb0EEEvPT0_PvPT_S7_S7_PKS6_S9_S9_S9_S9_ffiiiiiiiiiiiii
	.globl	_ZN5aiter35fused_qk_rmsnorm_group_quant_kernelIDF16_N4opus5fp4_tELi256ELi16ELi4ELb0ELb1ELb1ELb1ELb0ELb0EEEvPT0_PvPT_S7_S7_PKS6_S9_S9_S9_S9_ffiiiiiiiiiiiii
	.p2align	8
	.type	_ZN5aiter35fused_qk_rmsnorm_group_quant_kernelIDF16_N4opus5fp4_tELi256ELi16ELi4ELb0ELb1ELb1ELb1ELb0ELb0EEEvPT0_PvPT_S7_S7_PKS6_S9_S9_S9_S9_ffiiiiiiiiiiiii,@function
_ZN5aiter35fused_qk_rmsnorm_group_quant_kernelIDF16_N4opus5fp4_tELi256ELi16ELi4ELb0ELb1ELb1ELb1ELb0ELb0EEEvPT0_PvPT_S7_S7_PKS6_S9_S9_S9_S9_ffiiiiiiiiiiiii: ; @_ZN5aiter35fused_qk_rmsnorm_group_quant_kernelIDF16_N4opus5fp4_tELi256ELi16ELi4ELb0ELb1ELb1ELb1ELb0ELb0EEEvPT0_PvPT_S7_S7_PKS6_S9_S9_S9_S9_ffiiiiiiiiiiiii
; %bb.0:
	s_load_dwordx4 s[12:15], s[4:5], 0x50
	s_waitcnt lgkmcnt(0)
	s_cmp_ge_i32 s6, s14
	s_cbranch_scc1 .LBB803_12
; %bb.1:
	s_load_dwordx2 s[24:25], s[4:5], 0x30
	s_load_dwordx2 s[8:9], s[4:5], 0x48
	s_load_dwordx4 s[16:19], s[4:5], 0x60
	s_cmp_lg_u32 s7, 0
	s_cselect_b64 s[10:11], -1, 0
	s_cmp_eq_u32 s7, 0
	s_cselect_b64 vcc, -1, 0
	s_and_b64 s[0:1], vcc, exec
	s_waitcnt lgkmcnt(0)
	s_cselect_b32 s7, s15, s16
	s_add_i32 s0, s7, 1
	s_lshr_b32 s1, s0, 31
	s_add_i32 s0, s0, s1
	s_lshl_b32 s0, s0, 1
	v_lshlrev_b32_e32 v1, 4, v0
	s_and_b32 s22, s0, -4
	v_cmp_gt_i32_e64 s[2:3], s7, v1
	v_mov_b32_e32 v18, 0
	v_mov_b32_e32 v6, 0
	;; [unrolled: 1-line block ×17, first 2 shown]
	s_and_saveexec_b64 s[0:1], s[2:3]
	s_cbranch_execz .LBB803_3
; %bb.2:
	s_load_dwordx2 s[14:15], s[4:5], 0x28
	s_load_dwordx2 s[20:21], s[4:5], 0x40
	s_and_b64 s[26:27], vcc, exec
	s_cselect_b32 s17, s17, s18
	s_mov_b32 s30, s22
	s_waitcnt lgkmcnt(0)
	s_cselect_b32 s19, s15, s25
	s_cselect_b32 s23, s14, s24
	s_mul_hi_i32 s15, s17, s6
	s_mul_i32 s14, s17, s6
	s_lshl_b64 s[14:15], s[14:15], 1
	s_add_u32 s28, s23, s14
	s_addc_u32 s17, s19, s15
	s_and_b64 s[14:15], vcc, exec
	s_mov_b32 s23, 0x20000
	s_cselect_b32 s20, s20, s8
	s_cselect_b32 s14, s21, s9
	s_and_b32 s29, s17, 0xffff
	s_mov_b32 s31, s23
	v_lshlrev_b32_e32 v19, 5, v0
	s_and_b32 s21, s14, 0xffff
	buffer_load_dwordx4 v[14:17], v19, s[28:31], 0 offen
	buffer_load_dwordx4 v[10:13], v19, s[28:31], 16 offen
	;; [unrolled: 1-line block ×4, first 2 shown]
.LBB803_3:
	s_or_b64 exec, exec, s[0:1]
	v_mov_b32_e32 v19, 0
	v_mov_b32_e32 v22, 0
	;; [unrolled: 1-line block ×15, first 2 shown]
	s_and_saveexec_b64 s[0:1], s[2:3]
	s_cbranch_execz .LBB803_5
; %bb.4:
	s_waitcnt vmcnt(3)
	v_cvt_f32_f16_sdwa v19, v14 dst_sel:DWORD dst_unused:UNUSED_PAD src0_sel:WORD_1
	v_cvt_f32_f16_e32 v18, v14
	v_cvt_f32_f16_sdwa v23, v15 dst_sel:DWORD dst_unused:UNUSED_PAD src0_sel:WORD_1
	v_cvt_f32_f16_e32 v22, v15
	;; [unrolled: 2-line block ×4, first 2 shown]
	s_waitcnt vmcnt(2)
	v_cvt_f32_f16_sdwa v21, v10 dst_sel:DWORD dst_unused:UNUSED_PAD src0_sel:WORD_1
	v_cvt_f32_f16_e32 v20, v10
	v_cvt_f32_f16_sdwa v29, v11 dst_sel:DWORD dst_unused:UNUSED_PAD src0_sel:WORD_1
	v_cvt_f32_f16_e32 v28, v11
	;; [unrolled: 2-line block ×4, first 2 shown]
.LBB803_5:
	s_or_b64 exec, exec, s[0:1]
	s_waitcnt vmcnt(2)
	v_mul_f32_e32 v10, v19, v19
	v_fmac_f32_e32 v10, v18, v18
	v_fmac_f32_e32 v10, v22, v22
	;; [unrolled: 1-line block ×15, first 2 shown]
	v_and_b32_e32 v12, 63, v0
	v_cmp_eq_u32_e64 s[0:1], 63, v12
	v_mov_b32_dpp v11, v10 quad_perm:[1,0,3,2] row_mask:0xf bank_mask:0xf
	v_add_f32_e32 v10, v10, v11
	s_nop 1
	v_mov_b32_dpp v11, v10 quad_perm:[2,3,0,1] row_mask:0xf bank_mask:0xf
	v_add_f32_e32 v10, v10, v11
	s_nop 1
	v_mov_b32_dpp v11, v10 row_half_mirror row_mask:0xf bank_mask:0xf
	v_add_f32_e32 v10, v10, v11
	s_nop 1
	v_mov_b32_dpp v11, v10 row_mirror row_mask:0xf bank_mask:0xf
	v_add_f32_e32 v10, v10, v11
	s_nop 1
	v_mov_b32_dpp v11, v10 row_bcast:15 row_mask:0xf bank_mask:0xf
	v_add_f32_e32 v10, v10, v11
	s_nop 1
	v_mov_b32_dpp v11, v10 row_bcast:31 row_mask:0xf bank_mask:0xf
	s_and_saveexec_b64 s[14:15], s[0:1]
	s_cbranch_execz .LBB803_7
; %bb.6:
	v_add_f32_e32 v10, v10, v11
	v_lshrrev_b32_e32 v11, 4, v0
	v_and_b32_e32 v11, 60, v11
	ds_write_b32 v11, v10 offset:16
.LBB803_7:
	s_or_b64 exec, exec, s[14:15]
	v_and_b32_e32 v10, 3, v0
	v_lshlrev_b32_e32 v34, 2, v10
	s_waitcnt lgkmcnt(0)
	s_barrier
	ds_read_b32 v10, v34 offset:16
	s_load_dwordx2 s[14:15], s[4:5], 0x18
	s_waitcnt lgkmcnt(0)
	v_mov_b32_dpp v11, v10 quad_perm:[1,0,3,2] row_mask:0xf bank_mask:0xf
	v_add_f32_e32 v10, v10, v11
	s_nop 1
	v_mov_b32_dpp v11, v10 quad_perm:[2,3,0,1] row_mask:0xf bank_mask:0xf
	s_and_saveexec_b64 s[20:21], s[2:3]
	s_cbranch_execz .LBB803_9
; %bb.8:
	v_cvt_f32_u32_e32 v12, s7
	v_add_f32_e32 v10, v10, v11
	v_mov_b32_e32 v14, s13
	v_mov_b32_e32 v15, s12
	v_div_scale_f32 v11, s[26:27], v12, v12, v10
	v_rcp_f32_e32 v13, v11
	v_cndmask_b32_e32 v14, v14, v15, vcc
	s_mov_b32 s7, 0x800000
	v_fma_f32 v15, -v11, v13, 1.0
	v_fmac_f32_e32 v13, v15, v13
	v_div_scale_f32 v15, vcc, v10, v12, v10
	v_mul_f32_e32 v16, v15, v13
	v_fma_f32 v17, -v11, v16, v15
	v_fmac_f32_e32 v16, v17, v13
	v_fma_f32 v11, -v11, v16, v15
	v_div_fmas_f32 v11, v11, v13, v16
	v_div_fixup_f32 v10, v11, v12, v10
	v_add_f32_e32 v10, v14, v10
	v_mul_f32_e32 v11, 0x4b800000, v10
	v_cmp_gt_f32_e32 vcc, s7, v10
	v_cndmask_b32_e32 v10, v10, v11, vcc
	v_rsq_f32_e32 v10, v10
	v_mul_f32_e32 v11, 0x45800000, v10
	v_cndmask_b32_e32 v10, v10, v11, vcc
	v_mov_b32_e32 v11, v10
	;;#ASMSTART
	v_pk_mul_f32 v[12:13], v[18:19], v[10:11]
	;;#ASMEND
	s_waitcnt vmcnt(1)
	v_cvt_f32_f16_sdwa v19, v6 dst_sel:DWORD dst_unused:UNUSED_PAD src0_sel:WORD_1
	v_cvt_f32_f16_e32 v18, v6
	;;#ASMSTART
	v_pk_mul_f32 v[14:15], v[22:23], v[10:11]
	;;#ASMEND
	v_cvt_f32_f16_sdwa v23, v7 dst_sel:DWORD dst_unused:UNUSED_PAD src0_sel:WORD_1
	v_cvt_f32_f16_e32 v22, v7
	;;#ASMSTART
	v_pk_mul_f32 v[16:17], v[24:25], v[10:11]
	;;#ASMEND
	;;#ASMSTART
	v_pk_mul_f32 v[32:33], v[32:33], v[10:11]
	;;#ASMEND
	;; [unrolled: 3-line block ×6, first 2 shown]
	v_pk_add_f32 v[10:11], v[18:19], 1.0 op_sel_hi:[1,0]
	;;#ASMSTART
	v_pk_mul_f32 v[18:19], v[12:13], v[10:11]
	;;#ASMEND
	v_cvt_f32_f16_sdwa v13, v8 dst_sel:DWORD dst_unused:UNUSED_PAD src0_sel:WORD_1
	v_cvt_f32_f16_e32 v12, v8
	v_cvt_f32_f16_sdwa v27, v9 dst_sel:DWORD dst_unused:UNUSED_PAD src0_sel:WORD_1
	v_cvt_f32_f16_e32 v26, v9
	v_pk_add_f32 v[10:11], v[22:23], 1.0 op_sel_hi:[1,0]
	;;#ASMSTART
	v_pk_mul_f32 v[22:23], v[14:15], v[10:11]
	;;#ASMEND
	s_waitcnt vmcnt(0)
	v_cvt_f32_f16_sdwa v11, v2 dst_sel:DWORD dst_unused:UNUSED_PAD src0_sel:WORD_1
	v_cvt_f32_f16_e32 v10, v2
	v_pk_add_f32 v[8:9], v[12:13], 1.0 op_sel_hi:[1,0]
	;;#ASMSTART
	v_pk_mul_f32 v[24:25], v[16:17], v[8:9]
	;;#ASMEND
	v_pk_add_f32 v[8:9], v[26:27], 1.0 op_sel_hi:[1,0]
	v_cvt_f32_f16_sdwa v13, v3 dst_sel:DWORD dst_unused:UNUSED_PAD src0_sel:WORD_1
	v_cvt_f32_f16_e32 v12, v3
	;;#ASMSTART
	v_pk_mul_f32 v[32:33], v[32:33], v[8:9]
	;;#ASMEND
	v_cvt_f32_f16_sdwa v9, v4 dst_sel:DWORD dst_unused:UNUSED_PAD src0_sel:WORD_1
	v_cvt_f32_f16_e32 v8, v4
	v_pk_add_f32 v[2:3], v[10:11], 1.0 op_sel_hi:[1,0]
	v_cvt_f32_f16_sdwa v11, v5 dst_sel:DWORD dst_unused:UNUSED_PAD src0_sel:WORD_1
	v_cvt_f32_f16_e32 v10, v5
	;;#ASMSTART
	v_pk_mul_f32 v[20:21], v[20:21], v[2:3]
	;;#ASMEND
	v_pk_add_f32 v[2:3], v[12:13], 1.0 op_sel_hi:[1,0]
	;;#ASMSTART
	v_pk_mul_f32 v[28:29], v[28:29], v[2:3]
	;;#ASMEND
	v_pk_add_f32 v[2:3], v[8:9], 1.0 op_sel_hi:[1,0]
	;; [unrolled: 4-line block ×3, first 2 shown]
	;;#ASMSTART
	v_pk_mul_f32 v[26:27], v[6:7], v[2:3]
	;;#ASMEND
.LBB803_9:
	s_or_b64 exec, exec, s[20:21]
	s_load_dwordx2 s[26:27], s[4:5], 0x7c
	s_mov_b64 s[20:21], -1
	s_and_b64 vcc, exec, s[10:11]
	s_cbranch_vccnz .LBB803_13
; %bb.10:
	s_andn2_b64 vcc, exec, s[20:21]
	s_cbranch_vccz .LBB803_16
.LBB803_11:
	s_cmp_lt_i32 s16, 1
	s_cbranch_scc0 .LBB803_19
.LBB803_12:
	s_endpgm
.LBB803_13:
	s_and_saveexec_b64 s[10:11], s[2:3]
	s_cbranch_execz .LBB803_15
; %bb.14:
	s_waitcnt lgkmcnt(0)
	s_mul_hi_i32 s21, s27, s6
	s_mul_i32 s20, s27, s6
	s_waitcnt vmcnt(0)
	v_cvt_f16_f32_e32 v2, v18
	v_cvt_f16_f32_e32 v3, v22
	;; [unrolled: 1-line block ×8, first 2 shown]
	s_lshl_b64 s[20:21], s[20:21], 1
	s_add_u32 s20, s14, s20
	s_addc_u32 s7, s15, s21
	s_and_b32 s21, s7, 0xffff
	s_mov_b32 s23, 0x20000
	v_pack_b32_f16 v5, v5, v6
	v_pack_b32_f16 v4, v4, v7
	;; [unrolled: 1-line block ×4, first 2 shown]
	v_lshlrev_b32_e32 v6, 5, v0
	buffer_store_dwordx4 v[2:5], v6, s[20:23], 0 offen
	v_cvt_f16_f32_e32 v7, v27
	v_cvt_f16_f32_e32 v2, v20
	;; [unrolled: 1-line block ×8, first 2 shown]
	v_pack_b32_f16 v5, v5, v7
	v_pack_b32_f16 v4, v4, v8
	;; [unrolled: 1-line block ×4, first 2 shown]
	;;#ASMSTART
	s_nop 0
	;;#ASMEND
	buffer_store_dwordx4 v[2:5], v6, s[20:23], 16 offen
	;;#ASMSTART
	s_nop 0
	;;#ASMEND
.LBB803_15:
	s_or_b64 exec, exec, s[10:11]
	s_cbranch_execnz .LBB803_11
.LBB803_16:
	s_and_saveexec_b64 s[10:11], s[2:3]
	s_cbranch_execz .LBB803_18
; %bb.17:
	s_load_dwordx2 s[2:3], s[4:5], 0x10
	s_waitcnt lgkmcnt(0)
	s_mul_hi_i32 s21, s26, s6
	s_mul_i32 s20, s26, s6
	s_waitcnt vmcnt(0)
	v_cvt_f16_f32_e32 v2, v18
	v_cvt_f16_f32_e32 v3, v22
	;; [unrolled: 1-line block ×8, first 2 shown]
	s_lshl_b64 s[20:21], s[20:21], 1
	s_add_u32 s20, s2, s20
	s_addc_u32 s2, s3, s21
	s_mov_b32 s23, 0x20000
	s_and_b32 s21, s2, 0xffff
	v_pack_b32_f16 v5, v5, v6
	v_pack_b32_f16 v4, v4, v7
	;; [unrolled: 1-line block ×4, first 2 shown]
	v_lshlrev_b32_e32 v6, 5, v0
	buffer_store_dwordx4 v[2:5], v6, s[20:23], 0 offen
	v_cvt_f16_f32_e32 v7, v27
	v_cvt_f16_f32_e32 v2, v20
	;; [unrolled: 1-line block ×8, first 2 shown]
	v_pack_b32_f16 v5, v5, v7
	v_pack_b32_f16 v4, v4, v8
	;; [unrolled: 1-line block ×4, first 2 shown]
	;;#ASMSTART
	s_nop 0
	;;#ASMEND
	buffer_store_dwordx4 v[2:5], v6, s[20:23], 16 offen
	;;#ASMSTART
	s_nop 0
	;;#ASMEND
.LBB803_18:
	s_or_b64 exec, exec, s[10:11]
	s_cmp_lt_i32 s16, 1
	s_cbranch_scc1 .LBB803_12
.LBB803_19:
	s_load_dword s2, s[4:5], 0x94
	s_waitcnt lgkmcnt(0)
	s_cmp_lg_u32 s2, 1
	s_cbranch_scc1 .LBB803_12
; %bb.20:
	s_lshl_b32 s2, s16, 1
	s_add_i32 s2, s2, 2
	v_cmp_gt_u32_e32 vcc, s16, v1
	s_and_b32 s10, s2, -4
	v_mov_b32_e32 v18, 0
	v_lshlrev_b32_e32 v1, 5, v0
	v_mov_b32_e32 v14, 0
	v_mov_b32_e32 v15, 0
	;; [unrolled: 1-line block ×8, first 2 shown]
	s_waitcnt vmcnt(1)
	v_mov_b32_e32 v6, 0
	v_mov_b32_e32 v7, 0
	;; [unrolled: 1-line block ×4, first 2 shown]
	s_waitcnt vmcnt(0)
	v_mov_b32_e32 v2, 0
	v_mov_b32_e32 v3, 0
	;; [unrolled: 1-line block ×4, first 2 shown]
	s_barrier
	s_and_saveexec_b64 s[2:3], vcc
	s_cbranch_execz .LBB803_22
; %bb.21:
	s_mul_hi_i32 s5, s18, s6
	s_mul_i32 s4, s18, s6
	s_and_b32 s9, s9, 0xffff
	s_lshl_b64 s[4:5], s[4:5], 1
	s_add_u32 s20, s24, s4
	s_mov_b32 s11, 0x20000
	s_addc_u32 s4, s25, s5
	s_and_b32 s21, s4, 0xffff
	s_mov_b32 s22, s10
	s_mov_b32 s23, s11
	buffer_load_dwordx4 v[14:17], v1, s[20:23], 0 offen
	buffer_load_dwordx4 v[10:13], v1, s[20:23], 16 offen
	;; [unrolled: 1-line block ×4, first 2 shown]
.LBB803_22:
	s_or_b64 exec, exec, s[2:3]
	v_mov_b32_e32 v19, 0
	v_mov_b32_e32 v32, 0
	v_mov_b32_e32 v33, 0
	v_mov_b32_e32 v30, 0
	v_mov_b32_e32 v31, 0
	v_mov_b32_e32 v28, 0
	v_mov_b32_e32 v29, 0
	v_mov_b32_e32 v26, 0
	v_mov_b32_e32 v27, 0
	v_mov_b32_e32 v24, 0
	v_mov_b32_e32 v25, 0
	v_mov_b32_e32 v22, 0
	v_mov_b32_e32 v23, 0
	v_mov_b32_e32 v20, 0
	v_mov_b32_e32 v21, 0
	s_and_saveexec_b64 s[2:3], vcc
	s_cbranch_execz .LBB803_24
; %bb.23:
	s_waitcnt vmcnt(3)
	v_cvt_f32_f16_sdwa v19, v14 dst_sel:DWORD dst_unused:UNUSED_PAD src0_sel:WORD_1
	v_cvt_f32_f16_e32 v18, v14
	v_cvt_f32_f16_sdwa v33, v15 dst_sel:DWORD dst_unused:UNUSED_PAD src0_sel:WORD_1
	v_cvt_f32_f16_e32 v32, v15
	;; [unrolled: 2-line block ×4, first 2 shown]
	s_waitcnt vmcnt(2)
	v_cvt_f32_f16_sdwa v27, v10 dst_sel:DWORD dst_unused:UNUSED_PAD src0_sel:WORD_1
	v_cvt_f32_f16_e32 v26, v10
	v_cvt_f32_f16_sdwa v25, v11 dst_sel:DWORD dst_unused:UNUSED_PAD src0_sel:WORD_1
	v_cvt_f32_f16_e32 v24, v11
	;; [unrolled: 2-line block ×4, first 2 shown]
.LBB803_24:
	s_or_b64 exec, exec, s[2:3]
	s_waitcnt vmcnt(2)
	v_mul_f32_e32 v10, v19, v19
	v_fmac_f32_e32 v10, v18, v18
	v_fmac_f32_e32 v10, v32, v32
	;; [unrolled: 1-line block ×15, first 2 shown]
	s_nop 1
	v_mov_b32_dpp v11, v10 quad_perm:[1,0,3,2] row_mask:0xf bank_mask:0xf
	v_add_f32_e32 v10, v10, v11
	s_nop 1
	v_mov_b32_dpp v11, v10 quad_perm:[2,3,0,1] row_mask:0xf bank_mask:0xf
	v_add_f32_e32 v10, v10, v11
	s_nop 1
	v_mov_b32_dpp v11, v10 row_half_mirror row_mask:0xf bank_mask:0xf
	v_add_f32_e32 v10, v10, v11
	s_nop 1
	v_mov_b32_dpp v11, v10 row_mirror row_mask:0xf bank_mask:0xf
	v_add_f32_e32 v10, v10, v11
	s_nop 1
	v_mov_b32_dpp v11, v10 row_bcast:15 row_mask:0xf bank_mask:0xf
	v_add_f32_e32 v10, v10, v11
	s_nop 1
	v_mov_b32_dpp v11, v10 row_bcast:31 row_mask:0xf bank_mask:0xf
	s_and_saveexec_b64 s[2:3], s[0:1]
	s_cbranch_execz .LBB803_26
; %bb.25:
	v_lshrrev_b32_e32 v0, 4, v0
	v_add_f32_e32 v10, v10, v11
	v_and_b32_e32 v0, 60, v0
	ds_write_b32 v0, v10
.LBB803_26:
	s_or_b64 exec, exec, s[2:3]
	s_waitcnt lgkmcnt(0)
	s_barrier
	ds_read_b32 v0, v34
	s_waitcnt lgkmcnt(0)
	s_nop 0
	v_mov_b32_dpp v10, v0 quad_perm:[1,0,3,2] row_mask:0xf bank_mask:0xf
	v_add_f32_e32 v0, v0, v10
	s_nop 1
	v_mov_b32_dpp v10, v0 quad_perm:[2,3,0,1] row_mask:0xf bank_mask:0xf
	s_and_saveexec_b64 s[0:1], vcc
	s_cbranch_execz .LBB803_12
; %bb.27:
	v_cvt_f32_u32_e32 v11, s16
	v_add_f32_e32 v0, v0, v10
	s_mov_b32 s11, 0x20000
	v_div_scale_f32 v10, s[0:1], v11, v11, v0
	v_rcp_f32_e32 v12, v10
	v_div_scale_f32 v13, vcc, v0, v11, v0
	s_mov_b32 s0, 0x800000
	v_fma_f32 v14, -v10, v12, 1.0
	v_fmac_f32_e32 v12, v14, v12
	v_mul_f32_e32 v14, v13, v12
	v_fma_f32 v15, -v10, v14, v13
	v_fmac_f32_e32 v14, v15, v12
	v_fma_f32 v10, -v10, v14, v13
	v_div_fmas_f32 v10, v10, v12, v14
	v_div_fixup_f32 v0, v10, v11, v0
	v_add_f32_e32 v0, s13, v0
	v_mul_f32_e32 v10, 0x4b800000, v0
	v_cmp_gt_f32_e32 vcc, s0, v0
	v_cndmask_b32_e32 v0, v0, v10, vcc
	v_rsq_f32_e32 v0, v0
	s_mul_hi_i32 s1, s27, s6
	s_mul_i32 s0, s27, s6
	s_lshl_b64 s[0:1], s[0:1], 1
	v_mul_f32_e32 v10, 0x45800000, v0
	v_cndmask_b32_e32 v10, v0, v10, vcc
	v_mov_b32_e32 v11, v10
	;;#ASMSTART
	v_pk_mul_f32 v[12:13], v[18:19], v[10:11]
	;;#ASMEND
	;;#ASMSTART
	v_pk_mul_f32 v[14:15], v[32:33], v[10:11]
	;;#ASMEND
	;;#ASMSTART
	v_pk_mul_f32 v[16:17], v[30:31], v[10:11]
	;;#ASMEND
	;;#ASMSTART
	v_pk_mul_f32 v[18:19], v[28:29], v[10:11]
	;;#ASMEND
	s_waitcnt vmcnt(1)
	v_cvt_f32_f16_sdwa v29, v6 dst_sel:DWORD dst_unused:UNUSED_PAD src0_sel:WORD_1
	v_cvt_f32_f16_e32 v28, v6
	v_cvt_f32_f16_sdwa v31, v7 dst_sel:DWORD dst_unused:UNUSED_PAD src0_sel:WORD_1
	v_cvt_f32_f16_e32 v30, v7
	;;#ASMSTART
	v_pk_mul_f32 v[26:27], v[26:27], v[10:11]
	;;#ASMEND
	;;#ASMSTART
	v_pk_mul_f32 v[24:25], v[24:25], v[10:11]
	;;#ASMEND
	;;#ASMSTART
	v_pk_mul_f32 v[22:23], v[22:23], v[10:11]
	;;#ASMEND
	;;#ASMSTART
	v_pk_mul_f32 v[6:7], v[20:21], v[10:11]
	;;#ASMEND
	v_cvt_f32_f16_sdwa v21, v8 dst_sel:DWORD dst_unused:UNUSED_PAD src0_sel:WORD_1
	v_cvt_f32_f16_e32 v20, v8
	v_pk_add_f32 v[10:11], v[28:29], 1.0 op_sel_hi:[1,0]
	;;#ASMSTART
	v_pk_mul_f32 v[10:11], v[12:13], v[10:11]
	;;#ASMEND
	v_pk_add_f32 v[12:13], v[30:31], 1.0 op_sel_hi:[1,0]
	v_cvt_f32_f16_sdwa v29, v9 dst_sel:DWORD dst_unused:UNUSED_PAD src0_sel:WORD_1
	v_cvt_f32_f16_e32 v28, v9
	;;#ASMSTART
	v_pk_mul_f32 v[8:9], v[14:15], v[12:13]
	;;#ASMEND
	v_pk_add_f32 v[12:13], v[20:21], 1.0 op_sel_hi:[1,0]
	;;#ASMSTART
	v_pk_mul_f32 v[12:13], v[16:17], v[12:13]
	;;#ASMEND
	s_waitcnt vmcnt(0)
	v_cvt_f32_f16_sdwa v17, v2 dst_sel:DWORD dst_unused:UNUSED_PAD src0_sel:WORD_1
	v_cvt_f32_f16_e32 v16, v2
	v_cvt_f32_f16_sdwa v21, v3 dst_sel:DWORD dst_unused:UNUSED_PAD src0_sel:WORD_1
	v_cvt_f32_f16_e32 v20, v3
	v_pk_add_f32 v[14:15], v[28:29], 1.0 op_sel_hi:[1,0]
	;;#ASMSTART
	v_pk_mul_f32 v[2:3], v[18:19], v[14:15]
	;;#ASMEND
	v_cvt_f32_f16_sdwa v19, v4 dst_sel:DWORD dst_unused:UNUSED_PAD src0_sel:WORD_1
	v_cvt_f32_f16_e32 v18, v4
	v_pk_add_f32 v[14:15], v[16:17], 1.0 op_sel_hi:[1,0]
	v_pk_add_f32 v[16:17], v[20:21], 1.0 op_sel_hi:[1,0]
	v_cvt_f32_f16_sdwa v21, v5 dst_sel:DWORD dst_unused:UNUSED_PAD src0_sel:WORD_1
	v_cvt_f32_f16_e32 v20, v5
	v_pk_add_f32 v[4:5], v[18:19], 1.0 op_sel_hi:[1,0]
	;;#ASMSTART
	v_pk_mul_f32 v[14:15], v[26:27], v[14:15]
	;;#ASMEND
	;;#ASMSTART
	v_pk_mul_f32 v[16:17], v[24:25], v[16:17]
	;;#ASMEND
	;; [unrolled: 3-line block ×3, first 2 shown]
	v_pk_add_f32 v[4:5], v[20:21], 1.0 op_sel_hi:[1,0]
	;;#ASMSTART
	v_pk_mul_f32 v[6:7], v[6:7], v[4:5]
	;;#ASMEND
	v_cvt_f16_f32_e32 v0, v10
	v_cvt_f16_f32_e32 v4, v11
	v_cvt_f16_f32_e32 v5, v8
	v_cvt_f16_f32_e32 v8, v9
	v_cvt_f16_f32_e32 v9, v12
	v_cvt_f16_f32_e32 v10, v13
	v_cvt_f16_f32_e32 v11, v2
	v_cvt_f16_f32_e32 v12, v3
	s_add_u32 s8, s14, s0
	s_addc_u32 s0, s15, s1
	s_and_b32 s9, s0, 0xffff
	v_pack_b32_f16 v2, v0, v4
	v_pack_b32_f16 v3, v5, v8
	;; [unrolled: 1-line block ×4, first 2 shown]
	buffer_store_dwordx4 v[2:5], v1, s[8:11], 0 offen
	v_cvt_f16_f32_e32 v0, v14
	v_cvt_f16_f32_e32 v2, v15
	;; [unrolled: 1-line block ×8, first 2 shown]
	v_pack_b32_f16 v2, v0, v2
	v_pack_b32_f16 v3, v3, v4
	;; [unrolled: 1-line block ×4, first 2 shown]
	;;#ASMSTART
	s_nop 0
	;;#ASMEND
	buffer_store_dwordx4 v[2:5], v1, s[8:11], 16 offen
	;;#ASMSTART
	s_nop 0
	;;#ASMEND
	s_endpgm
	.section	.rodata,"a",@progbits
	.p2align	6, 0x0
	.amdhsa_kernel _ZN5aiter35fused_qk_rmsnorm_group_quant_kernelIDF16_N4opus5fp4_tELi256ELi16ELi4ELb0ELb1ELb1ELb1ELb0ELb0EEEvPT0_PvPT_S7_S7_PKS6_S9_S9_S9_S9_ffiiiiiiiiiiiii
		.amdhsa_group_segment_fixed_size 32
		.amdhsa_private_segment_fixed_size 0
		.amdhsa_kernarg_size 400
		.amdhsa_user_sgpr_count 6
		.amdhsa_user_sgpr_private_segment_buffer 1
		.amdhsa_user_sgpr_dispatch_ptr 0
		.amdhsa_user_sgpr_queue_ptr 0
		.amdhsa_user_sgpr_kernarg_segment_ptr 1
		.amdhsa_user_sgpr_dispatch_id 0
		.amdhsa_user_sgpr_flat_scratch_init 0
		.amdhsa_user_sgpr_kernarg_preload_length 0
		.amdhsa_user_sgpr_kernarg_preload_offset 0
		.amdhsa_user_sgpr_private_segment_size 0
		.amdhsa_uses_dynamic_stack 0
		.amdhsa_system_sgpr_private_segment_wavefront_offset 0
		.amdhsa_system_sgpr_workgroup_id_x 1
		.amdhsa_system_sgpr_workgroup_id_y 1
		.amdhsa_system_sgpr_workgroup_id_z 0
		.amdhsa_system_sgpr_workgroup_info 0
		.amdhsa_system_vgpr_workitem_id 0
		.amdhsa_next_free_vgpr 35
		.amdhsa_next_free_sgpr 32
		.amdhsa_accum_offset 36
		.amdhsa_reserve_vcc 1
		.amdhsa_reserve_flat_scratch 0
		.amdhsa_float_round_mode_32 0
		.amdhsa_float_round_mode_16_64 0
		.amdhsa_float_denorm_mode_32 3
		.amdhsa_float_denorm_mode_16_64 3
		.amdhsa_dx10_clamp 1
		.amdhsa_ieee_mode 1
		.amdhsa_fp16_overflow 0
		.amdhsa_tg_split 0
		.amdhsa_exception_fp_ieee_invalid_op 0
		.amdhsa_exception_fp_denorm_src 0
		.amdhsa_exception_fp_ieee_div_zero 0
		.amdhsa_exception_fp_ieee_overflow 0
		.amdhsa_exception_fp_ieee_underflow 0
		.amdhsa_exception_fp_ieee_inexact 0
		.amdhsa_exception_int_div_zero 0
	.end_amdhsa_kernel
	.section	.text._ZN5aiter35fused_qk_rmsnorm_group_quant_kernelIDF16_N4opus5fp4_tELi256ELi16ELi4ELb0ELb1ELb1ELb1ELb0ELb0EEEvPT0_PvPT_S7_S7_PKS6_S9_S9_S9_S9_ffiiiiiiiiiiiii,"axG",@progbits,_ZN5aiter35fused_qk_rmsnorm_group_quant_kernelIDF16_N4opus5fp4_tELi256ELi16ELi4ELb0ELb1ELb1ELb1ELb0ELb0EEEvPT0_PvPT_S7_S7_PKS6_S9_S9_S9_S9_ffiiiiiiiiiiiii,comdat
.Lfunc_end803:
	.size	_ZN5aiter35fused_qk_rmsnorm_group_quant_kernelIDF16_N4opus5fp4_tELi256ELi16ELi4ELb0ELb1ELb1ELb1ELb0ELb0EEEvPT0_PvPT_S7_S7_PKS6_S9_S9_S9_S9_ffiiiiiiiiiiiii, .Lfunc_end803-_ZN5aiter35fused_qk_rmsnorm_group_quant_kernelIDF16_N4opus5fp4_tELi256ELi16ELi4ELb0ELb1ELb1ELb1ELb0ELb0EEEvPT0_PvPT_S7_S7_PKS6_S9_S9_S9_S9_ffiiiiiiiiiiiii
                                        ; -- End function
	.section	.AMDGPU.csdata,"",@progbits
; Kernel info:
; codeLenInByte = 2968
; NumSgprs: 36
; NumVgprs: 35
; NumAgprs: 0
; TotalNumVgprs: 35
; ScratchSize: 0
; MemoryBound: 0
; FloatMode: 240
; IeeeMode: 1
; LDSByteSize: 32 bytes/workgroup (compile time only)
; SGPRBlocks: 4
; VGPRBlocks: 4
; NumSGPRsForWavesPerEU: 36
; NumVGPRsForWavesPerEU: 35
; AccumOffset: 36
; Occupancy: 8
; WaveLimiterHint : 0
; COMPUTE_PGM_RSRC2:SCRATCH_EN: 0
; COMPUTE_PGM_RSRC2:USER_SGPR: 6
; COMPUTE_PGM_RSRC2:TRAP_HANDLER: 0
; COMPUTE_PGM_RSRC2:TGID_X_EN: 1
; COMPUTE_PGM_RSRC2:TGID_Y_EN: 1
; COMPUTE_PGM_RSRC2:TGID_Z_EN: 0
; COMPUTE_PGM_RSRC2:TIDIG_COMP_CNT: 0
; COMPUTE_PGM_RSRC3_GFX90A:ACCUM_OFFSET: 8
; COMPUTE_PGM_RSRC3_GFX90A:TG_SPLIT: 0
	.section	.text._ZN5aiter35fused_qk_rmsnorm_group_quant_kernelItN4opus5fp4_tELi256ELi16ELi4ELb0ELb1ELb1ELb1ELb0ELb0EEEvPT0_PvPT_S7_S7_PKS6_S9_S9_S9_S9_ffiiiiiiiiiiiii,"axG",@progbits,_ZN5aiter35fused_qk_rmsnorm_group_quant_kernelItN4opus5fp4_tELi256ELi16ELi4ELb0ELb1ELb1ELb1ELb0ELb0EEEvPT0_PvPT_S7_S7_PKS6_S9_S9_S9_S9_ffiiiiiiiiiiiii,comdat
	.protected	_ZN5aiter35fused_qk_rmsnorm_group_quant_kernelItN4opus5fp4_tELi256ELi16ELi4ELb0ELb1ELb1ELb1ELb0ELb0EEEvPT0_PvPT_S7_S7_PKS6_S9_S9_S9_S9_ffiiiiiiiiiiiii ; -- Begin function _ZN5aiter35fused_qk_rmsnorm_group_quant_kernelItN4opus5fp4_tELi256ELi16ELi4ELb0ELb1ELb1ELb1ELb0ELb0EEEvPT0_PvPT_S7_S7_PKS6_S9_S9_S9_S9_ffiiiiiiiiiiiii
	.globl	_ZN5aiter35fused_qk_rmsnorm_group_quant_kernelItN4opus5fp4_tELi256ELi16ELi4ELb0ELb1ELb1ELb1ELb0ELb0EEEvPT0_PvPT_S7_S7_PKS6_S9_S9_S9_S9_ffiiiiiiiiiiiii
	.p2align	8
	.type	_ZN5aiter35fused_qk_rmsnorm_group_quant_kernelItN4opus5fp4_tELi256ELi16ELi4ELb0ELb1ELb1ELb1ELb0ELb0EEEvPT0_PvPT_S7_S7_PKS6_S9_S9_S9_S9_ffiiiiiiiiiiiii,@function
_ZN5aiter35fused_qk_rmsnorm_group_quant_kernelItN4opus5fp4_tELi256ELi16ELi4ELb0ELb1ELb1ELb1ELb0ELb0EEEvPT0_PvPT_S7_S7_PKS6_S9_S9_S9_S9_ffiiiiiiiiiiiii: ; @_ZN5aiter35fused_qk_rmsnorm_group_quant_kernelItN4opus5fp4_tELi256ELi16ELi4ELb0ELb1ELb1ELb1ELb0ELb0EEEvPT0_PvPT_S7_S7_PKS6_S9_S9_S9_S9_ffiiiiiiiiiiiii
; %bb.0:
	s_load_dwordx4 s[12:15], s[4:5], 0x50
	s_waitcnt lgkmcnt(0)
	s_cmp_ge_i32 s6, s14
	s_cbranch_scc1 .LBB804_12
; %bb.1:
	s_load_dwordx2 s[24:25], s[4:5], 0x30
	s_load_dwordx2 s[8:9], s[4:5], 0x48
	s_load_dwordx4 s[16:19], s[4:5], 0x60
	s_cmp_lg_u32 s7, 0
	s_cselect_b64 s[10:11], -1, 0
	s_cmp_eq_u32 s7, 0
	s_cselect_b64 vcc, -1, 0
	s_and_b64 s[0:1], vcc, exec
	s_waitcnt lgkmcnt(0)
	s_cselect_b32 s7, s15, s16
	s_add_i32 s0, s7, 1
	s_lshr_b32 s1, s0, 31
	s_add_i32 s0, s0, s1
	s_lshl_b32 s0, s0, 1
	v_lshlrev_b32_e32 v1, 4, v0
	s_and_b32 s22, s0, -4
	v_cmp_gt_i32_e64 s[2:3], s7, v1
	v_mov_b32_e32 v18, 0
	v_mov_b32_e32 v6, 0
	;; [unrolled: 1-line block ×17, first 2 shown]
	s_and_saveexec_b64 s[0:1], s[2:3]
	s_cbranch_execz .LBB804_3
; %bb.2:
	s_load_dwordx2 s[14:15], s[4:5], 0x28
	s_load_dwordx2 s[20:21], s[4:5], 0x40
	s_and_b64 s[26:27], vcc, exec
	s_cselect_b32 s17, s17, s18
	s_mov_b32 s30, s22
	s_waitcnt lgkmcnt(0)
	s_cselect_b32 s19, s15, s25
	s_cselect_b32 s23, s14, s24
	s_mul_hi_i32 s15, s17, s6
	s_mul_i32 s14, s17, s6
	s_lshl_b64 s[14:15], s[14:15], 1
	s_add_u32 s28, s23, s14
	s_addc_u32 s17, s19, s15
	s_and_b64 s[14:15], vcc, exec
	s_mov_b32 s23, 0x20000
	s_cselect_b32 s20, s20, s8
	s_cselect_b32 s14, s21, s9
	s_and_b32 s29, s17, 0xffff
	s_mov_b32 s31, s23
	v_lshlrev_b32_e32 v19, 5, v0
	s_and_b32 s21, s14, 0xffff
	buffer_load_dwordx4 v[14:17], v19, s[28:31], 0 offen
	buffer_load_dwordx4 v[10:13], v19, s[28:31], 16 offen
	;; [unrolled: 1-line block ×4, first 2 shown]
.LBB804_3:
	s_or_b64 exec, exec, s[0:1]
	v_mov_b32_e32 v19, 0
	v_mov_b32_e32 v20, 0
	v_mov_b32_e32 v21, 0
	v_mov_b32_e32 v22, 0
	v_mov_b32_e32 v23, 0
	v_mov_b32_e32 v26, 0
	v_mov_b32_e32 v27, 0
	v_mov_b32_e32 v24, 0
	v_mov_b32_e32 v25, 0
	v_mov_b32_e32 v30, 0
	v_mov_b32_e32 v31, 0
	v_mov_b32_e32 v32, 0
	v_mov_b32_e32 v33, 0
	v_mov_b32_e32 v28, 0
	v_mov_b32_e32 v29, 0
	s_and_saveexec_b64 s[0:1], s[2:3]
	s_cbranch_execz .LBB804_5
; %bb.4:
	s_waitcnt vmcnt(3)
	v_cvt_f32_u32_sdwa v18, v14 dst_sel:DWORD dst_unused:UNUSED_PAD src0_sel:WORD_0
	v_cvt_f32_u32_sdwa v19, v14 dst_sel:DWORD dst_unused:UNUSED_PAD src0_sel:WORD_1
	v_cvt_f32_u32_sdwa v20, v15 dst_sel:DWORD dst_unused:UNUSED_PAD src0_sel:WORD_0
	v_cvt_f32_u32_sdwa v21, v15 dst_sel:DWORD dst_unused:UNUSED_PAD src0_sel:WORD_1
	;; [unrolled: 2-line block ×4, first 2 shown]
	s_waitcnt vmcnt(2)
	v_cvt_f32_u32_sdwa v24, v10 dst_sel:DWORD dst_unused:UNUSED_PAD src0_sel:WORD_0
	v_cvt_f32_u32_sdwa v25, v10 dst_sel:DWORD dst_unused:UNUSED_PAD src0_sel:WORD_1
	v_cvt_f32_u32_sdwa v30, v11 dst_sel:DWORD dst_unused:UNUSED_PAD src0_sel:WORD_0
	v_cvt_f32_u32_sdwa v31, v11 dst_sel:DWORD dst_unused:UNUSED_PAD src0_sel:WORD_1
	;; [unrolled: 2-line block ×4, first 2 shown]
.LBB804_5:
	s_or_b64 exec, exec, s[0:1]
	s_waitcnt vmcnt(2)
	v_mul_f32_e32 v10, v19, v19
	v_fmac_f32_e32 v10, v18, v18
	v_fmac_f32_e32 v10, v20, v20
	;; [unrolled: 1-line block ×15, first 2 shown]
	v_and_b32_e32 v12, 63, v0
	v_cmp_eq_u32_e64 s[0:1], 63, v12
	v_mov_b32_dpp v11, v10 quad_perm:[1,0,3,2] row_mask:0xf bank_mask:0xf
	v_add_f32_e32 v10, v10, v11
	s_nop 1
	v_mov_b32_dpp v11, v10 quad_perm:[2,3,0,1] row_mask:0xf bank_mask:0xf
	v_add_f32_e32 v10, v10, v11
	s_nop 1
	v_mov_b32_dpp v11, v10 row_half_mirror row_mask:0xf bank_mask:0xf
	v_add_f32_e32 v10, v10, v11
	s_nop 1
	v_mov_b32_dpp v11, v10 row_mirror row_mask:0xf bank_mask:0xf
	v_add_f32_e32 v10, v10, v11
	s_nop 1
	v_mov_b32_dpp v11, v10 row_bcast:15 row_mask:0xf bank_mask:0xf
	v_add_f32_e32 v10, v10, v11
	s_nop 1
	v_mov_b32_dpp v11, v10 row_bcast:31 row_mask:0xf bank_mask:0xf
	s_and_saveexec_b64 s[14:15], s[0:1]
	s_cbranch_execz .LBB804_7
; %bb.6:
	v_add_f32_e32 v10, v10, v11
	v_lshrrev_b32_e32 v11, 4, v0
	v_and_b32_e32 v11, 60, v11
	ds_write_b32 v11, v10 offset:16
.LBB804_7:
	s_or_b64 exec, exec, s[14:15]
	v_and_b32_e32 v10, 3, v0
	v_lshlrev_b32_e32 v34, 2, v10
	s_waitcnt lgkmcnt(0)
	s_barrier
	ds_read_b32 v10, v34 offset:16
	s_load_dwordx2 s[14:15], s[4:5], 0x18
	s_waitcnt lgkmcnt(0)
	v_mov_b32_dpp v11, v10 quad_perm:[1,0,3,2] row_mask:0xf bank_mask:0xf
	v_add_f32_e32 v10, v10, v11
	s_nop 1
	v_mov_b32_dpp v11, v10 quad_perm:[2,3,0,1] row_mask:0xf bank_mask:0xf
	s_and_saveexec_b64 s[20:21], s[2:3]
	s_cbranch_execz .LBB804_9
; %bb.8:
	v_cvt_f32_u32_e32 v12, s7
	v_add_f32_e32 v10, v10, v11
	v_mov_b32_e32 v14, s13
	v_mov_b32_e32 v15, s12
	v_div_scale_f32 v11, s[26:27], v12, v12, v10
	v_rcp_f32_e32 v13, v11
	v_cndmask_b32_e32 v14, v14, v15, vcc
	s_mov_b32 s7, 0x800000
	v_fma_f32 v15, -v11, v13, 1.0
	v_fmac_f32_e32 v13, v15, v13
	v_div_scale_f32 v15, vcc, v10, v12, v10
	v_mul_f32_e32 v16, v15, v13
	v_fma_f32 v17, -v11, v16, v15
	v_fmac_f32_e32 v16, v17, v13
	v_fma_f32 v11, -v11, v16, v15
	v_div_fmas_f32 v11, v11, v13, v16
	v_div_fixup_f32 v10, v11, v12, v10
	v_add_f32_e32 v10, v14, v10
	v_mul_f32_e32 v11, 0x4b800000, v10
	v_cmp_gt_f32_e32 vcc, s7, v10
	v_cndmask_b32_e32 v10, v10, v11, vcc
	v_rsq_f32_e32 v10, v10
	v_mul_f32_e32 v11, 0x45800000, v10
	v_cndmask_b32_e32 v10, v10, v11, vcc
	v_mov_b32_e32 v11, v10
	;;#ASMSTART
	v_pk_mul_f32 v[12:13], v[18:19], v[10:11]
	;;#ASMEND
	s_waitcnt vmcnt(1)
	v_cvt_f32_u32_sdwa v19, v6 dst_sel:DWORD dst_unused:UNUSED_PAD src0_sel:WORD_1
	v_cvt_f32_u32_sdwa v18, v6 dst_sel:DWORD dst_unused:UNUSED_PAD src0_sel:WORD_0
	;;#ASMSTART
	v_pk_mul_f32 v[14:15], v[20:21], v[10:11]
	;;#ASMEND
	v_cvt_f32_u32_sdwa v21, v7 dst_sel:DWORD dst_unused:UNUSED_PAD src0_sel:WORD_1
	v_cvt_f32_u32_sdwa v20, v7 dst_sel:DWORD dst_unused:UNUSED_PAD src0_sel:WORD_0
	;;#ASMSTART
	v_pk_mul_f32 v[16:17], v[22:23], v[10:11]
	;;#ASMEND
	;;#ASMSTART
	v_pk_mul_f32 v[26:27], v[26:27], v[10:11]
	;;#ASMEND
	;; [unrolled: 3-line block ×6, first 2 shown]
	v_pk_add_f32 v[10:11], v[18:19], 1.0 op_sel_hi:[1,0]
	;;#ASMSTART
	v_pk_mul_f32 v[18:19], v[12:13], v[10:11]
	;;#ASMEND
	v_cvt_f32_u32_sdwa v13, v8 dst_sel:DWORD dst_unused:UNUSED_PAD src0_sel:WORD_1
	v_cvt_f32_u32_sdwa v12, v8 dst_sel:DWORD dst_unused:UNUSED_PAD src0_sel:WORD_0
	v_cvt_f32_u32_sdwa v29, v9 dst_sel:DWORD dst_unused:UNUSED_PAD src0_sel:WORD_1
	v_cvt_f32_u32_sdwa v28, v9 dst_sel:DWORD dst_unused:UNUSED_PAD src0_sel:WORD_0
	v_pk_add_f32 v[10:11], v[20:21], 1.0 op_sel_hi:[1,0]
	;;#ASMSTART
	v_pk_mul_f32 v[20:21], v[14:15], v[10:11]
	;;#ASMEND
	s_waitcnt vmcnt(0)
	v_cvt_f32_u32_sdwa v11, v2 dst_sel:DWORD dst_unused:UNUSED_PAD src0_sel:WORD_1
	v_cvt_f32_u32_sdwa v10, v2 dst_sel:DWORD dst_unused:UNUSED_PAD src0_sel:WORD_0
	v_pk_add_f32 v[8:9], v[12:13], 1.0 op_sel_hi:[1,0]
	;;#ASMSTART
	v_pk_mul_f32 v[22:23], v[16:17], v[8:9]
	;;#ASMEND
	v_pk_add_f32 v[8:9], v[28:29], 1.0 op_sel_hi:[1,0]
	v_cvt_f32_u32_sdwa v13, v3 dst_sel:DWORD dst_unused:UNUSED_PAD src0_sel:WORD_1
	v_cvt_f32_u32_sdwa v12, v3 dst_sel:DWORD dst_unused:UNUSED_PAD src0_sel:WORD_0
	;;#ASMSTART
	v_pk_mul_f32 v[26:27], v[26:27], v[8:9]
	;;#ASMEND
	v_cvt_f32_u32_sdwa v9, v4 dst_sel:DWORD dst_unused:UNUSED_PAD src0_sel:WORD_1
	v_cvt_f32_u32_sdwa v8, v4 dst_sel:DWORD dst_unused:UNUSED_PAD src0_sel:WORD_0
	v_pk_add_f32 v[2:3], v[10:11], 1.0 op_sel_hi:[1,0]
	v_cvt_f32_u32_sdwa v11, v5 dst_sel:DWORD dst_unused:UNUSED_PAD src0_sel:WORD_1
	v_cvt_f32_u32_sdwa v10, v5 dst_sel:DWORD dst_unused:UNUSED_PAD src0_sel:WORD_0
	;;#ASMSTART
	v_pk_mul_f32 v[24:25], v[24:25], v[2:3]
	;;#ASMEND
	v_pk_add_f32 v[2:3], v[12:13], 1.0 op_sel_hi:[1,0]
	;;#ASMSTART
	v_pk_mul_f32 v[30:31], v[30:31], v[2:3]
	;;#ASMEND
	v_pk_add_f32 v[2:3], v[8:9], 1.0 op_sel_hi:[1,0]
	;; [unrolled: 4-line block ×3, first 2 shown]
	;;#ASMSTART
	v_pk_mul_f32 v[28:29], v[6:7], v[2:3]
	;;#ASMEND
.LBB804_9:
	s_or_b64 exec, exec, s[20:21]
	s_load_dwordx2 s[26:27], s[4:5], 0x7c
	s_mov_b64 s[20:21], -1
	s_and_b64 vcc, exec, s[10:11]
	s_cbranch_vccnz .LBB804_13
; %bb.10:
	s_andn2_b64 vcc, exec, s[20:21]
	s_cbranch_vccz .LBB804_16
.LBB804_11:
	s_cmp_lt_i32 s16, 1
	s_cbranch_scc0 .LBB804_19
.LBB804_12:
	s_endpgm
.LBB804_13:
	s_and_saveexec_b64 s[10:11], s[2:3]
	s_cbranch_execz .LBB804_15
; %bb.14:
	s_waitcnt lgkmcnt(0)
	s_mul_hi_i32 s21, s27, s6
	s_mul_i32 s20, s27, s6
	s_lshl_b64 s[20:21], s[20:21], 1
	s_add_u32 s20, s14, s20
	s_addc_u32 s7, s15, s21
	s_and_b32 s21, s7, 0xffff
	s_mov_b32 s7, 0x7060302
	s_mov_b32 s23, 0x20000
	s_waitcnt vmcnt(0)
	v_perm_b32 v5, v27, v26, s7
	v_perm_b32 v4, v23, v22, s7
	v_perm_b32 v3, v21, v20, s7
	v_perm_b32 v2, v19, v18, s7
	v_lshlrev_b32_e32 v6, 5, v0
	buffer_store_dwordx4 v[2:5], v6, s[20:23], 0 offen
	;;#ASMSTART
	s_nop 0
	;;#ASMEND
	s_nop 0
	v_perm_b32 v5, v29, v28, s7
	v_perm_b32 v4, v33, v32, s7
	;; [unrolled: 1-line block ×4, first 2 shown]
	buffer_store_dwordx4 v[2:5], v6, s[20:23], 16 offen
	;;#ASMSTART
	s_nop 0
	;;#ASMEND
.LBB804_15:
	s_or_b64 exec, exec, s[10:11]
	s_cbranch_execnz .LBB804_11
.LBB804_16:
	s_and_saveexec_b64 s[10:11], s[2:3]
	s_cbranch_execz .LBB804_18
; %bb.17:
	s_load_dwordx2 s[2:3], s[4:5], 0x10
	s_waitcnt lgkmcnt(0)
	s_mul_hi_i32 s21, s26, s6
	s_mul_i32 s20, s26, s6
	s_lshl_b64 s[20:21], s[20:21], 1
	s_mov_b32 s23, 0x20000
	s_add_u32 s20, s2, s20
	s_addc_u32 s2, s3, s21
	s_and_b32 s21, s2, 0xffff
	s_mov_b32 s2, 0x7060302
	s_waitcnt vmcnt(0)
	v_perm_b32 v5, v27, v26, s2
	v_perm_b32 v4, v23, v22, s2
	;; [unrolled: 1-line block ×4, first 2 shown]
	v_lshlrev_b32_e32 v6, 5, v0
	buffer_store_dwordx4 v[2:5], v6, s[20:23], 0 offen
	;;#ASMSTART
	s_nop 0
	;;#ASMEND
	s_nop 0
	v_perm_b32 v5, v29, v28, s2
	v_perm_b32 v4, v33, v32, s2
	;; [unrolled: 1-line block ×4, first 2 shown]
	buffer_store_dwordx4 v[2:5], v6, s[20:23], 16 offen
	;;#ASMSTART
	s_nop 0
	;;#ASMEND
.LBB804_18:
	s_or_b64 exec, exec, s[10:11]
	s_cmp_lt_i32 s16, 1
	s_cbranch_scc1 .LBB804_12
.LBB804_19:
	s_load_dword s2, s[4:5], 0x94
	s_waitcnt lgkmcnt(0)
	s_cmp_lg_u32 s2, 1
	s_cbranch_scc1 .LBB804_12
; %bb.20:
	s_lshl_b32 s2, s16, 1
	s_add_i32 s2, s2, 2
	v_cmp_gt_u32_e32 vcc, s16, v1
	s_and_b32 s10, s2, -4
	v_mov_b32_e32 v18, 0
	v_lshlrev_b32_e32 v1, 5, v0
	v_mov_b32_e32 v14, 0
	v_mov_b32_e32 v15, 0
	;; [unrolled: 1-line block ×8, first 2 shown]
	s_waitcnt vmcnt(1)
	v_mov_b32_e32 v6, 0
	v_mov_b32_e32 v7, 0
	;; [unrolled: 1-line block ×4, first 2 shown]
	s_waitcnt vmcnt(0)
	v_mov_b32_e32 v2, 0
	v_mov_b32_e32 v3, 0
	;; [unrolled: 1-line block ×4, first 2 shown]
	s_barrier
	s_and_saveexec_b64 s[2:3], vcc
	s_cbranch_execz .LBB804_22
; %bb.21:
	s_mul_hi_i32 s5, s18, s6
	s_mul_i32 s4, s18, s6
	s_and_b32 s9, s9, 0xffff
	s_lshl_b64 s[4:5], s[4:5], 1
	s_add_u32 s20, s24, s4
	s_mov_b32 s11, 0x20000
	s_addc_u32 s4, s25, s5
	s_and_b32 s21, s4, 0xffff
	s_mov_b32 s22, s10
	s_mov_b32 s23, s11
	buffer_load_dwordx4 v[14:17], v1, s[20:23], 0 offen
	buffer_load_dwordx4 v[10:13], v1, s[20:23], 16 offen
	;; [unrolled: 1-line block ×4, first 2 shown]
.LBB804_22:
	s_or_b64 exec, exec, s[2:3]
	v_mov_b32_e32 v19, 0
	v_mov_b32_e32 v32, 0
	v_mov_b32_e32 v33, 0
	v_mov_b32_e32 v30, 0
	v_mov_b32_e32 v31, 0
	v_mov_b32_e32 v28, 0
	v_mov_b32_e32 v29, 0
	v_mov_b32_e32 v26, 0
	v_mov_b32_e32 v27, 0
	v_mov_b32_e32 v24, 0
	v_mov_b32_e32 v25, 0
	v_mov_b32_e32 v22, 0
	v_mov_b32_e32 v23, 0
	v_mov_b32_e32 v20, 0
	v_mov_b32_e32 v21, 0
	s_and_saveexec_b64 s[2:3], vcc
	s_cbranch_execz .LBB804_24
; %bb.23:
	s_waitcnt vmcnt(3)
	v_cvt_f32_u32_sdwa v18, v14 dst_sel:DWORD dst_unused:UNUSED_PAD src0_sel:WORD_0
	v_cvt_f32_u32_sdwa v19, v14 dst_sel:DWORD dst_unused:UNUSED_PAD src0_sel:WORD_1
	v_cvt_f32_u32_sdwa v32, v15 dst_sel:DWORD dst_unused:UNUSED_PAD src0_sel:WORD_0
	v_cvt_f32_u32_sdwa v33, v15 dst_sel:DWORD dst_unused:UNUSED_PAD src0_sel:WORD_1
	;; [unrolled: 2-line block ×4, first 2 shown]
	s_waitcnt vmcnt(2)
	v_cvt_f32_u32_sdwa v26, v10 dst_sel:DWORD dst_unused:UNUSED_PAD src0_sel:WORD_0
	v_cvt_f32_u32_sdwa v27, v10 dst_sel:DWORD dst_unused:UNUSED_PAD src0_sel:WORD_1
	v_cvt_f32_u32_sdwa v24, v11 dst_sel:DWORD dst_unused:UNUSED_PAD src0_sel:WORD_0
	v_cvt_f32_u32_sdwa v25, v11 dst_sel:DWORD dst_unused:UNUSED_PAD src0_sel:WORD_1
	;; [unrolled: 2-line block ×4, first 2 shown]
.LBB804_24:
	s_or_b64 exec, exec, s[2:3]
	s_waitcnt vmcnt(2)
	v_mul_f32_e32 v10, v19, v19
	v_fmac_f32_e32 v10, v18, v18
	v_fmac_f32_e32 v10, v32, v32
	;; [unrolled: 1-line block ×15, first 2 shown]
	s_nop 1
	v_mov_b32_dpp v11, v10 quad_perm:[1,0,3,2] row_mask:0xf bank_mask:0xf
	v_add_f32_e32 v10, v10, v11
	s_nop 1
	v_mov_b32_dpp v11, v10 quad_perm:[2,3,0,1] row_mask:0xf bank_mask:0xf
	v_add_f32_e32 v10, v10, v11
	s_nop 1
	v_mov_b32_dpp v11, v10 row_half_mirror row_mask:0xf bank_mask:0xf
	v_add_f32_e32 v10, v10, v11
	s_nop 1
	v_mov_b32_dpp v11, v10 row_mirror row_mask:0xf bank_mask:0xf
	v_add_f32_e32 v10, v10, v11
	s_nop 1
	v_mov_b32_dpp v11, v10 row_bcast:15 row_mask:0xf bank_mask:0xf
	v_add_f32_e32 v10, v10, v11
	s_nop 1
	v_mov_b32_dpp v11, v10 row_bcast:31 row_mask:0xf bank_mask:0xf
	s_and_saveexec_b64 s[2:3], s[0:1]
	s_cbranch_execz .LBB804_26
; %bb.25:
	v_lshrrev_b32_e32 v0, 4, v0
	v_add_f32_e32 v10, v10, v11
	v_and_b32_e32 v0, 60, v0
	ds_write_b32 v0, v10
.LBB804_26:
	s_or_b64 exec, exec, s[2:3]
	s_waitcnt lgkmcnt(0)
	s_barrier
	ds_read_b32 v0, v34
	s_waitcnt lgkmcnt(0)
	s_nop 0
	v_mov_b32_dpp v10, v0 quad_perm:[1,0,3,2] row_mask:0xf bank_mask:0xf
	v_add_f32_e32 v0, v0, v10
	s_nop 1
	v_mov_b32_dpp v10, v0 quad_perm:[2,3,0,1] row_mask:0xf bank_mask:0xf
	s_and_saveexec_b64 s[0:1], vcc
	s_cbranch_execz .LBB804_12
; %bb.27:
	v_cvt_f32_u32_e32 v11, s16
	v_add_f32_e32 v0, v0, v10
	s_mov_b32 s11, 0x20000
	v_div_scale_f32 v10, s[0:1], v11, v11, v0
	v_rcp_f32_e32 v12, v10
	v_div_scale_f32 v13, vcc, v0, v11, v0
	s_mov_b32 s0, 0x800000
	v_fma_f32 v14, -v10, v12, 1.0
	v_fmac_f32_e32 v12, v14, v12
	v_mul_f32_e32 v14, v13, v12
	v_fma_f32 v15, -v10, v14, v13
	v_fmac_f32_e32 v14, v15, v12
	v_fma_f32 v10, -v10, v14, v13
	v_div_fmas_f32 v10, v10, v12, v14
	v_div_fixup_f32 v0, v10, v11, v0
	v_add_f32_e32 v0, s13, v0
	v_mul_f32_e32 v10, 0x4b800000, v0
	v_cmp_gt_f32_e32 vcc, s0, v0
	v_cndmask_b32_e32 v0, v0, v10, vcc
	v_rsq_f32_e32 v0, v0
	s_mul_hi_i32 s1, s27, s6
	s_mul_i32 s0, s27, s6
	s_lshl_b64 s[0:1], s[0:1], 1
	v_mul_f32_e32 v10, 0x45800000, v0
	v_cndmask_b32_e32 v10, v0, v10, vcc
	v_mov_b32_e32 v11, v10
	;;#ASMSTART
	v_pk_mul_f32 v[12:13], v[18:19], v[10:11]
	;;#ASMEND
	;;#ASMSTART
	v_pk_mul_f32 v[14:15], v[32:33], v[10:11]
	;;#ASMEND
	;; [unrolled: 3-line block ×4, first 2 shown]
	s_waitcnt vmcnt(1)
	v_cvt_f32_u32_sdwa v29, v6 dst_sel:DWORD dst_unused:UNUSED_PAD src0_sel:WORD_1
	v_cvt_f32_u32_sdwa v28, v6 dst_sel:DWORD dst_unused:UNUSED_PAD src0_sel:WORD_0
	v_cvt_f32_u32_sdwa v31, v7 dst_sel:DWORD dst_unused:UNUSED_PAD src0_sel:WORD_1
	v_cvt_f32_u32_sdwa v30, v7 dst_sel:DWORD dst_unused:UNUSED_PAD src0_sel:WORD_0
	;;#ASMSTART
	v_pk_mul_f32 v[26:27], v[26:27], v[10:11]
	;;#ASMEND
	;;#ASMSTART
	v_pk_mul_f32 v[24:25], v[24:25], v[10:11]
	;;#ASMEND
	;; [unrolled: 3-line block ×4, first 2 shown]
	v_cvt_f32_u32_sdwa v21, v8 dst_sel:DWORD dst_unused:UNUSED_PAD src0_sel:WORD_1
	v_cvt_f32_u32_sdwa v20, v8 dst_sel:DWORD dst_unused:UNUSED_PAD src0_sel:WORD_0
	v_pk_add_f32 v[10:11], v[28:29], 1.0 op_sel_hi:[1,0]
	;;#ASMSTART
	v_pk_mul_f32 v[10:11], v[12:13], v[10:11]
	;;#ASMEND
	v_pk_add_f32 v[12:13], v[30:31], 1.0 op_sel_hi:[1,0]
	v_cvt_f32_u32_sdwa v29, v9 dst_sel:DWORD dst_unused:UNUSED_PAD src0_sel:WORD_1
	v_cvt_f32_u32_sdwa v28, v9 dst_sel:DWORD dst_unused:UNUSED_PAD src0_sel:WORD_0
	;;#ASMSTART
	v_pk_mul_f32 v[8:9], v[14:15], v[12:13]
	;;#ASMEND
	v_pk_add_f32 v[12:13], v[20:21], 1.0 op_sel_hi:[1,0]
	;;#ASMSTART
	v_pk_mul_f32 v[12:13], v[16:17], v[12:13]
	;;#ASMEND
	s_waitcnt vmcnt(0)
	v_cvt_f32_u32_sdwa v17, v2 dst_sel:DWORD dst_unused:UNUSED_PAD src0_sel:WORD_1
	v_cvt_f32_u32_sdwa v16, v2 dst_sel:DWORD dst_unused:UNUSED_PAD src0_sel:WORD_0
	v_cvt_f32_u32_sdwa v21, v3 dst_sel:DWORD dst_unused:UNUSED_PAD src0_sel:WORD_1
	v_cvt_f32_u32_sdwa v20, v3 dst_sel:DWORD dst_unused:UNUSED_PAD src0_sel:WORD_0
	v_pk_add_f32 v[14:15], v[28:29], 1.0 op_sel_hi:[1,0]
	;;#ASMSTART
	v_pk_mul_f32 v[14:15], v[18:19], v[14:15]
	;;#ASMEND
	v_pk_add_f32 v[2:3], v[16:17], 1.0 op_sel_hi:[1,0]
	v_cvt_f32_u32_sdwa v19, v4 dst_sel:DWORD dst_unused:UNUSED_PAD src0_sel:WORD_1
	v_cvt_f32_u32_sdwa v18, v4 dst_sel:DWORD dst_unused:UNUSED_PAD src0_sel:WORD_0
	;;#ASMSTART
	v_pk_mul_f32 v[16:17], v[26:27], v[2:3]
	;;#ASMEND
	v_pk_add_f32 v[2:3], v[20:21], 1.0 op_sel_hi:[1,0]
	v_cvt_f32_u32_sdwa v21, v5 dst_sel:DWORD dst_unused:UNUSED_PAD src0_sel:WORD_1
	v_cvt_f32_u32_sdwa v20, v5 dst_sel:DWORD dst_unused:UNUSED_PAD src0_sel:WORD_0
	s_add_u32 s8, s14, s0
	;;#ASMSTART
	v_pk_mul_f32 v[24:25], v[24:25], v[2:3]
	;;#ASMEND
	v_pk_add_f32 v[2:3], v[18:19], 1.0 op_sel_hi:[1,0]
	s_addc_u32 s0, s15, s1
	;;#ASMSTART
	v_pk_mul_f32 v[18:19], v[22:23], v[2:3]
	;;#ASMEND
	v_pk_add_f32 v[2:3], v[20:21], 1.0 op_sel_hi:[1,0]
	s_and_b32 s9, s0, 0xffff
	s_mov_b32 s0, 0x7060302
	;;#ASMSTART
	v_pk_mul_f32 v[6:7], v[6:7], v[2:3]
	;;#ASMEND
	v_perm_b32 v2, v11, v10, s0
	v_perm_b32 v3, v9, v8, s0
	;; [unrolled: 1-line block ×4, first 2 shown]
	buffer_store_dwordx4 v[2:5], v1, s[8:11], 0 offen
	;;#ASMSTART
	s_nop 0
	;;#ASMEND
	s_nop 0
	v_perm_b32 v2, v17, v16, s0
	v_perm_b32 v3, v25, v24, s0
	;; [unrolled: 1-line block ×4, first 2 shown]
	buffer_store_dwordx4 v[2:5], v1, s[8:11], 16 offen
	;;#ASMSTART
	s_nop 0
	;;#ASMEND
	s_endpgm
	.section	.rodata,"a",@progbits
	.p2align	6, 0x0
	.amdhsa_kernel _ZN5aiter35fused_qk_rmsnorm_group_quant_kernelItN4opus5fp4_tELi256ELi16ELi4ELb0ELb1ELb1ELb1ELb0ELb0EEEvPT0_PvPT_S7_S7_PKS6_S9_S9_S9_S9_ffiiiiiiiiiiiii
		.amdhsa_group_segment_fixed_size 32
		.amdhsa_private_segment_fixed_size 0
		.amdhsa_kernarg_size 400
		.amdhsa_user_sgpr_count 6
		.amdhsa_user_sgpr_private_segment_buffer 1
		.amdhsa_user_sgpr_dispatch_ptr 0
		.amdhsa_user_sgpr_queue_ptr 0
		.amdhsa_user_sgpr_kernarg_segment_ptr 1
		.amdhsa_user_sgpr_dispatch_id 0
		.amdhsa_user_sgpr_flat_scratch_init 0
		.amdhsa_user_sgpr_kernarg_preload_length 0
		.amdhsa_user_sgpr_kernarg_preload_offset 0
		.amdhsa_user_sgpr_private_segment_size 0
		.amdhsa_uses_dynamic_stack 0
		.amdhsa_system_sgpr_private_segment_wavefront_offset 0
		.amdhsa_system_sgpr_workgroup_id_x 1
		.amdhsa_system_sgpr_workgroup_id_y 1
		.amdhsa_system_sgpr_workgroup_id_z 0
		.amdhsa_system_sgpr_workgroup_info 0
		.amdhsa_system_vgpr_workitem_id 0
		.amdhsa_next_free_vgpr 35
		.amdhsa_next_free_sgpr 32
		.amdhsa_accum_offset 36
		.amdhsa_reserve_vcc 1
		.amdhsa_reserve_flat_scratch 0
		.amdhsa_float_round_mode_32 0
		.amdhsa_float_round_mode_16_64 0
		.amdhsa_float_denorm_mode_32 3
		.amdhsa_float_denorm_mode_16_64 3
		.amdhsa_dx10_clamp 1
		.amdhsa_ieee_mode 1
		.amdhsa_fp16_overflow 0
		.amdhsa_tg_split 0
		.amdhsa_exception_fp_ieee_invalid_op 0
		.amdhsa_exception_fp_denorm_src 0
		.amdhsa_exception_fp_ieee_div_zero 0
		.amdhsa_exception_fp_ieee_overflow 0
		.amdhsa_exception_fp_ieee_underflow 0
		.amdhsa_exception_fp_ieee_inexact 0
		.amdhsa_exception_int_div_zero 0
	.end_amdhsa_kernel
	.section	.text._ZN5aiter35fused_qk_rmsnorm_group_quant_kernelItN4opus5fp4_tELi256ELi16ELi4ELb0ELb1ELb1ELb1ELb0ELb0EEEvPT0_PvPT_S7_S7_PKS6_S9_S9_S9_S9_ffiiiiiiiiiiiii,"axG",@progbits,_ZN5aiter35fused_qk_rmsnorm_group_quant_kernelItN4opus5fp4_tELi256ELi16ELi4ELb0ELb1ELb1ELb1ELb0ELb0EEEvPT0_PvPT_S7_S7_PKS6_S9_S9_S9_S9_ffiiiiiiiiiiiii,comdat
.Lfunc_end804:
	.size	_ZN5aiter35fused_qk_rmsnorm_group_quant_kernelItN4opus5fp4_tELi256ELi16ELi4ELb0ELb1ELb1ELb1ELb0ELb0EEEvPT0_PvPT_S7_S7_PKS6_S9_S9_S9_S9_ffiiiiiiiiiiiii, .Lfunc_end804-_ZN5aiter35fused_qk_rmsnorm_group_quant_kernelItN4opus5fp4_tELi256ELi16ELi4ELb0ELb1ELb1ELb1ELb0ELb0EEEvPT0_PvPT_S7_S7_PKS6_S9_S9_S9_S9_ffiiiiiiiiiiiii
                                        ; -- End function
	.section	.AMDGPU.csdata,"",@progbits
; Kernel info:
; codeLenInByte = 2940
; NumSgprs: 36
; NumVgprs: 35
; NumAgprs: 0
; TotalNumVgprs: 35
; ScratchSize: 0
; MemoryBound: 0
; FloatMode: 240
; IeeeMode: 1
; LDSByteSize: 32 bytes/workgroup (compile time only)
; SGPRBlocks: 4
; VGPRBlocks: 4
; NumSGPRsForWavesPerEU: 36
; NumVGPRsForWavesPerEU: 35
; AccumOffset: 36
; Occupancy: 8
; WaveLimiterHint : 0
; COMPUTE_PGM_RSRC2:SCRATCH_EN: 0
; COMPUTE_PGM_RSRC2:USER_SGPR: 6
; COMPUTE_PGM_RSRC2:TRAP_HANDLER: 0
; COMPUTE_PGM_RSRC2:TGID_X_EN: 1
; COMPUTE_PGM_RSRC2:TGID_Y_EN: 1
; COMPUTE_PGM_RSRC2:TGID_Z_EN: 0
; COMPUTE_PGM_RSRC2:TIDIG_COMP_CNT: 0
; COMPUTE_PGM_RSRC3_GFX90A:ACCUM_OFFSET: 8
; COMPUTE_PGM_RSRC3_GFX90A:TG_SPLIT: 0
	.section	.text._ZN5aiter35fused_qk_rmsnorm_group_quant_kernelIDF16_DB8_Li256ELi16ELi4ELb0ELb1ELb0ELb1ELb0ELb0EEEvPT0_PvPT_S6_S6_PKS5_S8_S8_S8_S8_ffiiiiiiiiiiiii,"axG",@progbits,_ZN5aiter35fused_qk_rmsnorm_group_quant_kernelIDF16_DB8_Li256ELi16ELi4ELb0ELb1ELb0ELb1ELb0ELb0EEEvPT0_PvPT_S6_S6_PKS5_S8_S8_S8_S8_ffiiiiiiiiiiiii,comdat
	.protected	_ZN5aiter35fused_qk_rmsnorm_group_quant_kernelIDF16_DB8_Li256ELi16ELi4ELb0ELb1ELb0ELb1ELb0ELb0EEEvPT0_PvPT_S6_S6_PKS5_S8_S8_S8_S8_ffiiiiiiiiiiiii ; -- Begin function _ZN5aiter35fused_qk_rmsnorm_group_quant_kernelIDF16_DB8_Li256ELi16ELi4ELb0ELb1ELb0ELb1ELb0ELb0EEEvPT0_PvPT_S6_S6_PKS5_S8_S8_S8_S8_ffiiiiiiiiiiiii
	.globl	_ZN5aiter35fused_qk_rmsnorm_group_quant_kernelIDF16_DB8_Li256ELi16ELi4ELb0ELb1ELb0ELb1ELb0ELb0EEEvPT0_PvPT_S6_S6_PKS5_S8_S8_S8_S8_ffiiiiiiiiiiiii
	.p2align	8
	.type	_ZN5aiter35fused_qk_rmsnorm_group_quant_kernelIDF16_DB8_Li256ELi16ELi4ELb0ELb1ELb0ELb1ELb0ELb0EEEvPT0_PvPT_S6_S6_PKS5_S8_S8_S8_S8_ffiiiiiiiiiiiii,@function
_ZN5aiter35fused_qk_rmsnorm_group_quant_kernelIDF16_DB8_Li256ELi16ELi4ELb0ELb1ELb0ELb1ELb0ELb0EEEvPT0_PvPT_S6_S6_PKS5_S8_S8_S8_S8_ffiiiiiiiiiiiii: ; @_ZN5aiter35fused_qk_rmsnorm_group_quant_kernelIDF16_DB8_Li256ELi16ELi4ELb0ELb1ELb0ELb1ELb0ELb0EEEvPT0_PvPT_S6_S6_PKS5_S8_S8_S8_S8_ffiiiiiiiiiiiii
; %bb.0:
	s_load_dwordx4 s[12:15], s[4:5], 0x50
	s_waitcnt lgkmcnt(0)
	s_cmp_ge_i32 s6, s14
	s_cbranch_scc1 .LBB805_12
; %bb.1:
	s_load_dwordx2 s[24:25], s[4:5], 0x30
	s_load_dwordx2 s[8:9], s[4:5], 0x48
	s_load_dwordx4 s[16:19], s[4:5], 0x60
	s_cmp_lg_u32 s7, 0
	s_cselect_b64 s[10:11], -1, 0
	s_cmp_eq_u32 s7, 0
	s_cselect_b64 vcc, -1, 0
	s_and_b64 s[0:1], vcc, exec
	s_waitcnt lgkmcnt(0)
	s_cselect_b32 s7, s15, s16
	s_add_i32 s0, s7, 1
	s_lshr_b32 s1, s0, 31
	s_add_i32 s0, s0, s1
	s_lshl_b32 s0, s0, 1
	v_lshlrev_b32_e32 v1, 4, v0
	s_and_b32 s22, s0, -4
	v_cmp_gt_i32_e64 s[2:3], s7, v1
	v_mov_b32_e32 v18, 0
	v_mov_b32_e32 v6, 0
	;; [unrolled: 1-line block ×17, first 2 shown]
	s_and_saveexec_b64 s[0:1], s[2:3]
	s_cbranch_execz .LBB805_3
; %bb.2:
	s_load_dwordx2 s[14:15], s[4:5], 0x28
	s_load_dwordx2 s[20:21], s[4:5], 0x40
	s_and_b64 s[26:27], vcc, exec
	s_cselect_b32 s17, s17, s18
	s_mov_b32 s30, s22
	s_waitcnt lgkmcnt(0)
	s_cselect_b32 s19, s15, s25
	s_cselect_b32 s23, s14, s24
	s_mul_hi_i32 s15, s17, s6
	s_mul_i32 s14, s17, s6
	s_lshl_b64 s[14:15], s[14:15], 1
	s_add_u32 s28, s23, s14
	s_addc_u32 s17, s19, s15
	s_and_b64 s[14:15], vcc, exec
	s_mov_b32 s23, 0x20000
	s_cselect_b32 s20, s20, s8
	s_cselect_b32 s14, s21, s9
	s_and_b32 s29, s17, 0xffff
	s_mov_b32 s31, s23
	v_lshlrev_b32_e32 v19, 5, v0
	s_and_b32 s21, s14, 0xffff
	buffer_load_dwordx4 v[14:17], v19, s[28:31], 0 offen
	buffer_load_dwordx4 v[10:13], v19, s[28:31], 16 offen
	;; [unrolled: 1-line block ×4, first 2 shown]
.LBB805_3:
	s_or_b64 exec, exec, s[0:1]
	v_mov_b32_e32 v19, 0
	v_mov_b32_e32 v20, 0
	;; [unrolled: 1-line block ×15, first 2 shown]
	s_and_saveexec_b64 s[0:1], s[2:3]
	s_cbranch_execz .LBB805_5
; %bb.4:
	s_waitcnt vmcnt(3)
	v_cvt_f32_f16_sdwa v19, v14 dst_sel:DWORD dst_unused:UNUSED_PAD src0_sel:WORD_1
	v_cvt_f32_f16_e32 v18, v14
	v_cvt_f32_f16_sdwa v21, v15 dst_sel:DWORD dst_unused:UNUSED_PAD src0_sel:WORD_1
	v_cvt_f32_f16_e32 v20, v15
	;; [unrolled: 2-line block ×4, first 2 shown]
	s_waitcnt vmcnt(2)
	v_cvt_f32_f16_sdwa v25, v10 dst_sel:DWORD dst_unused:UNUSED_PAD src0_sel:WORD_1
	v_cvt_f32_f16_e32 v24, v10
	v_cvt_f32_f16_sdwa v29, v11 dst_sel:DWORD dst_unused:UNUSED_PAD src0_sel:WORD_1
	v_cvt_f32_f16_e32 v28, v11
	;; [unrolled: 2-line block ×4, first 2 shown]
.LBB805_5:
	s_or_b64 exec, exec, s[0:1]
	s_waitcnt vmcnt(2)
	v_mul_f32_e32 v10, v19, v19
	v_fmac_f32_e32 v10, v18, v18
	v_fmac_f32_e32 v10, v20, v20
	;; [unrolled: 1-line block ×15, first 2 shown]
	v_and_b32_e32 v12, 63, v0
	v_cmp_eq_u32_e64 s[0:1], 63, v12
	v_mov_b32_dpp v11, v10 quad_perm:[1,0,3,2] row_mask:0xf bank_mask:0xf
	v_add_f32_e32 v10, v10, v11
	s_nop 1
	v_mov_b32_dpp v11, v10 quad_perm:[2,3,0,1] row_mask:0xf bank_mask:0xf
	v_add_f32_e32 v10, v10, v11
	s_nop 1
	v_mov_b32_dpp v11, v10 row_half_mirror row_mask:0xf bank_mask:0xf
	v_add_f32_e32 v10, v10, v11
	s_nop 1
	v_mov_b32_dpp v11, v10 row_mirror row_mask:0xf bank_mask:0xf
	v_add_f32_e32 v10, v10, v11
	s_nop 1
	v_mov_b32_dpp v11, v10 row_bcast:15 row_mask:0xf bank_mask:0xf
	v_add_f32_e32 v10, v10, v11
	s_nop 1
	v_mov_b32_dpp v11, v10 row_bcast:31 row_mask:0xf bank_mask:0xf
	s_and_saveexec_b64 s[14:15], s[0:1]
	s_cbranch_execz .LBB805_7
; %bb.6:
	v_add_f32_e32 v10, v10, v11
	v_lshrrev_b32_e32 v11, 4, v0
	v_and_b32_e32 v11, 60, v11
	ds_write_b32 v11, v10 offset:16
.LBB805_7:
	s_or_b64 exec, exec, s[14:15]
	v_and_b32_e32 v10, 3, v0
	v_lshlrev_b32_e32 v34, 2, v10
	s_waitcnt lgkmcnt(0)
	s_barrier
	ds_read_b32 v10, v34 offset:16
	s_load_dwordx2 s[14:15], s[4:5], 0x18
	s_waitcnt lgkmcnt(0)
	v_mov_b32_dpp v11, v10 quad_perm:[1,0,3,2] row_mask:0xf bank_mask:0xf
	v_add_f32_e32 v10, v10, v11
	s_nop 1
	v_mov_b32_dpp v11, v10 quad_perm:[2,3,0,1] row_mask:0xf bank_mask:0xf
	s_and_saveexec_b64 s[20:21], s[2:3]
	s_cbranch_execz .LBB805_9
; %bb.8:
	v_cvt_f32_u32_e32 v12, s7
	v_add_f32_e32 v10, v10, v11
	v_mov_b32_e32 v14, s13
	v_mov_b32_e32 v15, s12
	v_div_scale_f32 v11, s[26:27], v12, v12, v10
	v_rcp_f32_e32 v13, v11
	v_cndmask_b32_e32 v14, v14, v15, vcc
	s_mov_b32 s7, 0x800000
	v_fma_f32 v15, -v11, v13, 1.0
	v_fmac_f32_e32 v13, v15, v13
	v_div_scale_f32 v15, vcc, v10, v12, v10
	v_mul_f32_e32 v16, v15, v13
	v_fma_f32 v17, -v11, v16, v15
	v_fmac_f32_e32 v16, v17, v13
	v_fma_f32 v11, -v11, v16, v15
	v_div_fmas_f32 v11, v11, v13, v16
	v_div_fixup_f32 v10, v11, v12, v10
	v_add_f32_e32 v10, v14, v10
	v_mul_f32_e32 v11, 0x4b800000, v10
	v_cmp_gt_f32_e32 vcc, s7, v10
	v_cndmask_b32_e32 v10, v10, v11, vcc
	v_rsq_f32_e32 v10, v10
	v_mul_f32_e32 v11, 0x45800000, v10
	v_cndmask_b32_e32 v10, v10, v11, vcc
	v_mov_b32_e32 v11, v10
	;;#ASMSTART
	v_pk_mul_f32 v[12:13], v[18:19], v[10:11]
	;;#ASMEND
	;;#ASMSTART
	v_pk_mul_f32 v[14:15], v[20:21], v[10:11]
	;;#ASMEND
	;; [unrolled: 3-line block ×8, first 2 shown]
	s_waitcnt vmcnt(1)
	v_cvt_f32_f16_sdwa v19, v6 dst_sel:DWORD dst_unused:UNUSED_PAD src0_sel:WORD_1
	v_cvt_f32_f16_e32 v18, v6
	v_cvt_f32_f16_sdwa v21, v7 dst_sel:DWORD dst_unused:UNUSED_PAD src0_sel:WORD_1
	v_cvt_f32_f16_e32 v20, v7
	;; [unrolled: 2-line block ×4, first 2 shown]
	;;#ASMSTART
	v_pk_mul_f32 v[18:19], v[12:13], v[18:19]
	;;#ASMEND
	;;#ASMSTART
	v_pk_mul_f32 v[20:21], v[14:15], v[20:21]
	;;#ASMEND
	;; [unrolled: 3-line block ×4, first 2 shown]
	s_waitcnt vmcnt(0)
	v_cvt_f32_f16_sdwa v7, v2 dst_sel:DWORD dst_unused:UNUSED_PAD src0_sel:WORD_1
	v_cvt_f32_f16_e32 v6, v2
	v_cvt_f32_f16_sdwa v9, v3 dst_sel:DWORD dst_unused:UNUSED_PAD src0_sel:WORD_1
	v_cvt_f32_f16_e32 v8, v3
	;; [unrolled: 2-line block ×4, first 2 shown]
	;;#ASMSTART
	v_pk_mul_f32 v[24:25], v[24:25], v[6:7]
	;;#ASMEND
	;;#ASMSTART
	v_pk_mul_f32 v[28:29], v[28:29], v[8:9]
	;;#ASMEND
	;;#ASMSTART
	v_pk_mul_f32 v[30:31], v[30:31], v[2:3]
	;;#ASMEND
	;;#ASMSTART
	v_pk_mul_f32 v[32:33], v[10:11], v[12:13]
	;;#ASMEND
.LBB805_9:
	s_or_b64 exec, exec, s[20:21]
	s_load_dwordx2 s[26:27], s[4:5], 0x7c
	s_mov_b64 s[20:21], -1
	s_and_b64 vcc, exec, s[10:11]
	s_cbranch_vccnz .LBB805_13
; %bb.10:
	s_andn2_b64 vcc, exec, s[20:21]
	s_cbranch_vccz .LBB805_16
.LBB805_11:
	s_cmp_lt_i32 s16, 1
	s_cbranch_scc0 .LBB805_19
.LBB805_12:
	s_endpgm
.LBB805_13:
	s_and_saveexec_b64 s[10:11], s[2:3]
	s_cbranch_execz .LBB805_15
; %bb.14:
	s_waitcnt lgkmcnt(0)
	s_mul_hi_i32 s21, s27, s6
	s_mul_i32 s20, s27, s6
	s_waitcnt vmcnt(0)
	v_cvt_f16_f32_e32 v2, v18
	v_cvt_f16_f32_e32 v3, v20
	v_cvt_f16_f32_e32 v4, v22
	v_cvt_f16_f32_e32 v5, v26
	v_cvt_f16_f32_e32 v6, v27
	v_cvt_f16_f32_e32 v7, v23
	v_cvt_f16_f32_e32 v8, v21
	v_cvt_f16_f32_e32 v9, v19
	s_lshl_b64 s[20:21], s[20:21], 1
	s_add_u32 s20, s14, s20
	s_addc_u32 s7, s15, s21
	s_and_b32 s21, s7, 0xffff
	s_mov_b32 s23, 0x20000
	v_pack_b32_f16 v5, v5, v6
	v_pack_b32_f16 v4, v4, v7
	;; [unrolled: 1-line block ×4, first 2 shown]
	v_lshlrev_b32_e32 v6, 5, v0
	buffer_store_dwordx4 v[2:5], v6, s[20:23], 0 offen
	v_cvt_f16_f32_e32 v7, v33
	v_cvt_f16_f32_e32 v2, v24
	;; [unrolled: 1-line block ×8, first 2 shown]
	v_pack_b32_f16 v5, v5, v7
	v_pack_b32_f16 v4, v4, v8
	;; [unrolled: 1-line block ×4, first 2 shown]
	;;#ASMSTART
	s_nop 0
	;;#ASMEND
	buffer_store_dwordx4 v[2:5], v6, s[20:23], 16 offen
	;;#ASMSTART
	s_nop 0
	;;#ASMEND
.LBB805_15:
	s_or_b64 exec, exec, s[10:11]
	s_cbranch_execnz .LBB805_11
.LBB805_16:
	s_and_saveexec_b64 s[10:11], s[2:3]
	s_cbranch_execz .LBB805_18
; %bb.17:
	s_load_dwordx2 s[2:3], s[4:5], 0x10
	s_waitcnt lgkmcnt(0)
	s_mul_hi_i32 s21, s26, s6
	s_mul_i32 s20, s26, s6
	s_waitcnt vmcnt(0)
	v_cvt_f16_f32_e32 v2, v18
	v_cvt_f16_f32_e32 v3, v20
	;; [unrolled: 1-line block ×8, first 2 shown]
	s_lshl_b64 s[20:21], s[20:21], 1
	s_add_u32 s20, s2, s20
	s_addc_u32 s2, s3, s21
	s_mov_b32 s23, 0x20000
	s_and_b32 s21, s2, 0xffff
	v_pack_b32_f16 v5, v5, v6
	v_pack_b32_f16 v4, v4, v7
	;; [unrolled: 1-line block ×4, first 2 shown]
	v_lshlrev_b32_e32 v6, 5, v0
	buffer_store_dwordx4 v[2:5], v6, s[20:23], 0 offen
	v_cvt_f16_f32_e32 v7, v33
	v_cvt_f16_f32_e32 v2, v24
	;; [unrolled: 1-line block ×8, first 2 shown]
	v_pack_b32_f16 v5, v5, v7
	v_pack_b32_f16 v4, v4, v8
	;; [unrolled: 1-line block ×4, first 2 shown]
	;;#ASMSTART
	s_nop 0
	;;#ASMEND
	buffer_store_dwordx4 v[2:5], v6, s[20:23], 16 offen
	;;#ASMSTART
	s_nop 0
	;;#ASMEND
.LBB805_18:
	s_or_b64 exec, exec, s[10:11]
	s_cmp_lt_i32 s16, 1
	s_cbranch_scc1 .LBB805_12
.LBB805_19:
	s_load_dword s2, s[4:5], 0x94
	s_waitcnt lgkmcnt(0)
	s_cmp_lg_u32 s2, 1
	s_cbranch_scc1 .LBB805_12
; %bb.20:
	s_lshl_b32 s2, s16, 1
	s_add_i32 s2, s2, 2
	v_cmp_gt_u32_e32 vcc, s16, v1
	s_and_b32 s10, s2, -4
	v_mov_b32_e32 v18, 0
	v_lshlrev_b32_e32 v1, 5, v0
	v_mov_b32_e32 v14, 0
	v_mov_b32_e32 v15, 0
	;; [unrolled: 1-line block ×8, first 2 shown]
	s_waitcnt vmcnt(1)
	v_mov_b32_e32 v6, 0
	v_mov_b32_e32 v7, 0
	;; [unrolled: 1-line block ×4, first 2 shown]
	s_waitcnt vmcnt(0)
	v_mov_b32_e32 v2, 0
	v_mov_b32_e32 v3, 0
	;; [unrolled: 1-line block ×4, first 2 shown]
	s_barrier
	s_and_saveexec_b64 s[2:3], vcc
	s_cbranch_execz .LBB805_22
; %bb.21:
	s_mul_hi_i32 s5, s18, s6
	s_mul_i32 s4, s18, s6
	s_and_b32 s9, s9, 0xffff
	s_lshl_b64 s[4:5], s[4:5], 1
	s_add_u32 s20, s24, s4
	s_mov_b32 s11, 0x20000
	s_addc_u32 s4, s25, s5
	s_and_b32 s21, s4, 0xffff
	s_mov_b32 s22, s10
	s_mov_b32 s23, s11
	buffer_load_dwordx4 v[14:17], v1, s[20:23], 0 offen
	buffer_load_dwordx4 v[10:13], v1, s[20:23], 16 offen
	;; [unrolled: 1-line block ×4, first 2 shown]
.LBB805_22:
	s_or_b64 exec, exec, s[2:3]
	v_mov_b32_e32 v19, 0
	v_mov_b32_e32 v32, 0
	;; [unrolled: 1-line block ×15, first 2 shown]
	s_and_saveexec_b64 s[2:3], vcc
	s_cbranch_execz .LBB805_24
; %bb.23:
	s_waitcnt vmcnt(3)
	v_cvt_f32_f16_sdwa v19, v14 dst_sel:DWORD dst_unused:UNUSED_PAD src0_sel:WORD_1
	v_cvt_f32_f16_e32 v18, v14
	v_cvt_f32_f16_sdwa v33, v15 dst_sel:DWORD dst_unused:UNUSED_PAD src0_sel:WORD_1
	v_cvt_f32_f16_e32 v32, v15
	;; [unrolled: 2-line block ×4, first 2 shown]
	s_waitcnt vmcnt(2)
	v_cvt_f32_f16_sdwa v27, v10 dst_sel:DWORD dst_unused:UNUSED_PAD src0_sel:WORD_1
	v_cvt_f32_f16_e32 v26, v10
	v_cvt_f32_f16_sdwa v25, v11 dst_sel:DWORD dst_unused:UNUSED_PAD src0_sel:WORD_1
	v_cvt_f32_f16_e32 v24, v11
	;; [unrolled: 2-line block ×4, first 2 shown]
.LBB805_24:
	s_or_b64 exec, exec, s[2:3]
	s_waitcnt vmcnt(2)
	v_mul_f32_e32 v10, v19, v19
	v_fmac_f32_e32 v10, v18, v18
	v_fmac_f32_e32 v10, v32, v32
	;; [unrolled: 1-line block ×15, first 2 shown]
	s_nop 1
	v_mov_b32_dpp v11, v10 quad_perm:[1,0,3,2] row_mask:0xf bank_mask:0xf
	v_add_f32_e32 v10, v10, v11
	s_nop 1
	v_mov_b32_dpp v11, v10 quad_perm:[2,3,0,1] row_mask:0xf bank_mask:0xf
	v_add_f32_e32 v10, v10, v11
	s_nop 1
	v_mov_b32_dpp v11, v10 row_half_mirror row_mask:0xf bank_mask:0xf
	v_add_f32_e32 v10, v10, v11
	s_nop 1
	v_mov_b32_dpp v11, v10 row_mirror row_mask:0xf bank_mask:0xf
	v_add_f32_e32 v10, v10, v11
	s_nop 1
	v_mov_b32_dpp v11, v10 row_bcast:15 row_mask:0xf bank_mask:0xf
	v_add_f32_e32 v10, v10, v11
	s_nop 1
	v_mov_b32_dpp v11, v10 row_bcast:31 row_mask:0xf bank_mask:0xf
	s_and_saveexec_b64 s[2:3], s[0:1]
	s_cbranch_execz .LBB805_26
; %bb.25:
	v_lshrrev_b32_e32 v0, 4, v0
	v_add_f32_e32 v10, v10, v11
	v_and_b32_e32 v0, 60, v0
	ds_write_b32 v0, v10
.LBB805_26:
	s_or_b64 exec, exec, s[2:3]
	s_waitcnt lgkmcnt(0)
	s_barrier
	ds_read_b32 v0, v34
	s_waitcnt lgkmcnt(0)
	s_nop 0
	v_mov_b32_dpp v10, v0 quad_perm:[1,0,3,2] row_mask:0xf bank_mask:0xf
	v_add_f32_e32 v0, v0, v10
	s_nop 1
	v_mov_b32_dpp v10, v0 quad_perm:[2,3,0,1] row_mask:0xf bank_mask:0xf
	s_and_saveexec_b64 s[0:1], vcc
	s_cbranch_execz .LBB805_12
; %bb.27:
	v_cvt_f32_u32_e32 v11, s16
	v_add_f32_e32 v0, v0, v10
	s_mov_b32 s11, 0x20000
	v_div_scale_f32 v10, s[0:1], v11, v11, v0
	v_rcp_f32_e32 v12, v10
	v_div_scale_f32 v13, vcc, v0, v11, v0
	s_mov_b32 s0, 0x800000
	v_fma_f32 v14, -v10, v12, 1.0
	v_fmac_f32_e32 v12, v14, v12
	v_mul_f32_e32 v14, v13, v12
	v_fma_f32 v15, -v10, v14, v13
	v_fmac_f32_e32 v14, v15, v12
	v_fma_f32 v10, -v10, v14, v13
	v_div_fmas_f32 v10, v10, v12, v14
	v_div_fixup_f32 v0, v10, v11, v0
	v_add_f32_e32 v0, s13, v0
	v_mul_f32_e32 v10, 0x4b800000, v0
	v_cmp_gt_f32_e32 vcc, s0, v0
	v_cndmask_b32_e32 v0, v0, v10, vcc
	v_rsq_f32_e32 v0, v0
	s_mul_hi_i32 s1, s27, s6
	s_mul_i32 s0, s27, s6
	s_lshl_b64 s[0:1], s[0:1], 1
	v_mul_f32_e32 v10, 0x45800000, v0
	v_cndmask_b32_e32 v10, v0, v10, vcc
	v_mov_b32_e32 v11, v10
	;;#ASMSTART
	v_pk_mul_f32 v[12:13], v[18:19], v[10:11]
	;;#ASMEND
	;;#ASMSTART
	v_pk_mul_f32 v[14:15], v[32:33], v[10:11]
	;;#ASMEND
	;;#ASMSTART
	v_pk_mul_f32 v[16:17], v[30:31], v[10:11]
	;;#ASMEND
	;;#ASMSTART
	v_pk_mul_f32 v[18:19], v[28:29], v[10:11]
	;;#ASMEND
	;;#ASMSTART
	v_pk_mul_f32 v[26:27], v[26:27], v[10:11]
	;;#ASMEND
	;;#ASMSTART
	v_pk_mul_f32 v[24:25], v[24:25], v[10:11]
	;;#ASMEND
	;;#ASMSTART
	v_pk_mul_f32 v[22:23], v[22:23], v[10:11]
	;;#ASMEND
	;;#ASMSTART
	v_pk_mul_f32 v[10:11], v[20:21], v[10:11]
	;;#ASMEND
	s_waitcnt vmcnt(1)
	v_cvt_f32_f16_sdwa v21, v6 dst_sel:DWORD dst_unused:UNUSED_PAD src0_sel:WORD_1
	v_cvt_f32_f16_e32 v20, v6
	v_cvt_f32_f16_sdwa v29, v7 dst_sel:DWORD dst_unused:UNUSED_PAD src0_sel:WORD_1
	v_cvt_f32_f16_e32 v28, v7
	;; [unrolled: 2-line block ×4, first 2 shown]
	;;#ASMSTART
	v_pk_mul_f32 v[8:9], v[12:13], v[20:21]
	;;#ASMEND
	;;#ASMSTART
	v_pk_mul_f32 v[12:13], v[14:15], v[28:29]
	;;#ASMEND
	;; [unrolled: 3-line block ×4, first 2 shown]
	s_waitcnt vmcnt(0)
	v_cvt_f32_f16_sdwa v17, v2 dst_sel:DWORD dst_unused:UNUSED_PAD src0_sel:WORD_1
	v_cvt_f32_f16_e32 v16, v2
	v_cvt_f32_f16_sdwa v19, v3 dst_sel:DWORD dst_unused:UNUSED_PAD src0_sel:WORD_1
	v_cvt_f32_f16_e32 v18, v3
	;; [unrolled: 2-line block ×4, first 2 shown]
	;;#ASMSTART
	v_pk_mul_f32 v[16:17], v[26:27], v[16:17]
	;;#ASMEND
	;;#ASMSTART
	v_pk_mul_f32 v[18:19], v[24:25], v[18:19]
	;;#ASMEND
	;;#ASMSTART
	v_pk_mul_f32 v[22:23], v[22:23], v[2:3]
	;;#ASMEND
	v_cvt_f16_f32_e32 v0, v8
	v_cvt_f16_f32_e32 v2, v9
	;; [unrolled: 1-line block ×8, first 2 shown]
	s_add_u32 s8, s14, s0
	s_addc_u32 s0, s15, s1
	s_and_b32 s9, s0, 0xffff
	v_pack_b32_f16 v2, v0, v2
	v_pack_b32_f16 v3, v3, v4
	;; [unrolled: 1-line block ×4, first 2 shown]
	;;#ASMSTART
	v_pk_mul_f32 v[10:11], v[10:11], v[20:21]
	;;#ASMEND
	buffer_store_dwordx4 v[2:5], v1, s[8:11], 0 offen
	v_cvt_f16_f32_e32 v0, v16
	v_cvt_f16_f32_e32 v2, v17
	v_cvt_f16_f32_e32 v3, v18
	v_cvt_f16_f32_e32 v4, v19
	v_cvt_f16_f32_e32 v5, v22
	v_cvt_f16_f32_e32 v6, v23
	v_cvt_f16_f32_e32 v7, v10
	v_cvt_f16_f32_e32 v8, v11
	v_pack_b32_f16 v2, v0, v2
	v_pack_b32_f16 v3, v3, v4
	;; [unrolled: 1-line block ×4, first 2 shown]
	;;#ASMSTART
	s_nop 0
	;;#ASMEND
	buffer_store_dwordx4 v[2:5], v1, s[8:11], 16 offen
	;;#ASMSTART
	s_nop 0
	;;#ASMEND
	s_endpgm
	.section	.rodata,"a",@progbits
	.p2align	6, 0x0
	.amdhsa_kernel _ZN5aiter35fused_qk_rmsnorm_group_quant_kernelIDF16_DB8_Li256ELi16ELi4ELb0ELb1ELb0ELb1ELb0ELb0EEEvPT0_PvPT_S6_S6_PKS5_S8_S8_S8_S8_ffiiiiiiiiiiiii
		.amdhsa_group_segment_fixed_size 32
		.amdhsa_private_segment_fixed_size 0
		.amdhsa_kernarg_size 400
		.amdhsa_user_sgpr_count 6
		.amdhsa_user_sgpr_private_segment_buffer 1
		.amdhsa_user_sgpr_dispatch_ptr 0
		.amdhsa_user_sgpr_queue_ptr 0
		.amdhsa_user_sgpr_kernarg_segment_ptr 1
		.amdhsa_user_sgpr_dispatch_id 0
		.amdhsa_user_sgpr_flat_scratch_init 0
		.amdhsa_user_sgpr_kernarg_preload_length 0
		.amdhsa_user_sgpr_kernarg_preload_offset 0
		.amdhsa_user_sgpr_private_segment_size 0
		.amdhsa_uses_dynamic_stack 0
		.amdhsa_system_sgpr_private_segment_wavefront_offset 0
		.amdhsa_system_sgpr_workgroup_id_x 1
		.amdhsa_system_sgpr_workgroup_id_y 1
		.amdhsa_system_sgpr_workgroup_id_z 0
		.amdhsa_system_sgpr_workgroup_info 0
		.amdhsa_system_vgpr_workitem_id 0
		.amdhsa_next_free_vgpr 35
		.amdhsa_next_free_sgpr 32
		.amdhsa_accum_offset 36
		.amdhsa_reserve_vcc 1
		.amdhsa_reserve_flat_scratch 0
		.amdhsa_float_round_mode_32 0
		.amdhsa_float_round_mode_16_64 0
		.amdhsa_float_denorm_mode_32 3
		.amdhsa_float_denorm_mode_16_64 3
		.amdhsa_dx10_clamp 1
		.amdhsa_ieee_mode 1
		.amdhsa_fp16_overflow 0
		.amdhsa_tg_split 0
		.amdhsa_exception_fp_ieee_invalid_op 0
		.amdhsa_exception_fp_denorm_src 0
		.amdhsa_exception_fp_ieee_div_zero 0
		.amdhsa_exception_fp_ieee_overflow 0
		.amdhsa_exception_fp_ieee_underflow 0
		.amdhsa_exception_fp_ieee_inexact 0
		.amdhsa_exception_int_div_zero 0
	.end_amdhsa_kernel
	.section	.text._ZN5aiter35fused_qk_rmsnorm_group_quant_kernelIDF16_DB8_Li256ELi16ELi4ELb0ELb1ELb0ELb1ELb0ELb0EEEvPT0_PvPT_S6_S6_PKS5_S8_S8_S8_S8_ffiiiiiiiiiiiii,"axG",@progbits,_ZN5aiter35fused_qk_rmsnorm_group_quant_kernelIDF16_DB8_Li256ELi16ELi4ELb0ELb1ELb0ELb1ELb0ELb0EEEvPT0_PvPT_S6_S6_PKS5_S8_S8_S8_S8_ffiiiiiiiiiiiii,comdat
.Lfunc_end805:
	.size	_ZN5aiter35fused_qk_rmsnorm_group_quant_kernelIDF16_DB8_Li256ELi16ELi4ELb0ELb1ELb0ELb1ELb0ELb0EEEvPT0_PvPT_S6_S6_PKS5_S8_S8_S8_S8_ffiiiiiiiiiiiii, .Lfunc_end805-_ZN5aiter35fused_qk_rmsnorm_group_quant_kernelIDF16_DB8_Li256ELi16ELi4ELb0ELb1ELb0ELb1ELb0ELb0EEEvPT0_PvPT_S6_S6_PKS5_S8_S8_S8_S8_ffiiiiiiiiiiiii
                                        ; -- End function
	.section	.AMDGPU.csdata,"",@progbits
; Kernel info:
; codeLenInByte = 2840
; NumSgprs: 36
; NumVgprs: 35
; NumAgprs: 0
; TotalNumVgprs: 35
; ScratchSize: 0
; MemoryBound: 0
; FloatMode: 240
; IeeeMode: 1
; LDSByteSize: 32 bytes/workgroup (compile time only)
; SGPRBlocks: 4
; VGPRBlocks: 4
; NumSGPRsForWavesPerEU: 36
; NumVGPRsForWavesPerEU: 35
; AccumOffset: 36
; Occupancy: 8
; WaveLimiterHint : 0
; COMPUTE_PGM_RSRC2:SCRATCH_EN: 0
; COMPUTE_PGM_RSRC2:USER_SGPR: 6
; COMPUTE_PGM_RSRC2:TRAP_HANDLER: 0
; COMPUTE_PGM_RSRC2:TGID_X_EN: 1
; COMPUTE_PGM_RSRC2:TGID_Y_EN: 1
; COMPUTE_PGM_RSRC2:TGID_Z_EN: 0
; COMPUTE_PGM_RSRC2:TIDIG_COMP_CNT: 0
; COMPUTE_PGM_RSRC3_GFX90A:ACCUM_OFFSET: 8
; COMPUTE_PGM_RSRC3_GFX90A:TG_SPLIT: 0
	.section	.text._ZN5aiter35fused_qk_rmsnorm_group_quant_kernelItDB8_Li256ELi16ELi4ELb0ELb1ELb0ELb1ELb0ELb0EEEvPT0_PvPT_S6_S6_PKS5_S8_S8_S8_S8_ffiiiiiiiiiiiii,"axG",@progbits,_ZN5aiter35fused_qk_rmsnorm_group_quant_kernelItDB8_Li256ELi16ELi4ELb0ELb1ELb0ELb1ELb0ELb0EEEvPT0_PvPT_S6_S6_PKS5_S8_S8_S8_S8_ffiiiiiiiiiiiii,comdat
	.protected	_ZN5aiter35fused_qk_rmsnorm_group_quant_kernelItDB8_Li256ELi16ELi4ELb0ELb1ELb0ELb1ELb0ELb0EEEvPT0_PvPT_S6_S6_PKS5_S8_S8_S8_S8_ffiiiiiiiiiiiii ; -- Begin function _ZN5aiter35fused_qk_rmsnorm_group_quant_kernelItDB8_Li256ELi16ELi4ELb0ELb1ELb0ELb1ELb0ELb0EEEvPT0_PvPT_S6_S6_PKS5_S8_S8_S8_S8_ffiiiiiiiiiiiii
	.globl	_ZN5aiter35fused_qk_rmsnorm_group_quant_kernelItDB8_Li256ELi16ELi4ELb0ELb1ELb0ELb1ELb0ELb0EEEvPT0_PvPT_S6_S6_PKS5_S8_S8_S8_S8_ffiiiiiiiiiiiii
	.p2align	8
	.type	_ZN5aiter35fused_qk_rmsnorm_group_quant_kernelItDB8_Li256ELi16ELi4ELb0ELb1ELb0ELb1ELb0ELb0EEEvPT0_PvPT_S6_S6_PKS5_S8_S8_S8_S8_ffiiiiiiiiiiiii,@function
_ZN5aiter35fused_qk_rmsnorm_group_quant_kernelItDB8_Li256ELi16ELi4ELb0ELb1ELb0ELb1ELb0ELb0EEEvPT0_PvPT_S6_S6_PKS5_S8_S8_S8_S8_ffiiiiiiiiiiiii: ; @_ZN5aiter35fused_qk_rmsnorm_group_quant_kernelItDB8_Li256ELi16ELi4ELb0ELb1ELb0ELb1ELb0ELb0EEEvPT0_PvPT_S6_S6_PKS5_S8_S8_S8_S8_ffiiiiiiiiiiiii
; %bb.0:
	s_load_dwordx4 s[12:15], s[4:5], 0x50
	s_waitcnt lgkmcnt(0)
	s_cmp_ge_i32 s6, s14
	s_cbranch_scc1 .LBB806_12
; %bb.1:
	s_load_dwordx2 s[24:25], s[4:5], 0x30
	s_load_dwordx2 s[8:9], s[4:5], 0x48
	s_load_dwordx4 s[16:19], s[4:5], 0x60
	s_cmp_lg_u32 s7, 0
	s_cselect_b64 s[10:11], -1, 0
	s_cmp_eq_u32 s7, 0
	s_cselect_b64 vcc, -1, 0
	s_and_b64 s[0:1], vcc, exec
	s_waitcnt lgkmcnt(0)
	s_cselect_b32 s7, s15, s16
	s_add_i32 s0, s7, 1
	s_lshr_b32 s1, s0, 31
	s_add_i32 s0, s0, s1
	s_lshl_b32 s0, s0, 1
	v_lshlrev_b32_e32 v1, 4, v0
	s_and_b32 s22, s0, -4
	v_cmp_gt_i32_e64 s[2:3], s7, v1
	v_mov_b32_e32 v18, 0
	v_mov_b32_e32 v6, 0
	;; [unrolled: 1-line block ×17, first 2 shown]
	s_and_saveexec_b64 s[0:1], s[2:3]
	s_cbranch_execz .LBB806_3
; %bb.2:
	s_load_dwordx2 s[14:15], s[4:5], 0x28
	s_load_dwordx2 s[20:21], s[4:5], 0x40
	s_and_b64 s[26:27], vcc, exec
	s_cselect_b32 s17, s17, s18
	s_mov_b32 s30, s22
	s_waitcnt lgkmcnt(0)
	s_cselect_b32 s19, s15, s25
	s_cselect_b32 s23, s14, s24
	s_mul_hi_i32 s15, s17, s6
	s_mul_i32 s14, s17, s6
	s_lshl_b64 s[14:15], s[14:15], 1
	s_add_u32 s28, s23, s14
	s_addc_u32 s17, s19, s15
	s_and_b64 s[14:15], vcc, exec
	s_mov_b32 s23, 0x20000
	s_cselect_b32 s20, s20, s8
	s_cselect_b32 s14, s21, s9
	s_and_b32 s29, s17, 0xffff
	s_mov_b32 s31, s23
	v_lshlrev_b32_e32 v19, 5, v0
	s_and_b32 s21, s14, 0xffff
	buffer_load_dwordx4 v[14:17], v19, s[28:31], 0 offen
	buffer_load_dwordx4 v[10:13], v19, s[28:31], 16 offen
	;; [unrolled: 1-line block ×4, first 2 shown]
.LBB806_3:
	s_or_b64 exec, exec, s[0:1]
	v_mov_b32_e32 v19, 0
	v_mov_b32_e32 v20, 0
	;; [unrolled: 1-line block ×15, first 2 shown]
	s_and_saveexec_b64 s[0:1], s[2:3]
	s_cbranch_execz .LBB806_5
; %bb.4:
	s_waitcnt vmcnt(3)
	v_cvt_f32_u32_sdwa v18, v14 dst_sel:DWORD dst_unused:UNUSED_PAD src0_sel:WORD_0
	v_cvt_f32_u32_sdwa v19, v14 dst_sel:DWORD dst_unused:UNUSED_PAD src0_sel:WORD_1
	v_cvt_f32_u32_sdwa v20, v15 dst_sel:DWORD dst_unused:UNUSED_PAD src0_sel:WORD_0
	v_cvt_f32_u32_sdwa v21, v15 dst_sel:DWORD dst_unused:UNUSED_PAD src0_sel:WORD_1
	;; [unrolled: 2-line block ×4, first 2 shown]
	s_waitcnt vmcnt(2)
	v_cvt_f32_u32_sdwa v26, v10 dst_sel:DWORD dst_unused:UNUSED_PAD src0_sel:WORD_0
	v_cvt_f32_u32_sdwa v27, v10 dst_sel:DWORD dst_unused:UNUSED_PAD src0_sel:WORD_1
	v_cvt_f32_u32_sdwa v28, v11 dst_sel:DWORD dst_unused:UNUSED_PAD src0_sel:WORD_0
	v_cvt_f32_u32_sdwa v29, v11 dst_sel:DWORD dst_unused:UNUSED_PAD src0_sel:WORD_1
	;; [unrolled: 2-line block ×4, first 2 shown]
.LBB806_5:
	s_or_b64 exec, exec, s[0:1]
	s_waitcnt vmcnt(2)
	v_mul_f32_e32 v10, v19, v19
	v_fmac_f32_e32 v10, v18, v18
	v_fmac_f32_e32 v10, v20, v20
	;; [unrolled: 1-line block ×15, first 2 shown]
	v_and_b32_e32 v12, 63, v0
	v_cmp_eq_u32_e64 s[0:1], 63, v12
	v_mov_b32_dpp v11, v10 quad_perm:[1,0,3,2] row_mask:0xf bank_mask:0xf
	v_add_f32_e32 v10, v10, v11
	s_nop 1
	v_mov_b32_dpp v11, v10 quad_perm:[2,3,0,1] row_mask:0xf bank_mask:0xf
	v_add_f32_e32 v10, v10, v11
	s_nop 1
	v_mov_b32_dpp v11, v10 row_half_mirror row_mask:0xf bank_mask:0xf
	v_add_f32_e32 v10, v10, v11
	s_nop 1
	v_mov_b32_dpp v11, v10 row_mirror row_mask:0xf bank_mask:0xf
	v_add_f32_e32 v10, v10, v11
	s_nop 1
	v_mov_b32_dpp v11, v10 row_bcast:15 row_mask:0xf bank_mask:0xf
	v_add_f32_e32 v10, v10, v11
	s_nop 1
	v_mov_b32_dpp v11, v10 row_bcast:31 row_mask:0xf bank_mask:0xf
	s_and_saveexec_b64 s[14:15], s[0:1]
	s_cbranch_execz .LBB806_7
; %bb.6:
	v_add_f32_e32 v10, v10, v11
	v_lshrrev_b32_e32 v11, 4, v0
	v_and_b32_e32 v11, 60, v11
	ds_write_b32 v11, v10 offset:16
.LBB806_7:
	s_or_b64 exec, exec, s[14:15]
	v_and_b32_e32 v10, 3, v0
	v_lshlrev_b32_e32 v34, 2, v10
	s_waitcnt lgkmcnt(0)
	s_barrier
	ds_read_b32 v10, v34 offset:16
	s_load_dwordx2 s[14:15], s[4:5], 0x18
	s_waitcnt lgkmcnt(0)
	v_mov_b32_dpp v11, v10 quad_perm:[1,0,3,2] row_mask:0xf bank_mask:0xf
	v_add_f32_e32 v10, v10, v11
	s_nop 1
	v_mov_b32_dpp v11, v10 quad_perm:[2,3,0,1] row_mask:0xf bank_mask:0xf
	s_and_saveexec_b64 s[20:21], s[2:3]
	s_cbranch_execz .LBB806_9
; %bb.8:
	v_cvt_f32_u32_e32 v12, s7
	v_add_f32_e32 v10, v10, v11
	v_mov_b32_e32 v14, s13
	v_mov_b32_e32 v15, s12
	v_div_scale_f32 v11, s[26:27], v12, v12, v10
	v_rcp_f32_e32 v13, v11
	v_cndmask_b32_e32 v14, v14, v15, vcc
	s_mov_b32 s7, 0x800000
	v_fma_f32 v15, -v11, v13, 1.0
	v_fmac_f32_e32 v13, v15, v13
	v_div_scale_f32 v15, vcc, v10, v12, v10
	v_mul_f32_e32 v16, v15, v13
	v_fma_f32 v17, -v11, v16, v15
	v_fmac_f32_e32 v16, v17, v13
	v_fma_f32 v11, -v11, v16, v15
	v_div_fmas_f32 v11, v11, v13, v16
	v_div_fixup_f32 v10, v11, v12, v10
	v_add_f32_e32 v10, v14, v10
	v_mul_f32_e32 v11, 0x4b800000, v10
	v_cmp_gt_f32_e32 vcc, s7, v10
	v_cndmask_b32_e32 v10, v10, v11, vcc
	v_rsq_f32_e32 v10, v10
	v_mul_f32_e32 v11, 0x45800000, v10
	v_cndmask_b32_e32 v10, v10, v11, vcc
	v_mov_b32_e32 v11, v10
	;;#ASMSTART
	v_pk_mul_f32 v[12:13], v[18:19], v[10:11]
	;;#ASMEND
	;;#ASMSTART
	v_pk_mul_f32 v[14:15], v[20:21], v[10:11]
	;;#ASMEND
	;; [unrolled: 3-line block ×8, first 2 shown]
	s_waitcnt vmcnt(1)
	v_cvt_f32_u32_sdwa v19, v6 dst_sel:DWORD dst_unused:UNUSED_PAD src0_sel:WORD_1
	v_cvt_f32_u32_sdwa v18, v6 dst_sel:DWORD dst_unused:UNUSED_PAD src0_sel:WORD_0
	v_cvt_f32_u32_sdwa v21, v7 dst_sel:DWORD dst_unused:UNUSED_PAD src0_sel:WORD_1
	v_cvt_f32_u32_sdwa v20, v7 dst_sel:DWORD dst_unused:UNUSED_PAD src0_sel:WORD_0
	;; [unrolled: 2-line block ×4, first 2 shown]
	;;#ASMSTART
	v_pk_mul_f32 v[18:19], v[12:13], v[18:19]
	;;#ASMEND
	;;#ASMSTART
	v_pk_mul_f32 v[20:21], v[14:15], v[20:21]
	;;#ASMEND
	;; [unrolled: 3-line block ×4, first 2 shown]
	s_waitcnt vmcnt(0)
	v_cvt_f32_u32_sdwa v7, v2 dst_sel:DWORD dst_unused:UNUSED_PAD src0_sel:WORD_1
	v_cvt_f32_u32_sdwa v6, v2 dst_sel:DWORD dst_unused:UNUSED_PAD src0_sel:WORD_0
	v_cvt_f32_u32_sdwa v9, v3 dst_sel:DWORD dst_unused:UNUSED_PAD src0_sel:WORD_1
	v_cvt_f32_u32_sdwa v8, v3 dst_sel:DWORD dst_unused:UNUSED_PAD src0_sel:WORD_0
	;; [unrolled: 2-line block ×4, first 2 shown]
	;;#ASMSTART
	v_pk_mul_f32 v[26:27], v[26:27], v[6:7]
	;;#ASMEND
	;;#ASMSTART
	v_pk_mul_f32 v[28:29], v[28:29], v[8:9]
	;;#ASMEND
	;; [unrolled: 3-line block ×4, first 2 shown]
.LBB806_9:
	s_or_b64 exec, exec, s[20:21]
	s_load_dwordx2 s[26:27], s[4:5], 0x7c
	s_mov_b64 s[20:21], -1
	s_and_b64 vcc, exec, s[10:11]
	s_cbranch_vccnz .LBB806_13
; %bb.10:
	s_andn2_b64 vcc, exec, s[20:21]
	s_cbranch_vccz .LBB806_16
.LBB806_11:
	s_cmp_lt_i32 s16, 1
	s_cbranch_scc0 .LBB806_19
.LBB806_12:
	s_endpgm
.LBB806_13:
	s_and_saveexec_b64 s[10:11], s[2:3]
	s_cbranch_execz .LBB806_15
; %bb.14:
	s_waitcnt lgkmcnt(0)
	s_mul_hi_i32 s21, s27, s6
	s_mul_i32 s20, s27, s6
	s_lshl_b64 s[20:21], s[20:21], 1
	s_add_u32 s20, s14, s20
	s_addc_u32 s7, s15, s21
	s_and_b32 s21, s7, 0xffff
	s_mov_b32 s7, 0x7060302
	s_mov_b32 s23, 0x20000
	s_waitcnt vmcnt(0)
	v_perm_b32 v5, v25, v24, s7
	v_perm_b32 v4, v23, v22, s7
	;; [unrolled: 1-line block ×4, first 2 shown]
	v_lshlrev_b32_e32 v6, 5, v0
	buffer_store_dwordx4 v[2:5], v6, s[20:23], 0 offen
	;;#ASMSTART
	s_nop 0
	;;#ASMEND
	s_nop 0
	v_perm_b32 v5, v33, v32, s7
	v_perm_b32 v4, v31, v30, s7
	;; [unrolled: 1-line block ×4, first 2 shown]
	buffer_store_dwordx4 v[2:5], v6, s[20:23], 16 offen
	;;#ASMSTART
	s_nop 0
	;;#ASMEND
.LBB806_15:
	s_or_b64 exec, exec, s[10:11]
	s_cbranch_execnz .LBB806_11
.LBB806_16:
	s_and_saveexec_b64 s[10:11], s[2:3]
	s_cbranch_execz .LBB806_18
; %bb.17:
	s_load_dwordx2 s[2:3], s[4:5], 0x10
	s_waitcnt lgkmcnt(0)
	s_mul_hi_i32 s21, s26, s6
	s_mul_i32 s20, s26, s6
	s_lshl_b64 s[20:21], s[20:21], 1
	s_mov_b32 s23, 0x20000
	s_add_u32 s20, s2, s20
	s_addc_u32 s2, s3, s21
	s_and_b32 s21, s2, 0xffff
	s_mov_b32 s2, 0x7060302
	s_waitcnt vmcnt(0)
	v_perm_b32 v5, v25, v24, s2
	v_perm_b32 v4, v23, v22, s2
	;; [unrolled: 1-line block ×4, first 2 shown]
	v_lshlrev_b32_e32 v6, 5, v0
	buffer_store_dwordx4 v[2:5], v6, s[20:23], 0 offen
	;;#ASMSTART
	s_nop 0
	;;#ASMEND
	s_nop 0
	v_perm_b32 v5, v33, v32, s2
	v_perm_b32 v4, v31, v30, s2
	;; [unrolled: 1-line block ×4, first 2 shown]
	buffer_store_dwordx4 v[2:5], v6, s[20:23], 16 offen
	;;#ASMSTART
	s_nop 0
	;;#ASMEND
.LBB806_18:
	s_or_b64 exec, exec, s[10:11]
	s_cmp_lt_i32 s16, 1
	s_cbranch_scc1 .LBB806_12
.LBB806_19:
	s_load_dword s2, s[4:5], 0x94
	s_waitcnt lgkmcnt(0)
	s_cmp_lg_u32 s2, 1
	s_cbranch_scc1 .LBB806_12
; %bb.20:
	s_lshl_b32 s2, s16, 1
	s_add_i32 s2, s2, 2
	v_cmp_gt_u32_e32 vcc, s16, v1
	s_and_b32 s10, s2, -4
	v_mov_b32_e32 v18, 0
	v_lshlrev_b32_e32 v1, 5, v0
	v_mov_b32_e32 v14, 0
	v_mov_b32_e32 v15, 0
	;; [unrolled: 1-line block ×8, first 2 shown]
	s_waitcnt vmcnt(1)
	v_mov_b32_e32 v6, 0
	v_mov_b32_e32 v7, 0
	;; [unrolled: 1-line block ×4, first 2 shown]
	s_waitcnt vmcnt(0)
	v_mov_b32_e32 v2, 0
	v_mov_b32_e32 v3, 0
	;; [unrolled: 1-line block ×4, first 2 shown]
	s_barrier
	s_and_saveexec_b64 s[2:3], vcc
	s_cbranch_execz .LBB806_22
; %bb.21:
	s_mul_hi_i32 s5, s18, s6
	s_mul_i32 s4, s18, s6
	s_and_b32 s9, s9, 0xffff
	s_lshl_b64 s[4:5], s[4:5], 1
	s_add_u32 s20, s24, s4
	s_mov_b32 s11, 0x20000
	s_addc_u32 s4, s25, s5
	s_and_b32 s21, s4, 0xffff
	s_mov_b32 s22, s10
	s_mov_b32 s23, s11
	buffer_load_dwordx4 v[14:17], v1, s[20:23], 0 offen
	buffer_load_dwordx4 v[10:13], v1, s[20:23], 16 offen
	;; [unrolled: 1-line block ×4, first 2 shown]
.LBB806_22:
	s_or_b64 exec, exec, s[2:3]
	v_mov_b32_e32 v19, 0
	v_mov_b32_e32 v32, 0
	;; [unrolled: 1-line block ×15, first 2 shown]
	s_and_saveexec_b64 s[2:3], vcc
	s_cbranch_execz .LBB806_24
; %bb.23:
	s_waitcnt vmcnt(3)
	v_cvt_f32_u32_sdwa v18, v14 dst_sel:DWORD dst_unused:UNUSED_PAD src0_sel:WORD_0
	v_cvt_f32_u32_sdwa v19, v14 dst_sel:DWORD dst_unused:UNUSED_PAD src0_sel:WORD_1
	v_cvt_f32_u32_sdwa v32, v15 dst_sel:DWORD dst_unused:UNUSED_PAD src0_sel:WORD_0
	v_cvt_f32_u32_sdwa v33, v15 dst_sel:DWORD dst_unused:UNUSED_PAD src0_sel:WORD_1
	;; [unrolled: 2-line block ×4, first 2 shown]
	s_waitcnt vmcnt(2)
	v_cvt_f32_u32_sdwa v26, v10 dst_sel:DWORD dst_unused:UNUSED_PAD src0_sel:WORD_0
	v_cvt_f32_u32_sdwa v27, v10 dst_sel:DWORD dst_unused:UNUSED_PAD src0_sel:WORD_1
	v_cvt_f32_u32_sdwa v24, v11 dst_sel:DWORD dst_unused:UNUSED_PAD src0_sel:WORD_0
	v_cvt_f32_u32_sdwa v25, v11 dst_sel:DWORD dst_unused:UNUSED_PAD src0_sel:WORD_1
	;; [unrolled: 2-line block ×4, first 2 shown]
.LBB806_24:
	s_or_b64 exec, exec, s[2:3]
	s_waitcnt vmcnt(2)
	v_mul_f32_e32 v10, v19, v19
	v_fmac_f32_e32 v10, v18, v18
	v_fmac_f32_e32 v10, v32, v32
	;; [unrolled: 1-line block ×15, first 2 shown]
	s_nop 1
	v_mov_b32_dpp v11, v10 quad_perm:[1,0,3,2] row_mask:0xf bank_mask:0xf
	v_add_f32_e32 v10, v10, v11
	s_nop 1
	v_mov_b32_dpp v11, v10 quad_perm:[2,3,0,1] row_mask:0xf bank_mask:0xf
	v_add_f32_e32 v10, v10, v11
	s_nop 1
	v_mov_b32_dpp v11, v10 row_half_mirror row_mask:0xf bank_mask:0xf
	v_add_f32_e32 v10, v10, v11
	s_nop 1
	v_mov_b32_dpp v11, v10 row_mirror row_mask:0xf bank_mask:0xf
	v_add_f32_e32 v10, v10, v11
	s_nop 1
	v_mov_b32_dpp v11, v10 row_bcast:15 row_mask:0xf bank_mask:0xf
	v_add_f32_e32 v10, v10, v11
	s_nop 1
	v_mov_b32_dpp v11, v10 row_bcast:31 row_mask:0xf bank_mask:0xf
	s_and_saveexec_b64 s[2:3], s[0:1]
	s_cbranch_execz .LBB806_26
; %bb.25:
	v_lshrrev_b32_e32 v0, 4, v0
	v_add_f32_e32 v10, v10, v11
	v_and_b32_e32 v0, 60, v0
	ds_write_b32 v0, v10
.LBB806_26:
	s_or_b64 exec, exec, s[2:3]
	s_waitcnt lgkmcnt(0)
	s_barrier
	ds_read_b32 v0, v34
	s_waitcnt lgkmcnt(0)
	s_nop 0
	v_mov_b32_dpp v10, v0 quad_perm:[1,0,3,2] row_mask:0xf bank_mask:0xf
	v_add_f32_e32 v0, v0, v10
	s_nop 1
	v_mov_b32_dpp v10, v0 quad_perm:[2,3,0,1] row_mask:0xf bank_mask:0xf
	s_and_saveexec_b64 s[0:1], vcc
	s_cbranch_execz .LBB806_12
; %bb.27:
	v_cvt_f32_u32_e32 v11, s16
	v_add_f32_e32 v0, v0, v10
	s_mov_b32 s11, 0x20000
	v_div_scale_f32 v10, s[0:1], v11, v11, v0
	v_rcp_f32_e32 v12, v10
	v_div_scale_f32 v13, vcc, v0, v11, v0
	s_mov_b32 s0, 0x800000
	v_fma_f32 v14, -v10, v12, 1.0
	v_fmac_f32_e32 v12, v14, v12
	v_mul_f32_e32 v14, v13, v12
	v_fma_f32 v15, -v10, v14, v13
	v_fmac_f32_e32 v14, v15, v12
	v_fma_f32 v10, -v10, v14, v13
	v_div_fmas_f32 v10, v10, v12, v14
	v_div_fixup_f32 v0, v10, v11, v0
	v_add_f32_e32 v0, s13, v0
	v_mul_f32_e32 v10, 0x4b800000, v0
	v_cmp_gt_f32_e32 vcc, s0, v0
	v_cndmask_b32_e32 v0, v0, v10, vcc
	v_rsq_f32_e32 v0, v0
	s_mul_hi_i32 s1, s27, s6
	s_mul_i32 s0, s27, s6
	s_lshl_b64 s[0:1], s[0:1], 1
	v_mul_f32_e32 v10, 0x45800000, v0
	v_cndmask_b32_e32 v10, v0, v10, vcc
	v_mov_b32_e32 v11, v10
	s_add_u32 s8, s14, s0
	;;#ASMSTART
	v_pk_mul_f32 v[12:13], v[18:19], v[10:11]
	;;#ASMEND
	;;#ASMSTART
	v_pk_mul_f32 v[14:15], v[32:33], v[10:11]
	;;#ASMEND
	;; [unrolled: 3-line block ×8, first 2 shown]
	s_waitcnt vmcnt(1)
	v_cvt_f32_u32_sdwa v21, v6 dst_sel:DWORD dst_unused:UNUSED_PAD src0_sel:WORD_1
	v_cvt_f32_u32_sdwa v20, v6 dst_sel:DWORD dst_unused:UNUSED_PAD src0_sel:WORD_0
	v_cvt_f32_u32_sdwa v29, v7 dst_sel:DWORD dst_unused:UNUSED_PAD src0_sel:WORD_1
	v_cvt_f32_u32_sdwa v28, v7 dst_sel:DWORD dst_unused:UNUSED_PAD src0_sel:WORD_0
	;; [unrolled: 2-line block ×3, first 2 shown]
	s_addc_u32 s0, s15, s1
	v_cvt_f32_u32_sdwa v31, v9 dst_sel:DWORD dst_unused:UNUSED_PAD src0_sel:WORD_1
	v_cvt_f32_u32_sdwa v30, v9 dst_sel:DWORD dst_unused:UNUSED_PAD src0_sel:WORD_0
	;;#ASMSTART
	v_pk_mul_f32 v[8:9], v[12:13], v[20:21]
	;;#ASMEND
	;;#ASMSTART
	v_pk_mul_f32 v[12:13], v[14:15], v[28:29]
	;;#ASMEND
	;; [unrolled: 3-line block ×4, first 2 shown]
	s_waitcnt vmcnt(0)
	v_cvt_f32_u32_sdwa v17, v2 dst_sel:DWORD dst_unused:UNUSED_PAD src0_sel:WORD_1
	v_cvt_f32_u32_sdwa v16, v2 dst_sel:DWORD dst_unused:UNUSED_PAD src0_sel:WORD_0
	v_cvt_f32_u32_sdwa v19, v3 dst_sel:DWORD dst_unused:UNUSED_PAD src0_sel:WORD_1
	v_cvt_f32_u32_sdwa v18, v3 dst_sel:DWORD dst_unused:UNUSED_PAD src0_sel:WORD_0
	;; [unrolled: 2-line block ×3, first 2 shown]
	s_and_b32 s9, s0, 0xffff
	s_mov_b32 s0, 0x7060302
	v_cvt_f32_u32_sdwa v21, v5 dst_sel:DWORD dst_unused:UNUSED_PAD src0_sel:WORD_1
	v_cvt_f32_u32_sdwa v20, v5 dst_sel:DWORD dst_unused:UNUSED_PAD src0_sel:WORD_0
	;;#ASMSTART
	v_pk_mul_f32 v[16:17], v[26:27], v[16:17]
	;;#ASMEND
	;;#ASMSTART
	v_pk_mul_f32 v[18:19], v[24:25], v[18:19]
	;;#ASMEND
	;; [unrolled: 3-line block ×3, first 2 shown]
	v_perm_b32 v2, v9, v8, s0
	v_perm_b32 v3, v13, v12, s0
	;; [unrolled: 1-line block ×4, first 2 shown]
	;;#ASMSTART
	v_pk_mul_f32 v[10:11], v[10:11], v[20:21]
	;;#ASMEND
	buffer_store_dwordx4 v[2:5], v1, s[8:11], 0 offen
	;;#ASMSTART
	s_nop 0
	;;#ASMEND
	s_nop 0
	v_perm_b32 v2, v17, v16, s0
	v_perm_b32 v3, v19, v18, s0
	v_perm_b32 v4, v23, v22, s0
	v_perm_b32 v5, v11, v10, s0
	buffer_store_dwordx4 v[2:5], v1, s[8:11], 16 offen
	;;#ASMSTART
	s_nop 0
	;;#ASMEND
	s_endpgm
	.section	.rodata,"a",@progbits
	.p2align	6, 0x0
	.amdhsa_kernel _ZN5aiter35fused_qk_rmsnorm_group_quant_kernelItDB8_Li256ELi16ELi4ELb0ELb1ELb0ELb1ELb0ELb0EEEvPT0_PvPT_S6_S6_PKS5_S8_S8_S8_S8_ffiiiiiiiiiiiii
		.amdhsa_group_segment_fixed_size 32
		.amdhsa_private_segment_fixed_size 0
		.amdhsa_kernarg_size 400
		.amdhsa_user_sgpr_count 6
		.amdhsa_user_sgpr_private_segment_buffer 1
		.amdhsa_user_sgpr_dispatch_ptr 0
		.amdhsa_user_sgpr_queue_ptr 0
		.amdhsa_user_sgpr_kernarg_segment_ptr 1
		.amdhsa_user_sgpr_dispatch_id 0
		.amdhsa_user_sgpr_flat_scratch_init 0
		.amdhsa_user_sgpr_kernarg_preload_length 0
		.amdhsa_user_sgpr_kernarg_preload_offset 0
		.amdhsa_user_sgpr_private_segment_size 0
		.amdhsa_uses_dynamic_stack 0
		.amdhsa_system_sgpr_private_segment_wavefront_offset 0
		.amdhsa_system_sgpr_workgroup_id_x 1
		.amdhsa_system_sgpr_workgroup_id_y 1
		.amdhsa_system_sgpr_workgroup_id_z 0
		.amdhsa_system_sgpr_workgroup_info 0
		.amdhsa_system_vgpr_workitem_id 0
		.amdhsa_next_free_vgpr 35
		.amdhsa_next_free_sgpr 32
		.amdhsa_accum_offset 36
		.amdhsa_reserve_vcc 1
		.amdhsa_reserve_flat_scratch 0
		.amdhsa_float_round_mode_32 0
		.amdhsa_float_round_mode_16_64 0
		.amdhsa_float_denorm_mode_32 3
		.amdhsa_float_denorm_mode_16_64 3
		.amdhsa_dx10_clamp 1
		.amdhsa_ieee_mode 1
		.amdhsa_fp16_overflow 0
		.amdhsa_tg_split 0
		.amdhsa_exception_fp_ieee_invalid_op 0
		.amdhsa_exception_fp_denorm_src 0
		.amdhsa_exception_fp_ieee_div_zero 0
		.amdhsa_exception_fp_ieee_overflow 0
		.amdhsa_exception_fp_ieee_underflow 0
		.amdhsa_exception_fp_ieee_inexact 0
		.amdhsa_exception_int_div_zero 0
	.end_amdhsa_kernel
	.section	.text._ZN5aiter35fused_qk_rmsnorm_group_quant_kernelItDB8_Li256ELi16ELi4ELb0ELb1ELb0ELb1ELb0ELb0EEEvPT0_PvPT_S6_S6_PKS5_S8_S8_S8_S8_ffiiiiiiiiiiiii,"axG",@progbits,_ZN5aiter35fused_qk_rmsnorm_group_quant_kernelItDB8_Li256ELi16ELi4ELb0ELb1ELb0ELb1ELb0ELb0EEEvPT0_PvPT_S6_S6_PKS5_S8_S8_S8_S8_ffiiiiiiiiiiiii,comdat
.Lfunc_end806:
	.size	_ZN5aiter35fused_qk_rmsnorm_group_quant_kernelItDB8_Li256ELi16ELi4ELb0ELb1ELb0ELb1ELb0ELb0EEEvPT0_PvPT_S6_S6_PKS5_S8_S8_S8_S8_ffiiiiiiiiiiiii, .Lfunc_end806-_ZN5aiter35fused_qk_rmsnorm_group_quant_kernelItDB8_Li256ELi16ELi4ELb0ELb1ELb0ELb1ELb0ELb0EEEvPT0_PvPT_S6_S6_PKS5_S8_S8_S8_S8_ffiiiiiiiiiiiii
                                        ; -- End function
	.section	.AMDGPU.csdata,"",@progbits
; Kernel info:
; codeLenInByte = 2812
; NumSgprs: 36
; NumVgprs: 35
; NumAgprs: 0
; TotalNumVgprs: 35
; ScratchSize: 0
; MemoryBound: 0
; FloatMode: 240
; IeeeMode: 1
; LDSByteSize: 32 bytes/workgroup (compile time only)
; SGPRBlocks: 4
; VGPRBlocks: 4
; NumSGPRsForWavesPerEU: 36
; NumVGPRsForWavesPerEU: 35
; AccumOffset: 36
; Occupancy: 8
; WaveLimiterHint : 0
; COMPUTE_PGM_RSRC2:SCRATCH_EN: 0
; COMPUTE_PGM_RSRC2:USER_SGPR: 6
; COMPUTE_PGM_RSRC2:TRAP_HANDLER: 0
; COMPUTE_PGM_RSRC2:TGID_X_EN: 1
; COMPUTE_PGM_RSRC2:TGID_Y_EN: 1
; COMPUTE_PGM_RSRC2:TGID_Z_EN: 0
; COMPUTE_PGM_RSRC2:TIDIG_COMP_CNT: 0
; COMPUTE_PGM_RSRC3_GFX90A:ACCUM_OFFSET: 8
; COMPUTE_PGM_RSRC3_GFX90A:TG_SPLIT: 0
	.section	.text._ZN5aiter35fused_qk_rmsnorm_group_quant_kernelIDF16_N4opus5fp4_tELi256ELi16ELi4ELb0ELb1ELb0ELb1ELb0ELb0EEEvPT0_PvPT_S7_S7_PKS6_S9_S9_S9_S9_ffiiiiiiiiiiiii,"axG",@progbits,_ZN5aiter35fused_qk_rmsnorm_group_quant_kernelIDF16_N4opus5fp4_tELi256ELi16ELi4ELb0ELb1ELb0ELb1ELb0ELb0EEEvPT0_PvPT_S7_S7_PKS6_S9_S9_S9_S9_ffiiiiiiiiiiiii,comdat
	.protected	_ZN5aiter35fused_qk_rmsnorm_group_quant_kernelIDF16_N4opus5fp4_tELi256ELi16ELi4ELb0ELb1ELb0ELb1ELb0ELb0EEEvPT0_PvPT_S7_S7_PKS6_S9_S9_S9_S9_ffiiiiiiiiiiiii ; -- Begin function _ZN5aiter35fused_qk_rmsnorm_group_quant_kernelIDF16_N4opus5fp4_tELi256ELi16ELi4ELb0ELb1ELb0ELb1ELb0ELb0EEEvPT0_PvPT_S7_S7_PKS6_S9_S9_S9_S9_ffiiiiiiiiiiiii
	.globl	_ZN5aiter35fused_qk_rmsnorm_group_quant_kernelIDF16_N4opus5fp4_tELi256ELi16ELi4ELb0ELb1ELb0ELb1ELb0ELb0EEEvPT0_PvPT_S7_S7_PKS6_S9_S9_S9_S9_ffiiiiiiiiiiiii
	.p2align	8
	.type	_ZN5aiter35fused_qk_rmsnorm_group_quant_kernelIDF16_N4opus5fp4_tELi256ELi16ELi4ELb0ELb1ELb0ELb1ELb0ELb0EEEvPT0_PvPT_S7_S7_PKS6_S9_S9_S9_S9_ffiiiiiiiiiiiii,@function
_ZN5aiter35fused_qk_rmsnorm_group_quant_kernelIDF16_N4opus5fp4_tELi256ELi16ELi4ELb0ELb1ELb0ELb1ELb0ELb0EEEvPT0_PvPT_S7_S7_PKS6_S9_S9_S9_S9_ffiiiiiiiiiiiii: ; @_ZN5aiter35fused_qk_rmsnorm_group_quant_kernelIDF16_N4opus5fp4_tELi256ELi16ELi4ELb0ELb1ELb0ELb1ELb0ELb0EEEvPT0_PvPT_S7_S7_PKS6_S9_S9_S9_S9_ffiiiiiiiiiiiii
; %bb.0:
	s_load_dwordx4 s[12:15], s[4:5], 0x50
	s_waitcnt lgkmcnt(0)
	s_cmp_ge_i32 s6, s14
	s_cbranch_scc1 .LBB807_12
; %bb.1:
	s_load_dwordx2 s[24:25], s[4:5], 0x30
	s_load_dwordx2 s[8:9], s[4:5], 0x48
	s_load_dwordx4 s[16:19], s[4:5], 0x60
	s_cmp_lg_u32 s7, 0
	s_cselect_b64 s[10:11], -1, 0
	s_cmp_eq_u32 s7, 0
	s_cselect_b64 vcc, -1, 0
	s_and_b64 s[0:1], vcc, exec
	s_waitcnt lgkmcnt(0)
	s_cselect_b32 s7, s15, s16
	s_add_i32 s0, s7, 1
	s_lshr_b32 s1, s0, 31
	s_add_i32 s0, s0, s1
	s_lshl_b32 s0, s0, 1
	v_lshlrev_b32_e32 v1, 4, v0
	s_and_b32 s22, s0, -4
	v_cmp_gt_i32_e64 s[2:3], s7, v1
	v_mov_b32_e32 v18, 0
	v_mov_b32_e32 v6, 0
	;; [unrolled: 1-line block ×17, first 2 shown]
	s_and_saveexec_b64 s[0:1], s[2:3]
	s_cbranch_execz .LBB807_3
; %bb.2:
	s_load_dwordx2 s[14:15], s[4:5], 0x28
	s_load_dwordx2 s[20:21], s[4:5], 0x40
	s_and_b64 s[26:27], vcc, exec
	s_cselect_b32 s17, s17, s18
	s_mov_b32 s30, s22
	s_waitcnt lgkmcnt(0)
	s_cselect_b32 s19, s15, s25
	s_cselect_b32 s23, s14, s24
	s_mul_hi_i32 s15, s17, s6
	s_mul_i32 s14, s17, s6
	s_lshl_b64 s[14:15], s[14:15], 1
	s_add_u32 s28, s23, s14
	s_addc_u32 s17, s19, s15
	s_and_b64 s[14:15], vcc, exec
	s_mov_b32 s23, 0x20000
	s_cselect_b32 s20, s20, s8
	s_cselect_b32 s14, s21, s9
	s_and_b32 s29, s17, 0xffff
	s_mov_b32 s31, s23
	v_lshlrev_b32_e32 v19, 5, v0
	s_and_b32 s21, s14, 0xffff
	buffer_load_dwordx4 v[14:17], v19, s[28:31], 0 offen
	buffer_load_dwordx4 v[10:13], v19, s[28:31], 16 offen
	;; [unrolled: 1-line block ×4, first 2 shown]
.LBB807_3:
	s_or_b64 exec, exec, s[0:1]
	v_mov_b32_e32 v19, 0
	v_mov_b32_e32 v20, 0
	;; [unrolled: 1-line block ×15, first 2 shown]
	s_and_saveexec_b64 s[0:1], s[2:3]
	s_cbranch_execz .LBB807_5
; %bb.4:
	s_waitcnt vmcnt(3)
	v_cvt_f32_f16_sdwa v19, v14 dst_sel:DWORD dst_unused:UNUSED_PAD src0_sel:WORD_1
	v_cvt_f32_f16_e32 v18, v14
	v_cvt_f32_f16_sdwa v21, v15 dst_sel:DWORD dst_unused:UNUSED_PAD src0_sel:WORD_1
	v_cvt_f32_f16_e32 v20, v15
	;; [unrolled: 2-line block ×4, first 2 shown]
	s_waitcnt vmcnt(2)
	v_cvt_f32_f16_sdwa v25, v10 dst_sel:DWORD dst_unused:UNUSED_PAD src0_sel:WORD_1
	v_cvt_f32_f16_e32 v24, v10
	v_cvt_f32_f16_sdwa v29, v11 dst_sel:DWORD dst_unused:UNUSED_PAD src0_sel:WORD_1
	v_cvt_f32_f16_e32 v28, v11
	;; [unrolled: 2-line block ×4, first 2 shown]
.LBB807_5:
	s_or_b64 exec, exec, s[0:1]
	s_waitcnt vmcnt(2)
	v_mul_f32_e32 v10, v19, v19
	v_fmac_f32_e32 v10, v18, v18
	v_fmac_f32_e32 v10, v20, v20
	;; [unrolled: 1-line block ×15, first 2 shown]
	v_and_b32_e32 v12, 63, v0
	v_cmp_eq_u32_e64 s[0:1], 63, v12
	v_mov_b32_dpp v11, v10 quad_perm:[1,0,3,2] row_mask:0xf bank_mask:0xf
	v_add_f32_e32 v10, v10, v11
	s_nop 1
	v_mov_b32_dpp v11, v10 quad_perm:[2,3,0,1] row_mask:0xf bank_mask:0xf
	v_add_f32_e32 v10, v10, v11
	s_nop 1
	v_mov_b32_dpp v11, v10 row_half_mirror row_mask:0xf bank_mask:0xf
	v_add_f32_e32 v10, v10, v11
	s_nop 1
	v_mov_b32_dpp v11, v10 row_mirror row_mask:0xf bank_mask:0xf
	v_add_f32_e32 v10, v10, v11
	s_nop 1
	v_mov_b32_dpp v11, v10 row_bcast:15 row_mask:0xf bank_mask:0xf
	v_add_f32_e32 v10, v10, v11
	s_nop 1
	v_mov_b32_dpp v11, v10 row_bcast:31 row_mask:0xf bank_mask:0xf
	s_and_saveexec_b64 s[14:15], s[0:1]
	s_cbranch_execz .LBB807_7
; %bb.6:
	v_add_f32_e32 v10, v10, v11
	v_lshrrev_b32_e32 v11, 4, v0
	v_and_b32_e32 v11, 60, v11
	ds_write_b32 v11, v10 offset:16
.LBB807_7:
	s_or_b64 exec, exec, s[14:15]
	v_and_b32_e32 v10, 3, v0
	v_lshlrev_b32_e32 v34, 2, v10
	s_waitcnt lgkmcnt(0)
	s_barrier
	ds_read_b32 v10, v34 offset:16
	s_load_dwordx2 s[14:15], s[4:5], 0x18
	s_waitcnt lgkmcnt(0)
	v_mov_b32_dpp v11, v10 quad_perm:[1,0,3,2] row_mask:0xf bank_mask:0xf
	v_add_f32_e32 v10, v10, v11
	s_nop 1
	v_mov_b32_dpp v11, v10 quad_perm:[2,3,0,1] row_mask:0xf bank_mask:0xf
	s_and_saveexec_b64 s[20:21], s[2:3]
	s_cbranch_execz .LBB807_9
; %bb.8:
	v_cvt_f32_u32_e32 v12, s7
	v_add_f32_e32 v10, v10, v11
	v_mov_b32_e32 v14, s13
	v_mov_b32_e32 v15, s12
	v_div_scale_f32 v11, s[26:27], v12, v12, v10
	v_rcp_f32_e32 v13, v11
	v_cndmask_b32_e32 v14, v14, v15, vcc
	s_mov_b32 s7, 0x800000
	v_fma_f32 v15, -v11, v13, 1.0
	v_fmac_f32_e32 v13, v15, v13
	v_div_scale_f32 v15, vcc, v10, v12, v10
	v_mul_f32_e32 v16, v15, v13
	v_fma_f32 v17, -v11, v16, v15
	v_fmac_f32_e32 v16, v17, v13
	v_fma_f32 v11, -v11, v16, v15
	v_div_fmas_f32 v11, v11, v13, v16
	v_div_fixup_f32 v10, v11, v12, v10
	v_add_f32_e32 v10, v14, v10
	v_mul_f32_e32 v11, 0x4b800000, v10
	v_cmp_gt_f32_e32 vcc, s7, v10
	v_cndmask_b32_e32 v10, v10, v11, vcc
	v_rsq_f32_e32 v10, v10
	v_mul_f32_e32 v11, 0x45800000, v10
	v_cndmask_b32_e32 v10, v10, v11, vcc
	v_mov_b32_e32 v11, v10
	;;#ASMSTART
	v_pk_mul_f32 v[12:13], v[18:19], v[10:11]
	;;#ASMEND
	;;#ASMSTART
	v_pk_mul_f32 v[14:15], v[20:21], v[10:11]
	;;#ASMEND
	;; [unrolled: 3-line block ×8, first 2 shown]
	s_waitcnt vmcnt(1)
	v_cvt_f32_f16_sdwa v19, v6 dst_sel:DWORD dst_unused:UNUSED_PAD src0_sel:WORD_1
	v_cvt_f32_f16_e32 v18, v6
	v_cvt_f32_f16_sdwa v21, v7 dst_sel:DWORD dst_unused:UNUSED_PAD src0_sel:WORD_1
	v_cvt_f32_f16_e32 v20, v7
	;; [unrolled: 2-line block ×4, first 2 shown]
	;;#ASMSTART
	v_pk_mul_f32 v[18:19], v[12:13], v[18:19]
	;;#ASMEND
	;;#ASMSTART
	v_pk_mul_f32 v[20:21], v[14:15], v[20:21]
	;;#ASMEND
	;; [unrolled: 3-line block ×4, first 2 shown]
	s_waitcnt vmcnt(0)
	v_cvt_f32_f16_sdwa v7, v2 dst_sel:DWORD dst_unused:UNUSED_PAD src0_sel:WORD_1
	v_cvt_f32_f16_e32 v6, v2
	v_cvt_f32_f16_sdwa v9, v3 dst_sel:DWORD dst_unused:UNUSED_PAD src0_sel:WORD_1
	v_cvt_f32_f16_e32 v8, v3
	;; [unrolled: 2-line block ×4, first 2 shown]
	;;#ASMSTART
	v_pk_mul_f32 v[24:25], v[24:25], v[6:7]
	;;#ASMEND
	;;#ASMSTART
	v_pk_mul_f32 v[28:29], v[28:29], v[8:9]
	;;#ASMEND
	;;#ASMSTART
	v_pk_mul_f32 v[30:31], v[30:31], v[2:3]
	;;#ASMEND
	;;#ASMSTART
	v_pk_mul_f32 v[32:33], v[10:11], v[12:13]
	;;#ASMEND
.LBB807_9:
	s_or_b64 exec, exec, s[20:21]
	s_load_dwordx2 s[26:27], s[4:5], 0x7c
	s_mov_b64 s[20:21], -1
	s_and_b64 vcc, exec, s[10:11]
	s_cbranch_vccnz .LBB807_13
; %bb.10:
	s_andn2_b64 vcc, exec, s[20:21]
	s_cbranch_vccz .LBB807_16
.LBB807_11:
	s_cmp_lt_i32 s16, 1
	s_cbranch_scc0 .LBB807_19
.LBB807_12:
	s_endpgm
.LBB807_13:
	s_and_saveexec_b64 s[10:11], s[2:3]
	s_cbranch_execz .LBB807_15
; %bb.14:
	s_waitcnt lgkmcnt(0)
	s_mul_hi_i32 s21, s27, s6
	s_mul_i32 s20, s27, s6
	s_waitcnt vmcnt(0)
	v_cvt_f16_f32_e32 v2, v18
	v_cvt_f16_f32_e32 v3, v20
	;; [unrolled: 1-line block ×8, first 2 shown]
	s_lshl_b64 s[20:21], s[20:21], 1
	s_add_u32 s20, s14, s20
	s_addc_u32 s7, s15, s21
	s_and_b32 s21, s7, 0xffff
	s_mov_b32 s23, 0x20000
	v_pack_b32_f16 v5, v5, v6
	v_pack_b32_f16 v4, v4, v7
	;; [unrolled: 1-line block ×4, first 2 shown]
	v_lshlrev_b32_e32 v6, 5, v0
	buffer_store_dwordx4 v[2:5], v6, s[20:23], 0 offen
	v_cvt_f16_f32_e32 v7, v33
	v_cvt_f16_f32_e32 v2, v24
	;; [unrolled: 1-line block ×8, first 2 shown]
	v_pack_b32_f16 v5, v5, v7
	v_pack_b32_f16 v4, v4, v8
	;; [unrolled: 1-line block ×4, first 2 shown]
	;;#ASMSTART
	s_nop 0
	;;#ASMEND
	buffer_store_dwordx4 v[2:5], v6, s[20:23], 16 offen
	;;#ASMSTART
	s_nop 0
	;;#ASMEND
.LBB807_15:
	s_or_b64 exec, exec, s[10:11]
	s_cbranch_execnz .LBB807_11
.LBB807_16:
	s_and_saveexec_b64 s[10:11], s[2:3]
	s_cbranch_execz .LBB807_18
; %bb.17:
	s_load_dwordx2 s[2:3], s[4:5], 0x10
	s_waitcnt lgkmcnt(0)
	s_mul_hi_i32 s21, s26, s6
	s_mul_i32 s20, s26, s6
	s_waitcnt vmcnt(0)
	v_cvt_f16_f32_e32 v2, v18
	v_cvt_f16_f32_e32 v3, v20
	;; [unrolled: 1-line block ×8, first 2 shown]
	s_lshl_b64 s[20:21], s[20:21], 1
	s_add_u32 s20, s2, s20
	s_addc_u32 s2, s3, s21
	s_mov_b32 s23, 0x20000
	s_and_b32 s21, s2, 0xffff
	v_pack_b32_f16 v5, v5, v6
	v_pack_b32_f16 v4, v4, v7
	;; [unrolled: 1-line block ×4, first 2 shown]
	v_lshlrev_b32_e32 v6, 5, v0
	buffer_store_dwordx4 v[2:5], v6, s[20:23], 0 offen
	v_cvt_f16_f32_e32 v7, v33
	v_cvt_f16_f32_e32 v2, v24
	;; [unrolled: 1-line block ×8, first 2 shown]
	v_pack_b32_f16 v5, v5, v7
	v_pack_b32_f16 v4, v4, v8
	;; [unrolled: 1-line block ×4, first 2 shown]
	;;#ASMSTART
	s_nop 0
	;;#ASMEND
	buffer_store_dwordx4 v[2:5], v6, s[20:23], 16 offen
	;;#ASMSTART
	s_nop 0
	;;#ASMEND
.LBB807_18:
	s_or_b64 exec, exec, s[10:11]
	s_cmp_lt_i32 s16, 1
	s_cbranch_scc1 .LBB807_12
.LBB807_19:
	s_load_dword s2, s[4:5], 0x94
	s_waitcnt lgkmcnt(0)
	s_cmp_lg_u32 s2, 1
	s_cbranch_scc1 .LBB807_12
; %bb.20:
	s_lshl_b32 s2, s16, 1
	s_add_i32 s2, s2, 2
	v_cmp_gt_u32_e32 vcc, s16, v1
	s_and_b32 s10, s2, -4
	v_mov_b32_e32 v18, 0
	v_lshlrev_b32_e32 v1, 5, v0
	v_mov_b32_e32 v14, 0
	v_mov_b32_e32 v15, 0
	;; [unrolled: 1-line block ×8, first 2 shown]
	s_waitcnt vmcnt(1)
	v_mov_b32_e32 v6, 0
	v_mov_b32_e32 v7, 0
	;; [unrolled: 1-line block ×4, first 2 shown]
	s_waitcnt vmcnt(0)
	v_mov_b32_e32 v2, 0
	v_mov_b32_e32 v3, 0
	;; [unrolled: 1-line block ×4, first 2 shown]
	s_barrier
	s_and_saveexec_b64 s[2:3], vcc
	s_cbranch_execz .LBB807_22
; %bb.21:
	s_mul_hi_i32 s5, s18, s6
	s_mul_i32 s4, s18, s6
	s_and_b32 s9, s9, 0xffff
	s_lshl_b64 s[4:5], s[4:5], 1
	s_add_u32 s20, s24, s4
	s_mov_b32 s11, 0x20000
	s_addc_u32 s4, s25, s5
	s_and_b32 s21, s4, 0xffff
	s_mov_b32 s22, s10
	s_mov_b32 s23, s11
	buffer_load_dwordx4 v[14:17], v1, s[20:23], 0 offen
	buffer_load_dwordx4 v[10:13], v1, s[20:23], 16 offen
	;; [unrolled: 1-line block ×4, first 2 shown]
.LBB807_22:
	s_or_b64 exec, exec, s[2:3]
	v_mov_b32_e32 v19, 0
	v_mov_b32_e32 v32, 0
	;; [unrolled: 1-line block ×15, first 2 shown]
	s_and_saveexec_b64 s[2:3], vcc
	s_cbranch_execz .LBB807_24
; %bb.23:
	s_waitcnt vmcnt(3)
	v_cvt_f32_f16_sdwa v19, v14 dst_sel:DWORD dst_unused:UNUSED_PAD src0_sel:WORD_1
	v_cvt_f32_f16_e32 v18, v14
	v_cvt_f32_f16_sdwa v33, v15 dst_sel:DWORD dst_unused:UNUSED_PAD src0_sel:WORD_1
	v_cvt_f32_f16_e32 v32, v15
	;; [unrolled: 2-line block ×4, first 2 shown]
	s_waitcnt vmcnt(2)
	v_cvt_f32_f16_sdwa v27, v10 dst_sel:DWORD dst_unused:UNUSED_PAD src0_sel:WORD_1
	v_cvt_f32_f16_e32 v26, v10
	v_cvt_f32_f16_sdwa v25, v11 dst_sel:DWORD dst_unused:UNUSED_PAD src0_sel:WORD_1
	v_cvt_f32_f16_e32 v24, v11
	;; [unrolled: 2-line block ×4, first 2 shown]
.LBB807_24:
	s_or_b64 exec, exec, s[2:3]
	s_waitcnt vmcnt(2)
	v_mul_f32_e32 v10, v19, v19
	v_fmac_f32_e32 v10, v18, v18
	v_fmac_f32_e32 v10, v32, v32
	v_fmac_f32_e32 v10, v33, v33
	v_fmac_f32_e32 v10, v30, v30
	v_fmac_f32_e32 v10, v31, v31
	v_fmac_f32_e32 v10, v28, v28
	v_fmac_f32_e32 v10, v29, v29
	v_fmac_f32_e32 v10, v26, v26
	v_fmac_f32_e32 v10, v27, v27
	v_fmac_f32_e32 v10, v24, v24
	v_fmac_f32_e32 v10, v25, v25
	v_fmac_f32_e32 v10, v22, v22
	v_fmac_f32_e32 v10, v23, v23
	v_fmac_f32_e32 v10, v20, v20
	v_fmac_f32_e32 v10, v21, v21
	s_nop 1
	v_mov_b32_dpp v11, v10 quad_perm:[1,0,3,2] row_mask:0xf bank_mask:0xf
	v_add_f32_e32 v10, v10, v11
	s_nop 1
	v_mov_b32_dpp v11, v10 quad_perm:[2,3,0,1] row_mask:0xf bank_mask:0xf
	v_add_f32_e32 v10, v10, v11
	s_nop 1
	v_mov_b32_dpp v11, v10 row_half_mirror row_mask:0xf bank_mask:0xf
	v_add_f32_e32 v10, v10, v11
	s_nop 1
	v_mov_b32_dpp v11, v10 row_mirror row_mask:0xf bank_mask:0xf
	v_add_f32_e32 v10, v10, v11
	s_nop 1
	v_mov_b32_dpp v11, v10 row_bcast:15 row_mask:0xf bank_mask:0xf
	v_add_f32_e32 v10, v10, v11
	s_nop 1
	v_mov_b32_dpp v11, v10 row_bcast:31 row_mask:0xf bank_mask:0xf
	s_and_saveexec_b64 s[2:3], s[0:1]
	s_cbranch_execz .LBB807_26
; %bb.25:
	v_lshrrev_b32_e32 v0, 4, v0
	v_add_f32_e32 v10, v10, v11
	v_and_b32_e32 v0, 60, v0
	ds_write_b32 v0, v10
.LBB807_26:
	s_or_b64 exec, exec, s[2:3]
	s_waitcnt lgkmcnt(0)
	s_barrier
	ds_read_b32 v0, v34
	s_waitcnt lgkmcnt(0)
	s_nop 0
	v_mov_b32_dpp v10, v0 quad_perm:[1,0,3,2] row_mask:0xf bank_mask:0xf
	v_add_f32_e32 v0, v0, v10
	s_nop 1
	v_mov_b32_dpp v10, v0 quad_perm:[2,3,0,1] row_mask:0xf bank_mask:0xf
	s_and_saveexec_b64 s[0:1], vcc
	s_cbranch_execz .LBB807_12
; %bb.27:
	v_cvt_f32_u32_e32 v11, s16
	v_add_f32_e32 v0, v0, v10
	s_mov_b32 s11, 0x20000
	v_div_scale_f32 v10, s[0:1], v11, v11, v0
	v_rcp_f32_e32 v12, v10
	v_div_scale_f32 v13, vcc, v0, v11, v0
	s_mov_b32 s0, 0x800000
	v_fma_f32 v14, -v10, v12, 1.0
	v_fmac_f32_e32 v12, v14, v12
	v_mul_f32_e32 v14, v13, v12
	v_fma_f32 v15, -v10, v14, v13
	v_fmac_f32_e32 v14, v15, v12
	v_fma_f32 v10, -v10, v14, v13
	v_div_fmas_f32 v10, v10, v12, v14
	v_div_fixup_f32 v0, v10, v11, v0
	v_add_f32_e32 v0, s13, v0
	v_mul_f32_e32 v10, 0x4b800000, v0
	v_cmp_gt_f32_e32 vcc, s0, v0
	v_cndmask_b32_e32 v0, v0, v10, vcc
	v_rsq_f32_e32 v0, v0
	s_mul_hi_i32 s1, s27, s6
	s_mul_i32 s0, s27, s6
	s_lshl_b64 s[0:1], s[0:1], 1
	v_mul_f32_e32 v10, 0x45800000, v0
	v_cndmask_b32_e32 v10, v0, v10, vcc
	v_mov_b32_e32 v11, v10
	;;#ASMSTART
	v_pk_mul_f32 v[12:13], v[18:19], v[10:11]
	;;#ASMEND
	;;#ASMSTART
	v_pk_mul_f32 v[14:15], v[32:33], v[10:11]
	;;#ASMEND
	;; [unrolled: 3-line block ×8, first 2 shown]
	s_waitcnt vmcnt(1)
	v_cvt_f32_f16_sdwa v21, v6 dst_sel:DWORD dst_unused:UNUSED_PAD src0_sel:WORD_1
	v_cvt_f32_f16_e32 v20, v6
	v_cvt_f32_f16_sdwa v29, v7 dst_sel:DWORD dst_unused:UNUSED_PAD src0_sel:WORD_1
	v_cvt_f32_f16_e32 v28, v7
	;; [unrolled: 2-line block ×4, first 2 shown]
	;;#ASMSTART
	v_pk_mul_f32 v[8:9], v[12:13], v[20:21]
	;;#ASMEND
	;;#ASMSTART
	v_pk_mul_f32 v[12:13], v[14:15], v[28:29]
	;;#ASMEND
	;; [unrolled: 3-line block ×4, first 2 shown]
	s_waitcnt vmcnt(0)
	v_cvt_f32_f16_sdwa v17, v2 dst_sel:DWORD dst_unused:UNUSED_PAD src0_sel:WORD_1
	v_cvt_f32_f16_e32 v16, v2
	v_cvt_f32_f16_sdwa v19, v3 dst_sel:DWORD dst_unused:UNUSED_PAD src0_sel:WORD_1
	v_cvt_f32_f16_e32 v18, v3
	;; [unrolled: 2-line block ×4, first 2 shown]
	;;#ASMSTART
	v_pk_mul_f32 v[16:17], v[26:27], v[16:17]
	;;#ASMEND
	;;#ASMSTART
	v_pk_mul_f32 v[18:19], v[24:25], v[18:19]
	;;#ASMEND
	;; [unrolled: 3-line block ×3, first 2 shown]
	v_cvt_f16_f32_e32 v0, v8
	v_cvt_f16_f32_e32 v2, v9
	;; [unrolled: 1-line block ×8, first 2 shown]
	s_add_u32 s8, s14, s0
	s_addc_u32 s0, s15, s1
	s_and_b32 s9, s0, 0xffff
	v_pack_b32_f16 v2, v0, v2
	v_pack_b32_f16 v3, v3, v4
	;; [unrolled: 1-line block ×4, first 2 shown]
	;;#ASMSTART
	v_pk_mul_f32 v[10:11], v[10:11], v[20:21]
	;;#ASMEND
	buffer_store_dwordx4 v[2:5], v1, s[8:11], 0 offen
	v_cvt_f16_f32_e32 v0, v16
	v_cvt_f16_f32_e32 v2, v17
	;; [unrolled: 1-line block ×8, first 2 shown]
	v_pack_b32_f16 v2, v0, v2
	v_pack_b32_f16 v3, v3, v4
	;; [unrolled: 1-line block ×4, first 2 shown]
	;;#ASMSTART
	s_nop 0
	;;#ASMEND
	buffer_store_dwordx4 v[2:5], v1, s[8:11], 16 offen
	;;#ASMSTART
	s_nop 0
	;;#ASMEND
	s_endpgm
	.section	.rodata,"a",@progbits
	.p2align	6, 0x0
	.amdhsa_kernel _ZN5aiter35fused_qk_rmsnorm_group_quant_kernelIDF16_N4opus5fp4_tELi256ELi16ELi4ELb0ELb1ELb0ELb1ELb0ELb0EEEvPT0_PvPT_S7_S7_PKS6_S9_S9_S9_S9_ffiiiiiiiiiiiii
		.amdhsa_group_segment_fixed_size 32
		.amdhsa_private_segment_fixed_size 0
		.amdhsa_kernarg_size 400
		.amdhsa_user_sgpr_count 6
		.amdhsa_user_sgpr_private_segment_buffer 1
		.amdhsa_user_sgpr_dispatch_ptr 0
		.amdhsa_user_sgpr_queue_ptr 0
		.amdhsa_user_sgpr_kernarg_segment_ptr 1
		.amdhsa_user_sgpr_dispatch_id 0
		.amdhsa_user_sgpr_flat_scratch_init 0
		.amdhsa_user_sgpr_kernarg_preload_length 0
		.amdhsa_user_sgpr_kernarg_preload_offset 0
		.amdhsa_user_sgpr_private_segment_size 0
		.amdhsa_uses_dynamic_stack 0
		.amdhsa_system_sgpr_private_segment_wavefront_offset 0
		.amdhsa_system_sgpr_workgroup_id_x 1
		.amdhsa_system_sgpr_workgroup_id_y 1
		.amdhsa_system_sgpr_workgroup_id_z 0
		.amdhsa_system_sgpr_workgroup_info 0
		.amdhsa_system_vgpr_workitem_id 0
		.amdhsa_next_free_vgpr 35
		.amdhsa_next_free_sgpr 32
		.amdhsa_accum_offset 36
		.amdhsa_reserve_vcc 1
		.amdhsa_reserve_flat_scratch 0
		.amdhsa_float_round_mode_32 0
		.amdhsa_float_round_mode_16_64 0
		.amdhsa_float_denorm_mode_32 3
		.amdhsa_float_denorm_mode_16_64 3
		.amdhsa_dx10_clamp 1
		.amdhsa_ieee_mode 1
		.amdhsa_fp16_overflow 0
		.amdhsa_tg_split 0
		.amdhsa_exception_fp_ieee_invalid_op 0
		.amdhsa_exception_fp_denorm_src 0
		.amdhsa_exception_fp_ieee_div_zero 0
		.amdhsa_exception_fp_ieee_overflow 0
		.amdhsa_exception_fp_ieee_underflow 0
		.amdhsa_exception_fp_ieee_inexact 0
		.amdhsa_exception_int_div_zero 0
	.end_amdhsa_kernel
	.section	.text._ZN5aiter35fused_qk_rmsnorm_group_quant_kernelIDF16_N4opus5fp4_tELi256ELi16ELi4ELb0ELb1ELb0ELb1ELb0ELb0EEEvPT0_PvPT_S7_S7_PKS6_S9_S9_S9_S9_ffiiiiiiiiiiiii,"axG",@progbits,_ZN5aiter35fused_qk_rmsnorm_group_quant_kernelIDF16_N4opus5fp4_tELi256ELi16ELi4ELb0ELb1ELb0ELb1ELb0ELb0EEEvPT0_PvPT_S7_S7_PKS6_S9_S9_S9_S9_ffiiiiiiiiiiiii,comdat
.Lfunc_end807:
	.size	_ZN5aiter35fused_qk_rmsnorm_group_quant_kernelIDF16_N4opus5fp4_tELi256ELi16ELi4ELb0ELb1ELb0ELb1ELb0ELb0EEEvPT0_PvPT_S7_S7_PKS6_S9_S9_S9_S9_ffiiiiiiiiiiiii, .Lfunc_end807-_ZN5aiter35fused_qk_rmsnorm_group_quant_kernelIDF16_N4opus5fp4_tELi256ELi16ELi4ELb0ELb1ELb0ELb1ELb0ELb0EEEvPT0_PvPT_S7_S7_PKS6_S9_S9_S9_S9_ffiiiiiiiiiiiii
                                        ; -- End function
	.section	.AMDGPU.csdata,"",@progbits
; Kernel info:
; codeLenInByte = 2840
; NumSgprs: 36
; NumVgprs: 35
; NumAgprs: 0
; TotalNumVgprs: 35
; ScratchSize: 0
; MemoryBound: 0
; FloatMode: 240
; IeeeMode: 1
; LDSByteSize: 32 bytes/workgroup (compile time only)
; SGPRBlocks: 4
; VGPRBlocks: 4
; NumSGPRsForWavesPerEU: 36
; NumVGPRsForWavesPerEU: 35
; AccumOffset: 36
; Occupancy: 8
; WaveLimiterHint : 0
; COMPUTE_PGM_RSRC2:SCRATCH_EN: 0
; COMPUTE_PGM_RSRC2:USER_SGPR: 6
; COMPUTE_PGM_RSRC2:TRAP_HANDLER: 0
; COMPUTE_PGM_RSRC2:TGID_X_EN: 1
; COMPUTE_PGM_RSRC2:TGID_Y_EN: 1
; COMPUTE_PGM_RSRC2:TGID_Z_EN: 0
; COMPUTE_PGM_RSRC2:TIDIG_COMP_CNT: 0
; COMPUTE_PGM_RSRC3_GFX90A:ACCUM_OFFSET: 8
; COMPUTE_PGM_RSRC3_GFX90A:TG_SPLIT: 0
	.section	.text._ZN5aiter35fused_qk_rmsnorm_group_quant_kernelItN4opus5fp4_tELi256ELi16ELi4ELb0ELb1ELb0ELb1ELb0ELb0EEEvPT0_PvPT_S7_S7_PKS6_S9_S9_S9_S9_ffiiiiiiiiiiiii,"axG",@progbits,_ZN5aiter35fused_qk_rmsnorm_group_quant_kernelItN4opus5fp4_tELi256ELi16ELi4ELb0ELb1ELb0ELb1ELb0ELb0EEEvPT0_PvPT_S7_S7_PKS6_S9_S9_S9_S9_ffiiiiiiiiiiiii,comdat
	.protected	_ZN5aiter35fused_qk_rmsnorm_group_quant_kernelItN4opus5fp4_tELi256ELi16ELi4ELb0ELb1ELb0ELb1ELb0ELb0EEEvPT0_PvPT_S7_S7_PKS6_S9_S9_S9_S9_ffiiiiiiiiiiiii ; -- Begin function _ZN5aiter35fused_qk_rmsnorm_group_quant_kernelItN4opus5fp4_tELi256ELi16ELi4ELb0ELb1ELb0ELb1ELb0ELb0EEEvPT0_PvPT_S7_S7_PKS6_S9_S9_S9_S9_ffiiiiiiiiiiiii
	.globl	_ZN5aiter35fused_qk_rmsnorm_group_quant_kernelItN4opus5fp4_tELi256ELi16ELi4ELb0ELb1ELb0ELb1ELb0ELb0EEEvPT0_PvPT_S7_S7_PKS6_S9_S9_S9_S9_ffiiiiiiiiiiiii
	.p2align	8
	.type	_ZN5aiter35fused_qk_rmsnorm_group_quant_kernelItN4opus5fp4_tELi256ELi16ELi4ELb0ELb1ELb0ELb1ELb0ELb0EEEvPT0_PvPT_S7_S7_PKS6_S9_S9_S9_S9_ffiiiiiiiiiiiii,@function
_ZN5aiter35fused_qk_rmsnorm_group_quant_kernelItN4opus5fp4_tELi256ELi16ELi4ELb0ELb1ELb0ELb1ELb0ELb0EEEvPT0_PvPT_S7_S7_PKS6_S9_S9_S9_S9_ffiiiiiiiiiiiii: ; @_ZN5aiter35fused_qk_rmsnorm_group_quant_kernelItN4opus5fp4_tELi256ELi16ELi4ELb0ELb1ELb0ELb1ELb0ELb0EEEvPT0_PvPT_S7_S7_PKS6_S9_S9_S9_S9_ffiiiiiiiiiiiii
; %bb.0:
	s_load_dwordx4 s[12:15], s[4:5], 0x50
	s_waitcnt lgkmcnt(0)
	s_cmp_ge_i32 s6, s14
	s_cbranch_scc1 .LBB808_12
; %bb.1:
	s_load_dwordx2 s[24:25], s[4:5], 0x30
	s_load_dwordx2 s[8:9], s[4:5], 0x48
	s_load_dwordx4 s[16:19], s[4:5], 0x60
	s_cmp_lg_u32 s7, 0
	s_cselect_b64 s[10:11], -1, 0
	s_cmp_eq_u32 s7, 0
	s_cselect_b64 vcc, -1, 0
	s_and_b64 s[0:1], vcc, exec
	s_waitcnt lgkmcnt(0)
	s_cselect_b32 s7, s15, s16
	s_add_i32 s0, s7, 1
	s_lshr_b32 s1, s0, 31
	s_add_i32 s0, s0, s1
	s_lshl_b32 s0, s0, 1
	v_lshlrev_b32_e32 v1, 4, v0
	s_and_b32 s22, s0, -4
	v_cmp_gt_i32_e64 s[2:3], s7, v1
	v_mov_b32_e32 v18, 0
	v_mov_b32_e32 v6, 0
	;; [unrolled: 1-line block ×17, first 2 shown]
	s_and_saveexec_b64 s[0:1], s[2:3]
	s_cbranch_execz .LBB808_3
; %bb.2:
	s_load_dwordx2 s[14:15], s[4:5], 0x28
	s_load_dwordx2 s[20:21], s[4:5], 0x40
	s_and_b64 s[26:27], vcc, exec
	s_cselect_b32 s17, s17, s18
	s_mov_b32 s30, s22
	s_waitcnt lgkmcnt(0)
	s_cselect_b32 s19, s15, s25
	s_cselect_b32 s23, s14, s24
	s_mul_hi_i32 s15, s17, s6
	s_mul_i32 s14, s17, s6
	s_lshl_b64 s[14:15], s[14:15], 1
	s_add_u32 s28, s23, s14
	s_addc_u32 s17, s19, s15
	s_and_b64 s[14:15], vcc, exec
	s_mov_b32 s23, 0x20000
	s_cselect_b32 s20, s20, s8
	s_cselect_b32 s14, s21, s9
	s_and_b32 s29, s17, 0xffff
	s_mov_b32 s31, s23
	v_lshlrev_b32_e32 v19, 5, v0
	s_and_b32 s21, s14, 0xffff
	buffer_load_dwordx4 v[14:17], v19, s[28:31], 0 offen
	buffer_load_dwordx4 v[10:13], v19, s[28:31], 16 offen
	buffer_load_dwordx4 v[6:9], v19, s[20:23], 0 offen
	buffer_load_dwordx4 v[2:5], v19, s[20:23], 16 offen
.LBB808_3:
	s_or_b64 exec, exec, s[0:1]
	v_mov_b32_e32 v19, 0
	v_mov_b32_e32 v20, 0
	;; [unrolled: 1-line block ×15, first 2 shown]
	s_and_saveexec_b64 s[0:1], s[2:3]
	s_cbranch_execz .LBB808_5
; %bb.4:
	s_waitcnt vmcnt(3)
	v_cvt_f32_u32_sdwa v18, v14 dst_sel:DWORD dst_unused:UNUSED_PAD src0_sel:WORD_0
	v_cvt_f32_u32_sdwa v19, v14 dst_sel:DWORD dst_unused:UNUSED_PAD src0_sel:WORD_1
	v_cvt_f32_u32_sdwa v20, v15 dst_sel:DWORD dst_unused:UNUSED_PAD src0_sel:WORD_0
	v_cvt_f32_u32_sdwa v21, v15 dst_sel:DWORD dst_unused:UNUSED_PAD src0_sel:WORD_1
	;; [unrolled: 2-line block ×4, first 2 shown]
	s_waitcnt vmcnt(2)
	v_cvt_f32_u32_sdwa v26, v10 dst_sel:DWORD dst_unused:UNUSED_PAD src0_sel:WORD_0
	v_cvt_f32_u32_sdwa v27, v10 dst_sel:DWORD dst_unused:UNUSED_PAD src0_sel:WORD_1
	v_cvt_f32_u32_sdwa v28, v11 dst_sel:DWORD dst_unused:UNUSED_PAD src0_sel:WORD_0
	v_cvt_f32_u32_sdwa v29, v11 dst_sel:DWORD dst_unused:UNUSED_PAD src0_sel:WORD_1
	;; [unrolled: 2-line block ×4, first 2 shown]
.LBB808_5:
	s_or_b64 exec, exec, s[0:1]
	s_waitcnt vmcnt(2)
	v_mul_f32_e32 v10, v19, v19
	v_fmac_f32_e32 v10, v18, v18
	v_fmac_f32_e32 v10, v20, v20
	;; [unrolled: 1-line block ×15, first 2 shown]
	v_and_b32_e32 v12, 63, v0
	v_cmp_eq_u32_e64 s[0:1], 63, v12
	v_mov_b32_dpp v11, v10 quad_perm:[1,0,3,2] row_mask:0xf bank_mask:0xf
	v_add_f32_e32 v10, v10, v11
	s_nop 1
	v_mov_b32_dpp v11, v10 quad_perm:[2,3,0,1] row_mask:0xf bank_mask:0xf
	v_add_f32_e32 v10, v10, v11
	s_nop 1
	v_mov_b32_dpp v11, v10 row_half_mirror row_mask:0xf bank_mask:0xf
	v_add_f32_e32 v10, v10, v11
	s_nop 1
	v_mov_b32_dpp v11, v10 row_mirror row_mask:0xf bank_mask:0xf
	v_add_f32_e32 v10, v10, v11
	s_nop 1
	v_mov_b32_dpp v11, v10 row_bcast:15 row_mask:0xf bank_mask:0xf
	v_add_f32_e32 v10, v10, v11
	s_nop 1
	v_mov_b32_dpp v11, v10 row_bcast:31 row_mask:0xf bank_mask:0xf
	s_and_saveexec_b64 s[14:15], s[0:1]
	s_cbranch_execz .LBB808_7
; %bb.6:
	v_add_f32_e32 v10, v10, v11
	v_lshrrev_b32_e32 v11, 4, v0
	v_and_b32_e32 v11, 60, v11
	ds_write_b32 v11, v10 offset:16
.LBB808_7:
	s_or_b64 exec, exec, s[14:15]
	v_and_b32_e32 v10, 3, v0
	v_lshlrev_b32_e32 v34, 2, v10
	s_waitcnt lgkmcnt(0)
	s_barrier
	ds_read_b32 v10, v34 offset:16
	s_load_dwordx2 s[14:15], s[4:5], 0x18
	s_waitcnt lgkmcnt(0)
	v_mov_b32_dpp v11, v10 quad_perm:[1,0,3,2] row_mask:0xf bank_mask:0xf
	v_add_f32_e32 v10, v10, v11
	s_nop 1
	v_mov_b32_dpp v11, v10 quad_perm:[2,3,0,1] row_mask:0xf bank_mask:0xf
	s_and_saveexec_b64 s[20:21], s[2:3]
	s_cbranch_execz .LBB808_9
; %bb.8:
	v_cvt_f32_u32_e32 v12, s7
	v_add_f32_e32 v10, v10, v11
	v_mov_b32_e32 v14, s13
	v_mov_b32_e32 v15, s12
	v_div_scale_f32 v11, s[26:27], v12, v12, v10
	v_rcp_f32_e32 v13, v11
	v_cndmask_b32_e32 v14, v14, v15, vcc
	s_mov_b32 s7, 0x800000
	v_fma_f32 v15, -v11, v13, 1.0
	v_fmac_f32_e32 v13, v15, v13
	v_div_scale_f32 v15, vcc, v10, v12, v10
	v_mul_f32_e32 v16, v15, v13
	v_fma_f32 v17, -v11, v16, v15
	v_fmac_f32_e32 v16, v17, v13
	v_fma_f32 v11, -v11, v16, v15
	v_div_fmas_f32 v11, v11, v13, v16
	v_div_fixup_f32 v10, v11, v12, v10
	v_add_f32_e32 v10, v14, v10
	v_mul_f32_e32 v11, 0x4b800000, v10
	v_cmp_gt_f32_e32 vcc, s7, v10
	v_cndmask_b32_e32 v10, v10, v11, vcc
	v_rsq_f32_e32 v10, v10
	v_mul_f32_e32 v11, 0x45800000, v10
	v_cndmask_b32_e32 v10, v10, v11, vcc
	v_mov_b32_e32 v11, v10
	;;#ASMSTART
	v_pk_mul_f32 v[12:13], v[18:19], v[10:11]
	;;#ASMEND
	;;#ASMSTART
	v_pk_mul_f32 v[14:15], v[20:21], v[10:11]
	;;#ASMEND
	;; [unrolled: 3-line block ×8, first 2 shown]
	s_waitcnt vmcnt(1)
	v_cvt_f32_u32_sdwa v19, v6 dst_sel:DWORD dst_unused:UNUSED_PAD src0_sel:WORD_1
	v_cvt_f32_u32_sdwa v18, v6 dst_sel:DWORD dst_unused:UNUSED_PAD src0_sel:WORD_0
	v_cvt_f32_u32_sdwa v21, v7 dst_sel:DWORD dst_unused:UNUSED_PAD src0_sel:WORD_1
	v_cvt_f32_u32_sdwa v20, v7 dst_sel:DWORD dst_unused:UNUSED_PAD src0_sel:WORD_0
	;; [unrolled: 2-line block ×4, first 2 shown]
	;;#ASMSTART
	v_pk_mul_f32 v[18:19], v[12:13], v[18:19]
	;;#ASMEND
	;;#ASMSTART
	v_pk_mul_f32 v[20:21], v[14:15], v[20:21]
	;;#ASMEND
	;; [unrolled: 3-line block ×4, first 2 shown]
	s_waitcnt vmcnt(0)
	v_cvt_f32_u32_sdwa v7, v2 dst_sel:DWORD dst_unused:UNUSED_PAD src0_sel:WORD_1
	v_cvt_f32_u32_sdwa v6, v2 dst_sel:DWORD dst_unused:UNUSED_PAD src0_sel:WORD_0
	v_cvt_f32_u32_sdwa v9, v3 dst_sel:DWORD dst_unused:UNUSED_PAD src0_sel:WORD_1
	v_cvt_f32_u32_sdwa v8, v3 dst_sel:DWORD dst_unused:UNUSED_PAD src0_sel:WORD_0
	;; [unrolled: 2-line block ×4, first 2 shown]
	;;#ASMSTART
	v_pk_mul_f32 v[26:27], v[26:27], v[6:7]
	;;#ASMEND
	;;#ASMSTART
	v_pk_mul_f32 v[28:29], v[28:29], v[8:9]
	;;#ASMEND
	;; [unrolled: 3-line block ×4, first 2 shown]
.LBB808_9:
	s_or_b64 exec, exec, s[20:21]
	s_load_dwordx2 s[26:27], s[4:5], 0x7c
	s_mov_b64 s[20:21], -1
	s_and_b64 vcc, exec, s[10:11]
	s_cbranch_vccnz .LBB808_13
; %bb.10:
	s_andn2_b64 vcc, exec, s[20:21]
	s_cbranch_vccz .LBB808_16
.LBB808_11:
	s_cmp_lt_i32 s16, 1
	s_cbranch_scc0 .LBB808_19
.LBB808_12:
	s_endpgm
.LBB808_13:
	s_and_saveexec_b64 s[10:11], s[2:3]
	s_cbranch_execz .LBB808_15
; %bb.14:
	s_waitcnt lgkmcnt(0)
	s_mul_hi_i32 s21, s27, s6
	s_mul_i32 s20, s27, s6
	s_lshl_b64 s[20:21], s[20:21], 1
	s_add_u32 s20, s14, s20
	s_addc_u32 s7, s15, s21
	s_and_b32 s21, s7, 0xffff
	s_mov_b32 s7, 0x7060302
	s_mov_b32 s23, 0x20000
	s_waitcnt vmcnt(0)
	v_perm_b32 v5, v25, v24, s7
	v_perm_b32 v4, v23, v22, s7
	;; [unrolled: 1-line block ×4, first 2 shown]
	v_lshlrev_b32_e32 v6, 5, v0
	buffer_store_dwordx4 v[2:5], v6, s[20:23], 0 offen
	;;#ASMSTART
	s_nop 0
	;;#ASMEND
	s_nop 0
	v_perm_b32 v5, v33, v32, s7
	v_perm_b32 v4, v31, v30, s7
	;; [unrolled: 1-line block ×4, first 2 shown]
	buffer_store_dwordx4 v[2:5], v6, s[20:23], 16 offen
	;;#ASMSTART
	s_nop 0
	;;#ASMEND
.LBB808_15:
	s_or_b64 exec, exec, s[10:11]
	s_cbranch_execnz .LBB808_11
.LBB808_16:
	s_and_saveexec_b64 s[10:11], s[2:3]
	s_cbranch_execz .LBB808_18
; %bb.17:
	s_load_dwordx2 s[2:3], s[4:5], 0x10
	s_waitcnt lgkmcnt(0)
	s_mul_hi_i32 s21, s26, s6
	s_mul_i32 s20, s26, s6
	s_lshl_b64 s[20:21], s[20:21], 1
	s_mov_b32 s23, 0x20000
	s_add_u32 s20, s2, s20
	s_addc_u32 s2, s3, s21
	s_and_b32 s21, s2, 0xffff
	s_mov_b32 s2, 0x7060302
	s_waitcnt vmcnt(0)
	v_perm_b32 v5, v25, v24, s2
	v_perm_b32 v4, v23, v22, s2
	;; [unrolled: 1-line block ×4, first 2 shown]
	v_lshlrev_b32_e32 v6, 5, v0
	buffer_store_dwordx4 v[2:5], v6, s[20:23], 0 offen
	;;#ASMSTART
	s_nop 0
	;;#ASMEND
	s_nop 0
	v_perm_b32 v5, v33, v32, s2
	v_perm_b32 v4, v31, v30, s2
	;; [unrolled: 1-line block ×4, first 2 shown]
	buffer_store_dwordx4 v[2:5], v6, s[20:23], 16 offen
	;;#ASMSTART
	s_nop 0
	;;#ASMEND
.LBB808_18:
	s_or_b64 exec, exec, s[10:11]
	s_cmp_lt_i32 s16, 1
	s_cbranch_scc1 .LBB808_12
.LBB808_19:
	s_load_dword s2, s[4:5], 0x94
	s_waitcnt lgkmcnt(0)
	s_cmp_lg_u32 s2, 1
	s_cbranch_scc1 .LBB808_12
; %bb.20:
	s_lshl_b32 s2, s16, 1
	s_add_i32 s2, s2, 2
	v_cmp_gt_u32_e32 vcc, s16, v1
	s_and_b32 s10, s2, -4
	v_mov_b32_e32 v18, 0
	v_lshlrev_b32_e32 v1, 5, v0
	v_mov_b32_e32 v14, 0
	v_mov_b32_e32 v15, 0
	;; [unrolled: 1-line block ×8, first 2 shown]
	s_waitcnt vmcnt(1)
	v_mov_b32_e32 v6, 0
	v_mov_b32_e32 v7, 0
	;; [unrolled: 1-line block ×4, first 2 shown]
	s_waitcnt vmcnt(0)
	v_mov_b32_e32 v2, 0
	v_mov_b32_e32 v3, 0
	;; [unrolled: 1-line block ×4, first 2 shown]
	s_barrier
	s_and_saveexec_b64 s[2:3], vcc
	s_cbranch_execz .LBB808_22
; %bb.21:
	s_mul_hi_i32 s5, s18, s6
	s_mul_i32 s4, s18, s6
	s_and_b32 s9, s9, 0xffff
	s_lshl_b64 s[4:5], s[4:5], 1
	s_add_u32 s20, s24, s4
	s_mov_b32 s11, 0x20000
	s_addc_u32 s4, s25, s5
	s_and_b32 s21, s4, 0xffff
	s_mov_b32 s22, s10
	s_mov_b32 s23, s11
	buffer_load_dwordx4 v[14:17], v1, s[20:23], 0 offen
	buffer_load_dwordx4 v[10:13], v1, s[20:23], 16 offen
	;; [unrolled: 1-line block ×4, first 2 shown]
.LBB808_22:
	s_or_b64 exec, exec, s[2:3]
	v_mov_b32_e32 v19, 0
	v_mov_b32_e32 v32, 0
	;; [unrolled: 1-line block ×15, first 2 shown]
	s_and_saveexec_b64 s[2:3], vcc
	s_cbranch_execz .LBB808_24
; %bb.23:
	s_waitcnt vmcnt(3)
	v_cvt_f32_u32_sdwa v18, v14 dst_sel:DWORD dst_unused:UNUSED_PAD src0_sel:WORD_0
	v_cvt_f32_u32_sdwa v19, v14 dst_sel:DWORD dst_unused:UNUSED_PAD src0_sel:WORD_1
	v_cvt_f32_u32_sdwa v32, v15 dst_sel:DWORD dst_unused:UNUSED_PAD src0_sel:WORD_0
	v_cvt_f32_u32_sdwa v33, v15 dst_sel:DWORD dst_unused:UNUSED_PAD src0_sel:WORD_1
	;; [unrolled: 2-line block ×4, first 2 shown]
	s_waitcnt vmcnt(2)
	v_cvt_f32_u32_sdwa v26, v10 dst_sel:DWORD dst_unused:UNUSED_PAD src0_sel:WORD_0
	v_cvt_f32_u32_sdwa v27, v10 dst_sel:DWORD dst_unused:UNUSED_PAD src0_sel:WORD_1
	v_cvt_f32_u32_sdwa v24, v11 dst_sel:DWORD dst_unused:UNUSED_PAD src0_sel:WORD_0
	v_cvt_f32_u32_sdwa v25, v11 dst_sel:DWORD dst_unused:UNUSED_PAD src0_sel:WORD_1
	;; [unrolled: 2-line block ×4, first 2 shown]
.LBB808_24:
	s_or_b64 exec, exec, s[2:3]
	s_waitcnt vmcnt(2)
	v_mul_f32_e32 v10, v19, v19
	v_fmac_f32_e32 v10, v18, v18
	v_fmac_f32_e32 v10, v32, v32
	;; [unrolled: 1-line block ×15, first 2 shown]
	s_nop 1
	v_mov_b32_dpp v11, v10 quad_perm:[1,0,3,2] row_mask:0xf bank_mask:0xf
	v_add_f32_e32 v10, v10, v11
	s_nop 1
	v_mov_b32_dpp v11, v10 quad_perm:[2,3,0,1] row_mask:0xf bank_mask:0xf
	v_add_f32_e32 v10, v10, v11
	s_nop 1
	v_mov_b32_dpp v11, v10 row_half_mirror row_mask:0xf bank_mask:0xf
	v_add_f32_e32 v10, v10, v11
	s_nop 1
	v_mov_b32_dpp v11, v10 row_mirror row_mask:0xf bank_mask:0xf
	v_add_f32_e32 v10, v10, v11
	s_nop 1
	v_mov_b32_dpp v11, v10 row_bcast:15 row_mask:0xf bank_mask:0xf
	v_add_f32_e32 v10, v10, v11
	s_nop 1
	v_mov_b32_dpp v11, v10 row_bcast:31 row_mask:0xf bank_mask:0xf
	s_and_saveexec_b64 s[2:3], s[0:1]
	s_cbranch_execz .LBB808_26
; %bb.25:
	v_lshrrev_b32_e32 v0, 4, v0
	v_add_f32_e32 v10, v10, v11
	v_and_b32_e32 v0, 60, v0
	ds_write_b32 v0, v10
.LBB808_26:
	s_or_b64 exec, exec, s[2:3]
	s_waitcnt lgkmcnt(0)
	s_barrier
	ds_read_b32 v0, v34
	s_waitcnt lgkmcnt(0)
	s_nop 0
	v_mov_b32_dpp v10, v0 quad_perm:[1,0,3,2] row_mask:0xf bank_mask:0xf
	v_add_f32_e32 v0, v0, v10
	s_nop 1
	v_mov_b32_dpp v10, v0 quad_perm:[2,3,0,1] row_mask:0xf bank_mask:0xf
	s_and_saveexec_b64 s[0:1], vcc
	s_cbranch_execz .LBB808_12
; %bb.27:
	v_cvt_f32_u32_e32 v11, s16
	v_add_f32_e32 v0, v0, v10
	s_mov_b32 s11, 0x20000
	v_div_scale_f32 v10, s[0:1], v11, v11, v0
	v_rcp_f32_e32 v12, v10
	v_div_scale_f32 v13, vcc, v0, v11, v0
	s_mov_b32 s0, 0x800000
	v_fma_f32 v14, -v10, v12, 1.0
	v_fmac_f32_e32 v12, v14, v12
	v_mul_f32_e32 v14, v13, v12
	v_fma_f32 v15, -v10, v14, v13
	v_fmac_f32_e32 v14, v15, v12
	v_fma_f32 v10, -v10, v14, v13
	v_div_fmas_f32 v10, v10, v12, v14
	v_div_fixup_f32 v0, v10, v11, v0
	v_add_f32_e32 v0, s13, v0
	v_mul_f32_e32 v10, 0x4b800000, v0
	v_cmp_gt_f32_e32 vcc, s0, v0
	v_cndmask_b32_e32 v0, v0, v10, vcc
	v_rsq_f32_e32 v0, v0
	s_mul_hi_i32 s1, s27, s6
	s_mul_i32 s0, s27, s6
	s_lshl_b64 s[0:1], s[0:1], 1
	v_mul_f32_e32 v10, 0x45800000, v0
	v_cndmask_b32_e32 v10, v0, v10, vcc
	v_mov_b32_e32 v11, v10
	s_add_u32 s8, s14, s0
	;;#ASMSTART
	v_pk_mul_f32 v[12:13], v[18:19], v[10:11]
	;;#ASMEND
	;;#ASMSTART
	v_pk_mul_f32 v[14:15], v[32:33], v[10:11]
	;;#ASMEND
	;; [unrolled: 3-line block ×8, first 2 shown]
	s_waitcnt vmcnt(1)
	v_cvt_f32_u32_sdwa v21, v6 dst_sel:DWORD dst_unused:UNUSED_PAD src0_sel:WORD_1
	v_cvt_f32_u32_sdwa v20, v6 dst_sel:DWORD dst_unused:UNUSED_PAD src0_sel:WORD_0
	v_cvt_f32_u32_sdwa v29, v7 dst_sel:DWORD dst_unused:UNUSED_PAD src0_sel:WORD_1
	v_cvt_f32_u32_sdwa v28, v7 dst_sel:DWORD dst_unused:UNUSED_PAD src0_sel:WORD_0
	;; [unrolled: 2-line block ×3, first 2 shown]
	s_addc_u32 s0, s15, s1
	v_cvt_f32_u32_sdwa v31, v9 dst_sel:DWORD dst_unused:UNUSED_PAD src0_sel:WORD_1
	v_cvt_f32_u32_sdwa v30, v9 dst_sel:DWORD dst_unused:UNUSED_PAD src0_sel:WORD_0
	;;#ASMSTART
	v_pk_mul_f32 v[8:9], v[12:13], v[20:21]
	;;#ASMEND
	;;#ASMSTART
	v_pk_mul_f32 v[12:13], v[14:15], v[28:29]
	;;#ASMEND
	;;#ASMSTART
	v_pk_mul_f32 v[6:7], v[16:17], v[6:7]
	;;#ASMEND
	;;#ASMSTART
	v_pk_mul_f32 v[14:15], v[18:19], v[30:31]
	;;#ASMEND
	s_waitcnt vmcnt(0)
	v_cvt_f32_u32_sdwa v17, v2 dst_sel:DWORD dst_unused:UNUSED_PAD src0_sel:WORD_1
	v_cvt_f32_u32_sdwa v16, v2 dst_sel:DWORD dst_unused:UNUSED_PAD src0_sel:WORD_0
	v_cvt_f32_u32_sdwa v19, v3 dst_sel:DWORD dst_unused:UNUSED_PAD src0_sel:WORD_1
	v_cvt_f32_u32_sdwa v18, v3 dst_sel:DWORD dst_unused:UNUSED_PAD src0_sel:WORD_0
	;; [unrolled: 2-line block ×3, first 2 shown]
	s_and_b32 s9, s0, 0xffff
	s_mov_b32 s0, 0x7060302
	v_cvt_f32_u32_sdwa v21, v5 dst_sel:DWORD dst_unused:UNUSED_PAD src0_sel:WORD_1
	v_cvt_f32_u32_sdwa v20, v5 dst_sel:DWORD dst_unused:UNUSED_PAD src0_sel:WORD_0
	;;#ASMSTART
	v_pk_mul_f32 v[16:17], v[26:27], v[16:17]
	;;#ASMEND
	;;#ASMSTART
	v_pk_mul_f32 v[18:19], v[24:25], v[18:19]
	;;#ASMEND
	;; [unrolled: 3-line block ×3, first 2 shown]
	v_perm_b32 v2, v9, v8, s0
	v_perm_b32 v3, v13, v12, s0
	;; [unrolled: 1-line block ×4, first 2 shown]
	;;#ASMSTART
	v_pk_mul_f32 v[10:11], v[10:11], v[20:21]
	;;#ASMEND
	buffer_store_dwordx4 v[2:5], v1, s[8:11], 0 offen
	;;#ASMSTART
	s_nop 0
	;;#ASMEND
	s_nop 0
	v_perm_b32 v2, v17, v16, s0
	v_perm_b32 v3, v19, v18, s0
	;; [unrolled: 1-line block ×4, first 2 shown]
	buffer_store_dwordx4 v[2:5], v1, s[8:11], 16 offen
	;;#ASMSTART
	s_nop 0
	;;#ASMEND
	s_endpgm
	.section	.rodata,"a",@progbits
	.p2align	6, 0x0
	.amdhsa_kernel _ZN5aiter35fused_qk_rmsnorm_group_quant_kernelItN4opus5fp4_tELi256ELi16ELi4ELb0ELb1ELb0ELb1ELb0ELb0EEEvPT0_PvPT_S7_S7_PKS6_S9_S9_S9_S9_ffiiiiiiiiiiiii
		.amdhsa_group_segment_fixed_size 32
		.amdhsa_private_segment_fixed_size 0
		.amdhsa_kernarg_size 400
		.amdhsa_user_sgpr_count 6
		.amdhsa_user_sgpr_private_segment_buffer 1
		.amdhsa_user_sgpr_dispatch_ptr 0
		.amdhsa_user_sgpr_queue_ptr 0
		.amdhsa_user_sgpr_kernarg_segment_ptr 1
		.amdhsa_user_sgpr_dispatch_id 0
		.amdhsa_user_sgpr_flat_scratch_init 0
		.amdhsa_user_sgpr_kernarg_preload_length 0
		.amdhsa_user_sgpr_kernarg_preload_offset 0
		.amdhsa_user_sgpr_private_segment_size 0
		.amdhsa_uses_dynamic_stack 0
		.amdhsa_system_sgpr_private_segment_wavefront_offset 0
		.amdhsa_system_sgpr_workgroup_id_x 1
		.amdhsa_system_sgpr_workgroup_id_y 1
		.amdhsa_system_sgpr_workgroup_id_z 0
		.amdhsa_system_sgpr_workgroup_info 0
		.amdhsa_system_vgpr_workitem_id 0
		.amdhsa_next_free_vgpr 35
		.amdhsa_next_free_sgpr 32
		.amdhsa_accum_offset 36
		.amdhsa_reserve_vcc 1
		.amdhsa_reserve_flat_scratch 0
		.amdhsa_float_round_mode_32 0
		.amdhsa_float_round_mode_16_64 0
		.amdhsa_float_denorm_mode_32 3
		.amdhsa_float_denorm_mode_16_64 3
		.amdhsa_dx10_clamp 1
		.amdhsa_ieee_mode 1
		.amdhsa_fp16_overflow 0
		.amdhsa_tg_split 0
		.amdhsa_exception_fp_ieee_invalid_op 0
		.amdhsa_exception_fp_denorm_src 0
		.amdhsa_exception_fp_ieee_div_zero 0
		.amdhsa_exception_fp_ieee_overflow 0
		.amdhsa_exception_fp_ieee_underflow 0
		.amdhsa_exception_fp_ieee_inexact 0
		.amdhsa_exception_int_div_zero 0
	.end_amdhsa_kernel
	.section	.text._ZN5aiter35fused_qk_rmsnorm_group_quant_kernelItN4opus5fp4_tELi256ELi16ELi4ELb0ELb1ELb0ELb1ELb0ELb0EEEvPT0_PvPT_S7_S7_PKS6_S9_S9_S9_S9_ffiiiiiiiiiiiii,"axG",@progbits,_ZN5aiter35fused_qk_rmsnorm_group_quant_kernelItN4opus5fp4_tELi256ELi16ELi4ELb0ELb1ELb0ELb1ELb0ELb0EEEvPT0_PvPT_S7_S7_PKS6_S9_S9_S9_S9_ffiiiiiiiiiiiii,comdat
.Lfunc_end808:
	.size	_ZN5aiter35fused_qk_rmsnorm_group_quant_kernelItN4opus5fp4_tELi256ELi16ELi4ELb0ELb1ELb0ELb1ELb0ELb0EEEvPT0_PvPT_S7_S7_PKS6_S9_S9_S9_S9_ffiiiiiiiiiiiii, .Lfunc_end808-_ZN5aiter35fused_qk_rmsnorm_group_quant_kernelItN4opus5fp4_tELi256ELi16ELi4ELb0ELb1ELb0ELb1ELb0ELb0EEEvPT0_PvPT_S7_S7_PKS6_S9_S9_S9_S9_ffiiiiiiiiiiiii
                                        ; -- End function
	.section	.AMDGPU.csdata,"",@progbits
; Kernel info:
; codeLenInByte = 2812
; NumSgprs: 36
; NumVgprs: 35
; NumAgprs: 0
; TotalNumVgprs: 35
; ScratchSize: 0
; MemoryBound: 0
; FloatMode: 240
; IeeeMode: 1
; LDSByteSize: 32 bytes/workgroup (compile time only)
; SGPRBlocks: 4
; VGPRBlocks: 4
; NumSGPRsForWavesPerEU: 36
; NumVGPRsForWavesPerEU: 35
; AccumOffset: 36
; Occupancy: 8
; WaveLimiterHint : 0
; COMPUTE_PGM_RSRC2:SCRATCH_EN: 0
; COMPUTE_PGM_RSRC2:USER_SGPR: 6
; COMPUTE_PGM_RSRC2:TRAP_HANDLER: 0
; COMPUTE_PGM_RSRC2:TGID_X_EN: 1
; COMPUTE_PGM_RSRC2:TGID_Y_EN: 1
; COMPUTE_PGM_RSRC2:TGID_Z_EN: 0
; COMPUTE_PGM_RSRC2:TIDIG_COMP_CNT: 0
; COMPUTE_PGM_RSRC3_GFX90A:ACCUM_OFFSET: 8
; COMPUTE_PGM_RSRC3_GFX90A:TG_SPLIT: 0
	.section	.text._ZN5aiter35fused_qk_rmsnorm_group_quant_kernelIDF16_DB8_Li256ELi16ELi4ELb1ELb1ELb1ELb0ELb0ELb0EEEvPT0_PvPT_S6_S6_PKS5_S8_S8_S8_S8_ffiiiiiiiiiiiii,"axG",@progbits,_ZN5aiter35fused_qk_rmsnorm_group_quant_kernelIDF16_DB8_Li256ELi16ELi4ELb1ELb1ELb1ELb0ELb0ELb0EEEvPT0_PvPT_S6_S6_PKS5_S8_S8_S8_S8_ffiiiiiiiiiiiii,comdat
	.protected	_ZN5aiter35fused_qk_rmsnorm_group_quant_kernelIDF16_DB8_Li256ELi16ELi4ELb1ELb1ELb1ELb0ELb0ELb0EEEvPT0_PvPT_S6_S6_PKS5_S8_S8_S8_S8_ffiiiiiiiiiiiii ; -- Begin function _ZN5aiter35fused_qk_rmsnorm_group_quant_kernelIDF16_DB8_Li256ELi16ELi4ELb1ELb1ELb1ELb0ELb0ELb0EEEvPT0_PvPT_S6_S6_PKS5_S8_S8_S8_S8_ffiiiiiiiiiiiii
	.globl	_ZN5aiter35fused_qk_rmsnorm_group_quant_kernelIDF16_DB8_Li256ELi16ELi4ELb1ELb1ELb1ELb0ELb0ELb0EEEvPT0_PvPT_S6_S6_PKS5_S8_S8_S8_S8_ffiiiiiiiiiiiii
	.p2align	8
	.type	_ZN5aiter35fused_qk_rmsnorm_group_quant_kernelIDF16_DB8_Li256ELi16ELi4ELb1ELb1ELb1ELb0ELb0ELb0EEEvPT0_PvPT_S6_S6_PKS5_S8_S8_S8_S8_ffiiiiiiiiiiiii,@function
_ZN5aiter35fused_qk_rmsnorm_group_quant_kernelIDF16_DB8_Li256ELi16ELi4ELb1ELb1ELb1ELb0ELb0ELb0EEEvPT0_PvPT_S6_S6_PKS5_S8_S8_S8_S8_ffiiiiiiiiiiiii: ; @_ZN5aiter35fused_qk_rmsnorm_group_quant_kernelIDF16_DB8_Li256ELi16ELi4ELb1ELb1ELb1ELb0ELb0ELb0EEEvPT0_PvPT_S6_S6_PKS5_S8_S8_S8_S8_ffiiiiiiiiiiiii
; %bb.0:
	s_load_dwordx8 s[20:27], s[4:5], 0x50
	s_waitcnt lgkmcnt(0)
	s_cmp_ge_i32 s6, s22
	s_cbranch_scc1 .LBB809_17
; %bb.1:
	s_cmp_lg_u32 s7, 0
	s_cselect_b64 s[10:11], -1, 0
	s_cmp_eq_u32 s7, 0
	s_cselect_b64 s[8:9], -1, 0
	s_and_b64 s[0:1], s[8:9], exec
	s_load_dwordx2 s[28:29], s[4:5], 0x48
	s_load_dwordx2 s[34:35], s[4:5], 0x30
	s_load_dwordx8 s[12:19], s[4:5], 0x70
	s_cselect_b32 s7, s23, s24
	s_add_i32 s0, s7, 1
	s_lshr_b32 s1, s0, 31
	s_add_i32 s0, s0, s1
	s_lshl_b32 s0, s0, 1
	v_lshlrev_b32_e32 v1, 4, v0
	s_and_b32 s38, s0, -4
	v_cmp_gt_i32_e64 s[0:1], s7, v1
	v_mov_b32_e32 v76, 0
	v_mov_b32_e32 v77, 0
	;; [unrolled: 1-line block ×16, first 2 shown]
	s_and_saveexec_b64 s[2:3], s[0:1]
	s_cbranch_execz .LBB809_3
; %bb.2:
	s_waitcnt lgkmcnt(0)
	s_load_dwordx2 s[18:19], s[4:5], 0x28
	s_load_dwordx2 s[30:31], s[4:5], 0x40
	s_and_b64 s[36:37], s[8:9], exec
	s_cselect_b32 s22, s25, s26
	s_mov_b32 s39, 0x20000
	s_waitcnt lgkmcnt(0)
	s_cselect_b32 s25, s19, s35
	s_cselect_b32 s33, s18, s34
	s_mul_hi_i32 s19, s22, s6
	s_mul_i32 s18, s22, s6
	s_lshl_b64 s[18:19], s[18:19], 1
	s_add_u32 s40, s33, s18
	s_addc_u32 s22, s25, s19
	s_and_b64 s[18:19], s[8:9], exec
	s_cselect_b32 s36, s30, s28
	s_cselect_b32 s18, s31, s29
	s_and_b32 s41, s22, 0xffff
	s_mov_b32 s42, s38
	s_mov_b32 s43, s39
	v_lshlrev_b32_e32 v2, 5, v0
	s_and_b32 s37, s18, 0xffff
	buffer_load_dwordx4 v[80:83], v2, s[40:43], 0 offen
	buffer_load_dwordx4 v[84:87], v2, s[40:43], 16 offen
	;; [unrolled: 1-line block ×4, first 2 shown]
.LBB809_3:
	s_or_b64 exec, exec, s[2:3]
	s_and_b64 vcc, exec, s[10:11]
	s_cbranch_vccz .LBB809_7
; %bb.4:
	v_mov_b32_e32 v89, 0
	v_mov_b32_e32 v88, 0
	;; [unrolled: 1-line block ×16, first 2 shown]
	s_and_saveexec_b64 s[2:3], s[0:1]
	s_cbranch_execz .LBB809_6
; %bb.5:
	s_waitcnt vmcnt(3)
	v_cvt_f32_f16_sdwa v49, v80 dst_sel:DWORD dst_unused:UNUSED_PAD src0_sel:WORD_1
	v_cvt_f32_f16_e32 v48, v80
	v_cvt_f32_f16_sdwa v35, v81 dst_sel:DWORD dst_unused:UNUSED_PAD src0_sel:WORD_1
	v_cvt_f32_f16_e32 v34, v81
	;; [unrolled: 2-line block ×4, first 2 shown]
	s_waitcnt vmcnt(2)
	v_cvt_f32_f16_sdwa v65, v84 dst_sel:DWORD dst_unused:UNUSED_PAD src0_sel:WORD_1
	v_cvt_f32_f16_e32 v64, v84
	v_cvt_f32_f16_sdwa v19, v85 dst_sel:DWORD dst_unused:UNUSED_PAD src0_sel:WORD_1
	v_cvt_f32_f16_e32 v18, v85
	;; [unrolled: 2-line block ×4, first 2 shown]
.LBB809_6:
	s_or_b64 exec, exec, s[2:3]
	s_cbranch_execz .LBB809_8
	s_branch .LBB809_11
.LBB809_7:
                                        ; implicit-def: $vgpr32_vgpr33_vgpr34_vgpr35_vgpr36_vgpr37_vgpr38_vgpr39_vgpr40_vgpr41_vgpr42_vgpr43_vgpr44_vgpr45_vgpr46_vgpr47
                                        ; implicit-def: $vgpr48_vgpr49_vgpr50_vgpr51_vgpr52_vgpr53_vgpr54_vgpr55_vgpr56_vgpr57_vgpr58_vgpr59_vgpr60_vgpr61_vgpr62_vgpr63
                                        ; implicit-def: $vgpr18_vgpr19_vgpr20_vgpr21_vgpr22_vgpr23_vgpr24_vgpr25_vgpr26_vgpr27_vgpr28_vgpr29_vgpr30_vgpr31_vgpr32_vgpr33
                                        ; implicit-def: $vgpr50_vgpr51_vgpr52_vgpr53_vgpr54_vgpr55_vgpr56_vgpr57_vgpr58_vgpr59_vgpr60_vgpr61_vgpr62_vgpr63_vgpr64_vgpr65
                                        ; implicit-def: $vgpr89
                                        ; implicit-def: $vgpr8_vgpr9_vgpr10_vgpr11_vgpr12_vgpr13_vgpr14_vgpr15_vgpr16_vgpr17_vgpr18_vgpr19_vgpr20_vgpr21_vgpr22_vgpr23
                                        ; implicit-def: $vgpr56_vgpr57_vgpr58_vgpr59_vgpr60_vgpr61_vgpr62_vgpr63_vgpr64_vgpr65_vgpr66_vgpr67_vgpr68_vgpr69_vgpr70_vgpr71
                                        ; implicit-def: $vgpr2_vgpr3_vgpr4_vgpr5_vgpr6_vgpr7_vgpr8_vgpr9_vgpr10_vgpr11_vgpr12_vgpr13_vgpr14_vgpr15_vgpr16_vgpr17
.LBB809_8:
	v_mov_b32_e32 v89, 0
	v_mov_b32_e32 v88, 0
	;; [unrolled: 1-line block ×16, first 2 shown]
	s_and_saveexec_b64 s[2:3], s[0:1]
	s_cbranch_execz .LBB809_10
; %bb.9:
	s_waitcnt lgkmcnt(0)
	s_load_dwordx2 s[18:19], s[4:5], 0x38
	s_mul_hi_i32 s31, s27, s6
	s_mul_i32 s30, s27, s6
	s_lshl_b64 s[30:31], s[30:31], 1
	s_mov_b32 s39, 0x20000
	s_waitcnt lgkmcnt(0)
	s_add_u32 s36, s18, s30
	s_addc_u32 s18, s19, s31
	s_and_b32 s37, s18, 0xffff
	v_lshlrev_b32_e32 v38, 5, v0
	buffer_load_dwordx4 v[6:9], v38, s[36:39], 16 offen
	buffer_load_dwordx4 v[10:13], v38, s[36:39], 0 offen
	s_waitcnt vmcnt(5)
	v_cvt_f32_f16_sdwa v23, v82 dst_sel:DWORD dst_unused:UNUSED_PAD src0_sel:WORD_1
	v_cvt_f32_f16_e32 v22, v82
	v_cvt_f32_f16_sdwa v25, v83 dst_sel:DWORD dst_unused:UNUSED_PAD src0_sel:WORD_1
	v_cvt_f32_f16_e32 v24, v83
	;; [unrolled: 2-line block ×4, first 2 shown]
	s_load_dwordx2 s[18:19], s[4:5], 0x20
	s_waitcnt vmcnt(4)
	v_cvt_f32_f16_sdwa v3, v84 dst_sel:DWORD dst_unused:UNUSED_PAD src0_sel:WORD_1
	v_cvt_f32_f16_e32 v2, v84
	v_cvt_f32_f16_sdwa v5, v85 dst_sel:DWORD dst_unused:UNUSED_PAD src0_sel:WORD_1
	v_cvt_f32_f16_e32 v4, v85
	;; [unrolled: 2-line block ×4, first 2 shown]
	s_mul_hi_i32 s31, s17, s6
	s_mul_i32 s30, s17, s6
	s_lshl_b64 s[30:31], s[30:31], 1
	s_waitcnt lgkmcnt(0)
	s_add_u32 s36, s18, s30
	s_addc_u32 s17, s19, s31
	s_and_b32 s37, s17, 0xffff
	s_waitcnt vmcnt(1)
	v_cvt_f32_f16_e32 v26, v6
	v_cvt_f32_f16_sdwa v27, v6 dst_sel:DWORD dst_unused:UNUSED_PAD src0_sel:WORD_1
	v_cvt_f32_f16_e32 v28, v7
	v_cvt_f32_f16_sdwa v29, v7 dst_sel:DWORD dst_unused:UNUSED_PAD src0_sel:WORD_1
	;; [unrolled: 2-line block ×4, first 2 shown]
	s_waitcnt vmcnt(0)
	v_cvt_f32_f16_e32 v6, v12
	v_cvt_f32_f16_sdwa v7, v12 dst_sel:DWORD dst_unused:UNUSED_PAD src0_sel:WORD_1
	v_cvt_f32_f16_e32 v8, v13
	v_cvt_f32_f16_sdwa v9, v13 dst_sel:DWORD dst_unused:UNUSED_PAD src0_sel:WORD_1
	v_cvt_f32_f16_e32 v36, v10
	v_cvt_f32_f16_sdwa v37, v10 dst_sel:DWORD dst_unused:UNUSED_PAD src0_sel:WORD_1
	v_cvt_f32_f16_e32 v10, v11
	v_cvt_f32_f16_sdwa v11, v11 dst_sel:DWORD dst_unused:UNUSED_PAD src0_sel:WORD_1
	v_pk_add_f32 v[54:55], v[22:23], v[6:7]
	v_pk_add_f32 v[24:25], v[24:25], v[8:9]
	v_cvt_f16_f32_e32 v6, v55
	v_cvt_f16_f32_e32 v7, v25
	;; [unrolled: 1-line block ×4, first 2 shown]
	v_pk_add_f32 v[34:35], v[20:21], v[10:11]
	v_pk_add_f32 v[48:49], v[18:19], v[36:37]
	v_pack_b32_f16 v9, v8, v7
	v_pack_b32_f16 v8, v12, v6
	v_cvt_f16_f32_e32 v6, v35
	v_cvt_f16_f32_e32 v7, v34
	;; [unrolled: 1-line block ×3, first 2 shown]
	v_pk_add_f32 v[88:89], v[16:17], v[32:33]
	v_pk_add_f32 v[14:15], v[14:15], v[30:31]
	v_pack_b32_f16 v7, v7, v6
	v_cvt_f16_f32_e32 v6, v49
	v_pk_add_f32 v[18:19], v[4:5], v[28:29]
	v_pk_add_f32 v[64:65], v[2:3], v[26:27]
	v_cvt_f16_f32_e32 v4, v18
	v_pack_b32_f16 v6, v10, v6
	buffer_store_dwordx4 v[6:9], v38, s[36:39], 0 offen
	v_cvt_f16_f32_e32 v5, v19
	v_cvt_f16_f32_e32 v6, v14
	;; [unrolled: 1-line block ×7, first 2 shown]
	v_pack_b32_f16 v7, v7, v8
	v_pack_b32_f16 v6, v6, v9
	v_pack_b32_f16 v5, v4, v5
	v_pack_b32_f16 v4, v2, v3
	;;#ASMSTART
	s_nop 0
	;;#ASMEND
	buffer_store_dwordx4 v[4:7], v38, s[36:39], 16 offen
	;;#ASMSTART
	s_nop 0
	;;#ASMEND
.LBB809_10:
	s_or_b64 exec, exec, s[2:3]
.LBB809_11:
	v_mul_f32_e32 v2, v49, v49
	v_fmac_f32_e32 v2, v48, v48
	v_fmac_f32_e32 v2, v34, v34
	;; [unrolled: 1-line block ×15, first 2 shown]
	s_nop 1
	v_mov_b32_dpp v3, v2 quad_perm:[1,0,3,2] row_mask:0xf bank_mask:0xf
	v_add_f32_e32 v2, v2, v3
	s_nop 1
	v_mov_b32_dpp v3, v2 quad_perm:[2,3,0,1] row_mask:0xf bank_mask:0xf
	v_add_f32_e32 v2, v2, v3
	s_nop 1
	v_mov_b32_dpp v3, v2 row_half_mirror row_mask:0xf bank_mask:0xf
	v_add_f32_e32 v2, v2, v3
	s_nop 1
	v_mov_b32_dpp v3, v2 row_mirror row_mask:0xf bank_mask:0xf
	v_add_f32_e32 v2, v2, v3
	s_nop 1
	v_mov_b32_dpp v3, v2 row_bcast:15 row_mask:0xf bank_mask:0xf
	v_add_f32_e32 v2, v2, v3
	v_and_b32_e32 v3, 63, v0
	v_cmp_eq_u32_e64 s[2:3], 63, v3
	s_nop 0
	v_mov_b32_dpp v3, v2 row_bcast:31 row_mask:0xf bank_mask:0xf
	s_waitcnt lgkmcnt(0)
	s_and_saveexec_b64 s[18:19], s[2:3]
	s_cbranch_execz .LBB809_13
; %bb.12:
	v_add_f32_e32 v2, v2, v3
	v_lshrrev_b32_e32 v3, 4, v0
	v_and_b32_e32 v3, 60, v3
	ds_write_b32 v3, v2 offset:16
.LBB809_13:
	s_or_b64 exec, exec, s[18:19]
	v_and_b32_e32 v2, 3, v0
	v_lshlrev_b32_e32 v36, 2, v2
	s_waitcnt lgkmcnt(0)
	s_barrier
	ds_read_b32 v3, v36 offset:16
	s_load_dwordx2 s[18:19], s[4:5], 0x18
	s_waitcnt lgkmcnt(0)
	v_mov_b32_dpp v4, v3 quad_perm:[1,0,3,2] row_mask:0xf bank_mask:0xf
	v_add_f32_e32 v3, v3, v4
	s_nop 1
	v_mov_b32_dpp v4, v3 quad_perm:[2,3,0,1] row_mask:0xf bank_mask:0xf
	s_and_saveexec_b64 s[30:31], s[0:1]
	s_cbranch_execnz .LBB809_18
; %bb.14:
	s_or_b64 exec, exec, s[30:31]
	s_mov_b64 s[8:9], -1
	s_and_b64 vcc, exec, s[10:11]
	s_cbranch_vccnz .LBB809_19
.LBB809_15:
	s_andn2_b64 vcc, exec, s[8:9]
	s_cbranch_vccz .LBB809_22
.LBB809_16:
	s_cmp_lt_i32 s24, 1
	s_cbranch_scc0 .LBB809_31
.LBB809_17:
	s_endpgm
.LBB809_18:
	v_add_f32_e32 v3, v3, v4
	v_cvt_f32_u32_e32 v4, s7
	s_mov_b32 s7, 0x800000
	s_waitcnt vmcnt(1)
	v_cvt_f32_f16_sdwa v21, v76 dst_sel:DWORD dst_unused:UNUSED_PAD src0_sel:WORD_1
	v_cvt_f32_f16_e32 v20, v76
	v_div_scale_f32 v5, s[36:37], v4, v4, v3
	v_rcp_f32_e32 v6, v5
	v_pk_add_f32 v[20:21], v[20:21], 1.0 op_sel_hi:[1,0]
	v_cvt_f32_f16_sdwa v23, v79 dst_sel:DWORD dst_unused:UNUSED_PAD src0_sel:WORD_1
	v_cvt_f32_f16_e32 v22, v79
	v_fma_f32 v7, -v5, v6, 1.0
	v_fmac_f32_e32 v6, v7, v6
	v_div_scale_f32 v7, vcc, v3, v4, v3
	v_mul_f32_e32 v8, v7, v6
	v_fma_f32 v9, -v5, v8, v7
	v_fmac_f32_e32 v8, v9, v6
	v_fma_f32 v5, -v5, v8, v7
	v_div_fmas_f32 v5, v5, v6, v8
	v_div_fixup_f32 v3, v5, v4, v3
	v_mov_b32_e32 v4, s21
	v_mov_b32_e32 v5, s20
	v_cndmask_b32_e64 v4, v4, v5, s[8:9]
	v_add_f32_e32 v3, v4, v3
	v_mul_f32_e32 v4, 0x4b800000, v3
	v_cmp_gt_f32_e32 vcc, s7, v3
	v_cndmask_b32_e32 v3, v3, v4, vcc
	v_rsq_f32_e32 v3, v3
	s_waitcnt vmcnt(0)
	v_cvt_f32_f16_sdwa v27, v75 dst_sel:DWORD dst_unused:UNUSED_PAD src0_sel:WORD_1
	v_cvt_f32_f16_e32 v26, v75
	v_mul_f32_e32 v4, 0x45800000, v3
	v_cndmask_b32_e32 v4, v3, v4, vcc
	v_mov_b32_e32 v5, v4
	;;#ASMSTART
	v_pk_mul_f32 v[6:7], v[48:49], v[4:5]
	;;#ASMEND
	;;#ASMSTART
	v_pk_mul_f32 v[8:9], v[34:35], v[4:5]
	;;#ASMEND
	;; [unrolled: 3-line block ×9, first 2 shown]
	v_cvt_f32_f16_sdwa v7, v77 dst_sel:DWORD dst_unused:UNUSED_PAD src0_sel:WORD_1
	v_cvt_f32_f16_e32 v6, v77
	v_cvt_f32_f16_sdwa v21, v78 dst_sel:DWORD dst_unused:UNUSED_PAD src0_sel:WORD_1
	v_cvt_f32_f16_e32 v20, v78
	v_cvt_f32_f16_sdwa v25, v74 dst_sel:DWORD dst_unused:UNUSED_PAD src0_sel:WORD_1
	v_pk_add_f32 v[6:7], v[6:7], 1.0 op_sel_hi:[1,0]
	;;#ASMSTART
	v_pk_mul_f32 v[34:35], v[8:9], v[6:7]
	;;#ASMEND
	v_pk_add_f32 v[6:7], v[20:21], 1.0 op_sel_hi:[1,0]
	v_pk_add_f32 v[8:9], v[22:23], 1.0 op_sel_hi:[1,0]
	v_cvt_f32_f16_sdwa v21, v72 dst_sel:DWORD dst_unused:UNUSED_PAD src0_sel:WORD_1
	v_cvt_f32_f16_e32 v20, v72
	v_cvt_f32_f16_sdwa v23, v73 dst_sel:DWORD dst_unused:UNUSED_PAD src0_sel:WORD_1
	v_cvt_f32_f16_e32 v22, v73
	v_cvt_f32_f16_e32 v24, v74
	v_pk_add_f32 v[20:21], v[20:21], 1.0 op_sel_hi:[1,0]
	v_pk_add_f32 v[26:27], v[26:27], 1.0 op_sel_hi:[1,0]
	;; [unrolled: 1-line block ×4, first 2 shown]
	;;#ASMSTART
	v_pk_mul_f32 v[54:55], v[10:11], v[6:7]
	;;#ASMEND
	;;#ASMSTART
	v_pk_mul_f32 v[24:25], v[12:13], v[8:9]
	;;#ASMEND
	;;#ASMSTART
	v_pk_mul_f32 v[64:65], v[16:17], v[20:21]
	;;#ASMEND
	;;#ASMSTART
	v_pk_mul_f32 v[18:19], v[18:19], v[22:23]
	;;#ASMEND
	;;#ASMSTART
	v_pk_mul_f32 v[14:15], v[14:15], v[28:29]
	;;#ASMEND
	;;#ASMSTART
	v_pk_mul_f32 v[88:89], v[4:5], v[26:27]
	;;#ASMEND
	s_or_b64 exec, exec, s[30:31]
	s_mov_b64 s[8:9], -1
	s_and_b64 vcc, exec, s[10:11]
	s_cbranch_vccz .LBB809_15
.LBB809_19:
	s_and_saveexec_b64 s[8:9], s[0:1]
	s_cbranch_execz .LBB809_21
; %bb.20:
	v_cvt_f16_f32_e32 v3, v54
	v_cvt_f16_f32_e32 v4, v24
	;; [unrolled: 1-line block ×4, first 2 shown]
	s_mul_hi_i32 s11, s16, s6
	s_mul_i32 s10, s16, s6
	v_pack_b32_f16 v7, v4, v5
	v_pack_b32_f16 v6, v3, v6
	v_cvt_f16_f32_e32 v3, v34
	v_cvt_f16_f32_e32 v4, v35
	s_lshl_b64 s[10:11], s[10:11], 1
	s_add_u32 s36, s18, s10
	s_addc_u32 s7, s19, s11
	v_pack_b32_f16 v5, v3, v4
	v_cvt_f16_f32_e32 v3, v48
	v_cvt_f16_f32_e32 v4, v49
	s_and_b32 s37, s7, 0xffff
	s_mov_b32 s39, 0x20000
	v_cvt_f16_f32_e32 v8, v15
	v_pack_b32_f16 v4, v3, v4
	v_lshlrev_b32_e32 v3, 5, v0
	buffer_store_dwordx4 v[4:7], v3, s[36:39], 0 offen
	;;#ASMSTART
	s_nop 0
	;;#ASMEND
	s_nop 0
	v_cvt_f16_f32_e32 v4, v14
	v_cvt_f16_f32_e32 v5, v88
	;; [unrolled: 1-line block ×3, first 2 shown]
	v_pack_b32_f16 v7, v5, v6
	v_pack_b32_f16 v6, v4, v8
	v_cvt_f16_f32_e32 v4, v18
	v_cvt_f16_f32_e32 v5, v19
	;; [unrolled: 1-line block ×3, first 2 shown]
	v_pack_b32_f16 v5, v4, v5
	v_cvt_f16_f32_e32 v4, v64
	v_pack_b32_f16 v4, v4, v8
	buffer_store_dwordx4 v[4:7], v3, s[36:39], 16 offen
	;;#ASMSTART
	s_nop 0
	;;#ASMEND
.LBB809_21:
	s_or_b64 exec, exec, s[8:9]
	s_cbranch_execnz .LBB809_16
.LBB809_22:
	v_mov_b32_e32 v3, 0
	s_and_saveexec_b64 s[8:9], s[0:1]
	s_cbranch_execz .LBB809_24
; %bb.23:
	v_cvt_f16_f32_e32 v3, v54
	v_cvt_f16_f32_e32 v4, v24
	;; [unrolled: 1-line block ×4, first 2 shown]
	s_load_dwordx2 s[10:11], s[4:5], 0x10
	s_mul_hi_i32 s31, s15, s6
	v_pack_b32_f16 v7, v4, v5
	v_pack_b32_f16 v6, v3, v6
	v_cvt_f16_f32_e32 v3, v34
	v_cvt_f16_f32_e32 v4, v35
	s_mul_i32 s30, s15, s6
	s_lshl_b64 s[30:31], s[30:31], 1
	s_waitcnt lgkmcnt(0)
	s_add_u32 s36, s10, s30
	v_pack_b32_f16 v5, v3, v4
	v_cvt_f16_f32_e32 v3, v48
	v_cvt_f16_f32_e32 v4, v49
	s_addc_u32 s7, s11, s31
	s_and_b32 s37, s7, 0xffff
	s_mov_b32 s39, 0x20000
	v_pack_b32_f16 v4, v3, v4
	v_lshlrev_b32_e32 v3, 5, v0
	buffer_store_dwordx4 v[4:7], v3, s[36:39], 0 offen
	v_cvt_f16_f32_e32 v8, v15
	v_cvt_f16_f32_e32 v4, v14
	v_cvt_f16_f32_e32 v5, v88
	v_cvt_f16_f32_e32 v6, v89
	;;#ASMSTART
	s_nop 0
	;;#ASMEND
	v_pack_b32_f16 v7, v5, v6
	v_pack_b32_f16 v6, v4, v8
	v_cvt_f16_f32_e32 v4, v18
	v_cvt_f16_f32_e32 v5, v19
	v_cvt_f16_f32_e32 v8, v65
	v_pack_b32_f16 v5, v4, v5
	v_cvt_f16_f32_e32 v4, v64
	v_pack_b32_f16 v4, v4, v8
	buffer_store_dwordx4 v[4:7], v3, s[36:39], 16 offen
	v_mov_b32_e32 v3, 0x2edbe6ff
	;;#ASMSTART
	s_nop 0
	;;#ASMEND
.LBB809_24:
	s_or_b64 exec, exec, s[8:9]
	s_and_saveexec_b64 s[8:9], s[0:1]
	s_cbranch_execz .LBB809_26
; %bb.25:
	v_and_b32_e32 v4, 0x7fffffff, v48
	v_and_b32_e32 v5, 0x7fffffff, v49
	;;#ASMSTART
	v_max3_f32 v3, v3, v4, v5

	;;#ASMEND
	v_and_b32_e32 v4, 0x7fffffff, v34
	v_and_b32_e32 v5, 0x7fffffff, v35
	;;#ASMSTART
	v_max3_f32 v3, v3, v4, v5

	;;#ASMEND
	;; [unrolled: 6-line block ×8, first 2 shown]
.LBB809_26:
	s_or_b64 exec, exec, s[8:9]
	;;#ASMSTART
	v_max_f32 v4, v3, v3 quad_perm:[1,0,3,2] row_mask:0xf bank_mask:0xf bound_ctrl:1
	;;#ASMEND
	;;#ASMSTART
	v_max_f32 v3, v4, v4 quad_perm:[2,3,0,1] row_mask:0xf bank_mask:0xf bound_ctrl:1
	;;#ASMEND
	v_cmp_eq_u32_e32 vcc, 0, v2
	v_cmp_gt_i32_e64 s[8:9], s23, v1
	v_mul_f32_e32 v3, 0x3b124925, v3
	s_and_b64 s[10:11], vcc, s[8:9]
	s_and_saveexec_b64 s[8:9], s[10:11]
	s_cbranch_execz .LBB809_28
; %bb.27:
	s_load_dwordx2 s[10:11], s[4:5], 0x8
	v_lshrrev_b32_e32 v2, 2, v0
	s_mul_hi_i32 s31, s13, s6
	s_mul_i32 s30, s13, s6
	v_mad_i64_i32 v[4:5], s[14:15], s14, v2, 0
	s_lshl_b64 s[14:15], s[30:31], 2
	s_waitcnt lgkmcnt(0)
	s_add_u32 s7, s10, s14
	s_addc_u32 s10, s11, s15
	v_lshlrev_b64 v[4:5], 2, v[4:5]
	v_mov_b32_e32 v2, s10
	v_add_co_u32_e32 v4, vcc, s7, v4
	v_addc_co_u32_e32 v5, vcc, v2, v5, vcc
	global_store_dword v[4:5], v3, off
.LBB809_28:
	s_or_b64 exec, exec, s[8:9]
	;;#ASMSTART
	v_rcp_f32 v2, v3
	;;#ASMEND
	s_and_saveexec_b64 s[14:15], s[0:1]
	s_cbranch_execz .LBB809_30
; %bb.29:
	v_mov_b32_e32 v3, v2
	;;#ASMSTART
	v_pk_mul_f32 v[4:5], v[48:49], v[2:3]
	;;#ASMEND
	v_mov_b32_e32 v10, 0xc3e00000
	v_mov_b32_e32 v11, 0x43e00000
	;;#ASMSTART
	v_med3_f32 v4, v4, v10, v11
v_med3_f32 v5, v5, v10, v11
v_cvt_pk_fp8_f32 v6, v4, v5
	;;#ASMEND
	;;#ASMSTART
	v_pk_mul_f32 v[4:5], v[34:35], v[2:3]
	;;#ASMEND
	;;#ASMSTART
	v_med3_f32 v4, v4, v10, v11
v_med3_f32 v5, v5, v10, v11
v_cvt_pk_fp8_f32 v7, v4, v5
	;;#ASMEND
	;;#ASMSTART
	v_pk_mul_f32 v[4:5], v[54:55], v[2:3]
	;;#ASMEND
	;; [unrolled: 8-line block ×3, first 2 shown]
	;;#ASMSTART
	v_med3_f32 v4, v4, v10, v11
v_med3_f32 v5, v5, v10, v11
v_cvt_pk_fp8_f32 v9, v4, v5
	;;#ASMEND
	s_mov_b32 s0, 0x5040100
	v_perm_b32 v4, v7, v6, s0
	s_mov_b32 s0, 0x1060504
	v_perm_b32 v4, v4, v7, s0
	s_load_dwordx2 s[0:1], s[4:5], 0x0
	s_mov_b32 s7, 0x1000504
	;;#ASMSTART
	v_pk_mul_f32 v[6:7], v[64:65], v[2:3]
	;;#ASMEND
	v_perm_b32 v5, v8, v9, s7
	s_mul_i32 s8, s12, s6
	;;#ASMSTART
	v_med3_f32 v6, v6, v10, v11
v_med3_f32 v7, v7, v10, v11
v_cvt_pk_fp8_f32 v8, v6, v7
	;;#ASMEND
	s_mul_hi_i32 s9, s12, s6
	s_waitcnt lgkmcnt(0)
	s_add_u32 s8, s0, s8
	;;#ASMSTART
	v_pk_mul_f32 v[6:7], v[18:19], v[2:3]
	;;#ASMEND
	s_addc_u32 s0, s1, s9
	s_add_i32 s1, s23, 3
	;;#ASMSTART
	v_med3_f32 v6, v6, v10, v11
v_med3_f32 v7, v7, v10, v11
v_cvt_pk_fp8_f32 v9, v6, v7
	;;#ASMEND
	s_ashr_i32 s9, s1, 31
	v_perm_b32 v6, v8, v9, s7
	;;#ASMSTART
	v_pk_mul_f32 v[8:9], v[14:15], v[2:3]
	;;#ASMEND
	v_mov_b32_e32 v7, v8
	s_lshr_b32 s9, s9, 30
	;;#ASMSTART
	v_med3_f32 v7, v7, v10, v11
v_med3_f32 v9, v9, v10, v11
v_cvt_pk_fp8_f32 v8, v7, v9
	;;#ASMEND
	;;#ASMSTART
	v_pk_mul_f32 v[2:3], v[88:89], v[2:3]
	;;#ASMEND
	s_add_i32 s1, s1, s9
	;;#ASMSTART
	v_med3_f32 v2, v2, v10, v11
v_med3_f32 v3, v3, v10, v11
v_cvt_pk_fp8_f32 v7, v2, v3
	;;#ASMEND
	s_and_b32 s10, s1, -4
	s_and_b32 s9, s0, 0xffff
	s_mov_b32 s11, 0x20000
	v_perm_b32 v7, v8, v7, s7
	buffer_store_dwordx4 v[4:7], v1, s[8:11], 0 offen
	;;#ASMSTART
	s_nop 0
	;;#ASMEND
.LBB809_30:
	s_or_b64 exec, exec, s[14:15]
	s_cmp_lt_i32 s24, 1
	s_cbranch_scc1 .LBB809_17
.LBB809_31:
	s_load_dword s0, s[4:5], 0x94
	s_waitcnt lgkmcnt(0)
	s_cmp_lg_u32 s0, 1
	s_cbranch_scc1 .LBB809_17
; %bb.32:
	s_lshl_b32 s0, s24, 1
	s_add_i32 s0, s0, 2
	v_cmp_gt_u32_e32 vcc, s24, v1
	s_and_b32 s30, s0, -4
	v_mov_b32_e32 v18, 0
	v_lshlrev_b32_e32 v1, 5, v0
	v_mov_b32_e32 v14, 0
	v_mov_b32_e32 v15, 0
	;; [unrolled: 1-line block ×16, first 2 shown]
	s_barrier
	s_and_saveexec_b64 s[0:1], vcc
	s_cbranch_execz .LBB809_34
; %bb.33:
	s_mul_hi_i32 s5, s26, s6
	s_mul_i32 s4, s26, s6
	s_and_b32 s29, s29, 0xffff
	s_lshl_b64 s[4:5], s[4:5], 1
	s_add_u32 s8, s34, s4
	s_mov_b32 s31, 0x20000
	s_addc_u32 s4, s35, s5
	s_and_b32 s9, s4, 0xffff
	s_mov_b32 s10, s30
	s_mov_b32 s11, s31
	buffer_load_dwordx4 v[14:17], v1, s[8:11], 0 offen
	buffer_load_dwordx4 v[10:13], v1, s[8:11], 16 offen
	;; [unrolled: 1-line block ×4, first 2 shown]
.LBB809_34:
	s_or_b64 exec, exec, s[0:1]
	v_mov_b32_e32 v19, 0
	v_mov_b32_e32 v32, 0
	;; [unrolled: 1-line block ×15, first 2 shown]
	s_and_saveexec_b64 s[0:1], vcc
	s_cbranch_execz .LBB809_36
; %bb.35:
	s_waitcnt vmcnt(3)
	v_cvt_f32_f16_sdwa v19, v14 dst_sel:DWORD dst_unused:UNUSED_PAD src0_sel:WORD_1
	v_cvt_f32_f16_e32 v18, v14
	v_cvt_f32_f16_sdwa v33, v15 dst_sel:DWORD dst_unused:UNUSED_PAD src0_sel:WORD_1
	v_cvt_f32_f16_e32 v32, v15
	;; [unrolled: 2-line block ×4, first 2 shown]
	s_waitcnt vmcnt(2)
	v_cvt_f32_f16_sdwa v27, v10 dst_sel:DWORD dst_unused:UNUSED_PAD src0_sel:WORD_1
	v_cvt_f32_f16_e32 v26, v10
	v_cvt_f32_f16_sdwa v25, v11 dst_sel:DWORD dst_unused:UNUSED_PAD src0_sel:WORD_1
	v_cvt_f32_f16_e32 v24, v11
	;; [unrolled: 2-line block ×4, first 2 shown]
.LBB809_36:
	s_or_b64 exec, exec, s[0:1]
	s_waitcnt vmcnt(2)
	v_mul_f32_e32 v10, v19, v19
	v_fmac_f32_e32 v10, v18, v18
	v_fmac_f32_e32 v10, v32, v32
	;; [unrolled: 1-line block ×15, first 2 shown]
	s_nop 1
	v_mov_b32_dpp v11, v10 quad_perm:[1,0,3,2] row_mask:0xf bank_mask:0xf
	v_add_f32_e32 v10, v10, v11
	s_nop 1
	v_mov_b32_dpp v11, v10 quad_perm:[2,3,0,1] row_mask:0xf bank_mask:0xf
	v_add_f32_e32 v10, v10, v11
	s_nop 1
	v_mov_b32_dpp v11, v10 row_half_mirror row_mask:0xf bank_mask:0xf
	v_add_f32_e32 v10, v10, v11
	s_nop 1
	v_mov_b32_dpp v11, v10 row_mirror row_mask:0xf bank_mask:0xf
	v_add_f32_e32 v10, v10, v11
	s_nop 1
	v_mov_b32_dpp v11, v10 row_bcast:15 row_mask:0xf bank_mask:0xf
	v_add_f32_e32 v10, v10, v11
	s_nop 1
	v_mov_b32_dpp v11, v10 row_bcast:31 row_mask:0xf bank_mask:0xf
	s_and_saveexec_b64 s[0:1], s[2:3]
	s_cbranch_execz .LBB809_38
; %bb.37:
	v_lshrrev_b32_e32 v0, 4, v0
	v_add_f32_e32 v10, v10, v11
	v_and_b32_e32 v0, 60, v0
	ds_write_b32 v0, v10
.LBB809_38:
	s_or_b64 exec, exec, s[0:1]
	s_waitcnt lgkmcnt(0)
	s_barrier
	ds_read_b32 v0, v36
	s_waitcnt lgkmcnt(0)
	s_nop 0
	v_mov_b32_dpp v10, v0 quad_perm:[1,0,3,2] row_mask:0xf bank_mask:0xf
	v_add_f32_e32 v0, v0, v10
	s_nop 1
	v_mov_b32_dpp v10, v0 quad_perm:[2,3,0,1] row_mask:0xf bank_mask:0xf
	s_and_saveexec_b64 s[0:1], vcc
	s_cbranch_execz .LBB809_17
; %bb.39:
	v_cvt_f32_u32_e32 v11, s24
	v_add_f32_e32 v0, v0, v10
	s_mov_b32 s31, 0x20000
	v_div_scale_f32 v10, s[0:1], v11, v11, v0
	v_rcp_f32_e32 v12, v10
	v_div_scale_f32 v13, vcc, v0, v11, v0
	s_mov_b32 s0, 0x800000
	v_fma_f32 v14, -v10, v12, 1.0
	v_fmac_f32_e32 v12, v14, v12
	v_mul_f32_e32 v14, v13, v12
	v_fma_f32 v15, -v10, v14, v13
	v_fmac_f32_e32 v14, v15, v12
	v_fma_f32 v10, -v10, v14, v13
	v_div_fmas_f32 v10, v10, v12, v14
	v_div_fixup_f32 v0, v10, v11, v0
	v_add_f32_e32 v0, s21, v0
	v_mul_f32_e32 v10, 0x4b800000, v0
	v_cmp_gt_f32_e32 vcc, s0, v0
	v_cndmask_b32_e32 v0, v0, v10, vcc
	v_rsq_f32_e32 v0, v0
	s_mul_hi_i32 s1, s16, s6
	s_mul_i32 s0, s16, s6
	s_lshl_b64 s[0:1], s[0:1], 1
	v_mul_f32_e32 v10, 0x45800000, v0
	v_cndmask_b32_e32 v10, v0, v10, vcc
	v_mov_b32_e32 v11, v10
	;;#ASMSTART
	v_pk_mul_f32 v[12:13], v[18:19], v[10:11]
	;;#ASMEND
	;;#ASMSTART
	v_pk_mul_f32 v[14:15], v[32:33], v[10:11]
	;;#ASMEND
	;; [unrolled: 3-line block ×4, first 2 shown]
	s_waitcnt vmcnt(1)
	v_cvt_f32_f16_sdwa v29, v6 dst_sel:DWORD dst_unused:UNUSED_PAD src0_sel:WORD_1
	v_cvt_f32_f16_e32 v28, v6
	v_cvt_f32_f16_sdwa v31, v7 dst_sel:DWORD dst_unused:UNUSED_PAD src0_sel:WORD_1
	v_cvt_f32_f16_e32 v30, v7
	;;#ASMSTART
	v_pk_mul_f32 v[26:27], v[26:27], v[10:11]
	;;#ASMEND
	;;#ASMSTART
	v_pk_mul_f32 v[24:25], v[24:25], v[10:11]
	;;#ASMEND
	;; [unrolled: 3-line block ×4, first 2 shown]
	v_cvt_f32_f16_sdwa v21, v8 dst_sel:DWORD dst_unused:UNUSED_PAD src0_sel:WORD_1
	v_cvt_f32_f16_e32 v20, v8
	v_pk_add_f32 v[10:11], v[28:29], 1.0 op_sel_hi:[1,0]
	;;#ASMSTART
	v_pk_mul_f32 v[10:11], v[12:13], v[10:11]
	;;#ASMEND
	v_pk_add_f32 v[12:13], v[30:31], 1.0 op_sel_hi:[1,0]
	v_cvt_f32_f16_sdwa v29, v9 dst_sel:DWORD dst_unused:UNUSED_PAD src0_sel:WORD_1
	v_cvt_f32_f16_e32 v28, v9
	;;#ASMSTART
	v_pk_mul_f32 v[8:9], v[14:15], v[12:13]
	;;#ASMEND
	v_pk_add_f32 v[12:13], v[20:21], 1.0 op_sel_hi:[1,0]
	;;#ASMSTART
	v_pk_mul_f32 v[12:13], v[16:17], v[12:13]
	;;#ASMEND
	s_waitcnt vmcnt(0)
	v_cvt_f32_f16_sdwa v17, v2 dst_sel:DWORD dst_unused:UNUSED_PAD src0_sel:WORD_1
	v_cvt_f32_f16_e32 v16, v2
	v_cvt_f32_f16_sdwa v21, v3 dst_sel:DWORD dst_unused:UNUSED_PAD src0_sel:WORD_1
	v_cvt_f32_f16_e32 v20, v3
	v_pk_add_f32 v[14:15], v[28:29], 1.0 op_sel_hi:[1,0]
	;;#ASMSTART
	v_pk_mul_f32 v[2:3], v[18:19], v[14:15]
	;;#ASMEND
	v_cvt_f32_f16_sdwa v19, v4 dst_sel:DWORD dst_unused:UNUSED_PAD src0_sel:WORD_1
	v_cvt_f32_f16_e32 v18, v4
	v_pk_add_f32 v[14:15], v[16:17], 1.0 op_sel_hi:[1,0]
	v_pk_add_f32 v[16:17], v[20:21], 1.0 op_sel_hi:[1,0]
	v_cvt_f32_f16_sdwa v21, v5 dst_sel:DWORD dst_unused:UNUSED_PAD src0_sel:WORD_1
	v_cvt_f32_f16_e32 v20, v5
	v_pk_add_f32 v[4:5], v[18:19], 1.0 op_sel_hi:[1,0]
	;;#ASMSTART
	v_pk_mul_f32 v[14:15], v[26:27], v[14:15]
	;;#ASMEND
	;;#ASMSTART
	v_pk_mul_f32 v[16:17], v[24:25], v[16:17]
	;;#ASMEND
	;;#ASMSTART
	v_pk_mul_f32 v[18:19], v[22:23], v[4:5]
	;;#ASMEND
	v_pk_add_f32 v[4:5], v[20:21], 1.0 op_sel_hi:[1,0]
	;;#ASMSTART
	v_pk_mul_f32 v[6:7], v[6:7], v[4:5]
	;;#ASMEND
	v_cvt_f16_f32_e32 v0, v10
	v_cvt_f16_f32_e32 v4, v11
	;; [unrolled: 1-line block ×8, first 2 shown]
	s_add_u32 s28, s18, s0
	s_addc_u32 s0, s19, s1
	s_and_b32 s29, s0, 0xffff
	v_pack_b32_f16 v2, v0, v4
	v_pack_b32_f16 v3, v5, v8
	;; [unrolled: 1-line block ×4, first 2 shown]
	buffer_store_dwordx4 v[2:5], v1, s[28:31], 0 offen
	v_cvt_f16_f32_e32 v0, v14
	v_cvt_f16_f32_e32 v2, v15
	;; [unrolled: 1-line block ×8, first 2 shown]
	v_pack_b32_f16 v2, v0, v2
	v_pack_b32_f16 v3, v3, v4
	;; [unrolled: 1-line block ×4, first 2 shown]
	;;#ASMSTART
	s_nop 0
	;;#ASMEND
	buffer_store_dwordx4 v[2:5], v1, s[28:31], 16 offen
	;;#ASMSTART
	s_nop 0
	;;#ASMEND
	s_endpgm
	.section	.rodata,"a",@progbits
	.p2align	6, 0x0
	.amdhsa_kernel _ZN5aiter35fused_qk_rmsnorm_group_quant_kernelIDF16_DB8_Li256ELi16ELi4ELb1ELb1ELb1ELb0ELb0ELb0EEEvPT0_PvPT_S6_S6_PKS5_S8_S8_S8_S8_ffiiiiiiiiiiiii
		.amdhsa_group_segment_fixed_size 32
		.amdhsa_private_segment_fixed_size 0
		.amdhsa_kernarg_size 400
		.amdhsa_user_sgpr_count 6
		.amdhsa_user_sgpr_private_segment_buffer 1
		.amdhsa_user_sgpr_dispatch_ptr 0
		.amdhsa_user_sgpr_queue_ptr 0
		.amdhsa_user_sgpr_kernarg_segment_ptr 1
		.amdhsa_user_sgpr_dispatch_id 0
		.amdhsa_user_sgpr_flat_scratch_init 0
		.amdhsa_user_sgpr_kernarg_preload_length 0
		.amdhsa_user_sgpr_kernarg_preload_offset 0
		.amdhsa_user_sgpr_private_segment_size 0
		.amdhsa_uses_dynamic_stack 0
		.amdhsa_system_sgpr_private_segment_wavefront_offset 0
		.amdhsa_system_sgpr_workgroup_id_x 1
		.amdhsa_system_sgpr_workgroup_id_y 1
		.amdhsa_system_sgpr_workgroup_id_z 0
		.amdhsa_system_sgpr_workgroup_info 0
		.amdhsa_system_vgpr_workitem_id 0
		.amdhsa_next_free_vgpr 90
		.amdhsa_next_free_sgpr 44
		.amdhsa_accum_offset 92
		.amdhsa_reserve_vcc 1
		.amdhsa_reserve_flat_scratch 0
		.amdhsa_float_round_mode_32 0
		.amdhsa_float_round_mode_16_64 0
		.amdhsa_float_denorm_mode_32 3
		.amdhsa_float_denorm_mode_16_64 3
		.amdhsa_dx10_clamp 1
		.amdhsa_ieee_mode 1
		.amdhsa_fp16_overflow 0
		.amdhsa_tg_split 0
		.amdhsa_exception_fp_ieee_invalid_op 0
		.amdhsa_exception_fp_denorm_src 0
		.amdhsa_exception_fp_ieee_div_zero 0
		.amdhsa_exception_fp_ieee_overflow 0
		.amdhsa_exception_fp_ieee_underflow 0
		.amdhsa_exception_fp_ieee_inexact 0
		.amdhsa_exception_int_div_zero 0
	.end_amdhsa_kernel
	.section	.text._ZN5aiter35fused_qk_rmsnorm_group_quant_kernelIDF16_DB8_Li256ELi16ELi4ELb1ELb1ELb1ELb0ELb0ELb0EEEvPT0_PvPT_S6_S6_PKS5_S8_S8_S8_S8_ffiiiiiiiiiiiii,"axG",@progbits,_ZN5aiter35fused_qk_rmsnorm_group_quant_kernelIDF16_DB8_Li256ELi16ELi4ELb1ELb1ELb1ELb0ELb0ELb0EEEvPT0_PvPT_S6_S6_PKS5_S8_S8_S8_S8_ffiiiiiiiiiiiii,comdat
.Lfunc_end809:
	.size	_ZN5aiter35fused_qk_rmsnorm_group_quant_kernelIDF16_DB8_Li256ELi16ELi4ELb1ELb1ELb1ELb0ELb0ELb0EEEvPT0_PvPT_S6_S6_PKS5_S8_S8_S8_S8_ffiiiiiiiiiiiii, .Lfunc_end809-_ZN5aiter35fused_qk_rmsnorm_group_quant_kernelIDF16_DB8_Li256ELi16ELi4ELb1ELb1ELb1ELb0ELb0ELb0EEEvPT0_PvPT_S6_S6_PKS5_S8_S8_S8_S8_ffiiiiiiiiiiiii
                                        ; -- End function
	.section	.AMDGPU.csdata,"",@progbits
; Kernel info:
; codeLenInByte = 4388
; NumSgprs: 48
; NumVgprs: 90
; NumAgprs: 0
; TotalNumVgprs: 90
; ScratchSize: 0
; MemoryBound: 0
; FloatMode: 240
; IeeeMode: 1
; LDSByteSize: 32 bytes/workgroup (compile time only)
; SGPRBlocks: 5
; VGPRBlocks: 11
; NumSGPRsForWavesPerEU: 48
; NumVGPRsForWavesPerEU: 90
; AccumOffset: 92
; Occupancy: 5
; WaveLimiterHint : 0
; COMPUTE_PGM_RSRC2:SCRATCH_EN: 0
; COMPUTE_PGM_RSRC2:USER_SGPR: 6
; COMPUTE_PGM_RSRC2:TRAP_HANDLER: 0
; COMPUTE_PGM_RSRC2:TGID_X_EN: 1
; COMPUTE_PGM_RSRC2:TGID_Y_EN: 1
; COMPUTE_PGM_RSRC2:TGID_Z_EN: 0
; COMPUTE_PGM_RSRC2:TIDIG_COMP_CNT: 0
; COMPUTE_PGM_RSRC3_GFX90A:ACCUM_OFFSET: 22
; COMPUTE_PGM_RSRC3_GFX90A:TG_SPLIT: 0
	.section	.text._ZN5aiter35fused_qk_rmsnorm_group_quant_kernelItDB8_Li256ELi16ELi4ELb1ELb1ELb1ELb0ELb0ELb0EEEvPT0_PvPT_S6_S6_PKS5_S8_S8_S8_S8_ffiiiiiiiiiiiii,"axG",@progbits,_ZN5aiter35fused_qk_rmsnorm_group_quant_kernelItDB8_Li256ELi16ELi4ELb1ELb1ELb1ELb0ELb0ELb0EEEvPT0_PvPT_S6_S6_PKS5_S8_S8_S8_S8_ffiiiiiiiiiiiii,comdat
	.protected	_ZN5aiter35fused_qk_rmsnorm_group_quant_kernelItDB8_Li256ELi16ELi4ELb1ELb1ELb1ELb0ELb0ELb0EEEvPT0_PvPT_S6_S6_PKS5_S8_S8_S8_S8_ffiiiiiiiiiiiii ; -- Begin function _ZN5aiter35fused_qk_rmsnorm_group_quant_kernelItDB8_Li256ELi16ELi4ELb1ELb1ELb1ELb0ELb0ELb0EEEvPT0_PvPT_S6_S6_PKS5_S8_S8_S8_S8_ffiiiiiiiiiiiii
	.globl	_ZN5aiter35fused_qk_rmsnorm_group_quant_kernelItDB8_Li256ELi16ELi4ELb1ELb1ELb1ELb0ELb0ELb0EEEvPT0_PvPT_S6_S6_PKS5_S8_S8_S8_S8_ffiiiiiiiiiiiii
	.p2align	8
	.type	_ZN5aiter35fused_qk_rmsnorm_group_quant_kernelItDB8_Li256ELi16ELi4ELb1ELb1ELb1ELb0ELb0ELb0EEEvPT0_PvPT_S6_S6_PKS5_S8_S8_S8_S8_ffiiiiiiiiiiiii,@function
_ZN5aiter35fused_qk_rmsnorm_group_quant_kernelItDB8_Li256ELi16ELi4ELb1ELb1ELb1ELb0ELb0ELb0EEEvPT0_PvPT_S6_S6_PKS5_S8_S8_S8_S8_ffiiiiiiiiiiiii: ; @_ZN5aiter35fused_qk_rmsnorm_group_quant_kernelItDB8_Li256ELi16ELi4ELb1ELb1ELb1ELb0ELb0ELb0EEEvPT0_PvPT_S6_S6_PKS5_S8_S8_S8_S8_ffiiiiiiiiiiiii
; %bb.0:
	s_load_dwordx8 s[20:27], s[4:5], 0x50
	s_waitcnt lgkmcnt(0)
	s_cmp_ge_i32 s6, s22
	s_cbranch_scc1 .LBB810_17
; %bb.1:
	s_cmp_lg_u32 s7, 0
	s_cselect_b64 s[10:11], -1, 0
	s_cmp_eq_u32 s7, 0
	s_cselect_b64 s[8:9], -1, 0
	s_and_b64 s[0:1], s[8:9], exec
	s_load_dwordx2 s[28:29], s[4:5], 0x48
	s_load_dwordx2 s[34:35], s[4:5], 0x30
	s_load_dwordx8 s[12:19], s[4:5], 0x70
	s_cselect_b32 s7, s23, s24
	s_add_i32 s0, s7, 1
	s_lshr_b32 s1, s0, 31
	s_add_i32 s0, s0, s1
	s_lshl_b32 s0, s0, 1
	v_lshlrev_b32_e32 v1, 4, v0
	s_and_b32 s38, s0, -4
	v_cmp_gt_i32_e64 s[0:1], s7, v1
	v_mov_b32_e32 v74, 0
	v_mov_b32_e32 v75, 0
	;; [unrolled: 1-line block ×16, first 2 shown]
	s_and_saveexec_b64 s[2:3], s[0:1]
	s_cbranch_execz .LBB810_3
; %bb.2:
	s_waitcnt lgkmcnt(0)
	s_load_dwordx2 s[18:19], s[4:5], 0x28
	s_load_dwordx2 s[30:31], s[4:5], 0x40
	s_and_b64 s[36:37], s[8:9], exec
	s_cselect_b32 s22, s25, s26
	s_mov_b32 s39, 0x20000
	s_waitcnt lgkmcnt(0)
	s_cselect_b32 s25, s19, s35
	s_cselect_b32 s33, s18, s34
	s_mul_hi_i32 s19, s22, s6
	s_mul_i32 s18, s22, s6
	s_lshl_b64 s[18:19], s[18:19], 1
	s_add_u32 s40, s33, s18
	s_addc_u32 s22, s25, s19
	s_and_b64 s[18:19], s[8:9], exec
	s_cselect_b32 s36, s30, s28
	s_cselect_b32 s18, s31, s29
	s_and_b32 s41, s22, 0xffff
	s_mov_b32 s42, s38
	s_mov_b32 s43, s39
	v_lshlrev_b32_e32 v2, 5, v0
	s_and_b32 s37, s18, 0xffff
	buffer_load_dwordx4 v[78:81], v2, s[40:43], 0 offen
	buffer_load_dwordx4 v[82:85], v2, s[40:43], 16 offen
	;; [unrolled: 1-line block ×4, first 2 shown]
.LBB810_3:
	s_or_b64 exec, exec, s[2:3]
	s_and_b64 vcc, exec, s[10:11]
	s_cbranch_vccz .LBB810_7
; %bb.4:
	v_mov_b32_e32 v87, 0
	v_mov_b32_e32 v86, 0
	;; [unrolled: 1-line block ×16, first 2 shown]
	s_and_saveexec_b64 s[2:3], s[0:1]
	s_cbranch_execz .LBB810_6
; %bb.5:
	s_waitcnt vmcnt(3)
	v_cvt_f32_u32_sdwa v52, v78 dst_sel:DWORD dst_unused:UNUSED_PAD src0_sel:WORD_0
	v_cvt_f32_u32_sdwa v53, v78 dst_sel:DWORD dst_unused:UNUSED_PAD src0_sel:WORD_1
	v_cvt_f32_u32_sdwa v34, v79 dst_sel:DWORD dst_unused:UNUSED_PAD src0_sel:WORD_0
	v_cvt_f32_u32_sdwa v35, v79 dst_sel:DWORD dst_unused:UNUSED_PAD src0_sel:WORD_1
	;; [unrolled: 2-line block ×4, first 2 shown]
	s_waitcnt vmcnt(2)
	v_cvt_f32_u32_sdwa v44, v82 dst_sel:DWORD dst_unused:UNUSED_PAD src0_sel:WORD_0
	v_cvt_f32_u32_sdwa v45, v82 dst_sel:DWORD dst_unused:UNUSED_PAD src0_sel:WORD_1
	v_cvt_f32_u32_sdwa v18, v83 dst_sel:DWORD dst_unused:UNUSED_PAD src0_sel:WORD_0
	v_cvt_f32_u32_sdwa v19, v83 dst_sel:DWORD dst_unused:UNUSED_PAD src0_sel:WORD_1
	;; [unrolled: 2-line block ×4, first 2 shown]
.LBB810_6:
	s_or_b64 exec, exec, s[2:3]
	s_cbranch_execz .LBB810_8
	s_branch .LBB810_11
.LBB810_7:
                                        ; implicit-def: $vgpr32_vgpr33_vgpr34_vgpr35_vgpr36_vgpr37_vgpr38_vgpr39_vgpr40_vgpr41_vgpr42_vgpr43_vgpr44_vgpr45_vgpr46_vgpr47
                                        ; implicit-def: $vgpr18_vgpr19_vgpr20_vgpr21_vgpr22_vgpr23_vgpr24_vgpr25_vgpr26_vgpr27_vgpr28_vgpr29_vgpr30_vgpr31_vgpr32_vgpr33
                                        ; implicit-def: $vgpr52_vgpr53_vgpr54_vgpr55_vgpr56_vgpr57_vgpr58_vgpr59_vgpr60_vgpr61_vgpr62_vgpr63_vgpr64_vgpr65_vgpr66_vgpr67
                                        ; implicit-def: $vgpr87
                                        ; implicit-def: $vgpr54_vgpr55_vgpr56_vgpr57_vgpr58_vgpr59_vgpr60_vgpr61_vgpr62_vgpr63_vgpr64_vgpr65_vgpr66_vgpr67_vgpr68_vgpr69
                                        ; implicit-def: $vgpr8_vgpr9_vgpr10_vgpr11_vgpr12_vgpr13_vgpr14_vgpr15_vgpr16_vgpr17_vgpr18_vgpr19_vgpr20_vgpr21_vgpr22_vgpr23
                                        ; implicit-def: $vgpr36_vgpr37_vgpr38_vgpr39_vgpr40_vgpr41_vgpr42_vgpr43_vgpr44_vgpr45_vgpr46_vgpr47_vgpr48_vgpr49_vgpr50_vgpr51
                                        ; implicit-def: $vgpr2_vgpr3_vgpr4_vgpr5_vgpr6_vgpr7_vgpr8_vgpr9_vgpr10_vgpr11_vgpr12_vgpr13_vgpr14_vgpr15_vgpr16_vgpr17
.LBB810_8:
	v_mov_b32_e32 v87, 0
	v_mov_b32_e32 v86, 0
	;; [unrolled: 1-line block ×16, first 2 shown]
	s_and_saveexec_b64 s[2:3], s[0:1]
	s_cbranch_execz .LBB810_10
; %bb.9:
	s_waitcnt lgkmcnt(0)
	s_load_dwordx2 s[18:19], s[4:5], 0x38
	s_mul_hi_i32 s31, s27, s6
	s_mul_i32 s30, s27, s6
	s_lshl_b64 s[30:31], s[30:31], 1
	s_mov_b32 s39, 0x20000
	s_waitcnt lgkmcnt(0)
	s_add_u32 s36, s18, s30
	s_addc_u32 s18, s19, s31
	s_and_b32 s37, s18, 0xffff
	v_lshlrev_b32_e32 v38, 5, v0
	buffer_load_dwordx4 v[4:7], v38, s[36:39], 16 offen
	buffer_load_dwordx4 v[8:11], v38, s[36:39], 0 offen
	s_load_dwordx2 s[18:19], s[4:5], 0x20
	s_waitcnt vmcnt(5)
	v_cvt_f32_u32_sdwa v19, v78 dst_sel:DWORD dst_unused:UNUSED_PAD src0_sel:WORD_1
	v_cvt_f32_u32_sdwa v18, v78 dst_sel:DWORD dst_unused:UNUSED_PAD src0_sel:WORD_0
	v_cvt_f32_u32_sdwa v21, v79 dst_sel:DWORD dst_unused:UNUSED_PAD src0_sel:WORD_1
	v_cvt_f32_u32_sdwa v20, v79 dst_sel:DWORD dst_unused:UNUSED_PAD src0_sel:WORD_0
	;; [unrolled: 2-line block ×4, first 2 shown]
	s_waitcnt vmcnt(4)
	v_cvt_f32_u32_sdwa v3, v82 dst_sel:DWORD dst_unused:UNUSED_PAD src0_sel:WORD_1
	v_cvt_f32_u32_sdwa v2, v82 dst_sel:DWORD dst_unused:UNUSED_PAD src0_sel:WORD_0
	v_cvt_f32_u32_sdwa v13, v83 dst_sel:DWORD dst_unused:UNUSED_PAD src0_sel:WORD_1
	v_cvt_f32_u32_sdwa v12, v83 dst_sel:DWORD dst_unused:UNUSED_PAD src0_sel:WORD_0
	;; [unrolled: 2-line block ×3, first 2 shown]
	v_cvt_f32_u32_sdwa v16, v85 dst_sel:DWORD dst_unused:UNUSED_PAD src0_sel:WORD_0
	v_cvt_f32_u32_sdwa v17, v85 dst_sel:DWORD dst_unused:UNUSED_PAD src0_sel:WORD_1
	s_mul_hi_i32 s31, s17, s6
	s_mul_i32 s30, s17, s6
	s_lshl_b64 s[30:31], s[30:31], 1
	s_waitcnt lgkmcnt(0)
	s_add_u32 s36, s18, s30
	s_mov_b32 s17, 0x7060302
	s_addc_u32 s18, s19, s31
	s_and_b32 s37, s18, 0xffff
	s_waitcnt vmcnt(1)
	v_cvt_f32_u32_sdwa v27, v4 dst_sel:DWORD dst_unused:UNUSED_PAD src0_sel:WORD_1
	v_cvt_f32_u32_sdwa v26, v4 dst_sel:DWORD dst_unused:UNUSED_PAD src0_sel:WORD_0
	v_cvt_f32_u32_sdwa v29, v5 dst_sel:DWORD dst_unused:UNUSED_PAD src0_sel:WORD_1
	v_cvt_f32_u32_sdwa v28, v5 dst_sel:DWORD dst_unused:UNUSED_PAD src0_sel:WORD_0
	;; [unrolled: 2-line block ×3, first 2 shown]
	v_cvt_f32_u32_sdwa v32, v7 dst_sel:DWORD dst_unused:UNUSED_PAD src0_sel:WORD_0
	v_cvt_f32_u32_sdwa v33, v7 dst_sel:DWORD dst_unused:UNUSED_PAD src0_sel:WORD_1
	s_waitcnt vmcnt(0)
	v_cvt_f32_u32_sdwa v37, v8 dst_sel:DWORD dst_unused:UNUSED_PAD src0_sel:WORD_1
	v_cvt_f32_u32_sdwa v36, v8 dst_sel:DWORD dst_unused:UNUSED_PAD src0_sel:WORD_0
	v_cvt_f32_u32_sdwa v5, v10 dst_sel:DWORD dst_unused:UNUSED_PAD src0_sel:WORD_1
	v_cvt_f32_u32_sdwa v4, v10 dst_sel:DWORD dst_unused:UNUSED_PAD src0_sel:WORD_0
	;; [unrolled: 2-line block ×4, first 2 shown]
	v_pk_add_f32 v[58:59], v[22:23], v[4:5]
	v_pk_add_f32 v[24:25], v[24:25], v[6:7]
	;; [unrolled: 1-line block ×4, first 2 shown]
	v_perm_b32 v7, v25, v24, s17
	v_perm_b32 v6, v59, v58, s17
	;; [unrolled: 1-line block ×4, first 2 shown]
	v_pk_add_f32 v[86:87], v[16:17], v[32:33]
	v_pk_add_f32 v[14:15], v[14:15], v[30:31]
	;; [unrolled: 1-line block ×4, first 2 shown]
	buffer_store_dwordx4 v[4:7], v38, s[36:39], 0 offen
	;;#ASMSTART
	s_nop 0
	;;#ASMEND
	s_nop 0
	v_perm_b32 v7, v87, v86, s17
	v_perm_b32 v6, v15, v14, s17
	;; [unrolled: 1-line block ×4, first 2 shown]
	buffer_store_dwordx4 v[4:7], v38, s[36:39], 16 offen
	;;#ASMSTART
	s_nop 0
	;;#ASMEND
.LBB810_10:
	s_or_b64 exec, exec, s[2:3]
.LBB810_11:
	v_mul_f32_e32 v2, v53, v53
	v_fmac_f32_e32 v2, v52, v52
	v_fmac_f32_e32 v2, v34, v34
	;; [unrolled: 1-line block ×15, first 2 shown]
	s_nop 1
	v_mov_b32_dpp v3, v2 quad_perm:[1,0,3,2] row_mask:0xf bank_mask:0xf
	v_add_f32_e32 v2, v2, v3
	s_nop 1
	v_mov_b32_dpp v3, v2 quad_perm:[2,3,0,1] row_mask:0xf bank_mask:0xf
	v_add_f32_e32 v2, v2, v3
	s_nop 1
	v_mov_b32_dpp v3, v2 row_half_mirror row_mask:0xf bank_mask:0xf
	v_add_f32_e32 v2, v2, v3
	s_nop 1
	v_mov_b32_dpp v3, v2 row_mirror row_mask:0xf bank_mask:0xf
	v_add_f32_e32 v2, v2, v3
	s_nop 1
	v_mov_b32_dpp v3, v2 row_bcast:15 row_mask:0xf bank_mask:0xf
	v_add_f32_e32 v2, v2, v3
	v_and_b32_e32 v3, 63, v0
	v_cmp_eq_u32_e64 s[2:3], 63, v3
	s_nop 0
	v_mov_b32_dpp v3, v2 row_bcast:31 row_mask:0xf bank_mask:0xf
	s_waitcnt lgkmcnt(0)
	s_and_saveexec_b64 s[18:19], s[2:3]
	s_cbranch_execz .LBB810_13
; %bb.12:
	v_add_f32_e32 v2, v2, v3
	v_lshrrev_b32_e32 v3, 4, v0
	v_and_b32_e32 v3, 60, v3
	ds_write_b32 v3, v2 offset:16
.LBB810_13:
	s_or_b64 exec, exec, s[18:19]
	v_and_b32_e32 v2, 3, v0
	v_lshlrev_b32_e32 v36, 2, v2
	s_waitcnt lgkmcnt(0)
	s_barrier
	ds_read_b32 v3, v36 offset:16
	s_load_dwordx2 s[18:19], s[4:5], 0x18
	s_waitcnt lgkmcnt(0)
	v_mov_b32_dpp v4, v3 quad_perm:[1,0,3,2] row_mask:0xf bank_mask:0xf
	v_add_f32_e32 v3, v3, v4
	s_nop 1
	v_mov_b32_dpp v4, v3 quad_perm:[2,3,0,1] row_mask:0xf bank_mask:0xf
	s_and_saveexec_b64 s[30:31], s[0:1]
	s_cbranch_execnz .LBB810_18
; %bb.14:
	s_or_b64 exec, exec, s[30:31]
	s_mov_b64 s[8:9], -1
	s_and_b64 vcc, exec, s[10:11]
	s_cbranch_vccnz .LBB810_19
.LBB810_15:
	s_andn2_b64 vcc, exec, s[8:9]
	s_cbranch_vccz .LBB810_22
.LBB810_16:
	s_cmp_lt_i32 s24, 1
	s_cbranch_scc0 .LBB810_31
.LBB810_17:
	s_endpgm
.LBB810_18:
	v_add_f32_e32 v3, v3, v4
	v_cvt_f32_u32_e32 v4, s7
	s_mov_b32 s7, 0x800000
	s_waitcnt vmcnt(1)
	v_cvt_f32_u32_sdwa v21, v74 dst_sel:DWORD dst_unused:UNUSED_PAD src0_sel:WORD_1
	v_cvt_f32_u32_sdwa v20, v74 dst_sel:DWORD dst_unused:UNUSED_PAD src0_sel:WORD_0
	v_div_scale_f32 v5, s[36:37], v4, v4, v3
	v_rcp_f32_e32 v6, v5
	v_pk_add_f32 v[20:21], v[20:21], 1.0 op_sel_hi:[1,0]
	v_cvt_f32_u32_sdwa v23, v77 dst_sel:DWORD dst_unused:UNUSED_PAD src0_sel:WORD_1
	v_cvt_f32_u32_sdwa v22, v77 dst_sel:DWORD dst_unused:UNUSED_PAD src0_sel:WORD_0
	v_fma_f32 v7, -v5, v6, 1.0
	v_fmac_f32_e32 v6, v7, v6
	v_div_scale_f32 v7, vcc, v3, v4, v3
	v_mul_f32_e32 v8, v7, v6
	v_fma_f32 v9, -v5, v8, v7
	v_fmac_f32_e32 v8, v9, v6
	v_fma_f32 v5, -v5, v8, v7
	v_div_fmas_f32 v5, v5, v6, v8
	v_div_fixup_f32 v3, v5, v4, v3
	v_mov_b32_e32 v4, s21
	v_mov_b32_e32 v5, s20
	v_cndmask_b32_e64 v4, v4, v5, s[8:9]
	v_add_f32_e32 v3, v4, v3
	v_mul_f32_e32 v4, 0x4b800000, v3
	v_cmp_gt_f32_e32 vcc, s7, v3
	v_cndmask_b32_e32 v3, v3, v4, vcc
	v_rsq_f32_e32 v3, v3
	s_waitcnt vmcnt(0)
	v_cvt_f32_u32_sdwa v27, v73 dst_sel:DWORD dst_unused:UNUSED_PAD src0_sel:WORD_1
	v_cvt_f32_u32_sdwa v26, v73 dst_sel:DWORD dst_unused:UNUSED_PAD src0_sel:WORD_0
	v_mul_f32_e32 v4, 0x45800000, v3
	v_cndmask_b32_e32 v4, v3, v4, vcc
	v_mov_b32_e32 v5, v4
	;;#ASMSTART
	v_pk_mul_f32 v[6:7], v[52:53], v[4:5]
	;;#ASMEND
	;;#ASMSTART
	v_pk_mul_f32 v[8:9], v[34:35], v[4:5]
	;;#ASMEND
	;; [unrolled: 3-line block ×9, first 2 shown]
	v_cvt_f32_u32_sdwa v7, v75 dst_sel:DWORD dst_unused:UNUSED_PAD src0_sel:WORD_1
	v_cvt_f32_u32_sdwa v6, v75 dst_sel:DWORD dst_unused:UNUSED_PAD src0_sel:WORD_0
	v_cvt_f32_u32_sdwa v21, v76 dst_sel:DWORD dst_unused:UNUSED_PAD src0_sel:WORD_1
	v_cvt_f32_u32_sdwa v20, v76 dst_sel:DWORD dst_unused:UNUSED_PAD src0_sel:WORD_0
	v_cvt_f32_u32_sdwa v25, v72 dst_sel:DWORD dst_unused:UNUSED_PAD src0_sel:WORD_1
	v_pk_add_f32 v[6:7], v[6:7], 1.0 op_sel_hi:[1,0]
	;;#ASMSTART
	v_pk_mul_f32 v[34:35], v[8:9], v[6:7]
	;;#ASMEND
	v_pk_add_f32 v[6:7], v[20:21], 1.0 op_sel_hi:[1,0]
	v_pk_add_f32 v[8:9], v[22:23], 1.0 op_sel_hi:[1,0]
	v_cvt_f32_u32_sdwa v21, v70 dst_sel:DWORD dst_unused:UNUSED_PAD src0_sel:WORD_1
	v_cvt_f32_u32_sdwa v20, v70 dst_sel:DWORD dst_unused:UNUSED_PAD src0_sel:WORD_0
	v_cvt_f32_u32_sdwa v23, v71 dst_sel:DWORD dst_unused:UNUSED_PAD src0_sel:WORD_1
	v_cvt_f32_u32_sdwa v22, v71 dst_sel:DWORD dst_unused:UNUSED_PAD src0_sel:WORD_0
	v_cvt_f32_u32_sdwa v24, v72 dst_sel:DWORD dst_unused:UNUSED_PAD src0_sel:WORD_0
	v_pk_add_f32 v[20:21], v[20:21], 1.0 op_sel_hi:[1,0]
	v_pk_add_f32 v[26:27], v[26:27], 1.0 op_sel_hi:[1,0]
	;; [unrolled: 1-line block ×4, first 2 shown]
	;;#ASMSTART
	v_pk_mul_f32 v[58:59], v[10:11], v[6:7]
	;;#ASMEND
	;;#ASMSTART
	v_pk_mul_f32 v[24:25], v[12:13], v[8:9]
	;;#ASMEND
	;; [unrolled: 3-line block ×6, first 2 shown]
	s_or_b64 exec, exec, s[30:31]
	s_mov_b64 s[8:9], -1
	s_and_b64 vcc, exec, s[10:11]
	s_cbranch_vccz .LBB810_15
.LBB810_19:
	s_and_saveexec_b64 s[8:9], s[0:1]
	s_cbranch_execz .LBB810_21
; %bb.20:
	s_mul_hi_i32 s11, s16, s6
	s_mul_i32 s10, s16, s6
	s_lshl_b64 s[10:11], s[10:11], 1
	s_add_u32 s36, s18, s10
	s_addc_u32 s7, s19, s11
	s_and_b32 s37, s7, 0xffff
	s_mov_b32 s7, 0x7060302
	s_mov_b32 s39, 0x20000
	v_perm_b32 v7, v25, v24, s7
	v_perm_b32 v6, v59, v58, s7
	;; [unrolled: 1-line block ×4, first 2 shown]
	v_lshlrev_b32_e32 v3, 5, v0
	buffer_store_dwordx4 v[4:7], v3, s[36:39], 0 offen
	;;#ASMSTART
	s_nop 0
	;;#ASMEND
	s_nop 0
	v_perm_b32 v7, v87, v86, s7
	v_perm_b32 v6, v15, v14, s7
	;; [unrolled: 1-line block ×4, first 2 shown]
	buffer_store_dwordx4 v[4:7], v3, s[36:39], 16 offen
	;;#ASMSTART
	s_nop 0
	;;#ASMEND
.LBB810_21:
	s_or_b64 exec, exec, s[8:9]
	s_cbranch_execnz .LBB810_16
.LBB810_22:
	v_mov_b32_e32 v3, 0
	s_and_saveexec_b64 s[8:9], s[0:1]
	s_cbranch_execz .LBB810_24
; %bb.23:
	s_load_dwordx2 s[10:11], s[4:5], 0x10
	s_mul_hi_i32 s31, s15, s6
	s_mul_i32 s30, s15, s6
	s_lshl_b64 s[30:31], s[30:31], 1
	s_mov_b32 s39, 0x20000
	s_waitcnt lgkmcnt(0)
	s_add_u32 s36, s10, s30
	s_addc_u32 s7, s11, s31
	s_and_b32 s37, s7, 0xffff
	s_mov_b32 s7, 0x7060302
	v_perm_b32 v7, v25, v24, s7
	v_perm_b32 v6, v59, v58, s7
	;; [unrolled: 1-line block ×4, first 2 shown]
	v_lshlrev_b32_e32 v3, 5, v0
	buffer_store_dwordx4 v[4:7], v3, s[36:39], 0 offen
	;;#ASMSTART
	s_nop 0
	;;#ASMEND
	s_nop 0
	v_perm_b32 v7, v87, v86, s7
	v_perm_b32 v6, v15, v14, s7
	;; [unrolled: 1-line block ×4, first 2 shown]
	buffer_store_dwordx4 v[4:7], v3, s[36:39], 16 offen
	v_mov_b32_e32 v3, 0x2edbe6ff
	;;#ASMSTART
	s_nop 0
	;;#ASMEND
.LBB810_24:
	s_or_b64 exec, exec, s[8:9]
	s_and_saveexec_b64 s[8:9], s[0:1]
	s_cbranch_execz .LBB810_26
; %bb.25:
	v_and_b32_e32 v4, 0x7fffffff, v52
	v_and_b32_e32 v5, 0x7fffffff, v53
	;;#ASMSTART
	v_max3_f32 v3, v3, v4, v5

	;;#ASMEND
	v_and_b32_e32 v4, 0x7fffffff, v34
	v_and_b32_e32 v5, 0x7fffffff, v35
	;;#ASMSTART
	v_max3_f32 v3, v3, v4, v5

	;;#ASMEND
	;; [unrolled: 6-line block ×8, first 2 shown]
.LBB810_26:
	s_or_b64 exec, exec, s[8:9]
	;;#ASMSTART
	v_max_f32 v4, v3, v3 quad_perm:[1,0,3,2] row_mask:0xf bank_mask:0xf bound_ctrl:1
	;;#ASMEND
	;;#ASMSTART
	v_max_f32 v3, v4, v4 quad_perm:[2,3,0,1] row_mask:0xf bank_mask:0xf bound_ctrl:1
	;;#ASMEND
	v_cmp_eq_u32_e32 vcc, 0, v2
	v_cmp_gt_i32_e64 s[8:9], s23, v1
	v_mul_f32_e32 v3, 0x3b124925, v3
	s_and_b64 s[10:11], vcc, s[8:9]
	s_and_saveexec_b64 s[8:9], s[10:11]
	s_cbranch_execz .LBB810_28
; %bb.27:
	s_load_dwordx2 s[10:11], s[4:5], 0x8
	v_lshrrev_b32_e32 v2, 2, v0
	s_mul_hi_i32 s31, s13, s6
	s_mul_i32 s30, s13, s6
	v_mad_i64_i32 v[4:5], s[14:15], s14, v2, 0
	s_lshl_b64 s[14:15], s[30:31], 2
	s_waitcnt lgkmcnt(0)
	s_add_u32 s7, s10, s14
	s_addc_u32 s10, s11, s15
	v_lshlrev_b64 v[4:5], 2, v[4:5]
	v_mov_b32_e32 v2, s10
	v_add_co_u32_e32 v4, vcc, s7, v4
	v_addc_co_u32_e32 v5, vcc, v2, v5, vcc
	global_store_dword v[4:5], v3, off
.LBB810_28:
	s_or_b64 exec, exec, s[8:9]
	;;#ASMSTART
	v_rcp_f32 v2, v3
	;;#ASMEND
	s_and_saveexec_b64 s[14:15], s[0:1]
	s_cbranch_execz .LBB810_30
; %bb.29:
	v_mov_b32_e32 v3, v2
	;;#ASMSTART
	v_pk_mul_f32 v[4:5], v[52:53], v[2:3]
	;;#ASMEND
	v_mov_b32_e32 v10, 0xc3e00000
	v_mov_b32_e32 v11, 0x43e00000
	;;#ASMSTART
	v_med3_f32 v4, v4, v10, v11
v_med3_f32 v5, v5, v10, v11
v_cvt_pk_fp8_f32 v6, v4, v5
	;;#ASMEND
	;;#ASMSTART
	v_pk_mul_f32 v[4:5], v[34:35], v[2:3]
	;;#ASMEND
	;;#ASMSTART
	v_med3_f32 v4, v4, v10, v11
v_med3_f32 v5, v5, v10, v11
v_cvt_pk_fp8_f32 v7, v4, v5
	;;#ASMEND
	;;#ASMSTART
	v_pk_mul_f32 v[4:5], v[58:59], v[2:3]
	;;#ASMEND
	;;#ASMSTART
	v_med3_f32 v4, v4, v10, v11
v_med3_f32 v5, v5, v10, v11
v_cvt_pk_fp8_f32 v8, v4, v5
	;;#ASMEND
	;;#ASMSTART
	v_pk_mul_f32 v[4:5], v[24:25], v[2:3]
	;;#ASMEND
	;;#ASMSTART
	v_med3_f32 v4, v4, v10, v11
v_med3_f32 v5, v5, v10, v11
v_cvt_pk_fp8_f32 v9, v4, v5
	;;#ASMEND
	s_mov_b32 s0, 0x5040100
	v_perm_b32 v4, v7, v6, s0
	s_mov_b32 s0, 0x1060504
	v_perm_b32 v4, v4, v7, s0
	s_load_dwordx2 s[0:1], s[4:5], 0x0
	s_mov_b32 s7, 0x1000504
	;;#ASMSTART
	v_pk_mul_f32 v[6:7], v[44:45], v[2:3]
	;;#ASMEND
	v_perm_b32 v5, v8, v9, s7
	s_mul_i32 s8, s12, s6
	;;#ASMSTART
	v_med3_f32 v6, v6, v10, v11
v_med3_f32 v7, v7, v10, v11
v_cvt_pk_fp8_f32 v8, v6, v7
	;;#ASMEND
	s_mul_hi_i32 s9, s12, s6
	s_waitcnt lgkmcnt(0)
	s_add_u32 s8, s0, s8
	;;#ASMSTART
	v_pk_mul_f32 v[6:7], v[18:19], v[2:3]
	;;#ASMEND
	s_addc_u32 s0, s1, s9
	s_add_i32 s1, s23, 3
	;;#ASMSTART
	v_med3_f32 v6, v6, v10, v11
v_med3_f32 v7, v7, v10, v11
v_cvt_pk_fp8_f32 v9, v6, v7
	;;#ASMEND
	s_ashr_i32 s9, s1, 31
	v_perm_b32 v6, v8, v9, s7
	;;#ASMSTART
	v_pk_mul_f32 v[8:9], v[14:15], v[2:3]
	;;#ASMEND
	v_mov_b32_e32 v7, v9
	s_lshr_b32 s9, s9, 30
	;;#ASMSTART
	v_med3_f32 v8, v8, v10, v11
v_med3_f32 v7, v7, v10, v11
v_cvt_pk_fp8_f32 v9, v8, v7
	;;#ASMEND
	;;#ASMSTART
	v_pk_mul_f32 v[2:3], v[86:87], v[2:3]
	;;#ASMEND
	s_add_i32 s1, s1, s9
	;;#ASMSTART
	v_med3_f32 v2, v2, v10, v11
v_med3_f32 v3, v3, v10, v11
v_cvt_pk_fp8_f32 v7, v2, v3
	;;#ASMEND
	s_and_b32 s10, s1, -4
	s_and_b32 s9, s0, 0xffff
	s_mov_b32 s11, 0x20000
	v_perm_b32 v7, v9, v7, s7
	buffer_store_dwordx4 v[4:7], v1, s[8:11], 0 offen
	;;#ASMSTART
	s_nop 0
	;;#ASMEND
.LBB810_30:
	s_or_b64 exec, exec, s[14:15]
	s_cmp_lt_i32 s24, 1
	s_cbranch_scc1 .LBB810_17
.LBB810_31:
	s_load_dword s0, s[4:5], 0x94
	s_waitcnt lgkmcnt(0)
	s_cmp_lg_u32 s0, 1
	s_cbranch_scc1 .LBB810_17
; %bb.32:
	s_lshl_b32 s0, s24, 1
	s_add_i32 s0, s0, 2
	v_cmp_gt_u32_e32 vcc, s24, v1
	s_and_b32 s30, s0, -4
	v_mov_b32_e32 v18, 0
	v_lshlrev_b32_e32 v1, 5, v0
	v_mov_b32_e32 v14, 0
	v_mov_b32_e32 v15, 0
	;; [unrolled: 1-line block ×16, first 2 shown]
	s_barrier
	s_and_saveexec_b64 s[0:1], vcc
	s_cbranch_execz .LBB810_34
; %bb.33:
	s_mul_hi_i32 s5, s26, s6
	s_mul_i32 s4, s26, s6
	s_and_b32 s29, s29, 0xffff
	s_lshl_b64 s[4:5], s[4:5], 1
	s_add_u32 s8, s34, s4
	s_mov_b32 s31, 0x20000
	s_addc_u32 s4, s35, s5
	s_and_b32 s9, s4, 0xffff
	s_mov_b32 s10, s30
	s_mov_b32 s11, s31
	buffer_load_dwordx4 v[14:17], v1, s[8:11], 0 offen
	buffer_load_dwordx4 v[10:13], v1, s[8:11], 16 offen
	buffer_load_dwordx4 v[6:9], v1, s[28:31], 0 offen
	buffer_load_dwordx4 v[2:5], v1, s[28:31], 16 offen
.LBB810_34:
	s_or_b64 exec, exec, s[0:1]
	v_mov_b32_e32 v19, 0
	v_mov_b32_e32 v32, 0
	;; [unrolled: 1-line block ×15, first 2 shown]
	s_and_saveexec_b64 s[0:1], vcc
	s_cbranch_execz .LBB810_36
; %bb.35:
	s_waitcnt vmcnt(3)
	v_cvt_f32_u32_sdwa v18, v14 dst_sel:DWORD dst_unused:UNUSED_PAD src0_sel:WORD_0
	v_cvt_f32_u32_sdwa v19, v14 dst_sel:DWORD dst_unused:UNUSED_PAD src0_sel:WORD_1
	v_cvt_f32_u32_sdwa v32, v15 dst_sel:DWORD dst_unused:UNUSED_PAD src0_sel:WORD_0
	v_cvt_f32_u32_sdwa v33, v15 dst_sel:DWORD dst_unused:UNUSED_PAD src0_sel:WORD_1
	;; [unrolled: 2-line block ×4, first 2 shown]
	s_waitcnt vmcnt(2)
	v_cvt_f32_u32_sdwa v26, v10 dst_sel:DWORD dst_unused:UNUSED_PAD src0_sel:WORD_0
	v_cvt_f32_u32_sdwa v27, v10 dst_sel:DWORD dst_unused:UNUSED_PAD src0_sel:WORD_1
	v_cvt_f32_u32_sdwa v24, v11 dst_sel:DWORD dst_unused:UNUSED_PAD src0_sel:WORD_0
	v_cvt_f32_u32_sdwa v25, v11 dst_sel:DWORD dst_unused:UNUSED_PAD src0_sel:WORD_1
	v_cvt_f32_u32_sdwa v22, v12 dst_sel:DWORD dst_unused:UNUSED_PAD src0_sel:WORD_0
	v_cvt_f32_u32_sdwa v23, v12 dst_sel:DWORD dst_unused:UNUSED_PAD src0_sel:WORD_1
	v_cvt_f32_u32_sdwa v20, v13 dst_sel:DWORD dst_unused:UNUSED_PAD src0_sel:WORD_0
	v_cvt_f32_u32_sdwa v21, v13 dst_sel:DWORD dst_unused:UNUSED_PAD src0_sel:WORD_1
.LBB810_36:
	s_or_b64 exec, exec, s[0:1]
	s_waitcnt vmcnt(2)
	v_mul_f32_e32 v10, v19, v19
	v_fmac_f32_e32 v10, v18, v18
	v_fmac_f32_e32 v10, v32, v32
	;; [unrolled: 1-line block ×15, first 2 shown]
	s_nop 1
	v_mov_b32_dpp v11, v10 quad_perm:[1,0,3,2] row_mask:0xf bank_mask:0xf
	v_add_f32_e32 v10, v10, v11
	s_nop 1
	v_mov_b32_dpp v11, v10 quad_perm:[2,3,0,1] row_mask:0xf bank_mask:0xf
	v_add_f32_e32 v10, v10, v11
	s_nop 1
	v_mov_b32_dpp v11, v10 row_half_mirror row_mask:0xf bank_mask:0xf
	v_add_f32_e32 v10, v10, v11
	s_nop 1
	v_mov_b32_dpp v11, v10 row_mirror row_mask:0xf bank_mask:0xf
	v_add_f32_e32 v10, v10, v11
	s_nop 1
	v_mov_b32_dpp v11, v10 row_bcast:15 row_mask:0xf bank_mask:0xf
	v_add_f32_e32 v10, v10, v11
	s_nop 1
	v_mov_b32_dpp v11, v10 row_bcast:31 row_mask:0xf bank_mask:0xf
	s_and_saveexec_b64 s[0:1], s[2:3]
	s_cbranch_execz .LBB810_38
; %bb.37:
	v_lshrrev_b32_e32 v0, 4, v0
	v_add_f32_e32 v10, v10, v11
	v_and_b32_e32 v0, 60, v0
	ds_write_b32 v0, v10
.LBB810_38:
	s_or_b64 exec, exec, s[0:1]
	s_waitcnt lgkmcnt(0)
	s_barrier
	ds_read_b32 v0, v36
	s_waitcnt lgkmcnt(0)
	s_nop 0
	v_mov_b32_dpp v10, v0 quad_perm:[1,0,3,2] row_mask:0xf bank_mask:0xf
	v_add_f32_e32 v0, v0, v10
	s_nop 1
	v_mov_b32_dpp v10, v0 quad_perm:[2,3,0,1] row_mask:0xf bank_mask:0xf
	s_and_saveexec_b64 s[0:1], vcc
	s_cbranch_execz .LBB810_17
; %bb.39:
	v_cvt_f32_u32_e32 v11, s24
	v_add_f32_e32 v0, v0, v10
	s_mov_b32 s31, 0x20000
	v_div_scale_f32 v10, s[0:1], v11, v11, v0
	v_rcp_f32_e32 v12, v10
	v_div_scale_f32 v13, vcc, v0, v11, v0
	s_mov_b32 s0, 0x800000
	v_fma_f32 v14, -v10, v12, 1.0
	v_fmac_f32_e32 v12, v14, v12
	v_mul_f32_e32 v14, v13, v12
	v_fma_f32 v15, -v10, v14, v13
	v_fmac_f32_e32 v14, v15, v12
	v_fma_f32 v10, -v10, v14, v13
	v_div_fmas_f32 v10, v10, v12, v14
	v_div_fixup_f32 v0, v10, v11, v0
	v_add_f32_e32 v0, s21, v0
	v_mul_f32_e32 v10, 0x4b800000, v0
	v_cmp_gt_f32_e32 vcc, s0, v0
	v_cndmask_b32_e32 v0, v0, v10, vcc
	v_rsq_f32_e32 v0, v0
	s_mul_hi_i32 s1, s16, s6
	s_mul_i32 s0, s16, s6
	s_lshl_b64 s[0:1], s[0:1], 1
	v_mul_f32_e32 v10, 0x45800000, v0
	v_cndmask_b32_e32 v10, v0, v10, vcc
	v_mov_b32_e32 v11, v10
	;;#ASMSTART
	v_pk_mul_f32 v[12:13], v[18:19], v[10:11]
	;;#ASMEND
	;;#ASMSTART
	v_pk_mul_f32 v[14:15], v[32:33], v[10:11]
	;;#ASMEND
	;; [unrolled: 3-line block ×4, first 2 shown]
	s_waitcnt vmcnt(1)
	v_cvt_f32_u32_sdwa v29, v6 dst_sel:DWORD dst_unused:UNUSED_PAD src0_sel:WORD_1
	v_cvt_f32_u32_sdwa v28, v6 dst_sel:DWORD dst_unused:UNUSED_PAD src0_sel:WORD_0
	v_cvt_f32_u32_sdwa v31, v7 dst_sel:DWORD dst_unused:UNUSED_PAD src0_sel:WORD_1
	v_cvt_f32_u32_sdwa v30, v7 dst_sel:DWORD dst_unused:UNUSED_PAD src0_sel:WORD_0
	;;#ASMSTART
	v_pk_mul_f32 v[26:27], v[26:27], v[10:11]
	;;#ASMEND
	;;#ASMSTART
	v_pk_mul_f32 v[24:25], v[24:25], v[10:11]
	;;#ASMEND
	;; [unrolled: 3-line block ×4, first 2 shown]
	v_cvt_f32_u32_sdwa v21, v8 dst_sel:DWORD dst_unused:UNUSED_PAD src0_sel:WORD_1
	v_cvt_f32_u32_sdwa v20, v8 dst_sel:DWORD dst_unused:UNUSED_PAD src0_sel:WORD_0
	v_pk_add_f32 v[10:11], v[28:29], 1.0 op_sel_hi:[1,0]
	;;#ASMSTART
	v_pk_mul_f32 v[10:11], v[12:13], v[10:11]
	;;#ASMEND
	v_pk_add_f32 v[12:13], v[30:31], 1.0 op_sel_hi:[1,0]
	v_cvt_f32_u32_sdwa v29, v9 dst_sel:DWORD dst_unused:UNUSED_PAD src0_sel:WORD_1
	v_cvt_f32_u32_sdwa v28, v9 dst_sel:DWORD dst_unused:UNUSED_PAD src0_sel:WORD_0
	;;#ASMSTART
	v_pk_mul_f32 v[8:9], v[14:15], v[12:13]
	;;#ASMEND
	v_pk_add_f32 v[12:13], v[20:21], 1.0 op_sel_hi:[1,0]
	;;#ASMSTART
	v_pk_mul_f32 v[12:13], v[16:17], v[12:13]
	;;#ASMEND
	s_waitcnt vmcnt(0)
	v_cvt_f32_u32_sdwa v17, v2 dst_sel:DWORD dst_unused:UNUSED_PAD src0_sel:WORD_1
	v_cvt_f32_u32_sdwa v16, v2 dst_sel:DWORD dst_unused:UNUSED_PAD src0_sel:WORD_0
	v_cvt_f32_u32_sdwa v21, v3 dst_sel:DWORD dst_unused:UNUSED_PAD src0_sel:WORD_1
	v_cvt_f32_u32_sdwa v20, v3 dst_sel:DWORD dst_unused:UNUSED_PAD src0_sel:WORD_0
	v_pk_add_f32 v[14:15], v[28:29], 1.0 op_sel_hi:[1,0]
	;;#ASMSTART
	v_pk_mul_f32 v[14:15], v[18:19], v[14:15]
	;;#ASMEND
	v_pk_add_f32 v[2:3], v[16:17], 1.0 op_sel_hi:[1,0]
	v_cvt_f32_u32_sdwa v19, v4 dst_sel:DWORD dst_unused:UNUSED_PAD src0_sel:WORD_1
	v_cvt_f32_u32_sdwa v18, v4 dst_sel:DWORD dst_unused:UNUSED_PAD src0_sel:WORD_0
	;;#ASMSTART
	v_pk_mul_f32 v[16:17], v[26:27], v[2:3]
	;;#ASMEND
	v_pk_add_f32 v[2:3], v[20:21], 1.0 op_sel_hi:[1,0]
	v_cvt_f32_u32_sdwa v21, v5 dst_sel:DWORD dst_unused:UNUSED_PAD src0_sel:WORD_1
	v_cvt_f32_u32_sdwa v20, v5 dst_sel:DWORD dst_unused:UNUSED_PAD src0_sel:WORD_0
	s_add_u32 s28, s18, s0
	;;#ASMSTART
	v_pk_mul_f32 v[24:25], v[24:25], v[2:3]
	;;#ASMEND
	v_pk_add_f32 v[2:3], v[18:19], 1.0 op_sel_hi:[1,0]
	s_addc_u32 s0, s19, s1
	;;#ASMSTART
	v_pk_mul_f32 v[18:19], v[22:23], v[2:3]
	;;#ASMEND
	v_pk_add_f32 v[2:3], v[20:21], 1.0 op_sel_hi:[1,0]
	s_and_b32 s29, s0, 0xffff
	s_mov_b32 s0, 0x7060302
	;;#ASMSTART
	v_pk_mul_f32 v[6:7], v[6:7], v[2:3]
	;;#ASMEND
	v_perm_b32 v2, v11, v10, s0
	v_perm_b32 v3, v9, v8, s0
	;; [unrolled: 1-line block ×4, first 2 shown]
	buffer_store_dwordx4 v[2:5], v1, s[28:31], 0 offen
	;;#ASMSTART
	s_nop 0
	;;#ASMEND
	s_nop 0
	v_perm_b32 v2, v17, v16, s0
	v_perm_b32 v3, v25, v24, s0
	;; [unrolled: 1-line block ×4, first 2 shown]
	buffer_store_dwordx4 v[2:5], v1, s[28:31], 16 offen
	;;#ASMSTART
	s_nop 0
	;;#ASMEND
	s_endpgm
	.section	.rodata,"a",@progbits
	.p2align	6, 0x0
	.amdhsa_kernel _ZN5aiter35fused_qk_rmsnorm_group_quant_kernelItDB8_Li256ELi16ELi4ELb1ELb1ELb1ELb0ELb0ELb0EEEvPT0_PvPT_S6_S6_PKS5_S8_S8_S8_S8_ffiiiiiiiiiiiii
		.amdhsa_group_segment_fixed_size 32
		.amdhsa_private_segment_fixed_size 0
		.amdhsa_kernarg_size 400
		.amdhsa_user_sgpr_count 6
		.amdhsa_user_sgpr_private_segment_buffer 1
		.amdhsa_user_sgpr_dispatch_ptr 0
		.amdhsa_user_sgpr_queue_ptr 0
		.amdhsa_user_sgpr_kernarg_segment_ptr 1
		.amdhsa_user_sgpr_dispatch_id 0
		.amdhsa_user_sgpr_flat_scratch_init 0
		.amdhsa_user_sgpr_kernarg_preload_length 0
		.amdhsa_user_sgpr_kernarg_preload_offset 0
		.amdhsa_user_sgpr_private_segment_size 0
		.amdhsa_uses_dynamic_stack 0
		.amdhsa_system_sgpr_private_segment_wavefront_offset 0
		.amdhsa_system_sgpr_workgroup_id_x 1
		.amdhsa_system_sgpr_workgroup_id_y 1
		.amdhsa_system_sgpr_workgroup_id_z 0
		.amdhsa_system_sgpr_workgroup_info 0
		.amdhsa_system_vgpr_workitem_id 0
		.amdhsa_next_free_vgpr 88
		.amdhsa_next_free_sgpr 44
		.amdhsa_accum_offset 88
		.amdhsa_reserve_vcc 1
		.amdhsa_reserve_flat_scratch 0
		.amdhsa_float_round_mode_32 0
		.amdhsa_float_round_mode_16_64 0
		.amdhsa_float_denorm_mode_32 3
		.amdhsa_float_denorm_mode_16_64 3
		.amdhsa_dx10_clamp 1
		.amdhsa_ieee_mode 1
		.amdhsa_fp16_overflow 0
		.amdhsa_tg_split 0
		.amdhsa_exception_fp_ieee_invalid_op 0
		.amdhsa_exception_fp_denorm_src 0
		.amdhsa_exception_fp_ieee_div_zero 0
		.amdhsa_exception_fp_ieee_overflow 0
		.amdhsa_exception_fp_ieee_underflow 0
		.amdhsa_exception_fp_ieee_inexact 0
		.amdhsa_exception_int_div_zero 0
	.end_amdhsa_kernel
	.section	.text._ZN5aiter35fused_qk_rmsnorm_group_quant_kernelItDB8_Li256ELi16ELi4ELb1ELb1ELb1ELb0ELb0ELb0EEEvPT0_PvPT_S6_S6_PKS5_S8_S8_S8_S8_ffiiiiiiiiiiiii,"axG",@progbits,_ZN5aiter35fused_qk_rmsnorm_group_quant_kernelItDB8_Li256ELi16ELi4ELb1ELb1ELb1ELb0ELb0ELb0EEEvPT0_PvPT_S6_S6_PKS5_S8_S8_S8_S8_ffiiiiiiiiiiiii,comdat
.Lfunc_end810:
	.size	_ZN5aiter35fused_qk_rmsnorm_group_quant_kernelItDB8_Li256ELi16ELi4ELb1ELb1ELb1ELb0ELb0ELb0EEEvPT0_PvPT_S6_S6_PKS5_S8_S8_S8_S8_ffiiiiiiiiiiiii, .Lfunc_end810-_ZN5aiter35fused_qk_rmsnorm_group_quant_kernelItDB8_Li256ELi16ELi4ELb1ELb1ELb1ELb0ELb0ELb0EEEvPT0_PvPT_S6_S6_PKS5_S8_S8_S8_S8_ffiiiiiiiiiiiii
                                        ; -- End function
	.section	.AMDGPU.csdata,"",@progbits
; Kernel info:
; codeLenInByte = 4368
; NumSgprs: 48
; NumVgprs: 88
; NumAgprs: 0
; TotalNumVgprs: 88
; ScratchSize: 0
; MemoryBound: 0
; FloatMode: 240
; IeeeMode: 1
; LDSByteSize: 32 bytes/workgroup (compile time only)
; SGPRBlocks: 5
; VGPRBlocks: 10
; NumSGPRsForWavesPerEU: 48
; NumVGPRsForWavesPerEU: 88
; AccumOffset: 88
; Occupancy: 5
; WaveLimiterHint : 0
; COMPUTE_PGM_RSRC2:SCRATCH_EN: 0
; COMPUTE_PGM_RSRC2:USER_SGPR: 6
; COMPUTE_PGM_RSRC2:TRAP_HANDLER: 0
; COMPUTE_PGM_RSRC2:TGID_X_EN: 1
; COMPUTE_PGM_RSRC2:TGID_Y_EN: 1
; COMPUTE_PGM_RSRC2:TGID_Z_EN: 0
; COMPUTE_PGM_RSRC2:TIDIG_COMP_CNT: 0
; COMPUTE_PGM_RSRC3_GFX90A:ACCUM_OFFSET: 21
; COMPUTE_PGM_RSRC3_GFX90A:TG_SPLIT: 0
	.section	.text._ZN5aiter35fused_qk_rmsnorm_group_quant_kernelIDF16_N4opus5fp4_tELi256ELi16ELi4ELb1ELb1ELb1ELb0ELb0ELb0EEEvPT0_PvPT_S7_S7_PKS6_S9_S9_S9_S9_ffiiiiiiiiiiiii,"axG",@progbits,_ZN5aiter35fused_qk_rmsnorm_group_quant_kernelIDF16_N4opus5fp4_tELi256ELi16ELi4ELb1ELb1ELb1ELb0ELb0ELb0EEEvPT0_PvPT_S7_S7_PKS6_S9_S9_S9_S9_ffiiiiiiiiiiiii,comdat
	.protected	_ZN5aiter35fused_qk_rmsnorm_group_quant_kernelIDF16_N4opus5fp4_tELi256ELi16ELi4ELb1ELb1ELb1ELb0ELb0ELb0EEEvPT0_PvPT_S7_S7_PKS6_S9_S9_S9_S9_ffiiiiiiiiiiiii ; -- Begin function _ZN5aiter35fused_qk_rmsnorm_group_quant_kernelIDF16_N4opus5fp4_tELi256ELi16ELi4ELb1ELb1ELb1ELb0ELb0ELb0EEEvPT0_PvPT_S7_S7_PKS6_S9_S9_S9_S9_ffiiiiiiiiiiiii
	.globl	_ZN5aiter35fused_qk_rmsnorm_group_quant_kernelIDF16_N4opus5fp4_tELi256ELi16ELi4ELb1ELb1ELb1ELb0ELb0ELb0EEEvPT0_PvPT_S7_S7_PKS6_S9_S9_S9_S9_ffiiiiiiiiiiiii
	.p2align	8
	.type	_ZN5aiter35fused_qk_rmsnorm_group_quant_kernelIDF16_N4opus5fp4_tELi256ELi16ELi4ELb1ELb1ELb1ELb0ELb0ELb0EEEvPT0_PvPT_S7_S7_PKS6_S9_S9_S9_S9_ffiiiiiiiiiiiii,@function
_ZN5aiter35fused_qk_rmsnorm_group_quant_kernelIDF16_N4opus5fp4_tELi256ELi16ELi4ELb1ELb1ELb1ELb0ELb0ELb0EEEvPT0_PvPT_S7_S7_PKS6_S9_S9_S9_S9_ffiiiiiiiiiiiii: ; @_ZN5aiter35fused_qk_rmsnorm_group_quant_kernelIDF16_N4opus5fp4_tELi256ELi16ELi4ELb1ELb1ELb1ELb0ELb0ELb0EEEvPT0_PvPT_S7_S7_PKS6_S9_S9_S9_S9_ffiiiiiiiiiiiii
; %bb.0:
	s_load_dwordx8 s[20:27], s[4:5], 0x50
	s_waitcnt lgkmcnt(0)
	s_cmp_ge_i32 s6, s22
	s_cbranch_scc1 .LBB811_17
; %bb.1:
	s_cmp_lg_u32 s7, 0
	s_cselect_b64 s[30:31], -1, 0
	s_cmp_eq_u32 s7, 0
	s_cselect_b64 s[8:9], -1, 0
	s_and_b64 s[0:1], s[8:9], exec
	s_load_dwordx2 s[28:29], s[4:5], 0x48
	s_load_dwordx2 s[10:11], s[4:5], 0x30
	s_load_dwordx8 s[12:19], s[4:5], 0x70
	s_cselect_b32 s7, s23, s24
	s_add_i32 s0, s7, 1
	s_lshr_b32 s1, s0, 31
	s_add_i32 s0, s0, s1
	s_lshl_b32 s0, s0, 1
	v_lshlrev_b32_e32 v1, 4, v0
	s_and_b32 s38, s0, -4
	v_cmp_gt_i32_e64 s[0:1], s7, v1
	v_mov_b32_e32 v6, 0
	v_mov_b32_e32 v7, 0
	;; [unrolled: 1-line block ×16, first 2 shown]
	s_and_saveexec_b64 s[2:3], s[0:1]
	s_cbranch_execz .LBB811_3
; %bb.2:
	s_waitcnt lgkmcnt(0)
	s_load_dwordx2 s[18:19], s[4:5], 0x28
	s_load_dwordx2 s[34:35], s[4:5], 0x40
	s_and_b64 s[36:37], s[8:9], exec
	s_cselect_b32 s22, s25, s26
	s_mov_b32 s39, 0x20000
	s_waitcnt lgkmcnt(0)
	s_cselect_b32 s25, s19, s11
	s_cselect_b32 s33, s18, s10
	s_mul_hi_i32 s19, s22, s6
	s_mul_i32 s18, s22, s6
	s_lshl_b64 s[18:19], s[18:19], 1
	s_add_u32 s40, s33, s18
	s_addc_u32 s22, s25, s19
	s_and_b64 s[18:19], s[8:9], exec
	s_cselect_b32 s36, s34, s28
	s_cselect_b32 s18, s35, s29
	s_and_b32 s41, s22, 0xffff
	s_mov_b32 s42, s38
	s_mov_b32 s43, s39
	v_lshlrev_b32_e32 v18, 5, v0
	s_and_b32 s37, s18, 0xffff
	buffer_load_dwordx4 v[10:13], v18, s[40:43], 0 offen
	buffer_load_dwordx4 v[14:17], v18, s[40:43], 16 offen
	;; [unrolled: 1-line block ×4, first 2 shown]
.LBB811_3:
	s_or_b64 exec, exec, s[2:3]
	s_and_b64 vcc, exec, s[30:31]
	s_cbranch_vccz .LBB811_7
; %bb.4:
	v_mov_b32_e32 v19, 0
	v_mov_b32_e32 v18, 0
	;; [unrolled: 1-line block ×16, first 2 shown]
	s_and_saveexec_b64 s[2:3], s[0:1]
	s_cbranch_execz .LBB811_6
; %bb.5:
	s_waitcnt vmcnt(3)
	v_cvt_f32_f16_sdwa v29, v10 dst_sel:DWORD dst_unused:UNUSED_PAD src0_sel:WORD_1
	v_cvt_f32_f16_e32 v28, v10
	v_cvt_f32_f16_sdwa v33, v11 dst_sel:DWORD dst_unused:UNUSED_PAD src0_sel:WORD_1
	v_cvt_f32_f16_e32 v32, v11
	;; [unrolled: 2-line block ×4, first 2 shown]
	s_waitcnt vmcnt(2)
	v_cvt_f32_f16_sdwa v23, v14 dst_sel:DWORD dst_unused:UNUSED_PAD src0_sel:WORD_1
	v_cvt_f32_f16_e32 v22, v14
	v_cvt_f32_f16_sdwa v25, v15 dst_sel:DWORD dst_unused:UNUSED_PAD src0_sel:WORD_1
	v_cvt_f32_f16_e32 v24, v15
	;; [unrolled: 2-line block ×4, first 2 shown]
.LBB811_6:
	s_or_b64 exec, exec, s[2:3]
	s_cbranch_execz .LBB811_8
	s_branch .LBB811_11
.LBB811_7:
                                        ; implicit-def: $vgpr19
                                        ; implicit-def: $vgpr21
                                        ; implicit-def: $vgpr25
                                        ; implicit-def: $vgpr23
                                        ; implicit-def: $vgpr31
                                        ; implicit-def: $vgpr27
                                        ; implicit-def: $vgpr33
                                        ; implicit-def: $vgpr29
.LBB811_8:
	v_mov_b32_e32 v19, 0
	v_mov_b32_e32 v18, 0
	;; [unrolled: 1-line block ×16, first 2 shown]
	s_and_saveexec_b64 s[2:3], s[0:1]
	s_cbranch_execz .LBB811_10
; %bb.9:
	s_waitcnt lgkmcnt(0)
	s_load_dwordx2 s[18:19], s[4:5], 0x38
	s_mul_hi_i32 s35, s27, s6
	s_mul_i32 s34, s27, s6
	s_lshl_b64 s[34:35], s[34:35], 1
	s_mov_b32 s39, 0x20000
	s_waitcnt lgkmcnt(0)
	s_add_u32 s36, s18, s34
	s_addc_u32 s18, s19, s35
	s_and_b32 s37, s18, 0xffff
	v_lshlrev_b32_e32 v48, 5, v0
	buffer_load_dwordx4 v[18:21], v48, s[36:39], 16 offen
	buffer_load_dwordx4 v[22:25], v48, s[36:39], 0 offen
	s_waitcnt vmcnt(4)
	v_cvt_f32_f16_sdwa v27, v14 dst_sel:DWORD dst_unused:UNUSED_PAD src0_sel:WORD_1
	v_cvt_f32_f16_e32 v26, v14
	v_cvt_f32_f16_sdwa v29, v15 dst_sel:DWORD dst_unused:UNUSED_PAD src0_sel:WORD_1
	v_cvt_f32_f16_e32 v28, v15
	;; [unrolled: 2-line block ×8, first 2 shown]
	s_load_dwordx2 s[18:19], s[4:5], 0x20
	s_mul_hi_i32 s35, s17, s6
	s_mul_i32 s34, s17, s6
	s_lshl_b64 s[34:35], s[34:35], 1
	s_waitcnt lgkmcnt(0)
	s_add_u32 s36, s18, s34
	s_addc_u32 s17, s19, s35
	s_and_b32 s37, s17, 0xffff
	s_waitcnt vmcnt(1)
	v_cvt_f32_f16_e32 v12, v18
	v_cvt_f32_f16_sdwa v13, v18 dst_sel:DWORD dst_unused:UNUSED_PAD src0_sel:WORD_1
	v_cvt_f32_f16_e32 v18, v19
	v_cvt_f32_f16_sdwa v19, v19 dst_sel:DWORD dst_unused:UNUSED_PAD src0_sel:WORD_1
	;; [unrolled: 2-line block ×4, first 2 shown]
	s_waitcnt vmcnt(0)
	v_cvt_f32_f16_e32 v40, v22
	v_cvt_f32_f16_sdwa v41, v22 dst_sel:DWORD dst_unused:UNUSED_PAD src0_sel:WORD_1
	v_cvt_f32_f16_e32 v42, v23
	v_cvt_f32_f16_sdwa v43, v23 dst_sel:DWORD dst_unused:UNUSED_PAD src0_sel:WORD_1
	;; [unrolled: 2-line block ×4, first 2 shown]
	v_pk_add_f32 v[22:23], v[26:27], v[12:13]
	v_pk_add_f32 v[24:25], v[28:29], v[18:19]
	;; [unrolled: 1-line block ×8, first 2 shown]
	v_cvt_f16_f32_e32 v10, v29
	v_cvt_f16_f32_e32 v14, v28
	;; [unrolled: 1-line block ×16, first 2 shown]
	v_pack_b32_f16 v13, v17, v13
	v_pack_b32_f16 v12, v16, v12
	;; [unrolled: 1-line block ×8, first 2 shown]
	buffer_store_dwordx4 v[10:13], v48, s[36:39], 0 offen
	;;#ASMSTART
	s_nop 0
	;;#ASMEND
	buffer_store_dwordx4 v[14:17], v48, s[36:39], 16 offen
	;;#ASMSTART
	s_nop 0
	;;#ASMEND
.LBB811_10:
	s_or_b64 exec, exec, s[2:3]
.LBB811_11:
	s_waitcnt vmcnt(3)
	v_mul_f32_e32 v10, v29, v29
	v_fmac_f32_e32 v10, v28, v28
	v_fmac_f32_e32 v10, v32, v32
	v_fmac_f32_e32 v10, v33, v33
	v_fmac_f32_e32 v10, v26, v26
	v_fmac_f32_e32 v10, v27, v27
	v_fmac_f32_e32 v10, v30, v30
	v_fmac_f32_e32 v10, v31, v31
	v_fmac_f32_e32 v10, v22, v22
	v_fmac_f32_e32 v10, v23, v23
	v_fmac_f32_e32 v10, v24, v24
	v_fmac_f32_e32 v10, v25, v25
	v_fmac_f32_e32 v10, v20, v20
	v_fmac_f32_e32 v10, v21, v21
	v_fmac_f32_e32 v10, v18, v18
	v_fmac_f32_e32 v10, v19, v19
	v_and_b32_e32 v12, 63, v0
	v_cmp_eq_u32_e64 s[2:3], 63, v12
	v_mov_b32_dpp v11, v10 quad_perm:[1,0,3,2] row_mask:0xf bank_mask:0xf
	v_add_f32_e32 v10, v10, v11
	s_nop 1
	v_mov_b32_dpp v11, v10 quad_perm:[2,3,0,1] row_mask:0xf bank_mask:0xf
	v_add_f32_e32 v10, v10, v11
	s_nop 1
	v_mov_b32_dpp v11, v10 row_half_mirror row_mask:0xf bank_mask:0xf
	v_add_f32_e32 v10, v10, v11
	s_nop 1
	v_mov_b32_dpp v11, v10 row_mirror row_mask:0xf bank_mask:0xf
	v_add_f32_e32 v10, v10, v11
	s_nop 1
	v_mov_b32_dpp v11, v10 row_bcast:15 row_mask:0xf bank_mask:0xf
	v_add_f32_e32 v10, v10, v11
	s_nop 1
	v_mov_b32_dpp v11, v10 row_bcast:31 row_mask:0xf bank_mask:0xf
	s_waitcnt lgkmcnt(0)
	s_and_saveexec_b64 s[18:19], s[2:3]
	s_cbranch_execz .LBB811_13
; %bb.12:
	v_add_f32_e32 v10, v10, v11
	v_lshrrev_b32_e32 v11, 4, v0
	v_and_b32_e32 v11, 60, v11
	ds_write_b32 v11, v10 offset:16
.LBB811_13:
	s_or_b64 exec, exec, s[18:19]
	v_and_b32_e32 v10, 3, v0
	v_lshlrev_b32_e32 v34, 2, v10
	s_waitcnt lgkmcnt(0)
	s_barrier
	ds_read_b32 v11, v34 offset:16
	s_load_dwordx2 s[18:19], s[4:5], 0x18
	s_waitcnt lgkmcnt(0)
	v_mov_b32_dpp v12, v11 quad_perm:[1,0,3,2] row_mask:0xf bank_mask:0xf
	v_add_f32_e32 v11, v11, v12
	s_nop 1
	v_mov_b32_dpp v12, v11 quad_perm:[2,3,0,1] row_mask:0xf bank_mask:0xf
	s_and_saveexec_b64 s[34:35], s[0:1]
	s_cbranch_execnz .LBB811_18
; %bb.14:
	s_or_b64 exec, exec, s[34:35]
	s_mov_b64 s[8:9], -1
	s_and_b64 vcc, exec, s[30:31]
	s_cbranch_vccnz .LBB811_19
.LBB811_15:
	s_andn2_b64 vcc, exec, s[8:9]
	s_cbranch_vccz .LBB811_22
.LBB811_16:
	s_cmp_lt_i32 s24, 1
	s_cbranch_scc0 .LBB811_31
.LBB811_17:
	s_endpgm
.LBB811_18:
	v_cvt_f32_u32_e32 v13, s7
	v_add_f32_e32 v11, v11, v12
	s_waitcnt vmcnt(2)
	v_mov_b32_e32 v15, s21
	v_mov_b32_e32 v16, s20
	v_div_scale_f32 v12, s[36:37], v13, v13, v11
	v_rcp_f32_e32 v14, v12
	v_cndmask_b32_e64 v15, v15, v16, s[8:9]
	s_mov_b32 s7, 0x800000
	v_fma_f32 v16, -v12, v14, 1.0
	v_fmac_f32_e32 v14, v16, v14
	v_div_scale_f32 v16, vcc, v11, v13, v11
	v_mul_f32_e32 v17, v16, v14
	v_fma_f32 v35, -v12, v17, v16
	v_fmac_f32_e32 v17, v35, v14
	v_fma_f32 v12, -v12, v17, v16
	v_div_fmas_f32 v12, v12, v14, v17
	v_div_fixup_f32 v11, v12, v13, v11
	v_add_f32_e32 v11, v15, v11
	v_mul_f32_e32 v12, 0x4b800000, v11
	v_cmp_gt_f32_e32 vcc, s7, v11
	v_cndmask_b32_e32 v11, v11, v12, vcc
	v_rsq_f32_e32 v11, v11
	v_mul_f32_e32 v12, 0x45800000, v11
	v_cndmask_b32_e32 v12, v11, v12, vcc
	v_mov_b32_e32 v13, v12
	;;#ASMSTART
	v_pk_mul_f32 v[14:15], v[28:29], v[12:13]
	;;#ASMEND
	s_waitcnt vmcnt(1)
	v_cvt_f32_f16_sdwa v29, v6 dst_sel:DWORD dst_unused:UNUSED_PAD src0_sel:WORD_1
	v_cvt_f32_f16_e32 v28, v6
	;;#ASMSTART
	v_pk_mul_f32 v[16:17], v[32:33], v[12:13]
	;;#ASMEND
	v_cvt_f32_f16_sdwa v33, v7 dst_sel:DWORD dst_unused:UNUSED_PAD src0_sel:WORD_1
	v_cvt_f32_f16_e32 v32, v7
	;;#ASMSTART
	v_pk_mul_f32 v[26:27], v[26:27], v[12:13]
	;;#ASMEND
	;;#ASMSTART
	v_pk_mul_f32 v[30:31], v[30:31], v[12:13]
	;;#ASMEND
	;; [unrolled: 3-line block ×6, first 2 shown]
	v_pk_add_f32 v[12:13], v[28:29], 1.0 op_sel_hi:[1,0]
	;;#ASMSTART
	v_pk_mul_f32 v[28:29], v[14:15], v[12:13]
	;;#ASMEND
	v_cvt_f32_f16_sdwa v15, v8 dst_sel:DWORD dst_unused:UNUSED_PAD src0_sel:WORD_1
	v_cvt_f32_f16_e32 v14, v8
	v_cvt_f32_f16_sdwa v19, v9 dst_sel:DWORD dst_unused:UNUSED_PAD src0_sel:WORD_1
	v_cvt_f32_f16_e32 v18, v9
	v_pk_add_f32 v[12:13], v[32:33], 1.0 op_sel_hi:[1,0]
	;;#ASMSTART
	v_pk_mul_f32 v[32:33], v[16:17], v[12:13]
	;;#ASMEND
	s_waitcnt vmcnt(0)
	v_cvt_f32_f16_sdwa v13, v2 dst_sel:DWORD dst_unused:UNUSED_PAD src0_sel:WORD_1
	v_cvt_f32_f16_e32 v12, v2
	v_pk_add_f32 v[8:9], v[14:15], 1.0 op_sel_hi:[1,0]
	;;#ASMSTART
	v_pk_mul_f32 v[26:27], v[26:27], v[8:9]
	;;#ASMEND
	v_pk_add_f32 v[8:9], v[18:19], 1.0 op_sel_hi:[1,0]
	v_cvt_f32_f16_sdwa v15, v3 dst_sel:DWORD dst_unused:UNUSED_PAD src0_sel:WORD_1
	v_cvt_f32_f16_e32 v14, v3
	;;#ASMSTART
	v_pk_mul_f32 v[30:31], v[30:31], v[8:9]
	;;#ASMEND
	v_cvt_f32_f16_sdwa v9, v4 dst_sel:DWORD dst_unused:UNUSED_PAD src0_sel:WORD_1
	v_cvt_f32_f16_e32 v8, v4
	v_pk_add_f32 v[2:3], v[12:13], 1.0 op_sel_hi:[1,0]
	v_cvt_f32_f16_sdwa v13, v5 dst_sel:DWORD dst_unused:UNUSED_PAD src0_sel:WORD_1
	v_cvt_f32_f16_e32 v12, v5
	;;#ASMSTART
	v_pk_mul_f32 v[22:23], v[22:23], v[2:3]
	;;#ASMEND
	v_pk_add_f32 v[2:3], v[14:15], 1.0 op_sel_hi:[1,0]
	;;#ASMSTART
	v_pk_mul_f32 v[24:25], v[24:25], v[2:3]
	;;#ASMEND
	v_pk_add_f32 v[2:3], v[8:9], 1.0 op_sel_hi:[1,0]
	;; [unrolled: 4-line block ×3, first 2 shown]
	;;#ASMSTART
	v_pk_mul_f32 v[18:19], v[6:7], v[2:3]
	;;#ASMEND
	s_or_b64 exec, exec, s[34:35]
	s_mov_b64 s[8:9], -1
	s_and_b64 vcc, exec, s[30:31]
	s_cbranch_vccz .LBB811_15
.LBB811_19:
	s_and_saveexec_b64 s[8:9], s[0:1]
	s_cbranch_execz .LBB811_21
; %bb.20:
	s_mul_hi_i32 s31, s16, s6
	s_mul_i32 s30, s16, s6
	s_waitcnt vmcnt(0)
	v_cvt_f16_f32_e32 v2, v28
	v_cvt_f16_f32_e32 v3, v32
	;; [unrolled: 1-line block ×8, first 2 shown]
	s_lshl_b64 s[30:31], s[30:31], 1
	s_add_u32 s36, s18, s30
	s_addc_u32 s7, s19, s31
	s_and_b32 s37, s7, 0xffff
	s_mov_b32 s39, 0x20000
	v_pack_b32_f16 v5, v5, v6
	v_pack_b32_f16 v4, v4, v7
	;; [unrolled: 1-line block ×4, first 2 shown]
	v_lshlrev_b32_e32 v6, 5, v0
	buffer_store_dwordx4 v[2:5], v6, s[36:39], 0 offen
	v_cvt_f16_f32_e32 v7, v19
	v_cvt_f16_f32_e32 v2, v22
	;; [unrolled: 1-line block ×8, first 2 shown]
	v_pack_b32_f16 v5, v5, v7
	v_pack_b32_f16 v4, v4, v8
	;; [unrolled: 1-line block ×4, first 2 shown]
	;;#ASMSTART
	s_nop 0
	;;#ASMEND
	buffer_store_dwordx4 v[2:5], v6, s[36:39], 16 offen
	;;#ASMSTART
	s_nop 0
	;;#ASMEND
.LBB811_21:
	s_or_b64 exec, exec, s[8:9]
	s_cbranch_execnz .LBB811_16
.LBB811_22:
	s_waitcnt vmcnt(0)
	v_mov_b32_e32 v2, 0
	s_and_saveexec_b64 s[8:9], s[0:1]
	s_cbranch_execz .LBB811_24
; %bb.23:
	s_load_dwordx2 s[30:31], s[4:5], 0x10
	s_mul_hi_i32 s35, s15, s6
	s_mul_i32 s34, s15, s6
	v_cvt_f16_f32_e32 v2, v28
	v_cvt_f16_f32_e32 v3, v32
	;; [unrolled: 1-line block ×8, first 2 shown]
	s_lshl_b64 s[34:35], s[34:35], 1
	s_waitcnt lgkmcnt(0)
	s_add_u32 s36, s30, s34
	s_addc_u32 s7, s31, s35
	s_mov_b32 s39, 0x20000
	s_and_b32 s37, s7, 0xffff
	v_pack_b32_f16 v5, v5, v6
	v_pack_b32_f16 v4, v4, v7
	v_pack_b32_f16 v3, v3, v8
	v_pack_b32_f16 v2, v2, v9
	v_lshlrev_b32_e32 v6, 5, v0
	buffer_store_dwordx4 v[2:5], v6, s[36:39], 0 offen
	v_cvt_f16_f32_e32 v7, v19
	v_cvt_f16_f32_e32 v2, v22
	;; [unrolled: 1-line block ×8, first 2 shown]
	v_pack_b32_f16 v5, v5, v7
	v_pack_b32_f16 v4, v4, v8
	;; [unrolled: 1-line block ×4, first 2 shown]
	;;#ASMSTART
	s_nop 0
	;;#ASMEND
	buffer_store_dwordx4 v[2:5], v6, s[36:39], 16 offen
	;;#ASMSTART
	s_nop 0
	;;#ASMEND
	s_nop 0
	v_mov_b32_e32 v2, 0x2edbe6ff
.LBB811_24:
	s_or_b64 exec, exec, s[8:9]
	s_and_saveexec_b64 s[8:9], s[0:1]
	s_cbranch_execz .LBB811_26
; %bb.25:
	v_and_b32_e32 v3, 0x7fffffff, v28
	v_and_b32_e32 v4, 0x7fffffff, v29
	;;#ASMSTART
	v_max3_f32 v2, v2, v3, v4

	;;#ASMEND
	v_and_b32_e32 v3, 0x7fffffff, v32
	v_and_b32_e32 v4, 0x7fffffff, v33
	;;#ASMSTART
	v_max3_f32 v2, v2, v3, v4

	;;#ASMEND
	;; [unrolled: 6-line block ×8, first 2 shown]
.LBB811_26:
	s_or_b64 exec, exec, s[8:9]
	v_cmp_eq_u32_e32 vcc, 0, v10
	v_cmp_gt_i32_e64 s[8:9], s23, v1
	s_and_b64 s[30:31], vcc, s[8:9]
	;;#ASMSTART
	v_max_f32 v3, v2, v2 quad_perm:[1,0,3,2] row_mask:0xf bank_mask:0xf bound_ctrl:1
	;;#ASMEND
	;;#ASMSTART
	v_max_f32 v2, v3, v3 quad_perm:[2,3,0,1] row_mask:0xf bank_mask:0xf bound_ctrl:1
	;;#ASMEND
	s_and_saveexec_b64 s[8:9], s[30:31]
	s_cbranch_execz .LBB811_28
; %bb.27:
	s_load_dwordx2 s[30:31], s[4:5], 0x8
	v_mul_f32_e32 v2, 0x3e2aaaab, v2
	v_lshrrev_b32_e32 v3, 23, v2
	v_and_b32_e32 v4, 0x7f800000, v2
	v_and_b32_e32 v2, 0x7fffff, v2
	v_cmp_ne_u32_e32 vcc, 0, v2
	s_mul_hi_i32 s15, s13, s6
	s_mul_i32 s13, s13, s6
	s_mov_b32 s7, 0x7f800000
	v_addc_co_u32_e32 v2, vcc, 0, v3, vcc
	s_waitcnt lgkmcnt(0)
	s_add_u32 s30, s30, s13
	v_cmp_ne_u32_e32 vcc, s7, v4
	s_addc_u32 s31, s31, s15
	v_lshrrev_b32_e32 v5, 2, v0
	v_cndmask_b32_e32 v4, -1, v2, vcc
	v_pk_mov_b32 v[2:3], s[30:31], s[30:31] op_sel:[0,1]
	v_mad_i64_i32 v[2:3], s[14:15], s14, v5, v[2:3]
	global_store_byte v[2:3], v4, off
.LBB811_28:
	s_or_b64 exec, exec, s[8:9]
	s_and_saveexec_b64 s[8:9], s[0:1]
	s_cbranch_execz .LBB811_30
; %bb.29:
	s_load_dwordx2 s[0:1], s[4:5], 0x0
	s_mul_hi_i32 s7, s12, s6
	s_mul_i32 s12, s12, s6
	v_mov_b32_e32 v2, 0
	v_lshlrev_b32_e32 v4, 3, v0
	s_waitcnt lgkmcnt(0)
	s_add_u32 s12, s0, s12
	s_addc_u32 s0, s1, s7
	s_lshr_b32 s1, s23, 31
	s_add_i32 s1, s23, s1
	s_ashr_i32 s1, s1, 1
	s_add_i32 s1, s1, 3
	s_ashr_i32 s7, s1, 31
	s_lshr_b32 s7, s7, 30
	s_add_i32 s1, s1, s7
	s_and_b32 s14, s1, -4
	s_and_b32 s13, s0, 0xffff
	s_mov_b32 s15, 0x20000
	v_mov_b32_e32 v3, v2
	buffer_store_dwordx2 v[2:3], v4, s[12:15], 0 offen
	;;#ASMSTART
	s_nop 0
	;;#ASMEND
.LBB811_30:
	s_or_b64 exec, exec, s[8:9]
	s_cmp_lt_i32 s24, 1
	s_cbranch_scc1 .LBB811_17
.LBB811_31:
	s_load_dword s0, s[4:5], 0x94
	s_waitcnt lgkmcnt(0)
	s_cmp_lg_u32 s0, 1
	s_cbranch_scc1 .LBB811_17
; %bb.32:
	s_lshl_b32 s0, s24, 1
	s_add_i32 s0, s0, 2
	v_cmp_gt_u32_e32 vcc, s24, v1
	s_and_b32 s30, s0, -4
	v_mov_b32_e32 v18, 0
	v_lshlrev_b32_e32 v1, 5, v0
	s_waitcnt vmcnt(2)
	v_mov_b32_e32 v14, 0
	v_mov_b32_e32 v15, 0
	;; [unrolled: 1-line block ×8, first 2 shown]
	s_waitcnt vmcnt(1)
	v_mov_b32_e32 v6, 0
	v_mov_b32_e32 v7, 0
	v_mov_b32_e32 v8, 0
	v_mov_b32_e32 v9, 0
	s_waitcnt vmcnt(0)
	v_mov_b32_e32 v2, 0
	v_mov_b32_e32 v3, 0
	;; [unrolled: 1-line block ×4, first 2 shown]
	s_barrier
	s_and_saveexec_b64 s[0:1], vcc
	s_cbranch_execz .LBB811_34
; %bb.33:
	s_mul_hi_i32 s5, s26, s6
	s_mul_i32 s4, s26, s6
	s_and_b32 s29, s29, 0xffff
	s_lshl_b64 s[4:5], s[4:5], 1
	s_add_u32 s8, s10, s4
	s_mov_b32 s31, 0x20000
	s_addc_u32 s4, s11, s5
	s_and_b32 s9, s4, 0xffff
	s_mov_b32 s10, s30
	s_mov_b32 s11, s31
	buffer_load_dwordx4 v[14:17], v1, s[8:11], 0 offen
	buffer_load_dwordx4 v[10:13], v1, s[8:11], 16 offen
	;; [unrolled: 1-line block ×4, first 2 shown]
.LBB811_34:
	s_or_b64 exec, exec, s[0:1]
	v_mov_b32_e32 v19, 0
	v_mov_b32_e32 v32, 0
	v_mov_b32_e32 v33, 0
	v_mov_b32_e32 v30, 0
	v_mov_b32_e32 v31, 0
	v_mov_b32_e32 v28, 0
	v_mov_b32_e32 v29, 0
	v_mov_b32_e32 v26, 0
	v_mov_b32_e32 v27, 0
	v_mov_b32_e32 v24, 0
	v_mov_b32_e32 v25, 0
	v_mov_b32_e32 v22, 0
	v_mov_b32_e32 v23, 0
	v_mov_b32_e32 v20, 0
	v_mov_b32_e32 v21, 0
	s_and_saveexec_b64 s[0:1], vcc
	s_cbranch_execz .LBB811_36
; %bb.35:
	s_waitcnt vmcnt(3)
	v_cvt_f32_f16_sdwa v19, v14 dst_sel:DWORD dst_unused:UNUSED_PAD src0_sel:WORD_1
	v_cvt_f32_f16_e32 v18, v14
	v_cvt_f32_f16_sdwa v33, v15 dst_sel:DWORD dst_unused:UNUSED_PAD src0_sel:WORD_1
	v_cvt_f32_f16_e32 v32, v15
	;; [unrolled: 2-line block ×4, first 2 shown]
	s_waitcnt vmcnt(2)
	v_cvt_f32_f16_sdwa v27, v10 dst_sel:DWORD dst_unused:UNUSED_PAD src0_sel:WORD_1
	v_cvt_f32_f16_e32 v26, v10
	v_cvt_f32_f16_sdwa v25, v11 dst_sel:DWORD dst_unused:UNUSED_PAD src0_sel:WORD_1
	v_cvt_f32_f16_e32 v24, v11
	;; [unrolled: 2-line block ×4, first 2 shown]
.LBB811_36:
	s_or_b64 exec, exec, s[0:1]
	s_waitcnt vmcnt(2)
	v_mul_f32_e32 v10, v19, v19
	v_fmac_f32_e32 v10, v18, v18
	v_fmac_f32_e32 v10, v32, v32
	v_fmac_f32_e32 v10, v33, v33
	v_fmac_f32_e32 v10, v30, v30
	v_fmac_f32_e32 v10, v31, v31
	v_fmac_f32_e32 v10, v28, v28
	v_fmac_f32_e32 v10, v29, v29
	v_fmac_f32_e32 v10, v26, v26
	v_fmac_f32_e32 v10, v27, v27
	v_fmac_f32_e32 v10, v24, v24
	v_fmac_f32_e32 v10, v25, v25
	v_fmac_f32_e32 v10, v22, v22
	v_fmac_f32_e32 v10, v23, v23
	v_fmac_f32_e32 v10, v20, v20
	v_fmac_f32_e32 v10, v21, v21
	s_nop 1
	v_mov_b32_dpp v11, v10 quad_perm:[1,0,3,2] row_mask:0xf bank_mask:0xf
	v_add_f32_e32 v10, v10, v11
	s_nop 1
	v_mov_b32_dpp v11, v10 quad_perm:[2,3,0,1] row_mask:0xf bank_mask:0xf
	v_add_f32_e32 v10, v10, v11
	s_nop 1
	v_mov_b32_dpp v11, v10 row_half_mirror row_mask:0xf bank_mask:0xf
	v_add_f32_e32 v10, v10, v11
	s_nop 1
	v_mov_b32_dpp v11, v10 row_mirror row_mask:0xf bank_mask:0xf
	v_add_f32_e32 v10, v10, v11
	s_nop 1
	v_mov_b32_dpp v11, v10 row_bcast:15 row_mask:0xf bank_mask:0xf
	v_add_f32_e32 v10, v10, v11
	s_nop 1
	v_mov_b32_dpp v11, v10 row_bcast:31 row_mask:0xf bank_mask:0xf
	s_and_saveexec_b64 s[0:1], s[2:3]
	s_cbranch_execz .LBB811_38
; %bb.37:
	v_lshrrev_b32_e32 v0, 4, v0
	v_add_f32_e32 v10, v10, v11
	v_and_b32_e32 v0, 60, v0
	ds_write_b32 v0, v10
.LBB811_38:
	s_or_b64 exec, exec, s[0:1]
	s_waitcnt lgkmcnt(0)
	s_barrier
	ds_read_b32 v0, v34
	s_waitcnt lgkmcnt(0)
	s_nop 0
	v_mov_b32_dpp v10, v0 quad_perm:[1,0,3,2] row_mask:0xf bank_mask:0xf
	v_add_f32_e32 v0, v0, v10
	s_nop 1
	v_mov_b32_dpp v10, v0 quad_perm:[2,3,0,1] row_mask:0xf bank_mask:0xf
	s_and_saveexec_b64 s[0:1], vcc
	s_cbranch_execz .LBB811_17
; %bb.39:
	v_cvt_f32_u32_e32 v11, s24
	v_add_f32_e32 v0, v0, v10
	s_mov_b32 s31, 0x20000
	v_div_scale_f32 v10, s[0:1], v11, v11, v0
	v_rcp_f32_e32 v12, v10
	v_div_scale_f32 v13, vcc, v0, v11, v0
	s_mov_b32 s0, 0x800000
	v_fma_f32 v14, -v10, v12, 1.0
	v_fmac_f32_e32 v12, v14, v12
	v_mul_f32_e32 v14, v13, v12
	v_fma_f32 v15, -v10, v14, v13
	v_fmac_f32_e32 v14, v15, v12
	v_fma_f32 v10, -v10, v14, v13
	v_div_fmas_f32 v10, v10, v12, v14
	v_div_fixup_f32 v0, v10, v11, v0
	v_add_f32_e32 v0, s21, v0
	v_mul_f32_e32 v10, 0x4b800000, v0
	v_cmp_gt_f32_e32 vcc, s0, v0
	v_cndmask_b32_e32 v0, v0, v10, vcc
	v_rsq_f32_e32 v0, v0
	s_mul_hi_i32 s1, s16, s6
	s_mul_i32 s0, s16, s6
	s_lshl_b64 s[0:1], s[0:1], 1
	v_mul_f32_e32 v10, 0x45800000, v0
	v_cndmask_b32_e32 v10, v0, v10, vcc
	v_mov_b32_e32 v11, v10
	;;#ASMSTART
	v_pk_mul_f32 v[12:13], v[18:19], v[10:11]
	;;#ASMEND
	;;#ASMSTART
	v_pk_mul_f32 v[14:15], v[32:33], v[10:11]
	;;#ASMEND
	;; [unrolled: 3-line block ×4, first 2 shown]
	s_waitcnt vmcnt(1)
	v_cvt_f32_f16_sdwa v29, v6 dst_sel:DWORD dst_unused:UNUSED_PAD src0_sel:WORD_1
	v_cvt_f32_f16_e32 v28, v6
	v_cvt_f32_f16_sdwa v31, v7 dst_sel:DWORD dst_unused:UNUSED_PAD src0_sel:WORD_1
	v_cvt_f32_f16_e32 v30, v7
	;;#ASMSTART
	v_pk_mul_f32 v[26:27], v[26:27], v[10:11]
	;;#ASMEND
	;;#ASMSTART
	v_pk_mul_f32 v[24:25], v[24:25], v[10:11]
	;;#ASMEND
	;; [unrolled: 3-line block ×4, first 2 shown]
	v_cvt_f32_f16_sdwa v21, v8 dst_sel:DWORD dst_unused:UNUSED_PAD src0_sel:WORD_1
	v_cvt_f32_f16_e32 v20, v8
	v_pk_add_f32 v[10:11], v[28:29], 1.0 op_sel_hi:[1,0]
	;;#ASMSTART
	v_pk_mul_f32 v[10:11], v[12:13], v[10:11]
	;;#ASMEND
	v_pk_add_f32 v[12:13], v[30:31], 1.0 op_sel_hi:[1,0]
	v_cvt_f32_f16_sdwa v29, v9 dst_sel:DWORD dst_unused:UNUSED_PAD src0_sel:WORD_1
	v_cvt_f32_f16_e32 v28, v9
	;;#ASMSTART
	v_pk_mul_f32 v[8:9], v[14:15], v[12:13]
	;;#ASMEND
	v_pk_add_f32 v[12:13], v[20:21], 1.0 op_sel_hi:[1,0]
	;;#ASMSTART
	v_pk_mul_f32 v[12:13], v[16:17], v[12:13]
	;;#ASMEND
	s_waitcnt vmcnt(0)
	v_cvt_f32_f16_sdwa v17, v2 dst_sel:DWORD dst_unused:UNUSED_PAD src0_sel:WORD_1
	v_cvt_f32_f16_e32 v16, v2
	v_cvt_f32_f16_sdwa v21, v3 dst_sel:DWORD dst_unused:UNUSED_PAD src0_sel:WORD_1
	v_cvt_f32_f16_e32 v20, v3
	v_pk_add_f32 v[14:15], v[28:29], 1.0 op_sel_hi:[1,0]
	;;#ASMSTART
	v_pk_mul_f32 v[2:3], v[18:19], v[14:15]
	;;#ASMEND
	v_cvt_f32_f16_sdwa v19, v4 dst_sel:DWORD dst_unused:UNUSED_PAD src0_sel:WORD_1
	v_cvt_f32_f16_e32 v18, v4
	v_pk_add_f32 v[14:15], v[16:17], 1.0 op_sel_hi:[1,0]
	v_pk_add_f32 v[16:17], v[20:21], 1.0 op_sel_hi:[1,0]
	v_cvt_f32_f16_sdwa v21, v5 dst_sel:DWORD dst_unused:UNUSED_PAD src0_sel:WORD_1
	v_cvt_f32_f16_e32 v20, v5
	v_pk_add_f32 v[4:5], v[18:19], 1.0 op_sel_hi:[1,0]
	;;#ASMSTART
	v_pk_mul_f32 v[14:15], v[26:27], v[14:15]
	;;#ASMEND
	;;#ASMSTART
	v_pk_mul_f32 v[16:17], v[24:25], v[16:17]
	;;#ASMEND
	;; [unrolled: 3-line block ×3, first 2 shown]
	v_pk_add_f32 v[4:5], v[20:21], 1.0 op_sel_hi:[1,0]
	;;#ASMSTART
	v_pk_mul_f32 v[6:7], v[6:7], v[4:5]
	;;#ASMEND
	v_cvt_f16_f32_e32 v0, v10
	v_cvt_f16_f32_e32 v4, v11
	;; [unrolled: 1-line block ×8, first 2 shown]
	s_add_u32 s28, s18, s0
	s_addc_u32 s0, s19, s1
	s_and_b32 s29, s0, 0xffff
	v_pack_b32_f16 v2, v0, v4
	v_pack_b32_f16 v3, v5, v8
	;; [unrolled: 1-line block ×4, first 2 shown]
	buffer_store_dwordx4 v[2:5], v1, s[28:31], 0 offen
	v_cvt_f16_f32_e32 v0, v14
	v_cvt_f16_f32_e32 v2, v15
	;; [unrolled: 1-line block ×8, first 2 shown]
	v_pack_b32_f16 v2, v0, v2
	v_pack_b32_f16 v3, v3, v4
	;; [unrolled: 1-line block ×4, first 2 shown]
	;;#ASMSTART
	s_nop 0
	;;#ASMEND
	buffer_store_dwordx4 v[2:5], v1, s[28:31], 16 offen
	;;#ASMSTART
	s_nop 0
	;;#ASMEND
	s_endpgm
	.section	.rodata,"a",@progbits
	.p2align	6, 0x0
	.amdhsa_kernel _ZN5aiter35fused_qk_rmsnorm_group_quant_kernelIDF16_N4opus5fp4_tELi256ELi16ELi4ELb1ELb1ELb1ELb0ELb0ELb0EEEvPT0_PvPT_S7_S7_PKS6_S9_S9_S9_S9_ffiiiiiiiiiiiii
		.amdhsa_group_segment_fixed_size 32
		.amdhsa_private_segment_fixed_size 0
		.amdhsa_kernarg_size 400
		.amdhsa_user_sgpr_count 6
		.amdhsa_user_sgpr_private_segment_buffer 1
		.amdhsa_user_sgpr_dispatch_ptr 0
		.amdhsa_user_sgpr_queue_ptr 0
		.amdhsa_user_sgpr_kernarg_segment_ptr 1
		.amdhsa_user_sgpr_dispatch_id 0
		.amdhsa_user_sgpr_flat_scratch_init 0
		.amdhsa_user_sgpr_kernarg_preload_length 0
		.amdhsa_user_sgpr_kernarg_preload_offset 0
		.amdhsa_user_sgpr_private_segment_size 0
		.amdhsa_uses_dynamic_stack 0
		.amdhsa_system_sgpr_private_segment_wavefront_offset 0
		.amdhsa_system_sgpr_workgroup_id_x 1
		.amdhsa_system_sgpr_workgroup_id_y 1
		.amdhsa_system_sgpr_workgroup_id_z 0
		.amdhsa_system_sgpr_workgroup_info 0
		.amdhsa_system_vgpr_workitem_id 0
		.amdhsa_next_free_vgpr 49
		.amdhsa_next_free_sgpr 44
		.amdhsa_accum_offset 52
		.amdhsa_reserve_vcc 1
		.amdhsa_reserve_flat_scratch 0
		.amdhsa_float_round_mode_32 0
		.amdhsa_float_round_mode_16_64 0
		.amdhsa_float_denorm_mode_32 3
		.amdhsa_float_denorm_mode_16_64 3
		.amdhsa_dx10_clamp 1
		.amdhsa_ieee_mode 1
		.amdhsa_fp16_overflow 0
		.amdhsa_tg_split 0
		.amdhsa_exception_fp_ieee_invalid_op 0
		.amdhsa_exception_fp_denorm_src 0
		.amdhsa_exception_fp_ieee_div_zero 0
		.amdhsa_exception_fp_ieee_overflow 0
		.amdhsa_exception_fp_ieee_underflow 0
		.amdhsa_exception_fp_ieee_inexact 0
		.amdhsa_exception_int_div_zero 0
	.end_amdhsa_kernel
	.section	.text._ZN5aiter35fused_qk_rmsnorm_group_quant_kernelIDF16_N4opus5fp4_tELi256ELi16ELi4ELb1ELb1ELb1ELb0ELb0ELb0EEEvPT0_PvPT_S7_S7_PKS6_S9_S9_S9_S9_ffiiiiiiiiiiiii,"axG",@progbits,_ZN5aiter35fused_qk_rmsnorm_group_quant_kernelIDF16_N4opus5fp4_tELi256ELi16ELi4ELb1ELb1ELb1ELb0ELb0ELb0EEEvPT0_PvPT_S7_S7_PKS6_S9_S9_S9_S9_ffiiiiiiiiiiiii,comdat
.Lfunc_end811:
	.size	_ZN5aiter35fused_qk_rmsnorm_group_quant_kernelIDF16_N4opus5fp4_tELi256ELi16ELi4ELb1ELb1ELb1ELb0ELb0ELb0EEEvPT0_PvPT_S7_S7_PKS6_S9_S9_S9_S9_ffiiiiiiiiiiiii, .Lfunc_end811-_ZN5aiter35fused_qk_rmsnorm_group_quant_kernelIDF16_N4opus5fp4_tELi256ELi16ELi4ELb1ELb1ELb1ELb0ELb0ELb0EEEvPT0_PvPT_S7_S7_PKS6_S9_S9_S9_S9_ffiiiiiiiiiiiii
                                        ; -- End function
	.section	.AMDGPU.csdata,"",@progbits
; Kernel info:
; codeLenInByte = 4108
; NumSgprs: 48
; NumVgprs: 49
; NumAgprs: 0
; TotalNumVgprs: 49
; ScratchSize: 0
; MemoryBound: 0
; FloatMode: 240
; IeeeMode: 1
; LDSByteSize: 32 bytes/workgroup (compile time only)
; SGPRBlocks: 5
; VGPRBlocks: 6
; NumSGPRsForWavesPerEU: 48
; NumVGPRsForWavesPerEU: 49
; AccumOffset: 52
; Occupancy: 8
; WaveLimiterHint : 0
; COMPUTE_PGM_RSRC2:SCRATCH_EN: 0
; COMPUTE_PGM_RSRC2:USER_SGPR: 6
; COMPUTE_PGM_RSRC2:TRAP_HANDLER: 0
; COMPUTE_PGM_RSRC2:TGID_X_EN: 1
; COMPUTE_PGM_RSRC2:TGID_Y_EN: 1
; COMPUTE_PGM_RSRC2:TGID_Z_EN: 0
; COMPUTE_PGM_RSRC2:TIDIG_COMP_CNT: 0
; COMPUTE_PGM_RSRC3_GFX90A:ACCUM_OFFSET: 12
; COMPUTE_PGM_RSRC3_GFX90A:TG_SPLIT: 0
	.section	.text._ZN5aiter35fused_qk_rmsnorm_group_quant_kernelItN4opus5fp4_tELi256ELi16ELi4ELb1ELb1ELb1ELb0ELb0ELb0EEEvPT0_PvPT_S7_S7_PKS6_S9_S9_S9_S9_ffiiiiiiiiiiiii,"axG",@progbits,_ZN5aiter35fused_qk_rmsnorm_group_quant_kernelItN4opus5fp4_tELi256ELi16ELi4ELb1ELb1ELb1ELb0ELb0ELb0EEEvPT0_PvPT_S7_S7_PKS6_S9_S9_S9_S9_ffiiiiiiiiiiiii,comdat
	.protected	_ZN5aiter35fused_qk_rmsnorm_group_quant_kernelItN4opus5fp4_tELi256ELi16ELi4ELb1ELb1ELb1ELb0ELb0ELb0EEEvPT0_PvPT_S7_S7_PKS6_S9_S9_S9_S9_ffiiiiiiiiiiiii ; -- Begin function _ZN5aiter35fused_qk_rmsnorm_group_quant_kernelItN4opus5fp4_tELi256ELi16ELi4ELb1ELb1ELb1ELb0ELb0ELb0EEEvPT0_PvPT_S7_S7_PKS6_S9_S9_S9_S9_ffiiiiiiiiiiiii
	.globl	_ZN5aiter35fused_qk_rmsnorm_group_quant_kernelItN4opus5fp4_tELi256ELi16ELi4ELb1ELb1ELb1ELb0ELb0ELb0EEEvPT0_PvPT_S7_S7_PKS6_S9_S9_S9_S9_ffiiiiiiiiiiiii
	.p2align	8
	.type	_ZN5aiter35fused_qk_rmsnorm_group_quant_kernelItN4opus5fp4_tELi256ELi16ELi4ELb1ELb1ELb1ELb0ELb0ELb0EEEvPT0_PvPT_S7_S7_PKS6_S9_S9_S9_S9_ffiiiiiiiiiiiii,@function
_ZN5aiter35fused_qk_rmsnorm_group_quant_kernelItN4opus5fp4_tELi256ELi16ELi4ELb1ELb1ELb1ELb0ELb0ELb0EEEvPT0_PvPT_S7_S7_PKS6_S9_S9_S9_S9_ffiiiiiiiiiiiii: ; @_ZN5aiter35fused_qk_rmsnorm_group_quant_kernelItN4opus5fp4_tELi256ELi16ELi4ELb1ELb1ELb1ELb0ELb0ELb0EEEvPT0_PvPT_S7_S7_PKS6_S9_S9_S9_S9_ffiiiiiiiiiiiii
; %bb.0:
	s_load_dwordx8 s[20:27], s[4:5], 0x50
	s_waitcnt lgkmcnt(0)
	s_cmp_ge_i32 s6, s22
	s_cbranch_scc1 .LBB812_17
; %bb.1:
	s_load_dwordx2 s[28:29], s[4:5], 0x48
	s_load_dwordx2 s[10:11], s[4:5], 0x30
	s_load_dwordx8 s[12:19], s[4:5], 0x70
	s_cmp_lg_u32 s7, 0
	s_waitcnt lgkmcnt(0)
	s_cselect_b64 s[18:19], -1, 0
	s_cmp_eq_u32 s7, 0
	s_cselect_b64 s[8:9], -1, 0
	s_and_b64 s[0:1], s[8:9], exec
	s_cselect_b32 s7, s23, s24
	s_add_i32 s0, s7, 1
	s_lshr_b32 s1, s0, 31
	s_add_i32 s0, s0, s1
	s_lshl_b32 s0, s0, 1
	v_lshlrev_b32_e32 v1, 4, v0
	s_and_b32 s38, s0, -4
	v_cmp_gt_i32_e64 s[0:1], s7, v1
	v_mov_b32_e32 v62, 0
	v_mov_b32_e32 v63, 0
	;; [unrolled: 1-line block ×16, first 2 shown]
	s_and_saveexec_b64 s[2:3], s[0:1]
	s_cbranch_execz .LBB812_3
; %bb.2:
	s_load_dwordx2 s[30:31], s[4:5], 0x28
	s_load_dwordx2 s[34:35], s[4:5], 0x40
	s_and_b64 s[36:37], s[8:9], exec
	s_cselect_b32 s22, s25, s26
	s_mov_b32 s39, 0x20000
	s_waitcnt lgkmcnt(0)
	s_cselect_b32 s25, s31, s11
	s_cselect_b32 s33, s30, s10
	s_mul_hi_i32 s31, s22, s6
	s_mul_i32 s30, s22, s6
	s_lshl_b64 s[30:31], s[30:31], 1
	s_add_u32 s40, s33, s30
	s_addc_u32 s22, s25, s31
	s_and_b64 s[30:31], s[8:9], exec
	s_cselect_b32 s36, s34, s28
	s_cselect_b32 s25, s35, s29
	s_and_b32 s41, s22, 0xffff
	s_mov_b32 s42, s38
	s_mov_b32 s43, s39
	v_lshlrev_b32_e32 v2, 5, v0
	s_and_b32 s37, s25, 0xffff
	buffer_load_dwordx4 v[66:69], v2, s[40:43], 0 offen
	buffer_load_dwordx4 v[70:73], v2, s[40:43], 16 offen
	;; [unrolled: 1-line block ×4, first 2 shown]
.LBB812_3:
	s_or_b64 exec, exec, s[2:3]
	s_and_b64 vcc, exec, s[18:19]
	s_cbranch_vccz .LBB812_7
; %bb.4:
	v_mov_b32_e32 v75, 0
	v_mov_b32_e32 v74, 0
	;; [unrolled: 1-line block ×16, first 2 shown]
	s_and_saveexec_b64 s[2:3], s[0:1]
	s_cbranch_execz .LBB812_6
; %bb.5:
	s_waitcnt vmcnt(3)
	v_cvt_f32_u32_sdwa v2, v66 dst_sel:DWORD dst_unused:UNUSED_PAD src0_sel:WORD_0
	v_cvt_f32_u32_sdwa v3, v66 dst_sel:DWORD dst_unused:UNUSED_PAD src0_sel:WORD_1
	v_cvt_f32_u32_sdwa v6, v67 dst_sel:DWORD dst_unused:UNUSED_PAD src0_sel:WORD_0
	v_cvt_f32_u32_sdwa v7, v67 dst_sel:DWORD dst_unused:UNUSED_PAD src0_sel:WORD_1
	;; [unrolled: 2-line block ×4, first 2 shown]
	s_waitcnt vmcnt(2)
	v_cvt_f32_u32_sdwa v50, v70 dst_sel:DWORD dst_unused:UNUSED_PAD src0_sel:WORD_0
	v_cvt_f32_u32_sdwa v51, v70 dst_sel:DWORD dst_unused:UNUSED_PAD src0_sel:WORD_1
	v_cvt_f32_u32_sdwa v24, v71 dst_sel:DWORD dst_unused:UNUSED_PAD src0_sel:WORD_0
	v_cvt_f32_u32_sdwa v25, v71 dst_sel:DWORD dst_unused:UNUSED_PAD src0_sel:WORD_1
	;; [unrolled: 2-line block ×4, first 2 shown]
.LBB812_6:
	s_or_b64 exec, exec, s[2:3]
	s_cbranch_execz .LBB812_8
	s_branch .LBB812_11
.LBB812_7:
                                        ; implicit-def: $vgpr2_vgpr3_vgpr4_vgpr5_vgpr6_vgpr7_vgpr8_vgpr9_vgpr10_vgpr11_vgpr12_vgpr13_vgpr14_vgpr15_vgpr16_vgpr17
                                        ; implicit-def: $vgpr36_vgpr37_vgpr38_vgpr39_vgpr40_vgpr41_vgpr42_vgpr43_vgpr44_vgpr45_vgpr46_vgpr47_vgpr48_vgpr49_vgpr50_vgpr51
                                        ; implicit-def: $vgpr4_vgpr5_vgpr6_vgpr7_vgpr8_vgpr9_vgpr10_vgpr11_vgpr12_vgpr13_vgpr14_vgpr15_vgpr16_vgpr17_vgpr18_vgpr19
                                        ; implicit-def: $vgpr24_vgpr25_vgpr26_vgpr27_vgpr28_vgpr29_vgpr30_vgpr31_vgpr32_vgpr33_vgpr34_vgpr35_vgpr36_vgpr37_vgpr38_vgpr39
                                        ; implicit-def: $vgpr75
                                        ; implicit-def: $vgpr42_vgpr43_vgpr44_vgpr45_vgpr46_vgpr47_vgpr48_vgpr49_vgpr50_vgpr51_vgpr52_vgpr53_vgpr54_vgpr55_vgpr56_vgpr57
                                        ; implicit-def: $vgpr14_vgpr15_vgpr16_vgpr17_vgpr18_vgpr19_vgpr20_vgpr21_vgpr22_vgpr23_vgpr24_vgpr25_vgpr26_vgpr27_vgpr28_vgpr29
                                        ; implicit-def: $vgpr8_vgpr9_vgpr10_vgpr11_vgpr12_vgpr13_vgpr14_vgpr15_vgpr16_vgpr17_vgpr18_vgpr19_vgpr20_vgpr21_vgpr22_vgpr23
.LBB812_8:
	v_mov_b32_e32 v75, 0
	v_mov_b32_e32 v74, 0
	;; [unrolled: 1-line block ×16, first 2 shown]
	s_and_saveexec_b64 s[2:3], s[0:1]
	s_cbranch_execz .LBB812_10
; %bb.9:
	s_load_dwordx2 s[30:31], s[4:5], 0x38
	s_mul_hi_i32 s35, s27, s6
	s_mul_i32 s34, s27, s6
	s_lshl_b64 s[34:35], s[34:35], 1
	s_mov_b32 s39, 0x20000
	s_waitcnt lgkmcnt(0)
	s_add_u32 s36, s30, s34
	s_addc_u32 s22, s31, s35
	s_and_b32 s37, s22, 0xffff
	v_lshlrev_b32_e32 v38, 5, v0
	buffer_load_dwordx4 v[6:9], v38, s[36:39], 16 offen
	buffer_load_dwordx4 v[10:13], v38, s[36:39], 0 offen
	s_load_dwordx2 s[30:31], s[4:5], 0x20
	s_waitcnt vmcnt(5)
	v_cvt_f32_u32_sdwa v3, v66 dst_sel:DWORD dst_unused:UNUSED_PAD src0_sel:WORD_1
	v_cvt_f32_u32_sdwa v2, v66 dst_sel:DWORD dst_unused:UNUSED_PAD src0_sel:WORD_0
	v_cvt_f32_u32_sdwa v21, v67 dst_sel:DWORD dst_unused:UNUSED_PAD src0_sel:WORD_1
	v_cvt_f32_u32_sdwa v20, v67 dst_sel:DWORD dst_unused:UNUSED_PAD src0_sel:WORD_0
	;; [unrolled: 2-line block ×4, first 2 shown]
	s_waitcnt vmcnt(4)
	v_cvt_f32_u32_sdwa v5, v70 dst_sel:DWORD dst_unused:UNUSED_PAD src0_sel:WORD_1
	v_cvt_f32_u32_sdwa v4, v70 dst_sel:DWORD dst_unused:UNUSED_PAD src0_sel:WORD_0
	v_cvt_f32_u32_sdwa v15, v71 dst_sel:DWORD dst_unused:UNUSED_PAD src0_sel:WORD_1
	v_cvt_f32_u32_sdwa v14, v71 dst_sel:DWORD dst_unused:UNUSED_PAD src0_sel:WORD_0
	;; [unrolled: 2-line block ×3, first 2 shown]
	v_cvt_f32_u32_sdwa v18, v73 dst_sel:DWORD dst_unused:UNUSED_PAD src0_sel:WORD_0
	v_cvt_f32_u32_sdwa v19, v73 dst_sel:DWORD dst_unused:UNUSED_PAD src0_sel:WORD_1
	s_mul_hi_i32 s35, s17, s6
	s_mul_i32 s34, s17, s6
	s_lshl_b64 s[34:35], s[34:35], 1
	s_waitcnt lgkmcnt(0)
	s_add_u32 s36, s30, s34
	s_mov_b32 s17, 0x7060302
	s_addc_u32 s22, s31, s35
	s_and_b32 s37, s22, 0xffff
	s_waitcnt vmcnt(1)
	v_cvt_f32_u32_sdwa v27, v6 dst_sel:DWORD dst_unused:UNUSED_PAD src0_sel:WORD_1
	v_cvt_f32_u32_sdwa v26, v6 dst_sel:DWORD dst_unused:UNUSED_PAD src0_sel:WORD_0
	v_cvt_f32_u32_sdwa v29, v7 dst_sel:DWORD dst_unused:UNUSED_PAD src0_sel:WORD_1
	v_cvt_f32_u32_sdwa v28, v7 dst_sel:DWORD dst_unused:UNUSED_PAD src0_sel:WORD_0
	;; [unrolled: 2-line block ×3, first 2 shown]
	v_cvt_f32_u32_sdwa v34, v9 dst_sel:DWORD dst_unused:UNUSED_PAD src0_sel:WORD_0
	v_cvt_f32_u32_sdwa v35, v9 dst_sel:DWORD dst_unused:UNUSED_PAD src0_sel:WORD_1
	s_waitcnt vmcnt(0)
	v_cvt_f32_u32_sdwa v37, v10 dst_sel:DWORD dst_unused:UNUSED_PAD src0_sel:WORD_1
	v_cvt_f32_u32_sdwa v36, v10 dst_sel:DWORD dst_unused:UNUSED_PAD src0_sel:WORD_0
	v_cvt_f32_u32_sdwa v7, v12 dst_sel:DWORD dst_unused:UNUSED_PAD src0_sel:WORD_1
	v_cvt_f32_u32_sdwa v6, v12 dst_sel:DWORD dst_unused:UNUSED_PAD src0_sel:WORD_0
	;; [unrolled: 2-line block ×4, first 2 shown]
	v_pk_add_f32 v[40:41], v[22:23], v[6:7]
	v_pk_add_f32 v[30:31], v[24:25], v[8:9]
	;; [unrolled: 1-line block ×4, first 2 shown]
	v_perm_b32 v11, v31, v30, s17
	v_perm_b32 v10, v41, v40, s17
	;; [unrolled: 1-line block ×4, first 2 shown]
	v_pk_add_f32 v[74:75], v[18:19], v[34:35]
	v_pk_add_f32 v[20:21], v[16:17], v[32:33]
	v_pk_add_f32 v[24:25], v[14:15], v[28:29]
	v_pk_add_f32 v[50:51], v[4:5], v[26:27]
	buffer_store_dwordx4 v[8:11], v38, s[36:39], 0 offen
	;;#ASMSTART
	s_nop 0
	;;#ASMEND
	s_nop 0
	v_perm_b32 v11, v75, v74, s17
	v_perm_b32 v10, v21, v20, s17
	;; [unrolled: 1-line block ×4, first 2 shown]
	buffer_store_dwordx4 v[8:11], v38, s[36:39], 16 offen
	;;#ASMSTART
	s_nop 0
	;;#ASMEND
.LBB812_10:
	s_or_b64 exec, exec, s[2:3]
.LBB812_11:
	v_mul_f32_e32 v4, v3, v3
	v_fmac_f32_e32 v4, v2, v2
	v_fmac_f32_e32 v4, v6, v6
	;; [unrolled: 1-line block ×15, first 2 shown]
	s_nop 1
	v_mov_b32_dpp v5, v4 quad_perm:[1,0,3,2] row_mask:0xf bank_mask:0xf
	v_add_f32_e32 v4, v4, v5
	s_nop 1
	v_mov_b32_dpp v5, v4 quad_perm:[2,3,0,1] row_mask:0xf bank_mask:0xf
	v_add_f32_e32 v4, v4, v5
	s_nop 1
	v_mov_b32_dpp v5, v4 row_half_mirror row_mask:0xf bank_mask:0xf
	v_add_f32_e32 v4, v4, v5
	s_nop 1
	v_mov_b32_dpp v5, v4 row_mirror row_mask:0xf bank_mask:0xf
	v_add_f32_e32 v4, v4, v5
	s_nop 1
	v_mov_b32_dpp v5, v4 row_bcast:15 row_mask:0xf bank_mask:0xf
	v_add_f32_e32 v4, v4, v5
	v_and_b32_e32 v5, 63, v0
	v_cmp_eq_u32_e64 s[2:3], 63, v5
	s_nop 0
	v_mov_b32_dpp v5, v4 row_bcast:31 row_mask:0xf bank_mask:0xf
	s_and_saveexec_b64 s[30:31], s[2:3]
	s_cbranch_execz .LBB812_13
; %bb.12:
	v_add_f32_e32 v4, v4, v5
	v_lshrrev_b32_e32 v5, 4, v0
	v_and_b32_e32 v5, 60, v5
	ds_write_b32 v5, v4 offset:16
.LBB812_13:
	s_or_b64 exec, exec, s[30:31]
	v_and_b32_e32 v4, 3, v0
	v_lshlrev_b32_e32 v34, 2, v4
	s_waitcnt lgkmcnt(0)
	s_barrier
	ds_read_b32 v5, v34 offset:16
	s_load_dwordx2 s[34:35], s[4:5], 0x18
	s_waitcnt lgkmcnt(0)
	v_mov_b32_dpp v8, v5 quad_perm:[1,0,3,2] row_mask:0xf bank_mask:0xf
	v_add_f32_e32 v5, v5, v8
	s_nop 1
	v_mov_b32_dpp v8, v5 quad_perm:[2,3,0,1] row_mask:0xf bank_mask:0xf
	s_and_saveexec_b64 s[30:31], s[0:1]
	s_cbranch_execnz .LBB812_18
; %bb.14:
	s_or_b64 exec, exec, s[30:31]
	s_mov_b64 s[8:9], -1
	s_and_b64 vcc, exec, s[18:19]
	s_cbranch_vccnz .LBB812_19
.LBB812_15:
	s_andn2_b64 vcc, exec, s[8:9]
	s_cbranch_vccz .LBB812_22
.LBB812_16:
	s_cmp_lt_i32 s24, 1
	s_cbranch_scc0 .LBB812_31
.LBB812_17:
	s_endpgm
.LBB812_18:
	v_add_f32_e32 v5, v5, v8
	v_cvt_f32_u32_e32 v8, s7
	s_mov_b32 s7, 0x800000
	s_waitcnt vmcnt(1)
	v_cvt_f32_u32_sdwa v17, v62 dst_sel:DWORD dst_unused:UNUSED_PAD src0_sel:WORD_1
	v_cvt_f32_u32_sdwa v16, v62 dst_sel:DWORD dst_unused:UNUSED_PAD src0_sel:WORD_0
	v_div_scale_f32 v9, s[36:37], v8, v8, v5
	v_rcp_f32_e32 v10, v9
	v_pk_add_f32 v[16:17], v[16:17], 1.0 op_sel_hi:[1,0]
	v_cvt_f32_u32_sdwa v23, v64 dst_sel:DWORD dst_unused:UNUSED_PAD src0_sel:WORD_1
	v_cvt_f32_u32_sdwa v22, v64 dst_sel:DWORD dst_unused:UNUSED_PAD src0_sel:WORD_0
	v_fma_f32 v11, -v9, v10, 1.0
	v_fmac_f32_e32 v10, v11, v10
	v_div_scale_f32 v11, vcc, v5, v8, v5
	v_mul_f32_e32 v12, v11, v10
	v_fma_f32 v13, -v9, v12, v11
	v_fmac_f32_e32 v12, v13, v10
	v_fma_f32 v9, -v9, v12, v11
	v_div_fmas_f32 v9, v9, v10, v12
	v_div_fixup_f32 v5, v9, v8, v5
	v_mov_b32_e32 v8, s21
	v_mov_b32_e32 v9, s20
	v_cndmask_b32_e64 v8, v8, v9, s[8:9]
	v_add_f32_e32 v5, v8, v5
	v_mul_f32_e32 v8, 0x4b800000, v5
	v_cmp_gt_f32_e32 vcc, s7, v5
	v_cndmask_b32_e32 v5, v5, v8, vcc
	v_rsq_f32_e32 v5, v5
	s_waitcnt vmcnt(0)
	v_cvt_f32_u32_sdwa v27, v59 dst_sel:DWORD dst_unused:UNUSED_PAD src0_sel:WORD_1
	v_cvt_f32_u32_sdwa v26, v59 dst_sel:DWORD dst_unused:UNUSED_PAD src0_sel:WORD_0
	v_cvt_f32_u32_sdwa v29, v60 dst_sel:DWORD dst_unused:UNUSED_PAD src0_sel:WORD_1
	v_mul_f32_e32 v8, 0x45800000, v5
	v_cndmask_b32_e32 v8, v5, v8, vcc
	v_mov_b32_e32 v9, v8
	;;#ASMSTART
	v_pk_mul_f32 v[2:3], v[2:3], v[8:9]
	;;#ASMEND
	;;#ASMSTART
	v_pk_mul_f32 v[6:7], v[6:7], v[8:9]
	;;#ASMEND
	;; [unrolled: 3-line block ×9, first 2 shown]
	v_cvt_f32_u32_sdwa v17, v63 dst_sel:DWORD dst_unused:UNUSED_PAD src0_sel:WORD_1
	v_cvt_f32_u32_sdwa v16, v63 dst_sel:DWORD dst_unused:UNUSED_PAD src0_sel:WORD_0
	v_cvt_f32_u32_sdwa v25, v65 dst_sel:DWORD dst_unused:UNUSED_PAD src0_sel:WORD_1
	v_cvt_f32_u32_sdwa v24, v65 dst_sel:DWORD dst_unused:UNUSED_PAD src0_sel:WORD_0
	v_cvt_f32_u32_sdwa v28, v60 dst_sel:DWORD dst_unused:UNUSED_PAD src0_sel:WORD_0
	v_pk_add_f32 v[16:17], v[16:17], 1.0 op_sel_hi:[1,0]
	;;#ASMSTART
	v_pk_mul_f32 v[6:7], v[6:7], v[16:17]
	;;#ASMEND
	v_pk_add_f32 v[16:17], v[22:23], 1.0 op_sel_hi:[1,0]
	v_pk_add_f32 v[22:23], v[24:25], 1.0 op_sel_hi:[1,0]
	v_cvt_f32_u32_sdwa v25, v58 dst_sel:DWORD dst_unused:UNUSED_PAD src0_sel:WORD_1
	v_cvt_f32_u32_sdwa v24, v58 dst_sel:DWORD dst_unused:UNUSED_PAD src0_sel:WORD_0
	v_cvt_f32_u32_sdwa v31, v61 dst_sel:DWORD dst_unused:UNUSED_PAD src0_sel:WORD_1
	v_cvt_f32_u32_sdwa v30, v61 dst_sel:DWORD dst_unused:UNUSED_PAD src0_sel:WORD_0
	v_pk_add_f32 v[26:27], v[26:27], 1.0 op_sel_hi:[1,0]
	v_pk_add_f32 v[24:25], v[24:25], 1.0 op_sel_hi:[1,0]
	;; [unrolled: 1-line block ×4, first 2 shown]
	;;#ASMSTART
	v_pk_mul_f32 v[40:41], v[10:11], v[16:17]
	;;#ASMEND
	;;#ASMSTART
	v_pk_mul_f32 v[30:31], v[12:13], v[22:23]
	;;#ASMEND
	;; [unrolled: 3-line block ×6, first 2 shown]
	s_or_b64 exec, exec, s[30:31]
	s_mov_b64 s[8:9], -1
	s_and_b64 vcc, exec, s[18:19]
	s_cbranch_vccz .LBB812_15
.LBB812_19:
	s_and_saveexec_b64 s[8:9], s[0:1]
	s_cbranch_execz .LBB812_21
; %bb.20:
	s_mul_hi_i32 s19, s16, s6
	s_mul_i32 s18, s16, s6
	s_lshl_b64 s[18:19], s[18:19], 1
	s_add_u32 s36, s34, s18
	s_addc_u32 s7, s35, s19
	s_and_b32 s37, s7, 0xffff
	s_mov_b32 s7, 0x7060302
	s_mov_b32 s39, 0x20000
	v_perm_b32 v11, v31, v30, s7
	v_perm_b32 v10, v41, v40, s7
	;; [unrolled: 1-line block ×4, first 2 shown]
	v_lshlrev_b32_e32 v5, 5, v0
	buffer_store_dwordx4 v[8:11], v5, s[36:39], 0 offen
	;;#ASMSTART
	s_nop 0
	;;#ASMEND
	s_nop 0
	v_perm_b32 v11, v75, v74, s7
	v_perm_b32 v10, v21, v20, s7
	;; [unrolled: 1-line block ×4, first 2 shown]
	buffer_store_dwordx4 v[8:11], v5, s[36:39], 16 offen
	;;#ASMSTART
	s_nop 0
	;;#ASMEND
.LBB812_21:
	s_or_b64 exec, exec, s[8:9]
	s_cbranch_execnz .LBB812_16
.LBB812_22:
	v_mov_b32_e32 v5, 0
	s_and_saveexec_b64 s[8:9], s[0:1]
	s_cbranch_execz .LBB812_24
; %bb.23:
	s_load_dwordx2 s[18:19], s[4:5], 0x10
	s_mul_hi_i32 s31, s15, s6
	s_mul_i32 s30, s15, s6
	s_lshl_b64 s[30:31], s[30:31], 1
	s_mov_b32 s39, 0x20000
	s_waitcnt lgkmcnt(0)
	s_add_u32 s36, s18, s30
	s_addc_u32 s7, s19, s31
	s_and_b32 s37, s7, 0xffff
	s_mov_b32 s7, 0x7060302
	v_perm_b32 v11, v31, v30, s7
	v_perm_b32 v10, v41, v40, s7
	;; [unrolled: 1-line block ×4, first 2 shown]
	v_lshlrev_b32_e32 v5, 5, v0
	buffer_store_dwordx4 v[8:11], v5, s[36:39], 0 offen
	;;#ASMSTART
	s_nop 0
	;;#ASMEND
	s_nop 0
	v_perm_b32 v11, v75, v74, s7
	v_perm_b32 v10, v21, v20, s7
	v_perm_b32 v9, v25, v24, s7
	v_perm_b32 v8, v51, v50, s7
	buffer_store_dwordx4 v[8:11], v5, s[36:39], 16 offen
	v_mov_b32_e32 v5, 0x2edbe6ff
	;;#ASMSTART
	s_nop 0
	;;#ASMEND
.LBB812_24:
	s_or_b64 exec, exec, s[8:9]
	s_and_saveexec_b64 s[8:9], s[0:1]
	s_cbranch_execz .LBB812_26
; %bb.25:
	v_and_b32_e32 v2, 0x7fffffff, v2
	v_and_b32_e32 v3, 0x7fffffff, v3
	;;#ASMSTART
	v_max3_f32 v2, v5, v2, v3

	;;#ASMEND
	v_and_b32_e32 v6, 0x7fffffff, v6
	v_and_b32_e32 v7, 0x7fffffff, v7
	;;#ASMSTART
	v_max3_f32 v2, v2, v6, v7

	;;#ASMEND
	;; [unrolled: 6-line block ×8, first 2 shown]
.LBB812_26:
	s_or_b64 exec, exec, s[8:9]
	v_cmp_eq_u32_e32 vcc, 0, v4
	v_cmp_gt_i32_e64 s[8:9], s23, v1
	s_and_b64 s[18:19], vcc, s[8:9]
	;;#ASMSTART
	v_max_f32 v3, v5, v5 quad_perm:[1,0,3,2] row_mask:0xf bank_mask:0xf bound_ctrl:1
	;;#ASMEND
	;;#ASMSTART
	v_max_f32 v2, v3, v3 quad_perm:[2,3,0,1] row_mask:0xf bank_mask:0xf bound_ctrl:1
	;;#ASMEND
	s_and_saveexec_b64 s[8:9], s[18:19]
	s_cbranch_execz .LBB812_28
; %bb.27:
	s_load_dwordx2 s[18:19], s[4:5], 0x8
	v_mul_f32_e32 v2, 0x3e2aaaab, v2
	v_lshrrev_b32_e32 v3, 23, v2
	v_and_b32_e32 v4, 0x7f800000, v2
	v_and_b32_e32 v2, 0x7fffff, v2
	v_cmp_ne_u32_e32 vcc, 0, v2
	s_mul_hi_i32 s15, s13, s6
	s_mul_i32 s13, s13, s6
	s_mov_b32 s7, 0x7f800000
	v_addc_co_u32_e32 v2, vcc, 0, v3, vcc
	s_waitcnt lgkmcnt(0)
	s_add_u32 s18, s18, s13
	v_cmp_ne_u32_e32 vcc, s7, v4
	s_addc_u32 s19, s19, s15
	v_lshrrev_b32_e32 v5, 2, v0
	v_cndmask_b32_e32 v4, -1, v2, vcc
	v_pk_mov_b32 v[2:3], s[18:19], s[18:19] op_sel:[0,1]
	v_mad_i64_i32 v[2:3], s[14:15], s14, v5, v[2:3]
	global_store_byte v[2:3], v4, off
.LBB812_28:
	s_or_b64 exec, exec, s[8:9]
	s_and_saveexec_b64 s[8:9], s[0:1]
	s_cbranch_execz .LBB812_30
; %bb.29:
	s_load_dwordx2 s[0:1], s[4:5], 0x0
	s_mul_hi_i32 s7, s12, s6
	s_mul_i32 s12, s12, s6
	v_mov_b32_e32 v2, 0
	v_lshlrev_b32_e32 v4, 3, v0
	s_waitcnt lgkmcnt(0)
	s_add_u32 s12, s0, s12
	s_addc_u32 s0, s1, s7
	s_lshr_b32 s1, s23, 31
	s_add_i32 s1, s23, s1
	s_ashr_i32 s1, s1, 1
	s_add_i32 s1, s1, 3
	s_ashr_i32 s7, s1, 31
	s_lshr_b32 s7, s7, 30
	s_add_i32 s1, s1, s7
	s_and_b32 s14, s1, -4
	s_and_b32 s13, s0, 0xffff
	s_mov_b32 s15, 0x20000
	v_mov_b32_e32 v3, v2
	buffer_store_dwordx2 v[2:3], v4, s[12:15], 0 offen
	;;#ASMSTART
	s_nop 0
	;;#ASMEND
.LBB812_30:
	s_or_b64 exec, exec, s[8:9]
	s_cmp_lt_i32 s24, 1
	s_cbranch_scc1 .LBB812_17
.LBB812_31:
	s_load_dword s0, s[4:5], 0x94
	s_waitcnt lgkmcnt(0)
	s_cmp_lg_u32 s0, 1
	s_cbranch_scc1 .LBB812_17
; %bb.32:
	s_lshl_b32 s0, s24, 1
	s_add_i32 s0, s0, 2
	v_cmp_gt_u32_e32 vcc, s24, v1
	s_and_b32 s30, s0, -4
	v_mov_b32_e32 v18, 0
	v_lshlrev_b32_e32 v1, 5, v0
	v_mov_b32_e32 v14, 0
	v_mov_b32_e32 v15, 0
	;; [unrolled: 1-line block ×16, first 2 shown]
	s_barrier
	s_and_saveexec_b64 s[0:1], vcc
	s_cbranch_execz .LBB812_34
; %bb.33:
	s_mul_hi_i32 s5, s26, s6
	s_mul_i32 s4, s26, s6
	s_and_b32 s29, s29, 0xffff
	s_lshl_b64 s[4:5], s[4:5], 1
	s_add_u32 s8, s10, s4
	s_mov_b32 s31, 0x20000
	s_addc_u32 s4, s11, s5
	s_and_b32 s9, s4, 0xffff
	s_mov_b32 s10, s30
	s_mov_b32 s11, s31
	buffer_load_dwordx4 v[14:17], v1, s[8:11], 0 offen
	buffer_load_dwordx4 v[10:13], v1, s[8:11], 16 offen
	;; [unrolled: 1-line block ×4, first 2 shown]
.LBB812_34:
	s_or_b64 exec, exec, s[0:1]
	v_mov_b32_e32 v19, 0
	v_mov_b32_e32 v32, 0
	;; [unrolled: 1-line block ×15, first 2 shown]
	s_and_saveexec_b64 s[0:1], vcc
	s_cbranch_execz .LBB812_36
; %bb.35:
	s_waitcnt vmcnt(3)
	v_cvt_f32_u32_sdwa v18, v14 dst_sel:DWORD dst_unused:UNUSED_PAD src0_sel:WORD_0
	v_cvt_f32_u32_sdwa v19, v14 dst_sel:DWORD dst_unused:UNUSED_PAD src0_sel:WORD_1
	v_cvt_f32_u32_sdwa v32, v15 dst_sel:DWORD dst_unused:UNUSED_PAD src0_sel:WORD_0
	v_cvt_f32_u32_sdwa v33, v15 dst_sel:DWORD dst_unused:UNUSED_PAD src0_sel:WORD_1
	;; [unrolled: 2-line block ×4, first 2 shown]
	s_waitcnt vmcnt(2)
	v_cvt_f32_u32_sdwa v26, v10 dst_sel:DWORD dst_unused:UNUSED_PAD src0_sel:WORD_0
	v_cvt_f32_u32_sdwa v27, v10 dst_sel:DWORD dst_unused:UNUSED_PAD src0_sel:WORD_1
	v_cvt_f32_u32_sdwa v24, v11 dst_sel:DWORD dst_unused:UNUSED_PAD src0_sel:WORD_0
	v_cvt_f32_u32_sdwa v25, v11 dst_sel:DWORD dst_unused:UNUSED_PAD src0_sel:WORD_1
	;; [unrolled: 2-line block ×4, first 2 shown]
.LBB812_36:
	s_or_b64 exec, exec, s[0:1]
	s_waitcnt vmcnt(2)
	v_mul_f32_e32 v10, v19, v19
	v_fmac_f32_e32 v10, v18, v18
	v_fmac_f32_e32 v10, v32, v32
	;; [unrolled: 1-line block ×15, first 2 shown]
	s_nop 1
	v_mov_b32_dpp v11, v10 quad_perm:[1,0,3,2] row_mask:0xf bank_mask:0xf
	v_add_f32_e32 v10, v10, v11
	s_nop 1
	v_mov_b32_dpp v11, v10 quad_perm:[2,3,0,1] row_mask:0xf bank_mask:0xf
	v_add_f32_e32 v10, v10, v11
	s_nop 1
	v_mov_b32_dpp v11, v10 row_half_mirror row_mask:0xf bank_mask:0xf
	v_add_f32_e32 v10, v10, v11
	s_nop 1
	v_mov_b32_dpp v11, v10 row_mirror row_mask:0xf bank_mask:0xf
	v_add_f32_e32 v10, v10, v11
	s_nop 1
	v_mov_b32_dpp v11, v10 row_bcast:15 row_mask:0xf bank_mask:0xf
	v_add_f32_e32 v10, v10, v11
	s_nop 1
	v_mov_b32_dpp v11, v10 row_bcast:31 row_mask:0xf bank_mask:0xf
	s_and_saveexec_b64 s[0:1], s[2:3]
	s_cbranch_execz .LBB812_38
; %bb.37:
	v_lshrrev_b32_e32 v0, 4, v0
	v_add_f32_e32 v10, v10, v11
	v_and_b32_e32 v0, 60, v0
	ds_write_b32 v0, v10
.LBB812_38:
	s_or_b64 exec, exec, s[0:1]
	s_waitcnt lgkmcnt(0)
	s_barrier
	ds_read_b32 v0, v34
	s_waitcnt lgkmcnt(0)
	s_nop 0
	v_mov_b32_dpp v10, v0 quad_perm:[1,0,3,2] row_mask:0xf bank_mask:0xf
	v_add_f32_e32 v0, v0, v10
	s_nop 1
	v_mov_b32_dpp v10, v0 quad_perm:[2,3,0,1] row_mask:0xf bank_mask:0xf
	s_and_saveexec_b64 s[0:1], vcc
	s_cbranch_execz .LBB812_17
; %bb.39:
	v_cvt_f32_u32_e32 v11, s24
	v_add_f32_e32 v0, v0, v10
	s_mov_b32 s31, 0x20000
	v_div_scale_f32 v10, s[0:1], v11, v11, v0
	v_rcp_f32_e32 v12, v10
	v_div_scale_f32 v13, vcc, v0, v11, v0
	s_mov_b32 s0, 0x800000
	v_fma_f32 v14, -v10, v12, 1.0
	v_fmac_f32_e32 v12, v14, v12
	v_mul_f32_e32 v14, v13, v12
	v_fma_f32 v15, -v10, v14, v13
	v_fmac_f32_e32 v14, v15, v12
	v_fma_f32 v10, -v10, v14, v13
	v_div_fmas_f32 v10, v10, v12, v14
	v_div_fixup_f32 v0, v10, v11, v0
	v_add_f32_e32 v0, s21, v0
	v_mul_f32_e32 v10, 0x4b800000, v0
	v_cmp_gt_f32_e32 vcc, s0, v0
	v_cndmask_b32_e32 v0, v0, v10, vcc
	v_rsq_f32_e32 v0, v0
	s_mul_hi_i32 s1, s16, s6
	s_mul_i32 s0, s16, s6
	s_lshl_b64 s[0:1], s[0:1], 1
	v_mul_f32_e32 v10, 0x45800000, v0
	v_cndmask_b32_e32 v10, v0, v10, vcc
	v_mov_b32_e32 v11, v10
	;;#ASMSTART
	v_pk_mul_f32 v[12:13], v[18:19], v[10:11]
	;;#ASMEND
	;;#ASMSTART
	v_pk_mul_f32 v[14:15], v[32:33], v[10:11]
	;;#ASMEND
	;; [unrolled: 3-line block ×4, first 2 shown]
	s_waitcnt vmcnt(1)
	v_cvt_f32_u32_sdwa v29, v6 dst_sel:DWORD dst_unused:UNUSED_PAD src0_sel:WORD_1
	v_cvt_f32_u32_sdwa v28, v6 dst_sel:DWORD dst_unused:UNUSED_PAD src0_sel:WORD_0
	v_cvt_f32_u32_sdwa v31, v7 dst_sel:DWORD dst_unused:UNUSED_PAD src0_sel:WORD_1
	v_cvt_f32_u32_sdwa v30, v7 dst_sel:DWORD dst_unused:UNUSED_PAD src0_sel:WORD_0
	;;#ASMSTART
	v_pk_mul_f32 v[26:27], v[26:27], v[10:11]
	;;#ASMEND
	;;#ASMSTART
	v_pk_mul_f32 v[24:25], v[24:25], v[10:11]
	;;#ASMEND
	;; [unrolled: 3-line block ×4, first 2 shown]
	v_cvt_f32_u32_sdwa v21, v8 dst_sel:DWORD dst_unused:UNUSED_PAD src0_sel:WORD_1
	v_cvt_f32_u32_sdwa v20, v8 dst_sel:DWORD dst_unused:UNUSED_PAD src0_sel:WORD_0
	v_pk_add_f32 v[10:11], v[28:29], 1.0 op_sel_hi:[1,0]
	;;#ASMSTART
	v_pk_mul_f32 v[10:11], v[12:13], v[10:11]
	;;#ASMEND
	v_pk_add_f32 v[12:13], v[30:31], 1.0 op_sel_hi:[1,0]
	v_cvt_f32_u32_sdwa v29, v9 dst_sel:DWORD dst_unused:UNUSED_PAD src0_sel:WORD_1
	v_cvt_f32_u32_sdwa v28, v9 dst_sel:DWORD dst_unused:UNUSED_PAD src0_sel:WORD_0
	;;#ASMSTART
	v_pk_mul_f32 v[8:9], v[14:15], v[12:13]
	;;#ASMEND
	v_pk_add_f32 v[12:13], v[20:21], 1.0 op_sel_hi:[1,0]
	;;#ASMSTART
	v_pk_mul_f32 v[12:13], v[16:17], v[12:13]
	;;#ASMEND
	s_waitcnt vmcnt(0)
	v_cvt_f32_u32_sdwa v17, v2 dst_sel:DWORD dst_unused:UNUSED_PAD src0_sel:WORD_1
	v_cvt_f32_u32_sdwa v16, v2 dst_sel:DWORD dst_unused:UNUSED_PAD src0_sel:WORD_0
	v_cvt_f32_u32_sdwa v21, v3 dst_sel:DWORD dst_unused:UNUSED_PAD src0_sel:WORD_1
	v_cvt_f32_u32_sdwa v20, v3 dst_sel:DWORD dst_unused:UNUSED_PAD src0_sel:WORD_0
	v_pk_add_f32 v[14:15], v[28:29], 1.0 op_sel_hi:[1,0]
	;;#ASMSTART
	v_pk_mul_f32 v[14:15], v[18:19], v[14:15]
	;;#ASMEND
	v_pk_add_f32 v[2:3], v[16:17], 1.0 op_sel_hi:[1,0]
	v_cvt_f32_u32_sdwa v19, v4 dst_sel:DWORD dst_unused:UNUSED_PAD src0_sel:WORD_1
	v_cvt_f32_u32_sdwa v18, v4 dst_sel:DWORD dst_unused:UNUSED_PAD src0_sel:WORD_0
	;;#ASMSTART
	v_pk_mul_f32 v[16:17], v[26:27], v[2:3]
	;;#ASMEND
	v_pk_add_f32 v[2:3], v[20:21], 1.0 op_sel_hi:[1,0]
	v_cvt_f32_u32_sdwa v21, v5 dst_sel:DWORD dst_unused:UNUSED_PAD src0_sel:WORD_1
	v_cvt_f32_u32_sdwa v20, v5 dst_sel:DWORD dst_unused:UNUSED_PAD src0_sel:WORD_0
	s_add_u32 s28, s34, s0
	;;#ASMSTART
	v_pk_mul_f32 v[24:25], v[24:25], v[2:3]
	;;#ASMEND
	v_pk_add_f32 v[2:3], v[18:19], 1.0 op_sel_hi:[1,0]
	s_addc_u32 s0, s35, s1
	;;#ASMSTART
	v_pk_mul_f32 v[18:19], v[22:23], v[2:3]
	;;#ASMEND
	v_pk_add_f32 v[2:3], v[20:21], 1.0 op_sel_hi:[1,0]
	s_and_b32 s29, s0, 0xffff
	s_mov_b32 s0, 0x7060302
	;;#ASMSTART
	v_pk_mul_f32 v[6:7], v[6:7], v[2:3]
	;;#ASMEND
	v_perm_b32 v2, v11, v10, s0
	v_perm_b32 v3, v9, v8, s0
	;; [unrolled: 1-line block ×4, first 2 shown]
	buffer_store_dwordx4 v[2:5], v1, s[28:31], 0 offen
	;;#ASMSTART
	s_nop 0
	;;#ASMEND
	s_nop 0
	v_perm_b32 v2, v17, v16, s0
	v_perm_b32 v3, v25, v24, s0
	;; [unrolled: 1-line block ×4, first 2 shown]
	buffer_store_dwordx4 v[2:5], v1, s[28:31], 16 offen
	;;#ASMSTART
	s_nop 0
	;;#ASMEND
	s_endpgm
	.section	.rodata,"a",@progbits
	.p2align	6, 0x0
	.amdhsa_kernel _ZN5aiter35fused_qk_rmsnorm_group_quant_kernelItN4opus5fp4_tELi256ELi16ELi4ELb1ELb1ELb1ELb0ELb0ELb0EEEvPT0_PvPT_S7_S7_PKS6_S9_S9_S9_S9_ffiiiiiiiiiiiii
		.amdhsa_group_segment_fixed_size 32
		.amdhsa_private_segment_fixed_size 0
		.amdhsa_kernarg_size 400
		.amdhsa_user_sgpr_count 6
		.amdhsa_user_sgpr_private_segment_buffer 1
		.amdhsa_user_sgpr_dispatch_ptr 0
		.amdhsa_user_sgpr_queue_ptr 0
		.amdhsa_user_sgpr_kernarg_segment_ptr 1
		.amdhsa_user_sgpr_dispatch_id 0
		.amdhsa_user_sgpr_flat_scratch_init 0
		.amdhsa_user_sgpr_kernarg_preload_length 0
		.amdhsa_user_sgpr_kernarg_preload_offset 0
		.amdhsa_user_sgpr_private_segment_size 0
		.amdhsa_uses_dynamic_stack 0
		.amdhsa_system_sgpr_private_segment_wavefront_offset 0
		.amdhsa_system_sgpr_workgroup_id_x 1
		.amdhsa_system_sgpr_workgroup_id_y 1
		.amdhsa_system_sgpr_workgroup_id_z 0
		.amdhsa_system_sgpr_workgroup_info 0
		.amdhsa_system_vgpr_workitem_id 0
		.amdhsa_next_free_vgpr 76
		.amdhsa_next_free_sgpr 44
		.amdhsa_accum_offset 76
		.amdhsa_reserve_vcc 1
		.amdhsa_reserve_flat_scratch 0
		.amdhsa_float_round_mode_32 0
		.amdhsa_float_round_mode_16_64 0
		.amdhsa_float_denorm_mode_32 3
		.amdhsa_float_denorm_mode_16_64 3
		.amdhsa_dx10_clamp 1
		.amdhsa_ieee_mode 1
		.amdhsa_fp16_overflow 0
		.amdhsa_tg_split 0
		.amdhsa_exception_fp_ieee_invalid_op 0
		.amdhsa_exception_fp_denorm_src 0
		.amdhsa_exception_fp_ieee_div_zero 0
		.amdhsa_exception_fp_ieee_overflow 0
		.amdhsa_exception_fp_ieee_underflow 0
		.amdhsa_exception_fp_ieee_inexact 0
		.amdhsa_exception_int_div_zero 0
	.end_amdhsa_kernel
	.section	.text._ZN5aiter35fused_qk_rmsnorm_group_quant_kernelItN4opus5fp4_tELi256ELi16ELi4ELb1ELb1ELb1ELb0ELb0ELb0EEEvPT0_PvPT_S7_S7_PKS6_S9_S9_S9_S9_ffiiiiiiiiiiiii,"axG",@progbits,_ZN5aiter35fused_qk_rmsnorm_group_quant_kernelItN4opus5fp4_tELi256ELi16ELi4ELb1ELb1ELb1ELb0ELb0ELb0EEEvPT0_PvPT_S7_S7_PKS6_S9_S9_S9_S9_ffiiiiiiiiiiiii,comdat
.Lfunc_end812:
	.size	_ZN5aiter35fused_qk_rmsnorm_group_quant_kernelItN4opus5fp4_tELi256ELi16ELi4ELb1ELb1ELb1ELb0ELb0ELb0EEEvPT0_PvPT_S7_S7_PKS6_S9_S9_S9_S9_ffiiiiiiiiiiiii, .Lfunc_end812-_ZN5aiter35fused_qk_rmsnorm_group_quant_kernelItN4opus5fp4_tELi256ELi16ELi4ELb1ELb1ELb1ELb0ELb0ELb0EEEvPT0_PvPT_S7_S7_PKS6_S9_S9_S9_S9_ffiiiiiiiiiiiii
                                        ; -- End function
	.section	.AMDGPU.csdata,"",@progbits
; Kernel info:
; codeLenInByte = 4060
; NumSgprs: 48
; NumVgprs: 76
; NumAgprs: 0
; TotalNumVgprs: 76
; ScratchSize: 0
; MemoryBound: 0
; FloatMode: 240
; IeeeMode: 1
; LDSByteSize: 32 bytes/workgroup (compile time only)
; SGPRBlocks: 5
; VGPRBlocks: 9
; NumSGPRsForWavesPerEU: 48
; NumVGPRsForWavesPerEU: 76
; AccumOffset: 76
; Occupancy: 6
; WaveLimiterHint : 0
; COMPUTE_PGM_RSRC2:SCRATCH_EN: 0
; COMPUTE_PGM_RSRC2:USER_SGPR: 6
; COMPUTE_PGM_RSRC2:TRAP_HANDLER: 0
; COMPUTE_PGM_RSRC2:TGID_X_EN: 1
; COMPUTE_PGM_RSRC2:TGID_Y_EN: 1
; COMPUTE_PGM_RSRC2:TGID_Z_EN: 0
; COMPUTE_PGM_RSRC2:TIDIG_COMP_CNT: 0
; COMPUTE_PGM_RSRC3_GFX90A:ACCUM_OFFSET: 18
; COMPUTE_PGM_RSRC3_GFX90A:TG_SPLIT: 0
	.section	.text._ZN5aiter35fused_qk_rmsnorm_group_quant_kernelIDF16_DB8_Li256ELi16ELi4ELb1ELb1ELb0ELb0ELb0ELb0EEEvPT0_PvPT_S6_S6_PKS5_S8_S8_S8_S8_ffiiiiiiiiiiiii,"axG",@progbits,_ZN5aiter35fused_qk_rmsnorm_group_quant_kernelIDF16_DB8_Li256ELi16ELi4ELb1ELb1ELb0ELb0ELb0ELb0EEEvPT0_PvPT_S6_S6_PKS5_S8_S8_S8_S8_ffiiiiiiiiiiiii,comdat
	.protected	_ZN5aiter35fused_qk_rmsnorm_group_quant_kernelIDF16_DB8_Li256ELi16ELi4ELb1ELb1ELb0ELb0ELb0ELb0EEEvPT0_PvPT_S6_S6_PKS5_S8_S8_S8_S8_ffiiiiiiiiiiiii ; -- Begin function _ZN5aiter35fused_qk_rmsnorm_group_quant_kernelIDF16_DB8_Li256ELi16ELi4ELb1ELb1ELb0ELb0ELb0ELb0EEEvPT0_PvPT_S6_S6_PKS5_S8_S8_S8_S8_ffiiiiiiiiiiiii
	.globl	_ZN5aiter35fused_qk_rmsnorm_group_quant_kernelIDF16_DB8_Li256ELi16ELi4ELb1ELb1ELb0ELb0ELb0ELb0EEEvPT0_PvPT_S6_S6_PKS5_S8_S8_S8_S8_ffiiiiiiiiiiiii
	.p2align	8
	.type	_ZN5aiter35fused_qk_rmsnorm_group_quant_kernelIDF16_DB8_Li256ELi16ELi4ELb1ELb1ELb0ELb0ELb0ELb0EEEvPT0_PvPT_S6_S6_PKS5_S8_S8_S8_S8_ffiiiiiiiiiiiii,@function
_ZN5aiter35fused_qk_rmsnorm_group_quant_kernelIDF16_DB8_Li256ELi16ELi4ELb1ELb1ELb0ELb0ELb0ELb0EEEvPT0_PvPT_S6_S6_PKS5_S8_S8_S8_S8_ffiiiiiiiiiiiii: ; @_ZN5aiter35fused_qk_rmsnorm_group_quant_kernelIDF16_DB8_Li256ELi16ELi4ELb1ELb1ELb0ELb0ELb0ELb0EEEvPT0_PvPT_S6_S6_PKS5_S8_S8_S8_S8_ffiiiiiiiiiiiii
; %bb.0:
	s_load_dwordx8 s[20:27], s[4:5], 0x50
	s_waitcnt lgkmcnt(0)
	s_cmp_ge_i32 s6, s22
	s_cbranch_scc1 .LBB813_17
; %bb.1:
	s_cmp_lg_u32 s7, 0
	s_cselect_b64 s[10:11], -1, 0
	s_cmp_eq_u32 s7, 0
	s_cselect_b64 s[8:9], -1, 0
	s_and_b64 s[0:1], s[8:9], exec
	s_load_dwordx2 s[28:29], s[4:5], 0x48
	s_load_dwordx2 s[34:35], s[4:5], 0x30
	s_load_dwordx8 s[12:19], s[4:5], 0x70
	s_cselect_b32 s7, s23, s24
	s_add_i32 s0, s7, 1
	s_lshr_b32 s1, s0, 31
	s_add_i32 s0, s0, s1
	s_lshl_b32 s0, s0, 1
	v_lshlrev_b32_e32 v1, 4, v0
	s_and_b32 s38, s0, -4
	v_cmp_gt_i32_e64 s[0:1], s7, v1
	v_mov_b32_e32 v80, 0
	v_mov_b32_e32 v81, 0
	;; [unrolled: 1-line block ×16, first 2 shown]
	s_and_saveexec_b64 s[2:3], s[0:1]
	s_cbranch_execz .LBB813_3
; %bb.2:
	s_waitcnt lgkmcnt(0)
	s_load_dwordx2 s[18:19], s[4:5], 0x28
	s_load_dwordx2 s[30:31], s[4:5], 0x40
	s_and_b64 s[36:37], s[8:9], exec
	s_cselect_b32 s22, s25, s26
	s_mov_b32 s39, 0x20000
	s_waitcnt lgkmcnt(0)
	s_cselect_b32 s25, s19, s35
	s_cselect_b32 s33, s18, s34
	s_mul_hi_i32 s19, s22, s6
	s_mul_i32 s18, s22, s6
	s_lshl_b64 s[18:19], s[18:19], 1
	s_add_u32 s40, s33, s18
	s_addc_u32 s22, s25, s19
	s_and_b64 s[18:19], s[8:9], exec
	s_cselect_b32 s36, s30, s28
	s_cselect_b32 s18, s31, s29
	s_and_b32 s41, s22, 0xffff
	s_mov_b32 s42, s38
	s_mov_b32 s43, s39
	v_lshlrev_b32_e32 v2, 5, v0
	s_and_b32 s37, s18, 0xffff
	buffer_load_dwordx4 v[84:87], v2, s[40:43], 0 offen
	buffer_load_dwordx4 v[88:91], v2, s[40:43], 16 offen
	;; [unrolled: 1-line block ×4, first 2 shown]
.LBB813_3:
	s_or_b64 exec, exec, s[2:3]
	s_and_b64 vcc, exec, s[10:11]
	s_cbranch_vccz .LBB813_7
; %bb.4:
	v_mov_b32_e32 v93, 0
	v_mov_b32_e32 v92, 0
	;; [unrolled: 1-line block ×16, first 2 shown]
	s_and_saveexec_b64 s[2:3], s[0:1]
	s_cbranch_execz .LBB813_6
; %bb.5:
	s_waitcnt vmcnt(3)
	v_cvt_f32_f16_sdwa v59, v84 dst_sel:DWORD dst_unused:UNUSED_PAD src0_sel:WORD_1
	v_cvt_f32_f16_e32 v58, v84
	v_cvt_f32_f16_sdwa v29, v85 dst_sel:DWORD dst_unused:UNUSED_PAD src0_sel:WORD_1
	v_cvt_f32_f16_e32 v28, v85
	;; [unrolled: 2-line block ×4, first 2 shown]
	s_waitcnt vmcnt(2)
	v_cvt_f32_f16_sdwa v69, v88 dst_sel:DWORD dst_unused:UNUSED_PAD src0_sel:WORD_1
	v_cvt_f32_f16_e32 v68, v88
	v_cvt_f32_f16_sdwa v41, v89 dst_sel:DWORD dst_unused:UNUSED_PAD src0_sel:WORD_1
	v_cvt_f32_f16_e32 v40, v89
	;; [unrolled: 2-line block ×4, first 2 shown]
.LBB813_6:
	s_or_b64 exec, exec, s[2:3]
	s_cbranch_execz .LBB813_8
	s_branch .LBB813_11
.LBB813_7:
                                        ; implicit-def: $vgpr26_vgpr27_vgpr28_vgpr29_vgpr30_vgpr31_vgpr32_vgpr33_vgpr34_vgpr35_vgpr36_vgpr37_vgpr38_vgpr39_vgpr40_vgpr41
                                        ; implicit-def: $vgpr58_vgpr59_vgpr60_vgpr61_vgpr62_vgpr63_vgpr64_vgpr65_vgpr66_vgpr67_vgpr68_vgpr69_vgpr70_vgpr71_vgpr72_vgpr73
                                        ; implicit-def: $vgpr42_vgpr43_vgpr44_vgpr45_vgpr46_vgpr47_vgpr48_vgpr49_vgpr50_vgpr51_vgpr52_vgpr53_vgpr54_vgpr55_vgpr56_vgpr57
                                        ; implicit-def: $vgpr12_vgpr13_vgpr14_vgpr15_vgpr16_vgpr17_vgpr18_vgpr19_vgpr20_vgpr21_vgpr22_vgpr23_vgpr24_vgpr25_vgpr26_vgpr27
                                        ; implicit-def: $vgpr93
                                        ; implicit-def: $vgpr60_vgpr61_vgpr62_vgpr63_vgpr64_vgpr65_vgpr66_vgpr67_vgpr68_vgpr69_vgpr70_vgpr71_vgpr72_vgpr73_vgpr74_vgpr75
                                        ; implicit-def: $vgpr30_vgpr31_vgpr32_vgpr33_vgpr34_vgpr35_vgpr36_vgpr37_vgpr38_vgpr39_vgpr40_vgpr41_vgpr42_vgpr43_vgpr44_vgpr45
                                        ; implicit-def: $vgpr2_vgpr3_vgpr4_vgpr5_vgpr6_vgpr7_vgpr8_vgpr9_vgpr10_vgpr11_vgpr12_vgpr13_vgpr14_vgpr15_vgpr16_vgpr17
.LBB813_8:
	v_mov_b32_e32 v93, 0
	v_mov_b32_e32 v92, 0
	;; [unrolled: 1-line block ×16, first 2 shown]
	s_and_saveexec_b64 s[2:3], s[0:1]
	s_cbranch_execz .LBB813_10
; %bb.9:
	s_waitcnt lgkmcnt(0)
	s_load_dwordx2 s[18:19], s[4:5], 0x38
	s_mul_hi_i32 s31, s27, s6
	s_mul_i32 s30, s27, s6
	s_lshl_b64 s[30:31], s[30:31], 1
	s_mov_b32 s39, 0x20000
	s_waitcnt lgkmcnt(0)
	s_add_u32 s36, s18, s30
	s_addc_u32 s18, s19, s31
	s_and_b32 s37, s18, 0xffff
	v_lshlrev_b32_e32 v38, 5, v0
	buffer_load_dwordx4 v[6:9], v38, s[36:39], 16 offen
	buffer_load_dwordx4 v[10:13], v38, s[36:39], 0 offen
	s_waitcnt vmcnt(5)
	v_cvt_f32_f16_sdwa v19, v86 dst_sel:DWORD dst_unused:UNUSED_PAD src0_sel:WORD_1
	v_cvt_f32_f16_e32 v18, v86
	v_cvt_f32_f16_sdwa v25, v87 dst_sel:DWORD dst_unused:UNUSED_PAD src0_sel:WORD_1
	v_cvt_f32_f16_e32 v24, v87
	;; [unrolled: 2-line block ×4, first 2 shown]
	s_load_dwordx2 s[18:19], s[4:5], 0x20
	s_waitcnt vmcnt(4)
	v_cvt_f32_f16_sdwa v3, v88 dst_sel:DWORD dst_unused:UNUSED_PAD src0_sel:WORD_1
	v_cvt_f32_f16_e32 v2, v88
	v_cvt_f32_f16_sdwa v5, v89 dst_sel:DWORD dst_unused:UNUSED_PAD src0_sel:WORD_1
	v_cvt_f32_f16_e32 v4, v89
	;; [unrolled: 2-line block ×4, first 2 shown]
	s_mul_hi_i32 s31, s17, s6
	s_mul_i32 s30, s17, s6
	s_lshl_b64 s[30:31], s[30:31], 1
	s_waitcnt lgkmcnt(0)
	s_add_u32 s36, s18, s30
	s_addc_u32 s17, s19, s31
	s_and_b32 s37, s17, 0xffff
	s_waitcnt vmcnt(1)
	v_cvt_f32_f16_e32 v26, v6
	v_cvt_f32_f16_sdwa v27, v6 dst_sel:DWORD dst_unused:UNUSED_PAD src0_sel:WORD_1
	v_cvt_f32_f16_e32 v30, v7
	v_cvt_f32_f16_sdwa v31, v7 dst_sel:DWORD dst_unused:UNUSED_PAD src0_sel:WORD_1
	;; [unrolled: 2-line block ×4, first 2 shown]
	s_waitcnt vmcnt(0)
	v_cvt_f32_f16_e32 v6, v12
	v_cvt_f32_f16_sdwa v7, v12 dst_sel:DWORD dst_unused:UNUSED_PAD src0_sel:WORD_1
	v_cvt_f32_f16_e32 v8, v13
	v_cvt_f32_f16_sdwa v9, v13 dst_sel:DWORD dst_unused:UNUSED_PAD src0_sel:WORD_1
	;; [unrolled: 2-line block ×4, first 2 shown]
	v_pk_add_f32 v[46:47], v[18:19], v[6:7]
	v_pk_add_f32 v[18:19], v[24:25], v[8:9]
	v_cvt_f16_f32_e32 v6, v47
	v_cvt_f16_f32_e32 v7, v19
	;; [unrolled: 1-line block ×4, first 2 shown]
	v_pk_add_f32 v[28:29], v[22:23], v[10:11]
	v_pk_add_f32 v[58:59], v[20:21], v[36:37]
	v_pack_b32_f16 v9, v8, v7
	v_pack_b32_f16 v8, v12, v6
	v_cvt_f16_f32_e32 v6, v29
	v_cvt_f16_f32_e32 v7, v28
	;; [unrolled: 1-line block ×3, first 2 shown]
	v_pk_add_f32 v[92:93], v[16:17], v[34:35]
	v_pk_add_f32 v[14:15], v[14:15], v[32:33]
	v_pack_b32_f16 v7, v7, v6
	v_cvt_f16_f32_e32 v6, v59
	v_pk_add_f32 v[40:41], v[4:5], v[30:31]
	v_pk_add_f32 v[68:69], v[2:3], v[26:27]
	v_cvt_f16_f32_e32 v4, v40
	v_pack_b32_f16 v6, v10, v6
	buffer_store_dwordx4 v[6:9], v38, s[36:39], 0 offen
	v_cvt_f16_f32_e32 v5, v41
	v_cvt_f16_f32_e32 v6, v14
	;; [unrolled: 1-line block ×7, first 2 shown]
	v_pack_b32_f16 v7, v7, v8
	v_pack_b32_f16 v6, v6, v9
	;; [unrolled: 1-line block ×4, first 2 shown]
	;;#ASMSTART
	s_nop 0
	;;#ASMEND
	buffer_store_dwordx4 v[4:7], v38, s[36:39], 16 offen
	;;#ASMSTART
	s_nop 0
	;;#ASMEND
.LBB813_10:
	s_or_b64 exec, exec, s[2:3]
.LBB813_11:
	v_mul_f32_e32 v2, v59, v59
	v_fmac_f32_e32 v2, v58, v58
	v_fmac_f32_e32 v2, v28, v28
	;; [unrolled: 1-line block ×15, first 2 shown]
	s_nop 1
	v_mov_b32_dpp v3, v2 quad_perm:[1,0,3,2] row_mask:0xf bank_mask:0xf
	v_add_f32_e32 v2, v2, v3
	s_nop 1
	v_mov_b32_dpp v3, v2 quad_perm:[2,3,0,1] row_mask:0xf bank_mask:0xf
	v_add_f32_e32 v2, v2, v3
	s_nop 1
	v_mov_b32_dpp v3, v2 row_half_mirror row_mask:0xf bank_mask:0xf
	v_add_f32_e32 v2, v2, v3
	s_nop 1
	v_mov_b32_dpp v3, v2 row_mirror row_mask:0xf bank_mask:0xf
	v_add_f32_e32 v2, v2, v3
	s_nop 1
	v_mov_b32_dpp v3, v2 row_bcast:15 row_mask:0xf bank_mask:0xf
	v_add_f32_e32 v2, v2, v3
	v_and_b32_e32 v3, 63, v0
	v_cmp_eq_u32_e64 s[2:3], 63, v3
	s_nop 0
	v_mov_b32_dpp v3, v2 row_bcast:31 row_mask:0xf bank_mask:0xf
	s_waitcnt lgkmcnt(0)
	s_and_saveexec_b64 s[18:19], s[2:3]
	s_cbranch_execz .LBB813_13
; %bb.12:
	v_add_f32_e32 v2, v2, v3
	v_lshrrev_b32_e32 v3, 4, v0
	v_and_b32_e32 v3, 60, v3
	ds_write_b32 v3, v2 offset:16
.LBB813_13:
	s_or_b64 exec, exec, s[18:19]
	v_and_b32_e32 v2, 3, v0
	v_lshlrev_b32_e32 v34, 2, v2
	s_waitcnt lgkmcnt(0)
	s_barrier
	ds_read_b32 v3, v34 offset:16
	s_load_dwordx2 s[18:19], s[4:5], 0x18
	s_waitcnt lgkmcnt(0)
	v_mov_b32_dpp v4, v3 quad_perm:[1,0,3,2] row_mask:0xf bank_mask:0xf
	v_add_f32_e32 v3, v3, v4
	s_nop 1
	v_mov_b32_dpp v4, v3 quad_perm:[2,3,0,1] row_mask:0xf bank_mask:0xf
	s_and_saveexec_b64 s[30:31], s[0:1]
	s_cbranch_execnz .LBB813_18
; %bb.14:
	s_or_b64 exec, exec, s[30:31]
	s_mov_b64 s[8:9], -1
	s_and_b64 vcc, exec, s[10:11]
	s_cbranch_vccnz .LBB813_19
.LBB813_15:
	s_andn2_b64 vcc, exec, s[8:9]
	s_cbranch_vccz .LBB813_22
.LBB813_16:
	s_cmp_lt_i32 s24, 1
	s_cbranch_scc0 .LBB813_31
.LBB813_17:
	s_endpgm
.LBB813_18:
	v_add_f32_e32 v3, v3, v4
	v_cvt_f32_u32_e32 v4, s7
	s_mov_b32 s7, 0x800000
	s_waitcnt vmcnt(1)
	v_cvt_f32_f16_sdwa v23, v81 dst_sel:DWORD dst_unused:UNUSED_PAD src0_sel:WORD_1
	v_cvt_f32_f16_e32 v22, v81
	v_div_scale_f32 v5, s[36:37], v4, v4, v3
	v_rcp_f32_e32 v6, v5
	s_waitcnt vmcnt(0)
	v_cvt_f32_f16_sdwa v25, v77 dst_sel:DWORD dst_unused:UNUSED_PAD src0_sel:WORD_1
	v_cvt_f32_f16_e32 v24, v77
	v_cvt_f32_f16_sdwa v27, v78 dst_sel:DWORD dst_unused:UNUSED_PAD src0_sel:WORD_1
	v_fma_f32 v7, -v5, v6, 1.0
	v_fmac_f32_e32 v6, v7, v6
	v_div_scale_f32 v7, vcc, v3, v4, v3
	v_mul_f32_e32 v8, v7, v6
	v_fma_f32 v9, -v5, v8, v7
	v_fmac_f32_e32 v8, v9, v6
	v_fma_f32 v5, -v5, v8, v7
	v_div_fmas_f32 v5, v5, v6, v8
	v_div_fixup_f32 v3, v5, v4, v3
	v_mov_b32_e32 v4, s21
	v_mov_b32_e32 v5, s20
	v_cndmask_b32_e64 v4, v4, v5, s[8:9]
	v_add_f32_e32 v3, v4, v3
	v_mul_f32_e32 v4, 0x4b800000, v3
	v_cmp_gt_f32_e32 vcc, s7, v3
	v_cndmask_b32_e32 v3, v3, v4, vcc
	v_rsq_f32_e32 v3, v3
	v_cvt_f32_f16_e32 v26, v78
	v_cvt_f32_f16_sdwa v31, v79 dst_sel:DWORD dst_unused:UNUSED_PAD src0_sel:WORD_1
	v_cvt_f32_f16_e32 v30, v79
	v_mul_f32_e32 v4, 0x45800000, v3
	v_cndmask_b32_e32 v4, v3, v4, vcc
	v_mov_b32_e32 v5, v4
	;;#ASMSTART
	v_pk_mul_f32 v[6:7], v[58:59], v[4:5]
	;;#ASMEND
	;;#ASMSTART
	v_pk_mul_f32 v[8:9], v[28:29], v[4:5]
	;;#ASMEND
	;; [unrolled: 3-line block ×6, first 2 shown]
	v_cvt_f32_f16_sdwa v19, v80 dst_sel:DWORD dst_unused:UNUSED_PAD src0_sel:WORD_1
	v_cvt_f32_f16_e32 v18, v80
	;;#ASMSTART
	v_pk_mul_f32 v[14:15], v[14:15], v[4:5]
	;;#ASMEND
	;;#ASMSTART
	v_pk_mul_f32 v[4:5], v[92:93], v[4:5]
	;;#ASMEND
	;; [unrolled: 3-line block ×4, first 2 shown]
	v_cvt_f32_f16_sdwa v7, v82 dst_sel:DWORD dst_unused:UNUSED_PAD src0_sel:WORD_1
	v_cvt_f32_f16_e32 v6, v82
	v_cvt_f32_f16_sdwa v9, v83 dst_sel:DWORD dst_unused:UNUSED_PAD src0_sel:WORD_1
	v_cvt_f32_f16_e32 v8, v83
	;; [unrolled: 2-line block ×3, first 2 shown]
	;;#ASMSTART
	v_pk_mul_f32 v[46:47], v[10:11], v[6:7]
	;;#ASMEND
	;;#ASMSTART
	v_pk_mul_f32 v[18:19], v[12:13], v[8:9]
	;;#ASMEND
	;; [unrolled: 3-line block ×6, first 2 shown]
	s_or_b64 exec, exec, s[30:31]
	s_mov_b64 s[8:9], -1
	s_and_b64 vcc, exec, s[10:11]
	s_cbranch_vccz .LBB813_15
.LBB813_19:
	s_and_saveexec_b64 s[8:9], s[0:1]
	s_cbranch_execz .LBB813_21
; %bb.20:
	v_cvt_f16_f32_e32 v3, v46
	v_cvt_f16_f32_e32 v4, v18
	;; [unrolled: 1-line block ×4, first 2 shown]
	s_mul_hi_i32 s11, s16, s6
	s_mul_i32 s10, s16, s6
	v_pack_b32_f16 v7, v4, v5
	v_pack_b32_f16 v6, v3, v6
	v_cvt_f16_f32_e32 v3, v28
	v_cvt_f16_f32_e32 v4, v29
	s_lshl_b64 s[10:11], s[10:11], 1
	s_add_u32 s36, s18, s10
	s_addc_u32 s7, s19, s11
	v_pack_b32_f16 v5, v3, v4
	v_cvt_f16_f32_e32 v3, v58
	v_cvt_f16_f32_e32 v4, v59
	s_and_b32 s37, s7, 0xffff
	s_mov_b32 s39, 0x20000
	v_cvt_f16_f32_e32 v8, v15
	v_pack_b32_f16 v4, v3, v4
	v_lshlrev_b32_e32 v3, 5, v0
	buffer_store_dwordx4 v[4:7], v3, s[36:39], 0 offen
	;;#ASMSTART
	s_nop 0
	;;#ASMEND
	s_nop 0
	v_cvt_f16_f32_e32 v4, v14
	v_cvt_f16_f32_e32 v5, v92
	;; [unrolled: 1-line block ×3, first 2 shown]
	v_pack_b32_f16 v7, v5, v6
	v_pack_b32_f16 v6, v4, v8
	v_cvt_f16_f32_e32 v4, v40
	v_cvt_f16_f32_e32 v5, v41
	;; [unrolled: 1-line block ×3, first 2 shown]
	v_pack_b32_f16 v5, v4, v5
	v_cvt_f16_f32_e32 v4, v68
	v_pack_b32_f16 v4, v4, v8
	buffer_store_dwordx4 v[4:7], v3, s[36:39], 16 offen
	;;#ASMSTART
	s_nop 0
	;;#ASMEND
.LBB813_21:
	s_or_b64 exec, exec, s[8:9]
	s_cbranch_execnz .LBB813_16
.LBB813_22:
	v_mov_b32_e32 v3, 0
	s_and_saveexec_b64 s[8:9], s[0:1]
	s_cbranch_execz .LBB813_24
; %bb.23:
	v_cvt_f16_f32_e32 v3, v46
	v_cvt_f16_f32_e32 v4, v18
	;; [unrolled: 1-line block ×4, first 2 shown]
	s_load_dwordx2 s[10:11], s[4:5], 0x10
	s_mul_hi_i32 s31, s15, s6
	v_pack_b32_f16 v7, v4, v5
	v_pack_b32_f16 v6, v3, v6
	v_cvt_f16_f32_e32 v3, v28
	v_cvt_f16_f32_e32 v4, v29
	s_mul_i32 s30, s15, s6
	s_lshl_b64 s[30:31], s[30:31], 1
	s_waitcnt lgkmcnt(0)
	s_add_u32 s36, s10, s30
	v_pack_b32_f16 v5, v3, v4
	v_cvt_f16_f32_e32 v3, v58
	v_cvt_f16_f32_e32 v4, v59
	s_addc_u32 s7, s11, s31
	s_and_b32 s37, s7, 0xffff
	s_mov_b32 s39, 0x20000
	v_pack_b32_f16 v4, v3, v4
	v_lshlrev_b32_e32 v3, 5, v0
	buffer_store_dwordx4 v[4:7], v3, s[36:39], 0 offen
	v_cvt_f16_f32_e32 v8, v15
	v_cvt_f16_f32_e32 v4, v14
	;; [unrolled: 1-line block ×4, first 2 shown]
	;;#ASMSTART
	s_nop 0
	;;#ASMEND
	v_pack_b32_f16 v7, v5, v6
	v_pack_b32_f16 v6, v4, v8
	v_cvt_f16_f32_e32 v4, v40
	v_cvt_f16_f32_e32 v5, v41
	;; [unrolled: 1-line block ×3, first 2 shown]
	v_pack_b32_f16 v5, v4, v5
	v_cvt_f16_f32_e32 v4, v68
	v_pack_b32_f16 v4, v4, v8
	buffer_store_dwordx4 v[4:7], v3, s[36:39], 16 offen
	v_mov_b32_e32 v3, 0x2edbe6ff
	;;#ASMSTART
	s_nop 0
	;;#ASMEND
.LBB813_24:
	s_or_b64 exec, exec, s[8:9]
	s_and_saveexec_b64 s[8:9], s[0:1]
	s_cbranch_execz .LBB813_26
; %bb.25:
	v_and_b32_e32 v4, 0x7fffffff, v58
	v_and_b32_e32 v5, 0x7fffffff, v59
	;;#ASMSTART
	v_max3_f32 v3, v3, v4, v5

	;;#ASMEND
	v_and_b32_e32 v4, 0x7fffffff, v28
	v_and_b32_e32 v5, 0x7fffffff, v29
	;;#ASMSTART
	v_max3_f32 v3, v3, v4, v5

	;;#ASMEND
	v_and_b32_e32 v4, 0x7fffffff, v46
	v_and_b32_e32 v5, 0x7fffffff, v47
	;;#ASMSTART
	v_max3_f32 v3, v3, v4, v5

	;;#ASMEND
	v_and_b32_e32 v4, 0x7fffffff, v18
	v_and_b32_e32 v5, 0x7fffffff, v19
	;;#ASMSTART
	v_max3_f32 v3, v3, v4, v5

	;;#ASMEND
	v_and_b32_e32 v4, 0x7fffffff, v68
	v_and_b32_e32 v5, 0x7fffffff, v69
	;;#ASMSTART
	v_max3_f32 v3, v3, v4, v5

	;;#ASMEND
	v_and_b32_e32 v4, 0x7fffffff, v40
	v_and_b32_e32 v5, 0x7fffffff, v41
	;;#ASMSTART
	v_max3_f32 v3, v3, v4, v5

	;;#ASMEND
	v_and_b32_e32 v4, 0x7fffffff, v14
	v_and_b32_e32 v5, 0x7fffffff, v15
	;;#ASMSTART
	v_max3_f32 v3, v3, v4, v5

	;;#ASMEND
	v_and_b32_e32 v4, 0x7fffffff, v92
	v_and_b32_e32 v5, 0x7fffffff, v93
	;;#ASMSTART
	v_max3_f32 v3, v3, v4, v5

	;;#ASMEND
.LBB813_26:
	s_or_b64 exec, exec, s[8:9]
	;;#ASMSTART
	v_max_f32 v4, v3, v3 quad_perm:[1,0,3,2] row_mask:0xf bank_mask:0xf bound_ctrl:1
	;;#ASMEND
	;;#ASMSTART
	v_max_f32 v3, v4, v4 quad_perm:[2,3,0,1] row_mask:0xf bank_mask:0xf bound_ctrl:1
	;;#ASMEND
	v_cmp_eq_u32_e32 vcc, 0, v2
	v_cmp_gt_i32_e64 s[8:9], s23, v1
	v_mul_f32_e32 v3, 0x3b124925, v3
	s_and_b64 s[10:11], vcc, s[8:9]
	s_and_saveexec_b64 s[8:9], s[10:11]
	s_cbranch_execz .LBB813_28
; %bb.27:
	s_load_dwordx2 s[10:11], s[4:5], 0x8
	v_lshrrev_b32_e32 v2, 2, v0
	s_mul_hi_i32 s31, s13, s6
	s_mul_i32 s30, s13, s6
	v_mad_i64_i32 v[4:5], s[14:15], s14, v2, 0
	s_lshl_b64 s[14:15], s[30:31], 2
	s_waitcnt lgkmcnt(0)
	s_add_u32 s7, s10, s14
	s_addc_u32 s10, s11, s15
	v_lshlrev_b64 v[4:5], 2, v[4:5]
	v_mov_b32_e32 v2, s10
	v_add_co_u32_e32 v4, vcc, s7, v4
	v_addc_co_u32_e32 v5, vcc, v2, v5, vcc
	global_store_dword v[4:5], v3, off
.LBB813_28:
	s_or_b64 exec, exec, s[8:9]
	;;#ASMSTART
	v_rcp_f32 v2, v3
	;;#ASMEND
	s_and_saveexec_b64 s[14:15], s[0:1]
	s_cbranch_execz .LBB813_30
; %bb.29:
	v_mov_b32_e32 v3, v2
	;;#ASMSTART
	v_pk_mul_f32 v[4:5], v[58:59], v[2:3]
	;;#ASMEND
	v_mov_b32_e32 v10, 0xc3e00000
	v_mov_b32_e32 v11, 0x43e00000
	;;#ASMSTART
	v_med3_f32 v4, v4, v10, v11
v_med3_f32 v5, v5, v10, v11
v_cvt_pk_fp8_f32 v6, v4, v5
	;;#ASMEND
	;;#ASMSTART
	v_pk_mul_f32 v[4:5], v[28:29], v[2:3]
	;;#ASMEND
	;;#ASMSTART
	v_med3_f32 v4, v4, v10, v11
v_med3_f32 v5, v5, v10, v11
v_cvt_pk_fp8_f32 v7, v4, v5
	;;#ASMEND
	;;#ASMSTART
	v_pk_mul_f32 v[4:5], v[46:47], v[2:3]
	;;#ASMEND
	;; [unrolled: 8-line block ×3, first 2 shown]
	;;#ASMSTART
	v_med3_f32 v4, v4, v10, v11
v_med3_f32 v5, v5, v10, v11
v_cvt_pk_fp8_f32 v9, v4, v5
	;;#ASMEND
	s_mov_b32 s0, 0x5040100
	v_perm_b32 v4, v7, v6, s0
	s_mov_b32 s0, 0x1060504
	v_perm_b32 v4, v4, v7, s0
	s_load_dwordx2 s[0:1], s[4:5], 0x0
	s_mov_b32 s7, 0x1000504
	;;#ASMSTART
	v_pk_mul_f32 v[6:7], v[68:69], v[2:3]
	;;#ASMEND
	v_perm_b32 v5, v8, v9, s7
	s_mul_i32 s8, s12, s6
	;;#ASMSTART
	v_med3_f32 v6, v6, v10, v11
v_med3_f32 v7, v7, v10, v11
v_cvt_pk_fp8_f32 v8, v6, v7
	;;#ASMEND
	s_mul_hi_i32 s9, s12, s6
	s_waitcnt lgkmcnt(0)
	s_add_u32 s8, s0, s8
	;;#ASMSTART
	v_pk_mul_f32 v[6:7], v[40:41], v[2:3]
	;;#ASMEND
	s_addc_u32 s0, s1, s9
	s_add_i32 s1, s23, 3
	;;#ASMSTART
	v_med3_f32 v6, v6, v10, v11
v_med3_f32 v7, v7, v10, v11
v_cvt_pk_fp8_f32 v9, v6, v7
	;;#ASMEND
	s_ashr_i32 s9, s1, 31
	v_perm_b32 v6, v8, v9, s7
	;;#ASMSTART
	v_pk_mul_f32 v[8:9], v[14:15], v[2:3]
	;;#ASMEND
	v_mov_b32_e32 v7, v8
	s_lshr_b32 s9, s9, 30
	;;#ASMSTART
	v_med3_f32 v7, v7, v10, v11
v_med3_f32 v9, v9, v10, v11
v_cvt_pk_fp8_f32 v8, v7, v9
	;;#ASMEND
	;;#ASMSTART
	v_pk_mul_f32 v[2:3], v[92:93], v[2:3]
	;;#ASMEND
	s_add_i32 s1, s1, s9
	;;#ASMSTART
	v_med3_f32 v2, v2, v10, v11
v_med3_f32 v3, v3, v10, v11
v_cvt_pk_fp8_f32 v7, v2, v3
	;;#ASMEND
	s_and_b32 s10, s1, -4
	s_and_b32 s9, s0, 0xffff
	s_mov_b32 s11, 0x20000
	v_perm_b32 v7, v8, v7, s7
	buffer_store_dwordx4 v[4:7], v1, s[8:11], 0 offen
	;;#ASMSTART
	s_nop 0
	;;#ASMEND
.LBB813_30:
	s_or_b64 exec, exec, s[14:15]
	s_cmp_lt_i32 s24, 1
	s_cbranch_scc1 .LBB813_17
.LBB813_31:
	s_load_dword s0, s[4:5], 0x94
	s_waitcnt lgkmcnt(0)
	s_cmp_lg_u32 s0, 1
	s_cbranch_scc1 .LBB813_17
; %bb.32:
	s_lshl_b32 s0, s24, 1
	s_add_i32 s0, s0, 2
	v_cmp_gt_u32_e32 vcc, s24, v1
	s_and_b32 s30, s0, -4
	v_mov_b32_e32 v18, 0
	v_lshlrev_b32_e32 v1, 5, v0
	v_mov_b32_e32 v14, 0
	v_mov_b32_e32 v15, 0
	;; [unrolled: 1-line block ×16, first 2 shown]
	s_barrier
	s_and_saveexec_b64 s[0:1], vcc
	s_cbranch_execz .LBB813_34
; %bb.33:
	s_mul_hi_i32 s5, s26, s6
	s_mul_i32 s4, s26, s6
	s_and_b32 s29, s29, 0xffff
	s_lshl_b64 s[4:5], s[4:5], 1
	s_add_u32 s8, s34, s4
	s_mov_b32 s31, 0x20000
	s_addc_u32 s4, s35, s5
	s_and_b32 s9, s4, 0xffff
	s_mov_b32 s10, s30
	s_mov_b32 s11, s31
	buffer_load_dwordx4 v[14:17], v1, s[8:11], 0 offen
	buffer_load_dwordx4 v[10:13], v1, s[8:11], 16 offen
	;; [unrolled: 1-line block ×4, first 2 shown]
.LBB813_34:
	s_or_b64 exec, exec, s[0:1]
	v_mov_b32_e32 v19, 0
	v_mov_b32_e32 v32, 0
	;; [unrolled: 1-line block ×15, first 2 shown]
	s_and_saveexec_b64 s[0:1], vcc
	s_cbranch_execz .LBB813_36
; %bb.35:
	s_waitcnt vmcnt(3)
	v_cvt_f32_f16_sdwa v19, v14 dst_sel:DWORD dst_unused:UNUSED_PAD src0_sel:WORD_1
	v_cvt_f32_f16_e32 v18, v14
	v_cvt_f32_f16_sdwa v33, v15 dst_sel:DWORD dst_unused:UNUSED_PAD src0_sel:WORD_1
	v_cvt_f32_f16_e32 v32, v15
	;; [unrolled: 2-line block ×4, first 2 shown]
	s_waitcnt vmcnt(2)
	v_cvt_f32_f16_sdwa v27, v10 dst_sel:DWORD dst_unused:UNUSED_PAD src0_sel:WORD_1
	v_cvt_f32_f16_e32 v26, v10
	v_cvt_f32_f16_sdwa v25, v11 dst_sel:DWORD dst_unused:UNUSED_PAD src0_sel:WORD_1
	v_cvt_f32_f16_e32 v24, v11
	;; [unrolled: 2-line block ×4, first 2 shown]
.LBB813_36:
	s_or_b64 exec, exec, s[0:1]
	s_waitcnt vmcnt(2)
	v_mul_f32_e32 v10, v19, v19
	v_fmac_f32_e32 v10, v18, v18
	v_fmac_f32_e32 v10, v32, v32
	;; [unrolled: 1-line block ×15, first 2 shown]
	s_nop 1
	v_mov_b32_dpp v11, v10 quad_perm:[1,0,3,2] row_mask:0xf bank_mask:0xf
	v_add_f32_e32 v10, v10, v11
	s_nop 1
	v_mov_b32_dpp v11, v10 quad_perm:[2,3,0,1] row_mask:0xf bank_mask:0xf
	v_add_f32_e32 v10, v10, v11
	s_nop 1
	v_mov_b32_dpp v11, v10 row_half_mirror row_mask:0xf bank_mask:0xf
	v_add_f32_e32 v10, v10, v11
	s_nop 1
	v_mov_b32_dpp v11, v10 row_mirror row_mask:0xf bank_mask:0xf
	v_add_f32_e32 v10, v10, v11
	s_nop 1
	v_mov_b32_dpp v11, v10 row_bcast:15 row_mask:0xf bank_mask:0xf
	v_add_f32_e32 v10, v10, v11
	s_nop 1
	v_mov_b32_dpp v11, v10 row_bcast:31 row_mask:0xf bank_mask:0xf
	s_and_saveexec_b64 s[0:1], s[2:3]
	s_cbranch_execz .LBB813_38
; %bb.37:
	v_lshrrev_b32_e32 v0, 4, v0
	v_add_f32_e32 v10, v10, v11
	v_and_b32_e32 v0, 60, v0
	ds_write_b32 v0, v10
.LBB813_38:
	s_or_b64 exec, exec, s[0:1]
	s_waitcnt lgkmcnt(0)
	s_barrier
	ds_read_b32 v0, v34
	s_waitcnt lgkmcnt(0)
	s_nop 0
	v_mov_b32_dpp v10, v0 quad_perm:[1,0,3,2] row_mask:0xf bank_mask:0xf
	v_add_f32_e32 v0, v0, v10
	s_nop 1
	v_mov_b32_dpp v10, v0 quad_perm:[2,3,0,1] row_mask:0xf bank_mask:0xf
	s_and_saveexec_b64 s[0:1], vcc
	s_cbranch_execz .LBB813_17
; %bb.39:
	v_cvt_f32_u32_e32 v11, s24
	v_add_f32_e32 v0, v0, v10
	s_mov_b32 s31, 0x20000
	v_div_scale_f32 v10, s[0:1], v11, v11, v0
	v_rcp_f32_e32 v12, v10
	v_div_scale_f32 v13, vcc, v0, v11, v0
	s_mov_b32 s0, 0x800000
	v_fma_f32 v14, -v10, v12, 1.0
	v_fmac_f32_e32 v12, v14, v12
	v_mul_f32_e32 v14, v13, v12
	v_fma_f32 v15, -v10, v14, v13
	v_fmac_f32_e32 v14, v15, v12
	v_fma_f32 v10, -v10, v14, v13
	v_div_fmas_f32 v10, v10, v12, v14
	v_div_fixup_f32 v0, v10, v11, v0
	v_add_f32_e32 v0, s21, v0
	v_mul_f32_e32 v10, 0x4b800000, v0
	v_cmp_gt_f32_e32 vcc, s0, v0
	v_cndmask_b32_e32 v0, v0, v10, vcc
	v_rsq_f32_e32 v0, v0
	s_mul_hi_i32 s1, s16, s6
	s_mul_i32 s0, s16, s6
	s_lshl_b64 s[0:1], s[0:1], 1
	v_mul_f32_e32 v10, 0x45800000, v0
	v_cndmask_b32_e32 v10, v0, v10, vcc
	v_mov_b32_e32 v11, v10
	;;#ASMSTART
	v_pk_mul_f32 v[12:13], v[18:19], v[10:11]
	;;#ASMEND
	;;#ASMSTART
	v_pk_mul_f32 v[14:15], v[32:33], v[10:11]
	;;#ASMEND
	;;#ASMSTART
	v_pk_mul_f32 v[16:17], v[30:31], v[10:11]
	;;#ASMEND
	;;#ASMSTART
	v_pk_mul_f32 v[18:19], v[28:29], v[10:11]
	;;#ASMEND
	;;#ASMSTART
	v_pk_mul_f32 v[26:27], v[26:27], v[10:11]
	;;#ASMEND
	;;#ASMSTART
	v_pk_mul_f32 v[24:25], v[24:25], v[10:11]
	;;#ASMEND
	;;#ASMSTART
	v_pk_mul_f32 v[22:23], v[22:23], v[10:11]
	;;#ASMEND
	;;#ASMSTART
	v_pk_mul_f32 v[10:11], v[20:21], v[10:11]
	;;#ASMEND
	s_waitcnt vmcnt(1)
	v_cvt_f32_f16_sdwa v21, v6 dst_sel:DWORD dst_unused:UNUSED_PAD src0_sel:WORD_1
	v_cvt_f32_f16_e32 v20, v6
	v_cvt_f32_f16_sdwa v29, v7 dst_sel:DWORD dst_unused:UNUSED_PAD src0_sel:WORD_1
	v_cvt_f32_f16_e32 v28, v7
	;; [unrolled: 2-line block ×4, first 2 shown]
	;;#ASMSTART
	v_pk_mul_f32 v[8:9], v[12:13], v[20:21]
	;;#ASMEND
	;;#ASMSTART
	v_pk_mul_f32 v[12:13], v[14:15], v[28:29]
	;;#ASMEND
	;; [unrolled: 3-line block ×4, first 2 shown]
	s_waitcnt vmcnt(0)
	v_cvt_f32_f16_sdwa v17, v2 dst_sel:DWORD dst_unused:UNUSED_PAD src0_sel:WORD_1
	v_cvt_f32_f16_e32 v16, v2
	v_cvt_f32_f16_sdwa v19, v3 dst_sel:DWORD dst_unused:UNUSED_PAD src0_sel:WORD_1
	v_cvt_f32_f16_e32 v18, v3
	;; [unrolled: 2-line block ×4, first 2 shown]
	;;#ASMSTART
	v_pk_mul_f32 v[16:17], v[26:27], v[16:17]
	;;#ASMEND
	;;#ASMSTART
	v_pk_mul_f32 v[18:19], v[24:25], v[18:19]
	;;#ASMEND
	;; [unrolled: 3-line block ×3, first 2 shown]
	v_cvt_f16_f32_e32 v0, v8
	v_cvt_f16_f32_e32 v2, v9
	v_cvt_f16_f32_e32 v3, v12
	v_cvt_f16_f32_e32 v4, v13
	v_cvt_f16_f32_e32 v5, v6
	v_cvt_f16_f32_e32 v6, v7
	v_cvt_f16_f32_e32 v7, v14
	v_cvt_f16_f32_e32 v8, v15
	s_add_u32 s28, s18, s0
	s_addc_u32 s0, s19, s1
	s_and_b32 s29, s0, 0xffff
	v_pack_b32_f16 v2, v0, v2
	v_pack_b32_f16 v3, v3, v4
	;; [unrolled: 1-line block ×4, first 2 shown]
	;;#ASMSTART
	v_pk_mul_f32 v[10:11], v[10:11], v[20:21]
	;;#ASMEND
	buffer_store_dwordx4 v[2:5], v1, s[28:31], 0 offen
	v_cvt_f16_f32_e32 v0, v16
	v_cvt_f16_f32_e32 v2, v17
	;; [unrolled: 1-line block ×8, first 2 shown]
	v_pack_b32_f16 v2, v0, v2
	v_pack_b32_f16 v3, v3, v4
	;; [unrolled: 1-line block ×4, first 2 shown]
	;;#ASMSTART
	s_nop 0
	;;#ASMEND
	buffer_store_dwordx4 v[2:5], v1, s[28:31], 16 offen
	;;#ASMSTART
	s_nop 0
	;;#ASMEND
	s_endpgm
	.section	.rodata,"a",@progbits
	.p2align	6, 0x0
	.amdhsa_kernel _ZN5aiter35fused_qk_rmsnorm_group_quant_kernelIDF16_DB8_Li256ELi16ELi4ELb1ELb1ELb0ELb0ELb0ELb0EEEvPT0_PvPT_S6_S6_PKS5_S8_S8_S8_S8_ffiiiiiiiiiiiii
		.amdhsa_group_segment_fixed_size 32
		.amdhsa_private_segment_fixed_size 0
		.amdhsa_kernarg_size 400
		.amdhsa_user_sgpr_count 6
		.amdhsa_user_sgpr_private_segment_buffer 1
		.amdhsa_user_sgpr_dispatch_ptr 0
		.amdhsa_user_sgpr_queue_ptr 0
		.amdhsa_user_sgpr_kernarg_segment_ptr 1
		.amdhsa_user_sgpr_dispatch_id 0
		.amdhsa_user_sgpr_flat_scratch_init 0
		.amdhsa_user_sgpr_kernarg_preload_length 0
		.amdhsa_user_sgpr_kernarg_preload_offset 0
		.amdhsa_user_sgpr_private_segment_size 0
		.amdhsa_uses_dynamic_stack 0
		.amdhsa_system_sgpr_private_segment_wavefront_offset 0
		.amdhsa_system_sgpr_workgroup_id_x 1
		.amdhsa_system_sgpr_workgroup_id_y 1
		.amdhsa_system_sgpr_workgroup_id_z 0
		.amdhsa_system_sgpr_workgroup_info 0
		.amdhsa_system_vgpr_workitem_id 0
		.amdhsa_next_free_vgpr 94
		.amdhsa_next_free_sgpr 44
		.amdhsa_accum_offset 96
		.amdhsa_reserve_vcc 1
		.amdhsa_reserve_flat_scratch 0
		.amdhsa_float_round_mode_32 0
		.amdhsa_float_round_mode_16_64 0
		.amdhsa_float_denorm_mode_32 3
		.amdhsa_float_denorm_mode_16_64 3
		.amdhsa_dx10_clamp 1
		.amdhsa_ieee_mode 1
		.amdhsa_fp16_overflow 0
		.amdhsa_tg_split 0
		.amdhsa_exception_fp_ieee_invalid_op 0
		.amdhsa_exception_fp_denorm_src 0
		.amdhsa_exception_fp_ieee_div_zero 0
		.amdhsa_exception_fp_ieee_overflow 0
		.amdhsa_exception_fp_ieee_underflow 0
		.amdhsa_exception_fp_ieee_inexact 0
		.amdhsa_exception_int_div_zero 0
	.end_amdhsa_kernel
	.section	.text._ZN5aiter35fused_qk_rmsnorm_group_quant_kernelIDF16_DB8_Li256ELi16ELi4ELb1ELb1ELb0ELb0ELb0ELb0EEEvPT0_PvPT_S6_S6_PKS5_S8_S8_S8_S8_ffiiiiiiiiiiiii,"axG",@progbits,_ZN5aiter35fused_qk_rmsnorm_group_quant_kernelIDF16_DB8_Li256ELi16ELi4ELb1ELb1ELb0ELb0ELb0ELb0EEEvPT0_PvPT_S6_S6_PKS5_S8_S8_S8_S8_ffiiiiiiiiiiiii,comdat
.Lfunc_end813:
	.size	_ZN5aiter35fused_qk_rmsnorm_group_quant_kernelIDF16_DB8_Li256ELi16ELi4ELb1ELb1ELb0ELb0ELb0ELb0EEEvPT0_PvPT_S6_S6_PKS5_S8_S8_S8_S8_ffiiiiiiiiiiiii, .Lfunc_end813-_ZN5aiter35fused_qk_rmsnorm_group_quant_kernelIDF16_DB8_Li256ELi16ELi4ELb1ELb1ELb0ELb0ELb0ELb0EEEvPT0_PvPT_S6_S6_PKS5_S8_S8_S8_S8_ffiiiiiiiiiiiii
                                        ; -- End function
	.section	.AMDGPU.csdata,"",@progbits
; Kernel info:
; codeLenInByte = 4260
; NumSgprs: 48
; NumVgprs: 94
; NumAgprs: 0
; TotalNumVgprs: 94
; ScratchSize: 0
; MemoryBound: 0
; FloatMode: 240
; IeeeMode: 1
; LDSByteSize: 32 bytes/workgroup (compile time only)
; SGPRBlocks: 5
; VGPRBlocks: 11
; NumSGPRsForWavesPerEU: 48
; NumVGPRsForWavesPerEU: 94
; AccumOffset: 96
; Occupancy: 5
; WaveLimiterHint : 0
; COMPUTE_PGM_RSRC2:SCRATCH_EN: 0
; COMPUTE_PGM_RSRC2:USER_SGPR: 6
; COMPUTE_PGM_RSRC2:TRAP_HANDLER: 0
; COMPUTE_PGM_RSRC2:TGID_X_EN: 1
; COMPUTE_PGM_RSRC2:TGID_Y_EN: 1
; COMPUTE_PGM_RSRC2:TGID_Z_EN: 0
; COMPUTE_PGM_RSRC2:TIDIG_COMP_CNT: 0
; COMPUTE_PGM_RSRC3_GFX90A:ACCUM_OFFSET: 23
; COMPUTE_PGM_RSRC3_GFX90A:TG_SPLIT: 0
	.section	.text._ZN5aiter35fused_qk_rmsnorm_group_quant_kernelItDB8_Li256ELi16ELi4ELb1ELb1ELb0ELb0ELb0ELb0EEEvPT0_PvPT_S6_S6_PKS5_S8_S8_S8_S8_ffiiiiiiiiiiiii,"axG",@progbits,_ZN5aiter35fused_qk_rmsnorm_group_quant_kernelItDB8_Li256ELi16ELi4ELb1ELb1ELb0ELb0ELb0ELb0EEEvPT0_PvPT_S6_S6_PKS5_S8_S8_S8_S8_ffiiiiiiiiiiiii,comdat
	.protected	_ZN5aiter35fused_qk_rmsnorm_group_quant_kernelItDB8_Li256ELi16ELi4ELb1ELb1ELb0ELb0ELb0ELb0EEEvPT0_PvPT_S6_S6_PKS5_S8_S8_S8_S8_ffiiiiiiiiiiiii ; -- Begin function _ZN5aiter35fused_qk_rmsnorm_group_quant_kernelItDB8_Li256ELi16ELi4ELb1ELb1ELb0ELb0ELb0ELb0EEEvPT0_PvPT_S6_S6_PKS5_S8_S8_S8_S8_ffiiiiiiiiiiiii
	.globl	_ZN5aiter35fused_qk_rmsnorm_group_quant_kernelItDB8_Li256ELi16ELi4ELb1ELb1ELb0ELb0ELb0ELb0EEEvPT0_PvPT_S6_S6_PKS5_S8_S8_S8_S8_ffiiiiiiiiiiiii
	.p2align	8
	.type	_ZN5aiter35fused_qk_rmsnorm_group_quant_kernelItDB8_Li256ELi16ELi4ELb1ELb1ELb0ELb0ELb0ELb0EEEvPT0_PvPT_S6_S6_PKS5_S8_S8_S8_S8_ffiiiiiiiiiiiii,@function
_ZN5aiter35fused_qk_rmsnorm_group_quant_kernelItDB8_Li256ELi16ELi4ELb1ELb1ELb0ELb0ELb0ELb0EEEvPT0_PvPT_S6_S6_PKS5_S8_S8_S8_S8_ffiiiiiiiiiiiii: ; @_ZN5aiter35fused_qk_rmsnorm_group_quant_kernelItDB8_Li256ELi16ELi4ELb1ELb1ELb0ELb0ELb0ELb0EEEvPT0_PvPT_S6_S6_PKS5_S8_S8_S8_S8_ffiiiiiiiiiiiii
; %bb.0:
	s_load_dwordx8 s[20:27], s[4:5], 0x50
	s_waitcnt lgkmcnt(0)
	s_cmp_ge_i32 s6, s22
	s_cbranch_scc1 .LBB814_17
; %bb.1:
	s_cmp_lg_u32 s7, 0
	s_cselect_b64 s[10:11], -1, 0
	s_cmp_eq_u32 s7, 0
	s_cselect_b64 s[8:9], -1, 0
	s_and_b64 s[0:1], s[8:9], exec
	s_load_dwordx2 s[28:29], s[4:5], 0x48
	s_load_dwordx2 s[34:35], s[4:5], 0x30
	s_load_dwordx8 s[12:19], s[4:5], 0x70
	s_cselect_b32 s7, s23, s24
	s_add_i32 s0, s7, 1
	s_lshr_b32 s1, s0, 31
	s_add_i32 s0, s0, s1
	s_lshl_b32 s0, s0, 1
	v_lshlrev_b32_e32 v1, 4, v0
	s_and_b32 s38, s0, -4
	v_cmp_gt_i32_e64 s[0:1], s7, v1
	v_mov_b32_e32 v82, 0
	v_mov_b32_e32 v83, 0
	;; [unrolled: 1-line block ×16, first 2 shown]
	s_and_saveexec_b64 s[2:3], s[0:1]
	s_cbranch_execz .LBB814_3
; %bb.2:
	s_waitcnt lgkmcnt(0)
	s_load_dwordx2 s[18:19], s[4:5], 0x28
	s_load_dwordx2 s[30:31], s[4:5], 0x40
	s_and_b64 s[36:37], s[8:9], exec
	s_cselect_b32 s22, s25, s26
	s_mov_b32 s39, 0x20000
	s_waitcnt lgkmcnt(0)
	s_cselect_b32 s25, s19, s35
	s_cselect_b32 s33, s18, s34
	s_mul_hi_i32 s19, s22, s6
	s_mul_i32 s18, s22, s6
	s_lshl_b64 s[18:19], s[18:19], 1
	s_add_u32 s40, s33, s18
	s_addc_u32 s22, s25, s19
	s_and_b64 s[18:19], s[8:9], exec
	s_cselect_b32 s36, s30, s28
	s_cselect_b32 s18, s31, s29
	s_and_b32 s41, s22, 0xffff
	s_mov_b32 s42, s38
	s_mov_b32 s43, s39
	v_lshlrev_b32_e32 v2, 5, v0
	s_and_b32 s37, s18, 0xffff
	buffer_load_dwordx4 v[86:89], v2, s[40:43], 0 offen
	buffer_load_dwordx4 v[90:93], v2, s[40:43], 16 offen
	;; [unrolled: 1-line block ×4, first 2 shown]
.LBB814_3:
	s_or_b64 exec, exec, s[2:3]
	s_and_b64 vcc, exec, s[10:11]
	s_cbranch_vccz .LBB814_7
; %bb.4:
	v_mov_b32_e32 v95, 0
	v_mov_b32_e32 v94, 0
	;; [unrolled: 1-line block ×16, first 2 shown]
	s_and_saveexec_b64 s[2:3], s[0:1]
	s_cbranch_execz .LBB814_6
; %bb.5:
	s_waitcnt vmcnt(3)
	v_cvt_f32_u32_sdwa v62, v86 dst_sel:DWORD dst_unused:UNUSED_PAD src0_sel:WORD_0
	v_cvt_f32_u32_sdwa v63, v86 dst_sel:DWORD dst_unused:UNUSED_PAD src0_sel:WORD_1
	v_cvt_f32_u32_sdwa v24, v87 dst_sel:DWORD dst_unused:UNUSED_PAD src0_sel:WORD_0
	v_cvt_f32_u32_sdwa v25, v87 dst_sel:DWORD dst_unused:UNUSED_PAD src0_sel:WORD_1
	;; [unrolled: 2-line block ×4, first 2 shown]
	s_waitcnt vmcnt(2)
	v_cvt_f32_u32_sdwa v42, v90 dst_sel:DWORD dst_unused:UNUSED_PAD src0_sel:WORD_0
	v_cvt_f32_u32_sdwa v43, v90 dst_sel:DWORD dst_unused:UNUSED_PAD src0_sel:WORD_1
	v_cvt_f32_u32_sdwa v18, v91 dst_sel:DWORD dst_unused:UNUSED_PAD src0_sel:WORD_0
	v_cvt_f32_u32_sdwa v19, v91 dst_sel:DWORD dst_unused:UNUSED_PAD src0_sel:WORD_1
	v_cvt_f32_u32_sdwa v14, v92 dst_sel:DWORD dst_unused:UNUSED_PAD src0_sel:WORD_0
	v_cvt_f32_u32_sdwa v15, v92 dst_sel:DWORD dst_unused:UNUSED_PAD src0_sel:WORD_1
	v_cvt_f32_u32_sdwa v94, v93 dst_sel:DWORD dst_unused:UNUSED_PAD src0_sel:WORD_0
	v_cvt_f32_u32_sdwa v95, v93 dst_sel:DWORD dst_unused:UNUSED_PAD src0_sel:WORD_1
.LBB814_6:
	s_or_b64 exec, exec, s[2:3]
	s_cbranch_execz .LBB814_8
	s_branch .LBB814_11
.LBB814_7:
                                        ; implicit-def: $vgpr22_vgpr23_vgpr24_vgpr25_vgpr26_vgpr27_vgpr28_vgpr29_vgpr30_vgpr31_vgpr32_vgpr33_vgpr34_vgpr35_vgpr36_vgpr37
                                        ; implicit-def: $vgpr46_vgpr47_vgpr48_vgpr49_vgpr50_vgpr51_vgpr52_vgpr53_vgpr54_vgpr55_vgpr56_vgpr57_vgpr58_vgpr59_vgpr60_vgpr61
                                        ; implicit-def: $vgpr26_vgpr27_vgpr28_vgpr29_vgpr30_vgpr31_vgpr32_vgpr33_vgpr34_vgpr35_vgpr36_vgpr37_vgpr38_vgpr39_vgpr40_vgpr41
                                        ; implicit-def: $vgpr8_vgpr9_vgpr10_vgpr11_vgpr12_vgpr13_vgpr14_vgpr15_vgpr16_vgpr17_vgpr18_vgpr19_vgpr20_vgpr21_vgpr22_vgpr23
                                        ; implicit-def: $vgpr95
                                        ; implicit-def: $vgpr62_vgpr63_vgpr64_vgpr65_vgpr66_vgpr67_vgpr68_vgpr69_vgpr70_vgpr71_vgpr72_vgpr73_vgpr74_vgpr75_vgpr76_vgpr77
                                        ; implicit-def: $vgpr34_vgpr35_vgpr36_vgpr37_vgpr38_vgpr39_vgpr40_vgpr41_vgpr42_vgpr43_vgpr44_vgpr45_vgpr46_vgpr47_vgpr48_vgpr49
                                        ; implicit-def: $vgpr2_vgpr3_vgpr4_vgpr5_vgpr6_vgpr7_vgpr8_vgpr9_vgpr10_vgpr11_vgpr12_vgpr13_vgpr14_vgpr15_vgpr16_vgpr17
.LBB814_8:
	v_mov_b32_e32 v95, 0
	v_mov_b32_e32 v94, 0
	;; [unrolled: 1-line block ×16, first 2 shown]
	s_and_saveexec_b64 s[2:3], s[0:1]
	s_cbranch_execz .LBB814_10
; %bb.9:
	s_waitcnt lgkmcnt(0)
	s_load_dwordx2 s[18:19], s[4:5], 0x38
	s_mul_hi_i32 s31, s27, s6
	s_mul_i32 s30, s27, s6
	s_lshl_b64 s[30:31], s[30:31], 1
	s_mov_b32 s39, 0x20000
	s_waitcnt lgkmcnt(0)
	s_add_u32 s36, s18, s30
	s_addc_u32 s18, s19, s31
	s_and_b32 s37, s18, 0xffff
	v_lshlrev_b32_e32 v38, 5, v0
	buffer_load_dwordx4 v[4:7], v38, s[36:39], 16 offen
	buffer_load_dwordx4 v[8:11], v38, s[36:39], 0 offen
	s_load_dwordx2 s[18:19], s[4:5], 0x20
	s_waitcnt vmcnt(5)
	v_cvt_f32_u32_sdwa v19, v86 dst_sel:DWORD dst_unused:UNUSED_PAD src0_sel:WORD_1
	v_cvt_f32_u32_sdwa v18, v86 dst_sel:DWORD dst_unused:UNUSED_PAD src0_sel:WORD_0
	v_cvt_f32_u32_sdwa v21, v87 dst_sel:DWORD dst_unused:UNUSED_PAD src0_sel:WORD_1
	v_cvt_f32_u32_sdwa v20, v87 dst_sel:DWORD dst_unused:UNUSED_PAD src0_sel:WORD_0
	;; [unrolled: 2-line block ×4, first 2 shown]
	s_waitcnt vmcnt(4)
	v_cvt_f32_u32_sdwa v3, v90 dst_sel:DWORD dst_unused:UNUSED_PAD src0_sel:WORD_1
	v_cvt_f32_u32_sdwa v2, v90 dst_sel:DWORD dst_unused:UNUSED_PAD src0_sel:WORD_0
	v_cvt_f32_u32_sdwa v13, v91 dst_sel:DWORD dst_unused:UNUSED_PAD src0_sel:WORD_1
	v_cvt_f32_u32_sdwa v12, v91 dst_sel:DWORD dst_unused:UNUSED_PAD src0_sel:WORD_0
	;; [unrolled: 2-line block ×3, first 2 shown]
	v_cvt_f32_u32_sdwa v16, v93 dst_sel:DWORD dst_unused:UNUSED_PAD src0_sel:WORD_0
	v_cvt_f32_u32_sdwa v17, v93 dst_sel:DWORD dst_unused:UNUSED_PAD src0_sel:WORD_1
	s_mul_hi_i32 s31, s17, s6
	s_mul_i32 s30, s17, s6
	s_lshl_b64 s[30:31], s[30:31], 1
	s_waitcnt lgkmcnt(0)
	s_add_u32 s36, s18, s30
	s_mov_b32 s17, 0x7060302
	s_addc_u32 s18, s19, s31
	s_and_b32 s37, s18, 0xffff
	s_waitcnt vmcnt(1)
	v_cvt_f32_u32_sdwa v27, v4 dst_sel:DWORD dst_unused:UNUSED_PAD src0_sel:WORD_1
	v_cvt_f32_u32_sdwa v26, v4 dst_sel:DWORD dst_unused:UNUSED_PAD src0_sel:WORD_0
	v_cvt_f32_u32_sdwa v29, v5 dst_sel:DWORD dst_unused:UNUSED_PAD src0_sel:WORD_1
	v_cvt_f32_u32_sdwa v28, v5 dst_sel:DWORD dst_unused:UNUSED_PAD src0_sel:WORD_0
	;; [unrolled: 2-line block ×3, first 2 shown]
	v_cvt_f32_u32_sdwa v34, v7 dst_sel:DWORD dst_unused:UNUSED_PAD src0_sel:WORD_0
	v_cvt_f32_u32_sdwa v35, v7 dst_sel:DWORD dst_unused:UNUSED_PAD src0_sel:WORD_1
	s_waitcnt vmcnt(0)
	v_cvt_f32_u32_sdwa v37, v8 dst_sel:DWORD dst_unused:UNUSED_PAD src0_sel:WORD_1
	v_cvt_f32_u32_sdwa v36, v8 dst_sel:DWORD dst_unused:UNUSED_PAD src0_sel:WORD_0
	v_cvt_f32_u32_sdwa v5, v10 dst_sel:DWORD dst_unused:UNUSED_PAD src0_sel:WORD_1
	v_cvt_f32_u32_sdwa v4, v10 dst_sel:DWORD dst_unused:UNUSED_PAD src0_sel:WORD_0
	;; [unrolled: 2-line block ×4, first 2 shown]
	v_pk_add_f32 v[50:51], v[22:23], v[4:5]
	v_pk_add_f32 v[32:33], v[24:25], v[6:7]
	;; [unrolled: 1-line block ×4, first 2 shown]
	v_perm_b32 v7, v33, v32, s17
	v_perm_b32 v6, v51, v50, s17
	;; [unrolled: 1-line block ×4, first 2 shown]
	v_pk_add_f32 v[94:95], v[16:17], v[34:35]
	v_pk_add_f32 v[14:15], v[14:15], v[30:31]
	;; [unrolled: 1-line block ×4, first 2 shown]
	buffer_store_dwordx4 v[4:7], v38, s[36:39], 0 offen
	;;#ASMSTART
	s_nop 0
	;;#ASMEND
	s_nop 0
	v_perm_b32 v7, v95, v94, s17
	v_perm_b32 v6, v15, v14, s17
	;; [unrolled: 1-line block ×4, first 2 shown]
	buffer_store_dwordx4 v[4:7], v38, s[36:39], 16 offen
	;;#ASMSTART
	s_nop 0
	;;#ASMEND
.LBB814_10:
	s_or_b64 exec, exec, s[2:3]
.LBB814_11:
	v_mul_f32_e32 v2, v63, v63
	v_fmac_f32_e32 v2, v62, v62
	v_fmac_f32_e32 v2, v24, v24
	;; [unrolled: 1-line block ×15, first 2 shown]
	s_nop 1
	v_mov_b32_dpp v3, v2 quad_perm:[1,0,3,2] row_mask:0xf bank_mask:0xf
	v_add_f32_e32 v2, v2, v3
	s_nop 1
	v_mov_b32_dpp v3, v2 quad_perm:[2,3,0,1] row_mask:0xf bank_mask:0xf
	v_add_f32_e32 v2, v2, v3
	s_nop 1
	v_mov_b32_dpp v3, v2 row_half_mirror row_mask:0xf bank_mask:0xf
	v_add_f32_e32 v2, v2, v3
	s_nop 1
	v_mov_b32_dpp v3, v2 row_mirror row_mask:0xf bank_mask:0xf
	v_add_f32_e32 v2, v2, v3
	s_nop 1
	v_mov_b32_dpp v3, v2 row_bcast:15 row_mask:0xf bank_mask:0xf
	v_add_f32_e32 v2, v2, v3
	v_and_b32_e32 v3, 63, v0
	v_cmp_eq_u32_e64 s[2:3], 63, v3
	s_nop 0
	v_mov_b32_dpp v3, v2 row_bcast:31 row_mask:0xf bank_mask:0xf
	s_waitcnt lgkmcnt(0)
	s_and_saveexec_b64 s[18:19], s[2:3]
	s_cbranch_execz .LBB814_13
; %bb.12:
	v_add_f32_e32 v2, v2, v3
	v_lshrrev_b32_e32 v3, 4, v0
	v_and_b32_e32 v3, 60, v3
	ds_write_b32 v3, v2 offset:16
.LBB814_13:
	s_or_b64 exec, exec, s[18:19]
	v_and_b32_e32 v2, 3, v0
	v_lshlrev_b32_e32 v34, 2, v2
	s_waitcnt lgkmcnt(0)
	s_barrier
	ds_read_b32 v3, v34 offset:16
	s_load_dwordx2 s[18:19], s[4:5], 0x18
	s_waitcnt lgkmcnt(0)
	v_mov_b32_dpp v4, v3 quad_perm:[1,0,3,2] row_mask:0xf bank_mask:0xf
	v_add_f32_e32 v3, v3, v4
	s_nop 1
	v_mov_b32_dpp v4, v3 quad_perm:[2,3,0,1] row_mask:0xf bank_mask:0xf
	s_and_saveexec_b64 s[30:31], s[0:1]
	s_cbranch_execnz .LBB814_18
; %bb.14:
	s_or_b64 exec, exec, s[30:31]
	s_mov_b64 s[8:9], -1
	s_and_b64 vcc, exec, s[10:11]
	s_cbranch_vccnz .LBB814_19
.LBB814_15:
	s_andn2_b64 vcc, exec, s[8:9]
	s_cbranch_vccz .LBB814_22
.LBB814_16:
	s_cmp_lt_i32 s24, 1
	s_cbranch_scc0 .LBB814_31
.LBB814_17:
	s_endpgm
.LBB814_18:
	v_add_f32_e32 v3, v3, v4
	v_cvt_f32_u32_e32 v4, s7
	s_mov_b32 s7, 0x800000
	s_waitcnt vmcnt(1)
	v_cvt_f32_u32_sdwa v21, v82 dst_sel:DWORD dst_unused:UNUSED_PAD src0_sel:WORD_1
	v_cvt_f32_u32_sdwa v20, v82 dst_sel:DWORD dst_unused:UNUSED_PAD src0_sel:WORD_0
	v_div_scale_f32 v5, s[36:37], v4, v4, v3
	v_rcp_f32_e32 v6, v5
	v_cvt_f32_u32_sdwa v23, v83 dst_sel:DWORD dst_unused:UNUSED_PAD src0_sel:WORD_1
	v_cvt_f32_u32_sdwa v22, v83 dst_sel:DWORD dst_unused:UNUSED_PAD src0_sel:WORD_0
	s_waitcnt vmcnt(0)
	v_cvt_f32_u32_sdwa v27, v80 dst_sel:DWORD dst_unused:UNUSED_PAD src0_sel:WORD_1
	v_fma_f32 v7, -v5, v6, 1.0
	v_fmac_f32_e32 v6, v7, v6
	v_div_scale_f32 v7, vcc, v3, v4, v3
	v_mul_f32_e32 v8, v7, v6
	v_fma_f32 v9, -v5, v8, v7
	v_fmac_f32_e32 v8, v9, v6
	v_fma_f32 v5, -v5, v8, v7
	v_div_fmas_f32 v5, v5, v6, v8
	v_div_fixup_f32 v3, v5, v4, v3
	v_mov_b32_e32 v4, s21
	v_mov_b32_e32 v5, s20
	v_cndmask_b32_e64 v4, v4, v5, s[8:9]
	v_add_f32_e32 v3, v4, v3
	v_mul_f32_e32 v4, 0x4b800000, v3
	v_cmp_gt_f32_e32 vcc, s7, v3
	v_cndmask_b32_e32 v3, v3, v4, vcc
	v_rsq_f32_e32 v3, v3
	v_cvt_f32_u32_sdwa v26, v80 dst_sel:DWORD dst_unused:UNUSED_PAD src0_sel:WORD_0
	v_cvt_f32_u32_sdwa v29, v81 dst_sel:DWORD dst_unused:UNUSED_PAD src0_sel:WORD_1
	v_cvt_f32_u32_sdwa v28, v81 dst_sel:DWORD dst_unused:UNUSED_PAD src0_sel:WORD_0
	v_mul_f32_e32 v4, 0x45800000, v3
	v_cndmask_b32_e32 v4, v3, v4, vcc
	v_mov_b32_e32 v5, v4
	;;#ASMSTART
	v_pk_mul_f32 v[6:7], v[62:63], v[4:5]
	;;#ASMEND
	;;#ASMSTART
	v_pk_mul_f32 v[8:9], v[24:25], v[4:5]
	;;#ASMEND
	;; [unrolled: 3-line block ×10, first 2 shown]
	v_cvt_f32_u32_sdwa v7, v84 dst_sel:DWORD dst_unused:UNUSED_PAD src0_sel:WORD_1
	v_cvt_f32_u32_sdwa v6, v84 dst_sel:DWORD dst_unused:UNUSED_PAD src0_sel:WORD_0
	v_cvt_f32_u32_sdwa v9, v85 dst_sel:DWORD dst_unused:UNUSED_PAD src0_sel:WORD_1
	v_cvt_f32_u32_sdwa v8, v85 dst_sel:DWORD dst_unused:UNUSED_PAD src0_sel:WORD_0
	;; [unrolled: 2-line block ×4, first 2 shown]
	;;#ASMSTART
	v_pk_mul_f32 v[50:51], v[10:11], v[6:7]
	;;#ASMEND
	;;#ASMSTART
	v_pk_mul_f32 v[32:33], v[12:13], v[8:9]
	;;#ASMEND
	;;#ASMSTART
	v_pk_mul_f32 v[42:43], v[16:17], v[20:21]
	;;#ASMEND
	;;#ASMSTART
	v_pk_mul_f32 v[18:19], v[18:19], v[22:23]
	;;#ASMEND
	;;#ASMSTART
	v_pk_mul_f32 v[14:15], v[14:15], v[26:27]
	;;#ASMEND
	;;#ASMSTART
	v_pk_mul_f32 v[94:95], v[4:5], v[28:29]
	;;#ASMEND
	s_or_b64 exec, exec, s[30:31]
	s_mov_b64 s[8:9], -1
	s_and_b64 vcc, exec, s[10:11]
	s_cbranch_vccz .LBB814_15
.LBB814_19:
	s_and_saveexec_b64 s[8:9], s[0:1]
	s_cbranch_execz .LBB814_21
; %bb.20:
	s_mul_hi_i32 s11, s16, s6
	s_mul_i32 s10, s16, s6
	s_lshl_b64 s[10:11], s[10:11], 1
	s_add_u32 s36, s18, s10
	s_addc_u32 s7, s19, s11
	s_and_b32 s37, s7, 0xffff
	s_mov_b32 s7, 0x7060302
	s_mov_b32 s39, 0x20000
	v_perm_b32 v7, v33, v32, s7
	v_perm_b32 v6, v51, v50, s7
	v_perm_b32 v5, v25, v24, s7
	v_perm_b32 v4, v63, v62, s7
	v_lshlrev_b32_e32 v3, 5, v0
	buffer_store_dwordx4 v[4:7], v3, s[36:39], 0 offen
	;;#ASMSTART
	s_nop 0
	;;#ASMEND
	s_nop 0
	v_perm_b32 v7, v95, v94, s7
	v_perm_b32 v6, v15, v14, s7
	;; [unrolled: 1-line block ×4, first 2 shown]
	buffer_store_dwordx4 v[4:7], v3, s[36:39], 16 offen
	;;#ASMSTART
	s_nop 0
	;;#ASMEND
.LBB814_21:
	s_or_b64 exec, exec, s[8:9]
	s_cbranch_execnz .LBB814_16
.LBB814_22:
	v_mov_b32_e32 v3, 0
	s_and_saveexec_b64 s[8:9], s[0:1]
	s_cbranch_execz .LBB814_24
; %bb.23:
	s_load_dwordx2 s[10:11], s[4:5], 0x10
	s_mul_hi_i32 s31, s15, s6
	s_mul_i32 s30, s15, s6
	s_lshl_b64 s[30:31], s[30:31], 1
	s_mov_b32 s39, 0x20000
	s_waitcnt lgkmcnt(0)
	s_add_u32 s36, s10, s30
	s_addc_u32 s7, s11, s31
	s_and_b32 s37, s7, 0xffff
	s_mov_b32 s7, 0x7060302
	v_perm_b32 v7, v33, v32, s7
	v_perm_b32 v6, v51, v50, s7
	;; [unrolled: 1-line block ×4, first 2 shown]
	v_lshlrev_b32_e32 v3, 5, v0
	buffer_store_dwordx4 v[4:7], v3, s[36:39], 0 offen
	;;#ASMSTART
	s_nop 0
	;;#ASMEND
	s_nop 0
	v_perm_b32 v7, v95, v94, s7
	v_perm_b32 v6, v15, v14, s7
	;; [unrolled: 1-line block ×4, first 2 shown]
	buffer_store_dwordx4 v[4:7], v3, s[36:39], 16 offen
	v_mov_b32_e32 v3, 0x2edbe6ff
	;;#ASMSTART
	s_nop 0
	;;#ASMEND
.LBB814_24:
	s_or_b64 exec, exec, s[8:9]
	s_and_saveexec_b64 s[8:9], s[0:1]
	s_cbranch_execz .LBB814_26
; %bb.25:
	v_and_b32_e32 v4, 0x7fffffff, v62
	v_and_b32_e32 v5, 0x7fffffff, v63
	;;#ASMSTART
	v_max3_f32 v3, v3, v4, v5

	;;#ASMEND
	v_and_b32_e32 v4, 0x7fffffff, v24
	v_and_b32_e32 v5, 0x7fffffff, v25
	;;#ASMSTART
	v_max3_f32 v3, v3, v4, v5

	;;#ASMEND
	;; [unrolled: 6-line block ×8, first 2 shown]
.LBB814_26:
	s_or_b64 exec, exec, s[8:9]
	;;#ASMSTART
	v_max_f32 v4, v3, v3 quad_perm:[1,0,3,2] row_mask:0xf bank_mask:0xf bound_ctrl:1
	;;#ASMEND
	;;#ASMSTART
	v_max_f32 v3, v4, v4 quad_perm:[2,3,0,1] row_mask:0xf bank_mask:0xf bound_ctrl:1
	;;#ASMEND
	v_cmp_eq_u32_e32 vcc, 0, v2
	v_cmp_gt_i32_e64 s[8:9], s23, v1
	v_mul_f32_e32 v3, 0x3b124925, v3
	s_and_b64 s[10:11], vcc, s[8:9]
	s_and_saveexec_b64 s[8:9], s[10:11]
	s_cbranch_execz .LBB814_28
; %bb.27:
	s_load_dwordx2 s[10:11], s[4:5], 0x8
	v_lshrrev_b32_e32 v2, 2, v0
	s_mul_hi_i32 s31, s13, s6
	s_mul_i32 s30, s13, s6
	v_mad_i64_i32 v[4:5], s[14:15], s14, v2, 0
	s_lshl_b64 s[14:15], s[30:31], 2
	s_waitcnt lgkmcnt(0)
	s_add_u32 s7, s10, s14
	s_addc_u32 s10, s11, s15
	v_lshlrev_b64 v[4:5], 2, v[4:5]
	v_mov_b32_e32 v2, s10
	v_add_co_u32_e32 v4, vcc, s7, v4
	v_addc_co_u32_e32 v5, vcc, v2, v5, vcc
	global_store_dword v[4:5], v3, off
.LBB814_28:
	s_or_b64 exec, exec, s[8:9]
	;;#ASMSTART
	v_rcp_f32 v2, v3
	;;#ASMEND
	s_and_saveexec_b64 s[14:15], s[0:1]
	s_cbranch_execz .LBB814_30
; %bb.29:
	v_mov_b32_e32 v3, v2
	;;#ASMSTART
	v_pk_mul_f32 v[4:5], v[62:63], v[2:3]
	;;#ASMEND
	v_mov_b32_e32 v10, 0xc3e00000
	v_mov_b32_e32 v11, 0x43e00000
	;;#ASMSTART
	v_med3_f32 v4, v4, v10, v11
v_med3_f32 v5, v5, v10, v11
v_cvt_pk_fp8_f32 v6, v4, v5
	;;#ASMEND
	;;#ASMSTART
	v_pk_mul_f32 v[4:5], v[24:25], v[2:3]
	;;#ASMEND
	;;#ASMSTART
	v_med3_f32 v4, v4, v10, v11
v_med3_f32 v5, v5, v10, v11
v_cvt_pk_fp8_f32 v7, v4, v5
	;;#ASMEND
	;;#ASMSTART
	v_pk_mul_f32 v[4:5], v[50:51], v[2:3]
	;;#ASMEND
	;; [unrolled: 8-line block ×3, first 2 shown]
	;;#ASMSTART
	v_med3_f32 v4, v4, v10, v11
v_med3_f32 v5, v5, v10, v11
v_cvt_pk_fp8_f32 v9, v4, v5
	;;#ASMEND
	s_mov_b32 s0, 0x5040100
	v_perm_b32 v4, v7, v6, s0
	s_mov_b32 s0, 0x1060504
	v_perm_b32 v4, v4, v7, s0
	s_load_dwordx2 s[0:1], s[4:5], 0x0
	s_mov_b32 s7, 0x1000504
	;;#ASMSTART
	v_pk_mul_f32 v[6:7], v[42:43], v[2:3]
	;;#ASMEND
	v_perm_b32 v5, v8, v9, s7
	s_mul_i32 s8, s12, s6
	;;#ASMSTART
	v_med3_f32 v6, v6, v10, v11
v_med3_f32 v7, v7, v10, v11
v_cvt_pk_fp8_f32 v8, v6, v7
	;;#ASMEND
	s_mul_hi_i32 s9, s12, s6
	s_waitcnt lgkmcnt(0)
	s_add_u32 s8, s0, s8
	;;#ASMSTART
	v_pk_mul_f32 v[6:7], v[18:19], v[2:3]
	;;#ASMEND
	s_addc_u32 s0, s1, s9
	s_add_i32 s1, s23, 3
	;;#ASMSTART
	v_med3_f32 v6, v6, v10, v11
v_med3_f32 v7, v7, v10, v11
v_cvt_pk_fp8_f32 v9, v6, v7
	;;#ASMEND
	s_ashr_i32 s9, s1, 31
	v_perm_b32 v6, v8, v9, s7
	;;#ASMSTART
	v_pk_mul_f32 v[8:9], v[14:15], v[2:3]
	;;#ASMEND
	v_mov_b32_e32 v7, v9
	s_lshr_b32 s9, s9, 30
	;;#ASMSTART
	v_med3_f32 v8, v8, v10, v11
v_med3_f32 v7, v7, v10, v11
v_cvt_pk_fp8_f32 v9, v8, v7
	;;#ASMEND
	;;#ASMSTART
	v_pk_mul_f32 v[2:3], v[94:95], v[2:3]
	;;#ASMEND
	s_add_i32 s1, s1, s9
	;;#ASMSTART
	v_med3_f32 v2, v2, v10, v11
v_med3_f32 v3, v3, v10, v11
v_cvt_pk_fp8_f32 v7, v2, v3
	;;#ASMEND
	s_and_b32 s10, s1, -4
	s_and_b32 s9, s0, 0xffff
	s_mov_b32 s11, 0x20000
	v_perm_b32 v7, v9, v7, s7
	buffer_store_dwordx4 v[4:7], v1, s[8:11], 0 offen
	;;#ASMSTART
	s_nop 0
	;;#ASMEND
.LBB814_30:
	s_or_b64 exec, exec, s[14:15]
	s_cmp_lt_i32 s24, 1
	s_cbranch_scc1 .LBB814_17
.LBB814_31:
	s_load_dword s0, s[4:5], 0x94
	s_waitcnt lgkmcnt(0)
	s_cmp_lg_u32 s0, 1
	s_cbranch_scc1 .LBB814_17
; %bb.32:
	s_lshl_b32 s0, s24, 1
	s_add_i32 s0, s0, 2
	v_cmp_gt_u32_e32 vcc, s24, v1
	s_and_b32 s30, s0, -4
	v_mov_b32_e32 v18, 0
	v_lshlrev_b32_e32 v1, 5, v0
	v_mov_b32_e32 v14, 0
	v_mov_b32_e32 v15, 0
	;; [unrolled: 1-line block ×16, first 2 shown]
	s_barrier
	s_and_saveexec_b64 s[0:1], vcc
	s_cbranch_execz .LBB814_34
; %bb.33:
	s_mul_hi_i32 s5, s26, s6
	s_mul_i32 s4, s26, s6
	s_and_b32 s29, s29, 0xffff
	s_lshl_b64 s[4:5], s[4:5], 1
	s_add_u32 s8, s34, s4
	s_mov_b32 s31, 0x20000
	s_addc_u32 s4, s35, s5
	s_and_b32 s9, s4, 0xffff
	s_mov_b32 s10, s30
	s_mov_b32 s11, s31
	buffer_load_dwordx4 v[14:17], v1, s[8:11], 0 offen
	buffer_load_dwordx4 v[10:13], v1, s[8:11], 16 offen
	;; [unrolled: 1-line block ×4, first 2 shown]
.LBB814_34:
	s_or_b64 exec, exec, s[0:1]
	v_mov_b32_e32 v19, 0
	v_mov_b32_e32 v32, 0
	;; [unrolled: 1-line block ×15, first 2 shown]
	s_and_saveexec_b64 s[0:1], vcc
	s_cbranch_execz .LBB814_36
; %bb.35:
	s_waitcnt vmcnt(3)
	v_cvt_f32_u32_sdwa v18, v14 dst_sel:DWORD dst_unused:UNUSED_PAD src0_sel:WORD_0
	v_cvt_f32_u32_sdwa v19, v14 dst_sel:DWORD dst_unused:UNUSED_PAD src0_sel:WORD_1
	v_cvt_f32_u32_sdwa v32, v15 dst_sel:DWORD dst_unused:UNUSED_PAD src0_sel:WORD_0
	v_cvt_f32_u32_sdwa v33, v15 dst_sel:DWORD dst_unused:UNUSED_PAD src0_sel:WORD_1
	;; [unrolled: 2-line block ×4, first 2 shown]
	s_waitcnt vmcnt(2)
	v_cvt_f32_u32_sdwa v26, v10 dst_sel:DWORD dst_unused:UNUSED_PAD src0_sel:WORD_0
	v_cvt_f32_u32_sdwa v27, v10 dst_sel:DWORD dst_unused:UNUSED_PAD src0_sel:WORD_1
	v_cvt_f32_u32_sdwa v24, v11 dst_sel:DWORD dst_unused:UNUSED_PAD src0_sel:WORD_0
	v_cvt_f32_u32_sdwa v25, v11 dst_sel:DWORD dst_unused:UNUSED_PAD src0_sel:WORD_1
	;; [unrolled: 2-line block ×4, first 2 shown]
.LBB814_36:
	s_or_b64 exec, exec, s[0:1]
	s_waitcnt vmcnt(2)
	v_mul_f32_e32 v10, v19, v19
	v_fmac_f32_e32 v10, v18, v18
	v_fmac_f32_e32 v10, v32, v32
	;; [unrolled: 1-line block ×15, first 2 shown]
	s_nop 1
	v_mov_b32_dpp v11, v10 quad_perm:[1,0,3,2] row_mask:0xf bank_mask:0xf
	v_add_f32_e32 v10, v10, v11
	s_nop 1
	v_mov_b32_dpp v11, v10 quad_perm:[2,3,0,1] row_mask:0xf bank_mask:0xf
	v_add_f32_e32 v10, v10, v11
	s_nop 1
	v_mov_b32_dpp v11, v10 row_half_mirror row_mask:0xf bank_mask:0xf
	v_add_f32_e32 v10, v10, v11
	s_nop 1
	v_mov_b32_dpp v11, v10 row_mirror row_mask:0xf bank_mask:0xf
	v_add_f32_e32 v10, v10, v11
	s_nop 1
	v_mov_b32_dpp v11, v10 row_bcast:15 row_mask:0xf bank_mask:0xf
	v_add_f32_e32 v10, v10, v11
	s_nop 1
	v_mov_b32_dpp v11, v10 row_bcast:31 row_mask:0xf bank_mask:0xf
	s_and_saveexec_b64 s[0:1], s[2:3]
	s_cbranch_execz .LBB814_38
; %bb.37:
	v_lshrrev_b32_e32 v0, 4, v0
	v_add_f32_e32 v10, v10, v11
	v_and_b32_e32 v0, 60, v0
	ds_write_b32 v0, v10
.LBB814_38:
	s_or_b64 exec, exec, s[0:1]
	s_waitcnt lgkmcnt(0)
	s_barrier
	ds_read_b32 v0, v34
	s_waitcnt lgkmcnt(0)
	s_nop 0
	v_mov_b32_dpp v10, v0 quad_perm:[1,0,3,2] row_mask:0xf bank_mask:0xf
	v_add_f32_e32 v0, v0, v10
	s_nop 1
	v_mov_b32_dpp v10, v0 quad_perm:[2,3,0,1] row_mask:0xf bank_mask:0xf
	s_and_saveexec_b64 s[0:1], vcc
	s_cbranch_execz .LBB814_17
; %bb.39:
	v_cvt_f32_u32_e32 v11, s24
	v_add_f32_e32 v0, v0, v10
	s_mov_b32 s31, 0x20000
	v_div_scale_f32 v10, s[0:1], v11, v11, v0
	v_rcp_f32_e32 v12, v10
	v_div_scale_f32 v13, vcc, v0, v11, v0
	s_mov_b32 s0, 0x800000
	v_fma_f32 v14, -v10, v12, 1.0
	v_fmac_f32_e32 v12, v14, v12
	v_mul_f32_e32 v14, v13, v12
	v_fma_f32 v15, -v10, v14, v13
	v_fmac_f32_e32 v14, v15, v12
	v_fma_f32 v10, -v10, v14, v13
	v_div_fmas_f32 v10, v10, v12, v14
	v_div_fixup_f32 v0, v10, v11, v0
	v_add_f32_e32 v0, s21, v0
	v_mul_f32_e32 v10, 0x4b800000, v0
	v_cmp_gt_f32_e32 vcc, s0, v0
	v_cndmask_b32_e32 v0, v0, v10, vcc
	v_rsq_f32_e32 v0, v0
	s_mul_hi_i32 s1, s16, s6
	s_mul_i32 s0, s16, s6
	s_lshl_b64 s[0:1], s[0:1], 1
	v_mul_f32_e32 v10, 0x45800000, v0
	v_cndmask_b32_e32 v10, v0, v10, vcc
	v_mov_b32_e32 v11, v10
	s_add_u32 s28, s18, s0
	;;#ASMSTART
	v_pk_mul_f32 v[12:13], v[18:19], v[10:11]
	;;#ASMEND
	;;#ASMSTART
	v_pk_mul_f32 v[14:15], v[32:33], v[10:11]
	;;#ASMEND
	;; [unrolled: 3-line block ×8, first 2 shown]
	s_waitcnt vmcnt(1)
	v_cvt_f32_u32_sdwa v21, v6 dst_sel:DWORD dst_unused:UNUSED_PAD src0_sel:WORD_1
	v_cvt_f32_u32_sdwa v20, v6 dst_sel:DWORD dst_unused:UNUSED_PAD src0_sel:WORD_0
	v_cvt_f32_u32_sdwa v29, v7 dst_sel:DWORD dst_unused:UNUSED_PAD src0_sel:WORD_1
	v_cvt_f32_u32_sdwa v28, v7 dst_sel:DWORD dst_unused:UNUSED_PAD src0_sel:WORD_0
	;; [unrolled: 2-line block ×3, first 2 shown]
	s_addc_u32 s0, s19, s1
	v_cvt_f32_u32_sdwa v31, v9 dst_sel:DWORD dst_unused:UNUSED_PAD src0_sel:WORD_1
	v_cvt_f32_u32_sdwa v30, v9 dst_sel:DWORD dst_unused:UNUSED_PAD src0_sel:WORD_0
	;;#ASMSTART
	v_pk_mul_f32 v[8:9], v[12:13], v[20:21]
	;;#ASMEND
	;;#ASMSTART
	v_pk_mul_f32 v[12:13], v[14:15], v[28:29]
	;;#ASMEND
	;; [unrolled: 3-line block ×4, first 2 shown]
	s_waitcnt vmcnt(0)
	v_cvt_f32_u32_sdwa v17, v2 dst_sel:DWORD dst_unused:UNUSED_PAD src0_sel:WORD_1
	v_cvt_f32_u32_sdwa v16, v2 dst_sel:DWORD dst_unused:UNUSED_PAD src0_sel:WORD_0
	v_cvt_f32_u32_sdwa v19, v3 dst_sel:DWORD dst_unused:UNUSED_PAD src0_sel:WORD_1
	v_cvt_f32_u32_sdwa v18, v3 dst_sel:DWORD dst_unused:UNUSED_PAD src0_sel:WORD_0
	;; [unrolled: 2-line block ×3, first 2 shown]
	s_and_b32 s29, s0, 0xffff
	s_mov_b32 s0, 0x7060302
	v_cvt_f32_u32_sdwa v21, v5 dst_sel:DWORD dst_unused:UNUSED_PAD src0_sel:WORD_1
	v_cvt_f32_u32_sdwa v20, v5 dst_sel:DWORD dst_unused:UNUSED_PAD src0_sel:WORD_0
	;;#ASMSTART
	v_pk_mul_f32 v[16:17], v[26:27], v[16:17]
	;;#ASMEND
	;;#ASMSTART
	v_pk_mul_f32 v[18:19], v[24:25], v[18:19]
	;;#ASMEND
	;; [unrolled: 3-line block ×3, first 2 shown]
	v_perm_b32 v2, v9, v8, s0
	v_perm_b32 v3, v13, v12, s0
	;; [unrolled: 1-line block ×4, first 2 shown]
	;;#ASMSTART
	v_pk_mul_f32 v[10:11], v[10:11], v[20:21]
	;;#ASMEND
	buffer_store_dwordx4 v[2:5], v1, s[28:31], 0 offen
	;;#ASMSTART
	s_nop 0
	;;#ASMEND
	s_nop 0
	v_perm_b32 v2, v17, v16, s0
	v_perm_b32 v3, v19, v18, s0
	;; [unrolled: 1-line block ×4, first 2 shown]
	buffer_store_dwordx4 v[2:5], v1, s[28:31], 16 offen
	;;#ASMSTART
	s_nop 0
	;;#ASMEND
	s_endpgm
	.section	.rodata,"a",@progbits
	.p2align	6, 0x0
	.amdhsa_kernel _ZN5aiter35fused_qk_rmsnorm_group_quant_kernelItDB8_Li256ELi16ELi4ELb1ELb1ELb0ELb0ELb0ELb0EEEvPT0_PvPT_S6_S6_PKS5_S8_S8_S8_S8_ffiiiiiiiiiiiii
		.amdhsa_group_segment_fixed_size 32
		.amdhsa_private_segment_fixed_size 0
		.amdhsa_kernarg_size 400
		.amdhsa_user_sgpr_count 6
		.amdhsa_user_sgpr_private_segment_buffer 1
		.amdhsa_user_sgpr_dispatch_ptr 0
		.amdhsa_user_sgpr_queue_ptr 0
		.amdhsa_user_sgpr_kernarg_segment_ptr 1
		.amdhsa_user_sgpr_dispatch_id 0
		.amdhsa_user_sgpr_flat_scratch_init 0
		.amdhsa_user_sgpr_kernarg_preload_length 0
		.amdhsa_user_sgpr_kernarg_preload_offset 0
		.amdhsa_user_sgpr_private_segment_size 0
		.amdhsa_uses_dynamic_stack 0
		.amdhsa_system_sgpr_private_segment_wavefront_offset 0
		.amdhsa_system_sgpr_workgroup_id_x 1
		.amdhsa_system_sgpr_workgroup_id_y 1
		.amdhsa_system_sgpr_workgroup_id_z 0
		.amdhsa_system_sgpr_workgroup_info 0
		.amdhsa_system_vgpr_workitem_id 0
		.amdhsa_next_free_vgpr 96
		.amdhsa_next_free_sgpr 44
		.amdhsa_accum_offset 96
		.amdhsa_reserve_vcc 1
		.amdhsa_reserve_flat_scratch 0
		.amdhsa_float_round_mode_32 0
		.amdhsa_float_round_mode_16_64 0
		.amdhsa_float_denorm_mode_32 3
		.amdhsa_float_denorm_mode_16_64 3
		.amdhsa_dx10_clamp 1
		.amdhsa_ieee_mode 1
		.amdhsa_fp16_overflow 0
		.amdhsa_tg_split 0
		.amdhsa_exception_fp_ieee_invalid_op 0
		.amdhsa_exception_fp_denorm_src 0
		.amdhsa_exception_fp_ieee_div_zero 0
		.amdhsa_exception_fp_ieee_overflow 0
		.amdhsa_exception_fp_ieee_underflow 0
		.amdhsa_exception_fp_ieee_inexact 0
		.amdhsa_exception_int_div_zero 0
	.end_amdhsa_kernel
	.section	.text._ZN5aiter35fused_qk_rmsnorm_group_quant_kernelItDB8_Li256ELi16ELi4ELb1ELb1ELb0ELb0ELb0ELb0EEEvPT0_PvPT_S6_S6_PKS5_S8_S8_S8_S8_ffiiiiiiiiiiiii,"axG",@progbits,_ZN5aiter35fused_qk_rmsnorm_group_quant_kernelItDB8_Li256ELi16ELi4ELb1ELb1ELb0ELb0ELb0ELb0EEEvPT0_PvPT_S6_S6_PKS5_S8_S8_S8_S8_ffiiiiiiiiiiiii,comdat
.Lfunc_end814:
	.size	_ZN5aiter35fused_qk_rmsnorm_group_quant_kernelItDB8_Li256ELi16ELi4ELb1ELb1ELb0ELb0ELb0ELb0EEEvPT0_PvPT_S6_S6_PKS5_S8_S8_S8_S8_ffiiiiiiiiiiiii, .Lfunc_end814-_ZN5aiter35fused_qk_rmsnorm_group_quant_kernelItDB8_Li256ELi16ELi4ELb1ELb1ELb0ELb0ELb0ELb0EEEvPT0_PvPT_S6_S6_PKS5_S8_S8_S8_S8_ffiiiiiiiiiiiii
                                        ; -- End function
	.section	.AMDGPU.csdata,"",@progbits
; Kernel info:
; codeLenInByte = 4240
; NumSgprs: 48
; NumVgprs: 96
; NumAgprs: 0
; TotalNumVgprs: 96
; ScratchSize: 0
; MemoryBound: 0
; FloatMode: 240
; IeeeMode: 1
; LDSByteSize: 32 bytes/workgroup (compile time only)
; SGPRBlocks: 5
; VGPRBlocks: 11
; NumSGPRsForWavesPerEU: 48
; NumVGPRsForWavesPerEU: 96
; AccumOffset: 96
; Occupancy: 5
; WaveLimiterHint : 0
; COMPUTE_PGM_RSRC2:SCRATCH_EN: 0
; COMPUTE_PGM_RSRC2:USER_SGPR: 6
; COMPUTE_PGM_RSRC2:TRAP_HANDLER: 0
; COMPUTE_PGM_RSRC2:TGID_X_EN: 1
; COMPUTE_PGM_RSRC2:TGID_Y_EN: 1
; COMPUTE_PGM_RSRC2:TGID_Z_EN: 0
; COMPUTE_PGM_RSRC2:TIDIG_COMP_CNT: 0
; COMPUTE_PGM_RSRC3_GFX90A:ACCUM_OFFSET: 23
; COMPUTE_PGM_RSRC3_GFX90A:TG_SPLIT: 0
	.section	.text._ZN5aiter35fused_qk_rmsnorm_group_quant_kernelIDF16_N4opus5fp4_tELi256ELi16ELi4ELb1ELb1ELb0ELb0ELb0ELb0EEEvPT0_PvPT_S7_S7_PKS6_S9_S9_S9_S9_ffiiiiiiiiiiiii,"axG",@progbits,_ZN5aiter35fused_qk_rmsnorm_group_quant_kernelIDF16_N4opus5fp4_tELi256ELi16ELi4ELb1ELb1ELb0ELb0ELb0ELb0EEEvPT0_PvPT_S7_S7_PKS6_S9_S9_S9_S9_ffiiiiiiiiiiiii,comdat
	.protected	_ZN5aiter35fused_qk_rmsnorm_group_quant_kernelIDF16_N4opus5fp4_tELi256ELi16ELi4ELb1ELb1ELb0ELb0ELb0ELb0EEEvPT0_PvPT_S7_S7_PKS6_S9_S9_S9_S9_ffiiiiiiiiiiiii ; -- Begin function _ZN5aiter35fused_qk_rmsnorm_group_quant_kernelIDF16_N4opus5fp4_tELi256ELi16ELi4ELb1ELb1ELb0ELb0ELb0ELb0EEEvPT0_PvPT_S7_S7_PKS6_S9_S9_S9_S9_ffiiiiiiiiiiiii
	.globl	_ZN5aiter35fused_qk_rmsnorm_group_quant_kernelIDF16_N4opus5fp4_tELi256ELi16ELi4ELb1ELb1ELb0ELb0ELb0ELb0EEEvPT0_PvPT_S7_S7_PKS6_S9_S9_S9_S9_ffiiiiiiiiiiiii
	.p2align	8
	.type	_ZN5aiter35fused_qk_rmsnorm_group_quant_kernelIDF16_N4opus5fp4_tELi256ELi16ELi4ELb1ELb1ELb0ELb0ELb0ELb0EEEvPT0_PvPT_S7_S7_PKS6_S9_S9_S9_S9_ffiiiiiiiiiiiii,@function
_ZN5aiter35fused_qk_rmsnorm_group_quant_kernelIDF16_N4opus5fp4_tELi256ELi16ELi4ELb1ELb1ELb0ELb0ELb0ELb0EEEvPT0_PvPT_S7_S7_PKS6_S9_S9_S9_S9_ffiiiiiiiiiiiii: ; @_ZN5aiter35fused_qk_rmsnorm_group_quant_kernelIDF16_N4opus5fp4_tELi256ELi16ELi4ELb1ELb1ELb0ELb0ELb0ELb0EEEvPT0_PvPT_S7_S7_PKS6_S9_S9_S9_S9_ffiiiiiiiiiiiii
; %bb.0:
	s_load_dwordx8 s[20:27], s[4:5], 0x50
	s_waitcnt lgkmcnt(0)
	s_cmp_ge_i32 s6, s22
	s_cbranch_scc1 .LBB815_17
; %bb.1:
	s_cmp_lg_u32 s7, 0
	s_cselect_b64 s[30:31], -1, 0
	s_cmp_eq_u32 s7, 0
	s_cselect_b64 s[8:9], -1, 0
	s_and_b64 s[0:1], s[8:9], exec
	s_load_dwordx2 s[28:29], s[4:5], 0x48
	s_load_dwordx2 s[10:11], s[4:5], 0x30
	s_load_dwordx8 s[12:19], s[4:5], 0x70
	s_cselect_b32 s7, s23, s24
	s_add_i32 s0, s7, 1
	s_lshr_b32 s1, s0, 31
	s_add_i32 s0, s0, s1
	s_lshl_b32 s0, s0, 1
	v_lshlrev_b32_e32 v1, 4, v0
	s_and_b32 s38, s0, -4
	v_cmp_gt_i32_e64 s[0:1], s7, v1
	v_mov_b32_e32 v6, 0
	v_mov_b32_e32 v7, 0
	;; [unrolled: 1-line block ×16, first 2 shown]
	s_and_saveexec_b64 s[2:3], s[0:1]
	s_cbranch_execz .LBB815_3
; %bb.2:
	s_waitcnt lgkmcnt(0)
	s_load_dwordx2 s[18:19], s[4:5], 0x28
	s_load_dwordx2 s[34:35], s[4:5], 0x40
	s_and_b64 s[36:37], s[8:9], exec
	s_cselect_b32 s22, s25, s26
	s_mov_b32 s39, 0x20000
	s_waitcnt lgkmcnt(0)
	s_cselect_b32 s25, s19, s11
	s_cselect_b32 s33, s18, s10
	s_mul_hi_i32 s19, s22, s6
	s_mul_i32 s18, s22, s6
	s_lshl_b64 s[18:19], s[18:19], 1
	s_add_u32 s40, s33, s18
	s_addc_u32 s22, s25, s19
	s_and_b64 s[18:19], s[8:9], exec
	s_cselect_b32 s36, s34, s28
	s_cselect_b32 s18, s35, s29
	s_and_b32 s41, s22, 0xffff
	s_mov_b32 s42, s38
	s_mov_b32 s43, s39
	v_lshlrev_b32_e32 v18, 5, v0
	s_and_b32 s37, s18, 0xffff
	buffer_load_dwordx4 v[10:13], v18, s[40:43], 0 offen
	buffer_load_dwordx4 v[14:17], v18, s[40:43], 16 offen
	;; [unrolled: 1-line block ×4, first 2 shown]
.LBB815_3:
	s_or_b64 exec, exec, s[2:3]
	s_and_b64 vcc, exec, s[30:31]
	s_cbranch_vccz .LBB815_7
; %bb.4:
	v_mov_b32_e32 v19, 0
	v_mov_b32_e32 v18, 0
	;; [unrolled: 1-line block ×16, first 2 shown]
	s_and_saveexec_b64 s[2:3], s[0:1]
	s_cbranch_execz .LBB815_6
; %bb.5:
	s_waitcnt vmcnt(3)
	v_cvt_f32_f16_sdwa v33, v10 dst_sel:DWORD dst_unused:UNUSED_PAD src0_sel:WORD_1
	v_cvt_f32_f16_e32 v32, v10
	v_cvt_f32_f16_sdwa v31, v11 dst_sel:DWORD dst_unused:UNUSED_PAD src0_sel:WORD_1
	v_cvt_f32_f16_e32 v30, v11
	;; [unrolled: 2-line block ×4, first 2 shown]
	s_waitcnt vmcnt(2)
	v_cvt_f32_f16_sdwa v27, v14 dst_sel:DWORD dst_unused:UNUSED_PAD src0_sel:WORD_1
	v_cvt_f32_f16_e32 v26, v14
	v_cvt_f32_f16_sdwa v23, v15 dst_sel:DWORD dst_unused:UNUSED_PAD src0_sel:WORD_1
	v_cvt_f32_f16_e32 v22, v15
	;; [unrolled: 2-line block ×4, first 2 shown]
.LBB815_6:
	s_or_b64 exec, exec, s[2:3]
	s_cbranch_execz .LBB815_8
	s_branch .LBB815_11
.LBB815_7:
                                        ; implicit-def: $vgpr19
                                        ; implicit-def: $vgpr21
                                        ; implicit-def: $vgpr23
                                        ; implicit-def: $vgpr27
                                        ; implicit-def: $vgpr25
                                        ; implicit-def: $vgpr29
                                        ; implicit-def: $vgpr31
                                        ; implicit-def: $vgpr33
.LBB815_8:
	v_mov_b32_e32 v19, 0
	v_mov_b32_e32 v18, 0
	;; [unrolled: 1-line block ×16, first 2 shown]
	s_and_saveexec_b64 s[2:3], s[0:1]
	s_cbranch_execz .LBB815_10
; %bb.9:
	s_waitcnt lgkmcnt(0)
	s_load_dwordx2 s[18:19], s[4:5], 0x38
	s_mul_hi_i32 s35, s27, s6
	s_mul_i32 s34, s27, s6
	s_lshl_b64 s[34:35], s[34:35], 1
	s_mov_b32 s39, 0x20000
	s_waitcnt lgkmcnt(0)
	s_add_u32 s36, s18, s34
	s_addc_u32 s18, s19, s35
	s_and_b32 s37, s18, 0xffff
	v_lshlrev_b32_e32 v46, 5, v0
	buffer_load_dwordx4 v[18:21], v46, s[36:39], 16 offen
	buffer_load_dwordx4 v[22:25], v46, s[36:39], 0 offen
	s_waitcnt vmcnt(4)
	v_cvt_f32_f16_sdwa v27, v14 dst_sel:DWORD dst_unused:UNUSED_PAD src0_sel:WORD_1
	v_cvt_f32_f16_e32 v26, v14
	v_cvt_f32_f16_sdwa v29, v15 dst_sel:DWORD dst_unused:UNUSED_PAD src0_sel:WORD_1
	v_cvt_f32_f16_e32 v28, v15
	;; [unrolled: 2-line block ×8, first 2 shown]
	s_load_dwordx2 s[18:19], s[4:5], 0x20
	s_mul_hi_i32 s35, s17, s6
	s_mul_i32 s34, s17, s6
	s_lshl_b64 s[34:35], s[34:35], 1
	s_waitcnt lgkmcnt(0)
	s_add_u32 s36, s18, s34
	s_addc_u32 s17, s19, s35
	s_and_b32 s37, s17, 0xffff
	s_waitcnt vmcnt(1)
	v_cvt_f32_f16_e32 v12, v18
	v_cvt_f32_f16_sdwa v13, v18 dst_sel:DWORD dst_unused:UNUSED_PAD src0_sel:WORD_1
	v_cvt_f32_f16_e32 v18, v19
	v_cvt_f32_f16_sdwa v19, v19 dst_sel:DWORD dst_unused:UNUSED_PAD src0_sel:WORD_1
	;; [unrolled: 2-line block ×4, first 2 shown]
	s_waitcnt vmcnt(0)
	v_cvt_f32_f16_e32 v40, v22
	v_cvt_f32_f16_sdwa v41, v22 dst_sel:DWORD dst_unused:UNUSED_PAD src0_sel:WORD_1
	v_cvt_f32_f16_e32 v42, v23
	v_cvt_f32_f16_sdwa v43, v23 dst_sel:DWORD dst_unused:UNUSED_PAD src0_sel:WORD_1
	;; [unrolled: 2-line block ×4, first 2 shown]
	v_pk_add_f32 v[26:27], v[26:27], v[12:13]
	v_pk_add_f32 v[22:23], v[28:29], v[18:19]
	;; [unrolled: 1-line block ×8, first 2 shown]
	v_cvt_f16_f32_e32 v10, v33
	v_cvt_f16_f32_e32 v14, v32
	;; [unrolled: 1-line block ×16, first 2 shown]
	v_pack_b32_f16 v13, v17, v13
	v_pack_b32_f16 v12, v16, v12
	;; [unrolled: 1-line block ×8, first 2 shown]
	buffer_store_dwordx4 v[10:13], v46, s[36:39], 0 offen
	;;#ASMSTART
	s_nop 0
	;;#ASMEND
	buffer_store_dwordx4 v[14:17], v46, s[36:39], 16 offen
	;;#ASMSTART
	s_nop 0
	;;#ASMEND
.LBB815_10:
	s_or_b64 exec, exec, s[2:3]
.LBB815_11:
	s_waitcnt vmcnt(3)
	v_mul_f32_e32 v10, v33, v33
	v_fmac_f32_e32 v10, v32, v32
	v_fmac_f32_e32 v10, v30, v30
	;; [unrolled: 1-line block ×15, first 2 shown]
	v_and_b32_e32 v12, 63, v0
	v_cmp_eq_u32_e64 s[2:3], 63, v12
	v_mov_b32_dpp v11, v10 quad_perm:[1,0,3,2] row_mask:0xf bank_mask:0xf
	v_add_f32_e32 v10, v10, v11
	s_nop 1
	v_mov_b32_dpp v11, v10 quad_perm:[2,3,0,1] row_mask:0xf bank_mask:0xf
	v_add_f32_e32 v10, v10, v11
	s_nop 1
	v_mov_b32_dpp v11, v10 row_half_mirror row_mask:0xf bank_mask:0xf
	v_add_f32_e32 v10, v10, v11
	s_nop 1
	v_mov_b32_dpp v11, v10 row_mirror row_mask:0xf bank_mask:0xf
	v_add_f32_e32 v10, v10, v11
	s_nop 1
	v_mov_b32_dpp v11, v10 row_bcast:15 row_mask:0xf bank_mask:0xf
	v_add_f32_e32 v10, v10, v11
	s_nop 1
	v_mov_b32_dpp v11, v10 row_bcast:31 row_mask:0xf bank_mask:0xf
	s_waitcnt lgkmcnt(0)
	s_and_saveexec_b64 s[18:19], s[2:3]
	s_cbranch_execz .LBB815_13
; %bb.12:
	v_add_f32_e32 v10, v10, v11
	v_lshrrev_b32_e32 v11, 4, v0
	v_and_b32_e32 v11, 60, v11
	ds_write_b32 v11, v10 offset:16
.LBB815_13:
	s_or_b64 exec, exec, s[18:19]
	v_and_b32_e32 v10, 3, v0
	v_lshlrev_b32_e32 v34, 2, v10
	s_waitcnt lgkmcnt(0)
	s_barrier
	ds_read_b32 v11, v34 offset:16
	s_load_dwordx2 s[18:19], s[4:5], 0x18
	s_waitcnt lgkmcnt(0)
	v_mov_b32_dpp v12, v11 quad_perm:[1,0,3,2] row_mask:0xf bank_mask:0xf
	v_add_f32_e32 v11, v11, v12
	s_nop 1
	v_mov_b32_dpp v12, v11 quad_perm:[2,3,0,1] row_mask:0xf bank_mask:0xf
	s_and_saveexec_b64 s[34:35], s[0:1]
	s_cbranch_execnz .LBB815_18
; %bb.14:
	s_or_b64 exec, exec, s[34:35]
	s_mov_b64 s[8:9], -1
	s_and_b64 vcc, exec, s[30:31]
	s_cbranch_vccnz .LBB815_19
.LBB815_15:
	s_andn2_b64 vcc, exec, s[8:9]
	s_cbranch_vccz .LBB815_22
.LBB815_16:
	s_cmp_lt_i32 s24, 1
	s_cbranch_scc0 .LBB815_31
.LBB815_17:
	s_endpgm
.LBB815_18:
	v_cvt_f32_u32_e32 v13, s7
	v_add_f32_e32 v11, v11, v12
	s_waitcnt vmcnt(2)
	v_mov_b32_e32 v15, s21
	v_mov_b32_e32 v16, s20
	v_div_scale_f32 v12, s[36:37], v13, v13, v11
	v_rcp_f32_e32 v14, v12
	v_cndmask_b32_e64 v15, v15, v16, s[8:9]
	s_mov_b32 s7, 0x800000
	s_waitcnt vmcnt(1)
	v_cvt_f32_f16_sdwa v37, v9 dst_sel:DWORD dst_unused:UNUSED_PAD src0_sel:WORD_1
	v_fma_f32 v16, -v12, v14, 1.0
	v_fmac_f32_e32 v14, v16, v14
	v_div_scale_f32 v16, vcc, v11, v13, v11
	v_mul_f32_e32 v17, v16, v14
	v_fma_f32 v35, -v12, v17, v16
	v_fmac_f32_e32 v17, v35, v14
	v_fma_f32 v12, -v12, v17, v16
	v_div_fmas_f32 v12, v12, v14, v17
	v_div_fixup_f32 v11, v12, v13, v11
	v_add_f32_e32 v11, v15, v11
	v_mul_f32_e32 v12, 0x4b800000, v11
	v_cmp_gt_f32_e32 vcc, s7, v11
	v_cndmask_b32_e32 v11, v11, v12, vcc
	v_rsq_f32_e32 v11, v11
	v_cvt_f32_f16_e32 v36, v9
	s_waitcnt vmcnt(0)
	v_cvt_f32_f16_sdwa v9, v3 dst_sel:DWORD dst_unused:UNUSED_PAD src0_sel:WORD_1
	v_mul_f32_e32 v12, 0x45800000, v11
	v_cndmask_b32_e32 v12, v11, v12, vcc
	v_mov_b32_e32 v13, v12
	;;#ASMSTART
	v_pk_mul_f32 v[14:15], v[32:33], v[12:13]
	;;#ASMEND
	;;#ASMSTART
	v_pk_mul_f32 v[16:17], v[30:31], v[12:13]
	;;#ASMEND
	;; [unrolled: 3-line block ×8, first 2 shown]
	v_cvt_f32_f16_sdwa v19, v6 dst_sel:DWORD dst_unused:UNUSED_PAD src0_sel:WORD_1
	v_cvt_f32_f16_e32 v18, v6
	v_cvt_f32_f16_sdwa v31, v7 dst_sel:DWORD dst_unused:UNUSED_PAD src0_sel:WORD_1
	v_cvt_f32_f16_e32 v30, v7
	;; [unrolled: 2-line block ×3, first 2 shown]
	;;#ASMSTART
	v_pk_mul_f32 v[32:33], v[14:15], v[18:19]
	;;#ASMEND
	;;#ASMSTART
	v_pk_mul_f32 v[30:31], v[16:17], v[30:31]
	;;#ASMEND
	;; [unrolled: 3-line block ×4, first 2 shown]
	v_cvt_f32_f16_sdwa v7, v2 dst_sel:DWORD dst_unused:UNUSED_PAD src0_sel:WORD_1
	v_cvt_f32_f16_e32 v6, v2
	v_cvt_f32_f16_e32 v8, v3
	v_cvt_f32_f16_sdwa v3, v4 dst_sel:DWORD dst_unused:UNUSED_PAD src0_sel:WORD_1
	v_cvt_f32_f16_e32 v2, v4
	v_cvt_f32_f16_sdwa v15, v5 dst_sel:DWORD dst_unused:UNUSED_PAD src0_sel:WORD_1
	v_cvt_f32_f16_e32 v14, v5
	;;#ASMSTART
	v_pk_mul_f32 v[26:27], v[26:27], v[6:7]
	;;#ASMEND
	;;#ASMSTART
	v_pk_mul_f32 v[22:23], v[22:23], v[8:9]
	;;#ASMEND
	;; [unrolled: 3-line block ×4, first 2 shown]
	s_or_b64 exec, exec, s[34:35]
	s_mov_b64 s[8:9], -1
	s_and_b64 vcc, exec, s[30:31]
	s_cbranch_vccz .LBB815_15
.LBB815_19:
	s_and_saveexec_b64 s[8:9], s[0:1]
	s_cbranch_execz .LBB815_21
; %bb.20:
	s_mul_hi_i32 s31, s16, s6
	s_mul_i32 s30, s16, s6
	s_waitcnt vmcnt(0)
	v_cvt_f16_f32_e32 v2, v32
	v_cvt_f16_f32_e32 v3, v30
	;; [unrolled: 1-line block ×8, first 2 shown]
	s_lshl_b64 s[30:31], s[30:31], 1
	s_add_u32 s36, s18, s30
	s_addc_u32 s7, s19, s31
	s_and_b32 s37, s7, 0xffff
	s_mov_b32 s39, 0x20000
	v_pack_b32_f16 v5, v5, v6
	v_pack_b32_f16 v4, v4, v7
	;; [unrolled: 1-line block ×4, first 2 shown]
	v_lshlrev_b32_e32 v6, 5, v0
	buffer_store_dwordx4 v[2:5], v6, s[36:39], 0 offen
	v_cvt_f16_f32_e32 v7, v19
	v_cvt_f16_f32_e32 v2, v26
	;; [unrolled: 1-line block ×8, first 2 shown]
	v_pack_b32_f16 v5, v5, v7
	v_pack_b32_f16 v4, v4, v8
	;; [unrolled: 1-line block ×4, first 2 shown]
	;;#ASMSTART
	s_nop 0
	;;#ASMEND
	buffer_store_dwordx4 v[2:5], v6, s[36:39], 16 offen
	;;#ASMSTART
	s_nop 0
	;;#ASMEND
.LBB815_21:
	s_or_b64 exec, exec, s[8:9]
	s_cbranch_execnz .LBB815_16
.LBB815_22:
	s_waitcnt vmcnt(0)
	v_mov_b32_e32 v2, 0
	s_and_saveexec_b64 s[8:9], s[0:1]
	s_cbranch_execz .LBB815_24
; %bb.23:
	s_load_dwordx2 s[30:31], s[4:5], 0x10
	s_mul_hi_i32 s35, s15, s6
	s_mul_i32 s34, s15, s6
	v_cvt_f16_f32_e32 v2, v32
	v_cvt_f16_f32_e32 v3, v30
	;; [unrolled: 1-line block ×8, first 2 shown]
	s_lshl_b64 s[34:35], s[34:35], 1
	s_waitcnt lgkmcnt(0)
	s_add_u32 s36, s30, s34
	s_addc_u32 s7, s31, s35
	s_mov_b32 s39, 0x20000
	s_and_b32 s37, s7, 0xffff
	v_pack_b32_f16 v5, v5, v6
	v_pack_b32_f16 v4, v4, v7
	;; [unrolled: 1-line block ×4, first 2 shown]
	v_lshlrev_b32_e32 v6, 5, v0
	buffer_store_dwordx4 v[2:5], v6, s[36:39], 0 offen
	v_cvt_f16_f32_e32 v7, v19
	v_cvt_f16_f32_e32 v2, v26
	;; [unrolled: 1-line block ×8, first 2 shown]
	v_pack_b32_f16 v5, v5, v7
	v_pack_b32_f16 v4, v4, v8
	v_pack_b32_f16 v3, v3, v9
	v_pack_b32_f16 v2, v2, v11
	;;#ASMSTART
	s_nop 0
	;;#ASMEND
	buffer_store_dwordx4 v[2:5], v6, s[36:39], 16 offen
	;;#ASMSTART
	s_nop 0
	;;#ASMEND
	s_nop 0
	v_mov_b32_e32 v2, 0x2edbe6ff
.LBB815_24:
	s_or_b64 exec, exec, s[8:9]
	s_and_saveexec_b64 s[8:9], s[0:1]
	s_cbranch_execz .LBB815_26
; %bb.25:
	v_and_b32_e32 v3, 0x7fffffff, v32
	v_and_b32_e32 v4, 0x7fffffff, v33
	;;#ASMSTART
	v_max3_f32 v2, v2, v3, v4

	;;#ASMEND
	v_and_b32_e32 v3, 0x7fffffff, v30
	v_and_b32_e32 v4, 0x7fffffff, v31
	;;#ASMSTART
	v_max3_f32 v2, v2, v3, v4

	;;#ASMEND
	;; [unrolled: 6-line block ×8, first 2 shown]
.LBB815_26:
	s_or_b64 exec, exec, s[8:9]
	v_cmp_eq_u32_e32 vcc, 0, v10
	v_cmp_gt_i32_e64 s[8:9], s23, v1
	s_and_b64 s[30:31], vcc, s[8:9]
	;;#ASMSTART
	v_max_f32 v3, v2, v2 quad_perm:[1,0,3,2] row_mask:0xf bank_mask:0xf bound_ctrl:1
	;;#ASMEND
	;;#ASMSTART
	v_max_f32 v2, v3, v3 quad_perm:[2,3,0,1] row_mask:0xf bank_mask:0xf bound_ctrl:1
	;;#ASMEND
	s_and_saveexec_b64 s[8:9], s[30:31]
	s_cbranch_execz .LBB815_28
; %bb.27:
	s_load_dwordx2 s[30:31], s[4:5], 0x8
	v_mul_f32_e32 v2, 0x3e2aaaab, v2
	v_lshrrev_b32_e32 v3, 23, v2
	v_and_b32_e32 v4, 0x7f800000, v2
	v_and_b32_e32 v2, 0x7fffff, v2
	v_cmp_ne_u32_e32 vcc, 0, v2
	s_mul_hi_i32 s15, s13, s6
	s_mul_i32 s13, s13, s6
	s_mov_b32 s7, 0x7f800000
	v_addc_co_u32_e32 v2, vcc, 0, v3, vcc
	s_waitcnt lgkmcnt(0)
	s_add_u32 s30, s30, s13
	v_cmp_ne_u32_e32 vcc, s7, v4
	s_addc_u32 s31, s31, s15
	v_lshrrev_b32_e32 v5, 2, v0
	v_cndmask_b32_e32 v4, -1, v2, vcc
	v_pk_mov_b32 v[2:3], s[30:31], s[30:31] op_sel:[0,1]
	v_mad_i64_i32 v[2:3], s[14:15], s14, v5, v[2:3]
	global_store_byte v[2:3], v4, off
.LBB815_28:
	s_or_b64 exec, exec, s[8:9]
	s_and_saveexec_b64 s[8:9], s[0:1]
	s_cbranch_execz .LBB815_30
; %bb.29:
	s_load_dwordx2 s[0:1], s[4:5], 0x0
	s_mul_hi_i32 s7, s12, s6
	s_mul_i32 s12, s12, s6
	v_mov_b32_e32 v2, 0
	v_lshlrev_b32_e32 v4, 3, v0
	s_waitcnt lgkmcnt(0)
	s_add_u32 s12, s0, s12
	s_addc_u32 s0, s1, s7
	s_lshr_b32 s1, s23, 31
	s_add_i32 s1, s23, s1
	s_ashr_i32 s1, s1, 1
	s_add_i32 s1, s1, 3
	s_ashr_i32 s7, s1, 31
	s_lshr_b32 s7, s7, 30
	s_add_i32 s1, s1, s7
	s_and_b32 s14, s1, -4
	s_and_b32 s13, s0, 0xffff
	s_mov_b32 s15, 0x20000
	v_mov_b32_e32 v3, v2
	buffer_store_dwordx2 v[2:3], v4, s[12:15], 0 offen
	;;#ASMSTART
	s_nop 0
	;;#ASMEND
.LBB815_30:
	s_or_b64 exec, exec, s[8:9]
	s_cmp_lt_i32 s24, 1
	s_cbranch_scc1 .LBB815_17
.LBB815_31:
	s_load_dword s0, s[4:5], 0x94
	s_waitcnt lgkmcnt(0)
	s_cmp_lg_u32 s0, 1
	s_cbranch_scc1 .LBB815_17
; %bb.32:
	s_lshl_b32 s0, s24, 1
	s_add_i32 s0, s0, 2
	v_cmp_gt_u32_e32 vcc, s24, v1
	s_and_b32 s30, s0, -4
	v_mov_b32_e32 v18, 0
	v_lshlrev_b32_e32 v1, 5, v0
	s_waitcnt vmcnt(2)
	v_mov_b32_e32 v14, 0
	v_mov_b32_e32 v15, 0
	;; [unrolled: 1-line block ×8, first 2 shown]
	s_waitcnt vmcnt(1)
	v_mov_b32_e32 v6, 0
	v_mov_b32_e32 v7, 0
	;; [unrolled: 1-line block ×4, first 2 shown]
	s_waitcnt vmcnt(0)
	v_mov_b32_e32 v2, 0
	v_mov_b32_e32 v3, 0
	;; [unrolled: 1-line block ×4, first 2 shown]
	s_barrier
	s_and_saveexec_b64 s[0:1], vcc
	s_cbranch_execz .LBB815_34
; %bb.33:
	s_mul_hi_i32 s5, s26, s6
	s_mul_i32 s4, s26, s6
	s_and_b32 s29, s29, 0xffff
	s_lshl_b64 s[4:5], s[4:5], 1
	s_add_u32 s8, s10, s4
	s_mov_b32 s31, 0x20000
	s_addc_u32 s4, s11, s5
	s_and_b32 s9, s4, 0xffff
	s_mov_b32 s10, s30
	s_mov_b32 s11, s31
	buffer_load_dwordx4 v[14:17], v1, s[8:11], 0 offen
	buffer_load_dwordx4 v[10:13], v1, s[8:11], 16 offen
	;; [unrolled: 1-line block ×4, first 2 shown]
.LBB815_34:
	s_or_b64 exec, exec, s[0:1]
	v_mov_b32_e32 v19, 0
	v_mov_b32_e32 v32, 0
	;; [unrolled: 1-line block ×15, first 2 shown]
	s_and_saveexec_b64 s[0:1], vcc
	s_cbranch_execz .LBB815_36
; %bb.35:
	s_waitcnt vmcnt(3)
	v_cvt_f32_f16_sdwa v19, v14 dst_sel:DWORD dst_unused:UNUSED_PAD src0_sel:WORD_1
	v_cvt_f32_f16_e32 v18, v14
	v_cvt_f32_f16_sdwa v33, v15 dst_sel:DWORD dst_unused:UNUSED_PAD src0_sel:WORD_1
	v_cvt_f32_f16_e32 v32, v15
	;; [unrolled: 2-line block ×4, first 2 shown]
	s_waitcnt vmcnt(2)
	v_cvt_f32_f16_sdwa v27, v10 dst_sel:DWORD dst_unused:UNUSED_PAD src0_sel:WORD_1
	v_cvt_f32_f16_e32 v26, v10
	v_cvt_f32_f16_sdwa v25, v11 dst_sel:DWORD dst_unused:UNUSED_PAD src0_sel:WORD_1
	v_cvt_f32_f16_e32 v24, v11
	;; [unrolled: 2-line block ×4, first 2 shown]
.LBB815_36:
	s_or_b64 exec, exec, s[0:1]
	s_waitcnt vmcnt(2)
	v_mul_f32_e32 v10, v19, v19
	v_fmac_f32_e32 v10, v18, v18
	v_fmac_f32_e32 v10, v32, v32
	;; [unrolled: 1-line block ×15, first 2 shown]
	s_nop 1
	v_mov_b32_dpp v11, v10 quad_perm:[1,0,3,2] row_mask:0xf bank_mask:0xf
	v_add_f32_e32 v10, v10, v11
	s_nop 1
	v_mov_b32_dpp v11, v10 quad_perm:[2,3,0,1] row_mask:0xf bank_mask:0xf
	v_add_f32_e32 v10, v10, v11
	s_nop 1
	v_mov_b32_dpp v11, v10 row_half_mirror row_mask:0xf bank_mask:0xf
	v_add_f32_e32 v10, v10, v11
	s_nop 1
	v_mov_b32_dpp v11, v10 row_mirror row_mask:0xf bank_mask:0xf
	v_add_f32_e32 v10, v10, v11
	s_nop 1
	v_mov_b32_dpp v11, v10 row_bcast:15 row_mask:0xf bank_mask:0xf
	v_add_f32_e32 v10, v10, v11
	s_nop 1
	v_mov_b32_dpp v11, v10 row_bcast:31 row_mask:0xf bank_mask:0xf
	s_and_saveexec_b64 s[0:1], s[2:3]
	s_cbranch_execz .LBB815_38
; %bb.37:
	v_lshrrev_b32_e32 v0, 4, v0
	v_add_f32_e32 v10, v10, v11
	v_and_b32_e32 v0, 60, v0
	ds_write_b32 v0, v10
.LBB815_38:
	s_or_b64 exec, exec, s[0:1]
	s_waitcnt lgkmcnt(0)
	s_barrier
	ds_read_b32 v0, v34
	s_waitcnt lgkmcnt(0)
	s_nop 0
	v_mov_b32_dpp v10, v0 quad_perm:[1,0,3,2] row_mask:0xf bank_mask:0xf
	v_add_f32_e32 v0, v0, v10
	s_nop 1
	v_mov_b32_dpp v10, v0 quad_perm:[2,3,0,1] row_mask:0xf bank_mask:0xf
	s_and_saveexec_b64 s[0:1], vcc
	s_cbranch_execz .LBB815_17
; %bb.39:
	v_cvt_f32_u32_e32 v11, s24
	v_add_f32_e32 v0, v0, v10
	s_mov_b32 s31, 0x20000
	v_div_scale_f32 v10, s[0:1], v11, v11, v0
	v_rcp_f32_e32 v12, v10
	v_div_scale_f32 v13, vcc, v0, v11, v0
	s_mov_b32 s0, 0x800000
	v_fma_f32 v14, -v10, v12, 1.0
	v_fmac_f32_e32 v12, v14, v12
	v_mul_f32_e32 v14, v13, v12
	v_fma_f32 v15, -v10, v14, v13
	v_fmac_f32_e32 v14, v15, v12
	v_fma_f32 v10, -v10, v14, v13
	v_div_fmas_f32 v10, v10, v12, v14
	v_div_fixup_f32 v0, v10, v11, v0
	v_add_f32_e32 v0, s21, v0
	v_mul_f32_e32 v10, 0x4b800000, v0
	v_cmp_gt_f32_e32 vcc, s0, v0
	v_cndmask_b32_e32 v0, v0, v10, vcc
	v_rsq_f32_e32 v0, v0
	s_mul_hi_i32 s1, s16, s6
	s_mul_i32 s0, s16, s6
	s_lshl_b64 s[0:1], s[0:1], 1
	v_mul_f32_e32 v10, 0x45800000, v0
	v_cndmask_b32_e32 v10, v0, v10, vcc
	v_mov_b32_e32 v11, v10
	;;#ASMSTART
	v_pk_mul_f32 v[12:13], v[18:19], v[10:11]
	;;#ASMEND
	;;#ASMSTART
	v_pk_mul_f32 v[14:15], v[32:33], v[10:11]
	;;#ASMEND
	;; [unrolled: 3-line block ×8, first 2 shown]
	s_waitcnt vmcnt(1)
	v_cvt_f32_f16_sdwa v21, v6 dst_sel:DWORD dst_unused:UNUSED_PAD src0_sel:WORD_1
	v_cvt_f32_f16_e32 v20, v6
	v_cvt_f32_f16_sdwa v29, v7 dst_sel:DWORD dst_unused:UNUSED_PAD src0_sel:WORD_1
	v_cvt_f32_f16_e32 v28, v7
	v_cvt_f32_f16_sdwa v7, v8 dst_sel:DWORD dst_unused:UNUSED_PAD src0_sel:WORD_1
	v_cvt_f32_f16_e32 v6, v8
	v_cvt_f32_f16_sdwa v31, v9 dst_sel:DWORD dst_unused:UNUSED_PAD src0_sel:WORD_1
	v_cvt_f32_f16_e32 v30, v9
	;;#ASMSTART
	v_pk_mul_f32 v[8:9], v[12:13], v[20:21]
	;;#ASMEND
	;;#ASMSTART
	v_pk_mul_f32 v[12:13], v[14:15], v[28:29]
	;;#ASMEND
	;; [unrolled: 3-line block ×4, first 2 shown]
	s_waitcnt vmcnt(0)
	v_cvt_f32_f16_sdwa v17, v2 dst_sel:DWORD dst_unused:UNUSED_PAD src0_sel:WORD_1
	v_cvt_f32_f16_e32 v16, v2
	v_cvt_f32_f16_sdwa v19, v3 dst_sel:DWORD dst_unused:UNUSED_PAD src0_sel:WORD_1
	v_cvt_f32_f16_e32 v18, v3
	;; [unrolled: 2-line block ×4, first 2 shown]
	;;#ASMSTART
	v_pk_mul_f32 v[16:17], v[26:27], v[16:17]
	;;#ASMEND
	;;#ASMSTART
	v_pk_mul_f32 v[18:19], v[24:25], v[18:19]
	;;#ASMEND
	;;#ASMSTART
	v_pk_mul_f32 v[22:23], v[22:23], v[2:3]
	;;#ASMEND
	v_cvt_f16_f32_e32 v0, v8
	v_cvt_f16_f32_e32 v2, v9
	;; [unrolled: 1-line block ×8, first 2 shown]
	s_add_u32 s28, s18, s0
	s_addc_u32 s0, s19, s1
	s_and_b32 s29, s0, 0xffff
	v_pack_b32_f16 v2, v0, v2
	v_pack_b32_f16 v3, v3, v4
	;; [unrolled: 1-line block ×4, first 2 shown]
	;;#ASMSTART
	v_pk_mul_f32 v[10:11], v[10:11], v[20:21]
	;;#ASMEND
	buffer_store_dwordx4 v[2:5], v1, s[28:31], 0 offen
	v_cvt_f16_f32_e32 v0, v16
	v_cvt_f16_f32_e32 v2, v17
	;; [unrolled: 1-line block ×8, first 2 shown]
	v_pack_b32_f16 v2, v0, v2
	v_pack_b32_f16 v3, v3, v4
	;; [unrolled: 1-line block ×4, first 2 shown]
	;;#ASMSTART
	s_nop 0
	;;#ASMEND
	buffer_store_dwordx4 v[2:5], v1, s[28:31], 16 offen
	;;#ASMSTART
	s_nop 0
	;;#ASMEND
	s_endpgm
	.section	.rodata,"a",@progbits
	.p2align	6, 0x0
	.amdhsa_kernel _ZN5aiter35fused_qk_rmsnorm_group_quant_kernelIDF16_N4opus5fp4_tELi256ELi16ELi4ELb1ELb1ELb0ELb0ELb0ELb0EEEvPT0_PvPT_S7_S7_PKS6_S9_S9_S9_S9_ffiiiiiiiiiiiii
		.amdhsa_group_segment_fixed_size 32
		.amdhsa_private_segment_fixed_size 0
		.amdhsa_kernarg_size 400
		.amdhsa_user_sgpr_count 6
		.amdhsa_user_sgpr_private_segment_buffer 1
		.amdhsa_user_sgpr_dispatch_ptr 0
		.amdhsa_user_sgpr_queue_ptr 0
		.amdhsa_user_sgpr_kernarg_segment_ptr 1
		.amdhsa_user_sgpr_dispatch_id 0
		.amdhsa_user_sgpr_flat_scratch_init 0
		.amdhsa_user_sgpr_kernarg_preload_length 0
		.amdhsa_user_sgpr_kernarg_preload_offset 0
		.amdhsa_user_sgpr_private_segment_size 0
		.amdhsa_uses_dynamic_stack 0
		.amdhsa_system_sgpr_private_segment_wavefront_offset 0
		.amdhsa_system_sgpr_workgroup_id_x 1
		.amdhsa_system_sgpr_workgroup_id_y 1
		.amdhsa_system_sgpr_workgroup_id_z 0
		.amdhsa_system_sgpr_workgroup_info 0
		.amdhsa_system_vgpr_workitem_id 0
		.amdhsa_next_free_vgpr 47
		.amdhsa_next_free_sgpr 44
		.amdhsa_accum_offset 48
		.amdhsa_reserve_vcc 1
		.amdhsa_reserve_flat_scratch 0
		.amdhsa_float_round_mode_32 0
		.amdhsa_float_round_mode_16_64 0
		.amdhsa_float_denorm_mode_32 3
		.amdhsa_float_denorm_mode_16_64 3
		.amdhsa_dx10_clamp 1
		.amdhsa_ieee_mode 1
		.amdhsa_fp16_overflow 0
		.amdhsa_tg_split 0
		.amdhsa_exception_fp_ieee_invalid_op 0
		.amdhsa_exception_fp_denorm_src 0
		.amdhsa_exception_fp_ieee_div_zero 0
		.amdhsa_exception_fp_ieee_overflow 0
		.amdhsa_exception_fp_ieee_underflow 0
		.amdhsa_exception_fp_ieee_inexact 0
		.amdhsa_exception_int_div_zero 0
	.end_amdhsa_kernel
	.section	.text._ZN5aiter35fused_qk_rmsnorm_group_quant_kernelIDF16_N4opus5fp4_tELi256ELi16ELi4ELb1ELb1ELb0ELb0ELb0ELb0EEEvPT0_PvPT_S7_S7_PKS6_S9_S9_S9_S9_ffiiiiiiiiiiiii,"axG",@progbits,_ZN5aiter35fused_qk_rmsnorm_group_quant_kernelIDF16_N4opus5fp4_tELi256ELi16ELi4ELb1ELb1ELb0ELb0ELb0ELb0EEEvPT0_PvPT_S7_S7_PKS6_S9_S9_S9_S9_ffiiiiiiiiiiiii,comdat
.Lfunc_end815:
	.size	_ZN5aiter35fused_qk_rmsnorm_group_quant_kernelIDF16_N4opus5fp4_tELi256ELi16ELi4ELb1ELb1ELb0ELb0ELb0ELb0EEEvPT0_PvPT_S7_S7_PKS6_S9_S9_S9_S9_ffiiiiiiiiiiiii, .Lfunc_end815-_ZN5aiter35fused_qk_rmsnorm_group_quant_kernelIDF16_N4opus5fp4_tELi256ELi16ELi4ELb1ELb1ELb0ELb0ELb0ELb0EEEvPT0_PvPT_S7_S7_PKS6_S9_S9_S9_S9_ffiiiiiiiiiiiii
                                        ; -- End function
	.section	.AMDGPU.csdata,"",@progbits
; Kernel info:
; codeLenInByte = 3980
; NumSgprs: 48
; NumVgprs: 47
; NumAgprs: 0
; TotalNumVgprs: 47
; ScratchSize: 0
; MemoryBound: 0
; FloatMode: 240
; IeeeMode: 1
; LDSByteSize: 32 bytes/workgroup (compile time only)
; SGPRBlocks: 5
; VGPRBlocks: 5
; NumSGPRsForWavesPerEU: 48
; NumVGPRsForWavesPerEU: 47
; AccumOffset: 48
; Occupancy: 8
; WaveLimiterHint : 0
; COMPUTE_PGM_RSRC2:SCRATCH_EN: 0
; COMPUTE_PGM_RSRC2:USER_SGPR: 6
; COMPUTE_PGM_RSRC2:TRAP_HANDLER: 0
; COMPUTE_PGM_RSRC2:TGID_X_EN: 1
; COMPUTE_PGM_RSRC2:TGID_Y_EN: 1
; COMPUTE_PGM_RSRC2:TGID_Z_EN: 0
; COMPUTE_PGM_RSRC2:TIDIG_COMP_CNT: 0
; COMPUTE_PGM_RSRC3_GFX90A:ACCUM_OFFSET: 11
; COMPUTE_PGM_RSRC3_GFX90A:TG_SPLIT: 0
	.section	.text._ZN5aiter35fused_qk_rmsnorm_group_quant_kernelItN4opus5fp4_tELi256ELi16ELi4ELb1ELb1ELb0ELb0ELb0ELb0EEEvPT0_PvPT_S7_S7_PKS6_S9_S9_S9_S9_ffiiiiiiiiiiiii,"axG",@progbits,_ZN5aiter35fused_qk_rmsnorm_group_quant_kernelItN4opus5fp4_tELi256ELi16ELi4ELb1ELb1ELb0ELb0ELb0ELb0EEEvPT0_PvPT_S7_S7_PKS6_S9_S9_S9_S9_ffiiiiiiiiiiiii,comdat
	.protected	_ZN5aiter35fused_qk_rmsnorm_group_quant_kernelItN4opus5fp4_tELi256ELi16ELi4ELb1ELb1ELb0ELb0ELb0ELb0EEEvPT0_PvPT_S7_S7_PKS6_S9_S9_S9_S9_ffiiiiiiiiiiiii ; -- Begin function _ZN5aiter35fused_qk_rmsnorm_group_quant_kernelItN4opus5fp4_tELi256ELi16ELi4ELb1ELb1ELb0ELb0ELb0ELb0EEEvPT0_PvPT_S7_S7_PKS6_S9_S9_S9_S9_ffiiiiiiiiiiiii
	.globl	_ZN5aiter35fused_qk_rmsnorm_group_quant_kernelItN4opus5fp4_tELi256ELi16ELi4ELb1ELb1ELb0ELb0ELb0ELb0EEEvPT0_PvPT_S7_S7_PKS6_S9_S9_S9_S9_ffiiiiiiiiiiiii
	.p2align	8
	.type	_ZN5aiter35fused_qk_rmsnorm_group_quant_kernelItN4opus5fp4_tELi256ELi16ELi4ELb1ELb1ELb0ELb0ELb0ELb0EEEvPT0_PvPT_S7_S7_PKS6_S9_S9_S9_S9_ffiiiiiiiiiiiii,@function
_ZN5aiter35fused_qk_rmsnorm_group_quant_kernelItN4opus5fp4_tELi256ELi16ELi4ELb1ELb1ELb0ELb0ELb0ELb0EEEvPT0_PvPT_S7_S7_PKS6_S9_S9_S9_S9_ffiiiiiiiiiiiii: ; @_ZN5aiter35fused_qk_rmsnorm_group_quant_kernelItN4opus5fp4_tELi256ELi16ELi4ELb1ELb1ELb0ELb0ELb0ELb0EEEvPT0_PvPT_S7_S7_PKS6_S9_S9_S9_S9_ffiiiiiiiiiiiii
; %bb.0:
	s_load_dwordx8 s[20:27], s[4:5], 0x50
	s_waitcnt lgkmcnt(0)
	s_cmp_ge_i32 s6, s22
	s_cbranch_scc1 .LBB816_17
; %bb.1:
	s_load_dwordx2 s[28:29], s[4:5], 0x48
	s_load_dwordx2 s[10:11], s[4:5], 0x30
	s_load_dwordx8 s[12:19], s[4:5], 0x70
	s_cmp_lg_u32 s7, 0
	s_waitcnt lgkmcnt(0)
	s_cselect_b64 s[18:19], -1, 0
	s_cmp_eq_u32 s7, 0
	s_cselect_b64 s[8:9], -1, 0
	s_and_b64 s[0:1], s[8:9], exec
	s_cselect_b32 s7, s23, s24
	s_add_i32 s0, s7, 1
	s_lshr_b32 s1, s0, 31
	s_add_i32 s0, s0, s1
	s_lshl_b32 s0, s0, 1
	v_lshlrev_b32_e32 v1, 4, v0
	s_and_b32 s38, s0, -4
	v_cmp_gt_i32_e64 s[0:1], s7, v1
	v_mov_b32_e32 v80, 0
	v_mov_b32_e32 v81, 0
	;; [unrolled: 1-line block ×16, first 2 shown]
	s_and_saveexec_b64 s[2:3], s[0:1]
	s_cbranch_execz .LBB816_3
; %bb.2:
	s_load_dwordx2 s[30:31], s[4:5], 0x28
	s_load_dwordx2 s[34:35], s[4:5], 0x40
	s_and_b64 s[36:37], s[8:9], exec
	s_cselect_b32 s22, s25, s26
	s_mov_b32 s39, 0x20000
	s_waitcnt lgkmcnt(0)
	s_cselect_b32 s25, s31, s11
	s_cselect_b32 s33, s30, s10
	s_mul_hi_i32 s31, s22, s6
	s_mul_i32 s30, s22, s6
	s_lshl_b64 s[30:31], s[30:31], 1
	s_add_u32 s40, s33, s30
	s_addc_u32 s22, s25, s31
	s_and_b64 s[30:31], s[8:9], exec
	s_cselect_b32 s36, s34, s28
	s_cselect_b32 s25, s35, s29
	s_and_b32 s41, s22, 0xffff
	s_mov_b32 s42, s38
	s_mov_b32 s43, s39
	v_lshlrev_b32_e32 v2, 5, v0
	s_and_b32 s37, s25, 0xffff
	buffer_load_dwordx4 v[84:87], v2, s[40:43], 0 offen
	buffer_load_dwordx4 v[88:91], v2, s[40:43], 16 offen
	;; [unrolled: 1-line block ×4, first 2 shown]
.LBB816_3:
	s_or_b64 exec, exec, s[2:3]
	s_and_b64 vcc, exec, s[18:19]
	s_cbranch_vccz .LBB816_7
; %bb.4:
	v_mov_b32_e32 v93, 0
	v_mov_b32_e32 v92, 0
	;; [unrolled: 1-line block ×16, first 2 shown]
	s_and_saveexec_b64 s[2:3], s[0:1]
	s_cbranch_execz .LBB816_6
; %bb.5:
	s_waitcnt vmcnt(3)
	v_cvt_f32_u32_sdwa v32, v84 dst_sel:DWORD dst_unused:UNUSED_PAD src0_sel:WORD_0
	v_cvt_f32_u32_sdwa v33, v84 dst_sel:DWORD dst_unused:UNUSED_PAD src0_sel:WORD_1
	v_cvt_f32_u32_sdwa v18, v85 dst_sel:DWORD dst_unused:UNUSED_PAD src0_sel:WORD_0
	v_cvt_f32_u32_sdwa v19, v85 dst_sel:DWORD dst_unused:UNUSED_PAD src0_sel:WORD_1
	v_cvt_f32_u32_sdwa v50, v86 dst_sel:DWORD dst_unused:UNUSED_PAD src0_sel:WORD_0
	v_cvt_f32_u32_sdwa v51, v86 dst_sel:DWORD dst_unused:UNUSED_PAD src0_sel:WORD_1
	v_cvt_f32_u32_sdwa v40, v87 dst_sel:DWORD dst_unused:UNUSED_PAD src0_sel:WORD_0
	v_cvt_f32_u32_sdwa v41, v87 dst_sel:DWORD dst_unused:UNUSED_PAD src0_sel:WORD_1
	s_waitcnt vmcnt(2)
	v_cvt_f32_u32_sdwa v68, v88 dst_sel:DWORD dst_unused:UNUSED_PAD src0_sel:WORD_0
	v_cvt_f32_u32_sdwa v69, v88 dst_sel:DWORD dst_unused:UNUSED_PAD src0_sel:WORD_1
	v_cvt_f32_u32_sdwa v62, v89 dst_sel:DWORD dst_unused:UNUSED_PAD src0_sel:WORD_0
	v_cvt_f32_u32_sdwa v63, v89 dst_sel:DWORD dst_unused:UNUSED_PAD src0_sel:WORD_1
	;; [unrolled: 2-line block ×4, first 2 shown]
.LBB816_6:
	s_or_b64 exec, exec, s[2:3]
	s_cbranch_execz .LBB816_8
	s_branch .LBB816_11
.LBB816_7:
                                        ; implicit-def: $vgpr32_vgpr33_vgpr34_vgpr35_vgpr36_vgpr37_vgpr38_vgpr39_vgpr40_vgpr41_vgpr42_vgpr43_vgpr44_vgpr45_vgpr46_vgpr47
                                        ; implicit-def: $vgpr46_vgpr47_vgpr48_vgpr49_vgpr50_vgpr51_vgpr52_vgpr53_vgpr54_vgpr55_vgpr56_vgpr57_vgpr58_vgpr59_vgpr60_vgpr61
                                        ; implicit-def: $vgpr16_vgpr17_vgpr18_vgpr19_vgpr20_vgpr21_vgpr22_vgpr23_vgpr24_vgpr25_vgpr26_vgpr27_vgpr28_vgpr29_vgpr30_vgpr31
                                        ; implicit-def: $vgpr93
                                        ; implicit-def: $vgpr2_vgpr3_vgpr4_vgpr5_vgpr6_vgpr7_vgpr8_vgpr9_vgpr10_vgpr11_vgpr12_vgpr13_vgpr14_vgpr15_vgpr16_vgpr17
                                        ; implicit-def: $vgpr60_vgpr61_vgpr62_vgpr63_vgpr64_vgpr65_vgpr66_vgpr67_vgpr68_vgpr69_vgpr70_vgpr71_vgpr72_vgpr73_vgpr74_vgpr75
                                        ; implicit-def: $vgpr34_vgpr35_vgpr36_vgpr37_vgpr38_vgpr39_vgpr40_vgpr41_vgpr42_vgpr43_vgpr44_vgpr45_vgpr46_vgpr47_vgpr48_vgpr49
                                        ; implicit-def: $vgpr52_vgpr53_vgpr54_vgpr55_vgpr56_vgpr57_vgpr58_vgpr59_vgpr60_vgpr61_vgpr62_vgpr63_vgpr64_vgpr65_vgpr66_vgpr67
.LBB816_8:
	v_mov_b32_e32 v93, 0
	v_mov_b32_e32 v92, 0
	;; [unrolled: 1-line block ×16, first 2 shown]
	s_and_saveexec_b64 s[2:3], s[0:1]
	s_cbranch_execz .LBB816_10
; %bb.9:
	s_load_dwordx2 s[30:31], s[4:5], 0x38
	s_mul_hi_i32 s35, s27, s6
	s_mul_i32 s34, s27, s6
	s_lshl_b64 s[34:35], s[34:35], 1
	s_mov_b32 s39, 0x20000
	s_waitcnt lgkmcnt(0)
	s_add_u32 s36, s30, s34
	s_addc_u32 s22, s31, s35
	s_and_b32 s37, s22, 0xffff
	v_lshlrev_b32_e32 v36, 5, v0
	buffer_load_dwordx4 v[4:7], v36, s[36:39], 16 offen
	buffer_load_dwordx4 v[8:11], v36, s[36:39], 0 offen
	s_load_dwordx2 s[30:31], s[4:5], 0x20
	s_waitcnt vmcnt(5)
	v_cvt_f32_u32_sdwa v21, v84 dst_sel:DWORD dst_unused:UNUSED_PAD src0_sel:WORD_1
	v_cvt_f32_u32_sdwa v20, v84 dst_sel:DWORD dst_unused:UNUSED_PAD src0_sel:WORD_0
	v_cvt_f32_u32_sdwa v19, v85 dst_sel:DWORD dst_unused:UNUSED_PAD src0_sel:WORD_1
	v_cvt_f32_u32_sdwa v18, v85 dst_sel:DWORD dst_unused:UNUSED_PAD src0_sel:WORD_0
	;; [unrolled: 2-line block ×4, first 2 shown]
	s_waitcnt vmcnt(4)
	v_cvt_f32_u32_sdwa v3, v88 dst_sel:DWORD dst_unused:UNUSED_PAD src0_sel:WORD_1
	v_cvt_f32_u32_sdwa v2, v88 dst_sel:DWORD dst_unused:UNUSED_PAD src0_sel:WORD_0
	v_cvt_f32_u32_sdwa v13, v89 dst_sel:DWORD dst_unused:UNUSED_PAD src0_sel:WORD_1
	v_cvt_f32_u32_sdwa v12, v89 dst_sel:DWORD dst_unused:UNUSED_PAD src0_sel:WORD_0
	;; [unrolled: 2-line block ×3, first 2 shown]
	v_cvt_f32_u32_sdwa v16, v91 dst_sel:DWORD dst_unused:UNUSED_PAD src0_sel:WORD_0
	v_cvt_f32_u32_sdwa v17, v91 dst_sel:DWORD dst_unused:UNUSED_PAD src0_sel:WORD_1
	s_mul_hi_i32 s35, s17, s6
	s_mul_i32 s34, s17, s6
	s_lshl_b64 s[34:35], s[34:35], 1
	s_waitcnt lgkmcnt(0)
	s_add_u32 s36, s30, s34
	s_mov_b32 s17, 0x7060302
	s_addc_u32 s22, s31, s35
	s_and_b32 s37, s22, 0xffff
	s_waitcnt vmcnt(1)
	v_cvt_f32_u32_sdwa v27, v4 dst_sel:DWORD dst_unused:UNUSED_PAD src0_sel:WORD_1
	v_cvt_f32_u32_sdwa v26, v4 dst_sel:DWORD dst_unused:UNUSED_PAD src0_sel:WORD_0
	v_cvt_f32_u32_sdwa v29, v5 dst_sel:DWORD dst_unused:UNUSED_PAD src0_sel:WORD_1
	v_cvt_f32_u32_sdwa v28, v5 dst_sel:DWORD dst_unused:UNUSED_PAD src0_sel:WORD_0
	;; [unrolled: 2-line block ×3, first 2 shown]
	v_cvt_f32_u32_sdwa v34, v7 dst_sel:DWORD dst_unused:UNUSED_PAD src0_sel:WORD_0
	v_cvt_f32_u32_sdwa v35, v7 dst_sel:DWORD dst_unused:UNUSED_PAD src0_sel:WORD_1
	s_waitcnt vmcnt(0)
	v_cvt_f32_u32_sdwa v33, v8 dst_sel:DWORD dst_unused:UNUSED_PAD src0_sel:WORD_1
	v_cvt_f32_u32_sdwa v32, v8 dst_sel:DWORD dst_unused:UNUSED_PAD src0_sel:WORD_0
	v_cvt_f32_u32_sdwa v5, v10 dst_sel:DWORD dst_unused:UNUSED_PAD src0_sel:WORD_1
	v_cvt_f32_u32_sdwa v4, v10 dst_sel:DWORD dst_unused:UNUSED_PAD src0_sel:WORD_0
	;; [unrolled: 2-line block ×4, first 2 shown]
	v_pk_add_f32 v[50:51], v[22:23], v[4:5]
	v_pk_add_f32 v[40:41], v[24:25], v[6:7]
	;; [unrolled: 1-line block ×4, first 2 shown]
	v_perm_b32 v7, v41, v40, s17
	v_perm_b32 v6, v51, v50, s17
	;; [unrolled: 1-line block ×4, first 2 shown]
	v_pk_add_f32 v[92:93], v[16:17], v[34:35]
	v_pk_add_f32 v[14:15], v[14:15], v[30:31]
	;; [unrolled: 1-line block ×4, first 2 shown]
	buffer_store_dwordx4 v[4:7], v36, s[36:39], 0 offen
	;;#ASMSTART
	s_nop 0
	;;#ASMEND
	s_nop 0
	v_perm_b32 v7, v93, v92, s17
	v_perm_b32 v6, v15, v14, s17
	;; [unrolled: 1-line block ×4, first 2 shown]
	buffer_store_dwordx4 v[4:7], v36, s[36:39], 16 offen
	;;#ASMSTART
	s_nop 0
	;;#ASMEND
.LBB816_10:
	s_or_b64 exec, exec, s[2:3]
.LBB816_11:
	v_mul_f32_e32 v2, v33, v33
	v_fmac_f32_e32 v2, v32, v32
	v_fmac_f32_e32 v2, v18, v18
	;; [unrolled: 1-line block ×15, first 2 shown]
	s_nop 1
	v_mov_b32_dpp v3, v2 quad_perm:[1,0,3,2] row_mask:0xf bank_mask:0xf
	v_add_f32_e32 v2, v2, v3
	s_nop 1
	v_mov_b32_dpp v3, v2 quad_perm:[2,3,0,1] row_mask:0xf bank_mask:0xf
	v_add_f32_e32 v2, v2, v3
	s_nop 1
	v_mov_b32_dpp v3, v2 row_half_mirror row_mask:0xf bank_mask:0xf
	v_add_f32_e32 v2, v2, v3
	s_nop 1
	v_mov_b32_dpp v3, v2 row_mirror row_mask:0xf bank_mask:0xf
	v_add_f32_e32 v2, v2, v3
	s_nop 1
	v_mov_b32_dpp v3, v2 row_bcast:15 row_mask:0xf bank_mask:0xf
	v_add_f32_e32 v2, v2, v3
	v_and_b32_e32 v3, 63, v0
	v_cmp_eq_u32_e64 s[2:3], 63, v3
	s_nop 0
	v_mov_b32_dpp v3, v2 row_bcast:31 row_mask:0xf bank_mask:0xf
	s_and_saveexec_b64 s[30:31], s[2:3]
	s_cbranch_execz .LBB816_13
; %bb.12:
	v_add_f32_e32 v2, v2, v3
	v_lshrrev_b32_e32 v3, 4, v0
	v_and_b32_e32 v3, 60, v3
	ds_write_b32 v3, v2 offset:16
.LBB816_13:
	s_or_b64 exec, exec, s[30:31]
	v_and_b32_e32 v2, 3, v0
	v_lshlrev_b32_e32 v34, 2, v2
	s_waitcnt lgkmcnt(0)
	s_barrier
	ds_read_b32 v3, v34 offset:16
	s_load_dwordx2 s[34:35], s[4:5], 0x18
	s_waitcnt lgkmcnt(0)
	v_mov_b32_dpp v4, v3 quad_perm:[1,0,3,2] row_mask:0xf bank_mask:0xf
	v_add_f32_e32 v3, v3, v4
	s_nop 1
	v_mov_b32_dpp v4, v3 quad_perm:[2,3,0,1] row_mask:0xf bank_mask:0xf
	s_and_saveexec_b64 s[30:31], s[0:1]
	s_cbranch_execnz .LBB816_18
; %bb.14:
	s_or_b64 exec, exec, s[30:31]
	s_mov_b64 s[8:9], -1
	s_and_b64 vcc, exec, s[18:19]
	s_cbranch_vccnz .LBB816_19
.LBB816_15:
	s_andn2_b64 vcc, exec, s[8:9]
	s_cbranch_vccz .LBB816_22
.LBB816_16:
	s_cmp_lt_i32 s24, 1
	s_cbranch_scc0 .LBB816_31
.LBB816_17:
	s_endpgm
.LBB816_18:
	v_add_f32_e32 v3, v3, v4
	v_cvt_f32_u32_e32 v4, s7
	s_mov_b32 s7, 0x800000
	s_waitcnt vmcnt(1)
	v_cvt_f32_u32_sdwa v23, v81 dst_sel:DWORD dst_unused:UNUSED_PAD src0_sel:WORD_1
	v_cvt_f32_u32_sdwa v22, v81 dst_sel:DWORD dst_unused:UNUSED_PAD src0_sel:WORD_0
	v_div_scale_f32 v5, s[36:37], v4, v4, v3
	v_rcp_f32_e32 v6, v5
	s_waitcnt vmcnt(0)
	v_cvt_f32_u32_sdwa v25, v77 dst_sel:DWORD dst_unused:UNUSED_PAD src0_sel:WORD_1
	v_cvt_f32_u32_sdwa v24, v77 dst_sel:DWORD dst_unused:UNUSED_PAD src0_sel:WORD_0
	v_cvt_f32_u32_sdwa v27, v78 dst_sel:DWORD dst_unused:UNUSED_PAD src0_sel:WORD_1
	v_fma_f32 v7, -v5, v6, 1.0
	v_fmac_f32_e32 v6, v7, v6
	v_div_scale_f32 v7, vcc, v3, v4, v3
	v_mul_f32_e32 v8, v7, v6
	v_fma_f32 v9, -v5, v8, v7
	v_fmac_f32_e32 v8, v9, v6
	v_fma_f32 v5, -v5, v8, v7
	v_div_fmas_f32 v5, v5, v6, v8
	v_div_fixup_f32 v3, v5, v4, v3
	v_mov_b32_e32 v4, s21
	v_mov_b32_e32 v5, s20
	v_cndmask_b32_e64 v4, v4, v5, s[8:9]
	v_add_f32_e32 v3, v4, v3
	v_mul_f32_e32 v4, 0x4b800000, v3
	v_cmp_gt_f32_e32 vcc, s7, v3
	v_cndmask_b32_e32 v3, v3, v4, vcc
	v_rsq_f32_e32 v3, v3
	v_cvt_f32_u32_sdwa v26, v78 dst_sel:DWORD dst_unused:UNUSED_PAD src0_sel:WORD_0
	v_cvt_f32_u32_sdwa v29, v79 dst_sel:DWORD dst_unused:UNUSED_PAD src0_sel:WORD_1
	v_cvt_f32_u32_sdwa v28, v79 dst_sel:DWORD dst_unused:UNUSED_PAD src0_sel:WORD_0
	v_mul_f32_e32 v4, 0x45800000, v3
	v_cndmask_b32_e32 v4, v3, v4, vcc
	v_mov_b32_e32 v5, v4
	;;#ASMSTART
	v_pk_mul_f32 v[6:7], v[32:33], v[4:5]
	;;#ASMEND
	;;#ASMSTART
	v_pk_mul_f32 v[8:9], v[18:19], v[4:5]
	;;#ASMEND
	;; [unrolled: 3-line block ×6, first 2 shown]
	v_cvt_f32_u32_sdwa v19, v80 dst_sel:DWORD dst_unused:UNUSED_PAD src0_sel:WORD_1
	v_cvt_f32_u32_sdwa v18, v80 dst_sel:DWORD dst_unused:UNUSED_PAD src0_sel:WORD_0
	;;#ASMSTART
	v_pk_mul_f32 v[14:15], v[14:15], v[4:5]
	;;#ASMEND
	;;#ASMSTART
	v_pk_mul_f32 v[4:5], v[92:93], v[4:5]
	;;#ASMEND
	;; [unrolled: 3-line block ×4, first 2 shown]
	v_cvt_f32_u32_sdwa v7, v82 dst_sel:DWORD dst_unused:UNUSED_PAD src0_sel:WORD_1
	v_cvt_f32_u32_sdwa v6, v82 dst_sel:DWORD dst_unused:UNUSED_PAD src0_sel:WORD_0
	v_cvt_f32_u32_sdwa v9, v83 dst_sel:DWORD dst_unused:UNUSED_PAD src0_sel:WORD_1
	v_cvt_f32_u32_sdwa v8, v83 dst_sel:DWORD dst_unused:UNUSED_PAD src0_sel:WORD_0
	;; [unrolled: 2-line block ×3, first 2 shown]
	;;#ASMSTART
	v_pk_mul_f32 v[50:51], v[10:11], v[6:7]
	;;#ASMEND
	;;#ASMSTART
	v_pk_mul_f32 v[40:41], v[12:13], v[8:9]
	;;#ASMEND
	;; [unrolled: 3-line block ×6, first 2 shown]
	s_or_b64 exec, exec, s[30:31]
	s_mov_b64 s[8:9], -1
	s_and_b64 vcc, exec, s[18:19]
	s_cbranch_vccz .LBB816_15
.LBB816_19:
	s_and_saveexec_b64 s[8:9], s[0:1]
	s_cbranch_execz .LBB816_21
; %bb.20:
	s_mul_hi_i32 s19, s16, s6
	s_mul_i32 s18, s16, s6
	s_lshl_b64 s[18:19], s[18:19], 1
	s_add_u32 s36, s34, s18
	s_addc_u32 s7, s35, s19
	s_and_b32 s37, s7, 0xffff
	s_mov_b32 s7, 0x7060302
	s_mov_b32 s39, 0x20000
	v_perm_b32 v7, v41, v40, s7
	v_perm_b32 v6, v51, v50, s7
	v_perm_b32 v5, v19, v18, s7
	v_perm_b32 v4, v33, v32, s7
	v_lshlrev_b32_e32 v3, 5, v0
	buffer_store_dwordx4 v[4:7], v3, s[36:39], 0 offen
	;;#ASMSTART
	s_nop 0
	;;#ASMEND
	s_nop 0
	v_perm_b32 v7, v93, v92, s7
	v_perm_b32 v6, v15, v14, s7
	;; [unrolled: 1-line block ×4, first 2 shown]
	buffer_store_dwordx4 v[4:7], v3, s[36:39], 16 offen
	;;#ASMSTART
	s_nop 0
	;;#ASMEND
.LBB816_21:
	s_or_b64 exec, exec, s[8:9]
	s_cbranch_execnz .LBB816_16
.LBB816_22:
	v_mov_b32_e32 v3, 0
	s_and_saveexec_b64 s[8:9], s[0:1]
	s_cbranch_execz .LBB816_24
; %bb.23:
	s_load_dwordx2 s[18:19], s[4:5], 0x10
	s_mul_hi_i32 s31, s15, s6
	s_mul_i32 s30, s15, s6
	s_lshl_b64 s[30:31], s[30:31], 1
	s_mov_b32 s39, 0x20000
	s_waitcnt lgkmcnt(0)
	s_add_u32 s36, s18, s30
	s_addc_u32 s7, s19, s31
	s_and_b32 s37, s7, 0xffff
	s_mov_b32 s7, 0x7060302
	v_perm_b32 v7, v41, v40, s7
	v_perm_b32 v6, v51, v50, s7
	;; [unrolled: 1-line block ×4, first 2 shown]
	v_lshlrev_b32_e32 v3, 5, v0
	buffer_store_dwordx4 v[4:7], v3, s[36:39], 0 offen
	;;#ASMSTART
	s_nop 0
	;;#ASMEND
	s_nop 0
	v_perm_b32 v7, v93, v92, s7
	v_perm_b32 v6, v15, v14, s7
	v_perm_b32 v5, v63, v62, s7
	v_perm_b32 v4, v69, v68, s7
	buffer_store_dwordx4 v[4:7], v3, s[36:39], 16 offen
	v_mov_b32_e32 v3, 0x2edbe6ff
	;;#ASMSTART
	s_nop 0
	;;#ASMEND
.LBB816_24:
	s_or_b64 exec, exec, s[8:9]
	s_and_saveexec_b64 s[8:9], s[0:1]
	s_cbranch_execz .LBB816_26
; %bb.25:
	v_and_b32_e32 v4, 0x7fffffff, v32
	v_and_b32_e32 v5, 0x7fffffff, v33
	;;#ASMSTART
	v_max3_f32 v3, v3, v4, v5

	;;#ASMEND
	v_and_b32_e32 v6, 0x7fffffff, v18
	v_and_b32_e32 v7, 0x7fffffff, v19
	;;#ASMSTART
	v_max3_f32 v3, v3, v6, v7

	;;#ASMEND
	;; [unrolled: 6-line block ×8, first 2 shown]
.LBB816_26:
	s_or_b64 exec, exec, s[8:9]
	v_cmp_eq_u32_e32 vcc, 0, v2
	v_cmp_gt_i32_e64 s[8:9], s23, v1
	s_and_b64 s[18:19], vcc, s[8:9]
	;;#ASMSTART
	v_max_f32 v4, v3, v3 quad_perm:[1,0,3,2] row_mask:0xf bank_mask:0xf bound_ctrl:1
	;;#ASMEND
	;;#ASMSTART
	v_max_f32 v3, v4, v4 quad_perm:[2,3,0,1] row_mask:0xf bank_mask:0xf bound_ctrl:1
	;;#ASMEND
	s_and_saveexec_b64 s[8:9], s[18:19]
	s_cbranch_execz .LBB816_28
; %bb.27:
	s_load_dwordx2 s[18:19], s[4:5], 0x8
	v_mul_f32_e32 v2, 0x3e2aaaab, v3
	v_lshrrev_b32_e32 v3, 23, v2
	v_and_b32_e32 v4, 0x7f800000, v2
	v_and_b32_e32 v2, 0x7fffff, v2
	v_cmp_ne_u32_e32 vcc, 0, v2
	s_mul_hi_i32 s15, s13, s6
	s_mul_i32 s13, s13, s6
	s_mov_b32 s7, 0x7f800000
	v_addc_co_u32_e32 v2, vcc, 0, v3, vcc
	s_waitcnt lgkmcnt(0)
	s_add_u32 s18, s18, s13
	v_cmp_ne_u32_e32 vcc, s7, v4
	s_addc_u32 s19, s19, s15
	v_lshrrev_b32_e32 v5, 2, v0
	v_cndmask_b32_e32 v4, -1, v2, vcc
	v_pk_mov_b32 v[2:3], s[18:19], s[18:19] op_sel:[0,1]
	v_mad_i64_i32 v[2:3], s[14:15], s14, v5, v[2:3]
	global_store_byte v[2:3], v4, off
.LBB816_28:
	s_or_b64 exec, exec, s[8:9]
	s_and_saveexec_b64 s[8:9], s[0:1]
	s_cbranch_execz .LBB816_30
; %bb.29:
	s_load_dwordx2 s[0:1], s[4:5], 0x0
	s_mul_hi_i32 s7, s12, s6
	s_mul_i32 s12, s12, s6
	v_mov_b32_e32 v2, 0
	v_lshlrev_b32_e32 v4, 3, v0
	s_waitcnt lgkmcnt(0)
	s_add_u32 s12, s0, s12
	s_addc_u32 s0, s1, s7
	s_lshr_b32 s1, s23, 31
	s_add_i32 s1, s23, s1
	s_ashr_i32 s1, s1, 1
	s_add_i32 s1, s1, 3
	s_ashr_i32 s7, s1, 31
	s_lshr_b32 s7, s7, 30
	s_add_i32 s1, s1, s7
	s_and_b32 s14, s1, -4
	s_and_b32 s13, s0, 0xffff
	s_mov_b32 s15, 0x20000
	v_mov_b32_e32 v3, v2
	buffer_store_dwordx2 v[2:3], v4, s[12:15], 0 offen
	;;#ASMSTART
	s_nop 0
	;;#ASMEND
.LBB816_30:
	s_or_b64 exec, exec, s[8:9]
	s_cmp_lt_i32 s24, 1
	s_cbranch_scc1 .LBB816_17
.LBB816_31:
	s_load_dword s0, s[4:5], 0x94
	s_waitcnt lgkmcnt(0)
	s_cmp_lg_u32 s0, 1
	s_cbranch_scc1 .LBB816_17
; %bb.32:
	s_lshl_b32 s0, s24, 1
	s_add_i32 s0, s0, 2
	v_cmp_gt_u32_e32 vcc, s24, v1
	s_and_b32 s30, s0, -4
	v_mov_b32_e32 v18, 0
	v_lshlrev_b32_e32 v1, 5, v0
	v_mov_b32_e32 v14, 0
	v_mov_b32_e32 v15, 0
	;; [unrolled: 1-line block ×16, first 2 shown]
	s_barrier
	s_and_saveexec_b64 s[0:1], vcc
	s_cbranch_execz .LBB816_34
; %bb.33:
	s_mul_hi_i32 s5, s26, s6
	s_mul_i32 s4, s26, s6
	s_and_b32 s29, s29, 0xffff
	s_lshl_b64 s[4:5], s[4:5], 1
	s_add_u32 s8, s10, s4
	s_mov_b32 s31, 0x20000
	s_addc_u32 s4, s11, s5
	s_and_b32 s9, s4, 0xffff
	s_mov_b32 s10, s30
	s_mov_b32 s11, s31
	buffer_load_dwordx4 v[14:17], v1, s[8:11], 0 offen
	buffer_load_dwordx4 v[10:13], v1, s[8:11], 16 offen
	;; [unrolled: 1-line block ×4, first 2 shown]
.LBB816_34:
	s_or_b64 exec, exec, s[0:1]
	v_mov_b32_e32 v19, 0
	v_mov_b32_e32 v32, 0
	;; [unrolled: 1-line block ×15, first 2 shown]
	s_and_saveexec_b64 s[0:1], vcc
	s_cbranch_execz .LBB816_36
; %bb.35:
	s_waitcnt vmcnt(3)
	v_cvt_f32_u32_sdwa v18, v14 dst_sel:DWORD dst_unused:UNUSED_PAD src0_sel:WORD_0
	v_cvt_f32_u32_sdwa v19, v14 dst_sel:DWORD dst_unused:UNUSED_PAD src0_sel:WORD_1
	v_cvt_f32_u32_sdwa v32, v15 dst_sel:DWORD dst_unused:UNUSED_PAD src0_sel:WORD_0
	v_cvt_f32_u32_sdwa v33, v15 dst_sel:DWORD dst_unused:UNUSED_PAD src0_sel:WORD_1
	;; [unrolled: 2-line block ×4, first 2 shown]
	s_waitcnt vmcnt(2)
	v_cvt_f32_u32_sdwa v26, v10 dst_sel:DWORD dst_unused:UNUSED_PAD src0_sel:WORD_0
	v_cvt_f32_u32_sdwa v27, v10 dst_sel:DWORD dst_unused:UNUSED_PAD src0_sel:WORD_1
	v_cvt_f32_u32_sdwa v24, v11 dst_sel:DWORD dst_unused:UNUSED_PAD src0_sel:WORD_0
	v_cvt_f32_u32_sdwa v25, v11 dst_sel:DWORD dst_unused:UNUSED_PAD src0_sel:WORD_1
	;; [unrolled: 2-line block ×4, first 2 shown]
.LBB816_36:
	s_or_b64 exec, exec, s[0:1]
	s_waitcnt vmcnt(2)
	v_mul_f32_e32 v10, v19, v19
	v_fmac_f32_e32 v10, v18, v18
	v_fmac_f32_e32 v10, v32, v32
	;; [unrolled: 1-line block ×15, first 2 shown]
	s_nop 1
	v_mov_b32_dpp v11, v10 quad_perm:[1,0,3,2] row_mask:0xf bank_mask:0xf
	v_add_f32_e32 v10, v10, v11
	s_nop 1
	v_mov_b32_dpp v11, v10 quad_perm:[2,3,0,1] row_mask:0xf bank_mask:0xf
	v_add_f32_e32 v10, v10, v11
	s_nop 1
	v_mov_b32_dpp v11, v10 row_half_mirror row_mask:0xf bank_mask:0xf
	v_add_f32_e32 v10, v10, v11
	s_nop 1
	v_mov_b32_dpp v11, v10 row_mirror row_mask:0xf bank_mask:0xf
	v_add_f32_e32 v10, v10, v11
	s_nop 1
	v_mov_b32_dpp v11, v10 row_bcast:15 row_mask:0xf bank_mask:0xf
	v_add_f32_e32 v10, v10, v11
	s_nop 1
	v_mov_b32_dpp v11, v10 row_bcast:31 row_mask:0xf bank_mask:0xf
	s_and_saveexec_b64 s[0:1], s[2:3]
	s_cbranch_execz .LBB816_38
; %bb.37:
	v_lshrrev_b32_e32 v0, 4, v0
	v_add_f32_e32 v10, v10, v11
	v_and_b32_e32 v0, 60, v0
	ds_write_b32 v0, v10
.LBB816_38:
	s_or_b64 exec, exec, s[0:1]
	s_waitcnt lgkmcnt(0)
	s_barrier
	ds_read_b32 v0, v34
	s_waitcnt lgkmcnt(0)
	s_nop 0
	v_mov_b32_dpp v10, v0 quad_perm:[1,0,3,2] row_mask:0xf bank_mask:0xf
	v_add_f32_e32 v0, v0, v10
	s_nop 1
	v_mov_b32_dpp v10, v0 quad_perm:[2,3,0,1] row_mask:0xf bank_mask:0xf
	s_and_saveexec_b64 s[0:1], vcc
	s_cbranch_execz .LBB816_17
; %bb.39:
	v_cvt_f32_u32_e32 v11, s24
	v_add_f32_e32 v0, v0, v10
	s_mov_b32 s31, 0x20000
	v_div_scale_f32 v10, s[0:1], v11, v11, v0
	v_rcp_f32_e32 v12, v10
	v_div_scale_f32 v13, vcc, v0, v11, v0
	s_mov_b32 s0, 0x800000
	v_fma_f32 v14, -v10, v12, 1.0
	v_fmac_f32_e32 v12, v14, v12
	v_mul_f32_e32 v14, v13, v12
	v_fma_f32 v15, -v10, v14, v13
	v_fmac_f32_e32 v14, v15, v12
	v_fma_f32 v10, -v10, v14, v13
	v_div_fmas_f32 v10, v10, v12, v14
	v_div_fixup_f32 v0, v10, v11, v0
	v_add_f32_e32 v0, s21, v0
	v_mul_f32_e32 v10, 0x4b800000, v0
	v_cmp_gt_f32_e32 vcc, s0, v0
	v_cndmask_b32_e32 v0, v0, v10, vcc
	v_rsq_f32_e32 v0, v0
	s_mul_hi_i32 s1, s16, s6
	s_mul_i32 s0, s16, s6
	s_lshl_b64 s[0:1], s[0:1], 1
	v_mul_f32_e32 v10, 0x45800000, v0
	v_cndmask_b32_e32 v10, v0, v10, vcc
	v_mov_b32_e32 v11, v10
	s_add_u32 s28, s34, s0
	;;#ASMSTART
	v_pk_mul_f32 v[12:13], v[18:19], v[10:11]
	;;#ASMEND
	;;#ASMSTART
	v_pk_mul_f32 v[14:15], v[32:33], v[10:11]
	;;#ASMEND
	;; [unrolled: 3-line block ×8, first 2 shown]
	s_waitcnt vmcnt(1)
	v_cvt_f32_u32_sdwa v21, v6 dst_sel:DWORD dst_unused:UNUSED_PAD src0_sel:WORD_1
	v_cvt_f32_u32_sdwa v20, v6 dst_sel:DWORD dst_unused:UNUSED_PAD src0_sel:WORD_0
	v_cvt_f32_u32_sdwa v29, v7 dst_sel:DWORD dst_unused:UNUSED_PAD src0_sel:WORD_1
	v_cvt_f32_u32_sdwa v28, v7 dst_sel:DWORD dst_unused:UNUSED_PAD src0_sel:WORD_0
	;; [unrolled: 2-line block ×3, first 2 shown]
	s_addc_u32 s0, s35, s1
	v_cvt_f32_u32_sdwa v31, v9 dst_sel:DWORD dst_unused:UNUSED_PAD src0_sel:WORD_1
	v_cvt_f32_u32_sdwa v30, v9 dst_sel:DWORD dst_unused:UNUSED_PAD src0_sel:WORD_0
	;;#ASMSTART
	v_pk_mul_f32 v[8:9], v[12:13], v[20:21]
	;;#ASMEND
	;;#ASMSTART
	v_pk_mul_f32 v[12:13], v[14:15], v[28:29]
	;;#ASMEND
	;; [unrolled: 3-line block ×4, first 2 shown]
	s_waitcnt vmcnt(0)
	v_cvt_f32_u32_sdwa v17, v2 dst_sel:DWORD dst_unused:UNUSED_PAD src0_sel:WORD_1
	v_cvt_f32_u32_sdwa v16, v2 dst_sel:DWORD dst_unused:UNUSED_PAD src0_sel:WORD_0
	v_cvt_f32_u32_sdwa v19, v3 dst_sel:DWORD dst_unused:UNUSED_PAD src0_sel:WORD_1
	v_cvt_f32_u32_sdwa v18, v3 dst_sel:DWORD dst_unused:UNUSED_PAD src0_sel:WORD_0
	;; [unrolled: 2-line block ×3, first 2 shown]
	s_and_b32 s29, s0, 0xffff
	s_mov_b32 s0, 0x7060302
	v_cvt_f32_u32_sdwa v21, v5 dst_sel:DWORD dst_unused:UNUSED_PAD src0_sel:WORD_1
	v_cvt_f32_u32_sdwa v20, v5 dst_sel:DWORD dst_unused:UNUSED_PAD src0_sel:WORD_0
	;;#ASMSTART
	v_pk_mul_f32 v[16:17], v[26:27], v[16:17]
	;;#ASMEND
	;;#ASMSTART
	v_pk_mul_f32 v[18:19], v[24:25], v[18:19]
	;;#ASMEND
	;; [unrolled: 3-line block ×3, first 2 shown]
	v_perm_b32 v2, v9, v8, s0
	v_perm_b32 v3, v13, v12, s0
	;; [unrolled: 1-line block ×4, first 2 shown]
	;;#ASMSTART
	v_pk_mul_f32 v[10:11], v[10:11], v[20:21]
	;;#ASMEND
	buffer_store_dwordx4 v[2:5], v1, s[28:31], 0 offen
	;;#ASMSTART
	s_nop 0
	;;#ASMEND
	s_nop 0
	v_perm_b32 v2, v17, v16, s0
	v_perm_b32 v3, v19, v18, s0
	;; [unrolled: 1-line block ×4, first 2 shown]
	buffer_store_dwordx4 v[2:5], v1, s[28:31], 16 offen
	;;#ASMSTART
	s_nop 0
	;;#ASMEND
	s_endpgm
	.section	.rodata,"a",@progbits
	.p2align	6, 0x0
	.amdhsa_kernel _ZN5aiter35fused_qk_rmsnorm_group_quant_kernelItN4opus5fp4_tELi256ELi16ELi4ELb1ELb1ELb0ELb0ELb0ELb0EEEvPT0_PvPT_S7_S7_PKS6_S9_S9_S9_S9_ffiiiiiiiiiiiii
		.amdhsa_group_segment_fixed_size 32
		.amdhsa_private_segment_fixed_size 0
		.amdhsa_kernarg_size 400
		.amdhsa_user_sgpr_count 6
		.amdhsa_user_sgpr_private_segment_buffer 1
		.amdhsa_user_sgpr_dispatch_ptr 0
		.amdhsa_user_sgpr_queue_ptr 0
		.amdhsa_user_sgpr_kernarg_segment_ptr 1
		.amdhsa_user_sgpr_dispatch_id 0
		.amdhsa_user_sgpr_flat_scratch_init 0
		.amdhsa_user_sgpr_kernarg_preload_length 0
		.amdhsa_user_sgpr_kernarg_preload_offset 0
		.amdhsa_user_sgpr_private_segment_size 0
		.amdhsa_uses_dynamic_stack 0
		.amdhsa_system_sgpr_private_segment_wavefront_offset 0
		.amdhsa_system_sgpr_workgroup_id_x 1
		.amdhsa_system_sgpr_workgroup_id_y 1
		.amdhsa_system_sgpr_workgroup_id_z 0
		.amdhsa_system_sgpr_workgroup_info 0
		.amdhsa_system_vgpr_workitem_id 0
		.amdhsa_next_free_vgpr 94
		.amdhsa_next_free_sgpr 44
		.amdhsa_accum_offset 96
		.amdhsa_reserve_vcc 1
		.amdhsa_reserve_flat_scratch 0
		.amdhsa_float_round_mode_32 0
		.amdhsa_float_round_mode_16_64 0
		.amdhsa_float_denorm_mode_32 3
		.amdhsa_float_denorm_mode_16_64 3
		.amdhsa_dx10_clamp 1
		.amdhsa_ieee_mode 1
		.amdhsa_fp16_overflow 0
		.amdhsa_tg_split 0
		.amdhsa_exception_fp_ieee_invalid_op 0
		.amdhsa_exception_fp_denorm_src 0
		.amdhsa_exception_fp_ieee_div_zero 0
		.amdhsa_exception_fp_ieee_overflow 0
		.amdhsa_exception_fp_ieee_underflow 0
		.amdhsa_exception_fp_ieee_inexact 0
		.amdhsa_exception_int_div_zero 0
	.end_amdhsa_kernel
	.section	.text._ZN5aiter35fused_qk_rmsnorm_group_quant_kernelItN4opus5fp4_tELi256ELi16ELi4ELb1ELb1ELb0ELb0ELb0ELb0EEEvPT0_PvPT_S7_S7_PKS6_S9_S9_S9_S9_ffiiiiiiiiiiiii,"axG",@progbits,_ZN5aiter35fused_qk_rmsnorm_group_quant_kernelItN4opus5fp4_tELi256ELi16ELi4ELb1ELb1ELb0ELb0ELb0ELb0EEEvPT0_PvPT_S7_S7_PKS6_S9_S9_S9_S9_ffiiiiiiiiiiiii,comdat
.Lfunc_end816:
	.size	_ZN5aiter35fused_qk_rmsnorm_group_quant_kernelItN4opus5fp4_tELi256ELi16ELi4ELb1ELb1ELb0ELb0ELb0ELb0EEEvPT0_PvPT_S7_S7_PKS6_S9_S9_S9_S9_ffiiiiiiiiiiiii, .Lfunc_end816-_ZN5aiter35fused_qk_rmsnorm_group_quant_kernelItN4opus5fp4_tELi256ELi16ELi4ELb1ELb1ELb0ELb0ELb0ELb0EEEvPT0_PvPT_S7_S7_PKS6_S9_S9_S9_S9_ffiiiiiiiiiiiii
                                        ; -- End function
	.section	.AMDGPU.csdata,"",@progbits
; Kernel info:
; codeLenInByte = 3932
; NumSgprs: 48
; NumVgprs: 94
; NumAgprs: 0
; TotalNumVgprs: 94
; ScratchSize: 0
; MemoryBound: 0
; FloatMode: 240
; IeeeMode: 1
; LDSByteSize: 32 bytes/workgroup (compile time only)
; SGPRBlocks: 5
; VGPRBlocks: 11
; NumSGPRsForWavesPerEU: 48
; NumVGPRsForWavesPerEU: 94
; AccumOffset: 96
; Occupancy: 5
; WaveLimiterHint : 0
; COMPUTE_PGM_RSRC2:SCRATCH_EN: 0
; COMPUTE_PGM_RSRC2:USER_SGPR: 6
; COMPUTE_PGM_RSRC2:TRAP_HANDLER: 0
; COMPUTE_PGM_RSRC2:TGID_X_EN: 1
; COMPUTE_PGM_RSRC2:TGID_Y_EN: 1
; COMPUTE_PGM_RSRC2:TGID_Z_EN: 0
; COMPUTE_PGM_RSRC2:TIDIG_COMP_CNT: 0
; COMPUTE_PGM_RSRC3_GFX90A:ACCUM_OFFSET: 23
; COMPUTE_PGM_RSRC3_GFX90A:TG_SPLIT: 0
	.section	.text._ZN5aiter35fused_qk_rmsnorm_group_quant_kernelIDF16_DB8_Li256ELi16ELi4ELb1ELb0ELb1ELb0ELb0ELb0EEEvPT0_PvPT_S6_S6_PKS5_S8_S8_S8_S8_ffiiiiiiiiiiiii,"axG",@progbits,_ZN5aiter35fused_qk_rmsnorm_group_quant_kernelIDF16_DB8_Li256ELi16ELi4ELb1ELb0ELb1ELb0ELb0ELb0EEEvPT0_PvPT_S6_S6_PKS5_S8_S8_S8_S8_ffiiiiiiiiiiiii,comdat
	.protected	_ZN5aiter35fused_qk_rmsnorm_group_quant_kernelIDF16_DB8_Li256ELi16ELi4ELb1ELb0ELb1ELb0ELb0ELb0EEEvPT0_PvPT_S6_S6_PKS5_S8_S8_S8_S8_ffiiiiiiiiiiiii ; -- Begin function _ZN5aiter35fused_qk_rmsnorm_group_quant_kernelIDF16_DB8_Li256ELi16ELi4ELb1ELb0ELb1ELb0ELb0ELb0EEEvPT0_PvPT_S6_S6_PKS5_S8_S8_S8_S8_ffiiiiiiiiiiiii
	.globl	_ZN5aiter35fused_qk_rmsnorm_group_quant_kernelIDF16_DB8_Li256ELi16ELi4ELb1ELb0ELb1ELb0ELb0ELb0EEEvPT0_PvPT_S6_S6_PKS5_S8_S8_S8_S8_ffiiiiiiiiiiiii
	.p2align	8
	.type	_ZN5aiter35fused_qk_rmsnorm_group_quant_kernelIDF16_DB8_Li256ELi16ELi4ELb1ELb0ELb1ELb0ELb0ELb0EEEvPT0_PvPT_S6_S6_PKS5_S8_S8_S8_S8_ffiiiiiiiiiiiii,@function
_ZN5aiter35fused_qk_rmsnorm_group_quant_kernelIDF16_DB8_Li256ELi16ELi4ELb1ELb0ELb1ELb0ELb0ELb0EEEvPT0_PvPT_S6_S6_PKS5_S8_S8_S8_S8_ffiiiiiiiiiiiii: ; @_ZN5aiter35fused_qk_rmsnorm_group_quant_kernelIDF16_DB8_Li256ELi16ELi4ELb1ELb0ELb1ELb0ELb0ELb0EEEvPT0_PvPT_S6_S6_PKS5_S8_S8_S8_S8_ffiiiiiiiiiiiii
; %bb.0:
	s_load_dwordx8 s[12:19], s[4:5], 0x50
	s_waitcnt lgkmcnt(0)
	s_cmp_ge_i32 s6, s14
	s_cbranch_scc1 .LBB817_17
; %bb.1:
	s_cmp_lg_u32 s7, 0
	s_cselect_b64 s[10:11], -1, 0
	s_cmp_eq_u32 s7, 0
	s_cselect_b64 s[8:9], -1, 0
	s_and_b64 s[0:1], s[8:9], exec
	s_load_dwordx2 s[20:21], s[4:5], 0x48
	s_load_dwordx2 s[36:37], s[4:5], 0x30
	s_load_dwordx4 s[24:27], s[4:5], 0x70
	s_cselect_b32 s7, s15, s16
	s_add_i32 s0, s7, 1
	s_lshr_b32 s1, s0, 31
	s_add_i32 s0, s0, s1
	s_lshl_b32 s0, s0, 1
	v_lshlrev_b32_e32 v1, 4, v0
	s_and_b32 s30, s0, -4
	v_cmp_gt_i32_e64 s[0:1], s7, v1
	v_mov_b32_e32 v76, 0
	v_mov_b32_e32 v77, 0
	;; [unrolled: 1-line block ×16, first 2 shown]
	s_and_saveexec_b64 s[2:3], s[0:1]
	s_cbranch_execz .LBB817_3
; %bb.2:
	s_load_dwordx2 s[22:23], s[4:5], 0x28
	s_load_dwordx2 s[28:29], s[4:5], 0x40
	s_and_b64 s[34:35], s[8:9], exec
	s_cselect_b32 s14, s17, s18
	s_mov_b32 s31, 0x20000
	s_waitcnt lgkmcnt(0)
	s_cselect_b32 s17, s23, s37
	s_cselect_b32 s27, s22, s36
	s_mul_hi_i32 s23, s14, s6
	s_mul_i32 s22, s14, s6
	s_lshl_b64 s[22:23], s[22:23], 1
	s_add_u32 s40, s27, s22
	s_addc_u32 s14, s17, s23
	s_and_b64 s[22:23], s[8:9], exec
	s_cselect_b32 s28, s28, s20
	s_cselect_b32 s17, s29, s21
	s_and_b32 s41, s14, 0xffff
	s_mov_b32 s42, s30
	s_mov_b32 s43, s31
	v_lshlrev_b32_e32 v2, 5, v0
	s_and_b32 s29, s17, 0xffff
	buffer_load_dwordx4 v[80:83], v2, s[40:43], 0 offen
	buffer_load_dwordx4 v[84:87], v2, s[40:43], 16 offen
	;; [unrolled: 1-line block ×4, first 2 shown]
.LBB817_3:
	s_or_b64 exec, exec, s[2:3]
	s_load_dwordx2 s[34:35], s[4:5], 0x80
	s_and_b64 vcc, exec, s[10:11]
	s_cbranch_vccz .LBB817_7
; %bb.4:
	v_mov_b32_e32 v89, 0
	v_mov_b32_e32 v88, 0
	;; [unrolled: 1-line block ×16, first 2 shown]
	s_and_saveexec_b64 s[2:3], s[0:1]
	s_cbranch_execz .LBB817_6
; %bb.5:
	s_waitcnt vmcnt(3)
	v_cvt_f32_f16_sdwa v49, v80 dst_sel:DWORD dst_unused:UNUSED_PAD src0_sel:WORD_1
	v_cvt_f32_f16_e32 v48, v80
	v_cvt_f32_f16_sdwa v35, v81 dst_sel:DWORD dst_unused:UNUSED_PAD src0_sel:WORD_1
	v_cvt_f32_f16_e32 v34, v81
	;; [unrolled: 2-line block ×4, first 2 shown]
	s_waitcnt vmcnt(2)
	v_cvt_f32_f16_sdwa v65, v84 dst_sel:DWORD dst_unused:UNUSED_PAD src0_sel:WORD_1
	v_cvt_f32_f16_e32 v64, v84
	v_cvt_f32_f16_sdwa v19, v85 dst_sel:DWORD dst_unused:UNUSED_PAD src0_sel:WORD_1
	v_cvt_f32_f16_e32 v18, v85
	;; [unrolled: 2-line block ×4, first 2 shown]
.LBB817_6:
	s_or_b64 exec, exec, s[2:3]
	s_cbranch_execz .LBB817_8
	s_branch .LBB817_11
.LBB817_7:
                                        ; implicit-def: $vgpr32_vgpr33_vgpr34_vgpr35_vgpr36_vgpr37_vgpr38_vgpr39_vgpr40_vgpr41_vgpr42_vgpr43_vgpr44_vgpr45_vgpr46_vgpr47
                                        ; implicit-def: $vgpr48_vgpr49_vgpr50_vgpr51_vgpr52_vgpr53_vgpr54_vgpr55_vgpr56_vgpr57_vgpr58_vgpr59_vgpr60_vgpr61_vgpr62_vgpr63
                                        ; implicit-def: $vgpr18_vgpr19_vgpr20_vgpr21_vgpr22_vgpr23_vgpr24_vgpr25_vgpr26_vgpr27_vgpr28_vgpr29_vgpr30_vgpr31_vgpr32_vgpr33
                                        ; implicit-def: $vgpr50_vgpr51_vgpr52_vgpr53_vgpr54_vgpr55_vgpr56_vgpr57_vgpr58_vgpr59_vgpr60_vgpr61_vgpr62_vgpr63_vgpr64_vgpr65
                                        ; implicit-def: $vgpr89
                                        ; implicit-def: $vgpr8_vgpr9_vgpr10_vgpr11_vgpr12_vgpr13_vgpr14_vgpr15_vgpr16_vgpr17_vgpr18_vgpr19_vgpr20_vgpr21_vgpr22_vgpr23
                                        ; implicit-def: $vgpr56_vgpr57_vgpr58_vgpr59_vgpr60_vgpr61_vgpr62_vgpr63_vgpr64_vgpr65_vgpr66_vgpr67_vgpr68_vgpr69_vgpr70_vgpr71
                                        ; implicit-def: $vgpr2_vgpr3_vgpr4_vgpr5_vgpr6_vgpr7_vgpr8_vgpr9_vgpr10_vgpr11_vgpr12_vgpr13_vgpr14_vgpr15_vgpr16_vgpr17
.LBB817_8:
	v_mov_b32_e32 v89, 0
	v_mov_b32_e32 v88, 0
	;; [unrolled: 1-line block ×16, first 2 shown]
	s_and_saveexec_b64 s[2:3], s[0:1]
	s_cbranch_execz .LBB817_10
; %bb.9:
	s_load_dwordx2 s[22:23], s[4:5], 0x38
	s_mul_hi_i32 s29, s19, s6
	s_mul_i32 s28, s19, s6
	s_lshl_b64 s[28:29], s[28:29], 1
	s_mov_b32 s31, 0x20000
	s_waitcnt lgkmcnt(0)
	s_add_u32 s28, s22, s28
	s_addc_u32 s14, s23, s29
	s_and_b32 s29, s14, 0xffff
	v_lshlrev_b32_e32 v38, 5, v0
	buffer_load_dwordx4 v[6:9], v38, s[28:31], 16 offen
	buffer_load_dwordx4 v[10:13], v38, s[28:31], 0 offen
	s_waitcnt vmcnt(5)
	v_cvt_f32_f16_sdwa v23, v82 dst_sel:DWORD dst_unused:UNUSED_PAD src0_sel:WORD_1
	v_cvt_f32_f16_e32 v22, v82
	v_cvt_f32_f16_sdwa v25, v83 dst_sel:DWORD dst_unused:UNUSED_PAD src0_sel:WORD_1
	v_cvt_f32_f16_e32 v24, v83
	;; [unrolled: 2-line block ×4, first 2 shown]
	s_load_dwordx2 s[22:23], s[4:5], 0x20
	s_waitcnt vmcnt(4)
	v_cvt_f32_f16_sdwa v3, v84 dst_sel:DWORD dst_unused:UNUSED_PAD src0_sel:WORD_1
	v_cvt_f32_f16_e32 v2, v84
	v_cvt_f32_f16_sdwa v5, v85 dst_sel:DWORD dst_unused:UNUSED_PAD src0_sel:WORD_1
	v_cvt_f32_f16_e32 v4, v85
	;; [unrolled: 2-line block ×4, first 2 shown]
	s_mul_hi_i32 s29, s35, s6
	s_mul_i32 s28, s35, s6
	s_lshl_b64 s[28:29], s[28:29], 1
	s_waitcnt lgkmcnt(0)
	s_add_u32 s28, s22, s28
	s_addc_u32 s14, s23, s29
	s_and_b32 s29, s14, 0xffff
	s_waitcnt vmcnt(1)
	v_cvt_f32_f16_e32 v26, v6
	v_cvt_f32_f16_sdwa v27, v6 dst_sel:DWORD dst_unused:UNUSED_PAD src0_sel:WORD_1
	v_cvt_f32_f16_e32 v28, v7
	v_cvt_f32_f16_sdwa v29, v7 dst_sel:DWORD dst_unused:UNUSED_PAD src0_sel:WORD_1
	;; [unrolled: 2-line block ×4, first 2 shown]
	s_waitcnt vmcnt(0)
	v_cvt_f32_f16_e32 v6, v12
	v_cvt_f32_f16_sdwa v7, v12 dst_sel:DWORD dst_unused:UNUSED_PAD src0_sel:WORD_1
	v_cvt_f32_f16_e32 v8, v13
	v_cvt_f32_f16_sdwa v9, v13 dst_sel:DWORD dst_unused:UNUSED_PAD src0_sel:WORD_1
	;; [unrolled: 2-line block ×4, first 2 shown]
	v_pk_add_f32 v[54:55], v[22:23], v[6:7]
	v_pk_add_f32 v[24:25], v[24:25], v[8:9]
	v_cvt_f16_f32_e32 v6, v55
	v_cvt_f16_f32_e32 v7, v25
	;; [unrolled: 1-line block ×4, first 2 shown]
	v_pk_add_f32 v[34:35], v[20:21], v[10:11]
	v_pk_add_f32 v[48:49], v[18:19], v[36:37]
	v_pack_b32_f16 v9, v8, v7
	v_pack_b32_f16 v8, v12, v6
	v_cvt_f16_f32_e32 v6, v35
	v_cvt_f16_f32_e32 v7, v34
	;; [unrolled: 1-line block ×3, first 2 shown]
	v_pk_add_f32 v[88:89], v[16:17], v[32:33]
	v_pk_add_f32 v[14:15], v[14:15], v[30:31]
	v_pack_b32_f16 v7, v7, v6
	v_cvt_f16_f32_e32 v6, v49
	v_pk_add_f32 v[18:19], v[4:5], v[28:29]
	v_pk_add_f32 v[64:65], v[2:3], v[26:27]
	v_cvt_f16_f32_e32 v4, v18
	v_pack_b32_f16 v6, v10, v6
	buffer_store_dwordx4 v[6:9], v38, s[28:31], 0 offen
	v_cvt_f16_f32_e32 v5, v19
	v_cvt_f16_f32_e32 v6, v14
	;; [unrolled: 1-line block ×7, first 2 shown]
	v_pack_b32_f16 v7, v7, v8
	v_pack_b32_f16 v6, v6, v9
	;; [unrolled: 1-line block ×4, first 2 shown]
	;;#ASMSTART
	s_nop 0
	;;#ASMEND
	buffer_store_dwordx4 v[4:7], v38, s[28:31], 16 offen
	;;#ASMSTART
	s_nop 0
	;;#ASMEND
.LBB817_10:
	s_or_b64 exec, exec, s[2:3]
.LBB817_11:
	v_mul_f32_e32 v2, v49, v49
	v_fmac_f32_e32 v2, v48, v48
	v_fmac_f32_e32 v2, v34, v34
	;; [unrolled: 1-line block ×15, first 2 shown]
	s_nop 1
	v_mov_b32_dpp v3, v2 quad_perm:[1,0,3,2] row_mask:0xf bank_mask:0xf
	v_add_f32_e32 v2, v2, v3
	s_nop 1
	v_mov_b32_dpp v3, v2 quad_perm:[2,3,0,1] row_mask:0xf bank_mask:0xf
	v_add_f32_e32 v2, v2, v3
	s_nop 1
	v_mov_b32_dpp v3, v2 row_half_mirror row_mask:0xf bank_mask:0xf
	v_add_f32_e32 v2, v2, v3
	s_nop 1
	v_mov_b32_dpp v3, v2 row_mirror row_mask:0xf bank_mask:0xf
	v_add_f32_e32 v2, v2, v3
	s_nop 1
	v_mov_b32_dpp v3, v2 row_bcast:15 row_mask:0xf bank_mask:0xf
	v_add_f32_e32 v2, v2, v3
	v_and_b32_e32 v3, 63, v0
	v_cmp_eq_u32_e64 s[2:3], 63, v3
	s_nop 0
	v_mov_b32_dpp v3, v2 row_bcast:31 row_mask:0xf bank_mask:0xf
	s_and_saveexec_b64 s[22:23], s[2:3]
	s_cbranch_execz .LBB817_13
; %bb.12:
	v_add_f32_e32 v2, v2, v3
	v_lshrrev_b32_e32 v3, 4, v0
	v_and_b32_e32 v3, 60, v3
	ds_write_b32 v3, v2 offset:16
.LBB817_13:
	s_or_b64 exec, exec, s[22:23]
	v_and_b32_e32 v2, 3, v0
	v_lshlrev_b32_e32 v36, 2, v2
	s_waitcnt lgkmcnt(0)
	s_barrier
	ds_read_b32 v3, v36 offset:16
	s_load_dwordx2 s[38:39], s[4:5], 0x18
	s_waitcnt lgkmcnt(0)
	v_mov_b32_dpp v4, v3 quad_perm:[1,0,3,2] row_mask:0xf bank_mask:0xf
	v_add_f32_e32 v3, v3, v4
	s_nop 1
	v_mov_b32_dpp v4, v3 quad_perm:[2,3,0,1] row_mask:0xf bank_mask:0xf
	s_and_saveexec_b64 s[22:23], s[0:1]
	s_cbranch_execnz .LBB817_18
; %bb.14:
	s_or_b64 exec, exec, s[22:23]
	s_mov_b64 s[8:9], -1
	s_and_b64 vcc, exec, s[10:11]
	s_cbranch_vccnz .LBB817_19
.LBB817_15:
	s_andn2_b64 vcc, exec, s[8:9]
	s_cbranch_vccz .LBB817_22
.LBB817_16:
	s_cmp_lt_i32 s16, 1
	s_cbranch_scc0 .LBB817_29
.LBB817_17:
	s_endpgm
.LBB817_18:
	v_add_f32_e32 v3, v3, v4
	v_cvt_f32_u32_e32 v4, s7
	s_mov_b32 s7, 0x800000
	s_waitcnt vmcnt(1)
	v_cvt_f32_f16_sdwa v21, v76 dst_sel:DWORD dst_unused:UNUSED_PAD src0_sel:WORD_1
	v_cvt_f32_f16_e32 v20, v76
	v_div_scale_f32 v5, s[28:29], v4, v4, v3
	v_rcp_f32_e32 v6, v5
	v_pk_add_f32 v[20:21], v[20:21], 1.0 op_sel_hi:[1,0]
	v_cvt_f32_f16_sdwa v23, v79 dst_sel:DWORD dst_unused:UNUSED_PAD src0_sel:WORD_1
	v_cvt_f32_f16_e32 v22, v79
	v_fma_f32 v7, -v5, v6, 1.0
	v_fmac_f32_e32 v6, v7, v6
	v_div_scale_f32 v7, vcc, v3, v4, v3
	v_mul_f32_e32 v8, v7, v6
	v_fma_f32 v9, -v5, v8, v7
	v_fmac_f32_e32 v8, v9, v6
	v_fma_f32 v5, -v5, v8, v7
	v_div_fmas_f32 v5, v5, v6, v8
	v_div_fixup_f32 v3, v5, v4, v3
	v_mov_b32_e32 v4, s13
	v_mov_b32_e32 v5, s12
	v_cndmask_b32_e64 v4, v4, v5, s[8:9]
	v_add_f32_e32 v3, v4, v3
	v_mul_f32_e32 v4, 0x4b800000, v3
	v_cmp_gt_f32_e32 vcc, s7, v3
	v_cndmask_b32_e32 v3, v3, v4, vcc
	v_rsq_f32_e32 v3, v3
	s_waitcnt vmcnt(0)
	v_cvt_f32_f16_sdwa v27, v75 dst_sel:DWORD dst_unused:UNUSED_PAD src0_sel:WORD_1
	v_cvt_f32_f16_e32 v26, v75
	v_mul_f32_e32 v4, 0x45800000, v3
	v_cndmask_b32_e32 v4, v3, v4, vcc
	v_mov_b32_e32 v5, v4
	;;#ASMSTART
	v_pk_mul_f32 v[6:7], v[48:49], v[4:5]
	;;#ASMEND
	;;#ASMSTART
	v_pk_mul_f32 v[8:9], v[34:35], v[4:5]
	;;#ASMEND
	;; [unrolled: 3-line block ×9, first 2 shown]
	v_cvt_f32_f16_sdwa v7, v77 dst_sel:DWORD dst_unused:UNUSED_PAD src0_sel:WORD_1
	v_cvt_f32_f16_e32 v6, v77
	v_cvt_f32_f16_sdwa v21, v78 dst_sel:DWORD dst_unused:UNUSED_PAD src0_sel:WORD_1
	v_cvt_f32_f16_e32 v20, v78
	v_cvt_f32_f16_sdwa v25, v74 dst_sel:DWORD dst_unused:UNUSED_PAD src0_sel:WORD_1
	v_pk_add_f32 v[6:7], v[6:7], 1.0 op_sel_hi:[1,0]
	;;#ASMSTART
	v_pk_mul_f32 v[34:35], v[8:9], v[6:7]
	;;#ASMEND
	v_pk_add_f32 v[6:7], v[20:21], 1.0 op_sel_hi:[1,0]
	v_pk_add_f32 v[8:9], v[22:23], 1.0 op_sel_hi:[1,0]
	v_cvt_f32_f16_sdwa v21, v72 dst_sel:DWORD dst_unused:UNUSED_PAD src0_sel:WORD_1
	v_cvt_f32_f16_e32 v20, v72
	v_cvt_f32_f16_sdwa v23, v73 dst_sel:DWORD dst_unused:UNUSED_PAD src0_sel:WORD_1
	v_cvt_f32_f16_e32 v22, v73
	v_cvt_f32_f16_e32 v24, v74
	v_pk_add_f32 v[20:21], v[20:21], 1.0 op_sel_hi:[1,0]
	v_pk_add_f32 v[26:27], v[26:27], 1.0 op_sel_hi:[1,0]
	;; [unrolled: 1-line block ×4, first 2 shown]
	;;#ASMSTART
	v_pk_mul_f32 v[54:55], v[10:11], v[6:7]
	;;#ASMEND
	;;#ASMSTART
	v_pk_mul_f32 v[24:25], v[12:13], v[8:9]
	;;#ASMEND
	;; [unrolled: 3-line block ×6, first 2 shown]
	s_or_b64 exec, exec, s[22:23]
	s_mov_b64 s[8:9], -1
	s_and_b64 vcc, exec, s[10:11]
	s_cbranch_vccz .LBB817_15
.LBB817_19:
	s_and_saveexec_b64 s[8:9], s[0:1]
	s_cbranch_execz .LBB817_21
; %bb.20:
	v_cvt_f16_f32_e32 v3, v54
	v_cvt_f16_f32_e32 v4, v24
	;; [unrolled: 1-line block ×4, first 2 shown]
	s_mul_hi_i32 s11, s34, s6
	s_mul_i32 s10, s34, s6
	v_pack_b32_f16 v7, v4, v5
	v_pack_b32_f16 v6, v3, v6
	v_cvt_f16_f32_e32 v3, v34
	v_cvt_f16_f32_e32 v4, v35
	s_lshl_b64 s[10:11], s[10:11], 1
	s_add_u32 s28, s38, s10
	s_addc_u32 s7, s39, s11
	v_pack_b32_f16 v5, v3, v4
	v_cvt_f16_f32_e32 v3, v48
	v_cvt_f16_f32_e32 v4, v49
	s_and_b32 s29, s7, 0xffff
	s_mov_b32 s31, 0x20000
	v_cvt_f16_f32_e32 v8, v15
	v_pack_b32_f16 v4, v3, v4
	v_lshlrev_b32_e32 v3, 5, v0
	buffer_store_dwordx4 v[4:7], v3, s[28:31], 0 offen
	;;#ASMSTART
	s_nop 0
	;;#ASMEND
	s_nop 0
	v_cvt_f16_f32_e32 v4, v14
	v_cvt_f16_f32_e32 v5, v88
	;; [unrolled: 1-line block ×3, first 2 shown]
	v_pack_b32_f16 v7, v5, v6
	v_pack_b32_f16 v6, v4, v8
	v_cvt_f16_f32_e32 v4, v18
	v_cvt_f16_f32_e32 v5, v19
	;; [unrolled: 1-line block ×3, first 2 shown]
	v_pack_b32_f16 v5, v4, v5
	v_cvt_f16_f32_e32 v4, v64
	v_pack_b32_f16 v4, v4, v8
	buffer_store_dwordx4 v[4:7], v3, s[28:31], 16 offen
	;;#ASMSTART
	s_nop 0
	;;#ASMEND
.LBB817_21:
	s_or_b64 exec, exec, s[8:9]
	s_cbranch_execnz .LBB817_16
.LBB817_22:
	v_mov_b32_e32 v3, 0
	s_and_saveexec_b64 s[8:9], s[0:1]
	s_cbranch_execz .LBB817_24
; %bb.23:
	v_and_b32_e32 v3, 0x7fffffff, v48
	v_and_b32_e32 v4, 0x7fffffff, v49
	v_mov_b32_e32 v5, 0x2edbe6ff
	;;#ASMSTART
	v_max3_f32 v3, v5, v3, v4

	;;#ASMEND
	v_and_b32_e32 v4, 0x7fffffff, v34
	v_and_b32_e32 v5, 0x7fffffff, v35
	;;#ASMSTART
	v_max3_f32 v3, v3, v4, v5

	;;#ASMEND
	v_and_b32_e32 v4, 0x7fffffff, v54
	v_and_b32_e32 v5, 0x7fffffff, v55
	;; [unrolled: 6-line block ×7, first 2 shown]
	;;#ASMSTART
	v_max3_f32 v3, v3, v4, v5

	;;#ASMEND
.LBB817_24:
	s_or_b64 exec, exec, s[8:9]
	;;#ASMSTART
	v_max_f32 v4, v3, v3 quad_perm:[1,0,3,2] row_mask:0xf bank_mask:0xf bound_ctrl:1
	;;#ASMEND
	;;#ASMSTART
	v_max_f32 v3, v4, v4 quad_perm:[2,3,0,1] row_mask:0xf bank_mask:0xf bound_ctrl:1
	;;#ASMEND
	v_cmp_eq_u32_e32 vcc, 0, v2
	v_cmp_gt_i32_e64 s[8:9], s15, v1
	v_mul_f32_e32 v3, 0x3b124925, v3
	s_and_b64 s[10:11], vcc, s[8:9]
	s_and_saveexec_b64 s[8:9], s[10:11]
	s_cbranch_execz .LBB817_26
; %bb.25:
	s_load_dwordx2 s[10:11], s[4:5], 0x8
	s_mul_hi_i32 s23, s25, s6
	s_mul_i32 s22, s25, s6
	v_lshrrev_b32_e32 v2, 2, v0
	s_lshl_b64 s[22:23], s[22:23], 2
	v_mad_i64_i32 v[4:5], s[26:27], s26, v2, 0
	s_waitcnt lgkmcnt(0)
	s_add_u32 s7, s10, s22
	s_addc_u32 s10, s11, s23
	v_lshlrev_b64 v[4:5], 2, v[4:5]
	v_mov_b32_e32 v2, s10
	v_add_co_u32_e32 v4, vcc, s7, v4
	v_addc_co_u32_e32 v5, vcc, v2, v5, vcc
	global_store_dword v[4:5], v3, off
.LBB817_26:
	s_or_b64 exec, exec, s[8:9]
	;;#ASMSTART
	v_rcp_f32 v2, v3
	;;#ASMEND
	s_and_saveexec_b64 s[22:23], s[0:1]
	s_cbranch_execz .LBB817_28
; %bb.27:
	v_mov_b32_e32 v3, v2
	;;#ASMSTART
	v_pk_mul_f32 v[4:5], v[48:49], v[2:3]
	;;#ASMEND
	v_mov_b32_e32 v10, 0xc3e00000
	v_mov_b32_e32 v11, 0x43e00000
	;;#ASMSTART
	v_med3_f32 v4, v4, v10, v11
v_med3_f32 v5, v5, v10, v11
v_cvt_pk_fp8_f32 v6, v4, v5
	;;#ASMEND
	;;#ASMSTART
	v_pk_mul_f32 v[4:5], v[34:35], v[2:3]
	;;#ASMEND
	;;#ASMSTART
	v_med3_f32 v4, v4, v10, v11
v_med3_f32 v5, v5, v10, v11
v_cvt_pk_fp8_f32 v7, v4, v5
	;;#ASMEND
	;;#ASMSTART
	v_pk_mul_f32 v[4:5], v[54:55], v[2:3]
	;;#ASMEND
	;; [unrolled: 8-line block ×3, first 2 shown]
	;;#ASMSTART
	v_med3_f32 v4, v4, v10, v11
v_med3_f32 v5, v5, v10, v11
v_cvt_pk_fp8_f32 v9, v4, v5
	;;#ASMEND
	s_mov_b32 s0, 0x5040100
	v_perm_b32 v4, v7, v6, s0
	s_mov_b32 s0, 0x1060504
	v_perm_b32 v4, v4, v7, s0
	s_load_dwordx2 s[0:1], s[4:5], 0x0
	s_mov_b32 s7, 0x1000504
	;;#ASMSTART
	v_pk_mul_f32 v[6:7], v[64:65], v[2:3]
	;;#ASMEND
	v_perm_b32 v5, v8, v9, s7
	s_mul_i32 s8, s24, s6
	;;#ASMSTART
	v_med3_f32 v6, v6, v10, v11
v_med3_f32 v7, v7, v10, v11
v_cvt_pk_fp8_f32 v8, v6, v7
	;;#ASMEND
	s_mul_hi_i32 s9, s24, s6
	s_waitcnt lgkmcnt(0)
	s_add_u32 s8, s0, s8
	;;#ASMSTART
	v_pk_mul_f32 v[6:7], v[18:19], v[2:3]
	;;#ASMEND
	s_addc_u32 s0, s1, s9
	s_add_i32 s1, s15, 3
	;;#ASMSTART
	v_med3_f32 v6, v6, v10, v11
v_med3_f32 v7, v7, v10, v11
v_cvt_pk_fp8_f32 v9, v6, v7
	;;#ASMEND
	s_ashr_i32 s9, s1, 31
	v_perm_b32 v6, v8, v9, s7
	;;#ASMSTART
	v_pk_mul_f32 v[8:9], v[14:15], v[2:3]
	;;#ASMEND
	v_mov_b32_e32 v7, v8
	s_lshr_b32 s9, s9, 30
	;;#ASMSTART
	v_med3_f32 v7, v7, v10, v11
v_med3_f32 v9, v9, v10, v11
v_cvt_pk_fp8_f32 v8, v7, v9
	;;#ASMEND
	;;#ASMSTART
	v_pk_mul_f32 v[2:3], v[88:89], v[2:3]
	;;#ASMEND
	s_add_i32 s1, s1, s9
	;;#ASMSTART
	v_med3_f32 v2, v2, v10, v11
v_med3_f32 v3, v3, v10, v11
v_cvt_pk_fp8_f32 v7, v2, v3
	;;#ASMEND
	s_and_b32 s10, s1, -4
	s_and_b32 s9, s0, 0xffff
	s_mov_b32 s11, 0x20000
	v_perm_b32 v7, v8, v7, s7
	buffer_store_dwordx4 v[4:7], v1, s[8:11], 0 offen
	;;#ASMSTART
	s_nop 0
	;;#ASMEND
.LBB817_28:
	s_or_b64 exec, exec, s[22:23]
	s_cmp_lt_i32 s16, 1
	s_cbranch_scc1 .LBB817_17
.LBB817_29:
	s_load_dword s0, s[4:5], 0x94
	s_waitcnt lgkmcnt(0)
	s_cmp_lg_u32 s0, 1
	s_cbranch_scc1 .LBB817_17
; %bb.30:
	s_lshl_b32 s0, s16, 1
	s_add_i32 s0, s0, 2
	v_cmp_gt_u32_e32 vcc, s16, v1
	s_and_b32 s22, s0, -4
	v_mov_b32_e32 v18, 0
	v_lshlrev_b32_e32 v1, 5, v0
	v_mov_b32_e32 v14, 0
	v_mov_b32_e32 v15, 0
	v_mov_b32_e32 v16, 0
	v_mov_b32_e32 v17, 0
	v_mov_b32_e32 v10, 0
	v_mov_b32_e32 v11, 0
	v_mov_b32_e32 v12, 0
	v_mov_b32_e32 v13, 0
	v_mov_b32_e32 v6, 0
	v_mov_b32_e32 v7, 0
	v_mov_b32_e32 v8, 0
	v_mov_b32_e32 v9, 0
	v_mov_b32_e32 v2, 0
	v_mov_b32_e32 v3, 0
	v_mov_b32_e32 v4, 0
	v_mov_b32_e32 v5, 0
	s_barrier
	s_and_saveexec_b64 s[0:1], vcc
	s_cbranch_execz .LBB817_32
; %bb.31:
	s_mul_hi_i32 s5, s18, s6
	s_mul_i32 s4, s18, s6
	s_and_b32 s21, s21, 0xffff
	s_lshl_b64 s[4:5], s[4:5], 1
	s_add_u32 s8, s36, s4
	s_mov_b32 s23, 0x20000
	s_addc_u32 s4, s37, s5
	s_and_b32 s9, s4, 0xffff
	s_mov_b32 s10, s22
	s_mov_b32 s11, s23
	buffer_load_dwordx4 v[14:17], v1, s[8:11], 0 offen
	buffer_load_dwordx4 v[10:13], v1, s[8:11], 16 offen
	;; [unrolled: 1-line block ×4, first 2 shown]
.LBB817_32:
	s_or_b64 exec, exec, s[0:1]
	v_mov_b32_e32 v19, 0
	v_mov_b32_e32 v32, 0
	;; [unrolled: 1-line block ×15, first 2 shown]
	s_and_saveexec_b64 s[0:1], vcc
	s_cbranch_execz .LBB817_34
; %bb.33:
	s_waitcnt vmcnt(3)
	v_cvt_f32_f16_sdwa v19, v14 dst_sel:DWORD dst_unused:UNUSED_PAD src0_sel:WORD_1
	v_cvt_f32_f16_e32 v18, v14
	v_cvt_f32_f16_sdwa v33, v15 dst_sel:DWORD dst_unused:UNUSED_PAD src0_sel:WORD_1
	v_cvt_f32_f16_e32 v32, v15
	;; [unrolled: 2-line block ×4, first 2 shown]
	s_waitcnt vmcnt(2)
	v_cvt_f32_f16_sdwa v27, v10 dst_sel:DWORD dst_unused:UNUSED_PAD src0_sel:WORD_1
	v_cvt_f32_f16_e32 v26, v10
	v_cvt_f32_f16_sdwa v25, v11 dst_sel:DWORD dst_unused:UNUSED_PAD src0_sel:WORD_1
	v_cvt_f32_f16_e32 v24, v11
	v_cvt_f32_f16_sdwa v23, v12 dst_sel:DWORD dst_unused:UNUSED_PAD src0_sel:WORD_1
	v_cvt_f32_f16_e32 v22, v12
	v_cvt_f32_f16_sdwa v21, v13 dst_sel:DWORD dst_unused:UNUSED_PAD src0_sel:WORD_1
	v_cvt_f32_f16_e32 v20, v13
.LBB817_34:
	s_or_b64 exec, exec, s[0:1]
	s_waitcnt vmcnt(2)
	v_mul_f32_e32 v10, v19, v19
	v_fmac_f32_e32 v10, v18, v18
	v_fmac_f32_e32 v10, v32, v32
	;; [unrolled: 1-line block ×15, first 2 shown]
	s_nop 1
	v_mov_b32_dpp v11, v10 quad_perm:[1,0,3,2] row_mask:0xf bank_mask:0xf
	v_add_f32_e32 v10, v10, v11
	s_nop 1
	v_mov_b32_dpp v11, v10 quad_perm:[2,3,0,1] row_mask:0xf bank_mask:0xf
	v_add_f32_e32 v10, v10, v11
	s_nop 1
	v_mov_b32_dpp v11, v10 row_half_mirror row_mask:0xf bank_mask:0xf
	v_add_f32_e32 v10, v10, v11
	s_nop 1
	v_mov_b32_dpp v11, v10 row_mirror row_mask:0xf bank_mask:0xf
	v_add_f32_e32 v10, v10, v11
	s_nop 1
	v_mov_b32_dpp v11, v10 row_bcast:15 row_mask:0xf bank_mask:0xf
	v_add_f32_e32 v10, v10, v11
	s_nop 1
	v_mov_b32_dpp v11, v10 row_bcast:31 row_mask:0xf bank_mask:0xf
	s_and_saveexec_b64 s[0:1], s[2:3]
	s_cbranch_execz .LBB817_36
; %bb.35:
	v_lshrrev_b32_e32 v0, 4, v0
	v_add_f32_e32 v10, v10, v11
	v_and_b32_e32 v0, 60, v0
	ds_write_b32 v0, v10
.LBB817_36:
	s_or_b64 exec, exec, s[0:1]
	s_waitcnt lgkmcnt(0)
	s_barrier
	ds_read_b32 v0, v36
	s_waitcnt lgkmcnt(0)
	s_nop 0
	v_mov_b32_dpp v10, v0 quad_perm:[1,0,3,2] row_mask:0xf bank_mask:0xf
	v_add_f32_e32 v0, v0, v10
	s_nop 1
	v_mov_b32_dpp v10, v0 quad_perm:[2,3,0,1] row_mask:0xf bank_mask:0xf
	s_and_saveexec_b64 s[0:1], vcc
	s_cbranch_execz .LBB817_17
; %bb.37:
	v_cvt_f32_u32_e32 v11, s16
	v_add_f32_e32 v0, v0, v10
	s_mov_b32 s23, 0x20000
	v_div_scale_f32 v10, s[0:1], v11, v11, v0
	v_rcp_f32_e32 v12, v10
	v_div_scale_f32 v13, vcc, v0, v11, v0
	s_mov_b32 s0, 0x800000
	v_fma_f32 v14, -v10, v12, 1.0
	v_fmac_f32_e32 v12, v14, v12
	v_mul_f32_e32 v14, v13, v12
	v_fma_f32 v15, -v10, v14, v13
	v_fmac_f32_e32 v14, v15, v12
	v_fma_f32 v10, -v10, v14, v13
	v_div_fmas_f32 v10, v10, v12, v14
	v_div_fixup_f32 v0, v10, v11, v0
	v_add_f32_e32 v0, s13, v0
	v_mul_f32_e32 v10, 0x4b800000, v0
	v_cmp_gt_f32_e32 vcc, s0, v0
	v_cndmask_b32_e32 v0, v0, v10, vcc
	v_rsq_f32_e32 v0, v0
	s_mul_hi_i32 s1, s34, s6
	s_mul_i32 s0, s34, s6
	s_lshl_b64 s[0:1], s[0:1], 1
	v_mul_f32_e32 v10, 0x45800000, v0
	v_cndmask_b32_e32 v10, v0, v10, vcc
	v_mov_b32_e32 v11, v10
	;;#ASMSTART
	v_pk_mul_f32 v[12:13], v[18:19], v[10:11]
	;;#ASMEND
	;;#ASMSTART
	v_pk_mul_f32 v[14:15], v[32:33], v[10:11]
	;;#ASMEND
	;; [unrolled: 3-line block ×4, first 2 shown]
	s_waitcnt vmcnt(1)
	v_cvt_f32_f16_sdwa v29, v6 dst_sel:DWORD dst_unused:UNUSED_PAD src0_sel:WORD_1
	v_cvt_f32_f16_e32 v28, v6
	v_cvt_f32_f16_sdwa v31, v7 dst_sel:DWORD dst_unused:UNUSED_PAD src0_sel:WORD_1
	v_cvt_f32_f16_e32 v30, v7
	;;#ASMSTART
	v_pk_mul_f32 v[26:27], v[26:27], v[10:11]
	;;#ASMEND
	;;#ASMSTART
	v_pk_mul_f32 v[24:25], v[24:25], v[10:11]
	;;#ASMEND
	;; [unrolled: 3-line block ×4, first 2 shown]
	v_cvt_f32_f16_sdwa v21, v8 dst_sel:DWORD dst_unused:UNUSED_PAD src0_sel:WORD_1
	v_cvt_f32_f16_e32 v20, v8
	v_pk_add_f32 v[10:11], v[28:29], 1.0 op_sel_hi:[1,0]
	;;#ASMSTART
	v_pk_mul_f32 v[10:11], v[12:13], v[10:11]
	;;#ASMEND
	v_pk_add_f32 v[12:13], v[30:31], 1.0 op_sel_hi:[1,0]
	v_cvt_f32_f16_sdwa v29, v9 dst_sel:DWORD dst_unused:UNUSED_PAD src0_sel:WORD_1
	v_cvt_f32_f16_e32 v28, v9
	;;#ASMSTART
	v_pk_mul_f32 v[8:9], v[14:15], v[12:13]
	;;#ASMEND
	v_pk_add_f32 v[12:13], v[20:21], 1.0 op_sel_hi:[1,0]
	;;#ASMSTART
	v_pk_mul_f32 v[12:13], v[16:17], v[12:13]
	;;#ASMEND
	s_waitcnt vmcnt(0)
	v_cvt_f32_f16_sdwa v17, v2 dst_sel:DWORD dst_unused:UNUSED_PAD src0_sel:WORD_1
	v_cvt_f32_f16_e32 v16, v2
	v_cvt_f32_f16_sdwa v21, v3 dst_sel:DWORD dst_unused:UNUSED_PAD src0_sel:WORD_1
	v_cvt_f32_f16_e32 v20, v3
	v_pk_add_f32 v[14:15], v[28:29], 1.0 op_sel_hi:[1,0]
	;;#ASMSTART
	v_pk_mul_f32 v[2:3], v[18:19], v[14:15]
	;;#ASMEND
	v_cvt_f32_f16_sdwa v19, v4 dst_sel:DWORD dst_unused:UNUSED_PAD src0_sel:WORD_1
	v_cvt_f32_f16_e32 v18, v4
	v_pk_add_f32 v[14:15], v[16:17], 1.0 op_sel_hi:[1,0]
	v_pk_add_f32 v[16:17], v[20:21], 1.0 op_sel_hi:[1,0]
	v_cvt_f32_f16_sdwa v21, v5 dst_sel:DWORD dst_unused:UNUSED_PAD src0_sel:WORD_1
	v_cvt_f32_f16_e32 v20, v5
	v_pk_add_f32 v[4:5], v[18:19], 1.0 op_sel_hi:[1,0]
	;;#ASMSTART
	v_pk_mul_f32 v[14:15], v[26:27], v[14:15]
	;;#ASMEND
	;;#ASMSTART
	v_pk_mul_f32 v[16:17], v[24:25], v[16:17]
	;;#ASMEND
	;; [unrolled: 3-line block ×3, first 2 shown]
	v_pk_add_f32 v[4:5], v[20:21], 1.0 op_sel_hi:[1,0]
	;;#ASMSTART
	v_pk_mul_f32 v[6:7], v[6:7], v[4:5]
	;;#ASMEND
	v_cvt_f16_f32_e32 v0, v10
	v_cvt_f16_f32_e32 v4, v11
	;; [unrolled: 1-line block ×8, first 2 shown]
	s_add_u32 s20, s38, s0
	s_addc_u32 s0, s39, s1
	s_and_b32 s21, s0, 0xffff
	v_pack_b32_f16 v2, v0, v4
	v_pack_b32_f16 v3, v5, v8
	v_pack_b32_f16 v4, v9, v10
	v_pack_b32_f16 v5, v11, v12
	buffer_store_dwordx4 v[2:5], v1, s[20:23], 0 offen
	v_cvt_f16_f32_e32 v0, v14
	v_cvt_f16_f32_e32 v2, v15
	;; [unrolled: 1-line block ×8, first 2 shown]
	v_pack_b32_f16 v2, v0, v2
	v_pack_b32_f16 v3, v3, v4
	;; [unrolled: 1-line block ×4, first 2 shown]
	;;#ASMSTART
	s_nop 0
	;;#ASMEND
	buffer_store_dwordx4 v[2:5], v1, s[20:23], 16 offen
	;;#ASMSTART
	s_nop 0
	;;#ASMEND
	s_endpgm
	.section	.rodata,"a",@progbits
	.p2align	6, 0x0
	.amdhsa_kernel _ZN5aiter35fused_qk_rmsnorm_group_quant_kernelIDF16_DB8_Li256ELi16ELi4ELb1ELb0ELb1ELb0ELb0ELb0EEEvPT0_PvPT_S6_S6_PKS5_S8_S8_S8_S8_ffiiiiiiiiiiiii
		.amdhsa_group_segment_fixed_size 32
		.amdhsa_private_segment_fixed_size 0
		.amdhsa_kernarg_size 400
		.amdhsa_user_sgpr_count 6
		.amdhsa_user_sgpr_private_segment_buffer 1
		.amdhsa_user_sgpr_dispatch_ptr 0
		.amdhsa_user_sgpr_queue_ptr 0
		.amdhsa_user_sgpr_kernarg_segment_ptr 1
		.amdhsa_user_sgpr_dispatch_id 0
		.amdhsa_user_sgpr_flat_scratch_init 0
		.amdhsa_user_sgpr_kernarg_preload_length 0
		.amdhsa_user_sgpr_kernarg_preload_offset 0
		.amdhsa_user_sgpr_private_segment_size 0
		.amdhsa_uses_dynamic_stack 0
		.amdhsa_system_sgpr_private_segment_wavefront_offset 0
		.amdhsa_system_sgpr_workgroup_id_x 1
		.amdhsa_system_sgpr_workgroup_id_y 1
		.amdhsa_system_sgpr_workgroup_id_z 0
		.amdhsa_system_sgpr_workgroup_info 0
		.amdhsa_system_vgpr_workitem_id 0
		.amdhsa_next_free_vgpr 90
		.amdhsa_next_free_sgpr 44
		.amdhsa_accum_offset 92
		.amdhsa_reserve_vcc 1
		.amdhsa_reserve_flat_scratch 0
		.amdhsa_float_round_mode_32 0
		.amdhsa_float_round_mode_16_64 0
		.amdhsa_float_denorm_mode_32 3
		.amdhsa_float_denorm_mode_16_64 3
		.amdhsa_dx10_clamp 1
		.amdhsa_ieee_mode 1
		.amdhsa_fp16_overflow 0
		.amdhsa_tg_split 0
		.amdhsa_exception_fp_ieee_invalid_op 0
		.amdhsa_exception_fp_denorm_src 0
		.amdhsa_exception_fp_ieee_div_zero 0
		.amdhsa_exception_fp_ieee_overflow 0
		.amdhsa_exception_fp_ieee_underflow 0
		.amdhsa_exception_fp_ieee_inexact 0
		.amdhsa_exception_int_div_zero 0
	.end_amdhsa_kernel
	.section	.text._ZN5aiter35fused_qk_rmsnorm_group_quant_kernelIDF16_DB8_Li256ELi16ELi4ELb1ELb0ELb1ELb0ELb0ELb0EEEvPT0_PvPT_S6_S6_PKS5_S8_S8_S8_S8_ffiiiiiiiiiiiii,"axG",@progbits,_ZN5aiter35fused_qk_rmsnorm_group_quant_kernelIDF16_DB8_Li256ELi16ELi4ELb1ELb0ELb1ELb0ELb0ELb0EEEvPT0_PvPT_S6_S6_PKS5_S8_S8_S8_S8_ffiiiiiiiiiiiii,comdat
.Lfunc_end817:
	.size	_ZN5aiter35fused_qk_rmsnorm_group_quant_kernelIDF16_DB8_Li256ELi16ELi4ELb1ELb0ELb1ELb0ELb0ELb0EEEvPT0_PvPT_S6_S6_PKS5_S8_S8_S8_S8_ffiiiiiiiiiiiii, .Lfunc_end817-_ZN5aiter35fused_qk_rmsnorm_group_quant_kernelIDF16_DB8_Li256ELi16ELi4ELb1ELb0ELb1ELb0ELb0ELb0EEEvPT0_PvPT_S6_S6_PKS5_S8_S8_S8_S8_ffiiiiiiiiiiiii
                                        ; -- End function
	.section	.AMDGPU.csdata,"",@progbits
; Kernel info:
; codeLenInByte = 4160
; NumSgprs: 48
; NumVgprs: 90
; NumAgprs: 0
; TotalNumVgprs: 90
; ScratchSize: 0
; MemoryBound: 0
; FloatMode: 240
; IeeeMode: 1
; LDSByteSize: 32 bytes/workgroup (compile time only)
; SGPRBlocks: 5
; VGPRBlocks: 11
; NumSGPRsForWavesPerEU: 48
; NumVGPRsForWavesPerEU: 90
; AccumOffset: 92
; Occupancy: 5
; WaveLimiterHint : 0
; COMPUTE_PGM_RSRC2:SCRATCH_EN: 0
; COMPUTE_PGM_RSRC2:USER_SGPR: 6
; COMPUTE_PGM_RSRC2:TRAP_HANDLER: 0
; COMPUTE_PGM_RSRC2:TGID_X_EN: 1
; COMPUTE_PGM_RSRC2:TGID_Y_EN: 1
; COMPUTE_PGM_RSRC2:TGID_Z_EN: 0
; COMPUTE_PGM_RSRC2:TIDIG_COMP_CNT: 0
; COMPUTE_PGM_RSRC3_GFX90A:ACCUM_OFFSET: 22
; COMPUTE_PGM_RSRC3_GFX90A:TG_SPLIT: 0
	.section	.text._ZN5aiter35fused_qk_rmsnorm_group_quant_kernelItDB8_Li256ELi16ELi4ELb1ELb0ELb1ELb0ELb0ELb0EEEvPT0_PvPT_S6_S6_PKS5_S8_S8_S8_S8_ffiiiiiiiiiiiii,"axG",@progbits,_ZN5aiter35fused_qk_rmsnorm_group_quant_kernelItDB8_Li256ELi16ELi4ELb1ELb0ELb1ELb0ELb0ELb0EEEvPT0_PvPT_S6_S6_PKS5_S8_S8_S8_S8_ffiiiiiiiiiiiii,comdat
	.protected	_ZN5aiter35fused_qk_rmsnorm_group_quant_kernelItDB8_Li256ELi16ELi4ELb1ELb0ELb1ELb0ELb0ELb0EEEvPT0_PvPT_S6_S6_PKS5_S8_S8_S8_S8_ffiiiiiiiiiiiii ; -- Begin function _ZN5aiter35fused_qk_rmsnorm_group_quant_kernelItDB8_Li256ELi16ELi4ELb1ELb0ELb1ELb0ELb0ELb0EEEvPT0_PvPT_S6_S6_PKS5_S8_S8_S8_S8_ffiiiiiiiiiiiii
	.globl	_ZN5aiter35fused_qk_rmsnorm_group_quant_kernelItDB8_Li256ELi16ELi4ELb1ELb0ELb1ELb0ELb0ELb0EEEvPT0_PvPT_S6_S6_PKS5_S8_S8_S8_S8_ffiiiiiiiiiiiii
	.p2align	8
	.type	_ZN5aiter35fused_qk_rmsnorm_group_quant_kernelItDB8_Li256ELi16ELi4ELb1ELb0ELb1ELb0ELb0ELb0EEEvPT0_PvPT_S6_S6_PKS5_S8_S8_S8_S8_ffiiiiiiiiiiiii,@function
_ZN5aiter35fused_qk_rmsnorm_group_quant_kernelItDB8_Li256ELi16ELi4ELb1ELb0ELb1ELb0ELb0ELb0EEEvPT0_PvPT_S6_S6_PKS5_S8_S8_S8_S8_ffiiiiiiiiiiiii: ; @_ZN5aiter35fused_qk_rmsnorm_group_quant_kernelItDB8_Li256ELi16ELi4ELb1ELb0ELb1ELb0ELb0ELb0EEEvPT0_PvPT_S6_S6_PKS5_S8_S8_S8_S8_ffiiiiiiiiiiiii
; %bb.0:
	s_load_dwordx8 s[12:19], s[4:5], 0x50
	s_waitcnt lgkmcnt(0)
	s_cmp_ge_i32 s6, s14
	s_cbranch_scc1 .LBB818_17
; %bb.1:
	s_cmp_lg_u32 s7, 0
	s_cselect_b64 s[10:11], -1, 0
	s_cmp_eq_u32 s7, 0
	s_cselect_b64 s[8:9], -1, 0
	s_and_b64 s[0:1], s[8:9], exec
	s_load_dwordx2 s[20:21], s[4:5], 0x48
	s_load_dwordx2 s[36:37], s[4:5], 0x30
	s_load_dwordx4 s[24:27], s[4:5], 0x70
	s_cselect_b32 s7, s15, s16
	s_add_i32 s0, s7, 1
	s_lshr_b32 s1, s0, 31
	s_add_i32 s0, s0, s1
	s_lshl_b32 s0, s0, 1
	v_lshlrev_b32_e32 v1, 4, v0
	s_and_b32 s30, s0, -4
	v_cmp_gt_i32_e64 s[0:1], s7, v1
	v_mov_b32_e32 v74, 0
	v_mov_b32_e32 v75, 0
	;; [unrolled: 1-line block ×16, first 2 shown]
	s_and_saveexec_b64 s[2:3], s[0:1]
	s_cbranch_execz .LBB818_3
; %bb.2:
	s_load_dwordx2 s[22:23], s[4:5], 0x28
	s_load_dwordx2 s[28:29], s[4:5], 0x40
	s_and_b64 s[34:35], s[8:9], exec
	s_cselect_b32 s14, s17, s18
	s_mov_b32 s31, 0x20000
	s_waitcnt lgkmcnt(0)
	s_cselect_b32 s17, s23, s37
	s_cselect_b32 s27, s22, s36
	s_mul_hi_i32 s23, s14, s6
	s_mul_i32 s22, s14, s6
	s_lshl_b64 s[22:23], s[22:23], 1
	s_add_u32 s40, s27, s22
	s_addc_u32 s14, s17, s23
	s_and_b64 s[22:23], s[8:9], exec
	s_cselect_b32 s28, s28, s20
	s_cselect_b32 s17, s29, s21
	s_and_b32 s41, s14, 0xffff
	s_mov_b32 s42, s30
	s_mov_b32 s43, s31
	v_lshlrev_b32_e32 v2, 5, v0
	s_and_b32 s29, s17, 0xffff
	buffer_load_dwordx4 v[78:81], v2, s[40:43], 0 offen
	buffer_load_dwordx4 v[82:85], v2, s[40:43], 16 offen
	;; [unrolled: 1-line block ×4, first 2 shown]
.LBB818_3:
	s_or_b64 exec, exec, s[2:3]
	s_load_dwordx2 s[34:35], s[4:5], 0x80
	s_and_b64 vcc, exec, s[10:11]
	s_cbranch_vccz .LBB818_7
; %bb.4:
	v_mov_b32_e32 v87, 0
	v_mov_b32_e32 v86, 0
	;; [unrolled: 1-line block ×16, first 2 shown]
	s_and_saveexec_b64 s[2:3], s[0:1]
	s_cbranch_execz .LBB818_6
; %bb.5:
	s_waitcnt vmcnt(3)
	v_cvt_f32_u32_sdwa v52, v78 dst_sel:DWORD dst_unused:UNUSED_PAD src0_sel:WORD_0
	v_cvt_f32_u32_sdwa v53, v78 dst_sel:DWORD dst_unused:UNUSED_PAD src0_sel:WORD_1
	v_cvt_f32_u32_sdwa v34, v79 dst_sel:DWORD dst_unused:UNUSED_PAD src0_sel:WORD_0
	v_cvt_f32_u32_sdwa v35, v79 dst_sel:DWORD dst_unused:UNUSED_PAD src0_sel:WORD_1
	;; [unrolled: 2-line block ×4, first 2 shown]
	s_waitcnt vmcnt(2)
	v_cvt_f32_u32_sdwa v44, v82 dst_sel:DWORD dst_unused:UNUSED_PAD src0_sel:WORD_0
	v_cvt_f32_u32_sdwa v45, v82 dst_sel:DWORD dst_unused:UNUSED_PAD src0_sel:WORD_1
	v_cvt_f32_u32_sdwa v18, v83 dst_sel:DWORD dst_unused:UNUSED_PAD src0_sel:WORD_0
	v_cvt_f32_u32_sdwa v19, v83 dst_sel:DWORD dst_unused:UNUSED_PAD src0_sel:WORD_1
	;; [unrolled: 2-line block ×4, first 2 shown]
.LBB818_6:
	s_or_b64 exec, exec, s[2:3]
	s_cbranch_execz .LBB818_8
	s_branch .LBB818_11
.LBB818_7:
                                        ; implicit-def: $vgpr32_vgpr33_vgpr34_vgpr35_vgpr36_vgpr37_vgpr38_vgpr39_vgpr40_vgpr41_vgpr42_vgpr43_vgpr44_vgpr45_vgpr46_vgpr47
                                        ; implicit-def: $vgpr18_vgpr19_vgpr20_vgpr21_vgpr22_vgpr23_vgpr24_vgpr25_vgpr26_vgpr27_vgpr28_vgpr29_vgpr30_vgpr31_vgpr32_vgpr33
                                        ; implicit-def: $vgpr52_vgpr53_vgpr54_vgpr55_vgpr56_vgpr57_vgpr58_vgpr59_vgpr60_vgpr61_vgpr62_vgpr63_vgpr64_vgpr65_vgpr66_vgpr67
                                        ; implicit-def: $vgpr87
                                        ; implicit-def: $vgpr54_vgpr55_vgpr56_vgpr57_vgpr58_vgpr59_vgpr60_vgpr61_vgpr62_vgpr63_vgpr64_vgpr65_vgpr66_vgpr67_vgpr68_vgpr69
                                        ; implicit-def: $vgpr8_vgpr9_vgpr10_vgpr11_vgpr12_vgpr13_vgpr14_vgpr15_vgpr16_vgpr17_vgpr18_vgpr19_vgpr20_vgpr21_vgpr22_vgpr23
                                        ; implicit-def: $vgpr36_vgpr37_vgpr38_vgpr39_vgpr40_vgpr41_vgpr42_vgpr43_vgpr44_vgpr45_vgpr46_vgpr47_vgpr48_vgpr49_vgpr50_vgpr51
                                        ; implicit-def: $vgpr2_vgpr3_vgpr4_vgpr5_vgpr6_vgpr7_vgpr8_vgpr9_vgpr10_vgpr11_vgpr12_vgpr13_vgpr14_vgpr15_vgpr16_vgpr17
.LBB818_8:
	v_mov_b32_e32 v87, 0
	v_mov_b32_e32 v86, 0
	;; [unrolled: 1-line block ×16, first 2 shown]
	s_and_saveexec_b64 s[2:3], s[0:1]
	s_cbranch_execz .LBB818_10
; %bb.9:
	s_load_dwordx2 s[22:23], s[4:5], 0x38
	s_mul_hi_i32 s29, s19, s6
	s_mul_i32 s28, s19, s6
	s_lshl_b64 s[28:29], s[28:29], 1
	s_mov_b32 s31, 0x20000
	s_waitcnt lgkmcnt(0)
	s_add_u32 s28, s22, s28
	s_addc_u32 s14, s23, s29
	s_and_b32 s29, s14, 0xffff
	v_lshlrev_b32_e32 v38, 5, v0
	buffer_load_dwordx4 v[4:7], v38, s[28:31], 16 offen
	buffer_load_dwordx4 v[8:11], v38, s[28:31], 0 offen
	s_load_dwordx2 s[22:23], s[4:5], 0x20
	s_waitcnt vmcnt(5)
	v_cvt_f32_u32_sdwa v19, v78 dst_sel:DWORD dst_unused:UNUSED_PAD src0_sel:WORD_1
	v_cvt_f32_u32_sdwa v18, v78 dst_sel:DWORD dst_unused:UNUSED_PAD src0_sel:WORD_0
	v_cvt_f32_u32_sdwa v21, v79 dst_sel:DWORD dst_unused:UNUSED_PAD src0_sel:WORD_1
	v_cvt_f32_u32_sdwa v20, v79 dst_sel:DWORD dst_unused:UNUSED_PAD src0_sel:WORD_0
	;; [unrolled: 2-line block ×4, first 2 shown]
	s_waitcnt vmcnt(4)
	v_cvt_f32_u32_sdwa v3, v82 dst_sel:DWORD dst_unused:UNUSED_PAD src0_sel:WORD_1
	v_cvt_f32_u32_sdwa v2, v82 dst_sel:DWORD dst_unused:UNUSED_PAD src0_sel:WORD_0
	v_cvt_f32_u32_sdwa v13, v83 dst_sel:DWORD dst_unused:UNUSED_PAD src0_sel:WORD_1
	v_cvt_f32_u32_sdwa v12, v83 dst_sel:DWORD dst_unused:UNUSED_PAD src0_sel:WORD_0
	;; [unrolled: 2-line block ×3, first 2 shown]
	v_cvt_f32_u32_sdwa v16, v85 dst_sel:DWORD dst_unused:UNUSED_PAD src0_sel:WORD_0
	v_cvt_f32_u32_sdwa v17, v85 dst_sel:DWORD dst_unused:UNUSED_PAD src0_sel:WORD_1
	s_mul_hi_i32 s29, s35, s6
	s_mul_i32 s28, s35, s6
	s_lshl_b64 s[28:29], s[28:29], 1
	s_waitcnt lgkmcnt(0)
	s_add_u32 s28, s22, s28
	s_mov_b32 s14, 0x7060302
	s_addc_u32 s17, s23, s29
	s_and_b32 s29, s17, 0xffff
	s_waitcnt vmcnt(1)
	v_cvt_f32_u32_sdwa v27, v4 dst_sel:DWORD dst_unused:UNUSED_PAD src0_sel:WORD_1
	v_cvt_f32_u32_sdwa v26, v4 dst_sel:DWORD dst_unused:UNUSED_PAD src0_sel:WORD_0
	v_cvt_f32_u32_sdwa v29, v5 dst_sel:DWORD dst_unused:UNUSED_PAD src0_sel:WORD_1
	v_cvt_f32_u32_sdwa v28, v5 dst_sel:DWORD dst_unused:UNUSED_PAD src0_sel:WORD_0
	;; [unrolled: 2-line block ×3, first 2 shown]
	v_cvt_f32_u32_sdwa v32, v7 dst_sel:DWORD dst_unused:UNUSED_PAD src0_sel:WORD_0
	v_cvt_f32_u32_sdwa v33, v7 dst_sel:DWORD dst_unused:UNUSED_PAD src0_sel:WORD_1
	s_waitcnt vmcnt(0)
	v_cvt_f32_u32_sdwa v37, v8 dst_sel:DWORD dst_unused:UNUSED_PAD src0_sel:WORD_1
	v_cvt_f32_u32_sdwa v36, v8 dst_sel:DWORD dst_unused:UNUSED_PAD src0_sel:WORD_0
	v_cvt_f32_u32_sdwa v5, v10 dst_sel:DWORD dst_unused:UNUSED_PAD src0_sel:WORD_1
	v_cvt_f32_u32_sdwa v4, v10 dst_sel:DWORD dst_unused:UNUSED_PAD src0_sel:WORD_0
	v_cvt_f32_u32_sdwa v7, v11 dst_sel:DWORD dst_unused:UNUSED_PAD src0_sel:WORD_1
	v_cvt_f32_u32_sdwa v6, v11 dst_sel:DWORD dst_unused:UNUSED_PAD src0_sel:WORD_0
	v_cvt_f32_u32_sdwa v11, v9 dst_sel:DWORD dst_unused:UNUSED_PAD src0_sel:WORD_1
	v_cvt_f32_u32_sdwa v10, v9 dst_sel:DWORD dst_unused:UNUSED_PAD src0_sel:WORD_0
	v_pk_add_f32 v[58:59], v[22:23], v[4:5]
	v_pk_add_f32 v[24:25], v[24:25], v[6:7]
	;; [unrolled: 1-line block ×4, first 2 shown]
	v_perm_b32 v7, v25, v24, s14
	v_perm_b32 v6, v59, v58, s14
	;; [unrolled: 1-line block ×4, first 2 shown]
	v_pk_add_f32 v[86:87], v[16:17], v[32:33]
	v_pk_add_f32 v[14:15], v[14:15], v[30:31]
	;; [unrolled: 1-line block ×4, first 2 shown]
	buffer_store_dwordx4 v[4:7], v38, s[28:31], 0 offen
	;;#ASMSTART
	s_nop 0
	;;#ASMEND
	s_nop 0
	v_perm_b32 v7, v87, v86, s14
	v_perm_b32 v6, v15, v14, s14
	;; [unrolled: 1-line block ×4, first 2 shown]
	buffer_store_dwordx4 v[4:7], v38, s[28:31], 16 offen
	;;#ASMSTART
	s_nop 0
	;;#ASMEND
.LBB818_10:
	s_or_b64 exec, exec, s[2:3]
.LBB818_11:
	v_mul_f32_e32 v2, v53, v53
	v_fmac_f32_e32 v2, v52, v52
	v_fmac_f32_e32 v2, v34, v34
	;; [unrolled: 1-line block ×15, first 2 shown]
	s_nop 1
	v_mov_b32_dpp v3, v2 quad_perm:[1,0,3,2] row_mask:0xf bank_mask:0xf
	v_add_f32_e32 v2, v2, v3
	s_nop 1
	v_mov_b32_dpp v3, v2 quad_perm:[2,3,0,1] row_mask:0xf bank_mask:0xf
	v_add_f32_e32 v2, v2, v3
	s_nop 1
	v_mov_b32_dpp v3, v2 row_half_mirror row_mask:0xf bank_mask:0xf
	v_add_f32_e32 v2, v2, v3
	s_nop 1
	v_mov_b32_dpp v3, v2 row_mirror row_mask:0xf bank_mask:0xf
	v_add_f32_e32 v2, v2, v3
	s_nop 1
	v_mov_b32_dpp v3, v2 row_bcast:15 row_mask:0xf bank_mask:0xf
	v_add_f32_e32 v2, v2, v3
	v_and_b32_e32 v3, 63, v0
	v_cmp_eq_u32_e64 s[2:3], 63, v3
	s_nop 0
	v_mov_b32_dpp v3, v2 row_bcast:31 row_mask:0xf bank_mask:0xf
	s_and_saveexec_b64 s[22:23], s[2:3]
	s_cbranch_execz .LBB818_13
; %bb.12:
	v_add_f32_e32 v2, v2, v3
	v_lshrrev_b32_e32 v3, 4, v0
	v_and_b32_e32 v3, 60, v3
	ds_write_b32 v3, v2 offset:16
.LBB818_13:
	s_or_b64 exec, exec, s[22:23]
	v_and_b32_e32 v2, 3, v0
	v_lshlrev_b32_e32 v36, 2, v2
	s_waitcnt lgkmcnt(0)
	s_barrier
	ds_read_b32 v3, v36 offset:16
	s_load_dwordx2 s[38:39], s[4:5], 0x18
	s_waitcnt lgkmcnt(0)
	v_mov_b32_dpp v4, v3 quad_perm:[1,0,3,2] row_mask:0xf bank_mask:0xf
	v_add_f32_e32 v3, v3, v4
	s_nop 1
	v_mov_b32_dpp v4, v3 quad_perm:[2,3,0,1] row_mask:0xf bank_mask:0xf
	s_and_saveexec_b64 s[22:23], s[0:1]
	s_cbranch_execnz .LBB818_18
; %bb.14:
	s_or_b64 exec, exec, s[22:23]
	s_mov_b64 s[8:9], -1
	s_and_b64 vcc, exec, s[10:11]
	s_cbranch_vccnz .LBB818_19
.LBB818_15:
	s_andn2_b64 vcc, exec, s[8:9]
	s_cbranch_vccz .LBB818_22
.LBB818_16:
	s_cmp_lt_i32 s16, 1
	s_cbranch_scc0 .LBB818_29
.LBB818_17:
	s_endpgm
.LBB818_18:
	v_add_f32_e32 v3, v3, v4
	v_cvt_f32_u32_e32 v4, s7
	s_mov_b32 s7, 0x800000
	s_waitcnt vmcnt(1)
	v_cvt_f32_u32_sdwa v21, v74 dst_sel:DWORD dst_unused:UNUSED_PAD src0_sel:WORD_1
	v_cvt_f32_u32_sdwa v20, v74 dst_sel:DWORD dst_unused:UNUSED_PAD src0_sel:WORD_0
	v_div_scale_f32 v5, s[28:29], v4, v4, v3
	v_rcp_f32_e32 v6, v5
	v_pk_add_f32 v[20:21], v[20:21], 1.0 op_sel_hi:[1,0]
	v_cvt_f32_u32_sdwa v23, v77 dst_sel:DWORD dst_unused:UNUSED_PAD src0_sel:WORD_1
	v_cvt_f32_u32_sdwa v22, v77 dst_sel:DWORD dst_unused:UNUSED_PAD src0_sel:WORD_0
	v_fma_f32 v7, -v5, v6, 1.0
	v_fmac_f32_e32 v6, v7, v6
	v_div_scale_f32 v7, vcc, v3, v4, v3
	v_mul_f32_e32 v8, v7, v6
	v_fma_f32 v9, -v5, v8, v7
	v_fmac_f32_e32 v8, v9, v6
	v_fma_f32 v5, -v5, v8, v7
	v_div_fmas_f32 v5, v5, v6, v8
	v_div_fixup_f32 v3, v5, v4, v3
	v_mov_b32_e32 v4, s13
	v_mov_b32_e32 v5, s12
	v_cndmask_b32_e64 v4, v4, v5, s[8:9]
	v_add_f32_e32 v3, v4, v3
	v_mul_f32_e32 v4, 0x4b800000, v3
	v_cmp_gt_f32_e32 vcc, s7, v3
	v_cndmask_b32_e32 v3, v3, v4, vcc
	v_rsq_f32_e32 v3, v3
	s_waitcnt vmcnt(0)
	v_cvt_f32_u32_sdwa v27, v73 dst_sel:DWORD dst_unused:UNUSED_PAD src0_sel:WORD_1
	v_cvt_f32_u32_sdwa v26, v73 dst_sel:DWORD dst_unused:UNUSED_PAD src0_sel:WORD_0
	v_mul_f32_e32 v4, 0x45800000, v3
	v_cndmask_b32_e32 v4, v3, v4, vcc
	v_mov_b32_e32 v5, v4
	;;#ASMSTART
	v_pk_mul_f32 v[6:7], v[52:53], v[4:5]
	;;#ASMEND
	;;#ASMSTART
	v_pk_mul_f32 v[8:9], v[34:35], v[4:5]
	;;#ASMEND
	;; [unrolled: 3-line block ×9, first 2 shown]
	v_cvt_f32_u32_sdwa v7, v75 dst_sel:DWORD dst_unused:UNUSED_PAD src0_sel:WORD_1
	v_cvt_f32_u32_sdwa v6, v75 dst_sel:DWORD dst_unused:UNUSED_PAD src0_sel:WORD_0
	v_cvt_f32_u32_sdwa v21, v76 dst_sel:DWORD dst_unused:UNUSED_PAD src0_sel:WORD_1
	v_cvt_f32_u32_sdwa v20, v76 dst_sel:DWORD dst_unused:UNUSED_PAD src0_sel:WORD_0
	v_cvt_f32_u32_sdwa v25, v72 dst_sel:DWORD dst_unused:UNUSED_PAD src0_sel:WORD_1
	v_pk_add_f32 v[6:7], v[6:7], 1.0 op_sel_hi:[1,0]
	;;#ASMSTART
	v_pk_mul_f32 v[34:35], v[8:9], v[6:7]
	;;#ASMEND
	v_pk_add_f32 v[6:7], v[20:21], 1.0 op_sel_hi:[1,0]
	v_pk_add_f32 v[8:9], v[22:23], 1.0 op_sel_hi:[1,0]
	v_cvt_f32_u32_sdwa v21, v70 dst_sel:DWORD dst_unused:UNUSED_PAD src0_sel:WORD_1
	v_cvt_f32_u32_sdwa v20, v70 dst_sel:DWORD dst_unused:UNUSED_PAD src0_sel:WORD_0
	v_cvt_f32_u32_sdwa v23, v71 dst_sel:DWORD dst_unused:UNUSED_PAD src0_sel:WORD_1
	v_cvt_f32_u32_sdwa v22, v71 dst_sel:DWORD dst_unused:UNUSED_PAD src0_sel:WORD_0
	v_cvt_f32_u32_sdwa v24, v72 dst_sel:DWORD dst_unused:UNUSED_PAD src0_sel:WORD_0
	v_pk_add_f32 v[20:21], v[20:21], 1.0 op_sel_hi:[1,0]
	v_pk_add_f32 v[26:27], v[26:27], 1.0 op_sel_hi:[1,0]
	;; [unrolled: 1-line block ×4, first 2 shown]
	;;#ASMSTART
	v_pk_mul_f32 v[58:59], v[10:11], v[6:7]
	;;#ASMEND
	;;#ASMSTART
	v_pk_mul_f32 v[24:25], v[12:13], v[8:9]
	;;#ASMEND
	;; [unrolled: 3-line block ×6, first 2 shown]
	s_or_b64 exec, exec, s[22:23]
	s_mov_b64 s[8:9], -1
	s_and_b64 vcc, exec, s[10:11]
	s_cbranch_vccz .LBB818_15
.LBB818_19:
	s_and_saveexec_b64 s[8:9], s[0:1]
	s_cbranch_execz .LBB818_21
; %bb.20:
	s_mul_hi_i32 s11, s34, s6
	s_mul_i32 s10, s34, s6
	s_lshl_b64 s[10:11], s[10:11], 1
	s_add_u32 s28, s38, s10
	s_addc_u32 s7, s39, s11
	s_and_b32 s29, s7, 0xffff
	s_mov_b32 s7, 0x7060302
	s_mov_b32 s31, 0x20000
	v_perm_b32 v7, v25, v24, s7
	v_perm_b32 v6, v59, v58, s7
	;; [unrolled: 1-line block ×4, first 2 shown]
	v_lshlrev_b32_e32 v3, 5, v0
	buffer_store_dwordx4 v[4:7], v3, s[28:31], 0 offen
	;;#ASMSTART
	s_nop 0
	;;#ASMEND
	s_nop 0
	v_perm_b32 v7, v87, v86, s7
	v_perm_b32 v6, v15, v14, s7
	;; [unrolled: 1-line block ×4, first 2 shown]
	buffer_store_dwordx4 v[4:7], v3, s[28:31], 16 offen
	;;#ASMSTART
	s_nop 0
	;;#ASMEND
.LBB818_21:
	s_or_b64 exec, exec, s[8:9]
	s_cbranch_execnz .LBB818_16
.LBB818_22:
	v_mov_b32_e32 v3, 0
	s_and_saveexec_b64 s[8:9], s[0:1]
	s_cbranch_execz .LBB818_24
; %bb.23:
	v_and_b32_e32 v3, 0x7fffffff, v52
	v_and_b32_e32 v4, 0x7fffffff, v53
	v_mov_b32_e32 v5, 0x2edbe6ff
	;;#ASMSTART
	v_max3_f32 v3, v5, v3, v4

	;;#ASMEND
	v_and_b32_e32 v4, 0x7fffffff, v34
	v_and_b32_e32 v5, 0x7fffffff, v35
	;;#ASMSTART
	v_max3_f32 v3, v3, v4, v5

	;;#ASMEND
	v_and_b32_e32 v4, 0x7fffffff, v58
	v_and_b32_e32 v5, 0x7fffffff, v59
	;; [unrolled: 6-line block ×7, first 2 shown]
	;;#ASMSTART
	v_max3_f32 v3, v3, v4, v5

	;;#ASMEND
.LBB818_24:
	s_or_b64 exec, exec, s[8:9]
	;;#ASMSTART
	v_max_f32 v4, v3, v3 quad_perm:[1,0,3,2] row_mask:0xf bank_mask:0xf bound_ctrl:1
	;;#ASMEND
	;;#ASMSTART
	v_max_f32 v3, v4, v4 quad_perm:[2,3,0,1] row_mask:0xf bank_mask:0xf bound_ctrl:1
	;;#ASMEND
	v_cmp_eq_u32_e32 vcc, 0, v2
	v_cmp_gt_i32_e64 s[8:9], s15, v1
	v_mul_f32_e32 v3, 0x3b124925, v3
	s_and_b64 s[10:11], vcc, s[8:9]
	s_and_saveexec_b64 s[8:9], s[10:11]
	s_cbranch_execz .LBB818_26
; %bb.25:
	s_load_dwordx2 s[10:11], s[4:5], 0x8
	s_mul_hi_i32 s23, s25, s6
	s_mul_i32 s22, s25, s6
	v_lshrrev_b32_e32 v2, 2, v0
	s_lshl_b64 s[22:23], s[22:23], 2
	v_mad_i64_i32 v[4:5], s[26:27], s26, v2, 0
	s_waitcnt lgkmcnt(0)
	s_add_u32 s7, s10, s22
	s_addc_u32 s10, s11, s23
	v_lshlrev_b64 v[4:5], 2, v[4:5]
	v_mov_b32_e32 v2, s10
	v_add_co_u32_e32 v4, vcc, s7, v4
	v_addc_co_u32_e32 v5, vcc, v2, v5, vcc
	global_store_dword v[4:5], v3, off
.LBB818_26:
	s_or_b64 exec, exec, s[8:9]
	;;#ASMSTART
	v_rcp_f32 v2, v3
	;;#ASMEND
	s_and_saveexec_b64 s[22:23], s[0:1]
	s_cbranch_execz .LBB818_28
; %bb.27:
	v_mov_b32_e32 v3, v2
	;;#ASMSTART
	v_pk_mul_f32 v[4:5], v[52:53], v[2:3]
	;;#ASMEND
	v_mov_b32_e32 v10, 0xc3e00000
	v_mov_b32_e32 v11, 0x43e00000
	;;#ASMSTART
	v_med3_f32 v4, v4, v10, v11
v_med3_f32 v5, v5, v10, v11
v_cvt_pk_fp8_f32 v6, v4, v5
	;;#ASMEND
	;;#ASMSTART
	v_pk_mul_f32 v[4:5], v[34:35], v[2:3]
	;;#ASMEND
	;;#ASMSTART
	v_med3_f32 v4, v4, v10, v11
v_med3_f32 v5, v5, v10, v11
v_cvt_pk_fp8_f32 v7, v4, v5
	;;#ASMEND
	;;#ASMSTART
	v_pk_mul_f32 v[4:5], v[58:59], v[2:3]
	;;#ASMEND
	;; [unrolled: 8-line block ×3, first 2 shown]
	;;#ASMSTART
	v_med3_f32 v4, v4, v10, v11
v_med3_f32 v5, v5, v10, v11
v_cvt_pk_fp8_f32 v9, v4, v5
	;;#ASMEND
	s_mov_b32 s0, 0x5040100
	v_perm_b32 v4, v7, v6, s0
	s_mov_b32 s0, 0x1060504
	v_perm_b32 v4, v4, v7, s0
	s_load_dwordx2 s[0:1], s[4:5], 0x0
	s_mov_b32 s7, 0x1000504
	;;#ASMSTART
	v_pk_mul_f32 v[6:7], v[44:45], v[2:3]
	;;#ASMEND
	v_perm_b32 v5, v8, v9, s7
	s_mul_i32 s8, s24, s6
	;;#ASMSTART
	v_med3_f32 v6, v6, v10, v11
v_med3_f32 v7, v7, v10, v11
v_cvt_pk_fp8_f32 v8, v6, v7
	;;#ASMEND
	s_mul_hi_i32 s9, s24, s6
	s_waitcnt lgkmcnt(0)
	s_add_u32 s8, s0, s8
	;;#ASMSTART
	v_pk_mul_f32 v[6:7], v[18:19], v[2:3]
	;;#ASMEND
	s_addc_u32 s0, s1, s9
	s_add_i32 s1, s15, 3
	;;#ASMSTART
	v_med3_f32 v6, v6, v10, v11
v_med3_f32 v7, v7, v10, v11
v_cvt_pk_fp8_f32 v9, v6, v7
	;;#ASMEND
	s_ashr_i32 s9, s1, 31
	v_perm_b32 v6, v8, v9, s7
	;;#ASMSTART
	v_pk_mul_f32 v[8:9], v[14:15], v[2:3]
	;;#ASMEND
	v_mov_b32_e32 v7, v8
	s_lshr_b32 s9, s9, 30
	;;#ASMSTART
	v_med3_f32 v7, v7, v10, v11
v_med3_f32 v9, v9, v10, v11
v_cvt_pk_fp8_f32 v8, v7, v9
	;;#ASMEND
	;;#ASMSTART
	v_pk_mul_f32 v[2:3], v[86:87], v[2:3]
	;;#ASMEND
	s_add_i32 s1, s1, s9
	;;#ASMSTART
	v_med3_f32 v2, v2, v10, v11
v_med3_f32 v3, v3, v10, v11
v_cvt_pk_fp8_f32 v7, v2, v3
	;;#ASMEND
	s_and_b32 s10, s1, -4
	s_and_b32 s9, s0, 0xffff
	s_mov_b32 s11, 0x20000
	v_perm_b32 v7, v8, v7, s7
	buffer_store_dwordx4 v[4:7], v1, s[8:11], 0 offen
	;;#ASMSTART
	s_nop 0
	;;#ASMEND
.LBB818_28:
	s_or_b64 exec, exec, s[22:23]
	s_cmp_lt_i32 s16, 1
	s_cbranch_scc1 .LBB818_17
.LBB818_29:
	s_load_dword s0, s[4:5], 0x94
	s_waitcnt lgkmcnt(0)
	s_cmp_lg_u32 s0, 1
	s_cbranch_scc1 .LBB818_17
; %bb.30:
	s_lshl_b32 s0, s16, 1
	s_add_i32 s0, s0, 2
	v_cmp_gt_u32_e32 vcc, s16, v1
	s_and_b32 s22, s0, -4
	v_mov_b32_e32 v18, 0
	v_lshlrev_b32_e32 v1, 5, v0
	v_mov_b32_e32 v14, 0
	v_mov_b32_e32 v15, 0
	v_mov_b32_e32 v16, 0
	v_mov_b32_e32 v17, 0
	v_mov_b32_e32 v10, 0
	v_mov_b32_e32 v11, 0
	v_mov_b32_e32 v12, 0
	v_mov_b32_e32 v13, 0
	v_mov_b32_e32 v6, 0
	v_mov_b32_e32 v7, 0
	v_mov_b32_e32 v8, 0
	v_mov_b32_e32 v9, 0
	v_mov_b32_e32 v2, 0
	v_mov_b32_e32 v3, 0
	v_mov_b32_e32 v4, 0
	v_mov_b32_e32 v5, 0
	s_barrier
	s_and_saveexec_b64 s[0:1], vcc
	s_cbranch_execz .LBB818_32
; %bb.31:
	s_mul_hi_i32 s5, s18, s6
	s_mul_i32 s4, s18, s6
	s_and_b32 s21, s21, 0xffff
	s_lshl_b64 s[4:5], s[4:5], 1
	s_add_u32 s8, s36, s4
	s_mov_b32 s23, 0x20000
	s_addc_u32 s4, s37, s5
	s_and_b32 s9, s4, 0xffff
	s_mov_b32 s10, s22
	s_mov_b32 s11, s23
	buffer_load_dwordx4 v[14:17], v1, s[8:11], 0 offen
	buffer_load_dwordx4 v[10:13], v1, s[8:11], 16 offen
	;; [unrolled: 1-line block ×4, first 2 shown]
.LBB818_32:
	s_or_b64 exec, exec, s[0:1]
	v_mov_b32_e32 v19, 0
	v_mov_b32_e32 v32, 0
	;; [unrolled: 1-line block ×15, first 2 shown]
	s_and_saveexec_b64 s[0:1], vcc
	s_cbranch_execz .LBB818_34
; %bb.33:
	s_waitcnt vmcnt(3)
	v_cvt_f32_u32_sdwa v18, v14 dst_sel:DWORD dst_unused:UNUSED_PAD src0_sel:WORD_0
	v_cvt_f32_u32_sdwa v19, v14 dst_sel:DWORD dst_unused:UNUSED_PAD src0_sel:WORD_1
	v_cvt_f32_u32_sdwa v32, v15 dst_sel:DWORD dst_unused:UNUSED_PAD src0_sel:WORD_0
	v_cvt_f32_u32_sdwa v33, v15 dst_sel:DWORD dst_unused:UNUSED_PAD src0_sel:WORD_1
	;; [unrolled: 2-line block ×4, first 2 shown]
	s_waitcnt vmcnt(2)
	v_cvt_f32_u32_sdwa v26, v10 dst_sel:DWORD dst_unused:UNUSED_PAD src0_sel:WORD_0
	v_cvt_f32_u32_sdwa v27, v10 dst_sel:DWORD dst_unused:UNUSED_PAD src0_sel:WORD_1
	v_cvt_f32_u32_sdwa v24, v11 dst_sel:DWORD dst_unused:UNUSED_PAD src0_sel:WORD_0
	v_cvt_f32_u32_sdwa v25, v11 dst_sel:DWORD dst_unused:UNUSED_PAD src0_sel:WORD_1
	;; [unrolled: 2-line block ×4, first 2 shown]
.LBB818_34:
	s_or_b64 exec, exec, s[0:1]
	s_waitcnt vmcnt(2)
	v_mul_f32_e32 v10, v19, v19
	v_fmac_f32_e32 v10, v18, v18
	v_fmac_f32_e32 v10, v32, v32
	;; [unrolled: 1-line block ×15, first 2 shown]
	s_nop 1
	v_mov_b32_dpp v11, v10 quad_perm:[1,0,3,2] row_mask:0xf bank_mask:0xf
	v_add_f32_e32 v10, v10, v11
	s_nop 1
	v_mov_b32_dpp v11, v10 quad_perm:[2,3,0,1] row_mask:0xf bank_mask:0xf
	v_add_f32_e32 v10, v10, v11
	s_nop 1
	v_mov_b32_dpp v11, v10 row_half_mirror row_mask:0xf bank_mask:0xf
	v_add_f32_e32 v10, v10, v11
	s_nop 1
	v_mov_b32_dpp v11, v10 row_mirror row_mask:0xf bank_mask:0xf
	v_add_f32_e32 v10, v10, v11
	s_nop 1
	v_mov_b32_dpp v11, v10 row_bcast:15 row_mask:0xf bank_mask:0xf
	v_add_f32_e32 v10, v10, v11
	s_nop 1
	v_mov_b32_dpp v11, v10 row_bcast:31 row_mask:0xf bank_mask:0xf
	s_and_saveexec_b64 s[0:1], s[2:3]
	s_cbranch_execz .LBB818_36
; %bb.35:
	v_lshrrev_b32_e32 v0, 4, v0
	v_add_f32_e32 v10, v10, v11
	v_and_b32_e32 v0, 60, v0
	ds_write_b32 v0, v10
.LBB818_36:
	s_or_b64 exec, exec, s[0:1]
	s_waitcnt lgkmcnt(0)
	s_barrier
	ds_read_b32 v0, v36
	s_waitcnt lgkmcnt(0)
	s_nop 0
	v_mov_b32_dpp v10, v0 quad_perm:[1,0,3,2] row_mask:0xf bank_mask:0xf
	v_add_f32_e32 v0, v0, v10
	s_nop 1
	v_mov_b32_dpp v10, v0 quad_perm:[2,3,0,1] row_mask:0xf bank_mask:0xf
	s_and_saveexec_b64 s[0:1], vcc
	s_cbranch_execz .LBB818_17
; %bb.37:
	v_cvt_f32_u32_e32 v11, s16
	v_add_f32_e32 v0, v0, v10
	s_mov_b32 s23, 0x20000
	v_div_scale_f32 v10, s[0:1], v11, v11, v0
	v_rcp_f32_e32 v12, v10
	v_div_scale_f32 v13, vcc, v0, v11, v0
	s_mov_b32 s0, 0x800000
	v_fma_f32 v14, -v10, v12, 1.0
	v_fmac_f32_e32 v12, v14, v12
	v_mul_f32_e32 v14, v13, v12
	v_fma_f32 v15, -v10, v14, v13
	v_fmac_f32_e32 v14, v15, v12
	v_fma_f32 v10, -v10, v14, v13
	v_div_fmas_f32 v10, v10, v12, v14
	v_div_fixup_f32 v0, v10, v11, v0
	v_add_f32_e32 v0, s13, v0
	v_mul_f32_e32 v10, 0x4b800000, v0
	v_cmp_gt_f32_e32 vcc, s0, v0
	v_cndmask_b32_e32 v0, v0, v10, vcc
	v_rsq_f32_e32 v0, v0
	s_mul_hi_i32 s1, s34, s6
	s_mul_i32 s0, s34, s6
	s_lshl_b64 s[0:1], s[0:1], 1
	v_mul_f32_e32 v10, 0x45800000, v0
	v_cndmask_b32_e32 v10, v0, v10, vcc
	v_mov_b32_e32 v11, v10
	;;#ASMSTART
	v_pk_mul_f32 v[12:13], v[18:19], v[10:11]
	;;#ASMEND
	;;#ASMSTART
	v_pk_mul_f32 v[14:15], v[32:33], v[10:11]
	;;#ASMEND
	;;#ASMSTART
	v_pk_mul_f32 v[16:17], v[30:31], v[10:11]
	;;#ASMEND
	;;#ASMSTART
	v_pk_mul_f32 v[18:19], v[28:29], v[10:11]
	;;#ASMEND
	s_waitcnt vmcnt(1)
	v_cvt_f32_u32_sdwa v29, v6 dst_sel:DWORD dst_unused:UNUSED_PAD src0_sel:WORD_1
	v_cvt_f32_u32_sdwa v28, v6 dst_sel:DWORD dst_unused:UNUSED_PAD src0_sel:WORD_0
	v_cvt_f32_u32_sdwa v31, v7 dst_sel:DWORD dst_unused:UNUSED_PAD src0_sel:WORD_1
	v_cvt_f32_u32_sdwa v30, v7 dst_sel:DWORD dst_unused:UNUSED_PAD src0_sel:WORD_0
	;;#ASMSTART
	v_pk_mul_f32 v[26:27], v[26:27], v[10:11]
	;;#ASMEND
	;;#ASMSTART
	v_pk_mul_f32 v[24:25], v[24:25], v[10:11]
	;;#ASMEND
	;;#ASMSTART
	v_pk_mul_f32 v[22:23], v[22:23], v[10:11]
	;;#ASMEND
	;;#ASMSTART
	v_pk_mul_f32 v[6:7], v[20:21], v[10:11]
	;;#ASMEND
	v_cvt_f32_u32_sdwa v21, v8 dst_sel:DWORD dst_unused:UNUSED_PAD src0_sel:WORD_1
	v_cvt_f32_u32_sdwa v20, v8 dst_sel:DWORD dst_unused:UNUSED_PAD src0_sel:WORD_0
	v_pk_add_f32 v[10:11], v[28:29], 1.0 op_sel_hi:[1,0]
	;;#ASMSTART
	v_pk_mul_f32 v[10:11], v[12:13], v[10:11]
	;;#ASMEND
	v_pk_add_f32 v[12:13], v[30:31], 1.0 op_sel_hi:[1,0]
	v_cvt_f32_u32_sdwa v29, v9 dst_sel:DWORD dst_unused:UNUSED_PAD src0_sel:WORD_1
	v_cvt_f32_u32_sdwa v28, v9 dst_sel:DWORD dst_unused:UNUSED_PAD src0_sel:WORD_0
	;;#ASMSTART
	v_pk_mul_f32 v[8:9], v[14:15], v[12:13]
	;;#ASMEND
	v_pk_add_f32 v[12:13], v[20:21], 1.0 op_sel_hi:[1,0]
	;;#ASMSTART
	v_pk_mul_f32 v[12:13], v[16:17], v[12:13]
	;;#ASMEND
	s_waitcnt vmcnt(0)
	v_cvt_f32_u32_sdwa v17, v2 dst_sel:DWORD dst_unused:UNUSED_PAD src0_sel:WORD_1
	v_cvt_f32_u32_sdwa v16, v2 dst_sel:DWORD dst_unused:UNUSED_PAD src0_sel:WORD_0
	v_cvt_f32_u32_sdwa v21, v3 dst_sel:DWORD dst_unused:UNUSED_PAD src0_sel:WORD_1
	v_cvt_f32_u32_sdwa v20, v3 dst_sel:DWORD dst_unused:UNUSED_PAD src0_sel:WORD_0
	v_pk_add_f32 v[14:15], v[28:29], 1.0 op_sel_hi:[1,0]
	;;#ASMSTART
	v_pk_mul_f32 v[14:15], v[18:19], v[14:15]
	;;#ASMEND
	v_pk_add_f32 v[2:3], v[16:17], 1.0 op_sel_hi:[1,0]
	v_cvt_f32_u32_sdwa v19, v4 dst_sel:DWORD dst_unused:UNUSED_PAD src0_sel:WORD_1
	v_cvt_f32_u32_sdwa v18, v4 dst_sel:DWORD dst_unused:UNUSED_PAD src0_sel:WORD_0
	;;#ASMSTART
	v_pk_mul_f32 v[16:17], v[26:27], v[2:3]
	;;#ASMEND
	v_pk_add_f32 v[2:3], v[20:21], 1.0 op_sel_hi:[1,0]
	v_cvt_f32_u32_sdwa v21, v5 dst_sel:DWORD dst_unused:UNUSED_PAD src0_sel:WORD_1
	v_cvt_f32_u32_sdwa v20, v5 dst_sel:DWORD dst_unused:UNUSED_PAD src0_sel:WORD_0
	s_add_u32 s20, s38, s0
	;;#ASMSTART
	v_pk_mul_f32 v[24:25], v[24:25], v[2:3]
	;;#ASMEND
	v_pk_add_f32 v[2:3], v[18:19], 1.0 op_sel_hi:[1,0]
	s_addc_u32 s0, s39, s1
	;;#ASMSTART
	v_pk_mul_f32 v[18:19], v[22:23], v[2:3]
	;;#ASMEND
	v_pk_add_f32 v[2:3], v[20:21], 1.0 op_sel_hi:[1,0]
	s_and_b32 s21, s0, 0xffff
	s_mov_b32 s0, 0x7060302
	;;#ASMSTART
	v_pk_mul_f32 v[6:7], v[6:7], v[2:3]
	;;#ASMEND
	v_perm_b32 v2, v11, v10, s0
	v_perm_b32 v3, v9, v8, s0
	;; [unrolled: 1-line block ×4, first 2 shown]
	buffer_store_dwordx4 v[2:5], v1, s[20:23], 0 offen
	;;#ASMSTART
	s_nop 0
	;;#ASMEND
	s_nop 0
	v_perm_b32 v2, v17, v16, s0
	v_perm_b32 v3, v25, v24, s0
	;; [unrolled: 1-line block ×4, first 2 shown]
	buffer_store_dwordx4 v[2:5], v1, s[20:23], 16 offen
	;;#ASMSTART
	s_nop 0
	;;#ASMEND
	s_endpgm
	.section	.rodata,"a",@progbits
	.p2align	6, 0x0
	.amdhsa_kernel _ZN5aiter35fused_qk_rmsnorm_group_quant_kernelItDB8_Li256ELi16ELi4ELb1ELb0ELb1ELb0ELb0ELb0EEEvPT0_PvPT_S6_S6_PKS5_S8_S8_S8_S8_ffiiiiiiiiiiiii
		.amdhsa_group_segment_fixed_size 32
		.amdhsa_private_segment_fixed_size 0
		.amdhsa_kernarg_size 400
		.amdhsa_user_sgpr_count 6
		.amdhsa_user_sgpr_private_segment_buffer 1
		.amdhsa_user_sgpr_dispatch_ptr 0
		.amdhsa_user_sgpr_queue_ptr 0
		.amdhsa_user_sgpr_kernarg_segment_ptr 1
		.amdhsa_user_sgpr_dispatch_id 0
		.amdhsa_user_sgpr_flat_scratch_init 0
		.amdhsa_user_sgpr_kernarg_preload_length 0
		.amdhsa_user_sgpr_kernarg_preload_offset 0
		.amdhsa_user_sgpr_private_segment_size 0
		.amdhsa_uses_dynamic_stack 0
		.amdhsa_system_sgpr_private_segment_wavefront_offset 0
		.amdhsa_system_sgpr_workgroup_id_x 1
		.amdhsa_system_sgpr_workgroup_id_y 1
		.amdhsa_system_sgpr_workgroup_id_z 0
		.amdhsa_system_sgpr_workgroup_info 0
		.amdhsa_system_vgpr_workitem_id 0
		.amdhsa_next_free_vgpr 88
		.amdhsa_next_free_sgpr 44
		.amdhsa_accum_offset 88
		.amdhsa_reserve_vcc 1
		.amdhsa_reserve_flat_scratch 0
		.amdhsa_float_round_mode_32 0
		.amdhsa_float_round_mode_16_64 0
		.amdhsa_float_denorm_mode_32 3
		.amdhsa_float_denorm_mode_16_64 3
		.amdhsa_dx10_clamp 1
		.amdhsa_ieee_mode 1
		.amdhsa_fp16_overflow 0
		.amdhsa_tg_split 0
		.amdhsa_exception_fp_ieee_invalid_op 0
		.amdhsa_exception_fp_denorm_src 0
		.amdhsa_exception_fp_ieee_div_zero 0
		.amdhsa_exception_fp_ieee_overflow 0
		.amdhsa_exception_fp_ieee_underflow 0
		.amdhsa_exception_fp_ieee_inexact 0
		.amdhsa_exception_int_div_zero 0
	.end_amdhsa_kernel
	.section	.text._ZN5aiter35fused_qk_rmsnorm_group_quant_kernelItDB8_Li256ELi16ELi4ELb1ELb0ELb1ELb0ELb0ELb0EEEvPT0_PvPT_S6_S6_PKS5_S8_S8_S8_S8_ffiiiiiiiiiiiii,"axG",@progbits,_ZN5aiter35fused_qk_rmsnorm_group_quant_kernelItDB8_Li256ELi16ELi4ELb1ELb0ELb1ELb0ELb0ELb0EEEvPT0_PvPT_S6_S6_PKS5_S8_S8_S8_S8_ffiiiiiiiiiiiii,comdat
.Lfunc_end818:
	.size	_ZN5aiter35fused_qk_rmsnorm_group_quant_kernelItDB8_Li256ELi16ELi4ELb1ELb0ELb1ELb0ELb0ELb0EEEvPT0_PvPT_S6_S6_PKS5_S8_S8_S8_S8_ffiiiiiiiiiiiii, .Lfunc_end818-_ZN5aiter35fused_qk_rmsnorm_group_quant_kernelItDB8_Li256ELi16ELi4ELb1ELb0ELb1ELb0ELb0ELb0EEEvPT0_PvPT_S6_S6_PKS5_S8_S8_S8_S8_ffiiiiiiiiiiiii
                                        ; -- End function
	.section	.AMDGPU.csdata,"",@progbits
; Kernel info:
; codeLenInByte = 4192
; NumSgprs: 48
; NumVgprs: 88
; NumAgprs: 0
; TotalNumVgprs: 88
; ScratchSize: 0
; MemoryBound: 0
; FloatMode: 240
; IeeeMode: 1
; LDSByteSize: 32 bytes/workgroup (compile time only)
; SGPRBlocks: 5
; VGPRBlocks: 10
; NumSGPRsForWavesPerEU: 48
; NumVGPRsForWavesPerEU: 88
; AccumOffset: 88
; Occupancy: 5
; WaveLimiterHint : 0
; COMPUTE_PGM_RSRC2:SCRATCH_EN: 0
; COMPUTE_PGM_RSRC2:USER_SGPR: 6
; COMPUTE_PGM_RSRC2:TRAP_HANDLER: 0
; COMPUTE_PGM_RSRC2:TGID_X_EN: 1
; COMPUTE_PGM_RSRC2:TGID_Y_EN: 1
; COMPUTE_PGM_RSRC2:TGID_Z_EN: 0
; COMPUTE_PGM_RSRC2:TIDIG_COMP_CNT: 0
; COMPUTE_PGM_RSRC3_GFX90A:ACCUM_OFFSET: 21
; COMPUTE_PGM_RSRC3_GFX90A:TG_SPLIT: 0
	.section	.text._ZN5aiter35fused_qk_rmsnorm_group_quant_kernelIDF16_N4opus5fp4_tELi256ELi16ELi4ELb1ELb0ELb1ELb0ELb0ELb0EEEvPT0_PvPT_S7_S7_PKS6_S9_S9_S9_S9_ffiiiiiiiiiiiii,"axG",@progbits,_ZN5aiter35fused_qk_rmsnorm_group_quant_kernelIDF16_N4opus5fp4_tELi256ELi16ELi4ELb1ELb0ELb1ELb0ELb0ELb0EEEvPT0_PvPT_S7_S7_PKS6_S9_S9_S9_S9_ffiiiiiiiiiiiii,comdat
	.protected	_ZN5aiter35fused_qk_rmsnorm_group_quant_kernelIDF16_N4opus5fp4_tELi256ELi16ELi4ELb1ELb0ELb1ELb0ELb0ELb0EEEvPT0_PvPT_S7_S7_PKS6_S9_S9_S9_S9_ffiiiiiiiiiiiii ; -- Begin function _ZN5aiter35fused_qk_rmsnorm_group_quant_kernelIDF16_N4opus5fp4_tELi256ELi16ELi4ELb1ELb0ELb1ELb0ELb0ELb0EEEvPT0_PvPT_S7_S7_PKS6_S9_S9_S9_S9_ffiiiiiiiiiiiii
	.globl	_ZN5aiter35fused_qk_rmsnorm_group_quant_kernelIDF16_N4opus5fp4_tELi256ELi16ELi4ELb1ELb0ELb1ELb0ELb0ELb0EEEvPT0_PvPT_S7_S7_PKS6_S9_S9_S9_S9_ffiiiiiiiiiiiii
	.p2align	8
	.type	_ZN5aiter35fused_qk_rmsnorm_group_quant_kernelIDF16_N4opus5fp4_tELi256ELi16ELi4ELb1ELb0ELb1ELb0ELb0ELb0EEEvPT0_PvPT_S7_S7_PKS6_S9_S9_S9_S9_ffiiiiiiiiiiiii,@function
_ZN5aiter35fused_qk_rmsnorm_group_quant_kernelIDF16_N4opus5fp4_tELi256ELi16ELi4ELb1ELb0ELb1ELb0ELb0ELb0EEEvPT0_PvPT_S7_S7_PKS6_S9_S9_S9_S9_ffiiiiiiiiiiiii: ; @_ZN5aiter35fused_qk_rmsnorm_group_quant_kernelIDF16_N4opus5fp4_tELi256ELi16ELi4ELb1ELb0ELb1ELb0ELb0ELb0EEEvPT0_PvPT_S7_S7_PKS6_S9_S9_S9_S9_ffiiiiiiiiiiiii
; %bb.0:
	s_load_dwordx8 s[12:19], s[4:5], 0x50
	s_waitcnt lgkmcnt(0)
	s_cmp_ge_i32 s6, s14
	s_cbranch_scc1 .LBB819_17
; %bb.1:
	s_cmp_lg_u32 s7, 0
	s_cselect_b64 s[22:23], -1, 0
	s_cmp_eq_u32 s7, 0
	s_cselect_b64 s[2:3], -1, 0
	s_and_b64 s[0:1], s[2:3], exec
	s_load_dwordx2 s[20:21], s[4:5], 0x48
	s_load_dwordx2 s[34:35], s[4:5], 0x30
	s_load_dwordx4 s[24:27], s[4:5], 0x70
	s_cselect_b32 s7, s15, s16
	s_add_i32 s0, s7, 1
	s_lshr_b32 s1, s0, 31
	s_add_i32 s0, s0, s1
	s_lshl_b32 s0, s0, 1
	v_lshlrev_b32_e32 v1, 4, v0
	s_and_b32 s30, s0, -4
	v_cmp_gt_i32_e64 s[0:1], s7, v1
	v_mov_b32_e32 v6, 0
	v_mov_b32_e32 v7, 0
	v_mov_b32_e32 v8, 0
	v_mov_b32_e32 v9, 0
	v_mov_b32_e32 v2, 0
	v_mov_b32_e32 v3, 0
	v_mov_b32_e32 v4, 0
	v_mov_b32_e32 v5, 0
	v_mov_b32_e32 v10, 0
	v_mov_b32_e32 v11, 0
	v_mov_b32_e32 v12, 0
	v_mov_b32_e32 v13, 0
	v_mov_b32_e32 v14, 0
	v_mov_b32_e32 v15, 0
	v_mov_b32_e32 v16, 0
	v_mov_b32_e32 v17, 0
	s_and_saveexec_b64 s[8:9], s[0:1]
	s_cbranch_execz .LBB819_3
; %bb.2:
	s_load_dwordx2 s[10:11], s[4:5], 0x28
	s_load_dwordx2 s[28:29], s[4:5], 0x40
	s_and_b64 s[36:37], s[2:3], exec
	s_cselect_b32 s14, s17, s18
	s_mov_b32 s31, 0x20000
	s_waitcnt lgkmcnt(0)
	s_cselect_b32 s17, s11, s35
	s_cselect_b32 s27, s10, s34
	s_mul_hi_i32 s11, s14, s6
	s_mul_i32 s10, s14, s6
	s_lshl_b64 s[10:11], s[10:11], 1
	s_add_u32 s36, s27, s10
	s_addc_u32 s14, s17, s11
	s_and_b64 s[10:11], s[2:3], exec
	s_cselect_b32 s28, s28, s20
	s_cselect_b32 s10, s29, s21
	s_and_b32 s37, s14, 0xffff
	s_mov_b32 s38, s30
	s_mov_b32 s39, s31
	v_lshlrev_b32_e32 v18, 5, v0
	s_and_b32 s29, s10, 0xffff
	buffer_load_dwordx4 v[10:13], v18, s[36:39], 0 offen
	buffer_load_dwordx4 v[14:17], v18, s[36:39], 16 offen
	;; [unrolled: 1-line block ×4, first 2 shown]
.LBB819_3:
	s_or_b64 exec, exec, s[8:9]
	s_load_dwordx2 s[10:11], s[4:5], 0x80
	s_and_b64 vcc, exec, s[22:23]
	s_cbranch_vccz .LBB819_7
; %bb.4:
	v_mov_b32_e32 v19, 0
	v_mov_b32_e32 v18, 0
	;; [unrolled: 1-line block ×16, first 2 shown]
	s_and_saveexec_b64 s[8:9], s[0:1]
	s_cbranch_execz .LBB819_6
; %bb.5:
	s_waitcnt vmcnt(3)
	v_cvt_f32_f16_sdwa v29, v10 dst_sel:DWORD dst_unused:UNUSED_PAD src0_sel:WORD_1
	v_cvt_f32_f16_e32 v28, v10
	v_cvt_f32_f16_sdwa v33, v11 dst_sel:DWORD dst_unused:UNUSED_PAD src0_sel:WORD_1
	v_cvt_f32_f16_e32 v32, v11
	;; [unrolled: 2-line block ×4, first 2 shown]
	s_waitcnt vmcnt(2)
	v_cvt_f32_f16_sdwa v23, v14 dst_sel:DWORD dst_unused:UNUSED_PAD src0_sel:WORD_1
	v_cvt_f32_f16_e32 v22, v14
	v_cvt_f32_f16_sdwa v25, v15 dst_sel:DWORD dst_unused:UNUSED_PAD src0_sel:WORD_1
	v_cvt_f32_f16_e32 v24, v15
	;; [unrolled: 2-line block ×4, first 2 shown]
.LBB819_6:
	s_or_b64 exec, exec, s[8:9]
	s_cbranch_execz .LBB819_8
	s_branch .LBB819_11
.LBB819_7:
                                        ; implicit-def: $vgpr19
                                        ; implicit-def: $vgpr21
                                        ; implicit-def: $vgpr25
                                        ; implicit-def: $vgpr23
                                        ; implicit-def: $vgpr31
                                        ; implicit-def: $vgpr27
                                        ; implicit-def: $vgpr33
                                        ; implicit-def: $vgpr29
.LBB819_8:
	v_mov_b32_e32 v19, 0
	v_mov_b32_e32 v18, 0
	;; [unrolled: 1-line block ×16, first 2 shown]
	s_and_saveexec_b64 s[8:9], s[0:1]
	s_cbranch_execz .LBB819_10
; %bb.9:
	s_load_dwordx2 s[28:29], s[4:5], 0x38
	s_mul_hi_i32 s37, s19, s6
	s_mul_i32 s36, s19, s6
	s_lshl_b64 s[36:37], s[36:37], 1
	s_mov_b32 s31, 0x20000
	s_waitcnt lgkmcnt(0)
	s_add_u32 s28, s28, s36
	s_addc_u32 s14, s29, s37
	s_and_b32 s29, s14, 0xffff
	v_lshlrev_b32_e32 v48, 5, v0
	buffer_load_dwordx4 v[18:21], v48, s[28:31], 16 offen
	buffer_load_dwordx4 v[22:25], v48, s[28:31], 0 offen
	s_waitcnt vmcnt(4)
	v_cvt_f32_f16_sdwa v27, v14 dst_sel:DWORD dst_unused:UNUSED_PAD src0_sel:WORD_1
	v_cvt_f32_f16_e32 v26, v14
	v_cvt_f32_f16_sdwa v29, v15 dst_sel:DWORD dst_unused:UNUSED_PAD src0_sel:WORD_1
	v_cvt_f32_f16_e32 v28, v15
	;; [unrolled: 2-line block ×8, first 2 shown]
	s_load_dwordx2 s[28:29], s[4:5], 0x20
	s_mul_hi_i32 s37, s11, s6
	s_mul_i32 s36, s11, s6
	s_lshl_b64 s[36:37], s[36:37], 1
	s_waitcnt lgkmcnt(0)
	s_add_u32 s28, s28, s36
	s_addc_u32 s11, s29, s37
	s_and_b32 s29, s11, 0xffff
	s_waitcnt vmcnt(1)
	v_cvt_f32_f16_e32 v12, v18
	v_cvt_f32_f16_sdwa v13, v18 dst_sel:DWORD dst_unused:UNUSED_PAD src0_sel:WORD_1
	v_cvt_f32_f16_e32 v18, v19
	v_cvt_f32_f16_sdwa v19, v19 dst_sel:DWORD dst_unused:UNUSED_PAD src0_sel:WORD_1
	;; [unrolled: 2-line block ×4, first 2 shown]
	s_waitcnt vmcnt(0)
	v_cvt_f32_f16_e32 v40, v22
	v_cvt_f32_f16_sdwa v41, v22 dst_sel:DWORD dst_unused:UNUSED_PAD src0_sel:WORD_1
	v_cvt_f32_f16_e32 v42, v23
	v_cvt_f32_f16_sdwa v43, v23 dst_sel:DWORD dst_unused:UNUSED_PAD src0_sel:WORD_1
	;; [unrolled: 2-line block ×4, first 2 shown]
	v_pk_add_f32 v[22:23], v[26:27], v[12:13]
	v_pk_add_f32 v[24:25], v[28:29], v[18:19]
	;; [unrolled: 1-line block ×8, first 2 shown]
	v_cvt_f16_f32_e32 v10, v29
	v_cvt_f16_f32_e32 v14, v28
	;; [unrolled: 1-line block ×16, first 2 shown]
	v_pack_b32_f16 v13, v17, v13
	v_pack_b32_f16 v12, v16, v12
	;; [unrolled: 1-line block ×8, first 2 shown]
	buffer_store_dwordx4 v[10:13], v48, s[28:31], 0 offen
	;;#ASMSTART
	s_nop 0
	;;#ASMEND
	buffer_store_dwordx4 v[14:17], v48, s[28:31], 16 offen
	;;#ASMSTART
	s_nop 0
	;;#ASMEND
.LBB819_10:
	s_or_b64 exec, exec, s[8:9]
.LBB819_11:
	s_waitcnt vmcnt(3)
	v_mul_f32_e32 v10, v29, v29
	v_fmac_f32_e32 v10, v28, v28
	v_fmac_f32_e32 v10, v32, v32
	;; [unrolled: 1-line block ×15, first 2 shown]
	v_and_b32_e32 v12, 63, v0
	v_cmp_eq_u32_e64 s[8:9], 63, v12
	v_mov_b32_dpp v11, v10 quad_perm:[1,0,3,2] row_mask:0xf bank_mask:0xf
	v_add_f32_e32 v10, v10, v11
	s_nop 1
	v_mov_b32_dpp v11, v10 quad_perm:[2,3,0,1] row_mask:0xf bank_mask:0xf
	v_add_f32_e32 v10, v10, v11
	s_nop 1
	v_mov_b32_dpp v11, v10 row_half_mirror row_mask:0xf bank_mask:0xf
	v_add_f32_e32 v10, v10, v11
	s_nop 1
	v_mov_b32_dpp v11, v10 row_mirror row_mask:0xf bank_mask:0xf
	v_add_f32_e32 v10, v10, v11
	s_nop 1
	v_mov_b32_dpp v11, v10 row_bcast:15 row_mask:0xf bank_mask:0xf
	v_add_f32_e32 v10, v10, v11
	s_nop 1
	v_mov_b32_dpp v11, v10 row_bcast:31 row_mask:0xf bank_mask:0xf
	s_and_saveexec_b64 s[28:29], s[8:9]
	s_cbranch_execz .LBB819_13
; %bb.12:
	v_add_f32_e32 v10, v10, v11
	v_lshrrev_b32_e32 v11, 4, v0
	v_and_b32_e32 v11, 60, v11
	ds_write_b32 v11, v10 offset:16
.LBB819_13:
	s_or_b64 exec, exec, s[28:29]
	v_and_b32_e32 v10, 3, v0
	v_lshlrev_b32_e32 v34, 2, v10
	s_waitcnt lgkmcnt(0)
	s_barrier
	ds_read_b32 v11, v34 offset:16
	s_load_dwordx2 s[36:37], s[4:5], 0x18
	s_waitcnt lgkmcnt(0)
	v_mov_b32_dpp v12, v11 quad_perm:[1,0,3,2] row_mask:0xf bank_mask:0xf
	v_add_f32_e32 v11, v11, v12
	s_nop 1
	v_mov_b32_dpp v12, v11 quad_perm:[2,3,0,1] row_mask:0xf bank_mask:0xf
	s_and_saveexec_b64 s[28:29], s[0:1]
	s_cbranch_execnz .LBB819_18
; %bb.14:
	s_or_b64 exec, exec, s[28:29]
	s_mov_b64 s[2:3], -1
	s_and_b64 vcc, exec, s[22:23]
	s_cbranch_vccnz .LBB819_19
.LBB819_15:
	s_andn2_b64 vcc, exec, s[2:3]
	s_cbranch_vccz .LBB819_22
.LBB819_16:
	s_cmp_lt_i32 s16, 1
	s_cbranch_scc0 .LBB819_29
.LBB819_17:
	s_endpgm
.LBB819_18:
	v_cvt_f32_u32_e32 v13, s7
	v_add_f32_e32 v11, v11, v12
	s_waitcnt vmcnt(2)
	v_mov_b32_e32 v15, s13
	v_mov_b32_e32 v16, s12
	v_div_scale_f32 v12, s[38:39], v13, v13, v11
	v_rcp_f32_e32 v14, v12
	v_cndmask_b32_e64 v15, v15, v16, s[2:3]
	s_mov_b32 s2, 0x800000
	v_fma_f32 v16, -v12, v14, 1.0
	v_fmac_f32_e32 v14, v16, v14
	v_div_scale_f32 v16, vcc, v11, v13, v11
	v_mul_f32_e32 v17, v16, v14
	v_fma_f32 v35, -v12, v17, v16
	v_fmac_f32_e32 v17, v35, v14
	v_fma_f32 v12, -v12, v17, v16
	v_div_fmas_f32 v12, v12, v14, v17
	v_div_fixup_f32 v11, v12, v13, v11
	v_add_f32_e32 v11, v15, v11
	v_mul_f32_e32 v12, 0x4b800000, v11
	v_cmp_gt_f32_e32 vcc, s2, v11
	v_cndmask_b32_e32 v11, v11, v12, vcc
	v_rsq_f32_e32 v11, v11
	v_mul_f32_e32 v12, 0x45800000, v11
	v_cndmask_b32_e32 v12, v11, v12, vcc
	v_mov_b32_e32 v13, v12
	;;#ASMSTART
	v_pk_mul_f32 v[14:15], v[28:29], v[12:13]
	;;#ASMEND
	s_waitcnt vmcnt(1)
	v_cvt_f32_f16_sdwa v29, v6 dst_sel:DWORD dst_unused:UNUSED_PAD src0_sel:WORD_1
	v_cvt_f32_f16_e32 v28, v6
	;;#ASMSTART
	v_pk_mul_f32 v[16:17], v[32:33], v[12:13]
	;;#ASMEND
	v_cvt_f32_f16_sdwa v33, v7 dst_sel:DWORD dst_unused:UNUSED_PAD src0_sel:WORD_1
	v_cvt_f32_f16_e32 v32, v7
	;;#ASMSTART
	v_pk_mul_f32 v[26:27], v[26:27], v[12:13]
	;;#ASMEND
	;;#ASMSTART
	v_pk_mul_f32 v[30:31], v[30:31], v[12:13]
	;;#ASMEND
	;; [unrolled: 3-line block ×6, first 2 shown]
	v_pk_add_f32 v[12:13], v[28:29], 1.0 op_sel_hi:[1,0]
	;;#ASMSTART
	v_pk_mul_f32 v[28:29], v[14:15], v[12:13]
	;;#ASMEND
	v_cvt_f32_f16_sdwa v15, v8 dst_sel:DWORD dst_unused:UNUSED_PAD src0_sel:WORD_1
	v_cvt_f32_f16_e32 v14, v8
	v_cvt_f32_f16_sdwa v19, v9 dst_sel:DWORD dst_unused:UNUSED_PAD src0_sel:WORD_1
	v_cvt_f32_f16_e32 v18, v9
	v_pk_add_f32 v[12:13], v[32:33], 1.0 op_sel_hi:[1,0]
	;;#ASMSTART
	v_pk_mul_f32 v[32:33], v[16:17], v[12:13]
	;;#ASMEND
	s_waitcnt vmcnt(0)
	v_cvt_f32_f16_sdwa v13, v2 dst_sel:DWORD dst_unused:UNUSED_PAD src0_sel:WORD_1
	v_cvt_f32_f16_e32 v12, v2
	v_pk_add_f32 v[8:9], v[14:15], 1.0 op_sel_hi:[1,0]
	;;#ASMSTART
	v_pk_mul_f32 v[26:27], v[26:27], v[8:9]
	;;#ASMEND
	v_pk_add_f32 v[8:9], v[18:19], 1.0 op_sel_hi:[1,0]
	v_cvt_f32_f16_sdwa v15, v3 dst_sel:DWORD dst_unused:UNUSED_PAD src0_sel:WORD_1
	v_cvt_f32_f16_e32 v14, v3
	;;#ASMSTART
	v_pk_mul_f32 v[30:31], v[30:31], v[8:9]
	;;#ASMEND
	v_cvt_f32_f16_sdwa v9, v4 dst_sel:DWORD dst_unused:UNUSED_PAD src0_sel:WORD_1
	v_cvt_f32_f16_e32 v8, v4
	v_pk_add_f32 v[2:3], v[12:13], 1.0 op_sel_hi:[1,0]
	v_cvt_f32_f16_sdwa v13, v5 dst_sel:DWORD dst_unused:UNUSED_PAD src0_sel:WORD_1
	v_cvt_f32_f16_e32 v12, v5
	;;#ASMSTART
	v_pk_mul_f32 v[22:23], v[22:23], v[2:3]
	;;#ASMEND
	v_pk_add_f32 v[2:3], v[14:15], 1.0 op_sel_hi:[1,0]
	;;#ASMSTART
	v_pk_mul_f32 v[24:25], v[24:25], v[2:3]
	;;#ASMEND
	v_pk_add_f32 v[2:3], v[8:9], 1.0 op_sel_hi:[1,0]
	;; [unrolled: 4-line block ×3, first 2 shown]
	;;#ASMSTART
	v_pk_mul_f32 v[18:19], v[6:7], v[2:3]
	;;#ASMEND
	s_or_b64 exec, exec, s[28:29]
	s_mov_b64 s[2:3], -1
	s_and_b64 vcc, exec, s[22:23]
	s_cbranch_vccz .LBB819_15
.LBB819_19:
	s_and_saveexec_b64 s[2:3], s[0:1]
	s_cbranch_execz .LBB819_21
; %bb.20:
	s_mul_hi_i32 s23, s10, s6
	s_mul_i32 s22, s10, s6
	s_waitcnt vmcnt(0)
	v_cvt_f16_f32_e32 v2, v28
	v_cvt_f16_f32_e32 v3, v32
	v_cvt_f16_f32_e32 v4, v26
	v_cvt_f16_f32_e32 v5, v30
	v_cvt_f16_f32_e32 v6, v31
	v_cvt_f16_f32_e32 v7, v27
	v_cvt_f16_f32_e32 v8, v33
	v_cvt_f16_f32_e32 v9, v29
	s_lshl_b64 s[22:23], s[22:23], 1
	s_add_u32 s28, s36, s22
	s_addc_u32 s7, s37, s23
	s_and_b32 s29, s7, 0xffff
	s_mov_b32 s31, 0x20000
	v_pack_b32_f16 v5, v5, v6
	v_pack_b32_f16 v4, v4, v7
	;; [unrolled: 1-line block ×4, first 2 shown]
	v_lshlrev_b32_e32 v6, 5, v0
	buffer_store_dwordx4 v[2:5], v6, s[28:31], 0 offen
	v_cvt_f16_f32_e32 v7, v19
	v_cvt_f16_f32_e32 v2, v22
	;; [unrolled: 1-line block ×8, first 2 shown]
	v_pack_b32_f16 v5, v5, v7
	v_pack_b32_f16 v4, v4, v8
	;; [unrolled: 1-line block ×4, first 2 shown]
	;;#ASMSTART
	s_nop 0
	;;#ASMEND
	buffer_store_dwordx4 v[2:5], v6, s[28:31], 16 offen
	;;#ASMSTART
	s_nop 0
	;;#ASMEND
.LBB819_21:
	s_or_b64 exec, exec, s[2:3]
	s_cbranch_execnz .LBB819_16
.LBB819_22:
	s_waitcnt vmcnt(0)
	v_mov_b32_e32 v2, 0
	s_and_saveexec_b64 s[2:3], s[0:1]
	s_cbranch_execz .LBB819_24
; %bb.23:
	v_and_b32_e32 v2, 0x7fffffff, v28
	v_and_b32_e32 v3, 0x7fffffff, v29
	v_mov_b32_e32 v4, 0x2edbe6ff
	;;#ASMSTART
	v_max3_f32 v2, v4, v2, v3

	;;#ASMEND
	v_and_b32_e32 v3, 0x7fffffff, v32
	v_and_b32_e32 v4, 0x7fffffff, v33
	;;#ASMSTART
	v_max3_f32 v2, v2, v3, v4

	;;#ASMEND
	v_and_b32_e32 v3, 0x7fffffff, v26
	v_and_b32_e32 v4, 0x7fffffff, v27
	;;#ASMSTART
	v_max3_f32 v2, v2, v3, v4

	;;#ASMEND
	v_and_b32_e32 v3, 0x7fffffff, v30
	v_and_b32_e32 v4, 0x7fffffff, v31
	;;#ASMSTART
	v_max3_f32 v2, v2, v3, v4

	;;#ASMEND
	v_and_b32_e32 v3, 0x7fffffff, v22
	v_and_b32_e32 v4, 0x7fffffff, v23
	;;#ASMSTART
	v_max3_f32 v2, v2, v3, v4

	;;#ASMEND
	v_and_b32_e32 v3, 0x7fffffff, v24
	v_and_b32_e32 v4, 0x7fffffff, v25
	;;#ASMSTART
	v_max3_f32 v2, v2, v3, v4

	;;#ASMEND
	v_and_b32_e32 v3, 0x7fffffff, v20
	v_and_b32_e32 v4, 0x7fffffff, v21
	;;#ASMSTART
	v_max3_f32 v2, v2, v3, v4

	;;#ASMEND
	v_and_b32_e32 v3, 0x7fffffff, v18
	v_and_b32_e32 v4, 0x7fffffff, v19
	;;#ASMSTART
	v_max3_f32 v2, v2, v3, v4

	;;#ASMEND
.LBB819_24:
	s_or_b64 exec, exec, s[2:3]
	v_cmp_eq_u32_e32 vcc, 0, v10
	v_cmp_gt_i32_e64 s[2:3], s15, v1
	s_and_b64 s[22:23], vcc, s[2:3]
	;;#ASMSTART
	v_max_f32 v3, v2, v2 quad_perm:[1,0,3,2] row_mask:0xf bank_mask:0xf bound_ctrl:1
	;;#ASMEND
	;;#ASMSTART
	v_max_f32 v2, v3, v3 quad_perm:[2,3,0,1] row_mask:0xf bank_mask:0xf bound_ctrl:1
	;;#ASMEND
	s_and_saveexec_b64 s[2:3], s[22:23]
	s_cbranch_execz .LBB819_26
; %bb.25:
	s_load_dwordx2 s[22:23], s[4:5], 0x8
	v_mul_f32_e32 v2, 0x3e2aaaab, v2
	v_lshrrev_b32_e32 v3, 23, v2
	v_and_b32_e32 v4, 0x7f800000, v2
	v_and_b32_e32 v2, 0x7fffff, v2
	v_cmp_ne_u32_e32 vcc, 0, v2
	s_mul_i32 s12, s25, s6
	s_mov_b32 s7, 0x7f800000
	v_addc_co_u32_e32 v2, vcc, 0, v3, vcc
	s_mul_hi_i32 s11, s25, s6
	s_waitcnt lgkmcnt(0)
	s_add_u32 s22, s22, s12
	v_cmp_ne_u32_e32 vcc, s7, v4
	s_addc_u32 s23, s23, s11
	v_lshrrev_b32_e32 v5, 2, v0
	v_cndmask_b32_e32 v4, -1, v2, vcc
	v_pk_mov_b32 v[2:3], s[22:23], s[22:23] op_sel:[0,1]
	v_mad_i64_i32 v[2:3], s[22:23], s26, v5, v[2:3]
	global_store_byte v[2:3], v4, off
.LBB819_26:
	s_or_b64 exec, exec, s[2:3]
	s_and_saveexec_b64 s[2:3], s[0:1]
	s_cbranch_execz .LBB819_28
; %bb.27:
	s_load_dwordx2 s[0:1], s[4:5], 0x0
	s_mul_i32 s11, s24, s6
	s_mul_hi_i32 s7, s24, s6
	v_mov_b32_e32 v2, 0
	v_lshlrev_b32_e32 v4, 3, v0
	s_waitcnt lgkmcnt(0)
	s_add_u32 s24, s0, s11
	s_addc_u32 s0, s1, s7
	s_lshr_b32 s1, s15, 31
	s_add_i32 s1, s15, s1
	s_ashr_i32 s1, s1, 1
	s_add_i32 s1, s1, 3
	s_ashr_i32 s7, s1, 31
	s_lshr_b32 s7, s7, 30
	s_add_i32 s1, s1, s7
	s_and_b32 s26, s1, -4
	s_and_b32 s25, s0, 0xffff
	s_mov_b32 s27, 0x20000
	v_mov_b32_e32 v3, v2
	buffer_store_dwordx2 v[2:3], v4, s[24:27], 0 offen
	;;#ASMSTART
	s_nop 0
	;;#ASMEND
.LBB819_28:
	s_or_b64 exec, exec, s[2:3]
	s_cmp_lt_i32 s16, 1
	s_cbranch_scc1 .LBB819_17
.LBB819_29:
	s_load_dword s0, s[4:5], 0x94
	s_waitcnt lgkmcnt(0)
	s_cmp_lg_u32 s0, 1
	s_cbranch_scc1 .LBB819_17
; %bb.30:
	s_lshl_b32 s0, s16, 1
	s_add_i32 s0, s0, 2
	v_cmp_gt_u32_e32 vcc, s16, v1
	s_and_b32 s22, s0, -4
	v_mov_b32_e32 v18, 0
	v_lshlrev_b32_e32 v1, 5, v0
	s_waitcnt vmcnt(2)
	v_mov_b32_e32 v14, 0
	v_mov_b32_e32 v15, 0
	;; [unrolled: 1-line block ×8, first 2 shown]
	s_waitcnt vmcnt(1)
	v_mov_b32_e32 v6, 0
	v_mov_b32_e32 v7, 0
	;; [unrolled: 1-line block ×4, first 2 shown]
	s_waitcnt vmcnt(0)
	v_mov_b32_e32 v2, 0
	v_mov_b32_e32 v3, 0
	;; [unrolled: 1-line block ×4, first 2 shown]
	s_barrier
	s_and_saveexec_b64 s[0:1], vcc
	s_cbranch_execz .LBB819_32
; %bb.31:
	s_mul_hi_i32 s3, s18, s6
	s_mul_i32 s2, s18, s6
	s_and_b32 s21, s21, 0xffff
	s_lshl_b64 s[2:3], s[2:3], 1
	s_add_u32 s24, s34, s2
	s_mov_b32 s23, 0x20000
	s_addc_u32 s2, s35, s3
	s_and_b32 s25, s2, 0xffff
	s_mov_b32 s26, s22
	s_mov_b32 s27, s23
	buffer_load_dwordx4 v[14:17], v1, s[24:27], 0 offen
	buffer_load_dwordx4 v[10:13], v1, s[24:27], 16 offen
	;; [unrolled: 1-line block ×4, first 2 shown]
.LBB819_32:
	s_or_b64 exec, exec, s[0:1]
	v_mov_b32_e32 v19, 0
	v_mov_b32_e32 v32, 0
	;; [unrolled: 1-line block ×15, first 2 shown]
	s_and_saveexec_b64 s[0:1], vcc
	s_cbranch_execz .LBB819_34
; %bb.33:
	s_waitcnt vmcnt(3)
	v_cvt_f32_f16_sdwa v19, v14 dst_sel:DWORD dst_unused:UNUSED_PAD src0_sel:WORD_1
	v_cvt_f32_f16_e32 v18, v14
	v_cvt_f32_f16_sdwa v33, v15 dst_sel:DWORD dst_unused:UNUSED_PAD src0_sel:WORD_1
	v_cvt_f32_f16_e32 v32, v15
	;; [unrolled: 2-line block ×4, first 2 shown]
	s_waitcnt vmcnt(2)
	v_cvt_f32_f16_sdwa v27, v10 dst_sel:DWORD dst_unused:UNUSED_PAD src0_sel:WORD_1
	v_cvt_f32_f16_e32 v26, v10
	v_cvt_f32_f16_sdwa v25, v11 dst_sel:DWORD dst_unused:UNUSED_PAD src0_sel:WORD_1
	v_cvt_f32_f16_e32 v24, v11
	;; [unrolled: 2-line block ×4, first 2 shown]
.LBB819_34:
	s_or_b64 exec, exec, s[0:1]
	s_waitcnt vmcnt(2)
	v_mul_f32_e32 v10, v19, v19
	v_fmac_f32_e32 v10, v18, v18
	v_fmac_f32_e32 v10, v32, v32
	;; [unrolled: 1-line block ×15, first 2 shown]
	s_nop 1
	v_mov_b32_dpp v11, v10 quad_perm:[1,0,3,2] row_mask:0xf bank_mask:0xf
	v_add_f32_e32 v10, v10, v11
	s_nop 1
	v_mov_b32_dpp v11, v10 quad_perm:[2,3,0,1] row_mask:0xf bank_mask:0xf
	v_add_f32_e32 v10, v10, v11
	s_nop 1
	v_mov_b32_dpp v11, v10 row_half_mirror row_mask:0xf bank_mask:0xf
	v_add_f32_e32 v10, v10, v11
	s_nop 1
	v_mov_b32_dpp v11, v10 row_mirror row_mask:0xf bank_mask:0xf
	v_add_f32_e32 v10, v10, v11
	s_nop 1
	v_mov_b32_dpp v11, v10 row_bcast:15 row_mask:0xf bank_mask:0xf
	v_add_f32_e32 v10, v10, v11
	s_nop 1
	v_mov_b32_dpp v11, v10 row_bcast:31 row_mask:0xf bank_mask:0xf
	s_and_saveexec_b64 s[0:1], s[8:9]
	s_cbranch_execz .LBB819_36
; %bb.35:
	v_lshrrev_b32_e32 v0, 4, v0
	v_add_f32_e32 v10, v10, v11
	v_and_b32_e32 v0, 60, v0
	ds_write_b32 v0, v10
.LBB819_36:
	s_or_b64 exec, exec, s[0:1]
	s_waitcnt lgkmcnt(0)
	s_barrier
	ds_read_b32 v0, v34
	s_waitcnt lgkmcnt(0)
	s_nop 0
	v_mov_b32_dpp v10, v0 quad_perm:[1,0,3,2] row_mask:0xf bank_mask:0xf
	v_add_f32_e32 v0, v0, v10
	s_nop 1
	v_mov_b32_dpp v10, v0 quad_perm:[2,3,0,1] row_mask:0xf bank_mask:0xf
	s_and_saveexec_b64 s[0:1], vcc
	s_cbranch_execz .LBB819_17
; %bb.37:
	v_cvt_f32_u32_e32 v11, s16
	v_add_f32_e32 v0, v0, v10
	s_mov_b32 s23, 0x20000
	v_div_scale_f32 v10, s[0:1], v11, v11, v0
	v_rcp_f32_e32 v12, v10
	v_div_scale_f32 v13, vcc, v0, v11, v0
	s_mov_b32 s0, 0x800000
	v_fma_f32 v14, -v10, v12, 1.0
	v_fmac_f32_e32 v12, v14, v12
	v_mul_f32_e32 v14, v13, v12
	v_fma_f32 v15, -v10, v14, v13
	v_fmac_f32_e32 v14, v15, v12
	v_fma_f32 v10, -v10, v14, v13
	v_div_fmas_f32 v10, v10, v12, v14
	v_div_fixup_f32 v0, v10, v11, v0
	v_add_f32_e32 v0, s13, v0
	v_mul_f32_e32 v10, 0x4b800000, v0
	v_cmp_gt_f32_e32 vcc, s0, v0
	v_cndmask_b32_e32 v0, v0, v10, vcc
	v_rsq_f32_e32 v0, v0
	s_mul_hi_i32 s1, s10, s6
	s_mul_i32 s0, s10, s6
	s_lshl_b64 s[0:1], s[0:1], 1
	v_mul_f32_e32 v10, 0x45800000, v0
	v_cndmask_b32_e32 v10, v0, v10, vcc
	v_mov_b32_e32 v11, v10
	;;#ASMSTART
	v_pk_mul_f32 v[12:13], v[18:19], v[10:11]
	;;#ASMEND
	;;#ASMSTART
	v_pk_mul_f32 v[14:15], v[32:33], v[10:11]
	;;#ASMEND
	;; [unrolled: 3-line block ×4, first 2 shown]
	s_waitcnt vmcnt(1)
	v_cvt_f32_f16_sdwa v29, v6 dst_sel:DWORD dst_unused:UNUSED_PAD src0_sel:WORD_1
	v_cvt_f32_f16_e32 v28, v6
	v_cvt_f32_f16_sdwa v31, v7 dst_sel:DWORD dst_unused:UNUSED_PAD src0_sel:WORD_1
	v_cvt_f32_f16_e32 v30, v7
	;;#ASMSTART
	v_pk_mul_f32 v[26:27], v[26:27], v[10:11]
	;;#ASMEND
	;;#ASMSTART
	v_pk_mul_f32 v[24:25], v[24:25], v[10:11]
	;;#ASMEND
	;; [unrolled: 3-line block ×4, first 2 shown]
	v_cvt_f32_f16_sdwa v21, v8 dst_sel:DWORD dst_unused:UNUSED_PAD src0_sel:WORD_1
	v_cvt_f32_f16_e32 v20, v8
	v_pk_add_f32 v[10:11], v[28:29], 1.0 op_sel_hi:[1,0]
	;;#ASMSTART
	v_pk_mul_f32 v[10:11], v[12:13], v[10:11]
	;;#ASMEND
	v_pk_add_f32 v[12:13], v[30:31], 1.0 op_sel_hi:[1,0]
	v_cvt_f32_f16_sdwa v29, v9 dst_sel:DWORD dst_unused:UNUSED_PAD src0_sel:WORD_1
	v_cvt_f32_f16_e32 v28, v9
	;;#ASMSTART
	v_pk_mul_f32 v[8:9], v[14:15], v[12:13]
	;;#ASMEND
	v_pk_add_f32 v[12:13], v[20:21], 1.0 op_sel_hi:[1,0]
	;;#ASMSTART
	v_pk_mul_f32 v[12:13], v[16:17], v[12:13]
	;;#ASMEND
	s_waitcnt vmcnt(0)
	v_cvt_f32_f16_sdwa v17, v2 dst_sel:DWORD dst_unused:UNUSED_PAD src0_sel:WORD_1
	v_cvt_f32_f16_e32 v16, v2
	v_cvt_f32_f16_sdwa v21, v3 dst_sel:DWORD dst_unused:UNUSED_PAD src0_sel:WORD_1
	v_cvt_f32_f16_e32 v20, v3
	v_pk_add_f32 v[14:15], v[28:29], 1.0 op_sel_hi:[1,0]
	;;#ASMSTART
	v_pk_mul_f32 v[2:3], v[18:19], v[14:15]
	;;#ASMEND
	v_cvt_f32_f16_sdwa v19, v4 dst_sel:DWORD dst_unused:UNUSED_PAD src0_sel:WORD_1
	v_cvt_f32_f16_e32 v18, v4
	v_pk_add_f32 v[14:15], v[16:17], 1.0 op_sel_hi:[1,0]
	v_pk_add_f32 v[16:17], v[20:21], 1.0 op_sel_hi:[1,0]
	v_cvt_f32_f16_sdwa v21, v5 dst_sel:DWORD dst_unused:UNUSED_PAD src0_sel:WORD_1
	v_cvt_f32_f16_e32 v20, v5
	v_pk_add_f32 v[4:5], v[18:19], 1.0 op_sel_hi:[1,0]
	;;#ASMSTART
	v_pk_mul_f32 v[14:15], v[26:27], v[14:15]
	;;#ASMEND
	;;#ASMSTART
	v_pk_mul_f32 v[16:17], v[24:25], v[16:17]
	;;#ASMEND
	;; [unrolled: 3-line block ×3, first 2 shown]
	v_pk_add_f32 v[4:5], v[20:21], 1.0 op_sel_hi:[1,0]
	;;#ASMSTART
	v_pk_mul_f32 v[6:7], v[6:7], v[4:5]
	;;#ASMEND
	v_cvt_f16_f32_e32 v0, v10
	v_cvt_f16_f32_e32 v4, v11
	;; [unrolled: 1-line block ×8, first 2 shown]
	s_add_u32 s20, s36, s0
	s_addc_u32 s0, s37, s1
	s_and_b32 s21, s0, 0xffff
	v_pack_b32_f16 v2, v0, v4
	v_pack_b32_f16 v3, v5, v8
	;; [unrolled: 1-line block ×4, first 2 shown]
	buffer_store_dwordx4 v[2:5], v1, s[20:23], 0 offen
	v_cvt_f16_f32_e32 v0, v14
	v_cvt_f16_f32_e32 v2, v15
	;; [unrolled: 1-line block ×8, first 2 shown]
	v_pack_b32_f16 v2, v0, v2
	v_pack_b32_f16 v3, v3, v4
	;; [unrolled: 1-line block ×4, first 2 shown]
	;;#ASMSTART
	s_nop 0
	;;#ASMEND
	buffer_store_dwordx4 v[2:5], v1, s[20:23], 16 offen
	;;#ASMSTART
	s_nop 0
	;;#ASMEND
	s_endpgm
	.section	.rodata,"a",@progbits
	.p2align	6, 0x0
	.amdhsa_kernel _ZN5aiter35fused_qk_rmsnorm_group_quant_kernelIDF16_N4opus5fp4_tELi256ELi16ELi4ELb1ELb0ELb1ELb0ELb0ELb0EEEvPT0_PvPT_S7_S7_PKS6_S9_S9_S9_S9_ffiiiiiiiiiiiii
		.amdhsa_group_segment_fixed_size 32
		.amdhsa_private_segment_fixed_size 0
		.amdhsa_kernarg_size 400
		.amdhsa_user_sgpr_count 6
		.amdhsa_user_sgpr_private_segment_buffer 1
		.amdhsa_user_sgpr_dispatch_ptr 0
		.amdhsa_user_sgpr_queue_ptr 0
		.amdhsa_user_sgpr_kernarg_segment_ptr 1
		.amdhsa_user_sgpr_dispatch_id 0
		.amdhsa_user_sgpr_flat_scratch_init 0
		.amdhsa_user_sgpr_kernarg_preload_length 0
		.amdhsa_user_sgpr_kernarg_preload_offset 0
		.amdhsa_user_sgpr_private_segment_size 0
		.amdhsa_uses_dynamic_stack 0
		.amdhsa_system_sgpr_private_segment_wavefront_offset 0
		.amdhsa_system_sgpr_workgroup_id_x 1
		.amdhsa_system_sgpr_workgroup_id_y 1
		.amdhsa_system_sgpr_workgroup_id_z 0
		.amdhsa_system_sgpr_workgroup_info 0
		.amdhsa_system_vgpr_workitem_id 0
		.amdhsa_next_free_vgpr 49
		.amdhsa_next_free_sgpr 40
		.amdhsa_accum_offset 52
		.amdhsa_reserve_vcc 1
		.amdhsa_reserve_flat_scratch 0
		.amdhsa_float_round_mode_32 0
		.amdhsa_float_round_mode_16_64 0
		.amdhsa_float_denorm_mode_32 3
		.amdhsa_float_denorm_mode_16_64 3
		.amdhsa_dx10_clamp 1
		.amdhsa_ieee_mode 1
		.amdhsa_fp16_overflow 0
		.amdhsa_tg_split 0
		.amdhsa_exception_fp_ieee_invalid_op 0
		.amdhsa_exception_fp_denorm_src 0
		.amdhsa_exception_fp_ieee_div_zero 0
		.amdhsa_exception_fp_ieee_overflow 0
		.amdhsa_exception_fp_ieee_underflow 0
		.amdhsa_exception_fp_ieee_inexact 0
		.amdhsa_exception_int_div_zero 0
	.end_amdhsa_kernel
	.section	.text._ZN5aiter35fused_qk_rmsnorm_group_quant_kernelIDF16_N4opus5fp4_tELi256ELi16ELi4ELb1ELb0ELb1ELb0ELb0ELb0EEEvPT0_PvPT_S7_S7_PKS6_S9_S9_S9_S9_ffiiiiiiiiiiiii,"axG",@progbits,_ZN5aiter35fused_qk_rmsnorm_group_quant_kernelIDF16_N4opus5fp4_tELi256ELi16ELi4ELb1ELb0ELb1ELb0ELb0ELb0EEEvPT0_PvPT_S7_S7_PKS6_S9_S9_S9_S9_ffiiiiiiiiiiiii,comdat
.Lfunc_end819:
	.size	_ZN5aiter35fused_qk_rmsnorm_group_quant_kernelIDF16_N4opus5fp4_tELi256ELi16ELi4ELb1ELb0ELb1ELb0ELb0ELb0EEEvPT0_PvPT_S7_S7_PKS6_S9_S9_S9_S9_ffiiiiiiiiiiiii, .Lfunc_end819-_ZN5aiter35fused_qk_rmsnorm_group_quant_kernelIDF16_N4opus5fp4_tELi256ELi16ELi4ELb1ELb0ELb1ELb0ELb0ELb0EEEvPT0_PvPT_S7_S7_PKS6_S9_S9_S9_S9_ffiiiiiiiiiiiii
                                        ; -- End function
	.section	.AMDGPU.csdata,"",@progbits
; Kernel info:
; codeLenInByte = 3876
; NumSgprs: 44
; NumVgprs: 49
; NumAgprs: 0
; TotalNumVgprs: 49
; ScratchSize: 0
; MemoryBound: 0
; FloatMode: 240
; IeeeMode: 1
; LDSByteSize: 32 bytes/workgroup (compile time only)
; SGPRBlocks: 5
; VGPRBlocks: 6
; NumSGPRsForWavesPerEU: 44
; NumVGPRsForWavesPerEU: 49
; AccumOffset: 52
; Occupancy: 8
; WaveLimiterHint : 0
; COMPUTE_PGM_RSRC2:SCRATCH_EN: 0
; COMPUTE_PGM_RSRC2:USER_SGPR: 6
; COMPUTE_PGM_RSRC2:TRAP_HANDLER: 0
; COMPUTE_PGM_RSRC2:TGID_X_EN: 1
; COMPUTE_PGM_RSRC2:TGID_Y_EN: 1
; COMPUTE_PGM_RSRC2:TGID_Z_EN: 0
; COMPUTE_PGM_RSRC2:TIDIG_COMP_CNT: 0
; COMPUTE_PGM_RSRC3_GFX90A:ACCUM_OFFSET: 12
; COMPUTE_PGM_RSRC3_GFX90A:TG_SPLIT: 0
	.section	.text._ZN5aiter35fused_qk_rmsnorm_group_quant_kernelItN4opus5fp4_tELi256ELi16ELi4ELb1ELb0ELb1ELb0ELb0ELb0EEEvPT0_PvPT_S7_S7_PKS6_S9_S9_S9_S9_ffiiiiiiiiiiiii,"axG",@progbits,_ZN5aiter35fused_qk_rmsnorm_group_quant_kernelItN4opus5fp4_tELi256ELi16ELi4ELb1ELb0ELb1ELb0ELb0ELb0EEEvPT0_PvPT_S7_S7_PKS6_S9_S9_S9_S9_ffiiiiiiiiiiiii,comdat
	.protected	_ZN5aiter35fused_qk_rmsnorm_group_quant_kernelItN4opus5fp4_tELi256ELi16ELi4ELb1ELb0ELb1ELb0ELb0ELb0EEEvPT0_PvPT_S7_S7_PKS6_S9_S9_S9_S9_ffiiiiiiiiiiiii ; -- Begin function _ZN5aiter35fused_qk_rmsnorm_group_quant_kernelItN4opus5fp4_tELi256ELi16ELi4ELb1ELb0ELb1ELb0ELb0ELb0EEEvPT0_PvPT_S7_S7_PKS6_S9_S9_S9_S9_ffiiiiiiiiiiiii
	.globl	_ZN5aiter35fused_qk_rmsnorm_group_quant_kernelItN4opus5fp4_tELi256ELi16ELi4ELb1ELb0ELb1ELb0ELb0ELb0EEEvPT0_PvPT_S7_S7_PKS6_S9_S9_S9_S9_ffiiiiiiiiiiiii
	.p2align	8
	.type	_ZN5aiter35fused_qk_rmsnorm_group_quant_kernelItN4opus5fp4_tELi256ELi16ELi4ELb1ELb0ELb1ELb0ELb0ELb0EEEvPT0_PvPT_S7_S7_PKS6_S9_S9_S9_S9_ffiiiiiiiiiiiii,@function
_ZN5aiter35fused_qk_rmsnorm_group_quant_kernelItN4opus5fp4_tELi256ELi16ELi4ELb1ELb0ELb1ELb0ELb0ELb0EEEvPT0_PvPT_S7_S7_PKS6_S9_S9_S9_S9_ffiiiiiiiiiiiii: ; @_ZN5aiter35fused_qk_rmsnorm_group_quant_kernelItN4opus5fp4_tELi256ELi16ELi4ELb1ELb0ELb1ELb0ELb0ELb0EEEvPT0_PvPT_S7_S7_PKS6_S9_S9_S9_S9_ffiiiiiiiiiiiii
; %bb.0:
	s_load_dwordx8 s[12:19], s[4:5], 0x50
	s_waitcnt lgkmcnt(0)
	s_cmp_ge_i32 s6, s14
	s_cbranch_scc1 .LBB820_17
; %bb.1:
	s_cmp_lg_u32 s7, 0
	s_cselect_b64 s[22:23], -1, 0
	s_cmp_eq_u32 s7, 0
	s_cselect_b64 s[2:3], -1, 0
	s_and_b64 s[0:1], s[2:3], exec
	s_load_dwordx2 s[20:21], s[4:5], 0x48
	s_load_dwordx2 s[34:35], s[4:5], 0x30
	s_load_dwordx4 s[24:27], s[4:5], 0x70
	s_cselect_b32 s7, s15, s16
	s_add_i32 s0, s7, 1
	s_lshr_b32 s1, s0, 31
	s_add_i32 s0, s0, s1
	s_lshl_b32 s0, s0, 1
	v_lshlrev_b32_e32 v1, 4, v0
	s_and_b32 s30, s0, -4
	v_cmp_gt_i32_e64 s[0:1], s7, v1
	v_mov_b32_e32 v62, 0
	v_mov_b32_e32 v63, 0
	;; [unrolled: 1-line block ×16, first 2 shown]
	s_and_saveexec_b64 s[8:9], s[0:1]
	s_cbranch_execz .LBB820_3
; %bb.2:
	s_load_dwordx2 s[10:11], s[4:5], 0x28
	s_load_dwordx2 s[28:29], s[4:5], 0x40
	s_and_b64 s[36:37], s[2:3], exec
	s_cselect_b32 s14, s17, s18
	s_mov_b32 s31, 0x20000
	s_waitcnt lgkmcnt(0)
	s_cselect_b32 s17, s11, s35
	s_cselect_b32 s27, s10, s34
	s_mul_hi_i32 s11, s14, s6
	s_mul_i32 s10, s14, s6
	s_lshl_b64 s[10:11], s[10:11], 1
	s_add_u32 s36, s27, s10
	s_addc_u32 s14, s17, s11
	s_and_b64 s[10:11], s[2:3], exec
	s_cselect_b32 s28, s28, s20
	s_cselect_b32 s10, s29, s21
	s_and_b32 s37, s14, 0xffff
	s_mov_b32 s38, s30
	s_mov_b32 s39, s31
	v_lshlrev_b32_e32 v2, 5, v0
	s_and_b32 s29, s10, 0xffff
	buffer_load_dwordx4 v[66:69], v2, s[36:39], 0 offen
	buffer_load_dwordx4 v[70:73], v2, s[36:39], 16 offen
	;; [unrolled: 1-line block ×4, first 2 shown]
.LBB820_3:
	s_or_b64 exec, exec, s[8:9]
	s_load_dwordx2 s[10:11], s[4:5], 0x80
	s_and_b64 vcc, exec, s[22:23]
	s_cbranch_vccz .LBB820_7
; %bb.4:
	v_mov_b32_e32 v75, 0
	v_mov_b32_e32 v74, 0
	;; [unrolled: 1-line block ×16, first 2 shown]
	s_and_saveexec_b64 s[8:9], s[0:1]
	s_cbranch_execz .LBB820_6
; %bb.5:
	s_waitcnt vmcnt(3)
	v_cvt_f32_u32_sdwa v2, v66 dst_sel:DWORD dst_unused:UNUSED_PAD src0_sel:WORD_0
	v_cvt_f32_u32_sdwa v3, v66 dst_sel:DWORD dst_unused:UNUSED_PAD src0_sel:WORD_1
	v_cvt_f32_u32_sdwa v6, v67 dst_sel:DWORD dst_unused:UNUSED_PAD src0_sel:WORD_0
	v_cvt_f32_u32_sdwa v7, v67 dst_sel:DWORD dst_unused:UNUSED_PAD src0_sel:WORD_1
	;; [unrolled: 2-line block ×4, first 2 shown]
	s_waitcnt vmcnt(2)
	v_cvt_f32_u32_sdwa v50, v70 dst_sel:DWORD dst_unused:UNUSED_PAD src0_sel:WORD_0
	v_cvt_f32_u32_sdwa v51, v70 dst_sel:DWORD dst_unused:UNUSED_PAD src0_sel:WORD_1
	v_cvt_f32_u32_sdwa v24, v71 dst_sel:DWORD dst_unused:UNUSED_PAD src0_sel:WORD_0
	v_cvt_f32_u32_sdwa v25, v71 dst_sel:DWORD dst_unused:UNUSED_PAD src0_sel:WORD_1
	;; [unrolled: 2-line block ×4, first 2 shown]
.LBB820_6:
	s_or_b64 exec, exec, s[8:9]
	s_cbranch_execz .LBB820_8
	s_branch .LBB820_11
.LBB820_7:
                                        ; implicit-def: $vgpr2_vgpr3_vgpr4_vgpr5_vgpr6_vgpr7_vgpr8_vgpr9_vgpr10_vgpr11_vgpr12_vgpr13_vgpr14_vgpr15_vgpr16_vgpr17
                                        ; implicit-def: $vgpr36_vgpr37_vgpr38_vgpr39_vgpr40_vgpr41_vgpr42_vgpr43_vgpr44_vgpr45_vgpr46_vgpr47_vgpr48_vgpr49_vgpr50_vgpr51
                                        ; implicit-def: $vgpr4_vgpr5_vgpr6_vgpr7_vgpr8_vgpr9_vgpr10_vgpr11_vgpr12_vgpr13_vgpr14_vgpr15_vgpr16_vgpr17_vgpr18_vgpr19
                                        ; implicit-def: $vgpr24_vgpr25_vgpr26_vgpr27_vgpr28_vgpr29_vgpr30_vgpr31_vgpr32_vgpr33_vgpr34_vgpr35_vgpr36_vgpr37_vgpr38_vgpr39
                                        ; implicit-def: $vgpr75
                                        ; implicit-def: $vgpr42_vgpr43_vgpr44_vgpr45_vgpr46_vgpr47_vgpr48_vgpr49_vgpr50_vgpr51_vgpr52_vgpr53_vgpr54_vgpr55_vgpr56_vgpr57
                                        ; implicit-def: $vgpr14_vgpr15_vgpr16_vgpr17_vgpr18_vgpr19_vgpr20_vgpr21_vgpr22_vgpr23_vgpr24_vgpr25_vgpr26_vgpr27_vgpr28_vgpr29
                                        ; implicit-def: $vgpr8_vgpr9_vgpr10_vgpr11_vgpr12_vgpr13_vgpr14_vgpr15_vgpr16_vgpr17_vgpr18_vgpr19_vgpr20_vgpr21_vgpr22_vgpr23
.LBB820_8:
	v_mov_b32_e32 v75, 0
	v_mov_b32_e32 v74, 0
	;; [unrolled: 1-line block ×16, first 2 shown]
	s_and_saveexec_b64 s[8:9], s[0:1]
	s_cbranch_execz .LBB820_10
; %bb.9:
	s_load_dwordx2 s[28:29], s[4:5], 0x38
	s_mul_hi_i32 s37, s19, s6
	s_mul_i32 s36, s19, s6
	s_lshl_b64 s[36:37], s[36:37], 1
	s_mov_b32 s31, 0x20000
	s_waitcnt lgkmcnt(0)
	s_add_u32 s28, s28, s36
	s_addc_u32 s14, s29, s37
	s_and_b32 s29, s14, 0xffff
	v_lshlrev_b32_e32 v38, 5, v0
	buffer_load_dwordx4 v[6:9], v38, s[28:31], 16 offen
	buffer_load_dwordx4 v[10:13], v38, s[28:31], 0 offen
	s_load_dwordx2 s[28:29], s[4:5], 0x20
	s_waitcnt vmcnt(5)
	v_cvt_f32_u32_sdwa v3, v66 dst_sel:DWORD dst_unused:UNUSED_PAD src0_sel:WORD_1
	v_cvt_f32_u32_sdwa v2, v66 dst_sel:DWORD dst_unused:UNUSED_PAD src0_sel:WORD_0
	v_cvt_f32_u32_sdwa v21, v67 dst_sel:DWORD dst_unused:UNUSED_PAD src0_sel:WORD_1
	v_cvt_f32_u32_sdwa v20, v67 dst_sel:DWORD dst_unused:UNUSED_PAD src0_sel:WORD_0
	;; [unrolled: 2-line block ×4, first 2 shown]
	s_waitcnt vmcnt(4)
	v_cvt_f32_u32_sdwa v5, v70 dst_sel:DWORD dst_unused:UNUSED_PAD src0_sel:WORD_1
	v_cvt_f32_u32_sdwa v4, v70 dst_sel:DWORD dst_unused:UNUSED_PAD src0_sel:WORD_0
	v_cvt_f32_u32_sdwa v15, v71 dst_sel:DWORD dst_unused:UNUSED_PAD src0_sel:WORD_1
	v_cvt_f32_u32_sdwa v14, v71 dst_sel:DWORD dst_unused:UNUSED_PAD src0_sel:WORD_0
	v_cvt_f32_u32_sdwa v17, v72 dst_sel:DWORD dst_unused:UNUSED_PAD src0_sel:WORD_1
	v_cvt_f32_u32_sdwa v16, v72 dst_sel:DWORD dst_unused:UNUSED_PAD src0_sel:WORD_0
	v_cvt_f32_u32_sdwa v18, v73 dst_sel:DWORD dst_unused:UNUSED_PAD src0_sel:WORD_0
	v_cvt_f32_u32_sdwa v19, v73 dst_sel:DWORD dst_unused:UNUSED_PAD src0_sel:WORD_1
	s_mul_hi_i32 s37, s11, s6
	s_mul_i32 s36, s11, s6
	s_lshl_b64 s[36:37], s[36:37], 1
	s_waitcnt lgkmcnt(0)
	s_add_u32 s28, s28, s36
	s_mov_b32 s11, 0x7060302
	s_addc_u32 s14, s29, s37
	s_and_b32 s29, s14, 0xffff
	s_waitcnt vmcnt(1)
	v_cvt_f32_u32_sdwa v27, v6 dst_sel:DWORD dst_unused:UNUSED_PAD src0_sel:WORD_1
	v_cvt_f32_u32_sdwa v26, v6 dst_sel:DWORD dst_unused:UNUSED_PAD src0_sel:WORD_0
	v_cvt_f32_u32_sdwa v29, v7 dst_sel:DWORD dst_unused:UNUSED_PAD src0_sel:WORD_1
	v_cvt_f32_u32_sdwa v28, v7 dst_sel:DWORD dst_unused:UNUSED_PAD src0_sel:WORD_0
	;; [unrolled: 2-line block ×3, first 2 shown]
	v_cvt_f32_u32_sdwa v34, v9 dst_sel:DWORD dst_unused:UNUSED_PAD src0_sel:WORD_0
	v_cvt_f32_u32_sdwa v35, v9 dst_sel:DWORD dst_unused:UNUSED_PAD src0_sel:WORD_1
	s_waitcnt vmcnt(0)
	v_cvt_f32_u32_sdwa v37, v10 dst_sel:DWORD dst_unused:UNUSED_PAD src0_sel:WORD_1
	v_cvt_f32_u32_sdwa v36, v10 dst_sel:DWORD dst_unused:UNUSED_PAD src0_sel:WORD_0
	v_cvt_f32_u32_sdwa v7, v12 dst_sel:DWORD dst_unused:UNUSED_PAD src0_sel:WORD_1
	v_cvt_f32_u32_sdwa v6, v12 dst_sel:DWORD dst_unused:UNUSED_PAD src0_sel:WORD_0
	;; [unrolled: 2-line block ×4, first 2 shown]
	v_pk_add_f32 v[40:41], v[22:23], v[6:7]
	v_pk_add_f32 v[30:31], v[24:25], v[8:9]
	;; [unrolled: 1-line block ×4, first 2 shown]
	v_perm_b32 v11, v31, v30, s11
	v_perm_b32 v10, v41, v40, s11
	;; [unrolled: 1-line block ×4, first 2 shown]
	v_pk_add_f32 v[74:75], v[18:19], v[34:35]
	v_pk_add_f32 v[20:21], v[16:17], v[32:33]
	;; [unrolled: 1-line block ×4, first 2 shown]
	buffer_store_dwordx4 v[8:11], v38, s[28:31], 0 offen
	;;#ASMSTART
	s_nop 0
	;;#ASMEND
	s_nop 0
	v_perm_b32 v11, v75, v74, s11
	v_perm_b32 v10, v21, v20, s11
	;; [unrolled: 1-line block ×4, first 2 shown]
	buffer_store_dwordx4 v[8:11], v38, s[28:31], 16 offen
	;;#ASMSTART
	s_nop 0
	;;#ASMEND
.LBB820_10:
	s_or_b64 exec, exec, s[8:9]
.LBB820_11:
	v_mul_f32_e32 v4, v3, v3
	v_fmac_f32_e32 v4, v2, v2
	v_fmac_f32_e32 v4, v6, v6
	;; [unrolled: 1-line block ×15, first 2 shown]
	s_nop 1
	v_mov_b32_dpp v5, v4 quad_perm:[1,0,3,2] row_mask:0xf bank_mask:0xf
	v_add_f32_e32 v4, v4, v5
	s_nop 1
	v_mov_b32_dpp v5, v4 quad_perm:[2,3,0,1] row_mask:0xf bank_mask:0xf
	v_add_f32_e32 v4, v4, v5
	s_nop 1
	v_mov_b32_dpp v5, v4 row_half_mirror row_mask:0xf bank_mask:0xf
	v_add_f32_e32 v4, v4, v5
	s_nop 1
	v_mov_b32_dpp v5, v4 row_mirror row_mask:0xf bank_mask:0xf
	v_add_f32_e32 v4, v4, v5
	s_nop 1
	v_mov_b32_dpp v5, v4 row_bcast:15 row_mask:0xf bank_mask:0xf
	v_add_f32_e32 v4, v4, v5
	v_and_b32_e32 v5, 63, v0
	v_cmp_eq_u32_e64 s[8:9], 63, v5
	s_nop 0
	v_mov_b32_dpp v5, v4 row_bcast:31 row_mask:0xf bank_mask:0xf
	s_and_saveexec_b64 s[28:29], s[8:9]
	s_cbranch_execz .LBB820_13
; %bb.12:
	v_add_f32_e32 v4, v4, v5
	v_lshrrev_b32_e32 v5, 4, v0
	v_and_b32_e32 v5, 60, v5
	ds_write_b32 v5, v4 offset:16
.LBB820_13:
	s_or_b64 exec, exec, s[28:29]
	v_and_b32_e32 v4, 3, v0
	v_lshlrev_b32_e32 v34, 2, v4
	s_waitcnt lgkmcnt(0)
	s_barrier
	ds_read_b32 v5, v34 offset:16
	s_load_dwordx2 s[36:37], s[4:5], 0x18
	s_waitcnt lgkmcnt(0)
	v_mov_b32_dpp v8, v5 quad_perm:[1,0,3,2] row_mask:0xf bank_mask:0xf
	v_add_f32_e32 v5, v5, v8
	s_nop 1
	v_mov_b32_dpp v8, v5 quad_perm:[2,3,0,1] row_mask:0xf bank_mask:0xf
	s_and_saveexec_b64 s[28:29], s[0:1]
	s_cbranch_execnz .LBB820_18
; %bb.14:
	s_or_b64 exec, exec, s[28:29]
	s_mov_b64 s[2:3], -1
	s_and_b64 vcc, exec, s[22:23]
	s_cbranch_vccnz .LBB820_19
.LBB820_15:
	s_andn2_b64 vcc, exec, s[2:3]
	s_cbranch_vccz .LBB820_22
.LBB820_16:
	s_cmp_lt_i32 s16, 1
	s_cbranch_scc0 .LBB820_29
.LBB820_17:
	s_endpgm
.LBB820_18:
	v_add_f32_e32 v5, v5, v8
	v_cvt_f32_u32_e32 v8, s7
	s_waitcnt vmcnt(1)
	v_cvt_f32_u32_sdwa v17, v62 dst_sel:DWORD dst_unused:UNUSED_PAD src0_sel:WORD_1
	v_cvt_f32_u32_sdwa v16, v62 dst_sel:DWORD dst_unused:UNUSED_PAD src0_sel:WORD_0
	v_cvt_f32_u32_sdwa v23, v64 dst_sel:DWORD dst_unused:UNUSED_PAD src0_sel:WORD_1
	v_div_scale_f32 v9, s[38:39], v8, v8, v5
	v_rcp_f32_e32 v10, v9
	v_pk_add_f32 v[16:17], v[16:17], 1.0 op_sel_hi:[1,0]
	v_cvt_f32_u32_sdwa v22, v64 dst_sel:DWORD dst_unused:UNUSED_PAD src0_sel:WORD_0
	s_waitcnt vmcnt(0)
	v_cvt_f32_u32_sdwa v27, v59 dst_sel:DWORD dst_unused:UNUSED_PAD src0_sel:WORD_1
	v_fma_f32 v11, -v9, v10, 1.0
	v_fmac_f32_e32 v10, v11, v10
	v_div_scale_f32 v11, vcc, v5, v8, v5
	v_mul_f32_e32 v12, v11, v10
	v_fma_f32 v13, -v9, v12, v11
	v_fmac_f32_e32 v12, v13, v10
	v_fma_f32 v9, -v9, v12, v11
	v_div_fmas_f32 v9, v9, v10, v12
	v_div_fixup_f32 v5, v9, v8, v5
	v_mov_b32_e32 v8, s13
	v_mov_b32_e32 v9, s12
	v_cndmask_b32_e64 v8, v8, v9, s[2:3]
	v_add_f32_e32 v5, v8, v5
	s_mov_b32 s2, 0x800000
	v_mul_f32_e32 v8, 0x4b800000, v5
	v_cmp_gt_f32_e32 vcc, s2, v5
	v_cndmask_b32_e32 v5, v5, v8, vcc
	v_rsq_f32_e32 v5, v5
	v_cvt_f32_u32_sdwa v26, v59 dst_sel:DWORD dst_unused:UNUSED_PAD src0_sel:WORD_0
	v_cvt_f32_u32_sdwa v29, v60 dst_sel:DWORD dst_unused:UNUSED_PAD src0_sel:WORD_1
	v_cvt_f32_u32_sdwa v28, v60 dst_sel:DWORD dst_unused:UNUSED_PAD src0_sel:WORD_0
	v_mul_f32_e32 v8, 0x45800000, v5
	v_cndmask_b32_e32 v8, v5, v8, vcc
	v_mov_b32_e32 v9, v8
	;;#ASMSTART
	v_pk_mul_f32 v[2:3], v[2:3], v[8:9]
	;;#ASMEND
	;;#ASMSTART
	v_pk_mul_f32 v[6:7], v[6:7], v[8:9]
	;;#ASMEND
	;; [unrolled: 3-line block ×9, first 2 shown]
	v_cvt_f32_u32_sdwa v17, v63 dst_sel:DWORD dst_unused:UNUSED_PAD src0_sel:WORD_1
	v_cvt_f32_u32_sdwa v16, v63 dst_sel:DWORD dst_unused:UNUSED_PAD src0_sel:WORD_0
	v_cvt_f32_u32_sdwa v25, v65 dst_sel:DWORD dst_unused:UNUSED_PAD src0_sel:WORD_1
	v_cvt_f32_u32_sdwa v24, v65 dst_sel:DWORD dst_unused:UNUSED_PAD src0_sel:WORD_0
	v_cvt_f32_u32_sdwa v31, v61 dst_sel:DWORD dst_unused:UNUSED_PAD src0_sel:WORD_1
	v_pk_add_f32 v[16:17], v[16:17], 1.0 op_sel_hi:[1,0]
	;;#ASMSTART
	v_pk_mul_f32 v[6:7], v[6:7], v[16:17]
	;;#ASMEND
	v_pk_add_f32 v[16:17], v[22:23], 1.0 op_sel_hi:[1,0]
	v_pk_add_f32 v[22:23], v[24:25], 1.0 op_sel_hi:[1,0]
	v_cvt_f32_u32_sdwa v25, v58 dst_sel:DWORD dst_unused:UNUSED_PAD src0_sel:WORD_1
	v_cvt_f32_u32_sdwa v24, v58 dst_sel:DWORD dst_unused:UNUSED_PAD src0_sel:WORD_0
	v_cvt_f32_u32_sdwa v30, v61 dst_sel:DWORD dst_unused:UNUSED_PAD src0_sel:WORD_0
	v_pk_add_f32 v[26:27], v[26:27], 1.0 op_sel_hi:[1,0]
	v_pk_add_f32 v[28:29], v[28:29], 1.0 op_sel_hi:[1,0]
	;; [unrolled: 1-line block ×4, first 2 shown]
	;;#ASMSTART
	v_pk_mul_f32 v[40:41], v[10:11], v[16:17]
	;;#ASMEND
	;;#ASMSTART
	v_pk_mul_f32 v[30:31], v[12:13], v[22:23]
	;;#ASMEND
	;; [unrolled: 3-line block ×6, first 2 shown]
	s_or_b64 exec, exec, s[28:29]
	s_mov_b64 s[2:3], -1
	s_and_b64 vcc, exec, s[22:23]
	s_cbranch_vccz .LBB820_15
.LBB820_19:
	s_and_saveexec_b64 s[2:3], s[0:1]
	s_cbranch_execz .LBB820_21
; %bb.20:
	s_mul_hi_i32 s23, s10, s6
	s_mul_i32 s22, s10, s6
	s_lshl_b64 s[22:23], s[22:23], 1
	s_add_u32 s28, s36, s22
	s_addc_u32 s7, s37, s23
	s_and_b32 s29, s7, 0xffff
	s_mov_b32 s7, 0x7060302
	s_mov_b32 s31, 0x20000
	v_perm_b32 v11, v31, v30, s7
	v_perm_b32 v10, v41, v40, s7
	;; [unrolled: 1-line block ×4, first 2 shown]
	v_lshlrev_b32_e32 v5, 5, v0
	buffer_store_dwordx4 v[8:11], v5, s[28:31], 0 offen
	;;#ASMSTART
	s_nop 0
	;;#ASMEND
	s_nop 0
	v_perm_b32 v11, v75, v74, s7
	v_perm_b32 v10, v21, v20, s7
	;; [unrolled: 1-line block ×4, first 2 shown]
	buffer_store_dwordx4 v[8:11], v5, s[28:31], 16 offen
	;;#ASMSTART
	s_nop 0
	;;#ASMEND
.LBB820_21:
	s_or_b64 exec, exec, s[2:3]
	s_cbranch_execnz .LBB820_16
.LBB820_22:
	v_mov_b32_e32 v5, 0
	s_and_saveexec_b64 s[2:3], s[0:1]
	s_cbranch_execz .LBB820_24
; %bb.23:
	v_and_b32_e32 v2, 0x7fffffff, v2
	v_and_b32_e32 v3, 0x7fffffff, v3
	v_mov_b32_e32 v11, 0x2edbe6ff
	;;#ASMSTART
	v_max3_f32 v2, v11, v2, v3

	;;#ASMEND
	v_and_b32_e32 v5, 0x7fffffff, v6
	v_and_b32_e32 v6, 0x7fffffff, v7
	;;#ASMSTART
	v_max3_f32 v2, v2, v5, v6

	;;#ASMEND
	v_and_b32_e32 v7, 0x7fffffff, v40
	v_and_b32_e32 v8, 0x7fffffff, v41
	;; [unrolled: 6-line block ×7, first 2 shown]
	;;#ASMSTART
	v_max3_f32 v5, v2, v3, v5

	;;#ASMEND
.LBB820_24:
	s_or_b64 exec, exec, s[2:3]
	v_cmp_eq_u32_e32 vcc, 0, v4
	v_cmp_gt_i32_e64 s[2:3], s15, v1
	s_and_b64 s[22:23], vcc, s[2:3]
	;;#ASMSTART
	v_max_f32 v3, v5, v5 quad_perm:[1,0,3,2] row_mask:0xf bank_mask:0xf bound_ctrl:1
	;;#ASMEND
	;;#ASMSTART
	v_max_f32 v2, v3, v3 quad_perm:[2,3,0,1] row_mask:0xf bank_mask:0xf bound_ctrl:1
	;;#ASMEND
	s_and_saveexec_b64 s[2:3], s[22:23]
	s_cbranch_execz .LBB820_26
; %bb.25:
	s_load_dwordx2 s[22:23], s[4:5], 0x8
	v_mul_f32_e32 v2, 0x3e2aaaab, v2
	v_lshrrev_b32_e32 v3, 23, v2
	v_and_b32_e32 v4, 0x7f800000, v2
	v_and_b32_e32 v2, 0x7fffff, v2
	v_cmp_ne_u32_e32 vcc, 0, v2
	s_mul_i32 s12, s25, s6
	s_mov_b32 s7, 0x7f800000
	v_addc_co_u32_e32 v2, vcc, 0, v3, vcc
	s_mul_hi_i32 s11, s25, s6
	s_waitcnt lgkmcnt(0)
	s_add_u32 s22, s22, s12
	v_cmp_ne_u32_e32 vcc, s7, v4
	s_addc_u32 s23, s23, s11
	v_lshrrev_b32_e32 v5, 2, v0
	v_cndmask_b32_e32 v4, -1, v2, vcc
	v_pk_mov_b32 v[2:3], s[22:23], s[22:23] op_sel:[0,1]
	v_mad_i64_i32 v[2:3], s[22:23], s26, v5, v[2:3]
	global_store_byte v[2:3], v4, off
.LBB820_26:
	s_or_b64 exec, exec, s[2:3]
	s_and_saveexec_b64 s[2:3], s[0:1]
	s_cbranch_execz .LBB820_28
; %bb.27:
	s_load_dwordx2 s[0:1], s[4:5], 0x0
	s_mul_i32 s11, s24, s6
	s_mul_hi_i32 s7, s24, s6
	v_mov_b32_e32 v2, 0
	v_lshlrev_b32_e32 v4, 3, v0
	s_waitcnt lgkmcnt(0)
	s_add_u32 s24, s0, s11
	s_addc_u32 s0, s1, s7
	s_lshr_b32 s1, s15, 31
	s_add_i32 s1, s15, s1
	s_ashr_i32 s1, s1, 1
	s_add_i32 s1, s1, 3
	s_ashr_i32 s7, s1, 31
	s_lshr_b32 s7, s7, 30
	s_add_i32 s1, s1, s7
	s_and_b32 s26, s1, -4
	s_and_b32 s25, s0, 0xffff
	s_mov_b32 s27, 0x20000
	v_mov_b32_e32 v3, v2
	buffer_store_dwordx2 v[2:3], v4, s[24:27], 0 offen
	;;#ASMSTART
	s_nop 0
	;;#ASMEND
.LBB820_28:
	s_or_b64 exec, exec, s[2:3]
	s_cmp_lt_i32 s16, 1
	s_cbranch_scc1 .LBB820_17
.LBB820_29:
	s_load_dword s0, s[4:5], 0x94
	s_waitcnt lgkmcnt(0)
	s_cmp_lg_u32 s0, 1
	s_cbranch_scc1 .LBB820_17
; %bb.30:
	s_lshl_b32 s0, s16, 1
	s_add_i32 s0, s0, 2
	v_cmp_gt_u32_e32 vcc, s16, v1
	s_and_b32 s22, s0, -4
	v_mov_b32_e32 v18, 0
	v_lshlrev_b32_e32 v1, 5, v0
	v_mov_b32_e32 v14, 0
	v_mov_b32_e32 v15, 0
	;; [unrolled: 1-line block ×16, first 2 shown]
	s_barrier
	s_and_saveexec_b64 s[0:1], vcc
	s_cbranch_execz .LBB820_32
; %bb.31:
	s_mul_hi_i32 s3, s18, s6
	s_mul_i32 s2, s18, s6
	s_and_b32 s21, s21, 0xffff
	s_lshl_b64 s[2:3], s[2:3], 1
	s_add_u32 s24, s34, s2
	s_mov_b32 s23, 0x20000
	s_addc_u32 s2, s35, s3
	s_and_b32 s25, s2, 0xffff
	s_mov_b32 s26, s22
	s_mov_b32 s27, s23
	buffer_load_dwordx4 v[14:17], v1, s[24:27], 0 offen
	buffer_load_dwordx4 v[10:13], v1, s[24:27], 16 offen
	;; [unrolled: 1-line block ×4, first 2 shown]
.LBB820_32:
	s_or_b64 exec, exec, s[0:1]
	v_mov_b32_e32 v19, 0
	v_mov_b32_e32 v32, 0
	;; [unrolled: 1-line block ×15, first 2 shown]
	s_and_saveexec_b64 s[0:1], vcc
	s_cbranch_execz .LBB820_34
; %bb.33:
	s_waitcnt vmcnt(3)
	v_cvt_f32_u32_sdwa v18, v14 dst_sel:DWORD dst_unused:UNUSED_PAD src0_sel:WORD_0
	v_cvt_f32_u32_sdwa v19, v14 dst_sel:DWORD dst_unused:UNUSED_PAD src0_sel:WORD_1
	v_cvt_f32_u32_sdwa v32, v15 dst_sel:DWORD dst_unused:UNUSED_PAD src0_sel:WORD_0
	v_cvt_f32_u32_sdwa v33, v15 dst_sel:DWORD dst_unused:UNUSED_PAD src0_sel:WORD_1
	v_cvt_f32_u32_sdwa v30, v16 dst_sel:DWORD dst_unused:UNUSED_PAD src0_sel:WORD_0
	v_cvt_f32_u32_sdwa v31, v16 dst_sel:DWORD dst_unused:UNUSED_PAD src0_sel:WORD_1
	v_cvt_f32_u32_sdwa v28, v17 dst_sel:DWORD dst_unused:UNUSED_PAD src0_sel:WORD_0
	v_cvt_f32_u32_sdwa v29, v17 dst_sel:DWORD dst_unused:UNUSED_PAD src0_sel:WORD_1
	s_waitcnt vmcnt(2)
	v_cvt_f32_u32_sdwa v26, v10 dst_sel:DWORD dst_unused:UNUSED_PAD src0_sel:WORD_0
	v_cvt_f32_u32_sdwa v27, v10 dst_sel:DWORD dst_unused:UNUSED_PAD src0_sel:WORD_1
	v_cvt_f32_u32_sdwa v24, v11 dst_sel:DWORD dst_unused:UNUSED_PAD src0_sel:WORD_0
	v_cvt_f32_u32_sdwa v25, v11 dst_sel:DWORD dst_unused:UNUSED_PAD src0_sel:WORD_1
	;; [unrolled: 2-line block ×4, first 2 shown]
.LBB820_34:
	s_or_b64 exec, exec, s[0:1]
	s_waitcnt vmcnt(2)
	v_mul_f32_e32 v10, v19, v19
	v_fmac_f32_e32 v10, v18, v18
	v_fmac_f32_e32 v10, v32, v32
	;; [unrolled: 1-line block ×15, first 2 shown]
	s_nop 1
	v_mov_b32_dpp v11, v10 quad_perm:[1,0,3,2] row_mask:0xf bank_mask:0xf
	v_add_f32_e32 v10, v10, v11
	s_nop 1
	v_mov_b32_dpp v11, v10 quad_perm:[2,3,0,1] row_mask:0xf bank_mask:0xf
	v_add_f32_e32 v10, v10, v11
	s_nop 1
	v_mov_b32_dpp v11, v10 row_half_mirror row_mask:0xf bank_mask:0xf
	v_add_f32_e32 v10, v10, v11
	s_nop 1
	v_mov_b32_dpp v11, v10 row_mirror row_mask:0xf bank_mask:0xf
	v_add_f32_e32 v10, v10, v11
	s_nop 1
	v_mov_b32_dpp v11, v10 row_bcast:15 row_mask:0xf bank_mask:0xf
	v_add_f32_e32 v10, v10, v11
	s_nop 1
	v_mov_b32_dpp v11, v10 row_bcast:31 row_mask:0xf bank_mask:0xf
	s_and_saveexec_b64 s[0:1], s[8:9]
	s_cbranch_execz .LBB820_36
; %bb.35:
	v_lshrrev_b32_e32 v0, 4, v0
	v_add_f32_e32 v10, v10, v11
	v_and_b32_e32 v0, 60, v0
	ds_write_b32 v0, v10
.LBB820_36:
	s_or_b64 exec, exec, s[0:1]
	s_waitcnt lgkmcnt(0)
	s_barrier
	ds_read_b32 v0, v34
	s_waitcnt lgkmcnt(0)
	s_nop 0
	v_mov_b32_dpp v10, v0 quad_perm:[1,0,3,2] row_mask:0xf bank_mask:0xf
	v_add_f32_e32 v0, v0, v10
	s_nop 1
	v_mov_b32_dpp v10, v0 quad_perm:[2,3,0,1] row_mask:0xf bank_mask:0xf
	s_and_saveexec_b64 s[0:1], vcc
	s_cbranch_execz .LBB820_17
; %bb.37:
	v_cvt_f32_u32_e32 v11, s16
	v_add_f32_e32 v0, v0, v10
	s_mov_b32 s23, 0x20000
	v_div_scale_f32 v10, s[0:1], v11, v11, v0
	v_rcp_f32_e32 v12, v10
	v_div_scale_f32 v13, vcc, v0, v11, v0
	s_mov_b32 s0, 0x800000
	v_fma_f32 v14, -v10, v12, 1.0
	v_fmac_f32_e32 v12, v14, v12
	v_mul_f32_e32 v14, v13, v12
	v_fma_f32 v15, -v10, v14, v13
	v_fmac_f32_e32 v14, v15, v12
	v_fma_f32 v10, -v10, v14, v13
	v_div_fmas_f32 v10, v10, v12, v14
	v_div_fixup_f32 v0, v10, v11, v0
	v_add_f32_e32 v0, s13, v0
	v_mul_f32_e32 v10, 0x4b800000, v0
	v_cmp_gt_f32_e32 vcc, s0, v0
	v_cndmask_b32_e32 v0, v0, v10, vcc
	v_rsq_f32_e32 v0, v0
	s_mul_hi_i32 s1, s10, s6
	s_mul_i32 s0, s10, s6
	s_lshl_b64 s[0:1], s[0:1], 1
	v_mul_f32_e32 v10, 0x45800000, v0
	v_cndmask_b32_e32 v10, v0, v10, vcc
	v_mov_b32_e32 v11, v10
	;;#ASMSTART
	v_pk_mul_f32 v[12:13], v[18:19], v[10:11]
	;;#ASMEND
	;;#ASMSTART
	v_pk_mul_f32 v[14:15], v[32:33], v[10:11]
	;;#ASMEND
	;; [unrolled: 3-line block ×4, first 2 shown]
	s_waitcnt vmcnt(1)
	v_cvt_f32_u32_sdwa v29, v6 dst_sel:DWORD dst_unused:UNUSED_PAD src0_sel:WORD_1
	v_cvt_f32_u32_sdwa v28, v6 dst_sel:DWORD dst_unused:UNUSED_PAD src0_sel:WORD_0
	v_cvt_f32_u32_sdwa v31, v7 dst_sel:DWORD dst_unused:UNUSED_PAD src0_sel:WORD_1
	v_cvt_f32_u32_sdwa v30, v7 dst_sel:DWORD dst_unused:UNUSED_PAD src0_sel:WORD_0
	;;#ASMSTART
	v_pk_mul_f32 v[26:27], v[26:27], v[10:11]
	;;#ASMEND
	;;#ASMSTART
	v_pk_mul_f32 v[24:25], v[24:25], v[10:11]
	;;#ASMEND
	;;#ASMSTART
	v_pk_mul_f32 v[22:23], v[22:23], v[10:11]
	;;#ASMEND
	;;#ASMSTART
	v_pk_mul_f32 v[6:7], v[20:21], v[10:11]
	;;#ASMEND
	v_cvt_f32_u32_sdwa v21, v8 dst_sel:DWORD dst_unused:UNUSED_PAD src0_sel:WORD_1
	v_cvt_f32_u32_sdwa v20, v8 dst_sel:DWORD dst_unused:UNUSED_PAD src0_sel:WORD_0
	v_pk_add_f32 v[10:11], v[28:29], 1.0 op_sel_hi:[1,0]
	;;#ASMSTART
	v_pk_mul_f32 v[10:11], v[12:13], v[10:11]
	;;#ASMEND
	v_pk_add_f32 v[12:13], v[30:31], 1.0 op_sel_hi:[1,0]
	v_cvt_f32_u32_sdwa v29, v9 dst_sel:DWORD dst_unused:UNUSED_PAD src0_sel:WORD_1
	v_cvt_f32_u32_sdwa v28, v9 dst_sel:DWORD dst_unused:UNUSED_PAD src0_sel:WORD_0
	;;#ASMSTART
	v_pk_mul_f32 v[8:9], v[14:15], v[12:13]
	;;#ASMEND
	v_pk_add_f32 v[12:13], v[20:21], 1.0 op_sel_hi:[1,0]
	;;#ASMSTART
	v_pk_mul_f32 v[12:13], v[16:17], v[12:13]
	;;#ASMEND
	s_waitcnt vmcnt(0)
	v_cvt_f32_u32_sdwa v17, v2 dst_sel:DWORD dst_unused:UNUSED_PAD src0_sel:WORD_1
	v_cvt_f32_u32_sdwa v16, v2 dst_sel:DWORD dst_unused:UNUSED_PAD src0_sel:WORD_0
	v_cvt_f32_u32_sdwa v21, v3 dst_sel:DWORD dst_unused:UNUSED_PAD src0_sel:WORD_1
	v_cvt_f32_u32_sdwa v20, v3 dst_sel:DWORD dst_unused:UNUSED_PAD src0_sel:WORD_0
	v_pk_add_f32 v[14:15], v[28:29], 1.0 op_sel_hi:[1,0]
	;;#ASMSTART
	v_pk_mul_f32 v[14:15], v[18:19], v[14:15]
	;;#ASMEND
	v_pk_add_f32 v[2:3], v[16:17], 1.0 op_sel_hi:[1,0]
	v_cvt_f32_u32_sdwa v19, v4 dst_sel:DWORD dst_unused:UNUSED_PAD src0_sel:WORD_1
	v_cvt_f32_u32_sdwa v18, v4 dst_sel:DWORD dst_unused:UNUSED_PAD src0_sel:WORD_0
	;;#ASMSTART
	v_pk_mul_f32 v[16:17], v[26:27], v[2:3]
	;;#ASMEND
	v_pk_add_f32 v[2:3], v[20:21], 1.0 op_sel_hi:[1,0]
	v_cvt_f32_u32_sdwa v21, v5 dst_sel:DWORD dst_unused:UNUSED_PAD src0_sel:WORD_1
	v_cvt_f32_u32_sdwa v20, v5 dst_sel:DWORD dst_unused:UNUSED_PAD src0_sel:WORD_0
	s_add_u32 s20, s36, s0
	;;#ASMSTART
	v_pk_mul_f32 v[24:25], v[24:25], v[2:3]
	;;#ASMEND
	v_pk_add_f32 v[2:3], v[18:19], 1.0 op_sel_hi:[1,0]
	s_addc_u32 s0, s37, s1
	;;#ASMSTART
	v_pk_mul_f32 v[18:19], v[22:23], v[2:3]
	;;#ASMEND
	v_pk_add_f32 v[2:3], v[20:21], 1.0 op_sel_hi:[1,0]
	s_and_b32 s21, s0, 0xffff
	s_mov_b32 s0, 0x7060302
	;;#ASMSTART
	v_pk_mul_f32 v[6:7], v[6:7], v[2:3]
	;;#ASMEND
	v_perm_b32 v2, v11, v10, s0
	v_perm_b32 v3, v9, v8, s0
	v_perm_b32 v4, v13, v12, s0
	v_perm_b32 v5, v15, v14, s0
	buffer_store_dwordx4 v[2:5], v1, s[20:23], 0 offen
	;;#ASMSTART
	s_nop 0
	;;#ASMEND
	s_nop 0
	v_perm_b32 v2, v17, v16, s0
	v_perm_b32 v3, v25, v24, s0
	;; [unrolled: 1-line block ×4, first 2 shown]
	buffer_store_dwordx4 v[2:5], v1, s[20:23], 16 offen
	;;#ASMSTART
	s_nop 0
	;;#ASMEND
	s_endpgm
	.section	.rodata,"a",@progbits
	.p2align	6, 0x0
	.amdhsa_kernel _ZN5aiter35fused_qk_rmsnorm_group_quant_kernelItN4opus5fp4_tELi256ELi16ELi4ELb1ELb0ELb1ELb0ELb0ELb0EEEvPT0_PvPT_S7_S7_PKS6_S9_S9_S9_S9_ffiiiiiiiiiiiii
		.amdhsa_group_segment_fixed_size 32
		.amdhsa_private_segment_fixed_size 0
		.amdhsa_kernarg_size 400
		.amdhsa_user_sgpr_count 6
		.amdhsa_user_sgpr_private_segment_buffer 1
		.amdhsa_user_sgpr_dispatch_ptr 0
		.amdhsa_user_sgpr_queue_ptr 0
		.amdhsa_user_sgpr_kernarg_segment_ptr 1
		.amdhsa_user_sgpr_dispatch_id 0
		.amdhsa_user_sgpr_flat_scratch_init 0
		.amdhsa_user_sgpr_kernarg_preload_length 0
		.amdhsa_user_sgpr_kernarg_preload_offset 0
		.amdhsa_user_sgpr_private_segment_size 0
		.amdhsa_uses_dynamic_stack 0
		.amdhsa_system_sgpr_private_segment_wavefront_offset 0
		.amdhsa_system_sgpr_workgroup_id_x 1
		.amdhsa_system_sgpr_workgroup_id_y 1
		.amdhsa_system_sgpr_workgroup_id_z 0
		.amdhsa_system_sgpr_workgroup_info 0
		.amdhsa_system_vgpr_workitem_id 0
		.amdhsa_next_free_vgpr 76
		.amdhsa_next_free_sgpr 40
		.amdhsa_accum_offset 76
		.amdhsa_reserve_vcc 1
		.amdhsa_reserve_flat_scratch 0
		.amdhsa_float_round_mode_32 0
		.amdhsa_float_round_mode_16_64 0
		.amdhsa_float_denorm_mode_32 3
		.amdhsa_float_denorm_mode_16_64 3
		.amdhsa_dx10_clamp 1
		.amdhsa_ieee_mode 1
		.amdhsa_fp16_overflow 0
		.amdhsa_tg_split 0
		.amdhsa_exception_fp_ieee_invalid_op 0
		.amdhsa_exception_fp_denorm_src 0
		.amdhsa_exception_fp_ieee_div_zero 0
		.amdhsa_exception_fp_ieee_overflow 0
		.amdhsa_exception_fp_ieee_underflow 0
		.amdhsa_exception_fp_ieee_inexact 0
		.amdhsa_exception_int_div_zero 0
	.end_amdhsa_kernel
	.section	.text._ZN5aiter35fused_qk_rmsnorm_group_quant_kernelItN4opus5fp4_tELi256ELi16ELi4ELb1ELb0ELb1ELb0ELb0ELb0EEEvPT0_PvPT_S7_S7_PKS6_S9_S9_S9_S9_ffiiiiiiiiiiiii,"axG",@progbits,_ZN5aiter35fused_qk_rmsnorm_group_quant_kernelItN4opus5fp4_tELi256ELi16ELi4ELb1ELb0ELb1ELb0ELb0ELb0EEEvPT0_PvPT_S7_S7_PKS6_S9_S9_S9_S9_ffiiiiiiiiiiiii,comdat
.Lfunc_end820:
	.size	_ZN5aiter35fused_qk_rmsnorm_group_quant_kernelItN4opus5fp4_tELi256ELi16ELi4ELb1ELb0ELb1ELb0ELb0ELb0EEEvPT0_PvPT_S7_S7_PKS6_S9_S9_S9_S9_ffiiiiiiiiiiiii, .Lfunc_end820-_ZN5aiter35fused_qk_rmsnorm_group_quant_kernelItN4opus5fp4_tELi256ELi16ELi4ELb1ELb0ELb1ELb0ELb0ELb0EEEvPT0_PvPT_S7_S7_PKS6_S9_S9_S9_S9_ffiiiiiiiiiiiii
                                        ; -- End function
	.section	.AMDGPU.csdata,"",@progbits
; Kernel info:
; codeLenInByte = 3892
; NumSgprs: 44
; NumVgprs: 76
; NumAgprs: 0
; TotalNumVgprs: 76
; ScratchSize: 0
; MemoryBound: 0
; FloatMode: 240
; IeeeMode: 1
; LDSByteSize: 32 bytes/workgroup (compile time only)
; SGPRBlocks: 5
; VGPRBlocks: 9
; NumSGPRsForWavesPerEU: 44
; NumVGPRsForWavesPerEU: 76
; AccumOffset: 76
; Occupancy: 6
; WaveLimiterHint : 0
; COMPUTE_PGM_RSRC2:SCRATCH_EN: 0
; COMPUTE_PGM_RSRC2:USER_SGPR: 6
; COMPUTE_PGM_RSRC2:TRAP_HANDLER: 0
; COMPUTE_PGM_RSRC2:TGID_X_EN: 1
; COMPUTE_PGM_RSRC2:TGID_Y_EN: 1
; COMPUTE_PGM_RSRC2:TGID_Z_EN: 0
; COMPUTE_PGM_RSRC2:TIDIG_COMP_CNT: 0
; COMPUTE_PGM_RSRC3_GFX90A:ACCUM_OFFSET: 18
; COMPUTE_PGM_RSRC3_GFX90A:TG_SPLIT: 0
	.section	.text._ZN5aiter35fused_qk_rmsnorm_group_quant_kernelIDF16_DB8_Li256ELi16ELi4ELb1ELb0ELb0ELb0ELb0ELb0EEEvPT0_PvPT_S6_S6_PKS5_S8_S8_S8_S8_ffiiiiiiiiiiiii,"axG",@progbits,_ZN5aiter35fused_qk_rmsnorm_group_quant_kernelIDF16_DB8_Li256ELi16ELi4ELb1ELb0ELb0ELb0ELb0ELb0EEEvPT0_PvPT_S6_S6_PKS5_S8_S8_S8_S8_ffiiiiiiiiiiiii,comdat
	.protected	_ZN5aiter35fused_qk_rmsnorm_group_quant_kernelIDF16_DB8_Li256ELi16ELi4ELb1ELb0ELb0ELb0ELb0ELb0EEEvPT0_PvPT_S6_S6_PKS5_S8_S8_S8_S8_ffiiiiiiiiiiiii ; -- Begin function _ZN5aiter35fused_qk_rmsnorm_group_quant_kernelIDF16_DB8_Li256ELi16ELi4ELb1ELb0ELb0ELb0ELb0ELb0EEEvPT0_PvPT_S6_S6_PKS5_S8_S8_S8_S8_ffiiiiiiiiiiiii
	.globl	_ZN5aiter35fused_qk_rmsnorm_group_quant_kernelIDF16_DB8_Li256ELi16ELi4ELb1ELb0ELb0ELb0ELb0ELb0EEEvPT0_PvPT_S6_S6_PKS5_S8_S8_S8_S8_ffiiiiiiiiiiiii
	.p2align	8
	.type	_ZN5aiter35fused_qk_rmsnorm_group_quant_kernelIDF16_DB8_Li256ELi16ELi4ELb1ELb0ELb0ELb0ELb0ELb0EEEvPT0_PvPT_S6_S6_PKS5_S8_S8_S8_S8_ffiiiiiiiiiiiii,@function
_ZN5aiter35fused_qk_rmsnorm_group_quant_kernelIDF16_DB8_Li256ELi16ELi4ELb1ELb0ELb0ELb0ELb0ELb0EEEvPT0_PvPT_S6_S6_PKS5_S8_S8_S8_S8_ffiiiiiiiiiiiii: ; @_ZN5aiter35fused_qk_rmsnorm_group_quant_kernelIDF16_DB8_Li256ELi16ELi4ELb1ELb0ELb0ELb0ELb0ELb0EEEvPT0_PvPT_S6_S6_PKS5_S8_S8_S8_S8_ffiiiiiiiiiiiii
; %bb.0:
	s_load_dwordx8 s[12:19], s[4:5], 0x50
	s_waitcnt lgkmcnt(0)
	s_cmp_ge_i32 s6, s14
	s_cbranch_scc1 .LBB821_17
; %bb.1:
	s_cmp_lg_u32 s7, 0
	s_cselect_b64 s[10:11], -1, 0
	s_cmp_eq_u32 s7, 0
	s_cselect_b64 s[8:9], -1, 0
	s_and_b64 s[0:1], s[8:9], exec
	s_load_dwordx2 s[20:21], s[4:5], 0x48
	s_load_dwordx2 s[36:37], s[4:5], 0x30
	s_load_dwordx4 s[24:27], s[4:5], 0x70
	s_cselect_b32 s7, s15, s16
	s_add_i32 s0, s7, 1
	s_lshr_b32 s1, s0, 31
	s_add_i32 s0, s0, s1
	s_lshl_b32 s0, s0, 1
	v_lshlrev_b32_e32 v1, 4, v0
	s_and_b32 s30, s0, -4
	v_cmp_gt_i32_e64 s[0:1], s7, v1
	v_mov_b32_e32 v80, 0
	v_mov_b32_e32 v81, 0
	;; [unrolled: 1-line block ×16, first 2 shown]
	s_and_saveexec_b64 s[2:3], s[0:1]
	s_cbranch_execz .LBB821_3
; %bb.2:
	s_load_dwordx2 s[22:23], s[4:5], 0x28
	s_load_dwordx2 s[28:29], s[4:5], 0x40
	s_and_b64 s[34:35], s[8:9], exec
	s_cselect_b32 s14, s17, s18
	s_mov_b32 s31, 0x20000
	s_waitcnt lgkmcnt(0)
	s_cselect_b32 s17, s23, s37
	s_cselect_b32 s27, s22, s36
	s_mul_hi_i32 s23, s14, s6
	s_mul_i32 s22, s14, s6
	s_lshl_b64 s[22:23], s[22:23], 1
	s_add_u32 s40, s27, s22
	s_addc_u32 s14, s17, s23
	s_and_b64 s[22:23], s[8:9], exec
	s_cselect_b32 s28, s28, s20
	s_cselect_b32 s17, s29, s21
	s_and_b32 s41, s14, 0xffff
	s_mov_b32 s42, s30
	s_mov_b32 s43, s31
	v_lshlrev_b32_e32 v2, 5, v0
	s_and_b32 s29, s17, 0xffff
	buffer_load_dwordx4 v[84:87], v2, s[40:43], 0 offen
	buffer_load_dwordx4 v[88:91], v2, s[40:43], 16 offen
	;; [unrolled: 1-line block ×4, first 2 shown]
.LBB821_3:
	s_or_b64 exec, exec, s[2:3]
	s_load_dwordx2 s[34:35], s[4:5], 0x80
	s_and_b64 vcc, exec, s[10:11]
	s_cbranch_vccz .LBB821_7
; %bb.4:
	v_mov_b32_e32 v93, 0
	v_mov_b32_e32 v92, 0
	;; [unrolled: 1-line block ×16, first 2 shown]
	s_and_saveexec_b64 s[2:3], s[0:1]
	s_cbranch_execz .LBB821_6
; %bb.5:
	s_waitcnt vmcnt(3)
	v_cvt_f32_f16_sdwa v59, v84 dst_sel:DWORD dst_unused:UNUSED_PAD src0_sel:WORD_1
	v_cvt_f32_f16_e32 v58, v84
	v_cvt_f32_f16_sdwa v29, v85 dst_sel:DWORD dst_unused:UNUSED_PAD src0_sel:WORD_1
	v_cvt_f32_f16_e32 v28, v85
	v_cvt_f32_f16_sdwa v47, v86 dst_sel:DWORD dst_unused:UNUSED_PAD src0_sel:WORD_1
	v_cvt_f32_f16_e32 v46, v86
	v_cvt_f32_f16_sdwa v19, v87 dst_sel:DWORD dst_unused:UNUSED_PAD src0_sel:WORD_1
	v_cvt_f32_f16_e32 v18, v87
	s_waitcnt vmcnt(2)
	v_cvt_f32_f16_sdwa v69, v88 dst_sel:DWORD dst_unused:UNUSED_PAD src0_sel:WORD_1
	v_cvt_f32_f16_e32 v68, v88
	v_cvt_f32_f16_sdwa v41, v89 dst_sel:DWORD dst_unused:UNUSED_PAD src0_sel:WORD_1
	v_cvt_f32_f16_e32 v40, v89
	v_cvt_f32_f16_sdwa v15, v90 dst_sel:DWORD dst_unused:UNUSED_PAD src0_sel:WORD_1
	v_cvt_f32_f16_e32 v14, v90
	v_cvt_f32_f16_sdwa v93, v91 dst_sel:DWORD dst_unused:UNUSED_PAD src0_sel:WORD_1
	v_cvt_f32_f16_e32 v92, v91
.LBB821_6:
	s_or_b64 exec, exec, s[2:3]
	s_cbranch_execz .LBB821_8
	s_branch .LBB821_11
.LBB821_7:
                                        ; implicit-def: $vgpr26_vgpr27_vgpr28_vgpr29_vgpr30_vgpr31_vgpr32_vgpr33_vgpr34_vgpr35_vgpr36_vgpr37_vgpr38_vgpr39_vgpr40_vgpr41
                                        ; implicit-def: $vgpr58_vgpr59_vgpr60_vgpr61_vgpr62_vgpr63_vgpr64_vgpr65_vgpr66_vgpr67_vgpr68_vgpr69_vgpr70_vgpr71_vgpr72_vgpr73
                                        ; implicit-def: $vgpr42_vgpr43_vgpr44_vgpr45_vgpr46_vgpr47_vgpr48_vgpr49_vgpr50_vgpr51_vgpr52_vgpr53_vgpr54_vgpr55_vgpr56_vgpr57
                                        ; implicit-def: $vgpr12_vgpr13_vgpr14_vgpr15_vgpr16_vgpr17_vgpr18_vgpr19_vgpr20_vgpr21_vgpr22_vgpr23_vgpr24_vgpr25_vgpr26_vgpr27
                                        ; implicit-def: $vgpr93
                                        ; implicit-def: $vgpr60_vgpr61_vgpr62_vgpr63_vgpr64_vgpr65_vgpr66_vgpr67_vgpr68_vgpr69_vgpr70_vgpr71_vgpr72_vgpr73_vgpr74_vgpr75
                                        ; implicit-def: $vgpr30_vgpr31_vgpr32_vgpr33_vgpr34_vgpr35_vgpr36_vgpr37_vgpr38_vgpr39_vgpr40_vgpr41_vgpr42_vgpr43_vgpr44_vgpr45
                                        ; implicit-def: $vgpr2_vgpr3_vgpr4_vgpr5_vgpr6_vgpr7_vgpr8_vgpr9_vgpr10_vgpr11_vgpr12_vgpr13_vgpr14_vgpr15_vgpr16_vgpr17
.LBB821_8:
	v_mov_b32_e32 v93, 0
	v_mov_b32_e32 v92, 0
	;; [unrolled: 1-line block ×16, first 2 shown]
	s_and_saveexec_b64 s[2:3], s[0:1]
	s_cbranch_execz .LBB821_10
; %bb.9:
	s_load_dwordx2 s[22:23], s[4:5], 0x38
	s_mul_hi_i32 s29, s19, s6
	s_mul_i32 s28, s19, s6
	s_lshl_b64 s[28:29], s[28:29], 1
	s_mov_b32 s31, 0x20000
	s_waitcnt lgkmcnt(0)
	s_add_u32 s28, s22, s28
	s_addc_u32 s14, s23, s29
	s_and_b32 s29, s14, 0xffff
	v_lshlrev_b32_e32 v38, 5, v0
	buffer_load_dwordx4 v[6:9], v38, s[28:31], 16 offen
	buffer_load_dwordx4 v[10:13], v38, s[28:31], 0 offen
	s_waitcnt vmcnt(5)
	v_cvt_f32_f16_sdwa v19, v86 dst_sel:DWORD dst_unused:UNUSED_PAD src0_sel:WORD_1
	v_cvt_f32_f16_e32 v18, v86
	v_cvt_f32_f16_sdwa v25, v87 dst_sel:DWORD dst_unused:UNUSED_PAD src0_sel:WORD_1
	v_cvt_f32_f16_e32 v24, v87
	;; [unrolled: 2-line block ×4, first 2 shown]
	s_load_dwordx2 s[22:23], s[4:5], 0x20
	s_waitcnt vmcnt(4)
	v_cvt_f32_f16_sdwa v3, v88 dst_sel:DWORD dst_unused:UNUSED_PAD src0_sel:WORD_1
	v_cvt_f32_f16_e32 v2, v88
	v_cvt_f32_f16_sdwa v5, v89 dst_sel:DWORD dst_unused:UNUSED_PAD src0_sel:WORD_1
	v_cvt_f32_f16_e32 v4, v89
	;; [unrolled: 2-line block ×4, first 2 shown]
	s_mul_hi_i32 s29, s35, s6
	s_mul_i32 s28, s35, s6
	s_lshl_b64 s[28:29], s[28:29], 1
	s_waitcnt lgkmcnt(0)
	s_add_u32 s28, s22, s28
	s_addc_u32 s14, s23, s29
	s_and_b32 s29, s14, 0xffff
	s_waitcnt vmcnt(1)
	v_cvt_f32_f16_e32 v26, v6
	v_cvt_f32_f16_sdwa v27, v6 dst_sel:DWORD dst_unused:UNUSED_PAD src0_sel:WORD_1
	v_cvt_f32_f16_e32 v30, v7
	v_cvt_f32_f16_sdwa v31, v7 dst_sel:DWORD dst_unused:UNUSED_PAD src0_sel:WORD_1
	;; [unrolled: 2-line block ×4, first 2 shown]
	s_waitcnt vmcnt(0)
	v_cvt_f32_f16_e32 v6, v12
	v_cvt_f32_f16_sdwa v7, v12 dst_sel:DWORD dst_unused:UNUSED_PAD src0_sel:WORD_1
	v_cvt_f32_f16_e32 v8, v13
	v_cvt_f32_f16_sdwa v9, v13 dst_sel:DWORD dst_unused:UNUSED_PAD src0_sel:WORD_1
	;; [unrolled: 2-line block ×4, first 2 shown]
	v_pk_add_f32 v[46:47], v[18:19], v[6:7]
	v_pk_add_f32 v[18:19], v[24:25], v[8:9]
	v_cvt_f16_f32_e32 v6, v47
	v_cvt_f16_f32_e32 v7, v19
	;; [unrolled: 1-line block ×4, first 2 shown]
	v_pk_add_f32 v[28:29], v[22:23], v[10:11]
	v_pk_add_f32 v[58:59], v[20:21], v[36:37]
	v_pack_b32_f16 v9, v8, v7
	v_pack_b32_f16 v8, v12, v6
	v_cvt_f16_f32_e32 v6, v29
	v_cvt_f16_f32_e32 v7, v28
	;; [unrolled: 1-line block ×3, first 2 shown]
	v_pk_add_f32 v[92:93], v[16:17], v[34:35]
	v_pk_add_f32 v[14:15], v[14:15], v[32:33]
	v_pack_b32_f16 v7, v7, v6
	v_cvt_f16_f32_e32 v6, v59
	v_pk_add_f32 v[40:41], v[4:5], v[30:31]
	v_pk_add_f32 v[68:69], v[2:3], v[26:27]
	v_cvt_f16_f32_e32 v4, v40
	v_pack_b32_f16 v6, v10, v6
	buffer_store_dwordx4 v[6:9], v38, s[28:31], 0 offen
	v_cvt_f16_f32_e32 v5, v41
	v_cvt_f16_f32_e32 v6, v14
	;; [unrolled: 1-line block ×7, first 2 shown]
	v_pack_b32_f16 v7, v7, v8
	v_pack_b32_f16 v6, v6, v9
	;; [unrolled: 1-line block ×4, first 2 shown]
	;;#ASMSTART
	s_nop 0
	;;#ASMEND
	buffer_store_dwordx4 v[4:7], v38, s[28:31], 16 offen
	;;#ASMSTART
	s_nop 0
	;;#ASMEND
.LBB821_10:
	s_or_b64 exec, exec, s[2:3]
.LBB821_11:
	v_mul_f32_e32 v2, v59, v59
	v_fmac_f32_e32 v2, v58, v58
	v_fmac_f32_e32 v2, v28, v28
	;; [unrolled: 1-line block ×15, first 2 shown]
	s_nop 1
	v_mov_b32_dpp v3, v2 quad_perm:[1,0,3,2] row_mask:0xf bank_mask:0xf
	v_add_f32_e32 v2, v2, v3
	s_nop 1
	v_mov_b32_dpp v3, v2 quad_perm:[2,3,0,1] row_mask:0xf bank_mask:0xf
	v_add_f32_e32 v2, v2, v3
	s_nop 1
	v_mov_b32_dpp v3, v2 row_half_mirror row_mask:0xf bank_mask:0xf
	v_add_f32_e32 v2, v2, v3
	s_nop 1
	v_mov_b32_dpp v3, v2 row_mirror row_mask:0xf bank_mask:0xf
	v_add_f32_e32 v2, v2, v3
	s_nop 1
	v_mov_b32_dpp v3, v2 row_bcast:15 row_mask:0xf bank_mask:0xf
	v_add_f32_e32 v2, v2, v3
	v_and_b32_e32 v3, 63, v0
	v_cmp_eq_u32_e64 s[2:3], 63, v3
	s_nop 0
	v_mov_b32_dpp v3, v2 row_bcast:31 row_mask:0xf bank_mask:0xf
	s_and_saveexec_b64 s[22:23], s[2:3]
	s_cbranch_execz .LBB821_13
; %bb.12:
	v_add_f32_e32 v2, v2, v3
	v_lshrrev_b32_e32 v3, 4, v0
	v_and_b32_e32 v3, 60, v3
	ds_write_b32 v3, v2 offset:16
.LBB821_13:
	s_or_b64 exec, exec, s[22:23]
	v_and_b32_e32 v2, 3, v0
	v_lshlrev_b32_e32 v34, 2, v2
	s_waitcnt lgkmcnt(0)
	s_barrier
	ds_read_b32 v3, v34 offset:16
	s_load_dwordx2 s[38:39], s[4:5], 0x18
	s_waitcnt lgkmcnt(0)
	v_mov_b32_dpp v4, v3 quad_perm:[1,0,3,2] row_mask:0xf bank_mask:0xf
	v_add_f32_e32 v3, v3, v4
	s_nop 1
	v_mov_b32_dpp v4, v3 quad_perm:[2,3,0,1] row_mask:0xf bank_mask:0xf
	s_and_saveexec_b64 s[22:23], s[0:1]
	s_cbranch_execnz .LBB821_18
; %bb.14:
	s_or_b64 exec, exec, s[22:23]
	s_mov_b64 s[8:9], -1
	s_and_b64 vcc, exec, s[10:11]
	s_cbranch_vccnz .LBB821_19
.LBB821_15:
	s_andn2_b64 vcc, exec, s[8:9]
	s_cbranch_vccz .LBB821_22
.LBB821_16:
	s_cmp_lt_i32 s16, 1
	s_cbranch_scc0 .LBB821_29
.LBB821_17:
	s_endpgm
.LBB821_18:
	v_add_f32_e32 v3, v3, v4
	v_cvt_f32_u32_e32 v4, s7
	s_mov_b32 s7, 0x800000
	s_waitcnt vmcnt(1)
	v_cvt_f32_f16_sdwa v23, v81 dst_sel:DWORD dst_unused:UNUSED_PAD src0_sel:WORD_1
	v_cvt_f32_f16_e32 v22, v81
	v_div_scale_f32 v5, s[28:29], v4, v4, v3
	v_rcp_f32_e32 v6, v5
	s_waitcnt vmcnt(0)
	v_cvt_f32_f16_sdwa v25, v77 dst_sel:DWORD dst_unused:UNUSED_PAD src0_sel:WORD_1
	v_cvt_f32_f16_e32 v24, v77
	v_cvt_f32_f16_sdwa v27, v78 dst_sel:DWORD dst_unused:UNUSED_PAD src0_sel:WORD_1
	v_fma_f32 v7, -v5, v6, 1.0
	v_fmac_f32_e32 v6, v7, v6
	v_div_scale_f32 v7, vcc, v3, v4, v3
	v_mul_f32_e32 v8, v7, v6
	v_fma_f32 v9, -v5, v8, v7
	v_fmac_f32_e32 v8, v9, v6
	v_fma_f32 v5, -v5, v8, v7
	v_div_fmas_f32 v5, v5, v6, v8
	v_div_fixup_f32 v3, v5, v4, v3
	v_mov_b32_e32 v4, s13
	v_mov_b32_e32 v5, s12
	v_cndmask_b32_e64 v4, v4, v5, s[8:9]
	v_add_f32_e32 v3, v4, v3
	v_mul_f32_e32 v4, 0x4b800000, v3
	v_cmp_gt_f32_e32 vcc, s7, v3
	v_cndmask_b32_e32 v3, v3, v4, vcc
	v_rsq_f32_e32 v3, v3
	v_cvt_f32_f16_e32 v26, v78
	v_cvt_f32_f16_sdwa v31, v79 dst_sel:DWORD dst_unused:UNUSED_PAD src0_sel:WORD_1
	v_cvt_f32_f16_e32 v30, v79
	v_mul_f32_e32 v4, 0x45800000, v3
	v_cndmask_b32_e32 v4, v3, v4, vcc
	v_mov_b32_e32 v5, v4
	;;#ASMSTART
	v_pk_mul_f32 v[6:7], v[58:59], v[4:5]
	;;#ASMEND
	;;#ASMSTART
	v_pk_mul_f32 v[8:9], v[28:29], v[4:5]
	;;#ASMEND
	;; [unrolled: 3-line block ×6, first 2 shown]
	v_cvt_f32_f16_sdwa v19, v80 dst_sel:DWORD dst_unused:UNUSED_PAD src0_sel:WORD_1
	v_cvt_f32_f16_e32 v18, v80
	;;#ASMSTART
	v_pk_mul_f32 v[14:15], v[14:15], v[4:5]
	;;#ASMEND
	;;#ASMSTART
	v_pk_mul_f32 v[4:5], v[92:93], v[4:5]
	;;#ASMEND
	;; [unrolled: 3-line block ×4, first 2 shown]
	v_cvt_f32_f16_sdwa v7, v82 dst_sel:DWORD dst_unused:UNUSED_PAD src0_sel:WORD_1
	v_cvt_f32_f16_e32 v6, v82
	v_cvt_f32_f16_sdwa v9, v83 dst_sel:DWORD dst_unused:UNUSED_PAD src0_sel:WORD_1
	v_cvt_f32_f16_e32 v8, v83
	;; [unrolled: 2-line block ×3, first 2 shown]
	;;#ASMSTART
	v_pk_mul_f32 v[46:47], v[10:11], v[6:7]
	;;#ASMEND
	;;#ASMSTART
	v_pk_mul_f32 v[18:19], v[12:13], v[8:9]
	;;#ASMEND
	;; [unrolled: 3-line block ×6, first 2 shown]
	s_or_b64 exec, exec, s[22:23]
	s_mov_b64 s[8:9], -1
	s_and_b64 vcc, exec, s[10:11]
	s_cbranch_vccz .LBB821_15
.LBB821_19:
	s_and_saveexec_b64 s[8:9], s[0:1]
	s_cbranch_execz .LBB821_21
; %bb.20:
	v_cvt_f16_f32_e32 v3, v46
	v_cvt_f16_f32_e32 v4, v18
	;; [unrolled: 1-line block ×4, first 2 shown]
	s_mul_hi_i32 s11, s34, s6
	s_mul_i32 s10, s34, s6
	v_pack_b32_f16 v7, v4, v5
	v_pack_b32_f16 v6, v3, v6
	v_cvt_f16_f32_e32 v3, v28
	v_cvt_f16_f32_e32 v4, v29
	s_lshl_b64 s[10:11], s[10:11], 1
	s_add_u32 s28, s38, s10
	s_addc_u32 s7, s39, s11
	v_pack_b32_f16 v5, v3, v4
	v_cvt_f16_f32_e32 v3, v58
	v_cvt_f16_f32_e32 v4, v59
	s_and_b32 s29, s7, 0xffff
	s_mov_b32 s31, 0x20000
	v_cvt_f16_f32_e32 v8, v15
	v_pack_b32_f16 v4, v3, v4
	v_lshlrev_b32_e32 v3, 5, v0
	buffer_store_dwordx4 v[4:7], v3, s[28:31], 0 offen
	;;#ASMSTART
	s_nop 0
	;;#ASMEND
	s_nop 0
	v_cvt_f16_f32_e32 v4, v14
	v_cvt_f16_f32_e32 v5, v92
	v_cvt_f16_f32_e32 v6, v93
	v_pack_b32_f16 v7, v5, v6
	v_pack_b32_f16 v6, v4, v8
	v_cvt_f16_f32_e32 v4, v40
	v_cvt_f16_f32_e32 v5, v41
	;; [unrolled: 1-line block ×3, first 2 shown]
	v_pack_b32_f16 v5, v4, v5
	v_cvt_f16_f32_e32 v4, v68
	v_pack_b32_f16 v4, v4, v8
	buffer_store_dwordx4 v[4:7], v3, s[28:31], 16 offen
	;;#ASMSTART
	s_nop 0
	;;#ASMEND
.LBB821_21:
	s_or_b64 exec, exec, s[8:9]
	s_cbranch_execnz .LBB821_16
.LBB821_22:
	v_mov_b32_e32 v3, 0
	s_and_saveexec_b64 s[8:9], s[0:1]
	s_cbranch_execz .LBB821_24
; %bb.23:
	v_and_b32_e32 v3, 0x7fffffff, v58
	v_and_b32_e32 v4, 0x7fffffff, v59
	v_mov_b32_e32 v5, 0x2edbe6ff
	;;#ASMSTART
	v_max3_f32 v3, v5, v3, v4

	;;#ASMEND
	v_and_b32_e32 v4, 0x7fffffff, v28
	v_and_b32_e32 v5, 0x7fffffff, v29
	;;#ASMSTART
	v_max3_f32 v3, v3, v4, v5

	;;#ASMEND
	v_and_b32_e32 v4, 0x7fffffff, v46
	v_and_b32_e32 v5, 0x7fffffff, v47
	;; [unrolled: 6-line block ×7, first 2 shown]
	;;#ASMSTART
	v_max3_f32 v3, v3, v4, v5

	;;#ASMEND
.LBB821_24:
	s_or_b64 exec, exec, s[8:9]
	;;#ASMSTART
	v_max_f32 v4, v3, v3 quad_perm:[1,0,3,2] row_mask:0xf bank_mask:0xf bound_ctrl:1
	;;#ASMEND
	;;#ASMSTART
	v_max_f32 v3, v4, v4 quad_perm:[2,3,0,1] row_mask:0xf bank_mask:0xf bound_ctrl:1
	;;#ASMEND
	v_cmp_eq_u32_e32 vcc, 0, v2
	v_cmp_gt_i32_e64 s[8:9], s15, v1
	v_mul_f32_e32 v3, 0x3b124925, v3
	s_and_b64 s[10:11], vcc, s[8:9]
	s_and_saveexec_b64 s[8:9], s[10:11]
	s_cbranch_execz .LBB821_26
; %bb.25:
	s_load_dwordx2 s[10:11], s[4:5], 0x8
	s_mul_hi_i32 s23, s25, s6
	s_mul_i32 s22, s25, s6
	v_lshrrev_b32_e32 v2, 2, v0
	s_lshl_b64 s[22:23], s[22:23], 2
	v_mad_i64_i32 v[4:5], s[26:27], s26, v2, 0
	s_waitcnt lgkmcnt(0)
	s_add_u32 s7, s10, s22
	s_addc_u32 s10, s11, s23
	v_lshlrev_b64 v[4:5], 2, v[4:5]
	v_mov_b32_e32 v2, s10
	v_add_co_u32_e32 v4, vcc, s7, v4
	v_addc_co_u32_e32 v5, vcc, v2, v5, vcc
	global_store_dword v[4:5], v3, off
.LBB821_26:
	s_or_b64 exec, exec, s[8:9]
	;;#ASMSTART
	v_rcp_f32 v2, v3
	;;#ASMEND
	s_and_saveexec_b64 s[22:23], s[0:1]
	s_cbranch_execz .LBB821_28
; %bb.27:
	v_mov_b32_e32 v3, v2
	;;#ASMSTART
	v_pk_mul_f32 v[4:5], v[58:59], v[2:3]
	;;#ASMEND
	v_mov_b32_e32 v10, 0xc3e00000
	v_mov_b32_e32 v11, 0x43e00000
	;;#ASMSTART
	v_med3_f32 v4, v4, v10, v11
v_med3_f32 v5, v5, v10, v11
v_cvt_pk_fp8_f32 v6, v4, v5
	;;#ASMEND
	;;#ASMSTART
	v_pk_mul_f32 v[4:5], v[28:29], v[2:3]
	;;#ASMEND
	;;#ASMSTART
	v_med3_f32 v4, v4, v10, v11
v_med3_f32 v5, v5, v10, v11
v_cvt_pk_fp8_f32 v7, v4, v5
	;;#ASMEND
	;;#ASMSTART
	v_pk_mul_f32 v[4:5], v[46:47], v[2:3]
	;;#ASMEND
	;; [unrolled: 8-line block ×3, first 2 shown]
	;;#ASMSTART
	v_med3_f32 v4, v4, v10, v11
v_med3_f32 v5, v5, v10, v11
v_cvt_pk_fp8_f32 v9, v4, v5
	;;#ASMEND
	s_mov_b32 s0, 0x5040100
	v_perm_b32 v4, v7, v6, s0
	s_mov_b32 s0, 0x1060504
	v_perm_b32 v4, v4, v7, s0
	s_load_dwordx2 s[0:1], s[4:5], 0x0
	s_mov_b32 s7, 0x1000504
	;;#ASMSTART
	v_pk_mul_f32 v[6:7], v[68:69], v[2:3]
	;;#ASMEND
	v_perm_b32 v5, v8, v9, s7
	s_mul_i32 s8, s24, s6
	;;#ASMSTART
	v_med3_f32 v6, v6, v10, v11
v_med3_f32 v7, v7, v10, v11
v_cvt_pk_fp8_f32 v8, v6, v7
	;;#ASMEND
	s_mul_hi_i32 s9, s24, s6
	s_waitcnt lgkmcnt(0)
	s_add_u32 s8, s0, s8
	;;#ASMSTART
	v_pk_mul_f32 v[6:7], v[40:41], v[2:3]
	;;#ASMEND
	s_addc_u32 s0, s1, s9
	s_add_i32 s1, s15, 3
	;;#ASMSTART
	v_med3_f32 v6, v6, v10, v11
v_med3_f32 v7, v7, v10, v11
v_cvt_pk_fp8_f32 v9, v6, v7
	;;#ASMEND
	s_ashr_i32 s9, s1, 31
	v_perm_b32 v6, v8, v9, s7
	;;#ASMSTART
	v_pk_mul_f32 v[8:9], v[14:15], v[2:3]
	;;#ASMEND
	v_mov_b32_e32 v7, v8
	s_lshr_b32 s9, s9, 30
	;;#ASMSTART
	v_med3_f32 v7, v7, v10, v11
v_med3_f32 v9, v9, v10, v11
v_cvt_pk_fp8_f32 v8, v7, v9
	;;#ASMEND
	;;#ASMSTART
	v_pk_mul_f32 v[2:3], v[92:93], v[2:3]
	;;#ASMEND
	s_add_i32 s1, s1, s9
	;;#ASMSTART
	v_med3_f32 v2, v2, v10, v11
v_med3_f32 v3, v3, v10, v11
v_cvt_pk_fp8_f32 v7, v2, v3
	;;#ASMEND
	s_and_b32 s10, s1, -4
	s_and_b32 s9, s0, 0xffff
	s_mov_b32 s11, 0x20000
	v_perm_b32 v7, v8, v7, s7
	buffer_store_dwordx4 v[4:7], v1, s[8:11], 0 offen
	;;#ASMSTART
	s_nop 0
	;;#ASMEND
.LBB821_28:
	s_or_b64 exec, exec, s[22:23]
	s_cmp_lt_i32 s16, 1
	s_cbranch_scc1 .LBB821_17
.LBB821_29:
	s_load_dword s0, s[4:5], 0x94
	s_waitcnt lgkmcnt(0)
	s_cmp_lg_u32 s0, 1
	s_cbranch_scc1 .LBB821_17
; %bb.30:
	s_lshl_b32 s0, s16, 1
	s_add_i32 s0, s0, 2
	v_cmp_gt_u32_e32 vcc, s16, v1
	s_and_b32 s22, s0, -4
	v_mov_b32_e32 v18, 0
	v_lshlrev_b32_e32 v1, 5, v0
	v_mov_b32_e32 v14, 0
	v_mov_b32_e32 v15, 0
	;; [unrolled: 1-line block ×16, first 2 shown]
	s_barrier
	s_and_saveexec_b64 s[0:1], vcc
	s_cbranch_execz .LBB821_32
; %bb.31:
	s_mul_hi_i32 s5, s18, s6
	s_mul_i32 s4, s18, s6
	s_and_b32 s21, s21, 0xffff
	s_lshl_b64 s[4:5], s[4:5], 1
	s_add_u32 s8, s36, s4
	s_mov_b32 s23, 0x20000
	s_addc_u32 s4, s37, s5
	s_and_b32 s9, s4, 0xffff
	s_mov_b32 s10, s22
	s_mov_b32 s11, s23
	buffer_load_dwordx4 v[14:17], v1, s[8:11], 0 offen
	buffer_load_dwordx4 v[10:13], v1, s[8:11], 16 offen
	;; [unrolled: 1-line block ×4, first 2 shown]
.LBB821_32:
	s_or_b64 exec, exec, s[0:1]
	v_mov_b32_e32 v19, 0
	v_mov_b32_e32 v32, 0
	;; [unrolled: 1-line block ×15, first 2 shown]
	s_and_saveexec_b64 s[0:1], vcc
	s_cbranch_execz .LBB821_34
; %bb.33:
	s_waitcnt vmcnt(3)
	v_cvt_f32_f16_sdwa v19, v14 dst_sel:DWORD dst_unused:UNUSED_PAD src0_sel:WORD_1
	v_cvt_f32_f16_e32 v18, v14
	v_cvt_f32_f16_sdwa v33, v15 dst_sel:DWORD dst_unused:UNUSED_PAD src0_sel:WORD_1
	v_cvt_f32_f16_e32 v32, v15
	;; [unrolled: 2-line block ×4, first 2 shown]
	s_waitcnt vmcnt(2)
	v_cvt_f32_f16_sdwa v27, v10 dst_sel:DWORD dst_unused:UNUSED_PAD src0_sel:WORD_1
	v_cvt_f32_f16_e32 v26, v10
	v_cvt_f32_f16_sdwa v25, v11 dst_sel:DWORD dst_unused:UNUSED_PAD src0_sel:WORD_1
	v_cvt_f32_f16_e32 v24, v11
	;; [unrolled: 2-line block ×4, first 2 shown]
.LBB821_34:
	s_or_b64 exec, exec, s[0:1]
	s_waitcnt vmcnt(2)
	v_mul_f32_e32 v10, v19, v19
	v_fmac_f32_e32 v10, v18, v18
	v_fmac_f32_e32 v10, v32, v32
	;; [unrolled: 1-line block ×15, first 2 shown]
	s_nop 1
	v_mov_b32_dpp v11, v10 quad_perm:[1,0,3,2] row_mask:0xf bank_mask:0xf
	v_add_f32_e32 v10, v10, v11
	s_nop 1
	v_mov_b32_dpp v11, v10 quad_perm:[2,3,0,1] row_mask:0xf bank_mask:0xf
	v_add_f32_e32 v10, v10, v11
	s_nop 1
	v_mov_b32_dpp v11, v10 row_half_mirror row_mask:0xf bank_mask:0xf
	v_add_f32_e32 v10, v10, v11
	s_nop 1
	v_mov_b32_dpp v11, v10 row_mirror row_mask:0xf bank_mask:0xf
	v_add_f32_e32 v10, v10, v11
	s_nop 1
	v_mov_b32_dpp v11, v10 row_bcast:15 row_mask:0xf bank_mask:0xf
	v_add_f32_e32 v10, v10, v11
	s_nop 1
	v_mov_b32_dpp v11, v10 row_bcast:31 row_mask:0xf bank_mask:0xf
	s_and_saveexec_b64 s[0:1], s[2:3]
	s_cbranch_execz .LBB821_36
; %bb.35:
	v_lshrrev_b32_e32 v0, 4, v0
	v_add_f32_e32 v10, v10, v11
	v_and_b32_e32 v0, 60, v0
	ds_write_b32 v0, v10
.LBB821_36:
	s_or_b64 exec, exec, s[0:1]
	s_waitcnt lgkmcnt(0)
	s_barrier
	ds_read_b32 v0, v34
	s_waitcnt lgkmcnt(0)
	s_nop 0
	v_mov_b32_dpp v10, v0 quad_perm:[1,0,3,2] row_mask:0xf bank_mask:0xf
	v_add_f32_e32 v0, v0, v10
	s_nop 1
	v_mov_b32_dpp v10, v0 quad_perm:[2,3,0,1] row_mask:0xf bank_mask:0xf
	s_and_saveexec_b64 s[0:1], vcc
	s_cbranch_execz .LBB821_17
; %bb.37:
	v_cvt_f32_u32_e32 v11, s16
	v_add_f32_e32 v0, v0, v10
	s_mov_b32 s23, 0x20000
	v_div_scale_f32 v10, s[0:1], v11, v11, v0
	v_rcp_f32_e32 v12, v10
	v_div_scale_f32 v13, vcc, v0, v11, v0
	s_mov_b32 s0, 0x800000
	v_fma_f32 v14, -v10, v12, 1.0
	v_fmac_f32_e32 v12, v14, v12
	v_mul_f32_e32 v14, v13, v12
	v_fma_f32 v15, -v10, v14, v13
	v_fmac_f32_e32 v14, v15, v12
	v_fma_f32 v10, -v10, v14, v13
	v_div_fmas_f32 v10, v10, v12, v14
	v_div_fixup_f32 v0, v10, v11, v0
	v_add_f32_e32 v0, s13, v0
	v_mul_f32_e32 v10, 0x4b800000, v0
	v_cmp_gt_f32_e32 vcc, s0, v0
	v_cndmask_b32_e32 v0, v0, v10, vcc
	v_rsq_f32_e32 v0, v0
	s_mul_hi_i32 s1, s34, s6
	s_mul_i32 s0, s34, s6
	s_lshl_b64 s[0:1], s[0:1], 1
	v_mul_f32_e32 v10, 0x45800000, v0
	v_cndmask_b32_e32 v10, v0, v10, vcc
	v_mov_b32_e32 v11, v10
	;;#ASMSTART
	v_pk_mul_f32 v[12:13], v[18:19], v[10:11]
	;;#ASMEND
	;;#ASMSTART
	v_pk_mul_f32 v[14:15], v[32:33], v[10:11]
	;;#ASMEND
	;; [unrolled: 3-line block ×8, first 2 shown]
	s_waitcnt vmcnt(1)
	v_cvt_f32_f16_sdwa v21, v6 dst_sel:DWORD dst_unused:UNUSED_PAD src0_sel:WORD_1
	v_cvt_f32_f16_e32 v20, v6
	v_cvt_f32_f16_sdwa v29, v7 dst_sel:DWORD dst_unused:UNUSED_PAD src0_sel:WORD_1
	v_cvt_f32_f16_e32 v28, v7
	;; [unrolled: 2-line block ×4, first 2 shown]
	;;#ASMSTART
	v_pk_mul_f32 v[8:9], v[12:13], v[20:21]
	;;#ASMEND
	;;#ASMSTART
	v_pk_mul_f32 v[12:13], v[14:15], v[28:29]
	;;#ASMEND
	;; [unrolled: 3-line block ×4, first 2 shown]
	s_waitcnt vmcnt(0)
	v_cvt_f32_f16_sdwa v17, v2 dst_sel:DWORD dst_unused:UNUSED_PAD src0_sel:WORD_1
	v_cvt_f32_f16_e32 v16, v2
	v_cvt_f32_f16_sdwa v19, v3 dst_sel:DWORD dst_unused:UNUSED_PAD src0_sel:WORD_1
	v_cvt_f32_f16_e32 v18, v3
	v_cvt_f32_f16_sdwa v3, v4 dst_sel:DWORD dst_unused:UNUSED_PAD src0_sel:WORD_1
	v_cvt_f32_f16_e32 v2, v4
	v_cvt_f32_f16_sdwa v21, v5 dst_sel:DWORD dst_unused:UNUSED_PAD src0_sel:WORD_1
	v_cvt_f32_f16_e32 v20, v5
	;;#ASMSTART
	v_pk_mul_f32 v[16:17], v[26:27], v[16:17]
	;;#ASMEND
	;;#ASMSTART
	v_pk_mul_f32 v[18:19], v[24:25], v[18:19]
	;;#ASMEND
	;; [unrolled: 3-line block ×3, first 2 shown]
	v_cvt_f16_f32_e32 v0, v8
	v_cvt_f16_f32_e32 v2, v9
	;; [unrolled: 1-line block ×8, first 2 shown]
	s_add_u32 s20, s38, s0
	s_addc_u32 s0, s39, s1
	s_and_b32 s21, s0, 0xffff
	v_pack_b32_f16 v2, v0, v2
	v_pack_b32_f16 v3, v3, v4
	;; [unrolled: 1-line block ×4, first 2 shown]
	;;#ASMSTART
	v_pk_mul_f32 v[10:11], v[10:11], v[20:21]
	;;#ASMEND
	buffer_store_dwordx4 v[2:5], v1, s[20:23], 0 offen
	v_cvt_f16_f32_e32 v0, v16
	v_cvt_f16_f32_e32 v2, v17
	;; [unrolled: 1-line block ×8, first 2 shown]
	v_pack_b32_f16 v2, v0, v2
	v_pack_b32_f16 v3, v3, v4
	v_pack_b32_f16 v4, v5, v6
	v_pack_b32_f16 v5, v7, v8
	;;#ASMSTART
	s_nop 0
	;;#ASMEND
	buffer_store_dwordx4 v[2:5], v1, s[20:23], 16 offen
	;;#ASMSTART
	s_nop 0
	;;#ASMEND
	s_endpgm
	.section	.rodata,"a",@progbits
	.p2align	6, 0x0
	.amdhsa_kernel _ZN5aiter35fused_qk_rmsnorm_group_quant_kernelIDF16_DB8_Li256ELi16ELi4ELb1ELb0ELb0ELb0ELb0ELb0EEEvPT0_PvPT_S6_S6_PKS5_S8_S8_S8_S8_ffiiiiiiiiiiiii
		.amdhsa_group_segment_fixed_size 32
		.amdhsa_private_segment_fixed_size 0
		.amdhsa_kernarg_size 400
		.amdhsa_user_sgpr_count 6
		.amdhsa_user_sgpr_private_segment_buffer 1
		.amdhsa_user_sgpr_dispatch_ptr 0
		.amdhsa_user_sgpr_queue_ptr 0
		.amdhsa_user_sgpr_kernarg_segment_ptr 1
		.amdhsa_user_sgpr_dispatch_id 0
		.amdhsa_user_sgpr_flat_scratch_init 0
		.amdhsa_user_sgpr_kernarg_preload_length 0
		.amdhsa_user_sgpr_kernarg_preload_offset 0
		.amdhsa_user_sgpr_private_segment_size 0
		.amdhsa_uses_dynamic_stack 0
		.amdhsa_system_sgpr_private_segment_wavefront_offset 0
		.amdhsa_system_sgpr_workgroup_id_x 1
		.amdhsa_system_sgpr_workgroup_id_y 1
		.amdhsa_system_sgpr_workgroup_id_z 0
		.amdhsa_system_sgpr_workgroup_info 0
		.amdhsa_system_vgpr_workitem_id 0
		.amdhsa_next_free_vgpr 94
		.amdhsa_next_free_sgpr 44
		.amdhsa_accum_offset 96
		.amdhsa_reserve_vcc 1
		.amdhsa_reserve_flat_scratch 0
		.amdhsa_float_round_mode_32 0
		.amdhsa_float_round_mode_16_64 0
		.amdhsa_float_denorm_mode_32 3
		.amdhsa_float_denorm_mode_16_64 3
		.amdhsa_dx10_clamp 1
		.amdhsa_ieee_mode 1
		.amdhsa_fp16_overflow 0
		.amdhsa_tg_split 0
		.amdhsa_exception_fp_ieee_invalid_op 0
		.amdhsa_exception_fp_denorm_src 0
		.amdhsa_exception_fp_ieee_div_zero 0
		.amdhsa_exception_fp_ieee_overflow 0
		.amdhsa_exception_fp_ieee_underflow 0
		.amdhsa_exception_fp_ieee_inexact 0
		.amdhsa_exception_int_div_zero 0
	.end_amdhsa_kernel
	.section	.text._ZN5aiter35fused_qk_rmsnorm_group_quant_kernelIDF16_DB8_Li256ELi16ELi4ELb1ELb0ELb0ELb0ELb0ELb0EEEvPT0_PvPT_S6_S6_PKS5_S8_S8_S8_S8_ffiiiiiiiiiiiii,"axG",@progbits,_ZN5aiter35fused_qk_rmsnorm_group_quant_kernelIDF16_DB8_Li256ELi16ELi4ELb1ELb0ELb0ELb0ELb0ELb0EEEvPT0_PvPT_S6_S6_PKS5_S8_S8_S8_S8_ffiiiiiiiiiiiii,comdat
.Lfunc_end821:
	.size	_ZN5aiter35fused_qk_rmsnorm_group_quant_kernelIDF16_DB8_Li256ELi16ELi4ELb1ELb0ELb0ELb0ELb0ELb0EEEvPT0_PvPT_S6_S6_PKS5_S8_S8_S8_S8_ffiiiiiiiiiiiii, .Lfunc_end821-_ZN5aiter35fused_qk_rmsnorm_group_quant_kernelIDF16_DB8_Li256ELi16ELi4ELb1ELb0ELb0ELb0ELb0ELb0EEEvPT0_PvPT_S6_S6_PKS5_S8_S8_S8_S8_ffiiiiiiiiiiiii
                                        ; -- End function
	.section	.AMDGPU.csdata,"",@progbits
; Kernel info:
; codeLenInByte = 4032
; NumSgprs: 48
; NumVgprs: 94
; NumAgprs: 0
; TotalNumVgprs: 94
; ScratchSize: 0
; MemoryBound: 0
; FloatMode: 240
; IeeeMode: 1
; LDSByteSize: 32 bytes/workgroup (compile time only)
; SGPRBlocks: 5
; VGPRBlocks: 11
; NumSGPRsForWavesPerEU: 48
; NumVGPRsForWavesPerEU: 94
; AccumOffset: 96
; Occupancy: 5
; WaveLimiterHint : 0
; COMPUTE_PGM_RSRC2:SCRATCH_EN: 0
; COMPUTE_PGM_RSRC2:USER_SGPR: 6
; COMPUTE_PGM_RSRC2:TRAP_HANDLER: 0
; COMPUTE_PGM_RSRC2:TGID_X_EN: 1
; COMPUTE_PGM_RSRC2:TGID_Y_EN: 1
; COMPUTE_PGM_RSRC2:TGID_Z_EN: 0
; COMPUTE_PGM_RSRC2:TIDIG_COMP_CNT: 0
; COMPUTE_PGM_RSRC3_GFX90A:ACCUM_OFFSET: 23
; COMPUTE_PGM_RSRC3_GFX90A:TG_SPLIT: 0
	.section	.text._ZN5aiter35fused_qk_rmsnorm_group_quant_kernelItDB8_Li256ELi16ELi4ELb1ELb0ELb0ELb0ELb0ELb0EEEvPT0_PvPT_S6_S6_PKS5_S8_S8_S8_S8_ffiiiiiiiiiiiii,"axG",@progbits,_ZN5aiter35fused_qk_rmsnorm_group_quant_kernelItDB8_Li256ELi16ELi4ELb1ELb0ELb0ELb0ELb0ELb0EEEvPT0_PvPT_S6_S6_PKS5_S8_S8_S8_S8_ffiiiiiiiiiiiii,comdat
	.protected	_ZN5aiter35fused_qk_rmsnorm_group_quant_kernelItDB8_Li256ELi16ELi4ELb1ELb0ELb0ELb0ELb0ELb0EEEvPT0_PvPT_S6_S6_PKS5_S8_S8_S8_S8_ffiiiiiiiiiiiii ; -- Begin function _ZN5aiter35fused_qk_rmsnorm_group_quant_kernelItDB8_Li256ELi16ELi4ELb1ELb0ELb0ELb0ELb0ELb0EEEvPT0_PvPT_S6_S6_PKS5_S8_S8_S8_S8_ffiiiiiiiiiiiii
	.globl	_ZN5aiter35fused_qk_rmsnorm_group_quant_kernelItDB8_Li256ELi16ELi4ELb1ELb0ELb0ELb0ELb0ELb0EEEvPT0_PvPT_S6_S6_PKS5_S8_S8_S8_S8_ffiiiiiiiiiiiii
	.p2align	8
	.type	_ZN5aiter35fused_qk_rmsnorm_group_quant_kernelItDB8_Li256ELi16ELi4ELb1ELb0ELb0ELb0ELb0ELb0EEEvPT0_PvPT_S6_S6_PKS5_S8_S8_S8_S8_ffiiiiiiiiiiiii,@function
_ZN5aiter35fused_qk_rmsnorm_group_quant_kernelItDB8_Li256ELi16ELi4ELb1ELb0ELb0ELb0ELb0ELb0EEEvPT0_PvPT_S6_S6_PKS5_S8_S8_S8_S8_ffiiiiiiiiiiiii: ; @_ZN5aiter35fused_qk_rmsnorm_group_quant_kernelItDB8_Li256ELi16ELi4ELb1ELb0ELb0ELb0ELb0ELb0EEEvPT0_PvPT_S6_S6_PKS5_S8_S8_S8_S8_ffiiiiiiiiiiiii
; %bb.0:
	s_load_dwordx8 s[12:19], s[4:5], 0x50
	s_waitcnt lgkmcnt(0)
	s_cmp_ge_i32 s6, s14
	s_cbranch_scc1 .LBB822_17
; %bb.1:
	s_cmp_lg_u32 s7, 0
	s_cselect_b64 s[10:11], -1, 0
	s_cmp_eq_u32 s7, 0
	s_cselect_b64 s[8:9], -1, 0
	s_and_b64 s[0:1], s[8:9], exec
	s_load_dwordx2 s[20:21], s[4:5], 0x48
	s_load_dwordx2 s[36:37], s[4:5], 0x30
	s_load_dwordx4 s[24:27], s[4:5], 0x70
	s_cselect_b32 s7, s15, s16
	s_add_i32 s0, s7, 1
	s_lshr_b32 s1, s0, 31
	s_add_i32 s0, s0, s1
	s_lshl_b32 s0, s0, 1
	v_lshlrev_b32_e32 v1, 4, v0
	s_and_b32 s30, s0, -4
	v_cmp_gt_i32_e64 s[0:1], s7, v1
	v_mov_b32_e32 v82, 0
	v_mov_b32_e32 v83, 0
	;; [unrolled: 1-line block ×16, first 2 shown]
	s_and_saveexec_b64 s[2:3], s[0:1]
	s_cbranch_execz .LBB822_3
; %bb.2:
	s_load_dwordx2 s[22:23], s[4:5], 0x28
	s_load_dwordx2 s[28:29], s[4:5], 0x40
	s_and_b64 s[34:35], s[8:9], exec
	s_cselect_b32 s14, s17, s18
	s_mov_b32 s31, 0x20000
	s_waitcnt lgkmcnt(0)
	s_cselect_b32 s17, s23, s37
	s_cselect_b32 s27, s22, s36
	s_mul_hi_i32 s23, s14, s6
	s_mul_i32 s22, s14, s6
	s_lshl_b64 s[22:23], s[22:23], 1
	s_add_u32 s40, s27, s22
	s_addc_u32 s14, s17, s23
	s_and_b64 s[22:23], s[8:9], exec
	s_cselect_b32 s28, s28, s20
	s_cselect_b32 s17, s29, s21
	s_and_b32 s41, s14, 0xffff
	s_mov_b32 s42, s30
	s_mov_b32 s43, s31
	v_lshlrev_b32_e32 v2, 5, v0
	s_and_b32 s29, s17, 0xffff
	buffer_load_dwordx4 v[86:89], v2, s[40:43], 0 offen
	buffer_load_dwordx4 v[90:93], v2, s[40:43], 16 offen
	;; [unrolled: 1-line block ×4, first 2 shown]
.LBB822_3:
	s_or_b64 exec, exec, s[2:3]
	s_load_dwordx2 s[34:35], s[4:5], 0x80
	s_and_b64 vcc, exec, s[10:11]
	s_cbranch_vccz .LBB822_7
; %bb.4:
	v_mov_b32_e32 v95, 0
	v_mov_b32_e32 v94, 0
	v_mov_b32_e32 v15, 0
	v_mov_b32_e32 v14, 0
	v_mov_b32_e32 v19, 0
	v_mov_b32_e32 v18, 0
	v_mov_b32_e32 v43, 0
	v_mov_b32_e32 v42, 0
	v_mov_b32_e32 v33, 0
	v_mov_b32_e32 v32, 0
	v_mov_b32_e32 v51, 0
	v_mov_b32_e32 v50, 0
	v_mov_b32_e32 v25, 0
	v_mov_b32_e32 v24, 0
	v_mov_b32_e32 v63, 0
	v_mov_b32_e32 v62, 0
	s_and_saveexec_b64 s[2:3], s[0:1]
	s_cbranch_execz .LBB822_6
; %bb.5:
	s_waitcnt vmcnt(3)
	v_cvt_f32_u32_sdwa v62, v86 dst_sel:DWORD dst_unused:UNUSED_PAD src0_sel:WORD_0
	v_cvt_f32_u32_sdwa v63, v86 dst_sel:DWORD dst_unused:UNUSED_PAD src0_sel:WORD_1
	v_cvt_f32_u32_sdwa v24, v87 dst_sel:DWORD dst_unused:UNUSED_PAD src0_sel:WORD_0
	v_cvt_f32_u32_sdwa v25, v87 dst_sel:DWORD dst_unused:UNUSED_PAD src0_sel:WORD_1
	;; [unrolled: 2-line block ×4, first 2 shown]
	s_waitcnt vmcnt(2)
	v_cvt_f32_u32_sdwa v42, v90 dst_sel:DWORD dst_unused:UNUSED_PAD src0_sel:WORD_0
	v_cvt_f32_u32_sdwa v43, v90 dst_sel:DWORD dst_unused:UNUSED_PAD src0_sel:WORD_1
	v_cvt_f32_u32_sdwa v18, v91 dst_sel:DWORD dst_unused:UNUSED_PAD src0_sel:WORD_0
	v_cvt_f32_u32_sdwa v19, v91 dst_sel:DWORD dst_unused:UNUSED_PAD src0_sel:WORD_1
	;; [unrolled: 2-line block ×4, first 2 shown]
.LBB822_6:
	s_or_b64 exec, exec, s[2:3]
	s_cbranch_execz .LBB822_8
	s_branch .LBB822_11
.LBB822_7:
                                        ; implicit-def: $vgpr22_vgpr23_vgpr24_vgpr25_vgpr26_vgpr27_vgpr28_vgpr29_vgpr30_vgpr31_vgpr32_vgpr33_vgpr34_vgpr35_vgpr36_vgpr37
                                        ; implicit-def: $vgpr46_vgpr47_vgpr48_vgpr49_vgpr50_vgpr51_vgpr52_vgpr53_vgpr54_vgpr55_vgpr56_vgpr57_vgpr58_vgpr59_vgpr60_vgpr61
                                        ; implicit-def: $vgpr26_vgpr27_vgpr28_vgpr29_vgpr30_vgpr31_vgpr32_vgpr33_vgpr34_vgpr35_vgpr36_vgpr37_vgpr38_vgpr39_vgpr40_vgpr41
                                        ; implicit-def: $vgpr8_vgpr9_vgpr10_vgpr11_vgpr12_vgpr13_vgpr14_vgpr15_vgpr16_vgpr17_vgpr18_vgpr19_vgpr20_vgpr21_vgpr22_vgpr23
                                        ; implicit-def: $vgpr95
                                        ; implicit-def: $vgpr62_vgpr63_vgpr64_vgpr65_vgpr66_vgpr67_vgpr68_vgpr69_vgpr70_vgpr71_vgpr72_vgpr73_vgpr74_vgpr75_vgpr76_vgpr77
                                        ; implicit-def: $vgpr34_vgpr35_vgpr36_vgpr37_vgpr38_vgpr39_vgpr40_vgpr41_vgpr42_vgpr43_vgpr44_vgpr45_vgpr46_vgpr47_vgpr48_vgpr49
                                        ; implicit-def: $vgpr2_vgpr3_vgpr4_vgpr5_vgpr6_vgpr7_vgpr8_vgpr9_vgpr10_vgpr11_vgpr12_vgpr13_vgpr14_vgpr15_vgpr16_vgpr17
.LBB822_8:
	v_mov_b32_e32 v95, 0
	v_mov_b32_e32 v94, 0
	;; [unrolled: 1-line block ×16, first 2 shown]
	s_and_saveexec_b64 s[2:3], s[0:1]
	s_cbranch_execz .LBB822_10
; %bb.9:
	s_load_dwordx2 s[22:23], s[4:5], 0x38
	s_mul_hi_i32 s29, s19, s6
	s_mul_i32 s28, s19, s6
	s_lshl_b64 s[28:29], s[28:29], 1
	s_mov_b32 s31, 0x20000
	s_waitcnt lgkmcnt(0)
	s_add_u32 s28, s22, s28
	s_addc_u32 s14, s23, s29
	s_and_b32 s29, s14, 0xffff
	v_lshlrev_b32_e32 v38, 5, v0
	buffer_load_dwordx4 v[4:7], v38, s[28:31], 16 offen
	buffer_load_dwordx4 v[8:11], v38, s[28:31], 0 offen
	s_load_dwordx2 s[22:23], s[4:5], 0x20
	s_waitcnt vmcnt(5)
	v_cvt_f32_u32_sdwa v19, v86 dst_sel:DWORD dst_unused:UNUSED_PAD src0_sel:WORD_1
	v_cvt_f32_u32_sdwa v18, v86 dst_sel:DWORD dst_unused:UNUSED_PAD src0_sel:WORD_0
	v_cvt_f32_u32_sdwa v21, v87 dst_sel:DWORD dst_unused:UNUSED_PAD src0_sel:WORD_1
	v_cvt_f32_u32_sdwa v20, v87 dst_sel:DWORD dst_unused:UNUSED_PAD src0_sel:WORD_0
	;; [unrolled: 2-line block ×4, first 2 shown]
	s_waitcnt vmcnt(4)
	v_cvt_f32_u32_sdwa v3, v90 dst_sel:DWORD dst_unused:UNUSED_PAD src0_sel:WORD_1
	v_cvt_f32_u32_sdwa v2, v90 dst_sel:DWORD dst_unused:UNUSED_PAD src0_sel:WORD_0
	v_cvt_f32_u32_sdwa v13, v91 dst_sel:DWORD dst_unused:UNUSED_PAD src0_sel:WORD_1
	v_cvt_f32_u32_sdwa v12, v91 dst_sel:DWORD dst_unused:UNUSED_PAD src0_sel:WORD_0
	;; [unrolled: 2-line block ×3, first 2 shown]
	v_cvt_f32_u32_sdwa v16, v93 dst_sel:DWORD dst_unused:UNUSED_PAD src0_sel:WORD_0
	v_cvt_f32_u32_sdwa v17, v93 dst_sel:DWORD dst_unused:UNUSED_PAD src0_sel:WORD_1
	s_mul_hi_i32 s29, s35, s6
	s_mul_i32 s28, s35, s6
	s_lshl_b64 s[28:29], s[28:29], 1
	s_waitcnt lgkmcnt(0)
	s_add_u32 s28, s22, s28
	s_mov_b32 s14, 0x7060302
	s_addc_u32 s17, s23, s29
	s_and_b32 s29, s17, 0xffff
	s_waitcnt vmcnt(1)
	v_cvt_f32_u32_sdwa v27, v4 dst_sel:DWORD dst_unused:UNUSED_PAD src0_sel:WORD_1
	v_cvt_f32_u32_sdwa v26, v4 dst_sel:DWORD dst_unused:UNUSED_PAD src0_sel:WORD_0
	v_cvt_f32_u32_sdwa v29, v5 dst_sel:DWORD dst_unused:UNUSED_PAD src0_sel:WORD_1
	v_cvt_f32_u32_sdwa v28, v5 dst_sel:DWORD dst_unused:UNUSED_PAD src0_sel:WORD_0
	;; [unrolled: 2-line block ×3, first 2 shown]
	v_cvt_f32_u32_sdwa v34, v7 dst_sel:DWORD dst_unused:UNUSED_PAD src0_sel:WORD_0
	v_cvt_f32_u32_sdwa v35, v7 dst_sel:DWORD dst_unused:UNUSED_PAD src0_sel:WORD_1
	s_waitcnt vmcnt(0)
	v_cvt_f32_u32_sdwa v37, v8 dst_sel:DWORD dst_unused:UNUSED_PAD src0_sel:WORD_1
	v_cvt_f32_u32_sdwa v36, v8 dst_sel:DWORD dst_unused:UNUSED_PAD src0_sel:WORD_0
	v_cvt_f32_u32_sdwa v5, v10 dst_sel:DWORD dst_unused:UNUSED_PAD src0_sel:WORD_1
	v_cvt_f32_u32_sdwa v4, v10 dst_sel:DWORD dst_unused:UNUSED_PAD src0_sel:WORD_0
	;; [unrolled: 2-line block ×4, first 2 shown]
	v_pk_add_f32 v[50:51], v[22:23], v[4:5]
	v_pk_add_f32 v[32:33], v[24:25], v[6:7]
	v_pk_add_f32 v[62:63], v[18:19], v[36:37]
	v_pk_add_f32 v[24:25], v[20:21], v[10:11]
	v_perm_b32 v7, v33, v32, s14
	v_perm_b32 v6, v51, v50, s14
	;; [unrolled: 1-line block ×4, first 2 shown]
	v_pk_add_f32 v[94:95], v[16:17], v[34:35]
	v_pk_add_f32 v[14:15], v[14:15], v[30:31]
	;; [unrolled: 1-line block ×4, first 2 shown]
	buffer_store_dwordx4 v[4:7], v38, s[28:31], 0 offen
	;;#ASMSTART
	s_nop 0
	;;#ASMEND
	s_nop 0
	v_perm_b32 v7, v95, v94, s14
	v_perm_b32 v6, v15, v14, s14
	;; [unrolled: 1-line block ×4, first 2 shown]
	buffer_store_dwordx4 v[4:7], v38, s[28:31], 16 offen
	;;#ASMSTART
	s_nop 0
	;;#ASMEND
.LBB822_10:
	s_or_b64 exec, exec, s[2:3]
.LBB822_11:
	v_mul_f32_e32 v2, v63, v63
	v_fmac_f32_e32 v2, v62, v62
	v_fmac_f32_e32 v2, v24, v24
	;; [unrolled: 1-line block ×15, first 2 shown]
	s_nop 1
	v_mov_b32_dpp v3, v2 quad_perm:[1,0,3,2] row_mask:0xf bank_mask:0xf
	v_add_f32_e32 v2, v2, v3
	s_nop 1
	v_mov_b32_dpp v3, v2 quad_perm:[2,3,0,1] row_mask:0xf bank_mask:0xf
	v_add_f32_e32 v2, v2, v3
	s_nop 1
	v_mov_b32_dpp v3, v2 row_half_mirror row_mask:0xf bank_mask:0xf
	v_add_f32_e32 v2, v2, v3
	s_nop 1
	v_mov_b32_dpp v3, v2 row_mirror row_mask:0xf bank_mask:0xf
	v_add_f32_e32 v2, v2, v3
	s_nop 1
	v_mov_b32_dpp v3, v2 row_bcast:15 row_mask:0xf bank_mask:0xf
	v_add_f32_e32 v2, v2, v3
	v_and_b32_e32 v3, 63, v0
	v_cmp_eq_u32_e64 s[2:3], 63, v3
	s_nop 0
	v_mov_b32_dpp v3, v2 row_bcast:31 row_mask:0xf bank_mask:0xf
	s_and_saveexec_b64 s[22:23], s[2:3]
	s_cbranch_execz .LBB822_13
; %bb.12:
	v_add_f32_e32 v2, v2, v3
	v_lshrrev_b32_e32 v3, 4, v0
	v_and_b32_e32 v3, 60, v3
	ds_write_b32 v3, v2 offset:16
.LBB822_13:
	s_or_b64 exec, exec, s[22:23]
	v_and_b32_e32 v2, 3, v0
	v_lshlrev_b32_e32 v34, 2, v2
	s_waitcnt lgkmcnt(0)
	s_barrier
	ds_read_b32 v3, v34 offset:16
	s_load_dwordx2 s[38:39], s[4:5], 0x18
	s_waitcnt lgkmcnt(0)
	v_mov_b32_dpp v4, v3 quad_perm:[1,0,3,2] row_mask:0xf bank_mask:0xf
	v_add_f32_e32 v3, v3, v4
	s_nop 1
	v_mov_b32_dpp v4, v3 quad_perm:[2,3,0,1] row_mask:0xf bank_mask:0xf
	s_and_saveexec_b64 s[22:23], s[0:1]
	s_cbranch_execnz .LBB822_18
; %bb.14:
	s_or_b64 exec, exec, s[22:23]
	s_mov_b64 s[8:9], -1
	s_and_b64 vcc, exec, s[10:11]
	s_cbranch_vccnz .LBB822_19
.LBB822_15:
	s_andn2_b64 vcc, exec, s[8:9]
	s_cbranch_vccz .LBB822_22
.LBB822_16:
	s_cmp_lt_i32 s16, 1
	s_cbranch_scc0 .LBB822_29
.LBB822_17:
	s_endpgm
.LBB822_18:
	v_add_f32_e32 v3, v3, v4
	v_cvt_f32_u32_e32 v4, s7
	s_mov_b32 s7, 0x800000
	s_waitcnt vmcnt(1)
	v_cvt_f32_u32_sdwa v21, v82 dst_sel:DWORD dst_unused:UNUSED_PAD src0_sel:WORD_1
	v_cvt_f32_u32_sdwa v20, v82 dst_sel:DWORD dst_unused:UNUSED_PAD src0_sel:WORD_0
	v_div_scale_f32 v5, s[28:29], v4, v4, v3
	v_rcp_f32_e32 v6, v5
	v_cvt_f32_u32_sdwa v23, v83 dst_sel:DWORD dst_unused:UNUSED_PAD src0_sel:WORD_1
	v_cvt_f32_u32_sdwa v22, v83 dst_sel:DWORD dst_unused:UNUSED_PAD src0_sel:WORD_0
	s_waitcnt vmcnt(0)
	v_cvt_f32_u32_sdwa v27, v80 dst_sel:DWORD dst_unused:UNUSED_PAD src0_sel:WORD_1
	v_fma_f32 v7, -v5, v6, 1.0
	v_fmac_f32_e32 v6, v7, v6
	v_div_scale_f32 v7, vcc, v3, v4, v3
	v_mul_f32_e32 v8, v7, v6
	v_fma_f32 v9, -v5, v8, v7
	v_fmac_f32_e32 v8, v9, v6
	v_fma_f32 v5, -v5, v8, v7
	v_div_fmas_f32 v5, v5, v6, v8
	v_div_fixup_f32 v3, v5, v4, v3
	v_mov_b32_e32 v4, s13
	v_mov_b32_e32 v5, s12
	v_cndmask_b32_e64 v4, v4, v5, s[8:9]
	v_add_f32_e32 v3, v4, v3
	v_mul_f32_e32 v4, 0x4b800000, v3
	v_cmp_gt_f32_e32 vcc, s7, v3
	v_cndmask_b32_e32 v3, v3, v4, vcc
	v_rsq_f32_e32 v3, v3
	v_cvt_f32_u32_sdwa v26, v80 dst_sel:DWORD dst_unused:UNUSED_PAD src0_sel:WORD_0
	v_cvt_f32_u32_sdwa v29, v81 dst_sel:DWORD dst_unused:UNUSED_PAD src0_sel:WORD_1
	v_cvt_f32_u32_sdwa v28, v81 dst_sel:DWORD dst_unused:UNUSED_PAD src0_sel:WORD_0
	v_mul_f32_e32 v4, 0x45800000, v3
	v_cndmask_b32_e32 v4, v3, v4, vcc
	v_mov_b32_e32 v5, v4
	;;#ASMSTART
	v_pk_mul_f32 v[6:7], v[62:63], v[4:5]
	;;#ASMEND
	;;#ASMSTART
	v_pk_mul_f32 v[8:9], v[24:25], v[4:5]
	;;#ASMEND
	;; [unrolled: 3-line block ×10, first 2 shown]
	v_cvt_f32_u32_sdwa v7, v84 dst_sel:DWORD dst_unused:UNUSED_PAD src0_sel:WORD_1
	v_cvt_f32_u32_sdwa v6, v84 dst_sel:DWORD dst_unused:UNUSED_PAD src0_sel:WORD_0
	v_cvt_f32_u32_sdwa v9, v85 dst_sel:DWORD dst_unused:UNUSED_PAD src0_sel:WORD_1
	v_cvt_f32_u32_sdwa v8, v85 dst_sel:DWORD dst_unused:UNUSED_PAD src0_sel:WORD_0
	;; [unrolled: 2-line block ×4, first 2 shown]
	;;#ASMSTART
	v_pk_mul_f32 v[50:51], v[10:11], v[6:7]
	;;#ASMEND
	;;#ASMSTART
	v_pk_mul_f32 v[32:33], v[12:13], v[8:9]
	;;#ASMEND
	;; [unrolled: 3-line block ×6, first 2 shown]
	s_or_b64 exec, exec, s[22:23]
	s_mov_b64 s[8:9], -1
	s_and_b64 vcc, exec, s[10:11]
	s_cbranch_vccz .LBB822_15
.LBB822_19:
	s_and_saveexec_b64 s[8:9], s[0:1]
	s_cbranch_execz .LBB822_21
; %bb.20:
	s_mul_hi_i32 s11, s34, s6
	s_mul_i32 s10, s34, s6
	s_lshl_b64 s[10:11], s[10:11], 1
	s_add_u32 s28, s38, s10
	s_addc_u32 s7, s39, s11
	s_and_b32 s29, s7, 0xffff
	s_mov_b32 s7, 0x7060302
	s_mov_b32 s31, 0x20000
	v_perm_b32 v7, v33, v32, s7
	v_perm_b32 v6, v51, v50, s7
	;; [unrolled: 1-line block ×4, first 2 shown]
	v_lshlrev_b32_e32 v3, 5, v0
	buffer_store_dwordx4 v[4:7], v3, s[28:31], 0 offen
	;;#ASMSTART
	s_nop 0
	;;#ASMEND
	s_nop 0
	v_perm_b32 v7, v95, v94, s7
	v_perm_b32 v6, v15, v14, s7
	;; [unrolled: 1-line block ×4, first 2 shown]
	buffer_store_dwordx4 v[4:7], v3, s[28:31], 16 offen
	;;#ASMSTART
	s_nop 0
	;;#ASMEND
.LBB822_21:
	s_or_b64 exec, exec, s[8:9]
	s_cbranch_execnz .LBB822_16
.LBB822_22:
	v_mov_b32_e32 v3, 0
	s_and_saveexec_b64 s[8:9], s[0:1]
	s_cbranch_execz .LBB822_24
; %bb.23:
	v_and_b32_e32 v3, 0x7fffffff, v62
	v_and_b32_e32 v4, 0x7fffffff, v63
	v_mov_b32_e32 v5, 0x2edbe6ff
	;;#ASMSTART
	v_max3_f32 v3, v5, v3, v4

	;;#ASMEND
	v_and_b32_e32 v4, 0x7fffffff, v24
	v_and_b32_e32 v5, 0x7fffffff, v25
	;;#ASMSTART
	v_max3_f32 v3, v3, v4, v5

	;;#ASMEND
	v_and_b32_e32 v4, 0x7fffffff, v50
	v_and_b32_e32 v5, 0x7fffffff, v51
	;; [unrolled: 6-line block ×7, first 2 shown]
	;;#ASMSTART
	v_max3_f32 v3, v3, v4, v5

	;;#ASMEND
.LBB822_24:
	s_or_b64 exec, exec, s[8:9]
	;;#ASMSTART
	v_max_f32 v4, v3, v3 quad_perm:[1,0,3,2] row_mask:0xf bank_mask:0xf bound_ctrl:1
	;;#ASMEND
	;;#ASMSTART
	v_max_f32 v3, v4, v4 quad_perm:[2,3,0,1] row_mask:0xf bank_mask:0xf bound_ctrl:1
	;;#ASMEND
	v_cmp_eq_u32_e32 vcc, 0, v2
	v_cmp_gt_i32_e64 s[8:9], s15, v1
	v_mul_f32_e32 v3, 0x3b124925, v3
	s_and_b64 s[10:11], vcc, s[8:9]
	s_and_saveexec_b64 s[8:9], s[10:11]
	s_cbranch_execz .LBB822_26
; %bb.25:
	s_load_dwordx2 s[10:11], s[4:5], 0x8
	s_mul_hi_i32 s23, s25, s6
	s_mul_i32 s22, s25, s6
	v_lshrrev_b32_e32 v2, 2, v0
	s_lshl_b64 s[22:23], s[22:23], 2
	v_mad_i64_i32 v[4:5], s[26:27], s26, v2, 0
	s_waitcnt lgkmcnt(0)
	s_add_u32 s7, s10, s22
	s_addc_u32 s10, s11, s23
	v_lshlrev_b64 v[4:5], 2, v[4:5]
	v_mov_b32_e32 v2, s10
	v_add_co_u32_e32 v4, vcc, s7, v4
	v_addc_co_u32_e32 v5, vcc, v2, v5, vcc
	global_store_dword v[4:5], v3, off
.LBB822_26:
	s_or_b64 exec, exec, s[8:9]
	;;#ASMSTART
	v_rcp_f32 v2, v3
	;;#ASMEND
	s_and_saveexec_b64 s[22:23], s[0:1]
	s_cbranch_execz .LBB822_28
; %bb.27:
	v_mov_b32_e32 v3, v2
	;;#ASMSTART
	v_pk_mul_f32 v[4:5], v[62:63], v[2:3]
	;;#ASMEND
	v_mov_b32_e32 v10, 0xc3e00000
	v_mov_b32_e32 v11, 0x43e00000
	;;#ASMSTART
	v_med3_f32 v4, v4, v10, v11
v_med3_f32 v5, v5, v10, v11
v_cvt_pk_fp8_f32 v6, v4, v5
	;;#ASMEND
	;;#ASMSTART
	v_pk_mul_f32 v[4:5], v[24:25], v[2:3]
	;;#ASMEND
	;;#ASMSTART
	v_med3_f32 v4, v4, v10, v11
v_med3_f32 v5, v5, v10, v11
v_cvt_pk_fp8_f32 v7, v4, v5
	;;#ASMEND
	;;#ASMSTART
	v_pk_mul_f32 v[4:5], v[50:51], v[2:3]
	;;#ASMEND
	;; [unrolled: 8-line block ×3, first 2 shown]
	;;#ASMSTART
	v_med3_f32 v4, v4, v10, v11
v_med3_f32 v5, v5, v10, v11
v_cvt_pk_fp8_f32 v9, v4, v5
	;;#ASMEND
	s_mov_b32 s0, 0x5040100
	v_perm_b32 v4, v7, v6, s0
	s_mov_b32 s0, 0x1060504
	v_perm_b32 v4, v4, v7, s0
	s_load_dwordx2 s[0:1], s[4:5], 0x0
	s_mov_b32 s7, 0x1000504
	;;#ASMSTART
	v_pk_mul_f32 v[6:7], v[42:43], v[2:3]
	;;#ASMEND
	v_perm_b32 v5, v8, v9, s7
	s_mul_i32 s8, s24, s6
	;;#ASMSTART
	v_med3_f32 v6, v6, v10, v11
v_med3_f32 v7, v7, v10, v11
v_cvt_pk_fp8_f32 v8, v6, v7
	;;#ASMEND
	s_mul_hi_i32 s9, s24, s6
	s_waitcnt lgkmcnt(0)
	s_add_u32 s8, s0, s8
	;;#ASMSTART
	v_pk_mul_f32 v[6:7], v[18:19], v[2:3]
	;;#ASMEND
	s_addc_u32 s0, s1, s9
	s_add_i32 s1, s15, 3
	;;#ASMSTART
	v_med3_f32 v6, v6, v10, v11
v_med3_f32 v7, v7, v10, v11
v_cvt_pk_fp8_f32 v9, v6, v7
	;;#ASMEND
	s_ashr_i32 s9, s1, 31
	v_perm_b32 v6, v8, v9, s7
	;;#ASMSTART
	v_pk_mul_f32 v[8:9], v[14:15], v[2:3]
	;;#ASMEND
	v_mov_b32_e32 v7, v8
	s_lshr_b32 s9, s9, 30
	;;#ASMSTART
	v_med3_f32 v7, v7, v10, v11
v_med3_f32 v9, v9, v10, v11
v_cvt_pk_fp8_f32 v8, v7, v9
	;;#ASMEND
	;;#ASMSTART
	v_pk_mul_f32 v[2:3], v[94:95], v[2:3]
	;;#ASMEND
	s_add_i32 s1, s1, s9
	;;#ASMSTART
	v_med3_f32 v2, v2, v10, v11
v_med3_f32 v3, v3, v10, v11
v_cvt_pk_fp8_f32 v7, v2, v3
	;;#ASMEND
	s_and_b32 s10, s1, -4
	s_and_b32 s9, s0, 0xffff
	s_mov_b32 s11, 0x20000
	v_perm_b32 v7, v8, v7, s7
	buffer_store_dwordx4 v[4:7], v1, s[8:11], 0 offen
	;;#ASMSTART
	s_nop 0
	;;#ASMEND
.LBB822_28:
	s_or_b64 exec, exec, s[22:23]
	s_cmp_lt_i32 s16, 1
	s_cbranch_scc1 .LBB822_17
.LBB822_29:
	s_load_dword s0, s[4:5], 0x94
	s_waitcnt lgkmcnt(0)
	s_cmp_lg_u32 s0, 1
	s_cbranch_scc1 .LBB822_17
; %bb.30:
	s_lshl_b32 s0, s16, 1
	s_add_i32 s0, s0, 2
	v_cmp_gt_u32_e32 vcc, s16, v1
	s_and_b32 s22, s0, -4
	v_mov_b32_e32 v18, 0
	v_lshlrev_b32_e32 v1, 5, v0
	v_mov_b32_e32 v14, 0
	v_mov_b32_e32 v15, 0
	;; [unrolled: 1-line block ×16, first 2 shown]
	s_barrier
	s_and_saveexec_b64 s[0:1], vcc
	s_cbranch_execz .LBB822_32
; %bb.31:
	s_mul_hi_i32 s5, s18, s6
	s_mul_i32 s4, s18, s6
	s_and_b32 s21, s21, 0xffff
	s_lshl_b64 s[4:5], s[4:5], 1
	s_add_u32 s8, s36, s4
	s_mov_b32 s23, 0x20000
	s_addc_u32 s4, s37, s5
	s_and_b32 s9, s4, 0xffff
	s_mov_b32 s10, s22
	s_mov_b32 s11, s23
	buffer_load_dwordx4 v[14:17], v1, s[8:11], 0 offen
	buffer_load_dwordx4 v[10:13], v1, s[8:11], 16 offen
	;; [unrolled: 1-line block ×4, first 2 shown]
.LBB822_32:
	s_or_b64 exec, exec, s[0:1]
	v_mov_b32_e32 v19, 0
	v_mov_b32_e32 v32, 0
	;; [unrolled: 1-line block ×15, first 2 shown]
	s_and_saveexec_b64 s[0:1], vcc
	s_cbranch_execz .LBB822_34
; %bb.33:
	s_waitcnt vmcnt(3)
	v_cvt_f32_u32_sdwa v18, v14 dst_sel:DWORD dst_unused:UNUSED_PAD src0_sel:WORD_0
	v_cvt_f32_u32_sdwa v19, v14 dst_sel:DWORD dst_unused:UNUSED_PAD src0_sel:WORD_1
	v_cvt_f32_u32_sdwa v32, v15 dst_sel:DWORD dst_unused:UNUSED_PAD src0_sel:WORD_0
	v_cvt_f32_u32_sdwa v33, v15 dst_sel:DWORD dst_unused:UNUSED_PAD src0_sel:WORD_1
	;; [unrolled: 2-line block ×4, first 2 shown]
	s_waitcnt vmcnt(2)
	v_cvt_f32_u32_sdwa v26, v10 dst_sel:DWORD dst_unused:UNUSED_PAD src0_sel:WORD_0
	v_cvt_f32_u32_sdwa v27, v10 dst_sel:DWORD dst_unused:UNUSED_PAD src0_sel:WORD_1
	v_cvt_f32_u32_sdwa v24, v11 dst_sel:DWORD dst_unused:UNUSED_PAD src0_sel:WORD_0
	v_cvt_f32_u32_sdwa v25, v11 dst_sel:DWORD dst_unused:UNUSED_PAD src0_sel:WORD_1
	;; [unrolled: 2-line block ×4, first 2 shown]
.LBB822_34:
	s_or_b64 exec, exec, s[0:1]
	s_waitcnt vmcnt(2)
	v_mul_f32_e32 v10, v19, v19
	v_fmac_f32_e32 v10, v18, v18
	v_fmac_f32_e32 v10, v32, v32
	;; [unrolled: 1-line block ×15, first 2 shown]
	s_nop 1
	v_mov_b32_dpp v11, v10 quad_perm:[1,0,3,2] row_mask:0xf bank_mask:0xf
	v_add_f32_e32 v10, v10, v11
	s_nop 1
	v_mov_b32_dpp v11, v10 quad_perm:[2,3,0,1] row_mask:0xf bank_mask:0xf
	v_add_f32_e32 v10, v10, v11
	s_nop 1
	v_mov_b32_dpp v11, v10 row_half_mirror row_mask:0xf bank_mask:0xf
	v_add_f32_e32 v10, v10, v11
	s_nop 1
	v_mov_b32_dpp v11, v10 row_mirror row_mask:0xf bank_mask:0xf
	v_add_f32_e32 v10, v10, v11
	s_nop 1
	v_mov_b32_dpp v11, v10 row_bcast:15 row_mask:0xf bank_mask:0xf
	v_add_f32_e32 v10, v10, v11
	s_nop 1
	v_mov_b32_dpp v11, v10 row_bcast:31 row_mask:0xf bank_mask:0xf
	s_and_saveexec_b64 s[0:1], s[2:3]
	s_cbranch_execz .LBB822_36
; %bb.35:
	v_lshrrev_b32_e32 v0, 4, v0
	v_add_f32_e32 v10, v10, v11
	v_and_b32_e32 v0, 60, v0
	ds_write_b32 v0, v10
.LBB822_36:
	s_or_b64 exec, exec, s[0:1]
	s_waitcnt lgkmcnt(0)
	s_barrier
	ds_read_b32 v0, v34
	s_waitcnt lgkmcnt(0)
	s_nop 0
	v_mov_b32_dpp v10, v0 quad_perm:[1,0,3,2] row_mask:0xf bank_mask:0xf
	v_add_f32_e32 v0, v0, v10
	s_nop 1
	v_mov_b32_dpp v10, v0 quad_perm:[2,3,0,1] row_mask:0xf bank_mask:0xf
	s_and_saveexec_b64 s[0:1], vcc
	s_cbranch_execz .LBB822_17
; %bb.37:
	v_cvt_f32_u32_e32 v11, s16
	v_add_f32_e32 v0, v0, v10
	s_mov_b32 s23, 0x20000
	v_div_scale_f32 v10, s[0:1], v11, v11, v0
	v_rcp_f32_e32 v12, v10
	v_div_scale_f32 v13, vcc, v0, v11, v0
	s_mov_b32 s0, 0x800000
	v_fma_f32 v14, -v10, v12, 1.0
	v_fmac_f32_e32 v12, v14, v12
	v_mul_f32_e32 v14, v13, v12
	v_fma_f32 v15, -v10, v14, v13
	v_fmac_f32_e32 v14, v15, v12
	v_fma_f32 v10, -v10, v14, v13
	v_div_fmas_f32 v10, v10, v12, v14
	v_div_fixup_f32 v0, v10, v11, v0
	v_add_f32_e32 v0, s13, v0
	v_mul_f32_e32 v10, 0x4b800000, v0
	v_cmp_gt_f32_e32 vcc, s0, v0
	v_cndmask_b32_e32 v0, v0, v10, vcc
	v_rsq_f32_e32 v0, v0
	s_mul_hi_i32 s1, s34, s6
	s_mul_i32 s0, s34, s6
	s_lshl_b64 s[0:1], s[0:1], 1
	v_mul_f32_e32 v10, 0x45800000, v0
	v_cndmask_b32_e32 v10, v0, v10, vcc
	v_mov_b32_e32 v11, v10
	s_add_u32 s20, s38, s0
	;;#ASMSTART
	v_pk_mul_f32 v[12:13], v[18:19], v[10:11]
	;;#ASMEND
	;;#ASMSTART
	v_pk_mul_f32 v[14:15], v[32:33], v[10:11]
	;;#ASMEND
	;; [unrolled: 3-line block ×8, first 2 shown]
	s_waitcnt vmcnt(1)
	v_cvt_f32_u32_sdwa v21, v6 dst_sel:DWORD dst_unused:UNUSED_PAD src0_sel:WORD_1
	v_cvt_f32_u32_sdwa v20, v6 dst_sel:DWORD dst_unused:UNUSED_PAD src0_sel:WORD_0
	v_cvt_f32_u32_sdwa v29, v7 dst_sel:DWORD dst_unused:UNUSED_PAD src0_sel:WORD_1
	v_cvt_f32_u32_sdwa v28, v7 dst_sel:DWORD dst_unused:UNUSED_PAD src0_sel:WORD_0
	;; [unrolled: 2-line block ×3, first 2 shown]
	s_addc_u32 s0, s39, s1
	v_cvt_f32_u32_sdwa v31, v9 dst_sel:DWORD dst_unused:UNUSED_PAD src0_sel:WORD_1
	v_cvt_f32_u32_sdwa v30, v9 dst_sel:DWORD dst_unused:UNUSED_PAD src0_sel:WORD_0
	;;#ASMSTART
	v_pk_mul_f32 v[8:9], v[12:13], v[20:21]
	;;#ASMEND
	;;#ASMSTART
	v_pk_mul_f32 v[12:13], v[14:15], v[28:29]
	;;#ASMEND
	;; [unrolled: 3-line block ×4, first 2 shown]
	s_waitcnt vmcnt(0)
	v_cvt_f32_u32_sdwa v17, v2 dst_sel:DWORD dst_unused:UNUSED_PAD src0_sel:WORD_1
	v_cvt_f32_u32_sdwa v16, v2 dst_sel:DWORD dst_unused:UNUSED_PAD src0_sel:WORD_0
	v_cvt_f32_u32_sdwa v19, v3 dst_sel:DWORD dst_unused:UNUSED_PAD src0_sel:WORD_1
	v_cvt_f32_u32_sdwa v18, v3 dst_sel:DWORD dst_unused:UNUSED_PAD src0_sel:WORD_0
	;; [unrolled: 2-line block ×3, first 2 shown]
	s_and_b32 s21, s0, 0xffff
	s_mov_b32 s0, 0x7060302
	v_cvt_f32_u32_sdwa v21, v5 dst_sel:DWORD dst_unused:UNUSED_PAD src0_sel:WORD_1
	v_cvt_f32_u32_sdwa v20, v5 dst_sel:DWORD dst_unused:UNUSED_PAD src0_sel:WORD_0
	;;#ASMSTART
	v_pk_mul_f32 v[16:17], v[26:27], v[16:17]
	;;#ASMEND
	;;#ASMSTART
	v_pk_mul_f32 v[18:19], v[24:25], v[18:19]
	;;#ASMEND
	;; [unrolled: 3-line block ×3, first 2 shown]
	v_perm_b32 v2, v9, v8, s0
	v_perm_b32 v3, v13, v12, s0
	;; [unrolled: 1-line block ×4, first 2 shown]
	;;#ASMSTART
	v_pk_mul_f32 v[10:11], v[10:11], v[20:21]
	;;#ASMEND
	buffer_store_dwordx4 v[2:5], v1, s[20:23], 0 offen
	;;#ASMSTART
	s_nop 0
	;;#ASMEND
	s_nop 0
	v_perm_b32 v2, v17, v16, s0
	v_perm_b32 v3, v19, v18, s0
	;; [unrolled: 1-line block ×4, first 2 shown]
	buffer_store_dwordx4 v[2:5], v1, s[20:23], 16 offen
	;;#ASMSTART
	s_nop 0
	;;#ASMEND
	s_endpgm
	.section	.rodata,"a",@progbits
	.p2align	6, 0x0
	.amdhsa_kernel _ZN5aiter35fused_qk_rmsnorm_group_quant_kernelItDB8_Li256ELi16ELi4ELb1ELb0ELb0ELb0ELb0ELb0EEEvPT0_PvPT_S6_S6_PKS5_S8_S8_S8_S8_ffiiiiiiiiiiiii
		.amdhsa_group_segment_fixed_size 32
		.amdhsa_private_segment_fixed_size 0
		.amdhsa_kernarg_size 400
		.amdhsa_user_sgpr_count 6
		.amdhsa_user_sgpr_private_segment_buffer 1
		.amdhsa_user_sgpr_dispatch_ptr 0
		.amdhsa_user_sgpr_queue_ptr 0
		.amdhsa_user_sgpr_kernarg_segment_ptr 1
		.amdhsa_user_sgpr_dispatch_id 0
		.amdhsa_user_sgpr_flat_scratch_init 0
		.amdhsa_user_sgpr_kernarg_preload_length 0
		.amdhsa_user_sgpr_kernarg_preload_offset 0
		.amdhsa_user_sgpr_private_segment_size 0
		.amdhsa_uses_dynamic_stack 0
		.amdhsa_system_sgpr_private_segment_wavefront_offset 0
		.amdhsa_system_sgpr_workgroup_id_x 1
		.amdhsa_system_sgpr_workgroup_id_y 1
		.amdhsa_system_sgpr_workgroup_id_z 0
		.amdhsa_system_sgpr_workgroup_info 0
		.amdhsa_system_vgpr_workitem_id 0
		.amdhsa_next_free_vgpr 96
		.amdhsa_next_free_sgpr 44
		.amdhsa_accum_offset 96
		.amdhsa_reserve_vcc 1
		.amdhsa_reserve_flat_scratch 0
		.amdhsa_float_round_mode_32 0
		.amdhsa_float_round_mode_16_64 0
		.amdhsa_float_denorm_mode_32 3
		.amdhsa_float_denorm_mode_16_64 3
		.amdhsa_dx10_clamp 1
		.amdhsa_ieee_mode 1
		.amdhsa_fp16_overflow 0
		.amdhsa_tg_split 0
		.amdhsa_exception_fp_ieee_invalid_op 0
		.amdhsa_exception_fp_denorm_src 0
		.amdhsa_exception_fp_ieee_div_zero 0
		.amdhsa_exception_fp_ieee_overflow 0
		.amdhsa_exception_fp_ieee_underflow 0
		.amdhsa_exception_fp_ieee_inexact 0
		.amdhsa_exception_int_div_zero 0
	.end_amdhsa_kernel
	.section	.text._ZN5aiter35fused_qk_rmsnorm_group_quant_kernelItDB8_Li256ELi16ELi4ELb1ELb0ELb0ELb0ELb0ELb0EEEvPT0_PvPT_S6_S6_PKS5_S8_S8_S8_S8_ffiiiiiiiiiiiii,"axG",@progbits,_ZN5aiter35fused_qk_rmsnorm_group_quant_kernelItDB8_Li256ELi16ELi4ELb1ELb0ELb0ELb0ELb0ELb0EEEvPT0_PvPT_S6_S6_PKS5_S8_S8_S8_S8_ffiiiiiiiiiiiii,comdat
.Lfunc_end822:
	.size	_ZN5aiter35fused_qk_rmsnorm_group_quant_kernelItDB8_Li256ELi16ELi4ELb1ELb0ELb0ELb0ELb0ELb0EEEvPT0_PvPT_S6_S6_PKS5_S8_S8_S8_S8_ffiiiiiiiiiiiii, .Lfunc_end822-_ZN5aiter35fused_qk_rmsnorm_group_quant_kernelItDB8_Li256ELi16ELi4ELb1ELb0ELb0ELb0ELb0ELb0EEEvPT0_PvPT_S6_S6_PKS5_S8_S8_S8_S8_ffiiiiiiiiiiiii
                                        ; -- End function
	.section	.AMDGPU.csdata,"",@progbits
; Kernel info:
; codeLenInByte = 4064
; NumSgprs: 48
; NumVgprs: 96
; NumAgprs: 0
; TotalNumVgprs: 96
; ScratchSize: 0
; MemoryBound: 0
; FloatMode: 240
; IeeeMode: 1
; LDSByteSize: 32 bytes/workgroup (compile time only)
; SGPRBlocks: 5
; VGPRBlocks: 11
; NumSGPRsForWavesPerEU: 48
; NumVGPRsForWavesPerEU: 96
; AccumOffset: 96
; Occupancy: 5
; WaveLimiterHint : 0
; COMPUTE_PGM_RSRC2:SCRATCH_EN: 0
; COMPUTE_PGM_RSRC2:USER_SGPR: 6
; COMPUTE_PGM_RSRC2:TRAP_HANDLER: 0
; COMPUTE_PGM_RSRC2:TGID_X_EN: 1
; COMPUTE_PGM_RSRC2:TGID_Y_EN: 1
; COMPUTE_PGM_RSRC2:TGID_Z_EN: 0
; COMPUTE_PGM_RSRC2:TIDIG_COMP_CNT: 0
; COMPUTE_PGM_RSRC3_GFX90A:ACCUM_OFFSET: 23
; COMPUTE_PGM_RSRC3_GFX90A:TG_SPLIT: 0
	.section	.text._ZN5aiter35fused_qk_rmsnorm_group_quant_kernelIDF16_N4opus5fp4_tELi256ELi16ELi4ELb1ELb0ELb0ELb0ELb0ELb0EEEvPT0_PvPT_S7_S7_PKS6_S9_S9_S9_S9_ffiiiiiiiiiiiii,"axG",@progbits,_ZN5aiter35fused_qk_rmsnorm_group_quant_kernelIDF16_N4opus5fp4_tELi256ELi16ELi4ELb1ELb0ELb0ELb0ELb0ELb0EEEvPT0_PvPT_S7_S7_PKS6_S9_S9_S9_S9_ffiiiiiiiiiiiii,comdat
	.protected	_ZN5aiter35fused_qk_rmsnorm_group_quant_kernelIDF16_N4opus5fp4_tELi256ELi16ELi4ELb1ELb0ELb0ELb0ELb0ELb0EEEvPT0_PvPT_S7_S7_PKS6_S9_S9_S9_S9_ffiiiiiiiiiiiii ; -- Begin function _ZN5aiter35fused_qk_rmsnorm_group_quant_kernelIDF16_N4opus5fp4_tELi256ELi16ELi4ELb1ELb0ELb0ELb0ELb0ELb0EEEvPT0_PvPT_S7_S7_PKS6_S9_S9_S9_S9_ffiiiiiiiiiiiii
	.globl	_ZN5aiter35fused_qk_rmsnorm_group_quant_kernelIDF16_N4opus5fp4_tELi256ELi16ELi4ELb1ELb0ELb0ELb0ELb0ELb0EEEvPT0_PvPT_S7_S7_PKS6_S9_S9_S9_S9_ffiiiiiiiiiiiii
	.p2align	8
	.type	_ZN5aiter35fused_qk_rmsnorm_group_quant_kernelIDF16_N4opus5fp4_tELi256ELi16ELi4ELb1ELb0ELb0ELb0ELb0ELb0EEEvPT0_PvPT_S7_S7_PKS6_S9_S9_S9_S9_ffiiiiiiiiiiiii,@function
_ZN5aiter35fused_qk_rmsnorm_group_quant_kernelIDF16_N4opus5fp4_tELi256ELi16ELi4ELb1ELb0ELb0ELb0ELb0ELb0EEEvPT0_PvPT_S7_S7_PKS6_S9_S9_S9_S9_ffiiiiiiiiiiiii: ; @_ZN5aiter35fused_qk_rmsnorm_group_quant_kernelIDF16_N4opus5fp4_tELi256ELi16ELi4ELb1ELb0ELb0ELb0ELb0ELb0EEEvPT0_PvPT_S7_S7_PKS6_S9_S9_S9_S9_ffiiiiiiiiiiiii
; %bb.0:
	s_load_dwordx8 s[12:19], s[4:5], 0x50
	s_waitcnt lgkmcnt(0)
	s_cmp_ge_i32 s6, s14
	s_cbranch_scc1 .LBB823_17
; %bb.1:
	s_cmp_lg_u32 s7, 0
	s_cselect_b64 s[22:23], -1, 0
	s_cmp_eq_u32 s7, 0
	s_cselect_b64 s[2:3], -1, 0
	s_and_b64 s[0:1], s[2:3], exec
	s_load_dwordx2 s[20:21], s[4:5], 0x48
	s_load_dwordx2 s[34:35], s[4:5], 0x30
	s_load_dwordx4 s[24:27], s[4:5], 0x70
	s_cselect_b32 s7, s15, s16
	s_add_i32 s0, s7, 1
	s_lshr_b32 s1, s0, 31
	s_add_i32 s0, s0, s1
	s_lshl_b32 s0, s0, 1
	v_lshlrev_b32_e32 v1, 4, v0
	s_and_b32 s30, s0, -4
	v_cmp_gt_i32_e64 s[0:1], s7, v1
	v_mov_b32_e32 v6, 0
	v_mov_b32_e32 v7, 0
	;; [unrolled: 1-line block ×16, first 2 shown]
	s_and_saveexec_b64 s[8:9], s[0:1]
	s_cbranch_execz .LBB823_3
; %bb.2:
	s_load_dwordx2 s[10:11], s[4:5], 0x28
	s_load_dwordx2 s[28:29], s[4:5], 0x40
	s_and_b64 s[36:37], s[2:3], exec
	s_cselect_b32 s14, s17, s18
	s_mov_b32 s31, 0x20000
	s_waitcnt lgkmcnt(0)
	s_cselect_b32 s17, s11, s35
	s_cselect_b32 s27, s10, s34
	s_mul_hi_i32 s11, s14, s6
	s_mul_i32 s10, s14, s6
	s_lshl_b64 s[10:11], s[10:11], 1
	s_add_u32 s36, s27, s10
	s_addc_u32 s14, s17, s11
	s_and_b64 s[10:11], s[2:3], exec
	s_cselect_b32 s28, s28, s20
	s_cselect_b32 s10, s29, s21
	s_and_b32 s37, s14, 0xffff
	s_mov_b32 s38, s30
	s_mov_b32 s39, s31
	v_lshlrev_b32_e32 v18, 5, v0
	s_and_b32 s29, s10, 0xffff
	buffer_load_dwordx4 v[10:13], v18, s[36:39], 0 offen
	buffer_load_dwordx4 v[14:17], v18, s[36:39], 16 offen
	;; [unrolled: 1-line block ×4, first 2 shown]
.LBB823_3:
	s_or_b64 exec, exec, s[8:9]
	s_load_dwordx2 s[10:11], s[4:5], 0x80
	s_and_b64 vcc, exec, s[22:23]
	s_cbranch_vccz .LBB823_7
; %bb.4:
	v_mov_b32_e32 v19, 0
	v_mov_b32_e32 v18, 0
	;; [unrolled: 1-line block ×16, first 2 shown]
	s_and_saveexec_b64 s[8:9], s[0:1]
	s_cbranch_execz .LBB823_6
; %bb.5:
	s_waitcnt vmcnt(3)
	v_cvt_f32_f16_sdwa v33, v10 dst_sel:DWORD dst_unused:UNUSED_PAD src0_sel:WORD_1
	v_cvt_f32_f16_e32 v32, v10
	v_cvt_f32_f16_sdwa v31, v11 dst_sel:DWORD dst_unused:UNUSED_PAD src0_sel:WORD_1
	v_cvt_f32_f16_e32 v30, v11
	;; [unrolled: 2-line block ×4, first 2 shown]
	s_waitcnt vmcnt(2)
	v_cvt_f32_f16_sdwa v27, v14 dst_sel:DWORD dst_unused:UNUSED_PAD src0_sel:WORD_1
	v_cvt_f32_f16_e32 v26, v14
	v_cvt_f32_f16_sdwa v23, v15 dst_sel:DWORD dst_unused:UNUSED_PAD src0_sel:WORD_1
	v_cvt_f32_f16_e32 v22, v15
	;; [unrolled: 2-line block ×4, first 2 shown]
.LBB823_6:
	s_or_b64 exec, exec, s[8:9]
	s_cbranch_execz .LBB823_8
	s_branch .LBB823_11
.LBB823_7:
                                        ; implicit-def: $vgpr19
                                        ; implicit-def: $vgpr21
                                        ; implicit-def: $vgpr23
                                        ; implicit-def: $vgpr27
                                        ; implicit-def: $vgpr25
                                        ; implicit-def: $vgpr29
                                        ; implicit-def: $vgpr31
                                        ; implicit-def: $vgpr33
.LBB823_8:
	v_mov_b32_e32 v19, 0
	v_mov_b32_e32 v18, 0
	;; [unrolled: 1-line block ×16, first 2 shown]
	s_and_saveexec_b64 s[8:9], s[0:1]
	s_cbranch_execz .LBB823_10
; %bb.9:
	s_load_dwordx2 s[28:29], s[4:5], 0x38
	s_mul_hi_i32 s37, s19, s6
	s_mul_i32 s36, s19, s6
	s_lshl_b64 s[36:37], s[36:37], 1
	s_mov_b32 s31, 0x20000
	s_waitcnt lgkmcnt(0)
	s_add_u32 s28, s28, s36
	s_addc_u32 s14, s29, s37
	s_and_b32 s29, s14, 0xffff
	v_lshlrev_b32_e32 v46, 5, v0
	buffer_load_dwordx4 v[18:21], v46, s[28:31], 16 offen
	buffer_load_dwordx4 v[22:25], v46, s[28:31], 0 offen
	s_waitcnt vmcnt(4)
	v_cvt_f32_f16_sdwa v27, v14 dst_sel:DWORD dst_unused:UNUSED_PAD src0_sel:WORD_1
	v_cvt_f32_f16_e32 v26, v14
	v_cvt_f32_f16_sdwa v29, v15 dst_sel:DWORD dst_unused:UNUSED_PAD src0_sel:WORD_1
	v_cvt_f32_f16_e32 v28, v15
	;; [unrolled: 2-line block ×8, first 2 shown]
	s_load_dwordx2 s[28:29], s[4:5], 0x20
	s_mul_hi_i32 s37, s11, s6
	s_mul_i32 s36, s11, s6
	s_lshl_b64 s[36:37], s[36:37], 1
	s_waitcnt lgkmcnt(0)
	s_add_u32 s28, s28, s36
	s_addc_u32 s11, s29, s37
	s_and_b32 s29, s11, 0xffff
	s_waitcnt vmcnt(1)
	v_cvt_f32_f16_e32 v12, v18
	v_cvt_f32_f16_sdwa v13, v18 dst_sel:DWORD dst_unused:UNUSED_PAD src0_sel:WORD_1
	v_cvt_f32_f16_e32 v18, v19
	v_cvt_f32_f16_sdwa v19, v19 dst_sel:DWORD dst_unused:UNUSED_PAD src0_sel:WORD_1
	;; [unrolled: 2-line block ×4, first 2 shown]
	s_waitcnt vmcnt(0)
	v_cvt_f32_f16_e32 v40, v22
	v_cvt_f32_f16_sdwa v41, v22 dst_sel:DWORD dst_unused:UNUSED_PAD src0_sel:WORD_1
	v_cvt_f32_f16_e32 v42, v23
	v_cvt_f32_f16_sdwa v43, v23 dst_sel:DWORD dst_unused:UNUSED_PAD src0_sel:WORD_1
	;; [unrolled: 2-line block ×4, first 2 shown]
	v_pk_add_f32 v[26:27], v[26:27], v[12:13]
	v_pk_add_f32 v[22:23], v[28:29], v[18:19]
	;; [unrolled: 1-line block ×8, first 2 shown]
	v_cvt_f16_f32_e32 v10, v33
	v_cvt_f16_f32_e32 v14, v32
	;; [unrolled: 1-line block ×16, first 2 shown]
	v_pack_b32_f16 v13, v17, v13
	v_pack_b32_f16 v12, v16, v12
	;; [unrolled: 1-line block ×8, first 2 shown]
	buffer_store_dwordx4 v[10:13], v46, s[28:31], 0 offen
	;;#ASMSTART
	s_nop 0
	;;#ASMEND
	buffer_store_dwordx4 v[14:17], v46, s[28:31], 16 offen
	;;#ASMSTART
	s_nop 0
	;;#ASMEND
.LBB823_10:
	s_or_b64 exec, exec, s[8:9]
.LBB823_11:
	s_waitcnt vmcnt(3)
	v_mul_f32_e32 v10, v33, v33
	v_fmac_f32_e32 v10, v32, v32
	v_fmac_f32_e32 v10, v30, v30
	;; [unrolled: 1-line block ×15, first 2 shown]
	v_and_b32_e32 v12, 63, v0
	v_cmp_eq_u32_e64 s[8:9], 63, v12
	v_mov_b32_dpp v11, v10 quad_perm:[1,0,3,2] row_mask:0xf bank_mask:0xf
	v_add_f32_e32 v10, v10, v11
	s_nop 1
	v_mov_b32_dpp v11, v10 quad_perm:[2,3,0,1] row_mask:0xf bank_mask:0xf
	v_add_f32_e32 v10, v10, v11
	s_nop 1
	v_mov_b32_dpp v11, v10 row_half_mirror row_mask:0xf bank_mask:0xf
	v_add_f32_e32 v10, v10, v11
	s_nop 1
	v_mov_b32_dpp v11, v10 row_mirror row_mask:0xf bank_mask:0xf
	v_add_f32_e32 v10, v10, v11
	s_nop 1
	v_mov_b32_dpp v11, v10 row_bcast:15 row_mask:0xf bank_mask:0xf
	v_add_f32_e32 v10, v10, v11
	s_nop 1
	v_mov_b32_dpp v11, v10 row_bcast:31 row_mask:0xf bank_mask:0xf
	s_and_saveexec_b64 s[28:29], s[8:9]
	s_cbranch_execz .LBB823_13
; %bb.12:
	v_add_f32_e32 v10, v10, v11
	v_lshrrev_b32_e32 v11, 4, v0
	v_and_b32_e32 v11, 60, v11
	ds_write_b32 v11, v10 offset:16
.LBB823_13:
	s_or_b64 exec, exec, s[28:29]
	v_and_b32_e32 v10, 3, v0
	v_lshlrev_b32_e32 v34, 2, v10
	s_waitcnt lgkmcnt(0)
	s_barrier
	ds_read_b32 v11, v34 offset:16
	s_load_dwordx2 s[36:37], s[4:5], 0x18
	s_waitcnt lgkmcnt(0)
	v_mov_b32_dpp v12, v11 quad_perm:[1,0,3,2] row_mask:0xf bank_mask:0xf
	v_add_f32_e32 v11, v11, v12
	s_nop 1
	v_mov_b32_dpp v12, v11 quad_perm:[2,3,0,1] row_mask:0xf bank_mask:0xf
	s_and_saveexec_b64 s[28:29], s[0:1]
	s_cbranch_execnz .LBB823_18
; %bb.14:
	s_or_b64 exec, exec, s[28:29]
	s_mov_b64 s[2:3], -1
	s_and_b64 vcc, exec, s[22:23]
	s_cbranch_vccnz .LBB823_19
.LBB823_15:
	s_andn2_b64 vcc, exec, s[2:3]
	s_cbranch_vccz .LBB823_22
.LBB823_16:
	s_cmp_lt_i32 s16, 1
	s_cbranch_scc0 .LBB823_29
.LBB823_17:
	s_endpgm
.LBB823_18:
	v_cvt_f32_u32_e32 v13, s7
	v_add_f32_e32 v11, v11, v12
	s_waitcnt vmcnt(2)
	v_mov_b32_e32 v15, s13
	v_mov_b32_e32 v16, s12
	v_div_scale_f32 v12, s[38:39], v13, v13, v11
	v_rcp_f32_e32 v14, v12
	v_cndmask_b32_e64 v15, v15, v16, s[2:3]
	s_mov_b32 s2, 0x800000
	s_waitcnt vmcnt(1)
	v_cvt_f32_f16_sdwa v37, v9 dst_sel:DWORD dst_unused:UNUSED_PAD src0_sel:WORD_1
	v_fma_f32 v16, -v12, v14, 1.0
	v_fmac_f32_e32 v14, v16, v14
	v_div_scale_f32 v16, vcc, v11, v13, v11
	v_mul_f32_e32 v17, v16, v14
	v_fma_f32 v35, -v12, v17, v16
	v_fmac_f32_e32 v17, v35, v14
	v_fma_f32 v12, -v12, v17, v16
	v_div_fmas_f32 v12, v12, v14, v17
	v_div_fixup_f32 v11, v12, v13, v11
	v_add_f32_e32 v11, v15, v11
	v_mul_f32_e32 v12, 0x4b800000, v11
	v_cmp_gt_f32_e32 vcc, s2, v11
	v_cndmask_b32_e32 v11, v11, v12, vcc
	v_rsq_f32_e32 v11, v11
	v_cvt_f32_f16_e32 v36, v9
	s_waitcnt vmcnt(0)
	v_cvt_f32_f16_sdwa v9, v3 dst_sel:DWORD dst_unused:UNUSED_PAD src0_sel:WORD_1
	v_mul_f32_e32 v12, 0x45800000, v11
	v_cndmask_b32_e32 v12, v11, v12, vcc
	v_mov_b32_e32 v13, v12
	;;#ASMSTART
	v_pk_mul_f32 v[14:15], v[32:33], v[12:13]
	;;#ASMEND
	;;#ASMSTART
	v_pk_mul_f32 v[16:17], v[30:31], v[12:13]
	;;#ASMEND
	;; [unrolled: 3-line block ×8, first 2 shown]
	v_cvt_f32_f16_sdwa v19, v6 dst_sel:DWORD dst_unused:UNUSED_PAD src0_sel:WORD_1
	v_cvt_f32_f16_e32 v18, v6
	v_cvt_f32_f16_sdwa v31, v7 dst_sel:DWORD dst_unused:UNUSED_PAD src0_sel:WORD_1
	v_cvt_f32_f16_e32 v30, v7
	;; [unrolled: 2-line block ×3, first 2 shown]
	;;#ASMSTART
	v_pk_mul_f32 v[32:33], v[14:15], v[18:19]
	;;#ASMEND
	;;#ASMSTART
	v_pk_mul_f32 v[30:31], v[16:17], v[30:31]
	;;#ASMEND
	;; [unrolled: 3-line block ×4, first 2 shown]
	v_cvt_f32_f16_sdwa v7, v2 dst_sel:DWORD dst_unused:UNUSED_PAD src0_sel:WORD_1
	v_cvt_f32_f16_e32 v6, v2
	v_cvt_f32_f16_e32 v8, v3
	v_cvt_f32_f16_sdwa v3, v4 dst_sel:DWORD dst_unused:UNUSED_PAD src0_sel:WORD_1
	v_cvt_f32_f16_e32 v2, v4
	v_cvt_f32_f16_sdwa v15, v5 dst_sel:DWORD dst_unused:UNUSED_PAD src0_sel:WORD_1
	v_cvt_f32_f16_e32 v14, v5
	;;#ASMSTART
	v_pk_mul_f32 v[26:27], v[26:27], v[6:7]
	;;#ASMEND
	;;#ASMSTART
	v_pk_mul_f32 v[22:23], v[22:23], v[8:9]
	;;#ASMEND
	;; [unrolled: 3-line block ×4, first 2 shown]
	s_or_b64 exec, exec, s[28:29]
	s_mov_b64 s[2:3], -1
	s_and_b64 vcc, exec, s[22:23]
	s_cbranch_vccz .LBB823_15
.LBB823_19:
	s_and_saveexec_b64 s[2:3], s[0:1]
	s_cbranch_execz .LBB823_21
; %bb.20:
	s_mul_hi_i32 s23, s10, s6
	s_mul_i32 s22, s10, s6
	s_waitcnt vmcnt(0)
	v_cvt_f16_f32_e32 v2, v32
	v_cvt_f16_f32_e32 v3, v30
	;; [unrolled: 1-line block ×8, first 2 shown]
	s_lshl_b64 s[22:23], s[22:23], 1
	s_add_u32 s28, s36, s22
	s_addc_u32 s7, s37, s23
	s_and_b32 s29, s7, 0xffff
	s_mov_b32 s31, 0x20000
	v_pack_b32_f16 v5, v5, v6
	v_pack_b32_f16 v4, v4, v7
	;; [unrolled: 1-line block ×4, first 2 shown]
	v_lshlrev_b32_e32 v6, 5, v0
	buffer_store_dwordx4 v[2:5], v6, s[28:31], 0 offen
	v_cvt_f16_f32_e32 v7, v19
	v_cvt_f16_f32_e32 v2, v26
	;; [unrolled: 1-line block ×8, first 2 shown]
	v_pack_b32_f16 v5, v5, v7
	v_pack_b32_f16 v4, v4, v8
	;; [unrolled: 1-line block ×4, first 2 shown]
	;;#ASMSTART
	s_nop 0
	;;#ASMEND
	buffer_store_dwordx4 v[2:5], v6, s[28:31], 16 offen
	;;#ASMSTART
	s_nop 0
	;;#ASMEND
.LBB823_21:
	s_or_b64 exec, exec, s[2:3]
	s_cbranch_execnz .LBB823_16
.LBB823_22:
	s_waitcnt vmcnt(0)
	v_mov_b32_e32 v2, 0
	s_and_saveexec_b64 s[2:3], s[0:1]
	s_cbranch_execz .LBB823_24
; %bb.23:
	v_and_b32_e32 v2, 0x7fffffff, v32
	v_and_b32_e32 v3, 0x7fffffff, v33
	v_mov_b32_e32 v4, 0x2edbe6ff
	;;#ASMSTART
	v_max3_f32 v2, v4, v2, v3

	;;#ASMEND
	v_and_b32_e32 v3, 0x7fffffff, v30
	v_and_b32_e32 v4, 0x7fffffff, v31
	;;#ASMSTART
	v_max3_f32 v2, v2, v3, v4

	;;#ASMEND
	v_and_b32_e32 v3, 0x7fffffff, v28
	v_and_b32_e32 v4, 0x7fffffff, v29
	;; [unrolled: 6-line block ×7, first 2 shown]
	;;#ASMSTART
	v_max3_f32 v2, v2, v3, v4

	;;#ASMEND
.LBB823_24:
	s_or_b64 exec, exec, s[2:3]
	v_cmp_eq_u32_e32 vcc, 0, v10
	v_cmp_gt_i32_e64 s[2:3], s15, v1
	s_and_b64 s[22:23], vcc, s[2:3]
	;;#ASMSTART
	v_max_f32 v3, v2, v2 quad_perm:[1,0,3,2] row_mask:0xf bank_mask:0xf bound_ctrl:1
	;;#ASMEND
	;;#ASMSTART
	v_max_f32 v2, v3, v3 quad_perm:[2,3,0,1] row_mask:0xf bank_mask:0xf bound_ctrl:1
	;;#ASMEND
	s_and_saveexec_b64 s[2:3], s[22:23]
	s_cbranch_execz .LBB823_26
; %bb.25:
	s_load_dwordx2 s[22:23], s[4:5], 0x8
	v_mul_f32_e32 v2, 0x3e2aaaab, v2
	v_lshrrev_b32_e32 v3, 23, v2
	v_and_b32_e32 v4, 0x7f800000, v2
	v_and_b32_e32 v2, 0x7fffff, v2
	v_cmp_ne_u32_e32 vcc, 0, v2
	s_mul_i32 s12, s25, s6
	s_mov_b32 s7, 0x7f800000
	v_addc_co_u32_e32 v2, vcc, 0, v3, vcc
	s_mul_hi_i32 s11, s25, s6
	s_waitcnt lgkmcnt(0)
	s_add_u32 s22, s22, s12
	v_cmp_ne_u32_e32 vcc, s7, v4
	s_addc_u32 s23, s23, s11
	v_lshrrev_b32_e32 v5, 2, v0
	v_cndmask_b32_e32 v4, -1, v2, vcc
	v_pk_mov_b32 v[2:3], s[22:23], s[22:23] op_sel:[0,1]
	v_mad_i64_i32 v[2:3], s[22:23], s26, v5, v[2:3]
	global_store_byte v[2:3], v4, off
.LBB823_26:
	s_or_b64 exec, exec, s[2:3]
	s_and_saveexec_b64 s[2:3], s[0:1]
	s_cbranch_execz .LBB823_28
; %bb.27:
	s_load_dwordx2 s[0:1], s[4:5], 0x0
	s_mul_i32 s11, s24, s6
	s_mul_hi_i32 s7, s24, s6
	v_mov_b32_e32 v2, 0
	v_lshlrev_b32_e32 v4, 3, v0
	s_waitcnt lgkmcnt(0)
	s_add_u32 s24, s0, s11
	s_addc_u32 s0, s1, s7
	s_lshr_b32 s1, s15, 31
	s_add_i32 s1, s15, s1
	s_ashr_i32 s1, s1, 1
	s_add_i32 s1, s1, 3
	s_ashr_i32 s7, s1, 31
	s_lshr_b32 s7, s7, 30
	s_add_i32 s1, s1, s7
	s_and_b32 s26, s1, -4
	s_and_b32 s25, s0, 0xffff
	s_mov_b32 s27, 0x20000
	v_mov_b32_e32 v3, v2
	buffer_store_dwordx2 v[2:3], v4, s[24:27], 0 offen
	;;#ASMSTART
	s_nop 0
	;;#ASMEND
.LBB823_28:
	s_or_b64 exec, exec, s[2:3]
	s_cmp_lt_i32 s16, 1
	s_cbranch_scc1 .LBB823_17
.LBB823_29:
	s_load_dword s0, s[4:5], 0x94
	s_waitcnt lgkmcnt(0)
	s_cmp_lg_u32 s0, 1
	s_cbranch_scc1 .LBB823_17
; %bb.30:
	s_lshl_b32 s0, s16, 1
	s_add_i32 s0, s0, 2
	v_cmp_gt_u32_e32 vcc, s16, v1
	s_and_b32 s22, s0, -4
	v_mov_b32_e32 v18, 0
	v_lshlrev_b32_e32 v1, 5, v0
	s_waitcnt vmcnt(2)
	v_mov_b32_e32 v14, 0
	v_mov_b32_e32 v15, 0
	v_mov_b32_e32 v16, 0
	v_mov_b32_e32 v17, 0
	v_mov_b32_e32 v10, 0
	v_mov_b32_e32 v11, 0
	v_mov_b32_e32 v12, 0
	v_mov_b32_e32 v13, 0
	s_waitcnt vmcnt(1)
	v_mov_b32_e32 v6, 0
	v_mov_b32_e32 v7, 0
	;; [unrolled: 1-line block ×4, first 2 shown]
	s_waitcnt vmcnt(0)
	v_mov_b32_e32 v2, 0
	v_mov_b32_e32 v3, 0
	;; [unrolled: 1-line block ×4, first 2 shown]
	s_barrier
	s_and_saveexec_b64 s[0:1], vcc
	s_cbranch_execz .LBB823_32
; %bb.31:
	s_mul_hi_i32 s3, s18, s6
	s_mul_i32 s2, s18, s6
	s_and_b32 s21, s21, 0xffff
	s_lshl_b64 s[2:3], s[2:3], 1
	s_add_u32 s24, s34, s2
	s_mov_b32 s23, 0x20000
	s_addc_u32 s2, s35, s3
	s_and_b32 s25, s2, 0xffff
	s_mov_b32 s26, s22
	s_mov_b32 s27, s23
	buffer_load_dwordx4 v[14:17], v1, s[24:27], 0 offen
	buffer_load_dwordx4 v[10:13], v1, s[24:27], 16 offen
	;; [unrolled: 1-line block ×4, first 2 shown]
.LBB823_32:
	s_or_b64 exec, exec, s[0:1]
	v_mov_b32_e32 v19, 0
	v_mov_b32_e32 v32, 0
	;; [unrolled: 1-line block ×15, first 2 shown]
	s_and_saveexec_b64 s[0:1], vcc
	s_cbranch_execz .LBB823_34
; %bb.33:
	s_waitcnt vmcnt(3)
	v_cvt_f32_f16_sdwa v19, v14 dst_sel:DWORD dst_unused:UNUSED_PAD src0_sel:WORD_1
	v_cvt_f32_f16_e32 v18, v14
	v_cvt_f32_f16_sdwa v33, v15 dst_sel:DWORD dst_unused:UNUSED_PAD src0_sel:WORD_1
	v_cvt_f32_f16_e32 v32, v15
	;; [unrolled: 2-line block ×4, first 2 shown]
	s_waitcnt vmcnt(2)
	v_cvt_f32_f16_sdwa v27, v10 dst_sel:DWORD dst_unused:UNUSED_PAD src0_sel:WORD_1
	v_cvt_f32_f16_e32 v26, v10
	v_cvt_f32_f16_sdwa v25, v11 dst_sel:DWORD dst_unused:UNUSED_PAD src0_sel:WORD_1
	v_cvt_f32_f16_e32 v24, v11
	;; [unrolled: 2-line block ×4, first 2 shown]
.LBB823_34:
	s_or_b64 exec, exec, s[0:1]
	s_waitcnt vmcnt(2)
	v_mul_f32_e32 v10, v19, v19
	v_fmac_f32_e32 v10, v18, v18
	v_fmac_f32_e32 v10, v32, v32
	;; [unrolled: 1-line block ×15, first 2 shown]
	s_nop 1
	v_mov_b32_dpp v11, v10 quad_perm:[1,0,3,2] row_mask:0xf bank_mask:0xf
	v_add_f32_e32 v10, v10, v11
	s_nop 1
	v_mov_b32_dpp v11, v10 quad_perm:[2,3,0,1] row_mask:0xf bank_mask:0xf
	v_add_f32_e32 v10, v10, v11
	s_nop 1
	v_mov_b32_dpp v11, v10 row_half_mirror row_mask:0xf bank_mask:0xf
	v_add_f32_e32 v10, v10, v11
	s_nop 1
	v_mov_b32_dpp v11, v10 row_mirror row_mask:0xf bank_mask:0xf
	v_add_f32_e32 v10, v10, v11
	s_nop 1
	v_mov_b32_dpp v11, v10 row_bcast:15 row_mask:0xf bank_mask:0xf
	v_add_f32_e32 v10, v10, v11
	s_nop 1
	v_mov_b32_dpp v11, v10 row_bcast:31 row_mask:0xf bank_mask:0xf
	s_and_saveexec_b64 s[0:1], s[8:9]
	s_cbranch_execz .LBB823_36
; %bb.35:
	v_lshrrev_b32_e32 v0, 4, v0
	v_add_f32_e32 v10, v10, v11
	v_and_b32_e32 v0, 60, v0
	ds_write_b32 v0, v10
.LBB823_36:
	s_or_b64 exec, exec, s[0:1]
	s_waitcnt lgkmcnt(0)
	s_barrier
	ds_read_b32 v0, v34
	s_waitcnt lgkmcnt(0)
	s_nop 0
	v_mov_b32_dpp v10, v0 quad_perm:[1,0,3,2] row_mask:0xf bank_mask:0xf
	v_add_f32_e32 v0, v0, v10
	s_nop 1
	v_mov_b32_dpp v10, v0 quad_perm:[2,3,0,1] row_mask:0xf bank_mask:0xf
	s_and_saveexec_b64 s[0:1], vcc
	s_cbranch_execz .LBB823_17
; %bb.37:
	v_cvt_f32_u32_e32 v11, s16
	v_add_f32_e32 v0, v0, v10
	s_mov_b32 s23, 0x20000
	v_div_scale_f32 v10, s[0:1], v11, v11, v0
	v_rcp_f32_e32 v12, v10
	v_div_scale_f32 v13, vcc, v0, v11, v0
	s_mov_b32 s0, 0x800000
	v_fma_f32 v14, -v10, v12, 1.0
	v_fmac_f32_e32 v12, v14, v12
	v_mul_f32_e32 v14, v13, v12
	v_fma_f32 v15, -v10, v14, v13
	v_fmac_f32_e32 v14, v15, v12
	v_fma_f32 v10, -v10, v14, v13
	v_div_fmas_f32 v10, v10, v12, v14
	v_div_fixup_f32 v0, v10, v11, v0
	v_add_f32_e32 v0, s13, v0
	v_mul_f32_e32 v10, 0x4b800000, v0
	v_cmp_gt_f32_e32 vcc, s0, v0
	v_cndmask_b32_e32 v0, v0, v10, vcc
	v_rsq_f32_e32 v0, v0
	s_mul_hi_i32 s1, s10, s6
	s_mul_i32 s0, s10, s6
	s_lshl_b64 s[0:1], s[0:1], 1
	v_mul_f32_e32 v10, 0x45800000, v0
	v_cndmask_b32_e32 v10, v0, v10, vcc
	v_mov_b32_e32 v11, v10
	;;#ASMSTART
	v_pk_mul_f32 v[12:13], v[18:19], v[10:11]
	;;#ASMEND
	;;#ASMSTART
	v_pk_mul_f32 v[14:15], v[32:33], v[10:11]
	;;#ASMEND
	;; [unrolled: 3-line block ×8, first 2 shown]
	s_waitcnt vmcnt(1)
	v_cvt_f32_f16_sdwa v21, v6 dst_sel:DWORD dst_unused:UNUSED_PAD src0_sel:WORD_1
	v_cvt_f32_f16_e32 v20, v6
	v_cvt_f32_f16_sdwa v29, v7 dst_sel:DWORD dst_unused:UNUSED_PAD src0_sel:WORD_1
	v_cvt_f32_f16_e32 v28, v7
	;; [unrolled: 2-line block ×4, first 2 shown]
	;;#ASMSTART
	v_pk_mul_f32 v[8:9], v[12:13], v[20:21]
	;;#ASMEND
	;;#ASMSTART
	v_pk_mul_f32 v[12:13], v[14:15], v[28:29]
	;;#ASMEND
	;; [unrolled: 3-line block ×4, first 2 shown]
	s_waitcnt vmcnt(0)
	v_cvt_f32_f16_sdwa v17, v2 dst_sel:DWORD dst_unused:UNUSED_PAD src0_sel:WORD_1
	v_cvt_f32_f16_e32 v16, v2
	v_cvt_f32_f16_sdwa v19, v3 dst_sel:DWORD dst_unused:UNUSED_PAD src0_sel:WORD_1
	v_cvt_f32_f16_e32 v18, v3
	;; [unrolled: 2-line block ×4, first 2 shown]
	;;#ASMSTART
	v_pk_mul_f32 v[16:17], v[26:27], v[16:17]
	;;#ASMEND
	;;#ASMSTART
	v_pk_mul_f32 v[18:19], v[24:25], v[18:19]
	;;#ASMEND
	;; [unrolled: 3-line block ×3, first 2 shown]
	v_cvt_f16_f32_e32 v0, v8
	v_cvt_f16_f32_e32 v2, v9
	;; [unrolled: 1-line block ×8, first 2 shown]
	s_add_u32 s20, s36, s0
	s_addc_u32 s0, s37, s1
	s_and_b32 s21, s0, 0xffff
	v_pack_b32_f16 v2, v0, v2
	v_pack_b32_f16 v3, v3, v4
	;; [unrolled: 1-line block ×4, first 2 shown]
	;;#ASMSTART
	v_pk_mul_f32 v[10:11], v[10:11], v[20:21]
	;;#ASMEND
	buffer_store_dwordx4 v[2:5], v1, s[20:23], 0 offen
	v_cvt_f16_f32_e32 v0, v16
	v_cvt_f16_f32_e32 v2, v17
	;; [unrolled: 1-line block ×8, first 2 shown]
	v_pack_b32_f16 v2, v0, v2
	v_pack_b32_f16 v3, v3, v4
	v_pack_b32_f16 v4, v5, v6
	v_pack_b32_f16 v5, v7, v8
	;;#ASMSTART
	s_nop 0
	;;#ASMEND
	buffer_store_dwordx4 v[2:5], v1, s[20:23], 16 offen
	;;#ASMSTART
	s_nop 0
	;;#ASMEND
	s_endpgm
	.section	.rodata,"a",@progbits
	.p2align	6, 0x0
	.amdhsa_kernel _ZN5aiter35fused_qk_rmsnorm_group_quant_kernelIDF16_N4opus5fp4_tELi256ELi16ELi4ELb1ELb0ELb0ELb0ELb0ELb0EEEvPT0_PvPT_S7_S7_PKS6_S9_S9_S9_S9_ffiiiiiiiiiiiii
		.amdhsa_group_segment_fixed_size 32
		.amdhsa_private_segment_fixed_size 0
		.amdhsa_kernarg_size 400
		.amdhsa_user_sgpr_count 6
		.amdhsa_user_sgpr_private_segment_buffer 1
		.amdhsa_user_sgpr_dispatch_ptr 0
		.amdhsa_user_sgpr_queue_ptr 0
		.amdhsa_user_sgpr_kernarg_segment_ptr 1
		.amdhsa_user_sgpr_dispatch_id 0
		.amdhsa_user_sgpr_flat_scratch_init 0
		.amdhsa_user_sgpr_kernarg_preload_length 0
		.amdhsa_user_sgpr_kernarg_preload_offset 0
		.amdhsa_user_sgpr_private_segment_size 0
		.amdhsa_uses_dynamic_stack 0
		.amdhsa_system_sgpr_private_segment_wavefront_offset 0
		.amdhsa_system_sgpr_workgroup_id_x 1
		.amdhsa_system_sgpr_workgroup_id_y 1
		.amdhsa_system_sgpr_workgroup_id_z 0
		.amdhsa_system_sgpr_workgroup_info 0
		.amdhsa_system_vgpr_workitem_id 0
		.amdhsa_next_free_vgpr 47
		.amdhsa_next_free_sgpr 40
		.amdhsa_accum_offset 48
		.amdhsa_reserve_vcc 1
		.amdhsa_reserve_flat_scratch 0
		.amdhsa_float_round_mode_32 0
		.amdhsa_float_round_mode_16_64 0
		.amdhsa_float_denorm_mode_32 3
		.amdhsa_float_denorm_mode_16_64 3
		.amdhsa_dx10_clamp 1
		.amdhsa_ieee_mode 1
		.amdhsa_fp16_overflow 0
		.amdhsa_tg_split 0
		.amdhsa_exception_fp_ieee_invalid_op 0
		.amdhsa_exception_fp_denorm_src 0
		.amdhsa_exception_fp_ieee_div_zero 0
		.amdhsa_exception_fp_ieee_overflow 0
		.amdhsa_exception_fp_ieee_underflow 0
		.amdhsa_exception_fp_ieee_inexact 0
		.amdhsa_exception_int_div_zero 0
	.end_amdhsa_kernel
	.section	.text._ZN5aiter35fused_qk_rmsnorm_group_quant_kernelIDF16_N4opus5fp4_tELi256ELi16ELi4ELb1ELb0ELb0ELb0ELb0ELb0EEEvPT0_PvPT_S7_S7_PKS6_S9_S9_S9_S9_ffiiiiiiiiiiiii,"axG",@progbits,_ZN5aiter35fused_qk_rmsnorm_group_quant_kernelIDF16_N4opus5fp4_tELi256ELi16ELi4ELb1ELb0ELb0ELb0ELb0ELb0EEEvPT0_PvPT_S7_S7_PKS6_S9_S9_S9_S9_ffiiiiiiiiiiiii,comdat
.Lfunc_end823:
	.size	_ZN5aiter35fused_qk_rmsnorm_group_quant_kernelIDF16_N4opus5fp4_tELi256ELi16ELi4ELb1ELb0ELb0ELb0ELb0ELb0EEEvPT0_PvPT_S7_S7_PKS6_S9_S9_S9_S9_ffiiiiiiiiiiiii, .Lfunc_end823-_ZN5aiter35fused_qk_rmsnorm_group_quant_kernelIDF16_N4opus5fp4_tELi256ELi16ELi4ELb1ELb0ELb0ELb0ELb0ELb0EEEvPT0_PvPT_S7_S7_PKS6_S9_S9_S9_S9_ffiiiiiiiiiiiii
                                        ; -- End function
	.section	.AMDGPU.csdata,"",@progbits
; Kernel info:
; codeLenInByte = 3748
; NumSgprs: 44
; NumVgprs: 47
; NumAgprs: 0
; TotalNumVgprs: 47
; ScratchSize: 0
; MemoryBound: 0
; FloatMode: 240
; IeeeMode: 1
; LDSByteSize: 32 bytes/workgroup (compile time only)
; SGPRBlocks: 5
; VGPRBlocks: 5
; NumSGPRsForWavesPerEU: 44
; NumVGPRsForWavesPerEU: 47
; AccumOffset: 48
; Occupancy: 8
; WaveLimiterHint : 0
; COMPUTE_PGM_RSRC2:SCRATCH_EN: 0
; COMPUTE_PGM_RSRC2:USER_SGPR: 6
; COMPUTE_PGM_RSRC2:TRAP_HANDLER: 0
; COMPUTE_PGM_RSRC2:TGID_X_EN: 1
; COMPUTE_PGM_RSRC2:TGID_Y_EN: 1
; COMPUTE_PGM_RSRC2:TGID_Z_EN: 0
; COMPUTE_PGM_RSRC2:TIDIG_COMP_CNT: 0
; COMPUTE_PGM_RSRC3_GFX90A:ACCUM_OFFSET: 11
; COMPUTE_PGM_RSRC3_GFX90A:TG_SPLIT: 0
	.section	.text._ZN5aiter35fused_qk_rmsnorm_group_quant_kernelItN4opus5fp4_tELi256ELi16ELi4ELb1ELb0ELb0ELb0ELb0ELb0EEEvPT0_PvPT_S7_S7_PKS6_S9_S9_S9_S9_ffiiiiiiiiiiiii,"axG",@progbits,_ZN5aiter35fused_qk_rmsnorm_group_quant_kernelItN4opus5fp4_tELi256ELi16ELi4ELb1ELb0ELb0ELb0ELb0ELb0EEEvPT0_PvPT_S7_S7_PKS6_S9_S9_S9_S9_ffiiiiiiiiiiiii,comdat
	.protected	_ZN5aiter35fused_qk_rmsnorm_group_quant_kernelItN4opus5fp4_tELi256ELi16ELi4ELb1ELb0ELb0ELb0ELb0ELb0EEEvPT0_PvPT_S7_S7_PKS6_S9_S9_S9_S9_ffiiiiiiiiiiiii ; -- Begin function _ZN5aiter35fused_qk_rmsnorm_group_quant_kernelItN4opus5fp4_tELi256ELi16ELi4ELb1ELb0ELb0ELb0ELb0ELb0EEEvPT0_PvPT_S7_S7_PKS6_S9_S9_S9_S9_ffiiiiiiiiiiiii
	.globl	_ZN5aiter35fused_qk_rmsnorm_group_quant_kernelItN4opus5fp4_tELi256ELi16ELi4ELb1ELb0ELb0ELb0ELb0ELb0EEEvPT0_PvPT_S7_S7_PKS6_S9_S9_S9_S9_ffiiiiiiiiiiiii
	.p2align	8
	.type	_ZN5aiter35fused_qk_rmsnorm_group_quant_kernelItN4opus5fp4_tELi256ELi16ELi4ELb1ELb0ELb0ELb0ELb0ELb0EEEvPT0_PvPT_S7_S7_PKS6_S9_S9_S9_S9_ffiiiiiiiiiiiii,@function
_ZN5aiter35fused_qk_rmsnorm_group_quant_kernelItN4opus5fp4_tELi256ELi16ELi4ELb1ELb0ELb0ELb0ELb0ELb0EEEvPT0_PvPT_S7_S7_PKS6_S9_S9_S9_S9_ffiiiiiiiiiiiii: ; @_ZN5aiter35fused_qk_rmsnorm_group_quant_kernelItN4opus5fp4_tELi256ELi16ELi4ELb1ELb0ELb0ELb0ELb0ELb0EEEvPT0_PvPT_S7_S7_PKS6_S9_S9_S9_S9_ffiiiiiiiiiiiii
; %bb.0:
	s_load_dwordx8 s[12:19], s[4:5], 0x50
	s_waitcnt lgkmcnt(0)
	s_cmp_ge_i32 s6, s14
	s_cbranch_scc1 .LBB824_17
; %bb.1:
	s_cmp_lg_u32 s7, 0
	s_cselect_b64 s[22:23], -1, 0
	s_cmp_eq_u32 s7, 0
	s_cselect_b64 s[2:3], -1, 0
	s_and_b64 s[0:1], s[2:3], exec
	s_load_dwordx2 s[20:21], s[4:5], 0x48
	s_load_dwordx2 s[34:35], s[4:5], 0x30
	s_load_dwordx4 s[24:27], s[4:5], 0x70
	s_cselect_b32 s7, s15, s16
	s_add_i32 s0, s7, 1
	s_lshr_b32 s1, s0, 31
	s_add_i32 s0, s0, s1
	s_lshl_b32 s0, s0, 1
	v_lshlrev_b32_e32 v1, 4, v0
	s_and_b32 s30, s0, -4
	v_cmp_gt_i32_e64 s[0:1], s7, v1
	v_mov_b32_e32 v80, 0
	v_mov_b32_e32 v81, 0
	;; [unrolled: 1-line block ×16, first 2 shown]
	s_and_saveexec_b64 s[8:9], s[0:1]
	s_cbranch_execz .LBB824_3
; %bb.2:
	s_load_dwordx2 s[10:11], s[4:5], 0x28
	s_load_dwordx2 s[28:29], s[4:5], 0x40
	s_and_b64 s[36:37], s[2:3], exec
	s_cselect_b32 s14, s17, s18
	s_mov_b32 s31, 0x20000
	s_waitcnt lgkmcnt(0)
	s_cselect_b32 s17, s11, s35
	s_cselect_b32 s27, s10, s34
	s_mul_hi_i32 s11, s14, s6
	s_mul_i32 s10, s14, s6
	s_lshl_b64 s[10:11], s[10:11], 1
	s_add_u32 s36, s27, s10
	s_addc_u32 s14, s17, s11
	s_and_b64 s[10:11], s[2:3], exec
	s_cselect_b32 s28, s28, s20
	s_cselect_b32 s10, s29, s21
	s_and_b32 s37, s14, 0xffff
	s_mov_b32 s38, s30
	s_mov_b32 s39, s31
	v_lshlrev_b32_e32 v2, 5, v0
	s_and_b32 s29, s10, 0xffff
	buffer_load_dwordx4 v[84:87], v2, s[36:39], 0 offen
	buffer_load_dwordx4 v[88:91], v2, s[36:39], 16 offen
	;; [unrolled: 1-line block ×4, first 2 shown]
.LBB824_3:
	s_or_b64 exec, exec, s[8:9]
	s_load_dwordx2 s[10:11], s[4:5], 0x80
	s_and_b64 vcc, exec, s[22:23]
	s_cbranch_vccz .LBB824_7
; %bb.4:
	v_mov_b32_e32 v93, 0
	v_mov_b32_e32 v92, 0
	;; [unrolled: 1-line block ×16, first 2 shown]
	s_and_saveexec_b64 s[8:9], s[0:1]
	s_cbranch_execz .LBB824_6
; %bb.5:
	s_waitcnt vmcnt(3)
	v_cvt_f32_u32_sdwa v32, v84 dst_sel:DWORD dst_unused:UNUSED_PAD src0_sel:WORD_0
	v_cvt_f32_u32_sdwa v33, v84 dst_sel:DWORD dst_unused:UNUSED_PAD src0_sel:WORD_1
	v_cvt_f32_u32_sdwa v18, v85 dst_sel:DWORD dst_unused:UNUSED_PAD src0_sel:WORD_0
	v_cvt_f32_u32_sdwa v19, v85 dst_sel:DWORD dst_unused:UNUSED_PAD src0_sel:WORD_1
	;; [unrolled: 2-line block ×4, first 2 shown]
	s_waitcnt vmcnt(2)
	v_cvt_f32_u32_sdwa v68, v88 dst_sel:DWORD dst_unused:UNUSED_PAD src0_sel:WORD_0
	v_cvt_f32_u32_sdwa v69, v88 dst_sel:DWORD dst_unused:UNUSED_PAD src0_sel:WORD_1
	v_cvt_f32_u32_sdwa v62, v89 dst_sel:DWORD dst_unused:UNUSED_PAD src0_sel:WORD_0
	v_cvt_f32_u32_sdwa v63, v89 dst_sel:DWORD dst_unused:UNUSED_PAD src0_sel:WORD_1
	;; [unrolled: 2-line block ×4, first 2 shown]
.LBB824_6:
	s_or_b64 exec, exec, s[8:9]
	s_cbranch_execz .LBB824_8
	s_branch .LBB824_11
.LBB824_7:
                                        ; implicit-def: $vgpr32_vgpr33_vgpr34_vgpr35_vgpr36_vgpr37_vgpr38_vgpr39_vgpr40_vgpr41_vgpr42_vgpr43_vgpr44_vgpr45_vgpr46_vgpr47
                                        ; implicit-def: $vgpr46_vgpr47_vgpr48_vgpr49_vgpr50_vgpr51_vgpr52_vgpr53_vgpr54_vgpr55_vgpr56_vgpr57_vgpr58_vgpr59_vgpr60_vgpr61
                                        ; implicit-def: $vgpr16_vgpr17_vgpr18_vgpr19_vgpr20_vgpr21_vgpr22_vgpr23_vgpr24_vgpr25_vgpr26_vgpr27_vgpr28_vgpr29_vgpr30_vgpr31
                                        ; implicit-def: $vgpr93
                                        ; implicit-def: $vgpr2_vgpr3_vgpr4_vgpr5_vgpr6_vgpr7_vgpr8_vgpr9_vgpr10_vgpr11_vgpr12_vgpr13_vgpr14_vgpr15_vgpr16_vgpr17
                                        ; implicit-def: $vgpr60_vgpr61_vgpr62_vgpr63_vgpr64_vgpr65_vgpr66_vgpr67_vgpr68_vgpr69_vgpr70_vgpr71_vgpr72_vgpr73_vgpr74_vgpr75
                                        ; implicit-def: $vgpr34_vgpr35_vgpr36_vgpr37_vgpr38_vgpr39_vgpr40_vgpr41_vgpr42_vgpr43_vgpr44_vgpr45_vgpr46_vgpr47_vgpr48_vgpr49
                                        ; implicit-def: $vgpr52_vgpr53_vgpr54_vgpr55_vgpr56_vgpr57_vgpr58_vgpr59_vgpr60_vgpr61_vgpr62_vgpr63_vgpr64_vgpr65_vgpr66_vgpr67
.LBB824_8:
	v_mov_b32_e32 v93, 0
	v_mov_b32_e32 v92, 0
	;; [unrolled: 1-line block ×16, first 2 shown]
	s_and_saveexec_b64 s[8:9], s[0:1]
	s_cbranch_execz .LBB824_10
; %bb.9:
	s_load_dwordx2 s[28:29], s[4:5], 0x38
	s_mul_hi_i32 s37, s19, s6
	s_mul_i32 s36, s19, s6
	s_lshl_b64 s[36:37], s[36:37], 1
	s_mov_b32 s31, 0x20000
	s_waitcnt lgkmcnt(0)
	s_add_u32 s28, s28, s36
	s_addc_u32 s14, s29, s37
	s_and_b32 s29, s14, 0xffff
	v_lshlrev_b32_e32 v36, 5, v0
	buffer_load_dwordx4 v[4:7], v36, s[28:31], 16 offen
	buffer_load_dwordx4 v[8:11], v36, s[28:31], 0 offen
	s_load_dwordx2 s[28:29], s[4:5], 0x20
	s_waitcnt vmcnt(5)
	v_cvt_f32_u32_sdwa v21, v84 dst_sel:DWORD dst_unused:UNUSED_PAD src0_sel:WORD_1
	v_cvt_f32_u32_sdwa v20, v84 dst_sel:DWORD dst_unused:UNUSED_PAD src0_sel:WORD_0
	v_cvt_f32_u32_sdwa v19, v85 dst_sel:DWORD dst_unused:UNUSED_PAD src0_sel:WORD_1
	v_cvt_f32_u32_sdwa v18, v85 dst_sel:DWORD dst_unused:UNUSED_PAD src0_sel:WORD_0
	;; [unrolled: 2-line block ×4, first 2 shown]
	s_waitcnt vmcnt(4)
	v_cvt_f32_u32_sdwa v3, v88 dst_sel:DWORD dst_unused:UNUSED_PAD src0_sel:WORD_1
	v_cvt_f32_u32_sdwa v2, v88 dst_sel:DWORD dst_unused:UNUSED_PAD src0_sel:WORD_0
	v_cvt_f32_u32_sdwa v13, v89 dst_sel:DWORD dst_unused:UNUSED_PAD src0_sel:WORD_1
	v_cvt_f32_u32_sdwa v12, v89 dst_sel:DWORD dst_unused:UNUSED_PAD src0_sel:WORD_0
	;; [unrolled: 2-line block ×3, first 2 shown]
	v_cvt_f32_u32_sdwa v16, v91 dst_sel:DWORD dst_unused:UNUSED_PAD src0_sel:WORD_0
	v_cvt_f32_u32_sdwa v17, v91 dst_sel:DWORD dst_unused:UNUSED_PAD src0_sel:WORD_1
	s_mul_hi_i32 s37, s11, s6
	s_mul_i32 s36, s11, s6
	s_lshl_b64 s[36:37], s[36:37], 1
	s_waitcnt lgkmcnt(0)
	s_add_u32 s28, s28, s36
	s_mov_b32 s11, 0x7060302
	s_addc_u32 s14, s29, s37
	s_and_b32 s29, s14, 0xffff
	s_waitcnt vmcnt(1)
	v_cvt_f32_u32_sdwa v27, v4 dst_sel:DWORD dst_unused:UNUSED_PAD src0_sel:WORD_1
	v_cvt_f32_u32_sdwa v26, v4 dst_sel:DWORD dst_unused:UNUSED_PAD src0_sel:WORD_0
	v_cvt_f32_u32_sdwa v29, v5 dst_sel:DWORD dst_unused:UNUSED_PAD src0_sel:WORD_1
	v_cvt_f32_u32_sdwa v28, v5 dst_sel:DWORD dst_unused:UNUSED_PAD src0_sel:WORD_0
	;; [unrolled: 2-line block ×3, first 2 shown]
	v_cvt_f32_u32_sdwa v34, v7 dst_sel:DWORD dst_unused:UNUSED_PAD src0_sel:WORD_0
	v_cvt_f32_u32_sdwa v35, v7 dst_sel:DWORD dst_unused:UNUSED_PAD src0_sel:WORD_1
	s_waitcnt vmcnt(0)
	v_cvt_f32_u32_sdwa v33, v8 dst_sel:DWORD dst_unused:UNUSED_PAD src0_sel:WORD_1
	v_cvt_f32_u32_sdwa v32, v8 dst_sel:DWORD dst_unused:UNUSED_PAD src0_sel:WORD_0
	v_cvt_f32_u32_sdwa v5, v10 dst_sel:DWORD dst_unused:UNUSED_PAD src0_sel:WORD_1
	v_cvt_f32_u32_sdwa v4, v10 dst_sel:DWORD dst_unused:UNUSED_PAD src0_sel:WORD_0
	;; [unrolled: 2-line block ×4, first 2 shown]
	v_pk_add_f32 v[50:51], v[22:23], v[4:5]
	v_pk_add_f32 v[40:41], v[24:25], v[6:7]
	;; [unrolled: 1-line block ×4, first 2 shown]
	v_perm_b32 v7, v41, v40, s11
	v_perm_b32 v6, v51, v50, s11
	;; [unrolled: 1-line block ×4, first 2 shown]
	v_pk_add_f32 v[92:93], v[16:17], v[34:35]
	v_pk_add_f32 v[14:15], v[14:15], v[30:31]
	;; [unrolled: 1-line block ×4, first 2 shown]
	buffer_store_dwordx4 v[4:7], v36, s[28:31], 0 offen
	;;#ASMSTART
	s_nop 0
	;;#ASMEND
	s_nop 0
	v_perm_b32 v7, v93, v92, s11
	v_perm_b32 v6, v15, v14, s11
	;; [unrolled: 1-line block ×4, first 2 shown]
	buffer_store_dwordx4 v[4:7], v36, s[28:31], 16 offen
	;;#ASMSTART
	s_nop 0
	;;#ASMEND
.LBB824_10:
	s_or_b64 exec, exec, s[8:9]
.LBB824_11:
	v_mul_f32_e32 v2, v33, v33
	v_fmac_f32_e32 v2, v32, v32
	v_fmac_f32_e32 v2, v18, v18
	;; [unrolled: 1-line block ×15, first 2 shown]
	s_nop 1
	v_mov_b32_dpp v3, v2 quad_perm:[1,0,3,2] row_mask:0xf bank_mask:0xf
	v_add_f32_e32 v2, v2, v3
	s_nop 1
	v_mov_b32_dpp v3, v2 quad_perm:[2,3,0,1] row_mask:0xf bank_mask:0xf
	v_add_f32_e32 v2, v2, v3
	s_nop 1
	v_mov_b32_dpp v3, v2 row_half_mirror row_mask:0xf bank_mask:0xf
	v_add_f32_e32 v2, v2, v3
	s_nop 1
	v_mov_b32_dpp v3, v2 row_mirror row_mask:0xf bank_mask:0xf
	v_add_f32_e32 v2, v2, v3
	s_nop 1
	v_mov_b32_dpp v3, v2 row_bcast:15 row_mask:0xf bank_mask:0xf
	v_add_f32_e32 v2, v2, v3
	v_and_b32_e32 v3, 63, v0
	v_cmp_eq_u32_e64 s[8:9], 63, v3
	s_nop 0
	v_mov_b32_dpp v3, v2 row_bcast:31 row_mask:0xf bank_mask:0xf
	s_and_saveexec_b64 s[28:29], s[8:9]
	s_cbranch_execz .LBB824_13
; %bb.12:
	v_add_f32_e32 v2, v2, v3
	v_lshrrev_b32_e32 v3, 4, v0
	v_and_b32_e32 v3, 60, v3
	ds_write_b32 v3, v2 offset:16
.LBB824_13:
	s_or_b64 exec, exec, s[28:29]
	v_and_b32_e32 v2, 3, v0
	v_lshlrev_b32_e32 v34, 2, v2
	s_waitcnt lgkmcnt(0)
	s_barrier
	ds_read_b32 v3, v34 offset:16
	s_load_dwordx2 s[36:37], s[4:5], 0x18
	s_waitcnt lgkmcnt(0)
	v_mov_b32_dpp v4, v3 quad_perm:[1,0,3,2] row_mask:0xf bank_mask:0xf
	v_add_f32_e32 v3, v3, v4
	s_nop 1
	v_mov_b32_dpp v4, v3 quad_perm:[2,3,0,1] row_mask:0xf bank_mask:0xf
	s_and_saveexec_b64 s[28:29], s[0:1]
	s_cbranch_execnz .LBB824_18
; %bb.14:
	s_or_b64 exec, exec, s[28:29]
	s_mov_b64 s[2:3], -1
	s_and_b64 vcc, exec, s[22:23]
	s_cbranch_vccnz .LBB824_19
.LBB824_15:
	s_andn2_b64 vcc, exec, s[2:3]
	s_cbranch_vccz .LBB824_22
.LBB824_16:
	s_cmp_lt_i32 s16, 1
	s_cbranch_scc0 .LBB824_29
.LBB824_17:
	s_endpgm
.LBB824_18:
	v_add_f32_e32 v3, v3, v4
	v_cvt_f32_u32_e32 v4, s7
	s_waitcnt vmcnt(1)
	v_cvt_f32_u32_sdwa v23, v81 dst_sel:DWORD dst_unused:UNUSED_PAD src0_sel:WORD_1
	v_cvt_f32_u32_sdwa v22, v81 dst_sel:DWORD dst_unused:UNUSED_PAD src0_sel:WORD_0
	s_waitcnt vmcnt(0)
	v_cvt_f32_u32_sdwa v25, v77 dst_sel:DWORD dst_unused:UNUSED_PAD src0_sel:WORD_1
	v_div_scale_f32 v5, s[38:39], v4, v4, v3
	v_rcp_f32_e32 v6, v5
	v_cvt_f32_u32_sdwa v24, v77 dst_sel:DWORD dst_unused:UNUSED_PAD src0_sel:WORD_0
	v_cvt_f32_u32_sdwa v27, v78 dst_sel:DWORD dst_unused:UNUSED_PAD src0_sel:WORD_1
	v_cvt_f32_u32_sdwa v26, v78 dst_sel:DWORD dst_unused:UNUSED_PAD src0_sel:WORD_0
	v_fma_f32 v7, -v5, v6, 1.0
	v_fmac_f32_e32 v6, v7, v6
	v_div_scale_f32 v7, vcc, v3, v4, v3
	v_mul_f32_e32 v8, v7, v6
	v_fma_f32 v9, -v5, v8, v7
	v_fmac_f32_e32 v8, v9, v6
	v_fma_f32 v5, -v5, v8, v7
	v_div_fmas_f32 v5, v5, v6, v8
	v_div_fixup_f32 v3, v5, v4, v3
	v_mov_b32_e32 v4, s13
	v_mov_b32_e32 v5, s12
	v_cndmask_b32_e64 v4, v4, v5, s[2:3]
	v_add_f32_e32 v3, v4, v3
	s_mov_b32 s2, 0x800000
	v_mul_f32_e32 v4, 0x4b800000, v3
	v_cmp_gt_f32_e32 vcc, s2, v3
	v_cndmask_b32_e32 v3, v3, v4, vcc
	v_rsq_f32_e32 v3, v3
	v_cvt_f32_u32_sdwa v29, v79 dst_sel:DWORD dst_unused:UNUSED_PAD src0_sel:WORD_1
	v_cvt_f32_u32_sdwa v28, v79 dst_sel:DWORD dst_unused:UNUSED_PAD src0_sel:WORD_0
	v_mul_f32_e32 v4, 0x45800000, v3
	v_cndmask_b32_e32 v4, v3, v4, vcc
	v_mov_b32_e32 v5, v4
	;;#ASMSTART
	v_pk_mul_f32 v[6:7], v[32:33], v[4:5]
	;;#ASMEND
	;;#ASMSTART
	v_pk_mul_f32 v[8:9], v[18:19], v[4:5]
	;;#ASMEND
	;; [unrolled: 3-line block ×6, first 2 shown]
	v_cvt_f32_u32_sdwa v19, v80 dst_sel:DWORD dst_unused:UNUSED_PAD src0_sel:WORD_1
	v_cvt_f32_u32_sdwa v18, v80 dst_sel:DWORD dst_unused:UNUSED_PAD src0_sel:WORD_0
	;;#ASMSTART
	v_pk_mul_f32 v[14:15], v[14:15], v[4:5]
	;;#ASMEND
	;;#ASMSTART
	v_pk_mul_f32 v[4:5], v[92:93], v[4:5]
	;;#ASMEND
	;; [unrolled: 3-line block ×4, first 2 shown]
	v_cvt_f32_u32_sdwa v7, v82 dst_sel:DWORD dst_unused:UNUSED_PAD src0_sel:WORD_1
	v_cvt_f32_u32_sdwa v6, v82 dst_sel:DWORD dst_unused:UNUSED_PAD src0_sel:WORD_0
	v_cvt_f32_u32_sdwa v9, v83 dst_sel:DWORD dst_unused:UNUSED_PAD src0_sel:WORD_1
	v_cvt_f32_u32_sdwa v8, v83 dst_sel:DWORD dst_unused:UNUSED_PAD src0_sel:WORD_0
	;; [unrolled: 2-line block ×3, first 2 shown]
	;;#ASMSTART
	v_pk_mul_f32 v[50:51], v[10:11], v[6:7]
	;;#ASMEND
	;;#ASMSTART
	v_pk_mul_f32 v[40:41], v[12:13], v[8:9]
	;;#ASMEND
	;; [unrolled: 3-line block ×6, first 2 shown]
	s_or_b64 exec, exec, s[28:29]
	s_mov_b64 s[2:3], -1
	s_and_b64 vcc, exec, s[22:23]
	s_cbranch_vccz .LBB824_15
.LBB824_19:
	s_and_saveexec_b64 s[2:3], s[0:1]
	s_cbranch_execz .LBB824_21
; %bb.20:
	s_mul_hi_i32 s23, s10, s6
	s_mul_i32 s22, s10, s6
	s_lshl_b64 s[22:23], s[22:23], 1
	s_add_u32 s28, s36, s22
	s_addc_u32 s7, s37, s23
	s_and_b32 s29, s7, 0xffff
	s_mov_b32 s7, 0x7060302
	s_mov_b32 s31, 0x20000
	v_perm_b32 v7, v41, v40, s7
	v_perm_b32 v6, v51, v50, s7
	;; [unrolled: 1-line block ×4, first 2 shown]
	v_lshlrev_b32_e32 v3, 5, v0
	buffer_store_dwordx4 v[4:7], v3, s[28:31], 0 offen
	;;#ASMSTART
	s_nop 0
	;;#ASMEND
	s_nop 0
	v_perm_b32 v7, v93, v92, s7
	v_perm_b32 v6, v15, v14, s7
	;; [unrolled: 1-line block ×4, first 2 shown]
	buffer_store_dwordx4 v[4:7], v3, s[28:31], 16 offen
	;;#ASMSTART
	s_nop 0
	;;#ASMEND
.LBB824_21:
	s_or_b64 exec, exec, s[2:3]
	s_cbranch_execnz .LBB824_16
.LBB824_22:
	v_mov_b32_e32 v3, 0
	s_and_saveexec_b64 s[2:3], s[0:1]
	s_cbranch_execz .LBB824_24
; %bb.23:
	v_and_b32_e32 v3, 0x7fffffff, v32
	v_and_b32_e32 v4, 0x7fffffff, v33
	v_mov_b32_e32 v11, 0x2edbe6ff
	;;#ASMSTART
	v_max3_f32 v3, v11, v3, v4

	;;#ASMEND
	v_and_b32_e32 v5, 0x7fffffff, v18
	v_and_b32_e32 v6, 0x7fffffff, v19
	;;#ASMSTART
	v_max3_f32 v3, v3, v5, v6

	;;#ASMEND
	v_and_b32_e32 v7, 0x7fffffff, v50
	v_and_b32_e32 v8, 0x7fffffff, v51
	;; [unrolled: 6-line block ×7, first 2 shown]
	;;#ASMSTART
	v_max3_f32 v3, v3, v4, v5

	;;#ASMEND
.LBB824_24:
	s_or_b64 exec, exec, s[2:3]
	v_cmp_eq_u32_e32 vcc, 0, v2
	v_cmp_gt_i32_e64 s[2:3], s15, v1
	s_and_b64 s[22:23], vcc, s[2:3]
	;;#ASMSTART
	v_max_f32 v4, v3, v3 quad_perm:[1,0,3,2] row_mask:0xf bank_mask:0xf bound_ctrl:1
	;;#ASMEND
	;;#ASMSTART
	v_max_f32 v3, v4, v4 quad_perm:[2,3,0,1] row_mask:0xf bank_mask:0xf bound_ctrl:1
	;;#ASMEND
	s_and_saveexec_b64 s[2:3], s[22:23]
	s_cbranch_execz .LBB824_26
; %bb.25:
	s_load_dwordx2 s[22:23], s[4:5], 0x8
	v_mul_f32_e32 v2, 0x3e2aaaab, v3
	v_lshrrev_b32_e32 v3, 23, v2
	v_and_b32_e32 v4, 0x7f800000, v2
	v_and_b32_e32 v2, 0x7fffff, v2
	v_cmp_ne_u32_e32 vcc, 0, v2
	s_mul_i32 s12, s25, s6
	s_mov_b32 s7, 0x7f800000
	v_addc_co_u32_e32 v2, vcc, 0, v3, vcc
	s_mul_hi_i32 s11, s25, s6
	s_waitcnt lgkmcnt(0)
	s_add_u32 s22, s22, s12
	v_cmp_ne_u32_e32 vcc, s7, v4
	s_addc_u32 s23, s23, s11
	v_lshrrev_b32_e32 v5, 2, v0
	v_cndmask_b32_e32 v4, -1, v2, vcc
	v_pk_mov_b32 v[2:3], s[22:23], s[22:23] op_sel:[0,1]
	v_mad_i64_i32 v[2:3], s[22:23], s26, v5, v[2:3]
	global_store_byte v[2:3], v4, off
.LBB824_26:
	s_or_b64 exec, exec, s[2:3]
	s_and_saveexec_b64 s[2:3], s[0:1]
	s_cbranch_execz .LBB824_28
; %bb.27:
	s_load_dwordx2 s[0:1], s[4:5], 0x0
	s_mul_i32 s11, s24, s6
	s_mul_hi_i32 s7, s24, s6
	v_mov_b32_e32 v2, 0
	v_lshlrev_b32_e32 v4, 3, v0
	s_waitcnt lgkmcnt(0)
	s_add_u32 s24, s0, s11
	s_addc_u32 s0, s1, s7
	s_lshr_b32 s1, s15, 31
	s_add_i32 s1, s15, s1
	s_ashr_i32 s1, s1, 1
	s_add_i32 s1, s1, 3
	s_ashr_i32 s7, s1, 31
	s_lshr_b32 s7, s7, 30
	s_add_i32 s1, s1, s7
	s_and_b32 s26, s1, -4
	s_and_b32 s25, s0, 0xffff
	s_mov_b32 s27, 0x20000
	v_mov_b32_e32 v3, v2
	buffer_store_dwordx2 v[2:3], v4, s[24:27], 0 offen
	;;#ASMSTART
	s_nop 0
	;;#ASMEND
.LBB824_28:
	s_or_b64 exec, exec, s[2:3]
	s_cmp_lt_i32 s16, 1
	s_cbranch_scc1 .LBB824_17
.LBB824_29:
	s_load_dword s0, s[4:5], 0x94
	s_waitcnt lgkmcnt(0)
	s_cmp_lg_u32 s0, 1
	s_cbranch_scc1 .LBB824_17
; %bb.30:
	s_lshl_b32 s0, s16, 1
	s_add_i32 s0, s0, 2
	v_cmp_gt_u32_e32 vcc, s16, v1
	s_and_b32 s22, s0, -4
	v_mov_b32_e32 v18, 0
	v_lshlrev_b32_e32 v1, 5, v0
	v_mov_b32_e32 v14, 0
	v_mov_b32_e32 v15, 0
	;; [unrolled: 1-line block ×16, first 2 shown]
	s_barrier
	s_and_saveexec_b64 s[0:1], vcc
	s_cbranch_execz .LBB824_32
; %bb.31:
	s_mul_hi_i32 s3, s18, s6
	s_mul_i32 s2, s18, s6
	s_and_b32 s21, s21, 0xffff
	s_lshl_b64 s[2:3], s[2:3], 1
	s_add_u32 s24, s34, s2
	s_mov_b32 s23, 0x20000
	s_addc_u32 s2, s35, s3
	s_and_b32 s25, s2, 0xffff
	s_mov_b32 s26, s22
	s_mov_b32 s27, s23
	buffer_load_dwordx4 v[14:17], v1, s[24:27], 0 offen
	buffer_load_dwordx4 v[10:13], v1, s[24:27], 16 offen
	;; [unrolled: 1-line block ×4, first 2 shown]
.LBB824_32:
	s_or_b64 exec, exec, s[0:1]
	v_mov_b32_e32 v19, 0
	v_mov_b32_e32 v32, 0
	;; [unrolled: 1-line block ×15, first 2 shown]
	s_and_saveexec_b64 s[0:1], vcc
	s_cbranch_execz .LBB824_34
; %bb.33:
	s_waitcnt vmcnt(3)
	v_cvt_f32_u32_sdwa v18, v14 dst_sel:DWORD dst_unused:UNUSED_PAD src0_sel:WORD_0
	v_cvt_f32_u32_sdwa v19, v14 dst_sel:DWORD dst_unused:UNUSED_PAD src0_sel:WORD_1
	v_cvt_f32_u32_sdwa v32, v15 dst_sel:DWORD dst_unused:UNUSED_PAD src0_sel:WORD_0
	v_cvt_f32_u32_sdwa v33, v15 dst_sel:DWORD dst_unused:UNUSED_PAD src0_sel:WORD_1
	;; [unrolled: 2-line block ×4, first 2 shown]
	s_waitcnt vmcnt(2)
	v_cvt_f32_u32_sdwa v26, v10 dst_sel:DWORD dst_unused:UNUSED_PAD src0_sel:WORD_0
	v_cvt_f32_u32_sdwa v27, v10 dst_sel:DWORD dst_unused:UNUSED_PAD src0_sel:WORD_1
	v_cvt_f32_u32_sdwa v24, v11 dst_sel:DWORD dst_unused:UNUSED_PAD src0_sel:WORD_0
	v_cvt_f32_u32_sdwa v25, v11 dst_sel:DWORD dst_unused:UNUSED_PAD src0_sel:WORD_1
	;; [unrolled: 2-line block ×4, first 2 shown]
.LBB824_34:
	s_or_b64 exec, exec, s[0:1]
	s_waitcnt vmcnt(2)
	v_mul_f32_e32 v10, v19, v19
	v_fmac_f32_e32 v10, v18, v18
	v_fmac_f32_e32 v10, v32, v32
	;; [unrolled: 1-line block ×15, first 2 shown]
	s_nop 1
	v_mov_b32_dpp v11, v10 quad_perm:[1,0,3,2] row_mask:0xf bank_mask:0xf
	v_add_f32_e32 v10, v10, v11
	s_nop 1
	v_mov_b32_dpp v11, v10 quad_perm:[2,3,0,1] row_mask:0xf bank_mask:0xf
	v_add_f32_e32 v10, v10, v11
	s_nop 1
	v_mov_b32_dpp v11, v10 row_half_mirror row_mask:0xf bank_mask:0xf
	v_add_f32_e32 v10, v10, v11
	s_nop 1
	v_mov_b32_dpp v11, v10 row_mirror row_mask:0xf bank_mask:0xf
	v_add_f32_e32 v10, v10, v11
	s_nop 1
	v_mov_b32_dpp v11, v10 row_bcast:15 row_mask:0xf bank_mask:0xf
	v_add_f32_e32 v10, v10, v11
	s_nop 1
	v_mov_b32_dpp v11, v10 row_bcast:31 row_mask:0xf bank_mask:0xf
	s_and_saveexec_b64 s[0:1], s[8:9]
	s_cbranch_execz .LBB824_36
; %bb.35:
	v_lshrrev_b32_e32 v0, 4, v0
	v_add_f32_e32 v10, v10, v11
	v_and_b32_e32 v0, 60, v0
	ds_write_b32 v0, v10
.LBB824_36:
	s_or_b64 exec, exec, s[0:1]
	s_waitcnt lgkmcnt(0)
	s_barrier
	ds_read_b32 v0, v34
	s_waitcnt lgkmcnt(0)
	s_nop 0
	v_mov_b32_dpp v10, v0 quad_perm:[1,0,3,2] row_mask:0xf bank_mask:0xf
	v_add_f32_e32 v0, v0, v10
	s_nop 1
	v_mov_b32_dpp v10, v0 quad_perm:[2,3,0,1] row_mask:0xf bank_mask:0xf
	s_and_saveexec_b64 s[0:1], vcc
	s_cbranch_execz .LBB824_17
; %bb.37:
	v_cvt_f32_u32_e32 v11, s16
	v_add_f32_e32 v0, v0, v10
	s_mov_b32 s23, 0x20000
	v_div_scale_f32 v10, s[0:1], v11, v11, v0
	v_rcp_f32_e32 v12, v10
	v_div_scale_f32 v13, vcc, v0, v11, v0
	s_mov_b32 s0, 0x800000
	v_fma_f32 v14, -v10, v12, 1.0
	v_fmac_f32_e32 v12, v14, v12
	v_mul_f32_e32 v14, v13, v12
	v_fma_f32 v15, -v10, v14, v13
	v_fmac_f32_e32 v14, v15, v12
	v_fma_f32 v10, -v10, v14, v13
	v_div_fmas_f32 v10, v10, v12, v14
	v_div_fixup_f32 v0, v10, v11, v0
	v_add_f32_e32 v0, s13, v0
	v_mul_f32_e32 v10, 0x4b800000, v0
	v_cmp_gt_f32_e32 vcc, s0, v0
	v_cndmask_b32_e32 v0, v0, v10, vcc
	v_rsq_f32_e32 v0, v0
	s_mul_hi_i32 s1, s10, s6
	s_mul_i32 s0, s10, s6
	s_lshl_b64 s[0:1], s[0:1], 1
	v_mul_f32_e32 v10, 0x45800000, v0
	v_cndmask_b32_e32 v10, v0, v10, vcc
	v_mov_b32_e32 v11, v10
	s_add_u32 s20, s36, s0
	;;#ASMSTART
	v_pk_mul_f32 v[12:13], v[18:19], v[10:11]
	;;#ASMEND
	;;#ASMSTART
	v_pk_mul_f32 v[14:15], v[32:33], v[10:11]
	;;#ASMEND
	;; [unrolled: 3-line block ×8, first 2 shown]
	s_waitcnt vmcnt(1)
	v_cvt_f32_u32_sdwa v21, v6 dst_sel:DWORD dst_unused:UNUSED_PAD src0_sel:WORD_1
	v_cvt_f32_u32_sdwa v20, v6 dst_sel:DWORD dst_unused:UNUSED_PAD src0_sel:WORD_0
	v_cvt_f32_u32_sdwa v29, v7 dst_sel:DWORD dst_unused:UNUSED_PAD src0_sel:WORD_1
	v_cvt_f32_u32_sdwa v28, v7 dst_sel:DWORD dst_unused:UNUSED_PAD src0_sel:WORD_0
	;; [unrolled: 2-line block ×3, first 2 shown]
	s_addc_u32 s0, s37, s1
	v_cvt_f32_u32_sdwa v31, v9 dst_sel:DWORD dst_unused:UNUSED_PAD src0_sel:WORD_1
	v_cvt_f32_u32_sdwa v30, v9 dst_sel:DWORD dst_unused:UNUSED_PAD src0_sel:WORD_0
	;;#ASMSTART
	v_pk_mul_f32 v[8:9], v[12:13], v[20:21]
	;;#ASMEND
	;;#ASMSTART
	v_pk_mul_f32 v[12:13], v[14:15], v[28:29]
	;;#ASMEND
	;; [unrolled: 3-line block ×4, first 2 shown]
	s_waitcnt vmcnt(0)
	v_cvt_f32_u32_sdwa v17, v2 dst_sel:DWORD dst_unused:UNUSED_PAD src0_sel:WORD_1
	v_cvt_f32_u32_sdwa v16, v2 dst_sel:DWORD dst_unused:UNUSED_PAD src0_sel:WORD_0
	v_cvt_f32_u32_sdwa v19, v3 dst_sel:DWORD dst_unused:UNUSED_PAD src0_sel:WORD_1
	v_cvt_f32_u32_sdwa v18, v3 dst_sel:DWORD dst_unused:UNUSED_PAD src0_sel:WORD_0
	;; [unrolled: 2-line block ×3, first 2 shown]
	s_and_b32 s21, s0, 0xffff
	s_mov_b32 s0, 0x7060302
	v_cvt_f32_u32_sdwa v21, v5 dst_sel:DWORD dst_unused:UNUSED_PAD src0_sel:WORD_1
	v_cvt_f32_u32_sdwa v20, v5 dst_sel:DWORD dst_unused:UNUSED_PAD src0_sel:WORD_0
	;;#ASMSTART
	v_pk_mul_f32 v[16:17], v[26:27], v[16:17]
	;;#ASMEND
	;;#ASMSTART
	v_pk_mul_f32 v[18:19], v[24:25], v[18:19]
	;;#ASMEND
	;; [unrolled: 3-line block ×3, first 2 shown]
	v_perm_b32 v2, v9, v8, s0
	v_perm_b32 v3, v13, v12, s0
	;; [unrolled: 1-line block ×4, first 2 shown]
	;;#ASMSTART
	v_pk_mul_f32 v[10:11], v[10:11], v[20:21]
	;;#ASMEND
	buffer_store_dwordx4 v[2:5], v1, s[20:23], 0 offen
	;;#ASMSTART
	s_nop 0
	;;#ASMEND
	s_nop 0
	v_perm_b32 v2, v17, v16, s0
	v_perm_b32 v3, v19, v18, s0
	;; [unrolled: 1-line block ×4, first 2 shown]
	buffer_store_dwordx4 v[2:5], v1, s[20:23], 16 offen
	;;#ASMSTART
	s_nop 0
	;;#ASMEND
	s_endpgm
	.section	.rodata,"a",@progbits
	.p2align	6, 0x0
	.amdhsa_kernel _ZN5aiter35fused_qk_rmsnorm_group_quant_kernelItN4opus5fp4_tELi256ELi16ELi4ELb1ELb0ELb0ELb0ELb0ELb0EEEvPT0_PvPT_S7_S7_PKS6_S9_S9_S9_S9_ffiiiiiiiiiiiii
		.amdhsa_group_segment_fixed_size 32
		.amdhsa_private_segment_fixed_size 0
		.amdhsa_kernarg_size 400
		.amdhsa_user_sgpr_count 6
		.amdhsa_user_sgpr_private_segment_buffer 1
		.amdhsa_user_sgpr_dispatch_ptr 0
		.amdhsa_user_sgpr_queue_ptr 0
		.amdhsa_user_sgpr_kernarg_segment_ptr 1
		.amdhsa_user_sgpr_dispatch_id 0
		.amdhsa_user_sgpr_flat_scratch_init 0
		.amdhsa_user_sgpr_kernarg_preload_length 0
		.amdhsa_user_sgpr_kernarg_preload_offset 0
		.amdhsa_user_sgpr_private_segment_size 0
		.amdhsa_uses_dynamic_stack 0
		.amdhsa_system_sgpr_private_segment_wavefront_offset 0
		.amdhsa_system_sgpr_workgroup_id_x 1
		.amdhsa_system_sgpr_workgroup_id_y 1
		.amdhsa_system_sgpr_workgroup_id_z 0
		.amdhsa_system_sgpr_workgroup_info 0
		.amdhsa_system_vgpr_workitem_id 0
		.amdhsa_next_free_vgpr 94
		.amdhsa_next_free_sgpr 40
		.amdhsa_accum_offset 96
		.amdhsa_reserve_vcc 1
		.amdhsa_reserve_flat_scratch 0
		.amdhsa_float_round_mode_32 0
		.amdhsa_float_round_mode_16_64 0
		.amdhsa_float_denorm_mode_32 3
		.amdhsa_float_denorm_mode_16_64 3
		.amdhsa_dx10_clamp 1
		.amdhsa_ieee_mode 1
		.amdhsa_fp16_overflow 0
		.amdhsa_tg_split 0
		.amdhsa_exception_fp_ieee_invalid_op 0
		.amdhsa_exception_fp_denorm_src 0
		.amdhsa_exception_fp_ieee_div_zero 0
		.amdhsa_exception_fp_ieee_overflow 0
		.amdhsa_exception_fp_ieee_underflow 0
		.amdhsa_exception_fp_ieee_inexact 0
		.amdhsa_exception_int_div_zero 0
	.end_amdhsa_kernel
	.section	.text._ZN5aiter35fused_qk_rmsnorm_group_quant_kernelItN4opus5fp4_tELi256ELi16ELi4ELb1ELb0ELb0ELb0ELb0ELb0EEEvPT0_PvPT_S7_S7_PKS6_S9_S9_S9_S9_ffiiiiiiiiiiiii,"axG",@progbits,_ZN5aiter35fused_qk_rmsnorm_group_quant_kernelItN4opus5fp4_tELi256ELi16ELi4ELb1ELb0ELb0ELb0ELb0ELb0EEEvPT0_PvPT_S7_S7_PKS6_S9_S9_S9_S9_ffiiiiiiiiiiiii,comdat
.Lfunc_end824:
	.size	_ZN5aiter35fused_qk_rmsnorm_group_quant_kernelItN4opus5fp4_tELi256ELi16ELi4ELb1ELb0ELb0ELb0ELb0ELb0EEEvPT0_PvPT_S7_S7_PKS6_S9_S9_S9_S9_ffiiiiiiiiiiiii, .Lfunc_end824-_ZN5aiter35fused_qk_rmsnorm_group_quant_kernelItN4opus5fp4_tELi256ELi16ELi4ELb1ELb0ELb0ELb0ELb0ELb0EEEvPT0_PvPT_S7_S7_PKS6_S9_S9_S9_S9_ffiiiiiiiiiiiii
                                        ; -- End function
	.section	.AMDGPU.csdata,"",@progbits
; Kernel info:
; codeLenInByte = 3764
; NumSgprs: 44
; NumVgprs: 94
; NumAgprs: 0
; TotalNumVgprs: 94
; ScratchSize: 0
; MemoryBound: 0
; FloatMode: 240
; IeeeMode: 1
; LDSByteSize: 32 bytes/workgroup (compile time only)
; SGPRBlocks: 5
; VGPRBlocks: 11
; NumSGPRsForWavesPerEU: 44
; NumVGPRsForWavesPerEU: 94
; AccumOffset: 96
; Occupancy: 5
; WaveLimiterHint : 0
; COMPUTE_PGM_RSRC2:SCRATCH_EN: 0
; COMPUTE_PGM_RSRC2:USER_SGPR: 6
; COMPUTE_PGM_RSRC2:TRAP_HANDLER: 0
; COMPUTE_PGM_RSRC2:TGID_X_EN: 1
; COMPUTE_PGM_RSRC2:TGID_Y_EN: 1
; COMPUTE_PGM_RSRC2:TGID_Z_EN: 0
; COMPUTE_PGM_RSRC2:TIDIG_COMP_CNT: 0
; COMPUTE_PGM_RSRC3_GFX90A:ACCUM_OFFSET: 23
; COMPUTE_PGM_RSRC3_GFX90A:TG_SPLIT: 0
	.section	.text._ZN5aiter35fused_qk_rmsnorm_group_quant_kernelIDF16_DB8_Li256ELi16ELi4ELb0ELb1ELb1ELb0ELb0ELb0EEEvPT0_PvPT_S6_S6_PKS5_S8_S8_S8_S8_ffiiiiiiiiiiiii,"axG",@progbits,_ZN5aiter35fused_qk_rmsnorm_group_quant_kernelIDF16_DB8_Li256ELi16ELi4ELb0ELb1ELb1ELb0ELb0ELb0EEEvPT0_PvPT_S6_S6_PKS5_S8_S8_S8_S8_ffiiiiiiiiiiiii,comdat
	.protected	_ZN5aiter35fused_qk_rmsnorm_group_quant_kernelIDF16_DB8_Li256ELi16ELi4ELb0ELb1ELb1ELb0ELb0ELb0EEEvPT0_PvPT_S6_S6_PKS5_S8_S8_S8_S8_ffiiiiiiiiiiiii ; -- Begin function _ZN5aiter35fused_qk_rmsnorm_group_quant_kernelIDF16_DB8_Li256ELi16ELi4ELb0ELb1ELb1ELb0ELb0ELb0EEEvPT0_PvPT_S6_S6_PKS5_S8_S8_S8_S8_ffiiiiiiiiiiiii
	.globl	_ZN5aiter35fused_qk_rmsnorm_group_quant_kernelIDF16_DB8_Li256ELi16ELi4ELb0ELb1ELb1ELb0ELb0ELb0EEEvPT0_PvPT_S6_S6_PKS5_S8_S8_S8_S8_ffiiiiiiiiiiiii
	.p2align	8
	.type	_ZN5aiter35fused_qk_rmsnorm_group_quant_kernelIDF16_DB8_Li256ELi16ELi4ELb0ELb1ELb1ELb0ELb0ELb0EEEvPT0_PvPT_S6_S6_PKS5_S8_S8_S8_S8_ffiiiiiiiiiiiii,@function
_ZN5aiter35fused_qk_rmsnorm_group_quant_kernelIDF16_DB8_Li256ELi16ELi4ELb0ELb1ELb1ELb0ELb0ELb0EEEvPT0_PvPT_S6_S6_PKS5_S8_S8_S8_S8_ffiiiiiiiiiiiii: ; @_ZN5aiter35fused_qk_rmsnorm_group_quant_kernelIDF16_DB8_Li256ELi16ELi4ELb0ELb1ELb1ELb0ELb0ELb0EEEvPT0_PvPT_S6_S6_PKS5_S8_S8_S8_S8_ffiiiiiiiiiiiii
; %bb.0:
	s_load_dwordx4 s[16:19], s[4:5], 0x50
	s_waitcnt lgkmcnt(0)
	s_cmp_ge_i32 s6, s18
	s_cbranch_scc1 .LBB825_12
; %bb.1:
	s_load_dwordx2 s[12:13], s[4:5], 0x48
	s_load_dwordx2 s[30:31], s[4:5], 0x30
	s_load_dwordx4 s[20:23], s[4:5], 0x60
	s_cmp_lg_u32 s7, 0
	s_cselect_b64 s[14:15], -1, 0
	s_cmp_eq_u32 s7, 0
	s_cselect_b64 vcc, -1, 0
	s_and_b64 s[0:1], vcc, exec
	s_waitcnt lgkmcnt(0)
	s_cselect_b32 s7, s19, s20
	s_add_i32 s0, s7, 1
	s_lshr_b32 s1, s0, 31
	s_add_i32 s0, s0, s1
	s_lshl_b32 s0, s0, 1
	v_lshlrev_b32_e32 v1, 4, v0
	s_and_b32 s10, s0, -4
	v_cmp_gt_i32_e64 s[2:3], s7, v1
	v_mov_b32_e32 v18, 0
	v_mov_b32_e32 v6, 0
	;; [unrolled: 1-line block ×17, first 2 shown]
	s_and_saveexec_b64 s[0:1], s[2:3]
	s_cbranch_execz .LBB825_3
; %bb.2:
	s_load_dwordx2 s[8:9], s[4:5], 0x28
	s_load_dwordx2 s[26:27], s[4:5], 0x40
	s_and_b64 s[24:25], vcc, exec
	s_cselect_b32 s11, s21, s22
	v_lshlrev_b32_e32 v19, 5, v0
	s_waitcnt lgkmcnt(0)
	s_cselect_b32 s18, s9, s31
	s_cselect_b32 s21, s8, s30
	s_mul_hi_i32 s9, s11, s6
	s_mul_i32 s8, s11, s6
	s_lshl_b64 s[8:9], s[8:9], 1
	s_add_u32 s24, s21, s8
	s_addc_u32 s18, s18, s9
	s_and_b64 s[8:9], vcc, exec
	s_mov_b32 s11, 0x20000
	s_cselect_b32 s8, s26, s12
	s_cselect_b32 s9, s27, s13
	s_and_b32 s25, s18, 0xffff
	s_mov_b32 s26, s10
	s_mov_b32 s27, s11
	s_and_b32 s9, s9, 0xffff
	buffer_load_dwordx4 v[14:17], v19, s[24:27], 0 offen
	buffer_load_dwordx4 v[10:13], v19, s[24:27], 16 offen
	;; [unrolled: 1-line block ×4, first 2 shown]
.LBB825_3:
	s_or_b64 exec, exec, s[0:1]
	v_mov_b32_e32 v19, 0
	v_mov_b32_e32 v32, 0
	;; [unrolled: 1-line block ×15, first 2 shown]
	s_and_saveexec_b64 s[0:1], s[2:3]
	s_cbranch_execz .LBB825_5
; %bb.4:
	s_waitcnt vmcnt(3)
	v_cvt_f32_f16_sdwa v19, v14 dst_sel:DWORD dst_unused:UNUSED_PAD src0_sel:WORD_1
	v_cvt_f32_f16_e32 v18, v14
	v_cvt_f32_f16_sdwa v33, v15 dst_sel:DWORD dst_unused:UNUSED_PAD src0_sel:WORD_1
	v_cvt_f32_f16_e32 v32, v15
	;; [unrolled: 2-line block ×4, first 2 shown]
	s_waitcnt vmcnt(2)
	v_cvt_f32_f16_sdwa v25, v10 dst_sel:DWORD dst_unused:UNUSED_PAD src0_sel:WORD_1
	v_cvt_f32_f16_e32 v24, v10
	v_cvt_f32_f16_sdwa v29, v11 dst_sel:DWORD dst_unused:UNUSED_PAD src0_sel:WORD_1
	v_cvt_f32_f16_e32 v28, v11
	;; [unrolled: 2-line block ×4, first 2 shown]
.LBB825_5:
	s_or_b64 exec, exec, s[0:1]
	s_waitcnt vmcnt(2)
	v_mul_f32_e32 v10, v19, v19
	v_fmac_f32_e32 v10, v18, v18
	v_fmac_f32_e32 v10, v32, v32
	;; [unrolled: 1-line block ×15, first 2 shown]
	v_and_b32_e32 v12, 63, v0
	v_cmp_eq_u32_e64 s[0:1], 63, v12
	v_mov_b32_dpp v11, v10 quad_perm:[1,0,3,2] row_mask:0xf bank_mask:0xf
	v_add_f32_e32 v10, v10, v11
	s_nop 1
	v_mov_b32_dpp v11, v10 quad_perm:[2,3,0,1] row_mask:0xf bank_mask:0xf
	v_add_f32_e32 v10, v10, v11
	s_nop 1
	v_mov_b32_dpp v11, v10 row_half_mirror row_mask:0xf bank_mask:0xf
	v_add_f32_e32 v10, v10, v11
	s_nop 1
	v_mov_b32_dpp v11, v10 row_mirror row_mask:0xf bank_mask:0xf
	v_add_f32_e32 v10, v10, v11
	s_nop 1
	v_mov_b32_dpp v11, v10 row_bcast:15 row_mask:0xf bank_mask:0xf
	v_add_f32_e32 v10, v10, v11
	s_nop 1
	v_mov_b32_dpp v11, v10 row_bcast:31 row_mask:0xf bank_mask:0xf
	s_and_saveexec_b64 s[8:9], s[0:1]
	s_cbranch_execz .LBB825_7
; %bb.6:
	v_add_f32_e32 v10, v10, v11
	v_lshrrev_b32_e32 v11, 4, v0
	v_and_b32_e32 v11, 60, v11
	ds_write_b32 v11, v10 offset:16
.LBB825_7:
	s_or_b64 exec, exec, s[8:9]
	v_and_b32_e32 v10, 3, v0
	v_lshlrev_b32_e32 v34, 2, v10
	s_waitcnt lgkmcnt(0)
	s_barrier
	ds_read_b32 v11, v34 offset:16
	s_load_dwordx2 s[28:29], s[4:5], 0x18
	s_waitcnt lgkmcnt(0)
	v_mov_b32_dpp v12, v11 quad_perm:[1,0,3,2] row_mask:0xf bank_mask:0xf
	v_add_f32_e32 v11, v11, v12
	s_nop 1
	v_mov_b32_dpp v12, v11 quad_perm:[2,3,0,1] row_mask:0xf bank_mask:0xf
	s_and_saveexec_b64 s[8:9], s[2:3]
	s_cbranch_execz .LBB825_9
; %bb.8:
	v_cvt_f32_u32_e32 v13, s7
	v_add_f32_e32 v11, v11, v12
	v_mov_b32_e32 v15, s17
	v_mov_b32_e32 v16, s16
	v_div_scale_f32 v12, s[24:25], v13, v13, v11
	v_rcp_f32_e32 v14, v12
	v_cndmask_b32_e32 v15, v15, v16, vcc
	s_mov_b32 s7, 0x800000
	v_fma_f32 v16, -v12, v14, 1.0
	v_fmac_f32_e32 v14, v16, v14
	v_div_scale_f32 v16, vcc, v11, v13, v11
	v_mul_f32_e32 v17, v16, v14
	v_fma_f32 v35, -v12, v17, v16
	v_fmac_f32_e32 v17, v35, v14
	v_fma_f32 v12, -v12, v17, v16
	v_div_fmas_f32 v12, v12, v14, v17
	v_div_fixup_f32 v11, v12, v13, v11
	v_add_f32_e32 v11, v15, v11
	v_mul_f32_e32 v12, 0x4b800000, v11
	v_cmp_gt_f32_e32 vcc, s7, v11
	v_cndmask_b32_e32 v11, v11, v12, vcc
	v_rsq_f32_e32 v11, v11
	v_mul_f32_e32 v12, 0x45800000, v11
	v_cndmask_b32_e32 v12, v11, v12, vcc
	v_mov_b32_e32 v13, v12
	;;#ASMSTART
	v_pk_mul_f32 v[14:15], v[18:19], v[12:13]
	;;#ASMEND
	s_waitcnt vmcnt(1)
	v_cvt_f32_f16_sdwa v19, v6 dst_sel:DWORD dst_unused:UNUSED_PAD src0_sel:WORD_1
	v_cvt_f32_f16_e32 v18, v6
	;;#ASMSTART
	v_pk_mul_f32 v[16:17], v[32:33], v[12:13]
	;;#ASMEND
	v_cvt_f32_f16_sdwa v33, v7 dst_sel:DWORD dst_unused:UNUSED_PAD src0_sel:WORD_1
	v_cvt_f32_f16_e32 v32, v7
	;;#ASMSTART
	v_pk_mul_f32 v[26:27], v[26:27], v[12:13]
	;;#ASMEND
	;;#ASMSTART
	v_pk_mul_f32 v[30:31], v[30:31], v[12:13]
	;;#ASMEND
	;; [unrolled: 3-line block ×6, first 2 shown]
	v_pk_add_f32 v[12:13], v[18:19], 1.0 op_sel_hi:[1,0]
	;;#ASMSTART
	v_pk_mul_f32 v[18:19], v[14:15], v[12:13]
	;;#ASMEND
	v_cvt_f32_f16_sdwa v15, v8 dst_sel:DWORD dst_unused:UNUSED_PAD src0_sel:WORD_1
	v_cvt_f32_f16_e32 v14, v8
	v_cvt_f32_f16_sdwa v21, v9 dst_sel:DWORD dst_unused:UNUSED_PAD src0_sel:WORD_1
	v_cvt_f32_f16_e32 v20, v9
	v_pk_add_f32 v[12:13], v[32:33], 1.0 op_sel_hi:[1,0]
	;;#ASMSTART
	v_pk_mul_f32 v[32:33], v[16:17], v[12:13]
	;;#ASMEND
	s_waitcnt vmcnt(0)
	v_cvt_f32_f16_sdwa v13, v2 dst_sel:DWORD dst_unused:UNUSED_PAD src0_sel:WORD_1
	v_cvt_f32_f16_e32 v12, v2
	v_pk_add_f32 v[8:9], v[14:15], 1.0 op_sel_hi:[1,0]
	;;#ASMSTART
	v_pk_mul_f32 v[26:27], v[26:27], v[8:9]
	;;#ASMEND
	v_pk_add_f32 v[8:9], v[20:21], 1.0 op_sel_hi:[1,0]
	v_cvt_f32_f16_sdwa v15, v3 dst_sel:DWORD dst_unused:UNUSED_PAD src0_sel:WORD_1
	v_cvt_f32_f16_e32 v14, v3
	;;#ASMSTART
	v_pk_mul_f32 v[30:31], v[30:31], v[8:9]
	;;#ASMEND
	v_cvt_f32_f16_sdwa v9, v4 dst_sel:DWORD dst_unused:UNUSED_PAD src0_sel:WORD_1
	v_cvt_f32_f16_e32 v8, v4
	v_pk_add_f32 v[2:3], v[12:13], 1.0 op_sel_hi:[1,0]
	v_cvt_f32_f16_sdwa v13, v5 dst_sel:DWORD dst_unused:UNUSED_PAD src0_sel:WORD_1
	v_cvt_f32_f16_e32 v12, v5
	;;#ASMSTART
	v_pk_mul_f32 v[24:25], v[24:25], v[2:3]
	;;#ASMEND
	v_pk_add_f32 v[2:3], v[14:15], 1.0 op_sel_hi:[1,0]
	;;#ASMSTART
	v_pk_mul_f32 v[28:29], v[28:29], v[2:3]
	;;#ASMEND
	v_pk_add_f32 v[2:3], v[8:9], 1.0 op_sel_hi:[1,0]
	;;#ASMSTART
	v_pk_mul_f32 v[22:23], v[22:23], v[2:3]
	;;#ASMEND
	v_pk_add_f32 v[2:3], v[12:13], 1.0 op_sel_hi:[1,0]
	;;#ASMSTART
	v_pk_mul_f32 v[20:21], v[6:7], v[2:3]
	;;#ASMEND
.LBB825_9:
	s_or_b64 exec, exec, s[8:9]
	s_load_dword s7, s[4:5], 0x80
	s_mov_b64 s[8:9], -1
	s_and_b64 vcc, exec, s[14:15]
	s_cbranch_vccnz .LBB825_13
; %bb.10:
	s_andn2_b64 vcc, exec, s[8:9]
	s_cbranch_vccz .LBB825_16
.LBB825_11:
	s_cmp_lt_i32 s20, 1
	s_cbranch_scc0 .LBB825_25
.LBB825_12:
	s_endpgm
.LBB825_13:
	s_and_saveexec_b64 s[14:15], s[2:3]
	s_cbranch_execz .LBB825_15
; %bb.14:
	s_waitcnt lgkmcnt(0)
	s_mul_hi_i32 s9, s7, s6
	s_mul_i32 s8, s7, s6
	s_waitcnt vmcnt(0)
	v_cvt_f16_f32_e32 v2, v18
	v_cvt_f16_f32_e32 v3, v32
	v_cvt_f16_f32_e32 v4, v26
	v_cvt_f16_f32_e32 v5, v30
	v_cvt_f16_f32_e32 v6, v31
	v_cvt_f16_f32_e32 v7, v27
	v_cvt_f16_f32_e32 v8, v33
	v_cvt_f16_f32_e32 v9, v19
	s_lshl_b64 s[8:9], s[8:9], 1
	s_add_u32 s8, s28, s8
	s_addc_u32 s9, s29, s9
	s_and_b32 s9, s9, 0xffff
	s_mov_b32 s11, 0x20000
	v_pack_b32_f16 v5, v5, v6
	v_pack_b32_f16 v4, v4, v7
	;; [unrolled: 1-line block ×4, first 2 shown]
	v_lshlrev_b32_e32 v6, 5, v0
	buffer_store_dwordx4 v[2:5], v6, s[8:11], 0 offen
	v_cvt_f16_f32_e32 v7, v21
	v_cvt_f16_f32_e32 v2, v24
	;; [unrolled: 1-line block ×8, first 2 shown]
	v_pack_b32_f16 v5, v5, v7
	v_pack_b32_f16 v4, v4, v8
	v_pack_b32_f16 v3, v3, v9
	v_pack_b32_f16 v2, v2, v11
	;;#ASMSTART
	s_nop 0
	;;#ASMEND
	buffer_store_dwordx4 v[2:5], v6, s[8:11], 16 offen
	;;#ASMSTART
	s_nop 0
	;;#ASMEND
.LBB825_15:
	s_or_b64 exec, exec, s[14:15]
	s_cbranch_execnz .LBB825_11
.LBB825_16:
	s_load_dwordx4 s[24:27], s[4:5], 0x70
	s_waitcnt vmcnt(0)
	v_mov_b32_e32 v2, 0
	s_and_saveexec_b64 s[14:15], s[2:3]
	s_cbranch_execz .LBB825_18
; %bb.17:
	s_load_dwordx2 s[8:9], s[4:5], 0x10
	s_waitcnt lgkmcnt(0)
	s_mul_hi_i32 s35, s27, s6
	s_mul_i32 s34, s27, s6
	v_cvt_f16_f32_e32 v2, v18
	v_cvt_f16_f32_e32 v3, v32
	;; [unrolled: 1-line block ×8, first 2 shown]
	s_lshl_b64 s[34:35], s[34:35], 1
	s_add_u32 s8, s8, s34
	s_addc_u32 s9, s9, s35
	s_mov_b32 s11, 0x20000
	s_and_b32 s9, s9, 0xffff
	v_pack_b32_f16 v5, v5, v6
	v_pack_b32_f16 v4, v4, v7
	v_pack_b32_f16 v3, v3, v8
	v_pack_b32_f16 v2, v2, v9
	v_lshlrev_b32_e32 v6, 5, v0
	buffer_store_dwordx4 v[2:5], v6, s[8:11], 0 offen
	v_cvt_f16_f32_e32 v7, v21
	v_cvt_f16_f32_e32 v2, v24
	;; [unrolled: 1-line block ×8, first 2 shown]
	v_pack_b32_f16 v5, v5, v7
	v_pack_b32_f16 v4, v4, v8
	;; [unrolled: 1-line block ×4, first 2 shown]
	;;#ASMSTART
	s_nop 0
	;;#ASMEND
	buffer_store_dwordx4 v[2:5], v6, s[8:11], 16 offen
	;;#ASMSTART
	s_nop 0
	;;#ASMEND
	s_nop 0
	v_mov_b32_e32 v2, 0x2edbe6ff
.LBB825_18:
	s_or_b64 exec, exec, s[14:15]
	s_and_saveexec_b64 s[8:9], s[2:3]
	s_cbranch_execz .LBB825_20
; %bb.19:
	v_and_b32_e32 v3, 0x7fffffff, v18
	v_and_b32_e32 v4, 0x7fffffff, v19
	;;#ASMSTART
	v_max3_f32 v2, v2, v3, v4

	;;#ASMEND
	v_and_b32_e32 v3, 0x7fffffff, v32
	v_and_b32_e32 v4, 0x7fffffff, v33
	;;#ASMSTART
	v_max3_f32 v2, v2, v3, v4

	;;#ASMEND
	;; [unrolled: 6-line block ×8, first 2 shown]
.LBB825_20:
	s_or_b64 exec, exec, s[8:9]
	;;#ASMSTART
	v_max_f32 v3, v2, v2 quad_perm:[1,0,3,2] row_mask:0xf bank_mask:0xf bound_ctrl:1
	;;#ASMEND
	;;#ASMSTART
	v_max_f32 v2, v3, v3 quad_perm:[2,3,0,1] row_mask:0xf bank_mask:0xf bound_ctrl:1
	;;#ASMEND
	v_cmp_eq_u32_e32 vcc, 0, v10
	v_cmp_gt_i32_e64 s[8:9], s19, v1
	v_mul_f32_e32 v2, 0x3b124925, v2
	s_and_b64 s[10:11], vcc, s[8:9]
	s_and_saveexec_b64 s[8:9], s[10:11]
	s_cbranch_execz .LBB825_22
; %bb.21:
	s_load_dwordx2 s[10:11], s[4:5], 0x8
	s_waitcnt lgkmcnt(0)
	s_mul_hi_i32 s15, s25, s6
	s_mul_i32 s14, s25, s6
	v_lshrrev_b32_e32 v3, 2, v0
	s_lshl_b64 s[14:15], s[14:15], 2
	v_mad_i64_i32 v[4:5], s[26:27], s26, v3, 0
	s_add_u32 s10, s10, s14
	s_addc_u32 s11, s11, s15
	v_lshlrev_b64 v[4:5], 2, v[4:5]
	v_mov_b32_e32 v3, s11
	v_add_co_u32_e32 v4, vcc, s10, v4
	v_addc_co_u32_e32 v5, vcc, v3, v5, vcc
	global_store_dword v[4:5], v2, off
.LBB825_22:
	s_or_b64 exec, exec, s[8:9]
	;;#ASMSTART
	v_rcp_f32 v2, v2
	;;#ASMEND
	s_and_saveexec_b64 s[14:15], s[2:3]
	s_cbranch_execz .LBB825_24
; %bb.23:
	s_load_dwordx2 s[2:3], s[4:5], 0x0
	s_waitcnt lgkmcnt(0)
	s_mul_i32 s8, s24, s6
	s_mul_hi_i32 s9, s24, s6
	v_mov_b32_e32 v3, v2
	;;#ASMSTART
	v_pk_mul_f32 v[4:5], v[18:19], v[2:3]
	;;#ASMEND
	s_add_u32 s8, s2, s8
	s_addc_u32 s2, s3, s9
	s_add_i32 s3, s19, 3
	s_ashr_i32 s10, s3, 31
	v_mov_b32_e32 v10, 0xc3e00000
	v_mov_b32_e32 v11, 0x43e00000
	;;#ASMSTART
	v_med3_f32 v4, v4, v10, v11
v_med3_f32 v5, v5, v10, v11
v_cvt_pk_fp8_f32 v6, v4, v5
	;;#ASMEND
	s_and_b32 s9, s2, 0xffff
	s_lshr_b32 s2, s10, 30
	;;#ASMSTART
	v_pk_mul_f32 v[4:5], v[32:33], v[2:3]
	;;#ASMEND
	s_add_i32 s3, s3, s2
	;;#ASMSTART
	v_med3_f32 v4, v4, v10, v11
v_med3_f32 v5, v5, v10, v11
v_cvt_pk_fp8_f32 v7, v4, v5
	;;#ASMEND
	s_mov_b32 s2, 0x5040100
	v_perm_b32 v4, v7, v6, s2
	s_mov_b32 s2, 0x1060504
	v_perm_b32 v4, v4, v7, s2
	;;#ASMSTART
	v_pk_mul_f32 v[6:7], v[26:27], v[2:3]
	;;#ASMEND
	v_mov_b32_e32 v5, v7
	;;#ASMSTART
	v_med3_f32 v6, v6, v10, v11
v_med3_f32 v5, v5, v10, v11
v_cvt_pk_fp8_f32 v8, v6, v5
	;;#ASMEND
	;;#ASMSTART
	v_pk_mul_f32 v[6:7], v[30:31], v[2:3]
	;;#ASMEND
	v_mov_b32_e32 v5, v7
	;;#ASMSTART
	v_med3_f32 v6, v6, v10, v11
v_med3_f32 v5, v5, v10, v11
v_cvt_pk_fp8_f32 v7, v6, v5
	;;#ASMEND
	s_mov_b32 s2, 0x1000504
	v_perm_b32 v5, v8, v7, s2
	;;#ASMSTART
	v_pk_mul_f32 v[6:7], v[24:25], v[2:3]
	;;#ASMEND
	;;#ASMSTART
	v_med3_f32 v6, v6, v10, v11
v_med3_f32 v7, v7, v10, v11
v_cvt_pk_fp8_f32 v8, v6, v7
	;;#ASMEND
	;;#ASMSTART
	v_pk_mul_f32 v[6:7], v[28:29], v[2:3]
	;;#ASMEND
	;;#ASMSTART
	v_med3_f32 v6, v6, v10, v11
v_med3_f32 v7, v7, v10, v11
v_cvt_pk_fp8_f32 v9, v6, v7
	;;#ASMEND
	v_perm_b32 v6, v8, v9, s2
	;;#ASMSTART
	v_pk_mul_f32 v[8:9], v[22:23], v[2:3]
	;;#ASMEND
	v_mov_b32_e32 v7, v9
	;;#ASMSTART
	v_med3_f32 v8, v8, v10, v11
v_med3_f32 v7, v7, v10, v11
v_cvt_pk_fp8_f32 v9, v8, v7
	;;#ASMEND
	;;#ASMSTART
	v_pk_mul_f32 v[2:3], v[20:21], v[2:3]
	;;#ASMEND
	;;#ASMSTART
	v_med3_f32 v2, v2, v10, v11
v_med3_f32 v3, v3, v10, v11
v_cvt_pk_fp8_f32 v7, v2, v3
	;;#ASMEND
	s_and_b32 s10, s3, -4
	s_mov_b32 s11, 0x20000
	v_perm_b32 v7, v9, v7, s2
	buffer_store_dwordx4 v[4:7], v1, s[8:11], 0 offen
	;;#ASMSTART
	s_nop 0
	;;#ASMEND
.LBB825_24:
	s_or_b64 exec, exec, s[14:15]
	s_cmp_lt_i32 s20, 1
	s_cbranch_scc1 .LBB825_12
.LBB825_25:
	s_load_dword s2, s[4:5], 0x94
	s_waitcnt lgkmcnt(0)
	s_cmp_lg_u32 s2, 1
	s_cbranch_scc1 .LBB825_12
; %bb.26:
	s_lshl_b32 s2, s20, 1
	s_add_i32 s2, s2, 2
	v_cmp_gt_u32_e32 vcc, s20, v1
	s_and_b32 s14, s2, -4
	v_mov_b32_e32 v18, 0
	v_lshlrev_b32_e32 v1, 5, v0
	v_mov_b32_e32 v14, 0
	v_mov_b32_e32 v15, 0
	;; [unrolled: 1-line block ×8, first 2 shown]
	s_waitcnt vmcnt(1)
	v_mov_b32_e32 v6, 0
	v_mov_b32_e32 v7, 0
	;; [unrolled: 1-line block ×4, first 2 shown]
	s_waitcnt vmcnt(0)
	v_mov_b32_e32 v2, 0
	v_mov_b32_e32 v3, 0
	;; [unrolled: 1-line block ×4, first 2 shown]
	s_barrier
	s_and_saveexec_b64 s[2:3], vcc
	s_cbranch_execz .LBB825_28
; %bb.27:
	s_mul_hi_i32 s5, s22, s6
	s_mul_i32 s4, s22, s6
	s_and_b32 s13, s13, 0xffff
	s_lshl_b64 s[4:5], s[4:5], 1
	s_add_u32 s8, s30, s4
	s_mov_b32 s15, 0x20000
	s_addc_u32 s4, s31, s5
	s_and_b32 s9, s4, 0xffff
	s_mov_b32 s10, s14
	s_mov_b32 s11, s15
	buffer_load_dwordx4 v[14:17], v1, s[8:11], 0 offen
	buffer_load_dwordx4 v[10:13], v1, s[8:11], 16 offen
	;; [unrolled: 1-line block ×4, first 2 shown]
.LBB825_28:
	s_or_b64 exec, exec, s[2:3]
	v_mov_b32_e32 v19, 0
	v_mov_b32_e32 v32, 0
	;; [unrolled: 1-line block ×15, first 2 shown]
	s_and_saveexec_b64 s[2:3], vcc
	s_cbranch_execz .LBB825_30
; %bb.29:
	s_waitcnt vmcnt(3)
	v_cvt_f32_f16_sdwa v19, v14 dst_sel:DWORD dst_unused:UNUSED_PAD src0_sel:WORD_1
	v_cvt_f32_f16_e32 v18, v14
	v_cvt_f32_f16_sdwa v33, v15 dst_sel:DWORD dst_unused:UNUSED_PAD src0_sel:WORD_1
	v_cvt_f32_f16_e32 v32, v15
	;; [unrolled: 2-line block ×4, first 2 shown]
	s_waitcnt vmcnt(2)
	v_cvt_f32_f16_sdwa v27, v10 dst_sel:DWORD dst_unused:UNUSED_PAD src0_sel:WORD_1
	v_cvt_f32_f16_e32 v26, v10
	v_cvt_f32_f16_sdwa v25, v11 dst_sel:DWORD dst_unused:UNUSED_PAD src0_sel:WORD_1
	v_cvt_f32_f16_e32 v24, v11
	;; [unrolled: 2-line block ×4, first 2 shown]
.LBB825_30:
	s_or_b64 exec, exec, s[2:3]
	s_waitcnt vmcnt(2)
	v_mul_f32_e32 v10, v19, v19
	v_fmac_f32_e32 v10, v18, v18
	v_fmac_f32_e32 v10, v32, v32
	v_fmac_f32_e32 v10, v33, v33
	v_fmac_f32_e32 v10, v30, v30
	v_fmac_f32_e32 v10, v31, v31
	v_fmac_f32_e32 v10, v28, v28
	v_fmac_f32_e32 v10, v29, v29
	v_fmac_f32_e32 v10, v26, v26
	v_fmac_f32_e32 v10, v27, v27
	v_fmac_f32_e32 v10, v24, v24
	v_fmac_f32_e32 v10, v25, v25
	v_fmac_f32_e32 v10, v22, v22
	v_fmac_f32_e32 v10, v23, v23
	v_fmac_f32_e32 v10, v20, v20
	v_fmac_f32_e32 v10, v21, v21
	s_nop 1
	v_mov_b32_dpp v11, v10 quad_perm:[1,0,3,2] row_mask:0xf bank_mask:0xf
	v_add_f32_e32 v10, v10, v11
	s_nop 1
	v_mov_b32_dpp v11, v10 quad_perm:[2,3,0,1] row_mask:0xf bank_mask:0xf
	v_add_f32_e32 v10, v10, v11
	s_nop 1
	v_mov_b32_dpp v11, v10 row_half_mirror row_mask:0xf bank_mask:0xf
	v_add_f32_e32 v10, v10, v11
	s_nop 1
	v_mov_b32_dpp v11, v10 row_mirror row_mask:0xf bank_mask:0xf
	v_add_f32_e32 v10, v10, v11
	s_nop 1
	v_mov_b32_dpp v11, v10 row_bcast:15 row_mask:0xf bank_mask:0xf
	v_add_f32_e32 v10, v10, v11
	s_nop 1
	v_mov_b32_dpp v11, v10 row_bcast:31 row_mask:0xf bank_mask:0xf
	s_and_saveexec_b64 s[2:3], s[0:1]
	s_cbranch_execz .LBB825_32
; %bb.31:
	v_lshrrev_b32_e32 v0, 4, v0
	v_add_f32_e32 v10, v10, v11
	v_and_b32_e32 v0, 60, v0
	ds_write_b32 v0, v10
.LBB825_32:
	s_or_b64 exec, exec, s[2:3]
	s_waitcnt lgkmcnt(0)
	s_barrier
	ds_read_b32 v0, v34
	s_waitcnt lgkmcnt(0)
	s_nop 0
	v_mov_b32_dpp v10, v0 quad_perm:[1,0,3,2] row_mask:0xf bank_mask:0xf
	v_add_f32_e32 v0, v0, v10
	s_nop 1
	v_mov_b32_dpp v10, v0 quad_perm:[2,3,0,1] row_mask:0xf bank_mask:0xf
	s_and_saveexec_b64 s[0:1], vcc
	s_cbranch_execz .LBB825_12
; %bb.33:
	v_cvt_f32_u32_e32 v11, s20
	v_add_f32_e32 v0, v0, v10
	s_mov_b32 s15, 0x20000
	v_div_scale_f32 v10, s[0:1], v11, v11, v0
	v_rcp_f32_e32 v12, v10
	v_div_scale_f32 v13, vcc, v0, v11, v0
	s_mov_b32 s0, 0x800000
	v_fma_f32 v14, -v10, v12, 1.0
	v_fmac_f32_e32 v12, v14, v12
	v_mul_f32_e32 v14, v13, v12
	v_fma_f32 v15, -v10, v14, v13
	v_fmac_f32_e32 v14, v15, v12
	v_fma_f32 v10, -v10, v14, v13
	v_div_fmas_f32 v10, v10, v12, v14
	v_div_fixup_f32 v0, v10, v11, v0
	v_add_f32_e32 v0, s17, v0
	v_mul_f32_e32 v10, 0x4b800000, v0
	v_cmp_gt_f32_e32 vcc, s0, v0
	v_cndmask_b32_e32 v0, v0, v10, vcc
	v_rsq_f32_e32 v0, v0
	s_mul_hi_i32 s1, s7, s6
	s_mul_i32 s0, s7, s6
	s_lshl_b64 s[0:1], s[0:1], 1
	v_mul_f32_e32 v10, 0x45800000, v0
	v_cndmask_b32_e32 v10, v0, v10, vcc
	v_mov_b32_e32 v11, v10
	;;#ASMSTART
	v_pk_mul_f32 v[12:13], v[18:19], v[10:11]
	;;#ASMEND
	;;#ASMSTART
	v_pk_mul_f32 v[14:15], v[32:33], v[10:11]
	;;#ASMEND
	;; [unrolled: 3-line block ×4, first 2 shown]
	s_waitcnt vmcnt(1)
	v_cvt_f32_f16_sdwa v29, v6 dst_sel:DWORD dst_unused:UNUSED_PAD src0_sel:WORD_1
	v_cvt_f32_f16_e32 v28, v6
	v_cvt_f32_f16_sdwa v31, v7 dst_sel:DWORD dst_unused:UNUSED_PAD src0_sel:WORD_1
	v_cvt_f32_f16_e32 v30, v7
	;;#ASMSTART
	v_pk_mul_f32 v[26:27], v[26:27], v[10:11]
	;;#ASMEND
	;;#ASMSTART
	v_pk_mul_f32 v[24:25], v[24:25], v[10:11]
	;;#ASMEND
	;; [unrolled: 3-line block ×4, first 2 shown]
	v_cvt_f32_f16_sdwa v21, v8 dst_sel:DWORD dst_unused:UNUSED_PAD src0_sel:WORD_1
	v_cvt_f32_f16_e32 v20, v8
	v_pk_add_f32 v[10:11], v[28:29], 1.0 op_sel_hi:[1,0]
	;;#ASMSTART
	v_pk_mul_f32 v[10:11], v[12:13], v[10:11]
	;;#ASMEND
	v_pk_add_f32 v[12:13], v[30:31], 1.0 op_sel_hi:[1,0]
	v_cvt_f32_f16_sdwa v29, v9 dst_sel:DWORD dst_unused:UNUSED_PAD src0_sel:WORD_1
	v_cvt_f32_f16_e32 v28, v9
	;;#ASMSTART
	v_pk_mul_f32 v[8:9], v[14:15], v[12:13]
	;;#ASMEND
	v_pk_add_f32 v[12:13], v[20:21], 1.0 op_sel_hi:[1,0]
	;;#ASMSTART
	v_pk_mul_f32 v[12:13], v[16:17], v[12:13]
	;;#ASMEND
	s_waitcnt vmcnt(0)
	v_cvt_f32_f16_sdwa v17, v2 dst_sel:DWORD dst_unused:UNUSED_PAD src0_sel:WORD_1
	v_cvt_f32_f16_e32 v16, v2
	v_cvt_f32_f16_sdwa v21, v3 dst_sel:DWORD dst_unused:UNUSED_PAD src0_sel:WORD_1
	v_cvt_f32_f16_e32 v20, v3
	v_pk_add_f32 v[14:15], v[28:29], 1.0 op_sel_hi:[1,0]
	;;#ASMSTART
	v_pk_mul_f32 v[2:3], v[18:19], v[14:15]
	;;#ASMEND
	v_cvt_f32_f16_sdwa v19, v4 dst_sel:DWORD dst_unused:UNUSED_PAD src0_sel:WORD_1
	v_cvt_f32_f16_e32 v18, v4
	v_pk_add_f32 v[14:15], v[16:17], 1.0 op_sel_hi:[1,0]
	v_pk_add_f32 v[16:17], v[20:21], 1.0 op_sel_hi:[1,0]
	v_cvt_f32_f16_sdwa v21, v5 dst_sel:DWORD dst_unused:UNUSED_PAD src0_sel:WORD_1
	v_cvt_f32_f16_e32 v20, v5
	v_pk_add_f32 v[4:5], v[18:19], 1.0 op_sel_hi:[1,0]
	;;#ASMSTART
	v_pk_mul_f32 v[14:15], v[26:27], v[14:15]
	;;#ASMEND
	;;#ASMSTART
	v_pk_mul_f32 v[16:17], v[24:25], v[16:17]
	;;#ASMEND
	;; [unrolled: 3-line block ×3, first 2 shown]
	v_pk_add_f32 v[4:5], v[20:21], 1.0 op_sel_hi:[1,0]
	;;#ASMSTART
	v_pk_mul_f32 v[6:7], v[6:7], v[4:5]
	;;#ASMEND
	v_cvt_f16_f32_e32 v0, v10
	v_cvt_f16_f32_e32 v4, v11
	;; [unrolled: 1-line block ×8, first 2 shown]
	s_add_u32 s12, s28, s0
	s_addc_u32 s0, s29, s1
	s_and_b32 s13, s0, 0xffff
	v_pack_b32_f16 v2, v0, v4
	v_pack_b32_f16 v3, v5, v8
	;; [unrolled: 1-line block ×4, first 2 shown]
	buffer_store_dwordx4 v[2:5], v1, s[12:15], 0 offen
	v_cvt_f16_f32_e32 v0, v14
	v_cvt_f16_f32_e32 v2, v15
	;; [unrolled: 1-line block ×8, first 2 shown]
	v_pack_b32_f16 v2, v0, v2
	v_pack_b32_f16 v3, v3, v4
	;; [unrolled: 1-line block ×4, first 2 shown]
	;;#ASMSTART
	s_nop 0
	;;#ASMEND
	buffer_store_dwordx4 v[2:5], v1, s[12:15], 16 offen
	;;#ASMSTART
	s_nop 0
	;;#ASMEND
	s_endpgm
	.section	.rodata,"a",@progbits
	.p2align	6, 0x0
	.amdhsa_kernel _ZN5aiter35fused_qk_rmsnorm_group_quant_kernelIDF16_DB8_Li256ELi16ELi4ELb0ELb1ELb1ELb0ELb0ELb0EEEvPT0_PvPT_S6_S6_PKS5_S8_S8_S8_S8_ffiiiiiiiiiiiii
		.amdhsa_group_segment_fixed_size 32
		.amdhsa_private_segment_fixed_size 0
		.amdhsa_kernarg_size 400
		.amdhsa_user_sgpr_count 6
		.amdhsa_user_sgpr_private_segment_buffer 1
		.amdhsa_user_sgpr_dispatch_ptr 0
		.amdhsa_user_sgpr_queue_ptr 0
		.amdhsa_user_sgpr_kernarg_segment_ptr 1
		.amdhsa_user_sgpr_dispatch_id 0
		.amdhsa_user_sgpr_flat_scratch_init 0
		.amdhsa_user_sgpr_kernarg_preload_length 0
		.amdhsa_user_sgpr_kernarg_preload_offset 0
		.amdhsa_user_sgpr_private_segment_size 0
		.amdhsa_uses_dynamic_stack 0
		.amdhsa_system_sgpr_private_segment_wavefront_offset 0
		.amdhsa_system_sgpr_workgroup_id_x 1
		.amdhsa_system_sgpr_workgroup_id_y 1
		.amdhsa_system_sgpr_workgroup_id_z 0
		.amdhsa_system_sgpr_workgroup_info 0
		.amdhsa_system_vgpr_workitem_id 0
		.amdhsa_next_free_vgpr 36
		.amdhsa_next_free_sgpr 36
		.amdhsa_accum_offset 36
		.amdhsa_reserve_vcc 1
		.amdhsa_reserve_flat_scratch 0
		.amdhsa_float_round_mode_32 0
		.amdhsa_float_round_mode_16_64 0
		.amdhsa_float_denorm_mode_32 3
		.amdhsa_float_denorm_mode_16_64 3
		.amdhsa_dx10_clamp 1
		.amdhsa_ieee_mode 1
		.amdhsa_fp16_overflow 0
		.amdhsa_tg_split 0
		.amdhsa_exception_fp_ieee_invalid_op 0
		.amdhsa_exception_fp_denorm_src 0
		.amdhsa_exception_fp_ieee_div_zero 0
		.amdhsa_exception_fp_ieee_overflow 0
		.amdhsa_exception_fp_ieee_underflow 0
		.amdhsa_exception_fp_ieee_inexact 0
		.amdhsa_exception_int_div_zero 0
	.end_amdhsa_kernel
	.section	.text._ZN5aiter35fused_qk_rmsnorm_group_quant_kernelIDF16_DB8_Li256ELi16ELi4ELb0ELb1ELb1ELb0ELb0ELb0EEEvPT0_PvPT_S6_S6_PKS5_S8_S8_S8_S8_ffiiiiiiiiiiiii,"axG",@progbits,_ZN5aiter35fused_qk_rmsnorm_group_quant_kernelIDF16_DB8_Li256ELi16ELi4ELb0ELb1ELb1ELb0ELb0ELb0EEEvPT0_PvPT_S6_S6_PKS5_S8_S8_S8_S8_ffiiiiiiiiiiiii,comdat
.Lfunc_end825:
	.size	_ZN5aiter35fused_qk_rmsnorm_group_quant_kernelIDF16_DB8_Li256ELi16ELi4ELb0ELb1ELb1ELb0ELb0ELb0EEEvPT0_PvPT_S6_S6_PKS5_S8_S8_S8_S8_ffiiiiiiiiiiiii, .Lfunc_end825-_ZN5aiter35fused_qk_rmsnorm_group_quant_kernelIDF16_DB8_Li256ELi16ELi4ELb0ELb1ELb1ELb0ELb0ELb0EEEvPT0_PvPT_S6_S6_PKS5_S8_S8_S8_S8_ffiiiiiiiiiiiii
                                        ; -- End function
	.section	.AMDGPU.csdata,"",@progbits
; Kernel info:
; codeLenInByte = 3772
; NumSgprs: 40
; NumVgprs: 36
; NumAgprs: 0
; TotalNumVgprs: 36
; ScratchSize: 0
; MemoryBound: 0
; FloatMode: 240
; IeeeMode: 1
; LDSByteSize: 32 bytes/workgroup (compile time only)
; SGPRBlocks: 4
; VGPRBlocks: 4
; NumSGPRsForWavesPerEU: 40
; NumVGPRsForWavesPerEU: 36
; AccumOffset: 36
; Occupancy: 8
; WaveLimiterHint : 0
; COMPUTE_PGM_RSRC2:SCRATCH_EN: 0
; COMPUTE_PGM_RSRC2:USER_SGPR: 6
; COMPUTE_PGM_RSRC2:TRAP_HANDLER: 0
; COMPUTE_PGM_RSRC2:TGID_X_EN: 1
; COMPUTE_PGM_RSRC2:TGID_Y_EN: 1
; COMPUTE_PGM_RSRC2:TGID_Z_EN: 0
; COMPUTE_PGM_RSRC2:TIDIG_COMP_CNT: 0
; COMPUTE_PGM_RSRC3_GFX90A:ACCUM_OFFSET: 8
; COMPUTE_PGM_RSRC3_GFX90A:TG_SPLIT: 0
	.section	.text._ZN5aiter35fused_qk_rmsnorm_group_quant_kernelItDB8_Li256ELi16ELi4ELb0ELb1ELb1ELb0ELb0ELb0EEEvPT0_PvPT_S6_S6_PKS5_S8_S8_S8_S8_ffiiiiiiiiiiiii,"axG",@progbits,_ZN5aiter35fused_qk_rmsnorm_group_quant_kernelItDB8_Li256ELi16ELi4ELb0ELb1ELb1ELb0ELb0ELb0EEEvPT0_PvPT_S6_S6_PKS5_S8_S8_S8_S8_ffiiiiiiiiiiiii,comdat
	.protected	_ZN5aiter35fused_qk_rmsnorm_group_quant_kernelItDB8_Li256ELi16ELi4ELb0ELb1ELb1ELb0ELb0ELb0EEEvPT0_PvPT_S6_S6_PKS5_S8_S8_S8_S8_ffiiiiiiiiiiiii ; -- Begin function _ZN5aiter35fused_qk_rmsnorm_group_quant_kernelItDB8_Li256ELi16ELi4ELb0ELb1ELb1ELb0ELb0ELb0EEEvPT0_PvPT_S6_S6_PKS5_S8_S8_S8_S8_ffiiiiiiiiiiiii
	.globl	_ZN5aiter35fused_qk_rmsnorm_group_quant_kernelItDB8_Li256ELi16ELi4ELb0ELb1ELb1ELb0ELb0ELb0EEEvPT0_PvPT_S6_S6_PKS5_S8_S8_S8_S8_ffiiiiiiiiiiiii
	.p2align	8
	.type	_ZN5aiter35fused_qk_rmsnorm_group_quant_kernelItDB8_Li256ELi16ELi4ELb0ELb1ELb1ELb0ELb0ELb0EEEvPT0_PvPT_S6_S6_PKS5_S8_S8_S8_S8_ffiiiiiiiiiiiii,@function
_ZN5aiter35fused_qk_rmsnorm_group_quant_kernelItDB8_Li256ELi16ELi4ELb0ELb1ELb1ELb0ELb0ELb0EEEvPT0_PvPT_S6_S6_PKS5_S8_S8_S8_S8_ffiiiiiiiiiiiii: ; @_ZN5aiter35fused_qk_rmsnorm_group_quant_kernelItDB8_Li256ELi16ELi4ELb0ELb1ELb1ELb0ELb0ELb0EEEvPT0_PvPT_S6_S6_PKS5_S8_S8_S8_S8_ffiiiiiiiiiiiii
; %bb.0:
	s_load_dwordx4 s[16:19], s[4:5], 0x50
	s_waitcnt lgkmcnt(0)
	s_cmp_ge_i32 s6, s18
	s_cbranch_scc1 .LBB826_12
; %bb.1:
	s_load_dwordx2 s[12:13], s[4:5], 0x48
	s_load_dwordx2 s[30:31], s[4:5], 0x30
	s_load_dwordx4 s[20:23], s[4:5], 0x60
	s_cmp_lg_u32 s7, 0
	s_cselect_b64 s[14:15], -1, 0
	s_cmp_eq_u32 s7, 0
	s_cselect_b64 vcc, -1, 0
	s_and_b64 s[0:1], vcc, exec
	s_waitcnt lgkmcnt(0)
	s_cselect_b32 s7, s19, s20
	s_add_i32 s0, s7, 1
	s_lshr_b32 s1, s0, 31
	s_add_i32 s0, s0, s1
	s_lshl_b32 s0, s0, 1
	v_lshlrev_b32_e32 v1, 4, v0
	s_and_b32 s10, s0, -4
	v_cmp_gt_i32_e64 s[2:3], s7, v1
	v_mov_b32_e32 v18, 0
	v_mov_b32_e32 v6, 0
	;; [unrolled: 1-line block ×17, first 2 shown]
	s_and_saveexec_b64 s[0:1], s[2:3]
	s_cbranch_execz .LBB826_3
; %bb.2:
	s_load_dwordx2 s[8:9], s[4:5], 0x28
	s_load_dwordx2 s[26:27], s[4:5], 0x40
	s_and_b64 s[24:25], vcc, exec
	s_cselect_b32 s11, s21, s22
	v_lshlrev_b32_e32 v19, 5, v0
	s_waitcnt lgkmcnt(0)
	s_cselect_b32 s18, s9, s31
	s_cselect_b32 s21, s8, s30
	s_mul_hi_i32 s9, s11, s6
	s_mul_i32 s8, s11, s6
	s_lshl_b64 s[8:9], s[8:9], 1
	s_add_u32 s24, s21, s8
	s_addc_u32 s18, s18, s9
	s_and_b64 s[8:9], vcc, exec
	s_mov_b32 s11, 0x20000
	s_cselect_b32 s8, s26, s12
	s_cselect_b32 s9, s27, s13
	s_and_b32 s25, s18, 0xffff
	s_mov_b32 s26, s10
	s_mov_b32 s27, s11
	s_and_b32 s9, s9, 0xffff
	buffer_load_dwordx4 v[14:17], v19, s[24:27], 0 offen
	buffer_load_dwordx4 v[10:13], v19, s[24:27], 16 offen
	;; [unrolled: 1-line block ×4, first 2 shown]
.LBB826_3:
	s_or_b64 exec, exec, s[0:1]
	v_mov_b32_e32 v19, 0
	v_mov_b32_e32 v32, 0
	;; [unrolled: 1-line block ×15, first 2 shown]
	s_and_saveexec_b64 s[0:1], s[2:3]
	s_cbranch_execz .LBB826_5
; %bb.4:
	s_waitcnt vmcnt(3)
	v_cvt_f32_u32_sdwa v18, v14 dst_sel:DWORD dst_unused:UNUSED_PAD src0_sel:WORD_0
	v_cvt_f32_u32_sdwa v19, v14 dst_sel:DWORD dst_unused:UNUSED_PAD src0_sel:WORD_1
	v_cvt_f32_u32_sdwa v32, v15 dst_sel:DWORD dst_unused:UNUSED_PAD src0_sel:WORD_0
	v_cvt_f32_u32_sdwa v33, v15 dst_sel:DWORD dst_unused:UNUSED_PAD src0_sel:WORD_1
	v_cvt_f32_u32_sdwa v26, v16 dst_sel:DWORD dst_unused:UNUSED_PAD src0_sel:WORD_0
	v_cvt_f32_u32_sdwa v27, v16 dst_sel:DWORD dst_unused:UNUSED_PAD src0_sel:WORD_1
	v_cvt_f32_u32_sdwa v30, v17 dst_sel:DWORD dst_unused:UNUSED_PAD src0_sel:WORD_0
	v_cvt_f32_u32_sdwa v31, v17 dst_sel:DWORD dst_unused:UNUSED_PAD src0_sel:WORD_1
	s_waitcnt vmcnt(2)
	v_cvt_f32_u32_sdwa v24, v10 dst_sel:DWORD dst_unused:UNUSED_PAD src0_sel:WORD_0
	v_cvt_f32_u32_sdwa v25, v10 dst_sel:DWORD dst_unused:UNUSED_PAD src0_sel:WORD_1
	v_cvt_f32_u32_sdwa v28, v11 dst_sel:DWORD dst_unused:UNUSED_PAD src0_sel:WORD_0
	v_cvt_f32_u32_sdwa v29, v11 dst_sel:DWORD dst_unused:UNUSED_PAD src0_sel:WORD_1
	v_cvt_f32_u32_sdwa v22, v12 dst_sel:DWORD dst_unused:UNUSED_PAD src0_sel:WORD_0
	v_cvt_f32_u32_sdwa v23, v12 dst_sel:DWORD dst_unused:UNUSED_PAD src0_sel:WORD_1
	v_cvt_f32_u32_sdwa v20, v13 dst_sel:DWORD dst_unused:UNUSED_PAD src0_sel:WORD_0
	v_cvt_f32_u32_sdwa v21, v13 dst_sel:DWORD dst_unused:UNUSED_PAD src0_sel:WORD_1
.LBB826_5:
	s_or_b64 exec, exec, s[0:1]
	s_waitcnt vmcnt(2)
	v_mul_f32_e32 v10, v19, v19
	v_fmac_f32_e32 v10, v18, v18
	v_fmac_f32_e32 v10, v32, v32
	;; [unrolled: 1-line block ×15, first 2 shown]
	v_and_b32_e32 v12, 63, v0
	v_cmp_eq_u32_e64 s[0:1], 63, v12
	v_mov_b32_dpp v11, v10 quad_perm:[1,0,3,2] row_mask:0xf bank_mask:0xf
	v_add_f32_e32 v10, v10, v11
	s_nop 1
	v_mov_b32_dpp v11, v10 quad_perm:[2,3,0,1] row_mask:0xf bank_mask:0xf
	v_add_f32_e32 v10, v10, v11
	s_nop 1
	v_mov_b32_dpp v11, v10 row_half_mirror row_mask:0xf bank_mask:0xf
	v_add_f32_e32 v10, v10, v11
	s_nop 1
	v_mov_b32_dpp v11, v10 row_mirror row_mask:0xf bank_mask:0xf
	v_add_f32_e32 v10, v10, v11
	s_nop 1
	v_mov_b32_dpp v11, v10 row_bcast:15 row_mask:0xf bank_mask:0xf
	v_add_f32_e32 v10, v10, v11
	s_nop 1
	v_mov_b32_dpp v11, v10 row_bcast:31 row_mask:0xf bank_mask:0xf
	s_and_saveexec_b64 s[8:9], s[0:1]
	s_cbranch_execz .LBB826_7
; %bb.6:
	v_add_f32_e32 v10, v10, v11
	v_lshrrev_b32_e32 v11, 4, v0
	v_and_b32_e32 v11, 60, v11
	ds_write_b32 v11, v10 offset:16
.LBB826_7:
	s_or_b64 exec, exec, s[8:9]
	v_and_b32_e32 v10, 3, v0
	v_lshlrev_b32_e32 v34, 2, v10
	s_waitcnt lgkmcnt(0)
	s_barrier
	ds_read_b32 v11, v34 offset:16
	s_load_dwordx2 s[28:29], s[4:5], 0x18
	s_waitcnt lgkmcnt(0)
	v_mov_b32_dpp v12, v11 quad_perm:[1,0,3,2] row_mask:0xf bank_mask:0xf
	v_add_f32_e32 v11, v11, v12
	s_nop 1
	v_mov_b32_dpp v12, v11 quad_perm:[2,3,0,1] row_mask:0xf bank_mask:0xf
	s_and_saveexec_b64 s[8:9], s[2:3]
	s_cbranch_execz .LBB826_9
; %bb.8:
	v_cvt_f32_u32_e32 v13, s7
	v_add_f32_e32 v11, v11, v12
	v_mov_b32_e32 v15, s17
	v_mov_b32_e32 v16, s16
	v_div_scale_f32 v12, s[24:25], v13, v13, v11
	v_rcp_f32_e32 v14, v12
	v_cndmask_b32_e32 v15, v15, v16, vcc
	s_mov_b32 s7, 0x800000
	v_fma_f32 v16, -v12, v14, 1.0
	v_fmac_f32_e32 v14, v16, v14
	v_div_scale_f32 v16, vcc, v11, v13, v11
	v_mul_f32_e32 v17, v16, v14
	v_fma_f32 v35, -v12, v17, v16
	v_fmac_f32_e32 v17, v35, v14
	v_fma_f32 v12, -v12, v17, v16
	v_div_fmas_f32 v12, v12, v14, v17
	v_div_fixup_f32 v11, v12, v13, v11
	v_add_f32_e32 v11, v15, v11
	v_mul_f32_e32 v12, 0x4b800000, v11
	v_cmp_gt_f32_e32 vcc, s7, v11
	v_cndmask_b32_e32 v11, v11, v12, vcc
	v_rsq_f32_e32 v11, v11
	v_mul_f32_e32 v12, 0x45800000, v11
	v_cndmask_b32_e32 v12, v11, v12, vcc
	v_mov_b32_e32 v13, v12
	;;#ASMSTART
	v_pk_mul_f32 v[14:15], v[18:19], v[12:13]
	;;#ASMEND
	s_waitcnt vmcnt(1)
	v_cvt_f32_u32_sdwa v19, v6 dst_sel:DWORD dst_unused:UNUSED_PAD src0_sel:WORD_1
	v_cvt_f32_u32_sdwa v18, v6 dst_sel:DWORD dst_unused:UNUSED_PAD src0_sel:WORD_0
	;;#ASMSTART
	v_pk_mul_f32 v[16:17], v[32:33], v[12:13]
	;;#ASMEND
	v_cvt_f32_u32_sdwa v33, v7 dst_sel:DWORD dst_unused:UNUSED_PAD src0_sel:WORD_1
	v_cvt_f32_u32_sdwa v32, v7 dst_sel:DWORD dst_unused:UNUSED_PAD src0_sel:WORD_0
	;;#ASMSTART
	v_pk_mul_f32 v[26:27], v[26:27], v[12:13]
	;;#ASMEND
	;;#ASMSTART
	v_pk_mul_f32 v[30:31], v[30:31], v[12:13]
	;;#ASMEND
	;; [unrolled: 3-line block ×6, first 2 shown]
	v_pk_add_f32 v[12:13], v[18:19], 1.0 op_sel_hi:[1,0]
	;;#ASMSTART
	v_pk_mul_f32 v[18:19], v[14:15], v[12:13]
	;;#ASMEND
	v_cvt_f32_u32_sdwa v15, v8 dst_sel:DWORD dst_unused:UNUSED_PAD src0_sel:WORD_1
	v_cvt_f32_u32_sdwa v14, v8 dst_sel:DWORD dst_unused:UNUSED_PAD src0_sel:WORD_0
	v_cvt_f32_u32_sdwa v21, v9 dst_sel:DWORD dst_unused:UNUSED_PAD src0_sel:WORD_1
	v_cvt_f32_u32_sdwa v20, v9 dst_sel:DWORD dst_unused:UNUSED_PAD src0_sel:WORD_0
	v_pk_add_f32 v[12:13], v[32:33], 1.0 op_sel_hi:[1,0]
	;;#ASMSTART
	v_pk_mul_f32 v[32:33], v[16:17], v[12:13]
	;;#ASMEND
	s_waitcnt vmcnt(0)
	v_cvt_f32_u32_sdwa v13, v2 dst_sel:DWORD dst_unused:UNUSED_PAD src0_sel:WORD_1
	v_cvt_f32_u32_sdwa v12, v2 dst_sel:DWORD dst_unused:UNUSED_PAD src0_sel:WORD_0
	v_pk_add_f32 v[8:9], v[14:15], 1.0 op_sel_hi:[1,0]
	;;#ASMSTART
	v_pk_mul_f32 v[26:27], v[26:27], v[8:9]
	;;#ASMEND
	v_pk_add_f32 v[8:9], v[20:21], 1.0 op_sel_hi:[1,0]
	v_cvt_f32_u32_sdwa v15, v3 dst_sel:DWORD dst_unused:UNUSED_PAD src0_sel:WORD_1
	v_cvt_f32_u32_sdwa v14, v3 dst_sel:DWORD dst_unused:UNUSED_PAD src0_sel:WORD_0
	;;#ASMSTART
	v_pk_mul_f32 v[30:31], v[30:31], v[8:9]
	;;#ASMEND
	v_cvt_f32_u32_sdwa v9, v4 dst_sel:DWORD dst_unused:UNUSED_PAD src0_sel:WORD_1
	v_cvt_f32_u32_sdwa v8, v4 dst_sel:DWORD dst_unused:UNUSED_PAD src0_sel:WORD_0
	v_pk_add_f32 v[2:3], v[12:13], 1.0 op_sel_hi:[1,0]
	v_cvt_f32_u32_sdwa v13, v5 dst_sel:DWORD dst_unused:UNUSED_PAD src0_sel:WORD_1
	v_cvt_f32_u32_sdwa v12, v5 dst_sel:DWORD dst_unused:UNUSED_PAD src0_sel:WORD_0
	;;#ASMSTART
	v_pk_mul_f32 v[24:25], v[24:25], v[2:3]
	;;#ASMEND
	v_pk_add_f32 v[2:3], v[14:15], 1.0 op_sel_hi:[1,0]
	;;#ASMSTART
	v_pk_mul_f32 v[28:29], v[28:29], v[2:3]
	;;#ASMEND
	v_pk_add_f32 v[2:3], v[8:9], 1.0 op_sel_hi:[1,0]
	;; [unrolled: 4-line block ×3, first 2 shown]
	;;#ASMSTART
	v_pk_mul_f32 v[20:21], v[6:7], v[2:3]
	;;#ASMEND
.LBB826_9:
	s_or_b64 exec, exec, s[8:9]
	s_load_dword s7, s[4:5], 0x80
	s_mov_b64 s[8:9], -1
	s_and_b64 vcc, exec, s[14:15]
	s_cbranch_vccnz .LBB826_13
; %bb.10:
	s_andn2_b64 vcc, exec, s[8:9]
	s_cbranch_vccz .LBB826_16
.LBB826_11:
	s_cmp_lt_i32 s20, 1
	s_cbranch_scc0 .LBB826_25
.LBB826_12:
	s_endpgm
.LBB826_13:
	s_and_saveexec_b64 s[14:15], s[2:3]
	s_cbranch_execz .LBB826_15
; %bb.14:
	s_waitcnt lgkmcnt(0)
	s_mul_hi_i32 s9, s7, s6
	s_mul_i32 s8, s7, s6
	s_lshl_b64 s[8:9], s[8:9], 1
	s_add_u32 s8, s28, s8
	s_addc_u32 s9, s29, s9
	s_mov_b32 s16, 0x7060302
	s_and_b32 s9, s9, 0xffff
	s_mov_b32 s11, 0x20000
	s_waitcnt vmcnt(0)
	v_perm_b32 v5, v31, v30, s16
	v_perm_b32 v4, v27, v26, s16
	;; [unrolled: 1-line block ×4, first 2 shown]
	v_lshlrev_b32_e32 v6, 5, v0
	buffer_store_dwordx4 v[2:5], v6, s[8:11], 0 offen
	;;#ASMSTART
	s_nop 0
	;;#ASMEND
	s_nop 0
	v_perm_b32 v5, v21, v20, s16
	v_perm_b32 v4, v23, v22, s16
	;; [unrolled: 1-line block ×4, first 2 shown]
	buffer_store_dwordx4 v[2:5], v6, s[8:11], 16 offen
	;;#ASMSTART
	s_nop 0
	;;#ASMEND
.LBB826_15:
	s_or_b64 exec, exec, s[14:15]
	s_cbranch_execnz .LBB826_11
.LBB826_16:
	s_load_dwordx4 s[24:27], s[4:5], 0x70
	s_waitcnt vmcnt(0)
	v_mov_b32_e32 v2, 0
	s_and_saveexec_b64 s[14:15], s[2:3]
	s_cbranch_execz .LBB826_18
; %bb.17:
	s_load_dwordx2 s[8:9], s[4:5], 0x10
	s_waitcnt lgkmcnt(0)
	s_mul_hi_i32 s35, s27, s6
	s_mul_i32 s34, s27, s6
	s_lshl_b64 s[34:35], s[34:35], 1
	s_mov_b32 s16, 0x7060302
	s_add_u32 s8, s8, s34
	s_addc_u32 s9, s9, s35
	s_mov_b32 s11, 0x20000
	s_and_b32 s9, s9, 0xffff
	v_perm_b32 v5, v31, v30, s16
	v_perm_b32 v4, v27, v26, s16
	;; [unrolled: 1-line block ×4, first 2 shown]
	v_lshlrev_b32_e32 v6, 5, v0
	buffer_store_dwordx4 v[2:5], v6, s[8:11], 0 offen
	;;#ASMSTART
	s_nop 0
	;;#ASMEND
	s_nop 0
	v_perm_b32 v5, v21, v20, s16
	v_perm_b32 v4, v23, v22, s16
	;; [unrolled: 1-line block ×4, first 2 shown]
	buffer_store_dwordx4 v[2:5], v6, s[8:11], 16 offen
	;;#ASMSTART
	s_nop 0
	;;#ASMEND
	s_nop 0
	v_mov_b32_e32 v2, 0x2edbe6ff
.LBB826_18:
	s_or_b64 exec, exec, s[14:15]
	s_and_saveexec_b64 s[8:9], s[2:3]
	s_cbranch_execz .LBB826_20
; %bb.19:
	v_and_b32_e32 v3, 0x7fffffff, v18
	v_and_b32_e32 v4, 0x7fffffff, v19
	;;#ASMSTART
	v_max3_f32 v2, v2, v3, v4

	;;#ASMEND
	v_and_b32_e32 v3, 0x7fffffff, v32
	v_and_b32_e32 v4, 0x7fffffff, v33
	;;#ASMSTART
	v_max3_f32 v2, v2, v3, v4

	;;#ASMEND
	;; [unrolled: 6-line block ×8, first 2 shown]
.LBB826_20:
	s_or_b64 exec, exec, s[8:9]
	;;#ASMSTART
	v_max_f32 v3, v2, v2 quad_perm:[1,0,3,2] row_mask:0xf bank_mask:0xf bound_ctrl:1
	;;#ASMEND
	;;#ASMSTART
	v_max_f32 v2, v3, v3 quad_perm:[2,3,0,1] row_mask:0xf bank_mask:0xf bound_ctrl:1
	;;#ASMEND
	v_cmp_eq_u32_e32 vcc, 0, v10
	v_cmp_gt_i32_e64 s[8:9], s19, v1
	v_mul_f32_e32 v2, 0x3b124925, v2
	s_and_b64 s[10:11], vcc, s[8:9]
	s_and_saveexec_b64 s[8:9], s[10:11]
	s_cbranch_execz .LBB826_22
; %bb.21:
	s_load_dwordx2 s[10:11], s[4:5], 0x8
	s_waitcnt lgkmcnt(0)
	s_mul_hi_i32 s15, s25, s6
	s_mul_i32 s14, s25, s6
	v_lshrrev_b32_e32 v3, 2, v0
	s_lshl_b64 s[14:15], s[14:15], 2
	v_mad_i64_i32 v[4:5], s[26:27], s26, v3, 0
	s_add_u32 s10, s10, s14
	s_addc_u32 s11, s11, s15
	v_lshlrev_b64 v[4:5], 2, v[4:5]
	v_mov_b32_e32 v3, s11
	v_add_co_u32_e32 v4, vcc, s10, v4
	v_addc_co_u32_e32 v5, vcc, v3, v5, vcc
	global_store_dword v[4:5], v2, off
.LBB826_22:
	s_or_b64 exec, exec, s[8:9]
	;;#ASMSTART
	v_rcp_f32 v2, v2
	;;#ASMEND
	s_and_saveexec_b64 s[14:15], s[2:3]
	s_cbranch_execz .LBB826_24
; %bb.23:
	s_load_dwordx2 s[2:3], s[4:5], 0x0
	s_waitcnt lgkmcnt(0)
	s_mul_i32 s8, s24, s6
	s_mul_hi_i32 s9, s24, s6
	v_mov_b32_e32 v3, v2
	;;#ASMSTART
	v_pk_mul_f32 v[4:5], v[18:19], v[2:3]
	;;#ASMEND
	s_add_u32 s8, s2, s8
	s_addc_u32 s2, s3, s9
	s_add_i32 s3, s19, 3
	s_ashr_i32 s10, s3, 31
	v_mov_b32_e32 v10, 0xc3e00000
	v_mov_b32_e32 v11, 0x43e00000
	;;#ASMSTART
	v_med3_f32 v4, v4, v10, v11
v_med3_f32 v5, v5, v10, v11
v_cvt_pk_fp8_f32 v6, v4, v5
	;;#ASMEND
	s_and_b32 s9, s2, 0xffff
	s_lshr_b32 s2, s10, 30
	;;#ASMSTART
	v_pk_mul_f32 v[4:5], v[32:33], v[2:3]
	;;#ASMEND
	s_add_i32 s3, s3, s2
	;;#ASMSTART
	v_med3_f32 v4, v4, v10, v11
v_med3_f32 v5, v5, v10, v11
v_cvt_pk_fp8_f32 v7, v4, v5
	;;#ASMEND
	s_mov_b32 s2, 0x5040100
	v_perm_b32 v4, v7, v6, s2
	s_mov_b32 s2, 0x1060504
	v_perm_b32 v4, v4, v7, s2
	;;#ASMSTART
	v_pk_mul_f32 v[6:7], v[26:27], v[2:3]
	;;#ASMEND
	v_mov_b32_e32 v5, v7
	;;#ASMSTART
	v_med3_f32 v6, v6, v10, v11
v_med3_f32 v5, v5, v10, v11
v_cvt_pk_fp8_f32 v8, v6, v5
	;;#ASMEND
	;;#ASMSTART
	v_pk_mul_f32 v[6:7], v[30:31], v[2:3]
	;;#ASMEND
	v_mov_b32_e32 v5, v7
	;;#ASMSTART
	v_med3_f32 v6, v6, v10, v11
v_med3_f32 v5, v5, v10, v11
v_cvt_pk_fp8_f32 v7, v6, v5
	;;#ASMEND
	s_mov_b32 s2, 0x1000504
	v_perm_b32 v5, v8, v7, s2
	;;#ASMSTART
	v_pk_mul_f32 v[6:7], v[24:25], v[2:3]
	;;#ASMEND
	;;#ASMSTART
	v_med3_f32 v6, v6, v10, v11
v_med3_f32 v7, v7, v10, v11
v_cvt_pk_fp8_f32 v8, v6, v7
	;;#ASMEND
	;;#ASMSTART
	v_pk_mul_f32 v[6:7], v[28:29], v[2:3]
	;;#ASMEND
	;;#ASMSTART
	v_med3_f32 v6, v6, v10, v11
v_med3_f32 v7, v7, v10, v11
v_cvt_pk_fp8_f32 v9, v6, v7
	;;#ASMEND
	v_perm_b32 v6, v8, v9, s2
	;;#ASMSTART
	v_pk_mul_f32 v[8:9], v[22:23], v[2:3]
	;;#ASMEND
	v_mov_b32_e32 v7, v9
	;;#ASMSTART
	v_med3_f32 v8, v8, v10, v11
v_med3_f32 v7, v7, v10, v11
v_cvt_pk_fp8_f32 v9, v8, v7
	;;#ASMEND
	;;#ASMSTART
	v_pk_mul_f32 v[2:3], v[20:21], v[2:3]
	;;#ASMEND
	;;#ASMSTART
	v_med3_f32 v2, v2, v10, v11
v_med3_f32 v3, v3, v10, v11
v_cvt_pk_fp8_f32 v7, v2, v3
	;;#ASMEND
	s_and_b32 s10, s3, -4
	s_mov_b32 s11, 0x20000
	v_perm_b32 v7, v9, v7, s2
	buffer_store_dwordx4 v[4:7], v1, s[8:11], 0 offen
	;;#ASMSTART
	s_nop 0
	;;#ASMEND
.LBB826_24:
	s_or_b64 exec, exec, s[14:15]
	s_cmp_lt_i32 s20, 1
	s_cbranch_scc1 .LBB826_12
.LBB826_25:
	s_load_dword s2, s[4:5], 0x94
	s_waitcnt lgkmcnt(0)
	s_cmp_lg_u32 s2, 1
	s_cbranch_scc1 .LBB826_12
; %bb.26:
	s_lshl_b32 s2, s20, 1
	s_add_i32 s2, s2, 2
	v_cmp_gt_u32_e32 vcc, s20, v1
	s_and_b32 s14, s2, -4
	v_mov_b32_e32 v18, 0
	v_lshlrev_b32_e32 v1, 5, v0
	v_mov_b32_e32 v14, 0
	v_mov_b32_e32 v15, 0
	;; [unrolled: 1-line block ×8, first 2 shown]
	s_waitcnt vmcnt(1)
	v_mov_b32_e32 v6, 0
	v_mov_b32_e32 v7, 0
	v_mov_b32_e32 v8, 0
	v_mov_b32_e32 v9, 0
	s_waitcnt vmcnt(0)
	v_mov_b32_e32 v2, 0
	v_mov_b32_e32 v3, 0
	;; [unrolled: 1-line block ×4, first 2 shown]
	s_barrier
	s_and_saveexec_b64 s[2:3], vcc
	s_cbranch_execz .LBB826_28
; %bb.27:
	s_mul_hi_i32 s5, s22, s6
	s_mul_i32 s4, s22, s6
	s_and_b32 s13, s13, 0xffff
	s_lshl_b64 s[4:5], s[4:5], 1
	s_add_u32 s8, s30, s4
	s_mov_b32 s15, 0x20000
	s_addc_u32 s4, s31, s5
	s_and_b32 s9, s4, 0xffff
	s_mov_b32 s10, s14
	s_mov_b32 s11, s15
	buffer_load_dwordx4 v[14:17], v1, s[8:11], 0 offen
	buffer_load_dwordx4 v[10:13], v1, s[8:11], 16 offen
	;; [unrolled: 1-line block ×4, first 2 shown]
.LBB826_28:
	s_or_b64 exec, exec, s[2:3]
	v_mov_b32_e32 v19, 0
	v_mov_b32_e32 v32, 0
	;; [unrolled: 1-line block ×15, first 2 shown]
	s_and_saveexec_b64 s[2:3], vcc
	s_cbranch_execz .LBB826_30
; %bb.29:
	s_waitcnt vmcnt(3)
	v_cvt_f32_u32_sdwa v18, v14 dst_sel:DWORD dst_unused:UNUSED_PAD src0_sel:WORD_0
	v_cvt_f32_u32_sdwa v19, v14 dst_sel:DWORD dst_unused:UNUSED_PAD src0_sel:WORD_1
	v_cvt_f32_u32_sdwa v32, v15 dst_sel:DWORD dst_unused:UNUSED_PAD src0_sel:WORD_0
	v_cvt_f32_u32_sdwa v33, v15 dst_sel:DWORD dst_unused:UNUSED_PAD src0_sel:WORD_1
	v_cvt_f32_u32_sdwa v30, v16 dst_sel:DWORD dst_unused:UNUSED_PAD src0_sel:WORD_0
	v_cvt_f32_u32_sdwa v31, v16 dst_sel:DWORD dst_unused:UNUSED_PAD src0_sel:WORD_1
	v_cvt_f32_u32_sdwa v28, v17 dst_sel:DWORD dst_unused:UNUSED_PAD src0_sel:WORD_0
	v_cvt_f32_u32_sdwa v29, v17 dst_sel:DWORD dst_unused:UNUSED_PAD src0_sel:WORD_1
	s_waitcnt vmcnt(2)
	v_cvt_f32_u32_sdwa v26, v10 dst_sel:DWORD dst_unused:UNUSED_PAD src0_sel:WORD_0
	v_cvt_f32_u32_sdwa v27, v10 dst_sel:DWORD dst_unused:UNUSED_PAD src0_sel:WORD_1
	v_cvt_f32_u32_sdwa v24, v11 dst_sel:DWORD dst_unused:UNUSED_PAD src0_sel:WORD_0
	v_cvt_f32_u32_sdwa v25, v11 dst_sel:DWORD dst_unused:UNUSED_PAD src0_sel:WORD_1
	;; [unrolled: 2-line block ×4, first 2 shown]
.LBB826_30:
	s_or_b64 exec, exec, s[2:3]
	s_waitcnt vmcnt(2)
	v_mul_f32_e32 v10, v19, v19
	v_fmac_f32_e32 v10, v18, v18
	v_fmac_f32_e32 v10, v32, v32
	;; [unrolled: 1-line block ×15, first 2 shown]
	s_nop 1
	v_mov_b32_dpp v11, v10 quad_perm:[1,0,3,2] row_mask:0xf bank_mask:0xf
	v_add_f32_e32 v10, v10, v11
	s_nop 1
	v_mov_b32_dpp v11, v10 quad_perm:[2,3,0,1] row_mask:0xf bank_mask:0xf
	v_add_f32_e32 v10, v10, v11
	s_nop 1
	v_mov_b32_dpp v11, v10 row_half_mirror row_mask:0xf bank_mask:0xf
	v_add_f32_e32 v10, v10, v11
	s_nop 1
	v_mov_b32_dpp v11, v10 row_mirror row_mask:0xf bank_mask:0xf
	v_add_f32_e32 v10, v10, v11
	s_nop 1
	v_mov_b32_dpp v11, v10 row_bcast:15 row_mask:0xf bank_mask:0xf
	v_add_f32_e32 v10, v10, v11
	s_nop 1
	v_mov_b32_dpp v11, v10 row_bcast:31 row_mask:0xf bank_mask:0xf
	s_and_saveexec_b64 s[2:3], s[0:1]
	s_cbranch_execz .LBB826_32
; %bb.31:
	v_lshrrev_b32_e32 v0, 4, v0
	v_add_f32_e32 v10, v10, v11
	v_and_b32_e32 v0, 60, v0
	ds_write_b32 v0, v10
.LBB826_32:
	s_or_b64 exec, exec, s[2:3]
	s_waitcnt lgkmcnt(0)
	s_barrier
	ds_read_b32 v0, v34
	s_waitcnt lgkmcnt(0)
	s_nop 0
	v_mov_b32_dpp v10, v0 quad_perm:[1,0,3,2] row_mask:0xf bank_mask:0xf
	v_add_f32_e32 v0, v0, v10
	s_nop 1
	v_mov_b32_dpp v10, v0 quad_perm:[2,3,0,1] row_mask:0xf bank_mask:0xf
	s_and_saveexec_b64 s[0:1], vcc
	s_cbranch_execz .LBB826_12
; %bb.33:
	v_cvt_f32_u32_e32 v11, s20
	v_add_f32_e32 v0, v0, v10
	s_mov_b32 s15, 0x20000
	v_div_scale_f32 v10, s[0:1], v11, v11, v0
	v_rcp_f32_e32 v12, v10
	v_div_scale_f32 v13, vcc, v0, v11, v0
	s_mov_b32 s0, 0x800000
	v_fma_f32 v14, -v10, v12, 1.0
	v_fmac_f32_e32 v12, v14, v12
	v_mul_f32_e32 v14, v13, v12
	v_fma_f32 v15, -v10, v14, v13
	v_fmac_f32_e32 v14, v15, v12
	v_fma_f32 v10, -v10, v14, v13
	v_div_fmas_f32 v10, v10, v12, v14
	v_div_fixup_f32 v0, v10, v11, v0
	v_add_f32_e32 v0, s17, v0
	v_mul_f32_e32 v10, 0x4b800000, v0
	v_cmp_gt_f32_e32 vcc, s0, v0
	v_cndmask_b32_e32 v0, v0, v10, vcc
	v_rsq_f32_e32 v0, v0
	s_mul_hi_i32 s1, s7, s6
	s_mul_i32 s0, s7, s6
	s_lshl_b64 s[0:1], s[0:1], 1
	v_mul_f32_e32 v10, 0x45800000, v0
	v_cndmask_b32_e32 v10, v0, v10, vcc
	v_mov_b32_e32 v11, v10
	;;#ASMSTART
	v_pk_mul_f32 v[12:13], v[18:19], v[10:11]
	;;#ASMEND
	;;#ASMSTART
	v_pk_mul_f32 v[14:15], v[32:33], v[10:11]
	;;#ASMEND
	;; [unrolled: 3-line block ×4, first 2 shown]
	s_waitcnt vmcnt(1)
	v_cvt_f32_u32_sdwa v29, v6 dst_sel:DWORD dst_unused:UNUSED_PAD src0_sel:WORD_1
	v_cvt_f32_u32_sdwa v28, v6 dst_sel:DWORD dst_unused:UNUSED_PAD src0_sel:WORD_0
	v_cvt_f32_u32_sdwa v31, v7 dst_sel:DWORD dst_unused:UNUSED_PAD src0_sel:WORD_1
	v_cvt_f32_u32_sdwa v30, v7 dst_sel:DWORD dst_unused:UNUSED_PAD src0_sel:WORD_0
	;;#ASMSTART
	v_pk_mul_f32 v[26:27], v[26:27], v[10:11]
	;;#ASMEND
	;;#ASMSTART
	v_pk_mul_f32 v[24:25], v[24:25], v[10:11]
	;;#ASMEND
	;; [unrolled: 3-line block ×4, first 2 shown]
	v_cvt_f32_u32_sdwa v21, v8 dst_sel:DWORD dst_unused:UNUSED_PAD src0_sel:WORD_1
	v_cvt_f32_u32_sdwa v20, v8 dst_sel:DWORD dst_unused:UNUSED_PAD src0_sel:WORD_0
	v_pk_add_f32 v[10:11], v[28:29], 1.0 op_sel_hi:[1,0]
	;;#ASMSTART
	v_pk_mul_f32 v[10:11], v[12:13], v[10:11]
	;;#ASMEND
	v_pk_add_f32 v[12:13], v[30:31], 1.0 op_sel_hi:[1,0]
	v_cvt_f32_u32_sdwa v29, v9 dst_sel:DWORD dst_unused:UNUSED_PAD src0_sel:WORD_1
	v_cvt_f32_u32_sdwa v28, v9 dst_sel:DWORD dst_unused:UNUSED_PAD src0_sel:WORD_0
	;;#ASMSTART
	v_pk_mul_f32 v[8:9], v[14:15], v[12:13]
	;;#ASMEND
	v_pk_add_f32 v[12:13], v[20:21], 1.0 op_sel_hi:[1,0]
	;;#ASMSTART
	v_pk_mul_f32 v[12:13], v[16:17], v[12:13]
	;;#ASMEND
	s_waitcnt vmcnt(0)
	v_cvt_f32_u32_sdwa v17, v2 dst_sel:DWORD dst_unused:UNUSED_PAD src0_sel:WORD_1
	v_cvt_f32_u32_sdwa v16, v2 dst_sel:DWORD dst_unused:UNUSED_PAD src0_sel:WORD_0
	v_cvt_f32_u32_sdwa v21, v3 dst_sel:DWORD dst_unused:UNUSED_PAD src0_sel:WORD_1
	v_cvt_f32_u32_sdwa v20, v3 dst_sel:DWORD dst_unused:UNUSED_PAD src0_sel:WORD_0
	v_pk_add_f32 v[14:15], v[28:29], 1.0 op_sel_hi:[1,0]
	;;#ASMSTART
	v_pk_mul_f32 v[14:15], v[18:19], v[14:15]
	;;#ASMEND
	v_pk_add_f32 v[2:3], v[16:17], 1.0 op_sel_hi:[1,0]
	v_cvt_f32_u32_sdwa v19, v4 dst_sel:DWORD dst_unused:UNUSED_PAD src0_sel:WORD_1
	v_cvt_f32_u32_sdwa v18, v4 dst_sel:DWORD dst_unused:UNUSED_PAD src0_sel:WORD_0
	;;#ASMSTART
	v_pk_mul_f32 v[16:17], v[26:27], v[2:3]
	;;#ASMEND
	v_pk_add_f32 v[2:3], v[20:21], 1.0 op_sel_hi:[1,0]
	v_cvt_f32_u32_sdwa v21, v5 dst_sel:DWORD dst_unused:UNUSED_PAD src0_sel:WORD_1
	v_cvt_f32_u32_sdwa v20, v5 dst_sel:DWORD dst_unused:UNUSED_PAD src0_sel:WORD_0
	s_add_u32 s12, s28, s0
	;;#ASMSTART
	v_pk_mul_f32 v[24:25], v[24:25], v[2:3]
	;;#ASMEND
	v_pk_add_f32 v[2:3], v[18:19], 1.0 op_sel_hi:[1,0]
	s_addc_u32 s0, s29, s1
	;;#ASMSTART
	v_pk_mul_f32 v[18:19], v[22:23], v[2:3]
	;;#ASMEND
	v_pk_add_f32 v[2:3], v[20:21], 1.0 op_sel_hi:[1,0]
	s_and_b32 s13, s0, 0xffff
	s_mov_b32 s0, 0x7060302
	;;#ASMSTART
	v_pk_mul_f32 v[6:7], v[6:7], v[2:3]
	;;#ASMEND
	v_perm_b32 v2, v11, v10, s0
	v_perm_b32 v3, v9, v8, s0
	;; [unrolled: 1-line block ×4, first 2 shown]
	buffer_store_dwordx4 v[2:5], v1, s[12:15], 0 offen
	;;#ASMSTART
	s_nop 0
	;;#ASMEND
	s_nop 0
	v_perm_b32 v2, v17, v16, s0
	v_perm_b32 v3, v25, v24, s0
	;; [unrolled: 1-line block ×4, first 2 shown]
	buffer_store_dwordx4 v[2:5], v1, s[12:15], 16 offen
	;;#ASMSTART
	s_nop 0
	;;#ASMEND
	s_endpgm
	.section	.rodata,"a",@progbits
	.p2align	6, 0x0
	.amdhsa_kernel _ZN5aiter35fused_qk_rmsnorm_group_quant_kernelItDB8_Li256ELi16ELi4ELb0ELb1ELb1ELb0ELb0ELb0EEEvPT0_PvPT_S6_S6_PKS5_S8_S8_S8_S8_ffiiiiiiiiiiiii
		.amdhsa_group_segment_fixed_size 32
		.amdhsa_private_segment_fixed_size 0
		.amdhsa_kernarg_size 400
		.amdhsa_user_sgpr_count 6
		.amdhsa_user_sgpr_private_segment_buffer 1
		.amdhsa_user_sgpr_dispatch_ptr 0
		.amdhsa_user_sgpr_queue_ptr 0
		.amdhsa_user_sgpr_kernarg_segment_ptr 1
		.amdhsa_user_sgpr_dispatch_id 0
		.amdhsa_user_sgpr_flat_scratch_init 0
		.amdhsa_user_sgpr_kernarg_preload_length 0
		.amdhsa_user_sgpr_kernarg_preload_offset 0
		.amdhsa_user_sgpr_private_segment_size 0
		.amdhsa_uses_dynamic_stack 0
		.amdhsa_system_sgpr_private_segment_wavefront_offset 0
		.amdhsa_system_sgpr_workgroup_id_x 1
		.amdhsa_system_sgpr_workgroup_id_y 1
		.amdhsa_system_sgpr_workgroup_id_z 0
		.amdhsa_system_sgpr_workgroup_info 0
		.amdhsa_system_vgpr_workitem_id 0
		.amdhsa_next_free_vgpr 36
		.amdhsa_next_free_sgpr 36
		.amdhsa_accum_offset 36
		.amdhsa_reserve_vcc 1
		.amdhsa_reserve_flat_scratch 0
		.amdhsa_float_round_mode_32 0
		.amdhsa_float_round_mode_16_64 0
		.amdhsa_float_denorm_mode_32 3
		.amdhsa_float_denorm_mode_16_64 3
		.amdhsa_dx10_clamp 1
		.amdhsa_ieee_mode 1
		.amdhsa_fp16_overflow 0
		.amdhsa_tg_split 0
		.amdhsa_exception_fp_ieee_invalid_op 0
		.amdhsa_exception_fp_denorm_src 0
		.amdhsa_exception_fp_ieee_div_zero 0
		.amdhsa_exception_fp_ieee_overflow 0
		.amdhsa_exception_fp_ieee_underflow 0
		.amdhsa_exception_fp_ieee_inexact 0
		.amdhsa_exception_int_div_zero 0
	.end_amdhsa_kernel
	.section	.text._ZN5aiter35fused_qk_rmsnorm_group_quant_kernelItDB8_Li256ELi16ELi4ELb0ELb1ELb1ELb0ELb0ELb0EEEvPT0_PvPT_S6_S6_PKS5_S8_S8_S8_S8_ffiiiiiiiiiiiii,"axG",@progbits,_ZN5aiter35fused_qk_rmsnorm_group_quant_kernelItDB8_Li256ELi16ELi4ELb0ELb1ELb1ELb0ELb0ELb0EEEvPT0_PvPT_S6_S6_PKS5_S8_S8_S8_S8_ffiiiiiiiiiiiii,comdat
.Lfunc_end826:
	.size	_ZN5aiter35fused_qk_rmsnorm_group_quant_kernelItDB8_Li256ELi16ELi4ELb0ELb1ELb1ELb0ELb0ELb0EEEvPT0_PvPT_S6_S6_PKS5_S8_S8_S8_S8_ffiiiiiiiiiiiii, .Lfunc_end826-_ZN5aiter35fused_qk_rmsnorm_group_quant_kernelItDB8_Li256ELi16ELi4ELb0ELb1ELb1ELb0ELb0ELb0EEEvPT0_PvPT_S6_S6_PKS5_S8_S8_S8_S8_ffiiiiiiiiiiiii
                                        ; -- End function
	.section	.AMDGPU.csdata,"",@progbits
; Kernel info:
; codeLenInByte = 3744
; NumSgprs: 40
; NumVgprs: 36
; NumAgprs: 0
; TotalNumVgprs: 36
; ScratchSize: 0
; MemoryBound: 0
; FloatMode: 240
; IeeeMode: 1
; LDSByteSize: 32 bytes/workgroup (compile time only)
; SGPRBlocks: 4
; VGPRBlocks: 4
; NumSGPRsForWavesPerEU: 40
; NumVGPRsForWavesPerEU: 36
; AccumOffset: 36
; Occupancy: 8
; WaveLimiterHint : 0
; COMPUTE_PGM_RSRC2:SCRATCH_EN: 0
; COMPUTE_PGM_RSRC2:USER_SGPR: 6
; COMPUTE_PGM_RSRC2:TRAP_HANDLER: 0
; COMPUTE_PGM_RSRC2:TGID_X_EN: 1
; COMPUTE_PGM_RSRC2:TGID_Y_EN: 1
; COMPUTE_PGM_RSRC2:TGID_Z_EN: 0
; COMPUTE_PGM_RSRC2:TIDIG_COMP_CNT: 0
; COMPUTE_PGM_RSRC3_GFX90A:ACCUM_OFFSET: 8
; COMPUTE_PGM_RSRC3_GFX90A:TG_SPLIT: 0
	.section	.text._ZN5aiter35fused_qk_rmsnorm_group_quant_kernelIDF16_N4opus5fp4_tELi256ELi16ELi4ELb0ELb1ELb1ELb0ELb0ELb0EEEvPT0_PvPT_S7_S7_PKS6_S9_S9_S9_S9_ffiiiiiiiiiiiii,"axG",@progbits,_ZN5aiter35fused_qk_rmsnorm_group_quant_kernelIDF16_N4opus5fp4_tELi256ELi16ELi4ELb0ELb1ELb1ELb0ELb0ELb0EEEvPT0_PvPT_S7_S7_PKS6_S9_S9_S9_S9_ffiiiiiiiiiiiii,comdat
	.protected	_ZN5aiter35fused_qk_rmsnorm_group_quant_kernelIDF16_N4opus5fp4_tELi256ELi16ELi4ELb0ELb1ELb1ELb0ELb0ELb0EEEvPT0_PvPT_S7_S7_PKS6_S9_S9_S9_S9_ffiiiiiiiiiiiii ; -- Begin function _ZN5aiter35fused_qk_rmsnorm_group_quant_kernelIDF16_N4opus5fp4_tELi256ELi16ELi4ELb0ELb1ELb1ELb0ELb0ELb0EEEvPT0_PvPT_S7_S7_PKS6_S9_S9_S9_S9_ffiiiiiiiiiiiii
	.globl	_ZN5aiter35fused_qk_rmsnorm_group_quant_kernelIDF16_N4opus5fp4_tELi256ELi16ELi4ELb0ELb1ELb1ELb0ELb0ELb0EEEvPT0_PvPT_S7_S7_PKS6_S9_S9_S9_S9_ffiiiiiiiiiiiii
	.p2align	8
	.type	_ZN5aiter35fused_qk_rmsnorm_group_quant_kernelIDF16_N4opus5fp4_tELi256ELi16ELi4ELb0ELb1ELb1ELb0ELb0ELb0EEEvPT0_PvPT_S7_S7_PKS6_S9_S9_S9_S9_ffiiiiiiiiiiiii,@function
_ZN5aiter35fused_qk_rmsnorm_group_quant_kernelIDF16_N4opus5fp4_tELi256ELi16ELi4ELb0ELb1ELb1ELb0ELb0ELb0EEEvPT0_PvPT_S7_S7_PKS6_S9_S9_S9_S9_ffiiiiiiiiiiiii: ; @_ZN5aiter35fused_qk_rmsnorm_group_quant_kernelIDF16_N4opus5fp4_tELi256ELi16ELi4ELb0ELb1ELb1ELb0ELb0ELb0EEEvPT0_PvPT_S7_S7_PKS6_S9_S9_S9_S9_ffiiiiiiiiiiiii
; %bb.0:
	s_load_dwordx4 s[16:19], s[4:5], 0x50
	s_waitcnt lgkmcnt(0)
	s_cmp_ge_i32 s6, s18
	s_cbranch_scc1 .LBB827_12
; %bb.1:
	s_load_dwordx2 s[12:13], s[4:5], 0x48
	s_load_dwordx2 s[30:31], s[4:5], 0x30
	s_load_dwordx4 s[20:23], s[4:5], 0x60
	s_cmp_lg_u32 s7, 0
	s_cselect_b64 s[14:15], -1, 0
	s_cmp_eq_u32 s7, 0
	s_cselect_b64 vcc, -1, 0
	s_and_b64 s[0:1], vcc, exec
	s_waitcnt lgkmcnt(0)
	s_cselect_b32 s7, s19, s20
	s_add_i32 s0, s7, 1
	s_lshr_b32 s1, s0, 31
	s_add_i32 s0, s0, s1
	s_lshl_b32 s0, s0, 1
	v_lshlrev_b32_e32 v1, 4, v0
	s_and_b32 s10, s0, -4
	v_cmp_gt_i32_e64 s[2:3], s7, v1
	v_mov_b32_e32 v18, 0
	v_mov_b32_e32 v6, 0
	;; [unrolled: 1-line block ×17, first 2 shown]
	s_and_saveexec_b64 s[0:1], s[2:3]
	s_cbranch_execz .LBB827_3
; %bb.2:
	s_load_dwordx2 s[8:9], s[4:5], 0x28
	s_load_dwordx2 s[26:27], s[4:5], 0x40
	s_and_b64 s[24:25], vcc, exec
	s_cselect_b32 s11, s21, s22
	v_lshlrev_b32_e32 v19, 5, v0
	s_waitcnt lgkmcnt(0)
	s_cselect_b32 s18, s9, s31
	s_cselect_b32 s21, s8, s30
	s_mul_hi_i32 s9, s11, s6
	s_mul_i32 s8, s11, s6
	s_lshl_b64 s[8:9], s[8:9], 1
	s_add_u32 s24, s21, s8
	s_addc_u32 s18, s18, s9
	s_and_b64 s[8:9], vcc, exec
	s_mov_b32 s11, 0x20000
	s_cselect_b32 s8, s26, s12
	s_cselect_b32 s9, s27, s13
	s_and_b32 s25, s18, 0xffff
	s_mov_b32 s26, s10
	s_mov_b32 s27, s11
	s_and_b32 s9, s9, 0xffff
	buffer_load_dwordx4 v[14:17], v19, s[24:27], 0 offen
	buffer_load_dwordx4 v[10:13], v19, s[24:27], 16 offen
	;; [unrolled: 1-line block ×4, first 2 shown]
.LBB827_3:
	s_or_b64 exec, exec, s[0:1]
	v_mov_b32_e32 v19, 0
	v_mov_b32_e32 v22, 0
	;; [unrolled: 1-line block ×15, first 2 shown]
	s_and_saveexec_b64 s[0:1], s[2:3]
	s_cbranch_execz .LBB827_5
; %bb.4:
	s_waitcnt vmcnt(3)
	v_cvt_f32_f16_sdwa v19, v14 dst_sel:DWORD dst_unused:UNUSED_PAD src0_sel:WORD_1
	v_cvt_f32_f16_e32 v18, v14
	v_cvt_f32_f16_sdwa v23, v15 dst_sel:DWORD dst_unused:UNUSED_PAD src0_sel:WORD_1
	v_cvt_f32_f16_e32 v22, v15
	;; [unrolled: 2-line block ×4, first 2 shown]
	s_waitcnt vmcnt(2)
	v_cvt_f32_f16_sdwa v27, v10 dst_sel:DWORD dst_unused:UNUSED_PAD src0_sel:WORD_1
	v_cvt_f32_f16_e32 v26, v10
	v_cvt_f32_f16_sdwa v33, v11 dst_sel:DWORD dst_unused:UNUSED_PAD src0_sel:WORD_1
	v_cvt_f32_f16_e32 v32, v11
	;; [unrolled: 2-line block ×4, first 2 shown]
.LBB827_5:
	s_or_b64 exec, exec, s[0:1]
	s_waitcnt vmcnt(2)
	v_mul_f32_e32 v10, v19, v19
	v_fmac_f32_e32 v10, v18, v18
	v_fmac_f32_e32 v10, v22, v22
	;; [unrolled: 1-line block ×15, first 2 shown]
	v_and_b32_e32 v12, 63, v0
	v_cmp_eq_u32_e64 s[0:1], 63, v12
	v_mov_b32_dpp v11, v10 quad_perm:[1,0,3,2] row_mask:0xf bank_mask:0xf
	v_add_f32_e32 v10, v10, v11
	s_nop 1
	v_mov_b32_dpp v11, v10 quad_perm:[2,3,0,1] row_mask:0xf bank_mask:0xf
	v_add_f32_e32 v10, v10, v11
	s_nop 1
	v_mov_b32_dpp v11, v10 row_half_mirror row_mask:0xf bank_mask:0xf
	v_add_f32_e32 v10, v10, v11
	s_nop 1
	v_mov_b32_dpp v11, v10 row_mirror row_mask:0xf bank_mask:0xf
	v_add_f32_e32 v10, v10, v11
	s_nop 1
	v_mov_b32_dpp v11, v10 row_bcast:15 row_mask:0xf bank_mask:0xf
	v_add_f32_e32 v10, v10, v11
	s_nop 1
	v_mov_b32_dpp v11, v10 row_bcast:31 row_mask:0xf bank_mask:0xf
	s_and_saveexec_b64 s[8:9], s[0:1]
	s_cbranch_execz .LBB827_7
; %bb.6:
	v_add_f32_e32 v10, v10, v11
	v_lshrrev_b32_e32 v11, 4, v0
	v_and_b32_e32 v11, 60, v11
	ds_write_b32 v11, v10 offset:16
.LBB827_7:
	s_or_b64 exec, exec, s[8:9]
	v_and_b32_e32 v10, 3, v0
	v_lshlrev_b32_e32 v34, 2, v10
	s_waitcnt lgkmcnt(0)
	s_barrier
	ds_read_b32 v11, v34 offset:16
	s_load_dwordx2 s[28:29], s[4:5], 0x18
	s_waitcnt lgkmcnt(0)
	v_mov_b32_dpp v12, v11 quad_perm:[1,0,3,2] row_mask:0xf bank_mask:0xf
	v_add_f32_e32 v11, v11, v12
	s_nop 1
	v_mov_b32_dpp v12, v11 quad_perm:[2,3,0,1] row_mask:0xf bank_mask:0xf
	s_and_saveexec_b64 s[8:9], s[2:3]
	s_cbranch_execz .LBB827_9
; %bb.8:
	v_cvt_f32_u32_e32 v13, s7
	v_add_f32_e32 v11, v11, v12
	v_mov_b32_e32 v15, s17
	v_mov_b32_e32 v16, s16
	v_div_scale_f32 v12, s[24:25], v13, v13, v11
	v_rcp_f32_e32 v14, v12
	v_cndmask_b32_e32 v15, v15, v16, vcc
	s_mov_b32 s7, 0x800000
	v_fma_f32 v16, -v12, v14, 1.0
	v_fmac_f32_e32 v14, v16, v14
	v_div_scale_f32 v16, vcc, v11, v13, v11
	v_mul_f32_e32 v17, v16, v14
	v_fma_f32 v35, -v12, v17, v16
	v_fmac_f32_e32 v17, v35, v14
	v_fma_f32 v12, -v12, v17, v16
	v_div_fmas_f32 v12, v12, v14, v17
	v_div_fixup_f32 v11, v12, v13, v11
	v_add_f32_e32 v11, v15, v11
	v_mul_f32_e32 v12, 0x4b800000, v11
	v_cmp_gt_f32_e32 vcc, s7, v11
	v_cndmask_b32_e32 v11, v11, v12, vcc
	v_rsq_f32_e32 v11, v11
	v_mul_f32_e32 v12, 0x45800000, v11
	v_cndmask_b32_e32 v12, v11, v12, vcc
	v_mov_b32_e32 v13, v12
	;;#ASMSTART
	v_pk_mul_f32 v[14:15], v[18:19], v[12:13]
	;;#ASMEND
	s_waitcnt vmcnt(1)
	v_cvt_f32_f16_sdwa v19, v6 dst_sel:DWORD dst_unused:UNUSED_PAD src0_sel:WORD_1
	v_cvt_f32_f16_e32 v18, v6
	;;#ASMSTART
	v_pk_mul_f32 v[16:17], v[22:23], v[12:13]
	;;#ASMEND
	v_cvt_f32_f16_sdwa v23, v7 dst_sel:DWORD dst_unused:UNUSED_PAD src0_sel:WORD_1
	v_cvt_f32_f16_e32 v22, v7
	;;#ASMSTART
	v_pk_mul_f32 v[20:21], v[20:21], v[12:13]
	;;#ASMEND
	;;#ASMSTART
	v_pk_mul_f32 v[28:29], v[28:29], v[12:13]
	;;#ASMEND
	;; [unrolled: 3-line block ×6, first 2 shown]
	v_pk_add_f32 v[12:13], v[18:19], 1.0 op_sel_hi:[1,0]
	;;#ASMSTART
	v_pk_mul_f32 v[18:19], v[14:15], v[12:13]
	;;#ASMEND
	v_cvt_f32_f16_sdwa v15, v8 dst_sel:DWORD dst_unused:UNUSED_PAD src0_sel:WORD_1
	v_cvt_f32_f16_e32 v14, v8
	v_cvt_f32_f16_sdwa v25, v9 dst_sel:DWORD dst_unused:UNUSED_PAD src0_sel:WORD_1
	v_cvt_f32_f16_e32 v24, v9
	v_pk_add_f32 v[12:13], v[22:23], 1.0 op_sel_hi:[1,0]
	;;#ASMSTART
	v_pk_mul_f32 v[22:23], v[16:17], v[12:13]
	;;#ASMEND
	s_waitcnt vmcnt(0)
	v_cvt_f32_f16_sdwa v13, v2 dst_sel:DWORD dst_unused:UNUSED_PAD src0_sel:WORD_1
	v_cvt_f32_f16_e32 v12, v2
	v_pk_add_f32 v[8:9], v[14:15], 1.0 op_sel_hi:[1,0]
	;;#ASMSTART
	v_pk_mul_f32 v[20:21], v[20:21], v[8:9]
	;;#ASMEND
	v_pk_add_f32 v[8:9], v[24:25], 1.0 op_sel_hi:[1,0]
	v_cvt_f32_f16_sdwa v15, v3 dst_sel:DWORD dst_unused:UNUSED_PAD src0_sel:WORD_1
	v_cvt_f32_f16_e32 v14, v3
	;;#ASMSTART
	v_pk_mul_f32 v[28:29], v[28:29], v[8:9]
	;;#ASMEND
	v_cvt_f32_f16_sdwa v9, v4 dst_sel:DWORD dst_unused:UNUSED_PAD src0_sel:WORD_1
	v_cvt_f32_f16_e32 v8, v4
	v_pk_add_f32 v[2:3], v[12:13], 1.0 op_sel_hi:[1,0]
	v_cvt_f32_f16_sdwa v13, v5 dst_sel:DWORD dst_unused:UNUSED_PAD src0_sel:WORD_1
	v_cvt_f32_f16_e32 v12, v5
	;;#ASMSTART
	v_pk_mul_f32 v[26:27], v[26:27], v[2:3]
	;;#ASMEND
	v_pk_add_f32 v[2:3], v[14:15], 1.0 op_sel_hi:[1,0]
	;;#ASMSTART
	v_pk_mul_f32 v[32:33], v[32:33], v[2:3]
	;;#ASMEND
	v_pk_add_f32 v[2:3], v[8:9], 1.0 op_sel_hi:[1,0]
	;; [unrolled: 4-line block ×3, first 2 shown]
	;;#ASMSTART
	v_pk_mul_f32 v[24:25], v[6:7], v[2:3]
	;;#ASMEND
.LBB827_9:
	s_or_b64 exec, exec, s[8:9]
	s_load_dword s7, s[4:5], 0x80
	s_mov_b64 s[8:9], -1
	s_and_b64 vcc, exec, s[14:15]
	s_cbranch_vccnz .LBB827_13
; %bb.10:
	s_andn2_b64 vcc, exec, s[8:9]
	s_cbranch_vccz .LBB827_16
.LBB827_11:
	s_cmp_lt_i32 s20, 1
	s_cbranch_scc0 .LBB827_25
.LBB827_12:
	s_endpgm
.LBB827_13:
	s_and_saveexec_b64 s[14:15], s[2:3]
	s_cbranch_execz .LBB827_15
; %bb.14:
	s_waitcnt lgkmcnt(0)
	s_mul_hi_i32 s9, s7, s6
	s_mul_i32 s8, s7, s6
	s_waitcnt vmcnt(0)
	v_cvt_f16_f32_e32 v2, v18
	v_cvt_f16_f32_e32 v3, v22
	;; [unrolled: 1-line block ×8, first 2 shown]
	s_lshl_b64 s[8:9], s[8:9], 1
	s_add_u32 s8, s28, s8
	s_addc_u32 s9, s29, s9
	s_and_b32 s9, s9, 0xffff
	s_mov_b32 s11, 0x20000
	v_pack_b32_f16 v5, v5, v6
	v_pack_b32_f16 v4, v4, v7
	;; [unrolled: 1-line block ×4, first 2 shown]
	v_lshlrev_b32_e32 v6, 5, v0
	buffer_store_dwordx4 v[2:5], v6, s[8:11], 0 offen
	v_cvt_f16_f32_e32 v7, v25
	v_cvt_f16_f32_e32 v2, v26
	v_cvt_f16_f32_e32 v3, v32
	v_cvt_f16_f32_e32 v4, v30
	v_cvt_f16_f32_e32 v5, v24
	v_cvt_f16_f32_e32 v8, v31
	v_cvt_f16_f32_e32 v9, v33
	v_cvt_f16_f32_e32 v11, v27
	v_pack_b32_f16 v5, v5, v7
	v_pack_b32_f16 v4, v4, v8
	;; [unrolled: 1-line block ×4, first 2 shown]
	;;#ASMSTART
	s_nop 0
	;;#ASMEND
	buffer_store_dwordx4 v[2:5], v6, s[8:11], 16 offen
	;;#ASMSTART
	s_nop 0
	;;#ASMEND
.LBB827_15:
	s_or_b64 exec, exec, s[14:15]
	s_cbranch_execnz .LBB827_11
.LBB827_16:
	s_load_dwordx4 s[24:27], s[4:5], 0x70
	s_waitcnt vmcnt(0)
	v_mov_b32_e32 v2, 0
	s_and_saveexec_b64 s[14:15], s[2:3]
	s_cbranch_execz .LBB827_18
; %bb.17:
	s_load_dwordx2 s[8:9], s[4:5], 0x10
	s_waitcnt lgkmcnt(0)
	s_mul_hi_i32 s35, s27, s6
	s_mul_i32 s34, s27, s6
	v_cvt_f16_f32_e32 v2, v18
	v_cvt_f16_f32_e32 v3, v22
	;; [unrolled: 1-line block ×8, first 2 shown]
	s_lshl_b64 s[34:35], s[34:35], 1
	s_add_u32 s8, s8, s34
	s_addc_u32 s9, s9, s35
	s_mov_b32 s11, 0x20000
	s_and_b32 s9, s9, 0xffff
	v_pack_b32_f16 v5, v5, v6
	v_pack_b32_f16 v4, v4, v7
	;; [unrolled: 1-line block ×4, first 2 shown]
	v_lshlrev_b32_e32 v6, 5, v0
	buffer_store_dwordx4 v[2:5], v6, s[8:11], 0 offen
	v_cvt_f16_f32_e32 v7, v25
	v_cvt_f16_f32_e32 v2, v26
	;; [unrolled: 1-line block ×8, first 2 shown]
	v_pack_b32_f16 v5, v5, v7
	v_pack_b32_f16 v4, v4, v8
	;; [unrolled: 1-line block ×4, first 2 shown]
	;;#ASMSTART
	s_nop 0
	;;#ASMEND
	buffer_store_dwordx4 v[2:5], v6, s[8:11], 16 offen
	;;#ASMSTART
	s_nop 0
	;;#ASMEND
	s_nop 0
	v_mov_b32_e32 v2, 0x2edbe6ff
.LBB827_18:
	s_or_b64 exec, exec, s[14:15]
	s_and_saveexec_b64 s[8:9], s[2:3]
	s_cbranch_execz .LBB827_20
; %bb.19:
	v_and_b32_e32 v3, 0x7fffffff, v18
	v_and_b32_e32 v4, 0x7fffffff, v19
	;;#ASMSTART
	v_max3_f32 v2, v2, v3, v4

	;;#ASMEND
	v_and_b32_e32 v3, 0x7fffffff, v22
	v_and_b32_e32 v4, 0x7fffffff, v23
	;;#ASMSTART
	v_max3_f32 v2, v2, v3, v4

	;;#ASMEND
	;; [unrolled: 6-line block ×8, first 2 shown]
.LBB827_20:
	s_or_b64 exec, exec, s[8:9]
	v_cmp_eq_u32_e32 vcc, 0, v10
	v_cmp_gt_i32_e64 s[8:9], s19, v1
	s_and_b64 s[10:11], vcc, s[8:9]
	;;#ASMSTART
	v_max_f32 v3, v2, v2 quad_perm:[1,0,3,2] row_mask:0xf bank_mask:0xf bound_ctrl:1
	;;#ASMEND
	;;#ASMSTART
	v_max_f32 v2, v3, v3 quad_perm:[2,3,0,1] row_mask:0xf bank_mask:0xf bound_ctrl:1
	;;#ASMEND
	s_and_saveexec_b64 s[8:9], s[10:11]
	s_cbranch_execz .LBB827_22
; %bb.21:
	s_load_dwordx2 s[10:11], s[4:5], 0x8
	v_mul_f32_e32 v2, 0x3e2aaaab, v2
	v_lshrrev_b32_e32 v3, 23, v2
	v_and_b32_e32 v4, 0x7f800000, v2
	v_and_b32_e32 v2, 0x7fffff, v2
	v_cmp_ne_u32_e32 vcc, 0, v2
	s_waitcnt lgkmcnt(0)
	s_mul_i32 s16, s25, s6
	s_mov_b32 s14, 0x7f800000
	v_addc_co_u32_e32 v2, vcc, 0, v3, vcc
	s_mul_hi_i32 s15, s25, s6
	s_add_u32 s10, s10, s16
	v_cmp_ne_u32_e32 vcc, s14, v4
	s_addc_u32 s11, s11, s15
	v_lshrrev_b32_e32 v5, 2, v0
	v_cndmask_b32_e32 v4, -1, v2, vcc
	v_pk_mov_b32 v[2:3], s[10:11], s[10:11] op_sel:[0,1]
	v_mad_i64_i32 v[2:3], s[10:11], s26, v5, v[2:3]
	global_store_byte v[2:3], v4, off
.LBB827_22:
	s_or_b64 exec, exec, s[8:9]
	s_and_saveexec_b64 s[8:9], s[2:3]
	s_cbranch_execz .LBB827_24
; %bb.23:
	s_load_dwordx2 s[2:3], s[4:5], 0x0
	s_waitcnt lgkmcnt(0)
	s_mul_i32 s11, s24, s6
	s_mul_hi_i32 s10, s24, s6
	v_mov_b32_e32 v2, 0
	v_lshlrev_b32_e32 v4, 3, v0
	s_add_u32 s24, s2, s11
	s_addc_u32 s2, s3, s10
	s_lshr_b32 s3, s19, 31
	s_add_i32 s3, s19, s3
	s_ashr_i32 s3, s3, 1
	s_add_i32 s3, s3, 3
	s_ashr_i32 s10, s3, 31
	s_lshr_b32 s10, s10, 30
	s_add_i32 s3, s3, s10
	s_and_b32 s26, s3, -4
	s_and_b32 s25, s2, 0xffff
	s_mov_b32 s27, 0x20000
	v_mov_b32_e32 v3, v2
	buffer_store_dwordx2 v[2:3], v4, s[24:27], 0 offen
	;;#ASMSTART
	s_nop 0
	;;#ASMEND
.LBB827_24:
	s_or_b64 exec, exec, s[8:9]
	s_cmp_lt_i32 s20, 1
	s_cbranch_scc1 .LBB827_12
.LBB827_25:
	s_load_dword s2, s[4:5], 0x94
	s_waitcnt lgkmcnt(0)
	s_cmp_lg_u32 s2, 1
	s_cbranch_scc1 .LBB827_12
; %bb.26:
	s_lshl_b32 s2, s20, 1
	s_add_i32 s2, s2, 2
	v_cmp_gt_u32_e32 vcc, s20, v1
	s_and_b32 s14, s2, -4
	v_mov_b32_e32 v18, 0
	v_lshlrev_b32_e32 v1, 5, v0
	v_mov_b32_e32 v14, 0
	v_mov_b32_e32 v15, 0
	;; [unrolled: 1-line block ×8, first 2 shown]
	s_waitcnt vmcnt(1)
	v_mov_b32_e32 v6, 0
	v_mov_b32_e32 v7, 0
	;; [unrolled: 1-line block ×4, first 2 shown]
	s_waitcnt vmcnt(0)
	v_mov_b32_e32 v2, 0
	v_mov_b32_e32 v3, 0
	v_mov_b32_e32 v4, 0
	v_mov_b32_e32 v5, 0
	s_barrier
	s_and_saveexec_b64 s[2:3], vcc
	s_cbranch_execz .LBB827_28
; %bb.27:
	s_mul_hi_i32 s5, s22, s6
	s_mul_i32 s4, s22, s6
	s_and_b32 s13, s13, 0xffff
	s_lshl_b64 s[4:5], s[4:5], 1
	s_add_u32 s8, s30, s4
	s_mov_b32 s15, 0x20000
	s_addc_u32 s4, s31, s5
	s_and_b32 s9, s4, 0xffff
	s_mov_b32 s10, s14
	s_mov_b32 s11, s15
	buffer_load_dwordx4 v[14:17], v1, s[8:11], 0 offen
	buffer_load_dwordx4 v[10:13], v1, s[8:11], 16 offen
	;; [unrolled: 1-line block ×4, first 2 shown]
.LBB827_28:
	s_or_b64 exec, exec, s[2:3]
	v_mov_b32_e32 v19, 0
	v_mov_b32_e32 v32, 0
	;; [unrolled: 1-line block ×15, first 2 shown]
	s_and_saveexec_b64 s[2:3], vcc
	s_cbranch_execz .LBB827_30
; %bb.29:
	s_waitcnt vmcnt(3)
	v_cvt_f32_f16_sdwa v19, v14 dst_sel:DWORD dst_unused:UNUSED_PAD src0_sel:WORD_1
	v_cvt_f32_f16_e32 v18, v14
	v_cvt_f32_f16_sdwa v33, v15 dst_sel:DWORD dst_unused:UNUSED_PAD src0_sel:WORD_1
	v_cvt_f32_f16_e32 v32, v15
	;; [unrolled: 2-line block ×4, first 2 shown]
	s_waitcnt vmcnt(2)
	v_cvt_f32_f16_sdwa v27, v10 dst_sel:DWORD dst_unused:UNUSED_PAD src0_sel:WORD_1
	v_cvt_f32_f16_e32 v26, v10
	v_cvt_f32_f16_sdwa v25, v11 dst_sel:DWORD dst_unused:UNUSED_PAD src0_sel:WORD_1
	v_cvt_f32_f16_e32 v24, v11
	;; [unrolled: 2-line block ×4, first 2 shown]
.LBB827_30:
	s_or_b64 exec, exec, s[2:3]
	s_waitcnt vmcnt(2)
	v_mul_f32_e32 v10, v19, v19
	v_fmac_f32_e32 v10, v18, v18
	v_fmac_f32_e32 v10, v32, v32
	;; [unrolled: 1-line block ×15, first 2 shown]
	s_nop 1
	v_mov_b32_dpp v11, v10 quad_perm:[1,0,3,2] row_mask:0xf bank_mask:0xf
	v_add_f32_e32 v10, v10, v11
	s_nop 1
	v_mov_b32_dpp v11, v10 quad_perm:[2,3,0,1] row_mask:0xf bank_mask:0xf
	v_add_f32_e32 v10, v10, v11
	s_nop 1
	v_mov_b32_dpp v11, v10 row_half_mirror row_mask:0xf bank_mask:0xf
	v_add_f32_e32 v10, v10, v11
	s_nop 1
	v_mov_b32_dpp v11, v10 row_mirror row_mask:0xf bank_mask:0xf
	v_add_f32_e32 v10, v10, v11
	s_nop 1
	v_mov_b32_dpp v11, v10 row_bcast:15 row_mask:0xf bank_mask:0xf
	v_add_f32_e32 v10, v10, v11
	s_nop 1
	v_mov_b32_dpp v11, v10 row_bcast:31 row_mask:0xf bank_mask:0xf
	s_and_saveexec_b64 s[2:3], s[0:1]
	s_cbranch_execz .LBB827_32
; %bb.31:
	v_lshrrev_b32_e32 v0, 4, v0
	v_add_f32_e32 v10, v10, v11
	v_and_b32_e32 v0, 60, v0
	ds_write_b32 v0, v10
.LBB827_32:
	s_or_b64 exec, exec, s[2:3]
	s_waitcnt lgkmcnt(0)
	s_barrier
	ds_read_b32 v0, v34
	s_waitcnt lgkmcnt(0)
	s_nop 0
	v_mov_b32_dpp v10, v0 quad_perm:[1,0,3,2] row_mask:0xf bank_mask:0xf
	v_add_f32_e32 v0, v0, v10
	s_nop 1
	v_mov_b32_dpp v10, v0 quad_perm:[2,3,0,1] row_mask:0xf bank_mask:0xf
	s_and_saveexec_b64 s[0:1], vcc
	s_cbranch_execz .LBB827_12
; %bb.33:
	v_cvt_f32_u32_e32 v11, s20
	v_add_f32_e32 v0, v0, v10
	s_mov_b32 s15, 0x20000
	v_div_scale_f32 v10, s[0:1], v11, v11, v0
	v_rcp_f32_e32 v12, v10
	v_div_scale_f32 v13, vcc, v0, v11, v0
	s_mov_b32 s0, 0x800000
	v_fma_f32 v14, -v10, v12, 1.0
	v_fmac_f32_e32 v12, v14, v12
	v_mul_f32_e32 v14, v13, v12
	v_fma_f32 v15, -v10, v14, v13
	v_fmac_f32_e32 v14, v15, v12
	v_fma_f32 v10, -v10, v14, v13
	v_div_fmas_f32 v10, v10, v12, v14
	v_div_fixup_f32 v0, v10, v11, v0
	v_add_f32_e32 v0, s17, v0
	v_mul_f32_e32 v10, 0x4b800000, v0
	v_cmp_gt_f32_e32 vcc, s0, v0
	v_cndmask_b32_e32 v0, v0, v10, vcc
	v_rsq_f32_e32 v0, v0
	s_mul_hi_i32 s1, s7, s6
	s_mul_i32 s0, s7, s6
	s_lshl_b64 s[0:1], s[0:1], 1
	v_mul_f32_e32 v10, 0x45800000, v0
	v_cndmask_b32_e32 v10, v0, v10, vcc
	v_mov_b32_e32 v11, v10
	;;#ASMSTART
	v_pk_mul_f32 v[12:13], v[18:19], v[10:11]
	;;#ASMEND
	;;#ASMSTART
	v_pk_mul_f32 v[14:15], v[32:33], v[10:11]
	;;#ASMEND
	;; [unrolled: 3-line block ×4, first 2 shown]
	s_waitcnt vmcnt(1)
	v_cvt_f32_f16_sdwa v29, v6 dst_sel:DWORD dst_unused:UNUSED_PAD src0_sel:WORD_1
	v_cvt_f32_f16_e32 v28, v6
	v_cvt_f32_f16_sdwa v31, v7 dst_sel:DWORD dst_unused:UNUSED_PAD src0_sel:WORD_1
	v_cvt_f32_f16_e32 v30, v7
	;;#ASMSTART
	v_pk_mul_f32 v[26:27], v[26:27], v[10:11]
	;;#ASMEND
	;;#ASMSTART
	v_pk_mul_f32 v[24:25], v[24:25], v[10:11]
	;;#ASMEND
	;;#ASMSTART
	v_pk_mul_f32 v[22:23], v[22:23], v[10:11]
	;;#ASMEND
	;;#ASMSTART
	v_pk_mul_f32 v[6:7], v[20:21], v[10:11]
	;;#ASMEND
	v_cvt_f32_f16_sdwa v21, v8 dst_sel:DWORD dst_unused:UNUSED_PAD src0_sel:WORD_1
	v_cvt_f32_f16_e32 v20, v8
	v_pk_add_f32 v[10:11], v[28:29], 1.0 op_sel_hi:[1,0]
	;;#ASMSTART
	v_pk_mul_f32 v[10:11], v[12:13], v[10:11]
	;;#ASMEND
	v_pk_add_f32 v[12:13], v[30:31], 1.0 op_sel_hi:[1,0]
	v_cvt_f32_f16_sdwa v29, v9 dst_sel:DWORD dst_unused:UNUSED_PAD src0_sel:WORD_1
	v_cvt_f32_f16_e32 v28, v9
	;;#ASMSTART
	v_pk_mul_f32 v[8:9], v[14:15], v[12:13]
	;;#ASMEND
	v_pk_add_f32 v[12:13], v[20:21], 1.0 op_sel_hi:[1,0]
	;;#ASMSTART
	v_pk_mul_f32 v[12:13], v[16:17], v[12:13]
	;;#ASMEND
	s_waitcnt vmcnt(0)
	v_cvt_f32_f16_sdwa v17, v2 dst_sel:DWORD dst_unused:UNUSED_PAD src0_sel:WORD_1
	v_cvt_f32_f16_e32 v16, v2
	v_cvt_f32_f16_sdwa v21, v3 dst_sel:DWORD dst_unused:UNUSED_PAD src0_sel:WORD_1
	v_cvt_f32_f16_e32 v20, v3
	v_pk_add_f32 v[14:15], v[28:29], 1.0 op_sel_hi:[1,0]
	;;#ASMSTART
	v_pk_mul_f32 v[2:3], v[18:19], v[14:15]
	;;#ASMEND
	v_cvt_f32_f16_sdwa v19, v4 dst_sel:DWORD dst_unused:UNUSED_PAD src0_sel:WORD_1
	v_cvt_f32_f16_e32 v18, v4
	v_pk_add_f32 v[14:15], v[16:17], 1.0 op_sel_hi:[1,0]
	v_pk_add_f32 v[16:17], v[20:21], 1.0 op_sel_hi:[1,0]
	v_cvt_f32_f16_sdwa v21, v5 dst_sel:DWORD dst_unused:UNUSED_PAD src0_sel:WORD_1
	v_cvt_f32_f16_e32 v20, v5
	v_pk_add_f32 v[4:5], v[18:19], 1.0 op_sel_hi:[1,0]
	;;#ASMSTART
	v_pk_mul_f32 v[14:15], v[26:27], v[14:15]
	;;#ASMEND
	;;#ASMSTART
	v_pk_mul_f32 v[16:17], v[24:25], v[16:17]
	;;#ASMEND
	;; [unrolled: 3-line block ×3, first 2 shown]
	v_pk_add_f32 v[4:5], v[20:21], 1.0 op_sel_hi:[1,0]
	;;#ASMSTART
	v_pk_mul_f32 v[6:7], v[6:7], v[4:5]
	;;#ASMEND
	v_cvt_f16_f32_e32 v0, v10
	v_cvt_f16_f32_e32 v4, v11
	v_cvt_f16_f32_e32 v5, v8
	v_cvt_f16_f32_e32 v8, v9
	v_cvt_f16_f32_e32 v9, v12
	v_cvt_f16_f32_e32 v10, v13
	v_cvt_f16_f32_e32 v11, v2
	v_cvt_f16_f32_e32 v12, v3
	s_add_u32 s12, s28, s0
	s_addc_u32 s0, s29, s1
	s_and_b32 s13, s0, 0xffff
	v_pack_b32_f16 v2, v0, v4
	v_pack_b32_f16 v3, v5, v8
	;; [unrolled: 1-line block ×4, first 2 shown]
	buffer_store_dwordx4 v[2:5], v1, s[12:15], 0 offen
	v_cvt_f16_f32_e32 v0, v14
	v_cvt_f16_f32_e32 v2, v15
	;; [unrolled: 1-line block ×8, first 2 shown]
	v_pack_b32_f16 v2, v0, v2
	v_pack_b32_f16 v3, v3, v4
	;; [unrolled: 1-line block ×4, first 2 shown]
	;;#ASMSTART
	s_nop 0
	;;#ASMEND
	buffer_store_dwordx4 v[2:5], v1, s[12:15], 16 offen
	;;#ASMSTART
	s_nop 0
	;;#ASMEND
	s_endpgm
	.section	.rodata,"a",@progbits
	.p2align	6, 0x0
	.amdhsa_kernel _ZN5aiter35fused_qk_rmsnorm_group_quant_kernelIDF16_N4opus5fp4_tELi256ELi16ELi4ELb0ELb1ELb1ELb0ELb0ELb0EEEvPT0_PvPT_S7_S7_PKS6_S9_S9_S9_S9_ffiiiiiiiiiiiii
		.amdhsa_group_segment_fixed_size 32
		.amdhsa_private_segment_fixed_size 0
		.amdhsa_kernarg_size 400
		.amdhsa_user_sgpr_count 6
		.amdhsa_user_sgpr_private_segment_buffer 1
		.amdhsa_user_sgpr_dispatch_ptr 0
		.amdhsa_user_sgpr_queue_ptr 0
		.amdhsa_user_sgpr_kernarg_segment_ptr 1
		.amdhsa_user_sgpr_dispatch_id 0
		.amdhsa_user_sgpr_flat_scratch_init 0
		.amdhsa_user_sgpr_kernarg_preload_length 0
		.amdhsa_user_sgpr_kernarg_preload_offset 0
		.amdhsa_user_sgpr_private_segment_size 0
		.amdhsa_uses_dynamic_stack 0
		.amdhsa_system_sgpr_private_segment_wavefront_offset 0
		.amdhsa_system_sgpr_workgroup_id_x 1
		.amdhsa_system_sgpr_workgroup_id_y 1
		.amdhsa_system_sgpr_workgroup_id_z 0
		.amdhsa_system_sgpr_workgroup_info 0
		.amdhsa_system_vgpr_workitem_id 0
		.amdhsa_next_free_vgpr 36
		.amdhsa_next_free_sgpr 36
		.amdhsa_accum_offset 36
		.amdhsa_reserve_vcc 1
		.amdhsa_reserve_flat_scratch 0
		.amdhsa_float_round_mode_32 0
		.amdhsa_float_round_mode_16_64 0
		.amdhsa_float_denorm_mode_32 3
		.amdhsa_float_denorm_mode_16_64 3
		.amdhsa_dx10_clamp 1
		.amdhsa_ieee_mode 1
		.amdhsa_fp16_overflow 0
		.amdhsa_tg_split 0
		.amdhsa_exception_fp_ieee_invalid_op 0
		.amdhsa_exception_fp_denorm_src 0
		.amdhsa_exception_fp_ieee_div_zero 0
		.amdhsa_exception_fp_ieee_overflow 0
		.amdhsa_exception_fp_ieee_underflow 0
		.amdhsa_exception_fp_ieee_inexact 0
		.amdhsa_exception_int_div_zero 0
	.end_amdhsa_kernel
	.section	.text._ZN5aiter35fused_qk_rmsnorm_group_quant_kernelIDF16_N4opus5fp4_tELi256ELi16ELi4ELb0ELb1ELb1ELb0ELb0ELb0EEEvPT0_PvPT_S7_S7_PKS6_S9_S9_S9_S9_ffiiiiiiiiiiiii,"axG",@progbits,_ZN5aiter35fused_qk_rmsnorm_group_quant_kernelIDF16_N4opus5fp4_tELi256ELi16ELi4ELb0ELb1ELb1ELb0ELb0ELb0EEEvPT0_PvPT_S7_S7_PKS6_S9_S9_S9_S9_ffiiiiiiiiiiiii,comdat
.Lfunc_end827:
	.size	_ZN5aiter35fused_qk_rmsnorm_group_quant_kernelIDF16_N4opus5fp4_tELi256ELi16ELi4ELb0ELb1ELb1ELb0ELb0ELb0EEEvPT0_PvPT_S7_S7_PKS6_S9_S9_S9_S9_ffiiiiiiiiiiiii, .Lfunc_end827-_ZN5aiter35fused_qk_rmsnorm_group_quant_kernelIDF16_N4opus5fp4_tELi256ELi16ELi4ELb0ELb1ELb1ELb0ELb0ELb0EEEvPT0_PvPT_S7_S7_PKS6_S9_S9_S9_S9_ffiiiiiiiiiiiii
                                        ; -- End function
	.section	.AMDGPU.csdata,"",@progbits
; Kernel info:
; codeLenInByte = 3464
; NumSgprs: 40
; NumVgprs: 36
; NumAgprs: 0
; TotalNumVgprs: 36
; ScratchSize: 0
; MemoryBound: 0
; FloatMode: 240
; IeeeMode: 1
; LDSByteSize: 32 bytes/workgroup (compile time only)
; SGPRBlocks: 4
; VGPRBlocks: 4
; NumSGPRsForWavesPerEU: 40
; NumVGPRsForWavesPerEU: 36
; AccumOffset: 36
; Occupancy: 8
; WaveLimiterHint : 0
; COMPUTE_PGM_RSRC2:SCRATCH_EN: 0
; COMPUTE_PGM_RSRC2:USER_SGPR: 6
; COMPUTE_PGM_RSRC2:TRAP_HANDLER: 0
; COMPUTE_PGM_RSRC2:TGID_X_EN: 1
; COMPUTE_PGM_RSRC2:TGID_Y_EN: 1
; COMPUTE_PGM_RSRC2:TGID_Z_EN: 0
; COMPUTE_PGM_RSRC2:TIDIG_COMP_CNT: 0
; COMPUTE_PGM_RSRC3_GFX90A:ACCUM_OFFSET: 8
; COMPUTE_PGM_RSRC3_GFX90A:TG_SPLIT: 0
	.section	.text._ZN5aiter35fused_qk_rmsnorm_group_quant_kernelItN4opus5fp4_tELi256ELi16ELi4ELb0ELb1ELb1ELb0ELb0ELb0EEEvPT0_PvPT_S7_S7_PKS6_S9_S9_S9_S9_ffiiiiiiiiiiiii,"axG",@progbits,_ZN5aiter35fused_qk_rmsnorm_group_quant_kernelItN4opus5fp4_tELi256ELi16ELi4ELb0ELb1ELb1ELb0ELb0ELb0EEEvPT0_PvPT_S7_S7_PKS6_S9_S9_S9_S9_ffiiiiiiiiiiiii,comdat
	.protected	_ZN5aiter35fused_qk_rmsnorm_group_quant_kernelItN4opus5fp4_tELi256ELi16ELi4ELb0ELb1ELb1ELb0ELb0ELb0EEEvPT0_PvPT_S7_S7_PKS6_S9_S9_S9_S9_ffiiiiiiiiiiiii ; -- Begin function _ZN5aiter35fused_qk_rmsnorm_group_quant_kernelItN4opus5fp4_tELi256ELi16ELi4ELb0ELb1ELb1ELb0ELb0ELb0EEEvPT0_PvPT_S7_S7_PKS6_S9_S9_S9_S9_ffiiiiiiiiiiiii
	.globl	_ZN5aiter35fused_qk_rmsnorm_group_quant_kernelItN4opus5fp4_tELi256ELi16ELi4ELb0ELb1ELb1ELb0ELb0ELb0EEEvPT0_PvPT_S7_S7_PKS6_S9_S9_S9_S9_ffiiiiiiiiiiiii
	.p2align	8
	.type	_ZN5aiter35fused_qk_rmsnorm_group_quant_kernelItN4opus5fp4_tELi256ELi16ELi4ELb0ELb1ELb1ELb0ELb0ELb0EEEvPT0_PvPT_S7_S7_PKS6_S9_S9_S9_S9_ffiiiiiiiiiiiii,@function
_ZN5aiter35fused_qk_rmsnorm_group_quant_kernelItN4opus5fp4_tELi256ELi16ELi4ELb0ELb1ELb1ELb0ELb0ELb0EEEvPT0_PvPT_S7_S7_PKS6_S9_S9_S9_S9_ffiiiiiiiiiiiii: ; @_ZN5aiter35fused_qk_rmsnorm_group_quant_kernelItN4opus5fp4_tELi256ELi16ELi4ELb0ELb1ELb1ELb0ELb0ELb0EEEvPT0_PvPT_S7_S7_PKS6_S9_S9_S9_S9_ffiiiiiiiiiiiii
; %bb.0:
	s_load_dwordx4 s[16:19], s[4:5], 0x50
	s_waitcnt lgkmcnt(0)
	s_cmp_ge_i32 s6, s18
	s_cbranch_scc1 .LBB828_12
; %bb.1:
	s_load_dwordx2 s[12:13], s[4:5], 0x48
	s_load_dwordx2 s[30:31], s[4:5], 0x30
	s_load_dwordx4 s[20:23], s[4:5], 0x60
	s_cmp_lg_u32 s7, 0
	s_cselect_b64 s[14:15], -1, 0
	s_cmp_eq_u32 s7, 0
	s_cselect_b64 vcc, -1, 0
	s_and_b64 s[0:1], vcc, exec
	s_waitcnt lgkmcnt(0)
	s_cselect_b32 s7, s19, s20
	s_add_i32 s0, s7, 1
	s_lshr_b32 s1, s0, 31
	s_add_i32 s0, s0, s1
	s_lshl_b32 s0, s0, 1
	v_lshlrev_b32_e32 v1, 4, v0
	s_and_b32 s10, s0, -4
	v_cmp_gt_i32_e64 s[2:3], s7, v1
	v_mov_b32_e32 v18, 0
	v_mov_b32_e32 v6, 0
	;; [unrolled: 1-line block ×17, first 2 shown]
	s_and_saveexec_b64 s[0:1], s[2:3]
	s_cbranch_execz .LBB828_3
; %bb.2:
	s_load_dwordx2 s[8:9], s[4:5], 0x28
	s_load_dwordx2 s[26:27], s[4:5], 0x40
	s_and_b64 s[24:25], vcc, exec
	s_cselect_b32 s11, s21, s22
	v_lshlrev_b32_e32 v19, 5, v0
	s_waitcnt lgkmcnt(0)
	s_cselect_b32 s18, s9, s31
	s_cselect_b32 s21, s8, s30
	s_mul_hi_i32 s9, s11, s6
	s_mul_i32 s8, s11, s6
	s_lshl_b64 s[8:9], s[8:9], 1
	s_add_u32 s24, s21, s8
	s_addc_u32 s18, s18, s9
	s_and_b64 s[8:9], vcc, exec
	s_mov_b32 s11, 0x20000
	s_cselect_b32 s8, s26, s12
	s_cselect_b32 s9, s27, s13
	s_and_b32 s25, s18, 0xffff
	s_mov_b32 s26, s10
	s_mov_b32 s27, s11
	s_and_b32 s9, s9, 0xffff
	buffer_load_dwordx4 v[14:17], v19, s[24:27], 0 offen
	buffer_load_dwordx4 v[10:13], v19, s[24:27], 16 offen
	;; [unrolled: 1-line block ×4, first 2 shown]
.LBB828_3:
	s_or_b64 exec, exec, s[0:1]
	v_mov_b32_e32 v19, 0
	v_mov_b32_e32 v22, 0
	;; [unrolled: 1-line block ×15, first 2 shown]
	s_and_saveexec_b64 s[0:1], s[2:3]
	s_cbranch_execz .LBB828_5
; %bb.4:
	s_waitcnt vmcnt(3)
	v_cvt_f32_u32_sdwa v18, v14 dst_sel:DWORD dst_unused:UNUSED_PAD src0_sel:WORD_0
	v_cvt_f32_u32_sdwa v19, v14 dst_sel:DWORD dst_unused:UNUSED_PAD src0_sel:WORD_1
	v_cvt_f32_u32_sdwa v22, v15 dst_sel:DWORD dst_unused:UNUSED_PAD src0_sel:WORD_0
	v_cvt_f32_u32_sdwa v23, v15 dst_sel:DWORD dst_unused:UNUSED_PAD src0_sel:WORD_1
	;; [unrolled: 2-line block ×4, first 2 shown]
	s_waitcnt vmcnt(2)
	v_cvt_f32_u32_sdwa v24, v10 dst_sel:DWORD dst_unused:UNUSED_PAD src0_sel:WORD_0
	v_cvt_f32_u32_sdwa v25, v10 dst_sel:DWORD dst_unused:UNUSED_PAD src0_sel:WORD_1
	v_cvt_f32_u32_sdwa v32, v11 dst_sel:DWORD dst_unused:UNUSED_PAD src0_sel:WORD_0
	v_cvt_f32_u32_sdwa v33, v11 dst_sel:DWORD dst_unused:UNUSED_PAD src0_sel:WORD_1
	;; [unrolled: 2-line block ×4, first 2 shown]
.LBB828_5:
	s_or_b64 exec, exec, s[0:1]
	s_waitcnt vmcnt(2)
	v_mul_f32_e32 v10, v19, v19
	v_fmac_f32_e32 v10, v18, v18
	v_fmac_f32_e32 v10, v22, v22
	;; [unrolled: 1-line block ×15, first 2 shown]
	v_and_b32_e32 v12, 63, v0
	v_cmp_eq_u32_e64 s[0:1], 63, v12
	v_mov_b32_dpp v11, v10 quad_perm:[1,0,3,2] row_mask:0xf bank_mask:0xf
	v_add_f32_e32 v10, v10, v11
	s_nop 1
	v_mov_b32_dpp v11, v10 quad_perm:[2,3,0,1] row_mask:0xf bank_mask:0xf
	v_add_f32_e32 v10, v10, v11
	s_nop 1
	v_mov_b32_dpp v11, v10 row_half_mirror row_mask:0xf bank_mask:0xf
	v_add_f32_e32 v10, v10, v11
	s_nop 1
	v_mov_b32_dpp v11, v10 row_mirror row_mask:0xf bank_mask:0xf
	v_add_f32_e32 v10, v10, v11
	s_nop 1
	v_mov_b32_dpp v11, v10 row_bcast:15 row_mask:0xf bank_mask:0xf
	v_add_f32_e32 v10, v10, v11
	s_nop 1
	v_mov_b32_dpp v11, v10 row_bcast:31 row_mask:0xf bank_mask:0xf
	s_and_saveexec_b64 s[8:9], s[0:1]
	s_cbranch_execz .LBB828_7
; %bb.6:
	v_add_f32_e32 v10, v10, v11
	v_lshrrev_b32_e32 v11, 4, v0
	v_and_b32_e32 v11, 60, v11
	ds_write_b32 v11, v10 offset:16
.LBB828_7:
	s_or_b64 exec, exec, s[8:9]
	v_and_b32_e32 v10, 3, v0
	v_lshlrev_b32_e32 v34, 2, v10
	s_waitcnt lgkmcnt(0)
	s_barrier
	ds_read_b32 v11, v34 offset:16
	s_load_dwordx2 s[28:29], s[4:5], 0x18
	s_waitcnt lgkmcnt(0)
	v_mov_b32_dpp v12, v11 quad_perm:[1,0,3,2] row_mask:0xf bank_mask:0xf
	v_add_f32_e32 v11, v11, v12
	s_nop 1
	v_mov_b32_dpp v12, v11 quad_perm:[2,3,0,1] row_mask:0xf bank_mask:0xf
	s_and_saveexec_b64 s[8:9], s[2:3]
	s_cbranch_execz .LBB828_9
; %bb.8:
	v_cvt_f32_u32_e32 v13, s7
	v_add_f32_e32 v11, v11, v12
	v_mov_b32_e32 v15, s17
	v_mov_b32_e32 v16, s16
	v_div_scale_f32 v12, s[24:25], v13, v13, v11
	v_rcp_f32_e32 v14, v12
	v_cndmask_b32_e32 v15, v15, v16, vcc
	s_mov_b32 s7, 0x800000
	v_fma_f32 v16, -v12, v14, 1.0
	v_fmac_f32_e32 v14, v16, v14
	v_div_scale_f32 v16, vcc, v11, v13, v11
	v_mul_f32_e32 v17, v16, v14
	v_fma_f32 v35, -v12, v17, v16
	v_fmac_f32_e32 v17, v35, v14
	v_fma_f32 v12, -v12, v17, v16
	v_div_fmas_f32 v12, v12, v14, v17
	v_div_fixup_f32 v11, v12, v13, v11
	v_add_f32_e32 v11, v15, v11
	v_mul_f32_e32 v12, 0x4b800000, v11
	v_cmp_gt_f32_e32 vcc, s7, v11
	v_cndmask_b32_e32 v11, v11, v12, vcc
	v_rsq_f32_e32 v11, v11
	v_mul_f32_e32 v12, 0x45800000, v11
	v_cndmask_b32_e32 v12, v11, v12, vcc
	v_mov_b32_e32 v13, v12
	;;#ASMSTART
	v_pk_mul_f32 v[14:15], v[18:19], v[12:13]
	;;#ASMEND
	s_waitcnt vmcnt(1)
	v_cvt_f32_u32_sdwa v19, v6 dst_sel:DWORD dst_unused:UNUSED_PAD src0_sel:WORD_1
	v_cvt_f32_u32_sdwa v18, v6 dst_sel:DWORD dst_unused:UNUSED_PAD src0_sel:WORD_0
	;;#ASMSTART
	v_pk_mul_f32 v[16:17], v[22:23], v[12:13]
	;;#ASMEND
	v_cvt_f32_u32_sdwa v23, v7 dst_sel:DWORD dst_unused:UNUSED_PAD src0_sel:WORD_1
	v_cvt_f32_u32_sdwa v22, v7 dst_sel:DWORD dst_unused:UNUSED_PAD src0_sel:WORD_0
	;;#ASMSTART
	v_pk_mul_f32 v[20:21], v[20:21], v[12:13]
	;;#ASMEND
	;;#ASMSTART
	v_pk_mul_f32 v[28:29], v[28:29], v[12:13]
	;;#ASMEND
	;; [unrolled: 3-line block ×6, first 2 shown]
	v_pk_add_f32 v[12:13], v[18:19], 1.0 op_sel_hi:[1,0]
	;;#ASMSTART
	v_pk_mul_f32 v[18:19], v[14:15], v[12:13]
	;;#ASMEND
	v_cvt_f32_u32_sdwa v15, v8 dst_sel:DWORD dst_unused:UNUSED_PAD src0_sel:WORD_1
	v_cvt_f32_u32_sdwa v14, v8 dst_sel:DWORD dst_unused:UNUSED_PAD src0_sel:WORD_0
	v_cvt_f32_u32_sdwa v27, v9 dst_sel:DWORD dst_unused:UNUSED_PAD src0_sel:WORD_1
	v_cvt_f32_u32_sdwa v26, v9 dst_sel:DWORD dst_unused:UNUSED_PAD src0_sel:WORD_0
	v_pk_add_f32 v[12:13], v[22:23], 1.0 op_sel_hi:[1,0]
	;;#ASMSTART
	v_pk_mul_f32 v[22:23], v[16:17], v[12:13]
	;;#ASMEND
	s_waitcnt vmcnt(0)
	v_cvt_f32_u32_sdwa v13, v2 dst_sel:DWORD dst_unused:UNUSED_PAD src0_sel:WORD_1
	v_cvt_f32_u32_sdwa v12, v2 dst_sel:DWORD dst_unused:UNUSED_PAD src0_sel:WORD_0
	v_pk_add_f32 v[8:9], v[14:15], 1.0 op_sel_hi:[1,0]
	;;#ASMSTART
	v_pk_mul_f32 v[20:21], v[20:21], v[8:9]
	;;#ASMEND
	v_pk_add_f32 v[8:9], v[26:27], 1.0 op_sel_hi:[1,0]
	v_cvt_f32_u32_sdwa v15, v3 dst_sel:DWORD dst_unused:UNUSED_PAD src0_sel:WORD_1
	v_cvt_f32_u32_sdwa v14, v3 dst_sel:DWORD dst_unused:UNUSED_PAD src0_sel:WORD_0
	;;#ASMSTART
	v_pk_mul_f32 v[28:29], v[28:29], v[8:9]
	;;#ASMEND
	v_cvt_f32_u32_sdwa v9, v4 dst_sel:DWORD dst_unused:UNUSED_PAD src0_sel:WORD_1
	v_cvt_f32_u32_sdwa v8, v4 dst_sel:DWORD dst_unused:UNUSED_PAD src0_sel:WORD_0
	v_pk_add_f32 v[2:3], v[12:13], 1.0 op_sel_hi:[1,0]
	v_cvt_f32_u32_sdwa v13, v5 dst_sel:DWORD dst_unused:UNUSED_PAD src0_sel:WORD_1
	v_cvt_f32_u32_sdwa v12, v5 dst_sel:DWORD dst_unused:UNUSED_PAD src0_sel:WORD_0
	;;#ASMSTART
	v_pk_mul_f32 v[24:25], v[24:25], v[2:3]
	;;#ASMEND
	v_pk_add_f32 v[2:3], v[14:15], 1.0 op_sel_hi:[1,0]
	;;#ASMSTART
	v_pk_mul_f32 v[32:33], v[32:33], v[2:3]
	;;#ASMEND
	v_pk_add_f32 v[2:3], v[8:9], 1.0 op_sel_hi:[1,0]
	;; [unrolled: 4-line block ×3, first 2 shown]
	;;#ASMSTART
	v_pk_mul_f32 v[26:27], v[6:7], v[2:3]
	;;#ASMEND
.LBB828_9:
	s_or_b64 exec, exec, s[8:9]
	s_load_dword s7, s[4:5], 0x80
	s_mov_b64 s[8:9], -1
	s_and_b64 vcc, exec, s[14:15]
	s_cbranch_vccnz .LBB828_13
; %bb.10:
	s_andn2_b64 vcc, exec, s[8:9]
	s_cbranch_vccz .LBB828_16
.LBB828_11:
	s_cmp_lt_i32 s20, 1
	s_cbranch_scc0 .LBB828_25
.LBB828_12:
	s_endpgm
.LBB828_13:
	s_and_saveexec_b64 s[14:15], s[2:3]
	s_cbranch_execz .LBB828_15
; %bb.14:
	s_waitcnt lgkmcnt(0)
	s_mul_hi_i32 s9, s7, s6
	s_mul_i32 s8, s7, s6
	s_lshl_b64 s[8:9], s[8:9], 1
	s_add_u32 s8, s28, s8
	s_addc_u32 s9, s29, s9
	s_mov_b32 s16, 0x7060302
	s_and_b32 s9, s9, 0xffff
	s_mov_b32 s11, 0x20000
	s_waitcnt vmcnt(0)
	v_perm_b32 v5, v29, v28, s16
	v_perm_b32 v4, v21, v20, s16
	;; [unrolled: 1-line block ×4, first 2 shown]
	v_lshlrev_b32_e32 v6, 5, v0
	buffer_store_dwordx4 v[2:5], v6, s[8:11], 0 offen
	;;#ASMSTART
	s_nop 0
	;;#ASMEND
	s_nop 0
	v_perm_b32 v5, v27, v26, s16
	v_perm_b32 v4, v31, v30, s16
	v_perm_b32 v3, v33, v32, s16
	v_perm_b32 v2, v25, v24, s16
	buffer_store_dwordx4 v[2:5], v6, s[8:11], 16 offen
	;;#ASMSTART
	s_nop 0
	;;#ASMEND
.LBB828_15:
	s_or_b64 exec, exec, s[14:15]
	s_cbranch_execnz .LBB828_11
.LBB828_16:
	s_load_dwordx4 s[24:27], s[4:5], 0x70
	s_waitcnt vmcnt(0)
	v_mov_b32_e32 v2, 0
	s_and_saveexec_b64 s[14:15], s[2:3]
	s_cbranch_execz .LBB828_18
; %bb.17:
	s_load_dwordx2 s[8:9], s[4:5], 0x10
	s_waitcnt lgkmcnt(0)
	s_mul_hi_i32 s35, s27, s6
	s_mul_i32 s34, s27, s6
	s_lshl_b64 s[34:35], s[34:35], 1
	s_mov_b32 s16, 0x7060302
	s_add_u32 s8, s8, s34
	s_addc_u32 s9, s9, s35
	s_mov_b32 s11, 0x20000
	s_and_b32 s9, s9, 0xffff
	v_perm_b32 v5, v29, v28, s16
	v_perm_b32 v4, v21, v20, s16
	;; [unrolled: 1-line block ×4, first 2 shown]
	v_lshlrev_b32_e32 v6, 5, v0
	buffer_store_dwordx4 v[2:5], v6, s[8:11], 0 offen
	;;#ASMSTART
	s_nop 0
	;;#ASMEND
	s_nop 0
	v_perm_b32 v5, v27, v26, s16
	v_perm_b32 v4, v31, v30, s16
	;; [unrolled: 1-line block ×4, first 2 shown]
	buffer_store_dwordx4 v[2:5], v6, s[8:11], 16 offen
	;;#ASMSTART
	s_nop 0
	;;#ASMEND
	s_nop 0
	v_mov_b32_e32 v2, 0x2edbe6ff
.LBB828_18:
	s_or_b64 exec, exec, s[14:15]
	s_and_saveexec_b64 s[8:9], s[2:3]
	s_cbranch_execz .LBB828_20
; %bb.19:
	v_and_b32_e32 v3, 0x7fffffff, v18
	v_and_b32_e32 v4, 0x7fffffff, v19
	;;#ASMSTART
	v_max3_f32 v2, v2, v3, v4

	;;#ASMEND
	v_and_b32_e32 v3, 0x7fffffff, v22
	v_and_b32_e32 v4, 0x7fffffff, v23
	;;#ASMSTART
	v_max3_f32 v2, v2, v3, v4

	;;#ASMEND
	;; [unrolled: 6-line block ×8, first 2 shown]
.LBB828_20:
	s_or_b64 exec, exec, s[8:9]
	v_cmp_eq_u32_e32 vcc, 0, v10
	v_cmp_gt_i32_e64 s[8:9], s19, v1
	s_and_b64 s[10:11], vcc, s[8:9]
	;;#ASMSTART
	v_max_f32 v3, v2, v2 quad_perm:[1,0,3,2] row_mask:0xf bank_mask:0xf bound_ctrl:1
	;;#ASMEND
	;;#ASMSTART
	v_max_f32 v2, v3, v3 quad_perm:[2,3,0,1] row_mask:0xf bank_mask:0xf bound_ctrl:1
	;;#ASMEND
	s_and_saveexec_b64 s[8:9], s[10:11]
	s_cbranch_execz .LBB828_22
; %bb.21:
	s_load_dwordx2 s[10:11], s[4:5], 0x8
	v_mul_f32_e32 v2, 0x3e2aaaab, v2
	v_lshrrev_b32_e32 v3, 23, v2
	v_and_b32_e32 v4, 0x7f800000, v2
	v_and_b32_e32 v2, 0x7fffff, v2
	v_cmp_ne_u32_e32 vcc, 0, v2
	s_waitcnt lgkmcnt(0)
	s_mul_i32 s16, s25, s6
	s_mov_b32 s14, 0x7f800000
	v_addc_co_u32_e32 v2, vcc, 0, v3, vcc
	s_mul_hi_i32 s15, s25, s6
	s_add_u32 s10, s10, s16
	v_cmp_ne_u32_e32 vcc, s14, v4
	s_addc_u32 s11, s11, s15
	v_lshrrev_b32_e32 v5, 2, v0
	v_cndmask_b32_e32 v4, -1, v2, vcc
	v_pk_mov_b32 v[2:3], s[10:11], s[10:11] op_sel:[0,1]
	v_mad_i64_i32 v[2:3], s[10:11], s26, v5, v[2:3]
	global_store_byte v[2:3], v4, off
.LBB828_22:
	s_or_b64 exec, exec, s[8:9]
	s_and_saveexec_b64 s[8:9], s[2:3]
	s_cbranch_execz .LBB828_24
; %bb.23:
	s_load_dwordx2 s[2:3], s[4:5], 0x0
	s_waitcnt lgkmcnt(0)
	s_mul_i32 s11, s24, s6
	s_mul_hi_i32 s10, s24, s6
	v_mov_b32_e32 v2, 0
	v_lshlrev_b32_e32 v4, 3, v0
	s_add_u32 s24, s2, s11
	s_addc_u32 s2, s3, s10
	s_lshr_b32 s3, s19, 31
	s_add_i32 s3, s19, s3
	s_ashr_i32 s3, s3, 1
	s_add_i32 s3, s3, 3
	s_ashr_i32 s10, s3, 31
	s_lshr_b32 s10, s10, 30
	s_add_i32 s3, s3, s10
	s_and_b32 s26, s3, -4
	s_and_b32 s25, s2, 0xffff
	s_mov_b32 s27, 0x20000
	v_mov_b32_e32 v3, v2
	buffer_store_dwordx2 v[2:3], v4, s[24:27], 0 offen
	;;#ASMSTART
	s_nop 0
	;;#ASMEND
.LBB828_24:
	s_or_b64 exec, exec, s[8:9]
	s_cmp_lt_i32 s20, 1
	s_cbranch_scc1 .LBB828_12
.LBB828_25:
	s_load_dword s2, s[4:5], 0x94
	s_waitcnt lgkmcnt(0)
	s_cmp_lg_u32 s2, 1
	s_cbranch_scc1 .LBB828_12
; %bb.26:
	s_lshl_b32 s2, s20, 1
	s_add_i32 s2, s2, 2
	v_cmp_gt_u32_e32 vcc, s20, v1
	s_and_b32 s14, s2, -4
	v_mov_b32_e32 v18, 0
	v_lshlrev_b32_e32 v1, 5, v0
	v_mov_b32_e32 v14, 0
	v_mov_b32_e32 v15, 0
	;; [unrolled: 1-line block ×8, first 2 shown]
	s_waitcnt vmcnt(1)
	v_mov_b32_e32 v6, 0
	v_mov_b32_e32 v7, 0
	;; [unrolled: 1-line block ×4, first 2 shown]
	s_waitcnt vmcnt(0)
	v_mov_b32_e32 v2, 0
	v_mov_b32_e32 v3, 0
	v_mov_b32_e32 v4, 0
	v_mov_b32_e32 v5, 0
	s_barrier
	s_and_saveexec_b64 s[2:3], vcc
	s_cbranch_execz .LBB828_28
; %bb.27:
	s_mul_hi_i32 s5, s22, s6
	s_mul_i32 s4, s22, s6
	s_and_b32 s13, s13, 0xffff
	s_lshl_b64 s[4:5], s[4:5], 1
	s_add_u32 s8, s30, s4
	s_mov_b32 s15, 0x20000
	s_addc_u32 s4, s31, s5
	s_and_b32 s9, s4, 0xffff
	s_mov_b32 s10, s14
	s_mov_b32 s11, s15
	buffer_load_dwordx4 v[14:17], v1, s[8:11], 0 offen
	buffer_load_dwordx4 v[10:13], v1, s[8:11], 16 offen
	buffer_load_dwordx4 v[6:9], v1, s[12:15], 0 offen
	buffer_load_dwordx4 v[2:5], v1, s[12:15], 16 offen
.LBB828_28:
	s_or_b64 exec, exec, s[2:3]
	v_mov_b32_e32 v19, 0
	v_mov_b32_e32 v32, 0
	;; [unrolled: 1-line block ×15, first 2 shown]
	s_and_saveexec_b64 s[2:3], vcc
	s_cbranch_execz .LBB828_30
; %bb.29:
	s_waitcnt vmcnt(3)
	v_cvt_f32_u32_sdwa v18, v14 dst_sel:DWORD dst_unused:UNUSED_PAD src0_sel:WORD_0
	v_cvt_f32_u32_sdwa v19, v14 dst_sel:DWORD dst_unused:UNUSED_PAD src0_sel:WORD_1
	v_cvt_f32_u32_sdwa v32, v15 dst_sel:DWORD dst_unused:UNUSED_PAD src0_sel:WORD_0
	v_cvt_f32_u32_sdwa v33, v15 dst_sel:DWORD dst_unused:UNUSED_PAD src0_sel:WORD_1
	;; [unrolled: 2-line block ×4, first 2 shown]
	s_waitcnt vmcnt(2)
	v_cvt_f32_u32_sdwa v26, v10 dst_sel:DWORD dst_unused:UNUSED_PAD src0_sel:WORD_0
	v_cvt_f32_u32_sdwa v27, v10 dst_sel:DWORD dst_unused:UNUSED_PAD src0_sel:WORD_1
	v_cvt_f32_u32_sdwa v24, v11 dst_sel:DWORD dst_unused:UNUSED_PAD src0_sel:WORD_0
	v_cvt_f32_u32_sdwa v25, v11 dst_sel:DWORD dst_unused:UNUSED_PAD src0_sel:WORD_1
	;; [unrolled: 2-line block ×4, first 2 shown]
.LBB828_30:
	s_or_b64 exec, exec, s[2:3]
	s_waitcnt vmcnt(2)
	v_mul_f32_e32 v10, v19, v19
	v_fmac_f32_e32 v10, v18, v18
	v_fmac_f32_e32 v10, v32, v32
	;; [unrolled: 1-line block ×15, first 2 shown]
	s_nop 1
	v_mov_b32_dpp v11, v10 quad_perm:[1,0,3,2] row_mask:0xf bank_mask:0xf
	v_add_f32_e32 v10, v10, v11
	s_nop 1
	v_mov_b32_dpp v11, v10 quad_perm:[2,3,0,1] row_mask:0xf bank_mask:0xf
	v_add_f32_e32 v10, v10, v11
	s_nop 1
	v_mov_b32_dpp v11, v10 row_half_mirror row_mask:0xf bank_mask:0xf
	v_add_f32_e32 v10, v10, v11
	s_nop 1
	v_mov_b32_dpp v11, v10 row_mirror row_mask:0xf bank_mask:0xf
	v_add_f32_e32 v10, v10, v11
	s_nop 1
	v_mov_b32_dpp v11, v10 row_bcast:15 row_mask:0xf bank_mask:0xf
	v_add_f32_e32 v10, v10, v11
	s_nop 1
	v_mov_b32_dpp v11, v10 row_bcast:31 row_mask:0xf bank_mask:0xf
	s_and_saveexec_b64 s[2:3], s[0:1]
	s_cbranch_execz .LBB828_32
; %bb.31:
	v_lshrrev_b32_e32 v0, 4, v0
	v_add_f32_e32 v10, v10, v11
	v_and_b32_e32 v0, 60, v0
	ds_write_b32 v0, v10
.LBB828_32:
	s_or_b64 exec, exec, s[2:3]
	s_waitcnt lgkmcnt(0)
	s_barrier
	ds_read_b32 v0, v34
	s_waitcnt lgkmcnt(0)
	s_nop 0
	v_mov_b32_dpp v10, v0 quad_perm:[1,0,3,2] row_mask:0xf bank_mask:0xf
	v_add_f32_e32 v0, v0, v10
	s_nop 1
	v_mov_b32_dpp v10, v0 quad_perm:[2,3,0,1] row_mask:0xf bank_mask:0xf
	s_and_saveexec_b64 s[0:1], vcc
	s_cbranch_execz .LBB828_12
; %bb.33:
	v_cvt_f32_u32_e32 v11, s20
	v_add_f32_e32 v0, v0, v10
	s_mov_b32 s15, 0x20000
	v_div_scale_f32 v10, s[0:1], v11, v11, v0
	v_rcp_f32_e32 v12, v10
	v_div_scale_f32 v13, vcc, v0, v11, v0
	s_mov_b32 s0, 0x800000
	v_fma_f32 v14, -v10, v12, 1.0
	v_fmac_f32_e32 v12, v14, v12
	v_mul_f32_e32 v14, v13, v12
	v_fma_f32 v15, -v10, v14, v13
	v_fmac_f32_e32 v14, v15, v12
	v_fma_f32 v10, -v10, v14, v13
	v_div_fmas_f32 v10, v10, v12, v14
	v_div_fixup_f32 v0, v10, v11, v0
	v_add_f32_e32 v0, s17, v0
	v_mul_f32_e32 v10, 0x4b800000, v0
	v_cmp_gt_f32_e32 vcc, s0, v0
	v_cndmask_b32_e32 v0, v0, v10, vcc
	v_rsq_f32_e32 v0, v0
	s_mul_hi_i32 s1, s7, s6
	s_mul_i32 s0, s7, s6
	s_lshl_b64 s[0:1], s[0:1], 1
	v_mul_f32_e32 v10, 0x45800000, v0
	v_cndmask_b32_e32 v10, v0, v10, vcc
	v_mov_b32_e32 v11, v10
	;;#ASMSTART
	v_pk_mul_f32 v[12:13], v[18:19], v[10:11]
	;;#ASMEND
	;;#ASMSTART
	v_pk_mul_f32 v[14:15], v[32:33], v[10:11]
	;;#ASMEND
	;; [unrolled: 3-line block ×4, first 2 shown]
	s_waitcnt vmcnt(1)
	v_cvt_f32_u32_sdwa v29, v6 dst_sel:DWORD dst_unused:UNUSED_PAD src0_sel:WORD_1
	v_cvt_f32_u32_sdwa v28, v6 dst_sel:DWORD dst_unused:UNUSED_PAD src0_sel:WORD_0
	v_cvt_f32_u32_sdwa v31, v7 dst_sel:DWORD dst_unused:UNUSED_PAD src0_sel:WORD_1
	v_cvt_f32_u32_sdwa v30, v7 dst_sel:DWORD dst_unused:UNUSED_PAD src0_sel:WORD_0
	;;#ASMSTART
	v_pk_mul_f32 v[26:27], v[26:27], v[10:11]
	;;#ASMEND
	;;#ASMSTART
	v_pk_mul_f32 v[24:25], v[24:25], v[10:11]
	;;#ASMEND
	;; [unrolled: 3-line block ×4, first 2 shown]
	v_cvt_f32_u32_sdwa v21, v8 dst_sel:DWORD dst_unused:UNUSED_PAD src0_sel:WORD_1
	v_cvt_f32_u32_sdwa v20, v8 dst_sel:DWORD dst_unused:UNUSED_PAD src0_sel:WORD_0
	v_pk_add_f32 v[10:11], v[28:29], 1.0 op_sel_hi:[1,0]
	;;#ASMSTART
	v_pk_mul_f32 v[10:11], v[12:13], v[10:11]
	;;#ASMEND
	v_pk_add_f32 v[12:13], v[30:31], 1.0 op_sel_hi:[1,0]
	v_cvt_f32_u32_sdwa v29, v9 dst_sel:DWORD dst_unused:UNUSED_PAD src0_sel:WORD_1
	v_cvt_f32_u32_sdwa v28, v9 dst_sel:DWORD dst_unused:UNUSED_PAD src0_sel:WORD_0
	;;#ASMSTART
	v_pk_mul_f32 v[8:9], v[14:15], v[12:13]
	;;#ASMEND
	v_pk_add_f32 v[12:13], v[20:21], 1.0 op_sel_hi:[1,0]
	;;#ASMSTART
	v_pk_mul_f32 v[12:13], v[16:17], v[12:13]
	;;#ASMEND
	s_waitcnt vmcnt(0)
	v_cvt_f32_u32_sdwa v17, v2 dst_sel:DWORD dst_unused:UNUSED_PAD src0_sel:WORD_1
	v_cvt_f32_u32_sdwa v16, v2 dst_sel:DWORD dst_unused:UNUSED_PAD src0_sel:WORD_0
	v_cvt_f32_u32_sdwa v21, v3 dst_sel:DWORD dst_unused:UNUSED_PAD src0_sel:WORD_1
	v_cvt_f32_u32_sdwa v20, v3 dst_sel:DWORD dst_unused:UNUSED_PAD src0_sel:WORD_0
	v_pk_add_f32 v[14:15], v[28:29], 1.0 op_sel_hi:[1,0]
	;;#ASMSTART
	v_pk_mul_f32 v[14:15], v[18:19], v[14:15]
	;;#ASMEND
	v_pk_add_f32 v[2:3], v[16:17], 1.0 op_sel_hi:[1,0]
	v_cvt_f32_u32_sdwa v19, v4 dst_sel:DWORD dst_unused:UNUSED_PAD src0_sel:WORD_1
	v_cvt_f32_u32_sdwa v18, v4 dst_sel:DWORD dst_unused:UNUSED_PAD src0_sel:WORD_0
	;;#ASMSTART
	v_pk_mul_f32 v[16:17], v[26:27], v[2:3]
	;;#ASMEND
	v_pk_add_f32 v[2:3], v[20:21], 1.0 op_sel_hi:[1,0]
	v_cvt_f32_u32_sdwa v21, v5 dst_sel:DWORD dst_unused:UNUSED_PAD src0_sel:WORD_1
	v_cvt_f32_u32_sdwa v20, v5 dst_sel:DWORD dst_unused:UNUSED_PAD src0_sel:WORD_0
	s_add_u32 s12, s28, s0
	;;#ASMSTART
	v_pk_mul_f32 v[24:25], v[24:25], v[2:3]
	;;#ASMEND
	v_pk_add_f32 v[2:3], v[18:19], 1.0 op_sel_hi:[1,0]
	s_addc_u32 s0, s29, s1
	;;#ASMSTART
	v_pk_mul_f32 v[18:19], v[22:23], v[2:3]
	;;#ASMEND
	v_pk_add_f32 v[2:3], v[20:21], 1.0 op_sel_hi:[1,0]
	s_and_b32 s13, s0, 0xffff
	s_mov_b32 s0, 0x7060302
	;;#ASMSTART
	v_pk_mul_f32 v[6:7], v[6:7], v[2:3]
	;;#ASMEND
	v_perm_b32 v2, v11, v10, s0
	v_perm_b32 v3, v9, v8, s0
	;; [unrolled: 1-line block ×4, first 2 shown]
	buffer_store_dwordx4 v[2:5], v1, s[12:15], 0 offen
	;;#ASMSTART
	s_nop 0
	;;#ASMEND
	s_nop 0
	v_perm_b32 v2, v17, v16, s0
	v_perm_b32 v3, v25, v24, s0
	;; [unrolled: 1-line block ×4, first 2 shown]
	buffer_store_dwordx4 v[2:5], v1, s[12:15], 16 offen
	;;#ASMSTART
	s_nop 0
	;;#ASMEND
	s_endpgm
	.section	.rodata,"a",@progbits
	.p2align	6, 0x0
	.amdhsa_kernel _ZN5aiter35fused_qk_rmsnorm_group_quant_kernelItN4opus5fp4_tELi256ELi16ELi4ELb0ELb1ELb1ELb0ELb0ELb0EEEvPT0_PvPT_S7_S7_PKS6_S9_S9_S9_S9_ffiiiiiiiiiiiii
		.amdhsa_group_segment_fixed_size 32
		.amdhsa_private_segment_fixed_size 0
		.amdhsa_kernarg_size 400
		.amdhsa_user_sgpr_count 6
		.amdhsa_user_sgpr_private_segment_buffer 1
		.amdhsa_user_sgpr_dispatch_ptr 0
		.amdhsa_user_sgpr_queue_ptr 0
		.amdhsa_user_sgpr_kernarg_segment_ptr 1
		.amdhsa_user_sgpr_dispatch_id 0
		.amdhsa_user_sgpr_flat_scratch_init 0
		.amdhsa_user_sgpr_kernarg_preload_length 0
		.amdhsa_user_sgpr_kernarg_preload_offset 0
		.amdhsa_user_sgpr_private_segment_size 0
		.amdhsa_uses_dynamic_stack 0
		.amdhsa_system_sgpr_private_segment_wavefront_offset 0
		.amdhsa_system_sgpr_workgroup_id_x 1
		.amdhsa_system_sgpr_workgroup_id_y 1
		.amdhsa_system_sgpr_workgroup_id_z 0
		.amdhsa_system_sgpr_workgroup_info 0
		.amdhsa_system_vgpr_workitem_id 0
		.amdhsa_next_free_vgpr 36
		.amdhsa_next_free_sgpr 36
		.amdhsa_accum_offset 36
		.amdhsa_reserve_vcc 1
		.amdhsa_reserve_flat_scratch 0
		.amdhsa_float_round_mode_32 0
		.amdhsa_float_round_mode_16_64 0
		.amdhsa_float_denorm_mode_32 3
		.amdhsa_float_denorm_mode_16_64 3
		.amdhsa_dx10_clamp 1
		.amdhsa_ieee_mode 1
		.amdhsa_fp16_overflow 0
		.amdhsa_tg_split 0
		.amdhsa_exception_fp_ieee_invalid_op 0
		.amdhsa_exception_fp_denorm_src 0
		.amdhsa_exception_fp_ieee_div_zero 0
		.amdhsa_exception_fp_ieee_overflow 0
		.amdhsa_exception_fp_ieee_underflow 0
		.amdhsa_exception_fp_ieee_inexact 0
		.amdhsa_exception_int_div_zero 0
	.end_amdhsa_kernel
	.section	.text._ZN5aiter35fused_qk_rmsnorm_group_quant_kernelItN4opus5fp4_tELi256ELi16ELi4ELb0ELb1ELb1ELb0ELb0ELb0EEEvPT0_PvPT_S7_S7_PKS6_S9_S9_S9_S9_ffiiiiiiiiiiiii,"axG",@progbits,_ZN5aiter35fused_qk_rmsnorm_group_quant_kernelItN4opus5fp4_tELi256ELi16ELi4ELb0ELb1ELb1ELb0ELb0ELb0EEEvPT0_PvPT_S7_S7_PKS6_S9_S9_S9_S9_ffiiiiiiiiiiiii,comdat
.Lfunc_end828:
	.size	_ZN5aiter35fused_qk_rmsnorm_group_quant_kernelItN4opus5fp4_tELi256ELi16ELi4ELb0ELb1ELb1ELb0ELb0ELb0EEEvPT0_PvPT_S7_S7_PKS6_S9_S9_S9_S9_ffiiiiiiiiiiiii, .Lfunc_end828-_ZN5aiter35fused_qk_rmsnorm_group_quant_kernelItN4opus5fp4_tELi256ELi16ELi4ELb0ELb1ELb1ELb0ELb0ELb0EEEvPT0_PvPT_S7_S7_PKS6_S9_S9_S9_S9_ffiiiiiiiiiiiii
                                        ; -- End function
	.section	.AMDGPU.csdata,"",@progbits
; Kernel info:
; codeLenInByte = 3436
; NumSgprs: 40
; NumVgprs: 36
; NumAgprs: 0
; TotalNumVgprs: 36
; ScratchSize: 0
; MemoryBound: 0
; FloatMode: 240
; IeeeMode: 1
; LDSByteSize: 32 bytes/workgroup (compile time only)
; SGPRBlocks: 4
; VGPRBlocks: 4
; NumSGPRsForWavesPerEU: 40
; NumVGPRsForWavesPerEU: 36
; AccumOffset: 36
; Occupancy: 8
; WaveLimiterHint : 0
; COMPUTE_PGM_RSRC2:SCRATCH_EN: 0
; COMPUTE_PGM_RSRC2:USER_SGPR: 6
; COMPUTE_PGM_RSRC2:TRAP_HANDLER: 0
; COMPUTE_PGM_RSRC2:TGID_X_EN: 1
; COMPUTE_PGM_RSRC2:TGID_Y_EN: 1
; COMPUTE_PGM_RSRC2:TGID_Z_EN: 0
; COMPUTE_PGM_RSRC2:TIDIG_COMP_CNT: 0
; COMPUTE_PGM_RSRC3_GFX90A:ACCUM_OFFSET: 8
; COMPUTE_PGM_RSRC3_GFX90A:TG_SPLIT: 0
	.section	.text._ZN5aiter35fused_qk_rmsnorm_group_quant_kernelIDF16_DB8_Li256ELi16ELi4ELb0ELb1ELb0ELb0ELb0ELb0EEEvPT0_PvPT_S6_S6_PKS5_S8_S8_S8_S8_ffiiiiiiiiiiiii,"axG",@progbits,_ZN5aiter35fused_qk_rmsnorm_group_quant_kernelIDF16_DB8_Li256ELi16ELi4ELb0ELb1ELb0ELb0ELb0ELb0EEEvPT0_PvPT_S6_S6_PKS5_S8_S8_S8_S8_ffiiiiiiiiiiiii,comdat
	.protected	_ZN5aiter35fused_qk_rmsnorm_group_quant_kernelIDF16_DB8_Li256ELi16ELi4ELb0ELb1ELb0ELb0ELb0ELb0EEEvPT0_PvPT_S6_S6_PKS5_S8_S8_S8_S8_ffiiiiiiiiiiiii ; -- Begin function _ZN5aiter35fused_qk_rmsnorm_group_quant_kernelIDF16_DB8_Li256ELi16ELi4ELb0ELb1ELb0ELb0ELb0ELb0EEEvPT0_PvPT_S6_S6_PKS5_S8_S8_S8_S8_ffiiiiiiiiiiiii
	.globl	_ZN5aiter35fused_qk_rmsnorm_group_quant_kernelIDF16_DB8_Li256ELi16ELi4ELb0ELb1ELb0ELb0ELb0ELb0EEEvPT0_PvPT_S6_S6_PKS5_S8_S8_S8_S8_ffiiiiiiiiiiiii
	.p2align	8
	.type	_ZN5aiter35fused_qk_rmsnorm_group_quant_kernelIDF16_DB8_Li256ELi16ELi4ELb0ELb1ELb0ELb0ELb0ELb0EEEvPT0_PvPT_S6_S6_PKS5_S8_S8_S8_S8_ffiiiiiiiiiiiii,@function
_ZN5aiter35fused_qk_rmsnorm_group_quant_kernelIDF16_DB8_Li256ELi16ELi4ELb0ELb1ELb0ELb0ELb0ELb0EEEvPT0_PvPT_S6_S6_PKS5_S8_S8_S8_S8_ffiiiiiiiiiiiii: ; @_ZN5aiter35fused_qk_rmsnorm_group_quant_kernelIDF16_DB8_Li256ELi16ELi4ELb0ELb1ELb0ELb0ELb0ELb0EEEvPT0_PvPT_S6_S6_PKS5_S8_S8_S8_S8_ffiiiiiiiiiiiii
; %bb.0:
	s_load_dwordx4 s[16:19], s[4:5], 0x50
	s_waitcnt lgkmcnt(0)
	s_cmp_ge_i32 s6, s18
	s_cbranch_scc1 .LBB829_12
; %bb.1:
	s_load_dwordx2 s[12:13], s[4:5], 0x48
	s_load_dwordx2 s[30:31], s[4:5], 0x30
	s_load_dwordx4 s[20:23], s[4:5], 0x60
	s_cmp_lg_u32 s7, 0
	s_cselect_b64 s[14:15], -1, 0
	s_cmp_eq_u32 s7, 0
	s_cselect_b64 vcc, -1, 0
	s_and_b64 s[0:1], vcc, exec
	s_waitcnt lgkmcnt(0)
	s_cselect_b32 s7, s19, s20
	s_add_i32 s0, s7, 1
	s_lshr_b32 s1, s0, 31
	s_add_i32 s0, s0, s1
	s_lshl_b32 s0, s0, 1
	v_lshlrev_b32_e32 v1, 4, v0
	s_and_b32 s10, s0, -4
	v_cmp_gt_i32_e64 s[2:3], s7, v1
	v_mov_b32_e32 v18, 0
	v_mov_b32_e32 v6, 0
	v_mov_b32_e32 v7, 0
	v_mov_b32_e32 v8, 0
	v_mov_b32_e32 v9, 0
	v_mov_b32_e32 v2, 0
	v_mov_b32_e32 v3, 0
	v_mov_b32_e32 v4, 0
	v_mov_b32_e32 v5, 0
	v_mov_b32_e32 v14, 0
	v_mov_b32_e32 v15, 0
	v_mov_b32_e32 v16, 0
	v_mov_b32_e32 v17, 0
	v_mov_b32_e32 v10, 0
	v_mov_b32_e32 v11, 0
	v_mov_b32_e32 v12, 0
	v_mov_b32_e32 v13, 0
	s_and_saveexec_b64 s[0:1], s[2:3]
	s_cbranch_execz .LBB829_3
; %bb.2:
	s_load_dwordx2 s[8:9], s[4:5], 0x28
	s_load_dwordx2 s[26:27], s[4:5], 0x40
	s_and_b64 s[24:25], vcc, exec
	s_cselect_b32 s11, s21, s22
	v_lshlrev_b32_e32 v19, 5, v0
	s_waitcnt lgkmcnt(0)
	s_cselect_b32 s18, s9, s31
	s_cselect_b32 s21, s8, s30
	s_mul_hi_i32 s9, s11, s6
	s_mul_i32 s8, s11, s6
	s_lshl_b64 s[8:9], s[8:9], 1
	s_add_u32 s24, s21, s8
	s_addc_u32 s18, s18, s9
	s_and_b64 s[8:9], vcc, exec
	s_mov_b32 s11, 0x20000
	s_cselect_b32 s8, s26, s12
	s_cselect_b32 s9, s27, s13
	s_and_b32 s25, s18, 0xffff
	s_mov_b32 s26, s10
	s_mov_b32 s27, s11
	s_and_b32 s9, s9, 0xffff
	buffer_load_dwordx4 v[14:17], v19, s[24:27], 0 offen
	buffer_load_dwordx4 v[10:13], v19, s[24:27], 16 offen
	;; [unrolled: 1-line block ×4, first 2 shown]
.LBB829_3:
	s_or_b64 exec, exec, s[0:1]
	v_mov_b32_e32 v19, 0
	v_mov_b32_e32 v32, 0
	;; [unrolled: 1-line block ×15, first 2 shown]
	s_and_saveexec_b64 s[0:1], s[2:3]
	s_cbranch_execz .LBB829_5
; %bb.4:
	s_waitcnt vmcnt(3)
	v_cvt_f32_f16_sdwa v19, v14 dst_sel:DWORD dst_unused:UNUSED_PAD src0_sel:WORD_1
	v_cvt_f32_f16_e32 v18, v14
	v_cvt_f32_f16_sdwa v33, v15 dst_sel:DWORD dst_unused:UNUSED_PAD src0_sel:WORD_1
	v_cvt_f32_f16_e32 v32, v15
	;; [unrolled: 2-line block ×4, first 2 shown]
	s_waitcnt vmcnt(2)
	v_cvt_f32_f16_sdwa v31, v10 dst_sel:DWORD dst_unused:UNUSED_PAD src0_sel:WORD_1
	v_cvt_f32_f16_e32 v30, v10
	v_cvt_f32_f16_sdwa v29, v11 dst_sel:DWORD dst_unused:UNUSED_PAD src0_sel:WORD_1
	v_cvt_f32_f16_e32 v28, v11
	;; [unrolled: 2-line block ×4, first 2 shown]
.LBB829_5:
	s_or_b64 exec, exec, s[0:1]
	s_waitcnt vmcnt(2)
	v_mul_f32_e32 v10, v19, v19
	v_fmac_f32_e32 v10, v18, v18
	v_fmac_f32_e32 v10, v32, v32
	v_fmac_f32_e32 v10, v33, v33
	v_fmac_f32_e32 v10, v26, v26
	v_fmac_f32_e32 v10, v27, v27
	v_fmac_f32_e32 v10, v24, v24
	v_fmac_f32_e32 v10, v25, v25
	v_fmac_f32_e32 v10, v30, v30
	v_fmac_f32_e32 v10, v31, v31
	v_fmac_f32_e32 v10, v28, v28
	v_fmac_f32_e32 v10, v29, v29
	v_fmac_f32_e32 v10, v22, v22
	v_fmac_f32_e32 v10, v23, v23
	v_fmac_f32_e32 v10, v20, v20
	v_fmac_f32_e32 v10, v21, v21
	v_and_b32_e32 v12, 63, v0
	v_cmp_eq_u32_e64 s[0:1], 63, v12
	v_mov_b32_dpp v11, v10 quad_perm:[1,0,3,2] row_mask:0xf bank_mask:0xf
	v_add_f32_e32 v10, v10, v11
	s_nop 1
	v_mov_b32_dpp v11, v10 quad_perm:[2,3,0,1] row_mask:0xf bank_mask:0xf
	v_add_f32_e32 v10, v10, v11
	s_nop 1
	v_mov_b32_dpp v11, v10 row_half_mirror row_mask:0xf bank_mask:0xf
	v_add_f32_e32 v10, v10, v11
	s_nop 1
	v_mov_b32_dpp v11, v10 row_mirror row_mask:0xf bank_mask:0xf
	v_add_f32_e32 v10, v10, v11
	s_nop 1
	v_mov_b32_dpp v11, v10 row_bcast:15 row_mask:0xf bank_mask:0xf
	v_add_f32_e32 v10, v10, v11
	s_nop 1
	v_mov_b32_dpp v11, v10 row_bcast:31 row_mask:0xf bank_mask:0xf
	s_and_saveexec_b64 s[8:9], s[0:1]
	s_cbranch_execz .LBB829_7
; %bb.6:
	v_add_f32_e32 v10, v10, v11
	v_lshrrev_b32_e32 v11, 4, v0
	v_and_b32_e32 v11, 60, v11
	ds_write_b32 v11, v10 offset:16
.LBB829_7:
	s_or_b64 exec, exec, s[8:9]
	v_and_b32_e32 v10, 3, v0
	v_lshlrev_b32_e32 v34, 2, v10
	s_waitcnt lgkmcnt(0)
	s_barrier
	ds_read_b32 v11, v34 offset:16
	s_load_dwordx2 s[28:29], s[4:5], 0x18
	s_waitcnt lgkmcnt(0)
	v_mov_b32_dpp v12, v11 quad_perm:[1,0,3,2] row_mask:0xf bank_mask:0xf
	v_add_f32_e32 v11, v11, v12
	s_nop 1
	v_mov_b32_dpp v12, v11 quad_perm:[2,3,0,1] row_mask:0xf bank_mask:0xf
	s_and_saveexec_b64 s[8:9], s[2:3]
	s_cbranch_execz .LBB829_9
; %bb.8:
	v_cvt_f32_u32_e32 v13, s7
	v_add_f32_e32 v11, v11, v12
	v_mov_b32_e32 v15, s17
	v_mov_b32_e32 v16, s16
	v_div_scale_f32 v12, s[24:25], v13, v13, v11
	v_rcp_f32_e32 v14, v12
	v_cndmask_b32_e32 v15, v15, v16, vcc
	s_mov_b32 s7, 0x800000
	s_waitcnt vmcnt(1)
	v_cvt_f32_f16_sdwa v37, v9 dst_sel:DWORD dst_unused:UNUSED_PAD src0_sel:WORD_1
	v_fma_f32 v16, -v12, v14, 1.0
	v_fmac_f32_e32 v14, v16, v14
	v_div_scale_f32 v16, vcc, v11, v13, v11
	v_mul_f32_e32 v17, v16, v14
	v_fma_f32 v35, -v12, v17, v16
	v_fmac_f32_e32 v17, v35, v14
	v_fma_f32 v12, -v12, v17, v16
	v_div_fmas_f32 v12, v12, v14, v17
	v_div_fixup_f32 v11, v12, v13, v11
	v_add_f32_e32 v11, v15, v11
	v_mul_f32_e32 v12, 0x4b800000, v11
	v_cmp_gt_f32_e32 vcc, s7, v11
	v_cndmask_b32_e32 v11, v11, v12, vcc
	v_rsq_f32_e32 v11, v11
	v_cvt_f32_f16_e32 v36, v9
	s_waitcnt vmcnt(0)
	v_cvt_f32_f16_sdwa v9, v3 dst_sel:DWORD dst_unused:UNUSED_PAD src0_sel:WORD_1
	v_mul_f32_e32 v12, 0x45800000, v11
	v_cndmask_b32_e32 v12, v11, v12, vcc
	v_mov_b32_e32 v13, v12
	;;#ASMSTART
	v_pk_mul_f32 v[14:15], v[18:19], v[12:13]
	;;#ASMEND
	;;#ASMSTART
	v_pk_mul_f32 v[16:17], v[32:33], v[12:13]
	;;#ASMEND
	;; [unrolled: 3-line block ×8, first 2 shown]
	v_cvt_f32_f16_sdwa v19, v6 dst_sel:DWORD dst_unused:UNUSED_PAD src0_sel:WORD_1
	v_cvt_f32_f16_e32 v18, v6
	v_cvt_f32_f16_sdwa v21, v7 dst_sel:DWORD dst_unused:UNUSED_PAD src0_sel:WORD_1
	v_cvt_f32_f16_e32 v20, v7
	;; [unrolled: 2-line block ×3, first 2 shown]
	;;#ASMSTART
	v_pk_mul_f32 v[18:19], v[14:15], v[18:19]
	;;#ASMEND
	;;#ASMSTART
	v_pk_mul_f32 v[32:33], v[16:17], v[20:21]
	;;#ASMEND
	;; [unrolled: 3-line block ×4, first 2 shown]
	v_cvt_f32_f16_sdwa v7, v2 dst_sel:DWORD dst_unused:UNUSED_PAD src0_sel:WORD_1
	v_cvt_f32_f16_e32 v6, v2
	v_cvt_f32_f16_e32 v8, v3
	v_cvt_f32_f16_sdwa v3, v4 dst_sel:DWORD dst_unused:UNUSED_PAD src0_sel:WORD_1
	v_cvt_f32_f16_e32 v2, v4
	v_cvt_f32_f16_sdwa v15, v5 dst_sel:DWORD dst_unused:UNUSED_PAD src0_sel:WORD_1
	v_cvt_f32_f16_e32 v14, v5
	;;#ASMSTART
	v_pk_mul_f32 v[30:31], v[30:31], v[6:7]
	;;#ASMEND
	;;#ASMSTART
	v_pk_mul_f32 v[28:29], v[28:29], v[8:9]
	;;#ASMEND
	;; [unrolled: 3-line block ×4, first 2 shown]
.LBB829_9:
	s_or_b64 exec, exec, s[8:9]
	s_load_dword s7, s[4:5], 0x80
	s_mov_b64 s[8:9], -1
	s_and_b64 vcc, exec, s[14:15]
	s_cbranch_vccnz .LBB829_13
; %bb.10:
	s_andn2_b64 vcc, exec, s[8:9]
	s_cbranch_vccz .LBB829_16
.LBB829_11:
	s_cmp_lt_i32 s20, 1
	s_cbranch_scc0 .LBB829_25
.LBB829_12:
	s_endpgm
.LBB829_13:
	s_and_saveexec_b64 s[14:15], s[2:3]
	s_cbranch_execz .LBB829_15
; %bb.14:
	s_waitcnt lgkmcnt(0)
	s_mul_hi_i32 s9, s7, s6
	s_mul_i32 s8, s7, s6
	s_waitcnt vmcnt(0)
	v_cvt_f16_f32_e32 v2, v18
	v_cvt_f16_f32_e32 v3, v32
	;; [unrolled: 1-line block ×8, first 2 shown]
	s_lshl_b64 s[8:9], s[8:9], 1
	s_add_u32 s8, s28, s8
	s_addc_u32 s9, s29, s9
	s_and_b32 s9, s9, 0xffff
	s_mov_b32 s11, 0x20000
	v_pack_b32_f16 v5, v5, v6
	v_pack_b32_f16 v4, v4, v7
	v_pack_b32_f16 v3, v3, v8
	v_pack_b32_f16 v2, v2, v9
	v_lshlrev_b32_e32 v6, 5, v0
	buffer_store_dwordx4 v[2:5], v6, s[8:11], 0 offen
	v_cvt_f16_f32_e32 v7, v21
	v_cvt_f16_f32_e32 v2, v30
	;; [unrolled: 1-line block ×8, first 2 shown]
	v_pack_b32_f16 v5, v5, v7
	v_pack_b32_f16 v4, v4, v8
	;; [unrolled: 1-line block ×4, first 2 shown]
	;;#ASMSTART
	s_nop 0
	;;#ASMEND
	buffer_store_dwordx4 v[2:5], v6, s[8:11], 16 offen
	;;#ASMSTART
	s_nop 0
	;;#ASMEND
.LBB829_15:
	s_or_b64 exec, exec, s[14:15]
	s_cbranch_execnz .LBB829_11
.LBB829_16:
	s_load_dwordx4 s[24:27], s[4:5], 0x70
	s_waitcnt vmcnt(0)
	v_mov_b32_e32 v2, 0
	s_and_saveexec_b64 s[14:15], s[2:3]
	s_cbranch_execz .LBB829_18
; %bb.17:
	s_load_dwordx2 s[8:9], s[4:5], 0x10
	s_waitcnt lgkmcnt(0)
	s_mul_hi_i32 s35, s27, s6
	s_mul_i32 s34, s27, s6
	v_cvt_f16_f32_e32 v2, v18
	v_cvt_f16_f32_e32 v3, v32
	;; [unrolled: 1-line block ×8, first 2 shown]
	s_lshl_b64 s[34:35], s[34:35], 1
	s_add_u32 s8, s8, s34
	s_addc_u32 s9, s9, s35
	s_mov_b32 s11, 0x20000
	s_and_b32 s9, s9, 0xffff
	v_pack_b32_f16 v5, v5, v6
	v_pack_b32_f16 v4, v4, v7
	;; [unrolled: 1-line block ×4, first 2 shown]
	v_lshlrev_b32_e32 v6, 5, v0
	buffer_store_dwordx4 v[2:5], v6, s[8:11], 0 offen
	v_cvt_f16_f32_e32 v7, v21
	v_cvt_f16_f32_e32 v2, v30
	;; [unrolled: 1-line block ×8, first 2 shown]
	v_pack_b32_f16 v5, v5, v7
	v_pack_b32_f16 v4, v4, v8
	;; [unrolled: 1-line block ×4, first 2 shown]
	;;#ASMSTART
	s_nop 0
	;;#ASMEND
	buffer_store_dwordx4 v[2:5], v6, s[8:11], 16 offen
	;;#ASMSTART
	s_nop 0
	;;#ASMEND
	s_nop 0
	v_mov_b32_e32 v2, 0x2edbe6ff
.LBB829_18:
	s_or_b64 exec, exec, s[14:15]
	s_and_saveexec_b64 s[8:9], s[2:3]
	s_cbranch_execz .LBB829_20
; %bb.19:
	v_and_b32_e32 v3, 0x7fffffff, v18
	v_and_b32_e32 v4, 0x7fffffff, v19
	;;#ASMSTART
	v_max3_f32 v2, v2, v3, v4

	;;#ASMEND
	v_and_b32_e32 v3, 0x7fffffff, v32
	v_and_b32_e32 v4, 0x7fffffff, v33
	;;#ASMSTART
	v_max3_f32 v2, v2, v3, v4

	;;#ASMEND
	;; [unrolled: 6-line block ×8, first 2 shown]
.LBB829_20:
	s_or_b64 exec, exec, s[8:9]
	;;#ASMSTART
	v_max_f32 v3, v2, v2 quad_perm:[1,0,3,2] row_mask:0xf bank_mask:0xf bound_ctrl:1
	;;#ASMEND
	;;#ASMSTART
	v_max_f32 v2, v3, v3 quad_perm:[2,3,0,1] row_mask:0xf bank_mask:0xf bound_ctrl:1
	;;#ASMEND
	v_cmp_eq_u32_e32 vcc, 0, v10
	v_cmp_gt_i32_e64 s[8:9], s19, v1
	v_mul_f32_e32 v2, 0x3b124925, v2
	s_and_b64 s[10:11], vcc, s[8:9]
	s_and_saveexec_b64 s[8:9], s[10:11]
	s_cbranch_execz .LBB829_22
; %bb.21:
	s_load_dwordx2 s[10:11], s[4:5], 0x8
	s_waitcnt lgkmcnt(0)
	s_mul_hi_i32 s15, s25, s6
	s_mul_i32 s14, s25, s6
	v_lshrrev_b32_e32 v3, 2, v0
	s_lshl_b64 s[14:15], s[14:15], 2
	v_mad_i64_i32 v[4:5], s[26:27], s26, v3, 0
	s_add_u32 s10, s10, s14
	s_addc_u32 s11, s11, s15
	v_lshlrev_b64 v[4:5], 2, v[4:5]
	v_mov_b32_e32 v3, s11
	v_add_co_u32_e32 v4, vcc, s10, v4
	v_addc_co_u32_e32 v5, vcc, v3, v5, vcc
	global_store_dword v[4:5], v2, off
.LBB829_22:
	s_or_b64 exec, exec, s[8:9]
	;;#ASMSTART
	v_rcp_f32 v2, v2
	;;#ASMEND
	s_and_saveexec_b64 s[14:15], s[2:3]
	s_cbranch_execz .LBB829_24
; %bb.23:
	s_load_dwordx2 s[2:3], s[4:5], 0x0
	s_waitcnt lgkmcnt(0)
	s_mul_i32 s8, s24, s6
	s_mul_hi_i32 s9, s24, s6
	v_mov_b32_e32 v3, v2
	;;#ASMSTART
	v_pk_mul_f32 v[4:5], v[18:19], v[2:3]
	;;#ASMEND
	s_add_u32 s8, s2, s8
	s_addc_u32 s2, s3, s9
	s_add_i32 s3, s19, 3
	s_ashr_i32 s10, s3, 31
	v_mov_b32_e32 v10, 0xc3e00000
	v_mov_b32_e32 v11, 0x43e00000
	;;#ASMSTART
	v_med3_f32 v4, v4, v10, v11
v_med3_f32 v5, v5, v10, v11
v_cvt_pk_fp8_f32 v6, v4, v5
	;;#ASMEND
	s_and_b32 s9, s2, 0xffff
	s_lshr_b32 s2, s10, 30
	;;#ASMSTART
	v_pk_mul_f32 v[4:5], v[32:33], v[2:3]
	;;#ASMEND
	s_add_i32 s3, s3, s2
	;;#ASMSTART
	v_med3_f32 v4, v4, v10, v11
v_med3_f32 v5, v5, v10, v11
v_cvt_pk_fp8_f32 v7, v4, v5
	;;#ASMEND
	s_mov_b32 s2, 0x5040100
	v_perm_b32 v4, v7, v6, s2
	s_mov_b32 s2, 0x1060504
	v_perm_b32 v4, v4, v7, s2
	;;#ASMSTART
	v_pk_mul_f32 v[6:7], v[26:27], v[2:3]
	;;#ASMEND
	v_mov_b32_e32 v5, v7
	;;#ASMSTART
	v_med3_f32 v6, v6, v10, v11
v_med3_f32 v5, v5, v10, v11
v_cvt_pk_fp8_f32 v8, v6, v5
	;;#ASMEND
	;;#ASMSTART
	v_pk_mul_f32 v[6:7], v[24:25], v[2:3]
	;;#ASMEND
	v_mov_b32_e32 v5, v7
	;;#ASMSTART
	v_med3_f32 v6, v6, v10, v11
v_med3_f32 v5, v5, v10, v11
v_cvt_pk_fp8_f32 v7, v6, v5
	;;#ASMEND
	s_mov_b32 s2, 0x1000504
	v_perm_b32 v5, v8, v7, s2
	;;#ASMSTART
	v_pk_mul_f32 v[6:7], v[30:31], v[2:3]
	;;#ASMEND
	;;#ASMSTART
	v_med3_f32 v6, v6, v10, v11
v_med3_f32 v7, v7, v10, v11
v_cvt_pk_fp8_f32 v8, v6, v7
	;;#ASMEND
	;;#ASMSTART
	v_pk_mul_f32 v[6:7], v[28:29], v[2:3]
	;;#ASMEND
	;;#ASMSTART
	v_med3_f32 v6, v6, v10, v11
v_med3_f32 v7, v7, v10, v11
v_cvt_pk_fp8_f32 v9, v6, v7
	;;#ASMEND
	v_perm_b32 v6, v8, v9, s2
	;;#ASMSTART
	v_pk_mul_f32 v[8:9], v[22:23], v[2:3]
	;;#ASMEND
	v_mov_b32_e32 v7, v9
	;;#ASMSTART
	v_med3_f32 v8, v8, v10, v11
v_med3_f32 v7, v7, v10, v11
v_cvt_pk_fp8_f32 v9, v8, v7
	;;#ASMEND
	;;#ASMSTART
	v_pk_mul_f32 v[2:3], v[20:21], v[2:3]
	;;#ASMEND
	;;#ASMSTART
	v_med3_f32 v2, v2, v10, v11
v_med3_f32 v3, v3, v10, v11
v_cvt_pk_fp8_f32 v7, v2, v3
	;;#ASMEND
	s_and_b32 s10, s3, -4
	s_mov_b32 s11, 0x20000
	v_perm_b32 v7, v9, v7, s2
	buffer_store_dwordx4 v[4:7], v1, s[8:11], 0 offen
	;;#ASMSTART
	s_nop 0
	;;#ASMEND
.LBB829_24:
	s_or_b64 exec, exec, s[14:15]
	s_cmp_lt_i32 s20, 1
	s_cbranch_scc1 .LBB829_12
.LBB829_25:
	s_load_dword s2, s[4:5], 0x94
	s_waitcnt lgkmcnt(0)
	s_cmp_lg_u32 s2, 1
	s_cbranch_scc1 .LBB829_12
; %bb.26:
	s_lshl_b32 s2, s20, 1
	s_add_i32 s2, s2, 2
	v_cmp_gt_u32_e32 vcc, s20, v1
	s_and_b32 s14, s2, -4
	v_mov_b32_e32 v18, 0
	v_lshlrev_b32_e32 v1, 5, v0
	v_mov_b32_e32 v14, 0
	v_mov_b32_e32 v15, 0
	;; [unrolled: 1-line block ×8, first 2 shown]
	s_waitcnt vmcnt(1)
	v_mov_b32_e32 v6, 0
	v_mov_b32_e32 v7, 0
	;; [unrolled: 1-line block ×4, first 2 shown]
	s_waitcnt vmcnt(0)
	v_mov_b32_e32 v2, 0
	v_mov_b32_e32 v3, 0
	;; [unrolled: 1-line block ×4, first 2 shown]
	s_barrier
	s_and_saveexec_b64 s[2:3], vcc
	s_cbranch_execz .LBB829_28
; %bb.27:
	s_mul_hi_i32 s5, s22, s6
	s_mul_i32 s4, s22, s6
	s_and_b32 s13, s13, 0xffff
	s_lshl_b64 s[4:5], s[4:5], 1
	s_add_u32 s8, s30, s4
	s_mov_b32 s15, 0x20000
	s_addc_u32 s4, s31, s5
	s_and_b32 s9, s4, 0xffff
	s_mov_b32 s10, s14
	s_mov_b32 s11, s15
	buffer_load_dwordx4 v[14:17], v1, s[8:11], 0 offen
	buffer_load_dwordx4 v[10:13], v1, s[8:11], 16 offen
	;; [unrolled: 1-line block ×4, first 2 shown]
.LBB829_28:
	s_or_b64 exec, exec, s[2:3]
	v_mov_b32_e32 v19, 0
	v_mov_b32_e32 v32, 0
	;; [unrolled: 1-line block ×15, first 2 shown]
	s_and_saveexec_b64 s[2:3], vcc
	s_cbranch_execz .LBB829_30
; %bb.29:
	s_waitcnt vmcnt(3)
	v_cvt_f32_f16_sdwa v19, v14 dst_sel:DWORD dst_unused:UNUSED_PAD src0_sel:WORD_1
	v_cvt_f32_f16_e32 v18, v14
	v_cvt_f32_f16_sdwa v33, v15 dst_sel:DWORD dst_unused:UNUSED_PAD src0_sel:WORD_1
	v_cvt_f32_f16_e32 v32, v15
	;; [unrolled: 2-line block ×4, first 2 shown]
	s_waitcnt vmcnt(2)
	v_cvt_f32_f16_sdwa v27, v10 dst_sel:DWORD dst_unused:UNUSED_PAD src0_sel:WORD_1
	v_cvt_f32_f16_e32 v26, v10
	v_cvt_f32_f16_sdwa v25, v11 dst_sel:DWORD dst_unused:UNUSED_PAD src0_sel:WORD_1
	v_cvt_f32_f16_e32 v24, v11
	;; [unrolled: 2-line block ×4, first 2 shown]
.LBB829_30:
	s_or_b64 exec, exec, s[2:3]
	s_waitcnt vmcnt(2)
	v_mul_f32_e32 v10, v19, v19
	v_fmac_f32_e32 v10, v18, v18
	v_fmac_f32_e32 v10, v32, v32
	;; [unrolled: 1-line block ×15, first 2 shown]
	s_nop 1
	v_mov_b32_dpp v11, v10 quad_perm:[1,0,3,2] row_mask:0xf bank_mask:0xf
	v_add_f32_e32 v10, v10, v11
	s_nop 1
	v_mov_b32_dpp v11, v10 quad_perm:[2,3,0,1] row_mask:0xf bank_mask:0xf
	v_add_f32_e32 v10, v10, v11
	s_nop 1
	v_mov_b32_dpp v11, v10 row_half_mirror row_mask:0xf bank_mask:0xf
	v_add_f32_e32 v10, v10, v11
	s_nop 1
	v_mov_b32_dpp v11, v10 row_mirror row_mask:0xf bank_mask:0xf
	v_add_f32_e32 v10, v10, v11
	s_nop 1
	v_mov_b32_dpp v11, v10 row_bcast:15 row_mask:0xf bank_mask:0xf
	v_add_f32_e32 v10, v10, v11
	s_nop 1
	v_mov_b32_dpp v11, v10 row_bcast:31 row_mask:0xf bank_mask:0xf
	s_and_saveexec_b64 s[2:3], s[0:1]
	s_cbranch_execz .LBB829_32
; %bb.31:
	v_lshrrev_b32_e32 v0, 4, v0
	v_add_f32_e32 v10, v10, v11
	v_and_b32_e32 v0, 60, v0
	ds_write_b32 v0, v10
.LBB829_32:
	s_or_b64 exec, exec, s[2:3]
	s_waitcnt lgkmcnt(0)
	s_barrier
	ds_read_b32 v0, v34
	s_waitcnt lgkmcnt(0)
	s_nop 0
	v_mov_b32_dpp v10, v0 quad_perm:[1,0,3,2] row_mask:0xf bank_mask:0xf
	v_add_f32_e32 v0, v0, v10
	s_nop 1
	v_mov_b32_dpp v10, v0 quad_perm:[2,3,0,1] row_mask:0xf bank_mask:0xf
	s_and_saveexec_b64 s[0:1], vcc
	s_cbranch_execz .LBB829_12
; %bb.33:
	v_cvt_f32_u32_e32 v11, s20
	v_add_f32_e32 v0, v0, v10
	s_mov_b32 s15, 0x20000
	v_div_scale_f32 v10, s[0:1], v11, v11, v0
	v_rcp_f32_e32 v12, v10
	v_div_scale_f32 v13, vcc, v0, v11, v0
	s_mov_b32 s0, 0x800000
	v_fma_f32 v14, -v10, v12, 1.0
	v_fmac_f32_e32 v12, v14, v12
	v_mul_f32_e32 v14, v13, v12
	v_fma_f32 v15, -v10, v14, v13
	v_fmac_f32_e32 v14, v15, v12
	v_fma_f32 v10, -v10, v14, v13
	v_div_fmas_f32 v10, v10, v12, v14
	v_div_fixup_f32 v0, v10, v11, v0
	v_add_f32_e32 v0, s17, v0
	v_mul_f32_e32 v10, 0x4b800000, v0
	v_cmp_gt_f32_e32 vcc, s0, v0
	v_cndmask_b32_e32 v0, v0, v10, vcc
	v_rsq_f32_e32 v0, v0
	s_mul_hi_i32 s1, s7, s6
	s_mul_i32 s0, s7, s6
	s_lshl_b64 s[0:1], s[0:1], 1
	v_mul_f32_e32 v10, 0x45800000, v0
	v_cndmask_b32_e32 v10, v0, v10, vcc
	v_mov_b32_e32 v11, v10
	;;#ASMSTART
	v_pk_mul_f32 v[12:13], v[18:19], v[10:11]
	;;#ASMEND
	;;#ASMSTART
	v_pk_mul_f32 v[14:15], v[32:33], v[10:11]
	;;#ASMEND
	;; [unrolled: 3-line block ×8, first 2 shown]
	s_waitcnt vmcnt(1)
	v_cvt_f32_f16_sdwa v21, v6 dst_sel:DWORD dst_unused:UNUSED_PAD src0_sel:WORD_1
	v_cvt_f32_f16_e32 v20, v6
	v_cvt_f32_f16_sdwa v29, v7 dst_sel:DWORD dst_unused:UNUSED_PAD src0_sel:WORD_1
	v_cvt_f32_f16_e32 v28, v7
	;; [unrolled: 2-line block ×4, first 2 shown]
	;;#ASMSTART
	v_pk_mul_f32 v[8:9], v[12:13], v[20:21]
	;;#ASMEND
	;;#ASMSTART
	v_pk_mul_f32 v[12:13], v[14:15], v[28:29]
	;;#ASMEND
	;; [unrolled: 3-line block ×4, first 2 shown]
	s_waitcnt vmcnt(0)
	v_cvt_f32_f16_sdwa v17, v2 dst_sel:DWORD dst_unused:UNUSED_PAD src0_sel:WORD_1
	v_cvt_f32_f16_e32 v16, v2
	v_cvt_f32_f16_sdwa v19, v3 dst_sel:DWORD dst_unused:UNUSED_PAD src0_sel:WORD_1
	v_cvt_f32_f16_e32 v18, v3
	v_cvt_f32_f16_sdwa v3, v4 dst_sel:DWORD dst_unused:UNUSED_PAD src0_sel:WORD_1
	v_cvt_f32_f16_e32 v2, v4
	v_cvt_f32_f16_sdwa v21, v5 dst_sel:DWORD dst_unused:UNUSED_PAD src0_sel:WORD_1
	v_cvt_f32_f16_e32 v20, v5
	;;#ASMSTART
	v_pk_mul_f32 v[16:17], v[26:27], v[16:17]
	;;#ASMEND
	;;#ASMSTART
	v_pk_mul_f32 v[18:19], v[24:25], v[18:19]
	;;#ASMEND
	;; [unrolled: 3-line block ×3, first 2 shown]
	v_cvt_f16_f32_e32 v0, v8
	v_cvt_f16_f32_e32 v2, v9
	;; [unrolled: 1-line block ×8, first 2 shown]
	s_add_u32 s12, s28, s0
	s_addc_u32 s0, s29, s1
	s_and_b32 s13, s0, 0xffff
	v_pack_b32_f16 v2, v0, v2
	v_pack_b32_f16 v3, v3, v4
	v_pack_b32_f16 v4, v5, v6
	v_pack_b32_f16 v5, v7, v8
	;;#ASMSTART
	v_pk_mul_f32 v[10:11], v[10:11], v[20:21]
	;;#ASMEND
	buffer_store_dwordx4 v[2:5], v1, s[12:15], 0 offen
	v_cvt_f16_f32_e32 v0, v16
	v_cvt_f16_f32_e32 v2, v17
	;; [unrolled: 1-line block ×8, first 2 shown]
	v_pack_b32_f16 v2, v0, v2
	v_pack_b32_f16 v3, v3, v4
	;; [unrolled: 1-line block ×4, first 2 shown]
	;;#ASMSTART
	s_nop 0
	;;#ASMEND
	buffer_store_dwordx4 v[2:5], v1, s[12:15], 16 offen
	;;#ASMSTART
	s_nop 0
	;;#ASMEND
	s_endpgm
	.section	.rodata,"a",@progbits
	.p2align	6, 0x0
	.amdhsa_kernel _ZN5aiter35fused_qk_rmsnorm_group_quant_kernelIDF16_DB8_Li256ELi16ELi4ELb0ELb1ELb0ELb0ELb0ELb0EEEvPT0_PvPT_S6_S6_PKS5_S8_S8_S8_S8_ffiiiiiiiiiiiii
		.amdhsa_group_segment_fixed_size 32
		.amdhsa_private_segment_fixed_size 0
		.amdhsa_kernarg_size 400
		.amdhsa_user_sgpr_count 6
		.amdhsa_user_sgpr_private_segment_buffer 1
		.amdhsa_user_sgpr_dispatch_ptr 0
		.amdhsa_user_sgpr_queue_ptr 0
		.amdhsa_user_sgpr_kernarg_segment_ptr 1
		.amdhsa_user_sgpr_dispatch_id 0
		.amdhsa_user_sgpr_flat_scratch_init 0
		.amdhsa_user_sgpr_kernarg_preload_length 0
		.amdhsa_user_sgpr_kernarg_preload_offset 0
		.amdhsa_user_sgpr_private_segment_size 0
		.amdhsa_uses_dynamic_stack 0
		.amdhsa_system_sgpr_private_segment_wavefront_offset 0
		.amdhsa_system_sgpr_workgroup_id_x 1
		.amdhsa_system_sgpr_workgroup_id_y 1
		.amdhsa_system_sgpr_workgroup_id_z 0
		.amdhsa_system_sgpr_workgroup_info 0
		.amdhsa_system_vgpr_workitem_id 0
		.amdhsa_next_free_vgpr 38
		.amdhsa_next_free_sgpr 36
		.amdhsa_accum_offset 40
		.amdhsa_reserve_vcc 1
		.amdhsa_reserve_flat_scratch 0
		.amdhsa_float_round_mode_32 0
		.amdhsa_float_round_mode_16_64 0
		.amdhsa_float_denorm_mode_32 3
		.amdhsa_float_denorm_mode_16_64 3
		.amdhsa_dx10_clamp 1
		.amdhsa_ieee_mode 1
		.amdhsa_fp16_overflow 0
		.amdhsa_tg_split 0
		.amdhsa_exception_fp_ieee_invalid_op 0
		.amdhsa_exception_fp_denorm_src 0
		.amdhsa_exception_fp_ieee_div_zero 0
		.amdhsa_exception_fp_ieee_overflow 0
		.amdhsa_exception_fp_ieee_underflow 0
		.amdhsa_exception_fp_ieee_inexact 0
		.amdhsa_exception_int_div_zero 0
	.end_amdhsa_kernel
	.section	.text._ZN5aiter35fused_qk_rmsnorm_group_quant_kernelIDF16_DB8_Li256ELi16ELi4ELb0ELb1ELb0ELb0ELb0ELb0EEEvPT0_PvPT_S6_S6_PKS5_S8_S8_S8_S8_ffiiiiiiiiiiiii,"axG",@progbits,_ZN5aiter35fused_qk_rmsnorm_group_quant_kernelIDF16_DB8_Li256ELi16ELi4ELb0ELb1ELb0ELb0ELb0ELb0EEEvPT0_PvPT_S6_S6_PKS5_S8_S8_S8_S8_ffiiiiiiiiiiiii,comdat
.Lfunc_end829:
	.size	_ZN5aiter35fused_qk_rmsnorm_group_quant_kernelIDF16_DB8_Li256ELi16ELi4ELb0ELb1ELb0ELb0ELb0ELb0EEEvPT0_PvPT_S6_S6_PKS5_S8_S8_S8_S8_ffiiiiiiiiiiiii, .Lfunc_end829-_ZN5aiter35fused_qk_rmsnorm_group_quant_kernelIDF16_DB8_Li256ELi16ELi4ELb0ELb1ELb0ELb0ELb0ELb0EEEvPT0_PvPT_S6_S6_PKS5_S8_S8_S8_S8_ffiiiiiiiiiiiii
                                        ; -- End function
	.section	.AMDGPU.csdata,"",@progbits
; Kernel info:
; codeLenInByte = 3644
; NumSgprs: 40
; NumVgprs: 38
; NumAgprs: 0
; TotalNumVgprs: 38
; ScratchSize: 0
; MemoryBound: 0
; FloatMode: 240
; IeeeMode: 1
; LDSByteSize: 32 bytes/workgroup (compile time only)
; SGPRBlocks: 4
; VGPRBlocks: 4
; NumSGPRsForWavesPerEU: 40
; NumVGPRsForWavesPerEU: 38
; AccumOffset: 40
; Occupancy: 8
; WaveLimiterHint : 0
; COMPUTE_PGM_RSRC2:SCRATCH_EN: 0
; COMPUTE_PGM_RSRC2:USER_SGPR: 6
; COMPUTE_PGM_RSRC2:TRAP_HANDLER: 0
; COMPUTE_PGM_RSRC2:TGID_X_EN: 1
; COMPUTE_PGM_RSRC2:TGID_Y_EN: 1
; COMPUTE_PGM_RSRC2:TGID_Z_EN: 0
; COMPUTE_PGM_RSRC2:TIDIG_COMP_CNT: 0
; COMPUTE_PGM_RSRC3_GFX90A:ACCUM_OFFSET: 9
; COMPUTE_PGM_RSRC3_GFX90A:TG_SPLIT: 0
	.section	.text._ZN5aiter35fused_qk_rmsnorm_group_quant_kernelItDB8_Li256ELi16ELi4ELb0ELb1ELb0ELb0ELb0ELb0EEEvPT0_PvPT_S6_S6_PKS5_S8_S8_S8_S8_ffiiiiiiiiiiiii,"axG",@progbits,_ZN5aiter35fused_qk_rmsnorm_group_quant_kernelItDB8_Li256ELi16ELi4ELb0ELb1ELb0ELb0ELb0ELb0EEEvPT0_PvPT_S6_S6_PKS5_S8_S8_S8_S8_ffiiiiiiiiiiiii,comdat
	.protected	_ZN5aiter35fused_qk_rmsnorm_group_quant_kernelItDB8_Li256ELi16ELi4ELb0ELb1ELb0ELb0ELb0ELb0EEEvPT0_PvPT_S6_S6_PKS5_S8_S8_S8_S8_ffiiiiiiiiiiiii ; -- Begin function _ZN5aiter35fused_qk_rmsnorm_group_quant_kernelItDB8_Li256ELi16ELi4ELb0ELb1ELb0ELb0ELb0ELb0EEEvPT0_PvPT_S6_S6_PKS5_S8_S8_S8_S8_ffiiiiiiiiiiiii
	.globl	_ZN5aiter35fused_qk_rmsnorm_group_quant_kernelItDB8_Li256ELi16ELi4ELb0ELb1ELb0ELb0ELb0ELb0EEEvPT0_PvPT_S6_S6_PKS5_S8_S8_S8_S8_ffiiiiiiiiiiiii
	.p2align	8
	.type	_ZN5aiter35fused_qk_rmsnorm_group_quant_kernelItDB8_Li256ELi16ELi4ELb0ELb1ELb0ELb0ELb0ELb0EEEvPT0_PvPT_S6_S6_PKS5_S8_S8_S8_S8_ffiiiiiiiiiiiii,@function
_ZN5aiter35fused_qk_rmsnorm_group_quant_kernelItDB8_Li256ELi16ELi4ELb0ELb1ELb0ELb0ELb0ELb0EEEvPT0_PvPT_S6_S6_PKS5_S8_S8_S8_S8_ffiiiiiiiiiiiii: ; @_ZN5aiter35fused_qk_rmsnorm_group_quant_kernelItDB8_Li256ELi16ELi4ELb0ELb1ELb0ELb0ELb0ELb0EEEvPT0_PvPT_S6_S6_PKS5_S8_S8_S8_S8_ffiiiiiiiiiiiii
; %bb.0:
	s_load_dwordx4 s[16:19], s[4:5], 0x50
	s_waitcnt lgkmcnt(0)
	s_cmp_ge_i32 s6, s18
	s_cbranch_scc1 .LBB830_12
; %bb.1:
	s_load_dwordx2 s[12:13], s[4:5], 0x48
	s_load_dwordx2 s[30:31], s[4:5], 0x30
	s_load_dwordx4 s[20:23], s[4:5], 0x60
	s_cmp_lg_u32 s7, 0
	s_cselect_b64 s[14:15], -1, 0
	s_cmp_eq_u32 s7, 0
	s_cselect_b64 vcc, -1, 0
	s_and_b64 s[0:1], vcc, exec
	s_waitcnt lgkmcnt(0)
	s_cselect_b32 s7, s19, s20
	s_add_i32 s0, s7, 1
	s_lshr_b32 s1, s0, 31
	s_add_i32 s0, s0, s1
	s_lshl_b32 s0, s0, 1
	v_lshlrev_b32_e32 v1, 4, v0
	s_and_b32 s10, s0, -4
	v_cmp_gt_i32_e64 s[2:3], s7, v1
	v_mov_b32_e32 v18, 0
	v_mov_b32_e32 v6, 0
	;; [unrolled: 1-line block ×17, first 2 shown]
	s_and_saveexec_b64 s[0:1], s[2:3]
	s_cbranch_execz .LBB830_3
; %bb.2:
	s_load_dwordx2 s[8:9], s[4:5], 0x28
	s_load_dwordx2 s[26:27], s[4:5], 0x40
	s_and_b64 s[24:25], vcc, exec
	s_cselect_b32 s11, s21, s22
	v_lshlrev_b32_e32 v19, 5, v0
	s_waitcnt lgkmcnt(0)
	s_cselect_b32 s18, s9, s31
	s_cselect_b32 s21, s8, s30
	s_mul_hi_i32 s9, s11, s6
	s_mul_i32 s8, s11, s6
	s_lshl_b64 s[8:9], s[8:9], 1
	s_add_u32 s24, s21, s8
	s_addc_u32 s18, s18, s9
	s_and_b64 s[8:9], vcc, exec
	s_mov_b32 s11, 0x20000
	s_cselect_b32 s8, s26, s12
	s_cselect_b32 s9, s27, s13
	s_and_b32 s25, s18, 0xffff
	s_mov_b32 s26, s10
	s_mov_b32 s27, s11
	s_and_b32 s9, s9, 0xffff
	buffer_load_dwordx4 v[14:17], v19, s[24:27], 0 offen
	buffer_load_dwordx4 v[10:13], v19, s[24:27], 16 offen
	;; [unrolled: 1-line block ×4, first 2 shown]
.LBB830_3:
	s_or_b64 exec, exec, s[0:1]
	v_mov_b32_e32 v19, 0
	v_mov_b32_e32 v32, 0
	;; [unrolled: 1-line block ×15, first 2 shown]
	s_and_saveexec_b64 s[0:1], s[2:3]
	s_cbranch_execz .LBB830_5
; %bb.4:
	s_waitcnt vmcnt(3)
	v_cvt_f32_u32_sdwa v18, v14 dst_sel:DWORD dst_unused:UNUSED_PAD src0_sel:WORD_0
	v_cvt_f32_u32_sdwa v19, v14 dst_sel:DWORD dst_unused:UNUSED_PAD src0_sel:WORD_1
	v_cvt_f32_u32_sdwa v32, v15 dst_sel:DWORD dst_unused:UNUSED_PAD src0_sel:WORD_0
	v_cvt_f32_u32_sdwa v33, v15 dst_sel:DWORD dst_unused:UNUSED_PAD src0_sel:WORD_1
	;; [unrolled: 2-line block ×4, first 2 shown]
	s_waitcnt vmcnt(2)
	v_cvt_f32_u32_sdwa v30, v10 dst_sel:DWORD dst_unused:UNUSED_PAD src0_sel:WORD_0
	v_cvt_f32_u32_sdwa v31, v10 dst_sel:DWORD dst_unused:UNUSED_PAD src0_sel:WORD_1
	v_cvt_f32_u32_sdwa v28, v11 dst_sel:DWORD dst_unused:UNUSED_PAD src0_sel:WORD_0
	v_cvt_f32_u32_sdwa v29, v11 dst_sel:DWORD dst_unused:UNUSED_PAD src0_sel:WORD_1
	;; [unrolled: 2-line block ×4, first 2 shown]
.LBB830_5:
	s_or_b64 exec, exec, s[0:1]
	s_waitcnt vmcnt(2)
	v_mul_f32_e32 v10, v19, v19
	v_fmac_f32_e32 v10, v18, v18
	v_fmac_f32_e32 v10, v32, v32
	;; [unrolled: 1-line block ×15, first 2 shown]
	v_and_b32_e32 v12, 63, v0
	v_cmp_eq_u32_e64 s[0:1], 63, v12
	v_mov_b32_dpp v11, v10 quad_perm:[1,0,3,2] row_mask:0xf bank_mask:0xf
	v_add_f32_e32 v10, v10, v11
	s_nop 1
	v_mov_b32_dpp v11, v10 quad_perm:[2,3,0,1] row_mask:0xf bank_mask:0xf
	v_add_f32_e32 v10, v10, v11
	s_nop 1
	v_mov_b32_dpp v11, v10 row_half_mirror row_mask:0xf bank_mask:0xf
	v_add_f32_e32 v10, v10, v11
	s_nop 1
	v_mov_b32_dpp v11, v10 row_mirror row_mask:0xf bank_mask:0xf
	v_add_f32_e32 v10, v10, v11
	s_nop 1
	v_mov_b32_dpp v11, v10 row_bcast:15 row_mask:0xf bank_mask:0xf
	v_add_f32_e32 v10, v10, v11
	s_nop 1
	v_mov_b32_dpp v11, v10 row_bcast:31 row_mask:0xf bank_mask:0xf
	s_and_saveexec_b64 s[8:9], s[0:1]
	s_cbranch_execz .LBB830_7
; %bb.6:
	v_add_f32_e32 v10, v10, v11
	v_lshrrev_b32_e32 v11, 4, v0
	v_and_b32_e32 v11, 60, v11
	ds_write_b32 v11, v10 offset:16
.LBB830_7:
	s_or_b64 exec, exec, s[8:9]
	v_and_b32_e32 v10, 3, v0
	v_lshlrev_b32_e32 v34, 2, v10
	s_waitcnt lgkmcnt(0)
	s_barrier
	ds_read_b32 v11, v34 offset:16
	s_load_dwordx2 s[28:29], s[4:5], 0x18
	s_waitcnt lgkmcnt(0)
	v_mov_b32_dpp v12, v11 quad_perm:[1,0,3,2] row_mask:0xf bank_mask:0xf
	v_add_f32_e32 v11, v11, v12
	s_nop 1
	v_mov_b32_dpp v12, v11 quad_perm:[2,3,0,1] row_mask:0xf bank_mask:0xf
	s_and_saveexec_b64 s[8:9], s[2:3]
	s_cbranch_execz .LBB830_9
; %bb.8:
	v_cvt_f32_u32_e32 v13, s7
	v_add_f32_e32 v11, v11, v12
	v_mov_b32_e32 v15, s17
	v_mov_b32_e32 v16, s16
	v_div_scale_f32 v12, s[24:25], v13, v13, v11
	v_rcp_f32_e32 v14, v12
	v_cndmask_b32_e32 v15, v15, v16, vcc
	s_mov_b32 s7, 0x800000
	s_waitcnt vmcnt(1)
	v_cvt_f32_u32_sdwa v37, v9 dst_sel:DWORD dst_unused:UNUSED_PAD src0_sel:WORD_1
	v_fma_f32 v16, -v12, v14, 1.0
	v_fmac_f32_e32 v14, v16, v14
	v_div_scale_f32 v16, vcc, v11, v13, v11
	v_mul_f32_e32 v17, v16, v14
	v_fma_f32 v35, -v12, v17, v16
	v_fmac_f32_e32 v17, v35, v14
	v_fma_f32 v12, -v12, v17, v16
	v_div_fmas_f32 v12, v12, v14, v17
	v_div_fixup_f32 v11, v12, v13, v11
	v_add_f32_e32 v11, v15, v11
	v_mul_f32_e32 v12, 0x4b800000, v11
	v_cmp_gt_f32_e32 vcc, s7, v11
	v_cndmask_b32_e32 v11, v11, v12, vcc
	v_rsq_f32_e32 v11, v11
	v_cvt_f32_u32_sdwa v36, v9 dst_sel:DWORD dst_unused:UNUSED_PAD src0_sel:WORD_0
	s_waitcnt vmcnt(0)
	v_cvt_f32_u32_sdwa v9, v3 dst_sel:DWORD dst_unused:UNUSED_PAD src0_sel:WORD_1
	v_mul_f32_e32 v12, 0x45800000, v11
	v_cndmask_b32_e32 v12, v11, v12, vcc
	v_mov_b32_e32 v13, v12
	;;#ASMSTART
	v_pk_mul_f32 v[14:15], v[18:19], v[12:13]
	;;#ASMEND
	;;#ASMSTART
	v_pk_mul_f32 v[16:17], v[32:33], v[12:13]
	;;#ASMEND
	;; [unrolled: 3-line block ×8, first 2 shown]
	v_cvt_f32_u32_sdwa v19, v6 dst_sel:DWORD dst_unused:UNUSED_PAD src0_sel:WORD_1
	v_cvt_f32_u32_sdwa v18, v6 dst_sel:DWORD dst_unused:UNUSED_PAD src0_sel:WORD_0
	v_cvt_f32_u32_sdwa v21, v7 dst_sel:DWORD dst_unused:UNUSED_PAD src0_sel:WORD_1
	v_cvt_f32_u32_sdwa v20, v7 dst_sel:DWORD dst_unused:UNUSED_PAD src0_sel:WORD_0
	;; [unrolled: 2-line block ×3, first 2 shown]
	;;#ASMSTART
	v_pk_mul_f32 v[18:19], v[14:15], v[18:19]
	;;#ASMEND
	;;#ASMSTART
	v_pk_mul_f32 v[32:33], v[16:17], v[20:21]
	;;#ASMEND
	;; [unrolled: 3-line block ×4, first 2 shown]
	v_cvt_f32_u32_sdwa v7, v2 dst_sel:DWORD dst_unused:UNUSED_PAD src0_sel:WORD_1
	v_cvt_f32_u32_sdwa v6, v2 dst_sel:DWORD dst_unused:UNUSED_PAD src0_sel:WORD_0
	v_cvt_f32_u32_sdwa v8, v3 dst_sel:DWORD dst_unused:UNUSED_PAD src0_sel:WORD_0
	v_cvt_f32_u32_sdwa v3, v4 dst_sel:DWORD dst_unused:UNUSED_PAD src0_sel:WORD_1
	v_cvt_f32_u32_sdwa v2, v4 dst_sel:DWORD dst_unused:UNUSED_PAD src0_sel:WORD_0
	v_cvt_f32_u32_sdwa v15, v5 dst_sel:DWORD dst_unused:UNUSED_PAD src0_sel:WORD_1
	v_cvt_f32_u32_sdwa v14, v5 dst_sel:DWORD dst_unused:UNUSED_PAD src0_sel:WORD_0
	;;#ASMSTART
	v_pk_mul_f32 v[30:31], v[30:31], v[6:7]
	;;#ASMEND
	;;#ASMSTART
	v_pk_mul_f32 v[28:29], v[28:29], v[8:9]
	;;#ASMEND
	;; [unrolled: 3-line block ×4, first 2 shown]
.LBB830_9:
	s_or_b64 exec, exec, s[8:9]
	s_load_dword s7, s[4:5], 0x80
	s_mov_b64 s[8:9], -1
	s_and_b64 vcc, exec, s[14:15]
	s_cbranch_vccnz .LBB830_13
; %bb.10:
	s_andn2_b64 vcc, exec, s[8:9]
	s_cbranch_vccz .LBB830_16
.LBB830_11:
	s_cmp_lt_i32 s20, 1
	s_cbranch_scc0 .LBB830_25
.LBB830_12:
	s_endpgm
.LBB830_13:
	s_and_saveexec_b64 s[14:15], s[2:3]
	s_cbranch_execz .LBB830_15
; %bb.14:
	s_waitcnt lgkmcnt(0)
	s_mul_hi_i32 s9, s7, s6
	s_mul_i32 s8, s7, s6
	s_lshl_b64 s[8:9], s[8:9], 1
	s_add_u32 s8, s28, s8
	s_addc_u32 s9, s29, s9
	s_mov_b32 s16, 0x7060302
	s_and_b32 s9, s9, 0xffff
	s_mov_b32 s11, 0x20000
	s_waitcnt vmcnt(0)
	v_perm_b32 v5, v25, v24, s16
	v_perm_b32 v4, v27, v26, s16
	;; [unrolled: 1-line block ×4, first 2 shown]
	v_lshlrev_b32_e32 v6, 5, v0
	buffer_store_dwordx4 v[2:5], v6, s[8:11], 0 offen
	;;#ASMSTART
	s_nop 0
	;;#ASMEND
	s_nop 0
	v_perm_b32 v5, v21, v20, s16
	v_perm_b32 v4, v23, v22, s16
	;; [unrolled: 1-line block ×4, first 2 shown]
	buffer_store_dwordx4 v[2:5], v6, s[8:11], 16 offen
	;;#ASMSTART
	s_nop 0
	;;#ASMEND
.LBB830_15:
	s_or_b64 exec, exec, s[14:15]
	s_cbranch_execnz .LBB830_11
.LBB830_16:
	s_load_dwordx4 s[24:27], s[4:5], 0x70
	s_waitcnt vmcnt(0)
	v_mov_b32_e32 v2, 0
	s_and_saveexec_b64 s[14:15], s[2:3]
	s_cbranch_execz .LBB830_18
; %bb.17:
	s_load_dwordx2 s[8:9], s[4:5], 0x10
	s_waitcnt lgkmcnt(0)
	s_mul_hi_i32 s35, s27, s6
	s_mul_i32 s34, s27, s6
	s_lshl_b64 s[34:35], s[34:35], 1
	s_mov_b32 s16, 0x7060302
	s_add_u32 s8, s8, s34
	s_addc_u32 s9, s9, s35
	s_mov_b32 s11, 0x20000
	s_and_b32 s9, s9, 0xffff
	v_perm_b32 v5, v25, v24, s16
	v_perm_b32 v4, v27, v26, s16
	v_perm_b32 v3, v33, v32, s16
	v_perm_b32 v2, v19, v18, s16
	v_lshlrev_b32_e32 v6, 5, v0
	buffer_store_dwordx4 v[2:5], v6, s[8:11], 0 offen
	;;#ASMSTART
	s_nop 0
	;;#ASMEND
	s_nop 0
	v_perm_b32 v5, v21, v20, s16
	v_perm_b32 v4, v23, v22, s16
	v_perm_b32 v3, v29, v28, s16
	v_perm_b32 v2, v31, v30, s16
	buffer_store_dwordx4 v[2:5], v6, s[8:11], 16 offen
	;;#ASMSTART
	s_nop 0
	;;#ASMEND
	s_nop 0
	v_mov_b32_e32 v2, 0x2edbe6ff
.LBB830_18:
	s_or_b64 exec, exec, s[14:15]
	s_and_saveexec_b64 s[8:9], s[2:3]
	s_cbranch_execz .LBB830_20
; %bb.19:
	v_and_b32_e32 v3, 0x7fffffff, v18
	v_and_b32_e32 v4, 0x7fffffff, v19
	;;#ASMSTART
	v_max3_f32 v2, v2, v3, v4

	;;#ASMEND
	v_and_b32_e32 v3, 0x7fffffff, v32
	v_and_b32_e32 v4, 0x7fffffff, v33
	;;#ASMSTART
	v_max3_f32 v2, v2, v3, v4

	;;#ASMEND
	;; [unrolled: 6-line block ×8, first 2 shown]
.LBB830_20:
	s_or_b64 exec, exec, s[8:9]
	;;#ASMSTART
	v_max_f32 v3, v2, v2 quad_perm:[1,0,3,2] row_mask:0xf bank_mask:0xf bound_ctrl:1
	;;#ASMEND
	;;#ASMSTART
	v_max_f32 v2, v3, v3 quad_perm:[2,3,0,1] row_mask:0xf bank_mask:0xf bound_ctrl:1
	;;#ASMEND
	v_cmp_eq_u32_e32 vcc, 0, v10
	v_cmp_gt_i32_e64 s[8:9], s19, v1
	v_mul_f32_e32 v2, 0x3b124925, v2
	s_and_b64 s[10:11], vcc, s[8:9]
	s_and_saveexec_b64 s[8:9], s[10:11]
	s_cbranch_execz .LBB830_22
; %bb.21:
	s_load_dwordx2 s[10:11], s[4:5], 0x8
	s_waitcnt lgkmcnt(0)
	s_mul_hi_i32 s15, s25, s6
	s_mul_i32 s14, s25, s6
	v_lshrrev_b32_e32 v3, 2, v0
	s_lshl_b64 s[14:15], s[14:15], 2
	v_mad_i64_i32 v[4:5], s[26:27], s26, v3, 0
	s_add_u32 s10, s10, s14
	s_addc_u32 s11, s11, s15
	v_lshlrev_b64 v[4:5], 2, v[4:5]
	v_mov_b32_e32 v3, s11
	v_add_co_u32_e32 v4, vcc, s10, v4
	v_addc_co_u32_e32 v5, vcc, v3, v5, vcc
	global_store_dword v[4:5], v2, off
.LBB830_22:
	s_or_b64 exec, exec, s[8:9]
	;;#ASMSTART
	v_rcp_f32 v2, v2
	;;#ASMEND
	s_and_saveexec_b64 s[14:15], s[2:3]
	s_cbranch_execz .LBB830_24
; %bb.23:
	s_load_dwordx2 s[2:3], s[4:5], 0x0
	s_waitcnt lgkmcnt(0)
	s_mul_i32 s8, s24, s6
	s_mul_hi_i32 s9, s24, s6
	v_mov_b32_e32 v3, v2
	;;#ASMSTART
	v_pk_mul_f32 v[4:5], v[18:19], v[2:3]
	;;#ASMEND
	s_add_u32 s8, s2, s8
	s_addc_u32 s2, s3, s9
	s_add_i32 s3, s19, 3
	s_ashr_i32 s10, s3, 31
	v_mov_b32_e32 v10, 0xc3e00000
	v_mov_b32_e32 v11, 0x43e00000
	;;#ASMSTART
	v_med3_f32 v4, v4, v10, v11
v_med3_f32 v5, v5, v10, v11
v_cvt_pk_fp8_f32 v6, v4, v5
	;;#ASMEND
	s_and_b32 s9, s2, 0xffff
	s_lshr_b32 s2, s10, 30
	;;#ASMSTART
	v_pk_mul_f32 v[4:5], v[32:33], v[2:3]
	;;#ASMEND
	s_add_i32 s3, s3, s2
	;;#ASMSTART
	v_med3_f32 v4, v4, v10, v11
v_med3_f32 v5, v5, v10, v11
v_cvt_pk_fp8_f32 v7, v4, v5
	;;#ASMEND
	s_mov_b32 s2, 0x5040100
	v_perm_b32 v4, v7, v6, s2
	s_mov_b32 s2, 0x1060504
	v_perm_b32 v4, v4, v7, s2
	;;#ASMSTART
	v_pk_mul_f32 v[6:7], v[26:27], v[2:3]
	;;#ASMEND
	v_mov_b32_e32 v5, v7
	;;#ASMSTART
	v_med3_f32 v6, v6, v10, v11
v_med3_f32 v5, v5, v10, v11
v_cvt_pk_fp8_f32 v8, v6, v5
	;;#ASMEND
	;;#ASMSTART
	v_pk_mul_f32 v[6:7], v[24:25], v[2:3]
	;;#ASMEND
	v_mov_b32_e32 v5, v7
	;;#ASMSTART
	v_med3_f32 v6, v6, v10, v11
v_med3_f32 v5, v5, v10, v11
v_cvt_pk_fp8_f32 v7, v6, v5
	;;#ASMEND
	s_mov_b32 s2, 0x1000504
	v_perm_b32 v5, v8, v7, s2
	;;#ASMSTART
	v_pk_mul_f32 v[6:7], v[30:31], v[2:3]
	;;#ASMEND
	;;#ASMSTART
	v_med3_f32 v6, v6, v10, v11
v_med3_f32 v7, v7, v10, v11
v_cvt_pk_fp8_f32 v8, v6, v7
	;;#ASMEND
	;;#ASMSTART
	v_pk_mul_f32 v[6:7], v[28:29], v[2:3]
	;;#ASMEND
	;;#ASMSTART
	v_med3_f32 v6, v6, v10, v11
v_med3_f32 v7, v7, v10, v11
v_cvt_pk_fp8_f32 v9, v6, v7
	;;#ASMEND
	v_perm_b32 v6, v8, v9, s2
	;;#ASMSTART
	v_pk_mul_f32 v[8:9], v[22:23], v[2:3]
	;;#ASMEND
	v_mov_b32_e32 v7, v9
	;;#ASMSTART
	v_med3_f32 v8, v8, v10, v11
v_med3_f32 v7, v7, v10, v11
v_cvt_pk_fp8_f32 v9, v8, v7
	;;#ASMEND
	;;#ASMSTART
	v_pk_mul_f32 v[2:3], v[20:21], v[2:3]
	;;#ASMEND
	;;#ASMSTART
	v_med3_f32 v2, v2, v10, v11
v_med3_f32 v3, v3, v10, v11
v_cvt_pk_fp8_f32 v7, v2, v3
	;;#ASMEND
	s_and_b32 s10, s3, -4
	s_mov_b32 s11, 0x20000
	v_perm_b32 v7, v9, v7, s2
	buffer_store_dwordx4 v[4:7], v1, s[8:11], 0 offen
	;;#ASMSTART
	s_nop 0
	;;#ASMEND
.LBB830_24:
	s_or_b64 exec, exec, s[14:15]
	s_cmp_lt_i32 s20, 1
	s_cbranch_scc1 .LBB830_12
.LBB830_25:
	s_load_dword s2, s[4:5], 0x94
	s_waitcnt lgkmcnt(0)
	s_cmp_lg_u32 s2, 1
	s_cbranch_scc1 .LBB830_12
; %bb.26:
	s_lshl_b32 s2, s20, 1
	s_add_i32 s2, s2, 2
	v_cmp_gt_u32_e32 vcc, s20, v1
	s_and_b32 s14, s2, -4
	v_mov_b32_e32 v18, 0
	v_lshlrev_b32_e32 v1, 5, v0
	v_mov_b32_e32 v14, 0
	v_mov_b32_e32 v15, 0
	;; [unrolled: 1-line block ×8, first 2 shown]
	s_waitcnt vmcnt(1)
	v_mov_b32_e32 v6, 0
	v_mov_b32_e32 v7, 0
	;; [unrolled: 1-line block ×4, first 2 shown]
	s_waitcnt vmcnt(0)
	v_mov_b32_e32 v2, 0
	v_mov_b32_e32 v3, 0
	;; [unrolled: 1-line block ×4, first 2 shown]
	s_barrier
	s_and_saveexec_b64 s[2:3], vcc
	s_cbranch_execz .LBB830_28
; %bb.27:
	s_mul_hi_i32 s5, s22, s6
	s_mul_i32 s4, s22, s6
	s_and_b32 s13, s13, 0xffff
	s_lshl_b64 s[4:5], s[4:5], 1
	s_add_u32 s8, s30, s4
	s_mov_b32 s15, 0x20000
	s_addc_u32 s4, s31, s5
	s_and_b32 s9, s4, 0xffff
	s_mov_b32 s10, s14
	s_mov_b32 s11, s15
	buffer_load_dwordx4 v[14:17], v1, s[8:11], 0 offen
	buffer_load_dwordx4 v[10:13], v1, s[8:11], 16 offen
	;; [unrolled: 1-line block ×4, first 2 shown]
.LBB830_28:
	s_or_b64 exec, exec, s[2:3]
	v_mov_b32_e32 v19, 0
	v_mov_b32_e32 v32, 0
	;; [unrolled: 1-line block ×15, first 2 shown]
	s_and_saveexec_b64 s[2:3], vcc
	s_cbranch_execz .LBB830_30
; %bb.29:
	s_waitcnt vmcnt(3)
	v_cvt_f32_u32_sdwa v18, v14 dst_sel:DWORD dst_unused:UNUSED_PAD src0_sel:WORD_0
	v_cvt_f32_u32_sdwa v19, v14 dst_sel:DWORD dst_unused:UNUSED_PAD src0_sel:WORD_1
	v_cvt_f32_u32_sdwa v32, v15 dst_sel:DWORD dst_unused:UNUSED_PAD src0_sel:WORD_0
	v_cvt_f32_u32_sdwa v33, v15 dst_sel:DWORD dst_unused:UNUSED_PAD src0_sel:WORD_1
	;; [unrolled: 2-line block ×4, first 2 shown]
	s_waitcnt vmcnt(2)
	v_cvt_f32_u32_sdwa v26, v10 dst_sel:DWORD dst_unused:UNUSED_PAD src0_sel:WORD_0
	v_cvt_f32_u32_sdwa v27, v10 dst_sel:DWORD dst_unused:UNUSED_PAD src0_sel:WORD_1
	v_cvt_f32_u32_sdwa v24, v11 dst_sel:DWORD dst_unused:UNUSED_PAD src0_sel:WORD_0
	v_cvt_f32_u32_sdwa v25, v11 dst_sel:DWORD dst_unused:UNUSED_PAD src0_sel:WORD_1
	;; [unrolled: 2-line block ×4, first 2 shown]
.LBB830_30:
	s_or_b64 exec, exec, s[2:3]
	s_waitcnt vmcnt(2)
	v_mul_f32_e32 v10, v19, v19
	v_fmac_f32_e32 v10, v18, v18
	v_fmac_f32_e32 v10, v32, v32
	;; [unrolled: 1-line block ×15, first 2 shown]
	s_nop 1
	v_mov_b32_dpp v11, v10 quad_perm:[1,0,3,2] row_mask:0xf bank_mask:0xf
	v_add_f32_e32 v10, v10, v11
	s_nop 1
	v_mov_b32_dpp v11, v10 quad_perm:[2,3,0,1] row_mask:0xf bank_mask:0xf
	v_add_f32_e32 v10, v10, v11
	s_nop 1
	v_mov_b32_dpp v11, v10 row_half_mirror row_mask:0xf bank_mask:0xf
	v_add_f32_e32 v10, v10, v11
	s_nop 1
	v_mov_b32_dpp v11, v10 row_mirror row_mask:0xf bank_mask:0xf
	v_add_f32_e32 v10, v10, v11
	s_nop 1
	v_mov_b32_dpp v11, v10 row_bcast:15 row_mask:0xf bank_mask:0xf
	v_add_f32_e32 v10, v10, v11
	s_nop 1
	v_mov_b32_dpp v11, v10 row_bcast:31 row_mask:0xf bank_mask:0xf
	s_and_saveexec_b64 s[2:3], s[0:1]
	s_cbranch_execz .LBB830_32
; %bb.31:
	v_lshrrev_b32_e32 v0, 4, v0
	v_add_f32_e32 v10, v10, v11
	v_and_b32_e32 v0, 60, v0
	ds_write_b32 v0, v10
.LBB830_32:
	s_or_b64 exec, exec, s[2:3]
	s_waitcnt lgkmcnt(0)
	s_barrier
	ds_read_b32 v0, v34
	s_waitcnt lgkmcnt(0)
	s_nop 0
	v_mov_b32_dpp v10, v0 quad_perm:[1,0,3,2] row_mask:0xf bank_mask:0xf
	v_add_f32_e32 v0, v0, v10
	s_nop 1
	v_mov_b32_dpp v10, v0 quad_perm:[2,3,0,1] row_mask:0xf bank_mask:0xf
	s_and_saveexec_b64 s[0:1], vcc
	s_cbranch_execz .LBB830_12
; %bb.33:
	v_cvt_f32_u32_e32 v11, s20
	v_add_f32_e32 v0, v0, v10
	s_mov_b32 s15, 0x20000
	v_div_scale_f32 v10, s[0:1], v11, v11, v0
	v_rcp_f32_e32 v12, v10
	v_div_scale_f32 v13, vcc, v0, v11, v0
	s_mov_b32 s0, 0x800000
	v_fma_f32 v14, -v10, v12, 1.0
	v_fmac_f32_e32 v12, v14, v12
	v_mul_f32_e32 v14, v13, v12
	v_fma_f32 v15, -v10, v14, v13
	v_fmac_f32_e32 v14, v15, v12
	v_fma_f32 v10, -v10, v14, v13
	v_div_fmas_f32 v10, v10, v12, v14
	v_div_fixup_f32 v0, v10, v11, v0
	v_add_f32_e32 v0, s17, v0
	v_mul_f32_e32 v10, 0x4b800000, v0
	v_cmp_gt_f32_e32 vcc, s0, v0
	v_cndmask_b32_e32 v0, v0, v10, vcc
	v_rsq_f32_e32 v0, v0
	s_mul_hi_i32 s1, s7, s6
	s_mul_i32 s0, s7, s6
	s_lshl_b64 s[0:1], s[0:1], 1
	v_mul_f32_e32 v10, 0x45800000, v0
	v_cndmask_b32_e32 v10, v0, v10, vcc
	v_mov_b32_e32 v11, v10
	s_add_u32 s12, s28, s0
	;;#ASMSTART
	v_pk_mul_f32 v[12:13], v[18:19], v[10:11]
	;;#ASMEND
	;;#ASMSTART
	v_pk_mul_f32 v[14:15], v[32:33], v[10:11]
	;;#ASMEND
	;; [unrolled: 3-line block ×8, first 2 shown]
	s_waitcnt vmcnt(1)
	v_cvt_f32_u32_sdwa v21, v6 dst_sel:DWORD dst_unused:UNUSED_PAD src0_sel:WORD_1
	v_cvt_f32_u32_sdwa v20, v6 dst_sel:DWORD dst_unused:UNUSED_PAD src0_sel:WORD_0
	v_cvt_f32_u32_sdwa v29, v7 dst_sel:DWORD dst_unused:UNUSED_PAD src0_sel:WORD_1
	v_cvt_f32_u32_sdwa v28, v7 dst_sel:DWORD dst_unused:UNUSED_PAD src0_sel:WORD_0
	;; [unrolled: 2-line block ×3, first 2 shown]
	s_addc_u32 s0, s29, s1
	v_cvt_f32_u32_sdwa v31, v9 dst_sel:DWORD dst_unused:UNUSED_PAD src0_sel:WORD_1
	v_cvt_f32_u32_sdwa v30, v9 dst_sel:DWORD dst_unused:UNUSED_PAD src0_sel:WORD_0
	;;#ASMSTART
	v_pk_mul_f32 v[8:9], v[12:13], v[20:21]
	;;#ASMEND
	;;#ASMSTART
	v_pk_mul_f32 v[12:13], v[14:15], v[28:29]
	;;#ASMEND
	;;#ASMSTART
	v_pk_mul_f32 v[6:7], v[16:17], v[6:7]
	;;#ASMEND
	;;#ASMSTART
	v_pk_mul_f32 v[14:15], v[18:19], v[30:31]
	;;#ASMEND
	s_waitcnt vmcnt(0)
	v_cvt_f32_u32_sdwa v17, v2 dst_sel:DWORD dst_unused:UNUSED_PAD src0_sel:WORD_1
	v_cvt_f32_u32_sdwa v16, v2 dst_sel:DWORD dst_unused:UNUSED_PAD src0_sel:WORD_0
	v_cvt_f32_u32_sdwa v19, v3 dst_sel:DWORD dst_unused:UNUSED_PAD src0_sel:WORD_1
	v_cvt_f32_u32_sdwa v18, v3 dst_sel:DWORD dst_unused:UNUSED_PAD src0_sel:WORD_0
	;; [unrolled: 2-line block ×3, first 2 shown]
	s_and_b32 s13, s0, 0xffff
	s_mov_b32 s0, 0x7060302
	v_cvt_f32_u32_sdwa v21, v5 dst_sel:DWORD dst_unused:UNUSED_PAD src0_sel:WORD_1
	v_cvt_f32_u32_sdwa v20, v5 dst_sel:DWORD dst_unused:UNUSED_PAD src0_sel:WORD_0
	;;#ASMSTART
	v_pk_mul_f32 v[16:17], v[26:27], v[16:17]
	;;#ASMEND
	;;#ASMSTART
	v_pk_mul_f32 v[18:19], v[24:25], v[18:19]
	;;#ASMEND
	;; [unrolled: 3-line block ×3, first 2 shown]
	v_perm_b32 v2, v9, v8, s0
	v_perm_b32 v3, v13, v12, s0
	;; [unrolled: 1-line block ×4, first 2 shown]
	;;#ASMSTART
	v_pk_mul_f32 v[10:11], v[10:11], v[20:21]
	;;#ASMEND
	buffer_store_dwordx4 v[2:5], v1, s[12:15], 0 offen
	;;#ASMSTART
	s_nop 0
	;;#ASMEND
	s_nop 0
	v_perm_b32 v2, v17, v16, s0
	v_perm_b32 v3, v19, v18, s0
	;; [unrolled: 1-line block ×4, first 2 shown]
	buffer_store_dwordx4 v[2:5], v1, s[12:15], 16 offen
	;;#ASMSTART
	s_nop 0
	;;#ASMEND
	s_endpgm
	.section	.rodata,"a",@progbits
	.p2align	6, 0x0
	.amdhsa_kernel _ZN5aiter35fused_qk_rmsnorm_group_quant_kernelItDB8_Li256ELi16ELi4ELb0ELb1ELb0ELb0ELb0ELb0EEEvPT0_PvPT_S6_S6_PKS5_S8_S8_S8_S8_ffiiiiiiiiiiiii
		.amdhsa_group_segment_fixed_size 32
		.amdhsa_private_segment_fixed_size 0
		.amdhsa_kernarg_size 400
		.amdhsa_user_sgpr_count 6
		.amdhsa_user_sgpr_private_segment_buffer 1
		.amdhsa_user_sgpr_dispatch_ptr 0
		.amdhsa_user_sgpr_queue_ptr 0
		.amdhsa_user_sgpr_kernarg_segment_ptr 1
		.amdhsa_user_sgpr_dispatch_id 0
		.amdhsa_user_sgpr_flat_scratch_init 0
		.amdhsa_user_sgpr_kernarg_preload_length 0
		.amdhsa_user_sgpr_kernarg_preload_offset 0
		.amdhsa_user_sgpr_private_segment_size 0
		.amdhsa_uses_dynamic_stack 0
		.amdhsa_system_sgpr_private_segment_wavefront_offset 0
		.amdhsa_system_sgpr_workgroup_id_x 1
		.amdhsa_system_sgpr_workgroup_id_y 1
		.amdhsa_system_sgpr_workgroup_id_z 0
		.amdhsa_system_sgpr_workgroup_info 0
		.amdhsa_system_vgpr_workitem_id 0
		.amdhsa_next_free_vgpr 38
		.amdhsa_next_free_sgpr 36
		.amdhsa_accum_offset 40
		.amdhsa_reserve_vcc 1
		.amdhsa_reserve_flat_scratch 0
		.amdhsa_float_round_mode_32 0
		.amdhsa_float_round_mode_16_64 0
		.amdhsa_float_denorm_mode_32 3
		.amdhsa_float_denorm_mode_16_64 3
		.amdhsa_dx10_clamp 1
		.amdhsa_ieee_mode 1
		.amdhsa_fp16_overflow 0
		.amdhsa_tg_split 0
		.amdhsa_exception_fp_ieee_invalid_op 0
		.amdhsa_exception_fp_denorm_src 0
		.amdhsa_exception_fp_ieee_div_zero 0
		.amdhsa_exception_fp_ieee_overflow 0
		.amdhsa_exception_fp_ieee_underflow 0
		.amdhsa_exception_fp_ieee_inexact 0
		.amdhsa_exception_int_div_zero 0
	.end_amdhsa_kernel
	.section	.text._ZN5aiter35fused_qk_rmsnorm_group_quant_kernelItDB8_Li256ELi16ELi4ELb0ELb1ELb0ELb0ELb0ELb0EEEvPT0_PvPT_S6_S6_PKS5_S8_S8_S8_S8_ffiiiiiiiiiiiii,"axG",@progbits,_ZN5aiter35fused_qk_rmsnorm_group_quant_kernelItDB8_Li256ELi16ELi4ELb0ELb1ELb0ELb0ELb0ELb0EEEvPT0_PvPT_S6_S6_PKS5_S8_S8_S8_S8_ffiiiiiiiiiiiii,comdat
.Lfunc_end830:
	.size	_ZN5aiter35fused_qk_rmsnorm_group_quant_kernelItDB8_Li256ELi16ELi4ELb0ELb1ELb0ELb0ELb0ELb0EEEvPT0_PvPT_S6_S6_PKS5_S8_S8_S8_S8_ffiiiiiiiiiiiii, .Lfunc_end830-_ZN5aiter35fused_qk_rmsnorm_group_quant_kernelItDB8_Li256ELi16ELi4ELb0ELb1ELb0ELb0ELb0ELb0EEEvPT0_PvPT_S6_S6_PKS5_S8_S8_S8_S8_ffiiiiiiiiiiiii
                                        ; -- End function
	.section	.AMDGPU.csdata,"",@progbits
; Kernel info:
; codeLenInByte = 3616
; NumSgprs: 40
; NumVgprs: 38
; NumAgprs: 0
; TotalNumVgprs: 38
; ScratchSize: 0
; MemoryBound: 0
; FloatMode: 240
; IeeeMode: 1
; LDSByteSize: 32 bytes/workgroup (compile time only)
; SGPRBlocks: 4
; VGPRBlocks: 4
; NumSGPRsForWavesPerEU: 40
; NumVGPRsForWavesPerEU: 38
; AccumOffset: 40
; Occupancy: 8
; WaveLimiterHint : 0
; COMPUTE_PGM_RSRC2:SCRATCH_EN: 0
; COMPUTE_PGM_RSRC2:USER_SGPR: 6
; COMPUTE_PGM_RSRC2:TRAP_HANDLER: 0
; COMPUTE_PGM_RSRC2:TGID_X_EN: 1
; COMPUTE_PGM_RSRC2:TGID_Y_EN: 1
; COMPUTE_PGM_RSRC2:TGID_Z_EN: 0
; COMPUTE_PGM_RSRC2:TIDIG_COMP_CNT: 0
; COMPUTE_PGM_RSRC3_GFX90A:ACCUM_OFFSET: 9
; COMPUTE_PGM_RSRC3_GFX90A:TG_SPLIT: 0
	.section	.text._ZN5aiter35fused_qk_rmsnorm_group_quant_kernelIDF16_N4opus5fp4_tELi256ELi16ELi4ELb0ELb1ELb0ELb0ELb0ELb0EEEvPT0_PvPT_S7_S7_PKS6_S9_S9_S9_S9_ffiiiiiiiiiiiii,"axG",@progbits,_ZN5aiter35fused_qk_rmsnorm_group_quant_kernelIDF16_N4opus5fp4_tELi256ELi16ELi4ELb0ELb1ELb0ELb0ELb0ELb0EEEvPT0_PvPT_S7_S7_PKS6_S9_S9_S9_S9_ffiiiiiiiiiiiii,comdat
	.protected	_ZN5aiter35fused_qk_rmsnorm_group_quant_kernelIDF16_N4opus5fp4_tELi256ELi16ELi4ELb0ELb1ELb0ELb0ELb0ELb0EEEvPT0_PvPT_S7_S7_PKS6_S9_S9_S9_S9_ffiiiiiiiiiiiii ; -- Begin function _ZN5aiter35fused_qk_rmsnorm_group_quant_kernelIDF16_N4opus5fp4_tELi256ELi16ELi4ELb0ELb1ELb0ELb0ELb0ELb0EEEvPT0_PvPT_S7_S7_PKS6_S9_S9_S9_S9_ffiiiiiiiiiiiii
	.globl	_ZN5aiter35fused_qk_rmsnorm_group_quant_kernelIDF16_N4opus5fp4_tELi256ELi16ELi4ELb0ELb1ELb0ELb0ELb0ELb0EEEvPT0_PvPT_S7_S7_PKS6_S9_S9_S9_S9_ffiiiiiiiiiiiii
	.p2align	8
	.type	_ZN5aiter35fused_qk_rmsnorm_group_quant_kernelIDF16_N4opus5fp4_tELi256ELi16ELi4ELb0ELb1ELb0ELb0ELb0ELb0EEEvPT0_PvPT_S7_S7_PKS6_S9_S9_S9_S9_ffiiiiiiiiiiiii,@function
_ZN5aiter35fused_qk_rmsnorm_group_quant_kernelIDF16_N4opus5fp4_tELi256ELi16ELi4ELb0ELb1ELb0ELb0ELb0ELb0EEEvPT0_PvPT_S7_S7_PKS6_S9_S9_S9_S9_ffiiiiiiiiiiiii: ; @_ZN5aiter35fused_qk_rmsnorm_group_quant_kernelIDF16_N4opus5fp4_tELi256ELi16ELi4ELb0ELb1ELb0ELb0ELb0ELb0EEEvPT0_PvPT_S7_S7_PKS6_S9_S9_S9_S9_ffiiiiiiiiiiiii
; %bb.0:
	s_load_dwordx4 s[16:19], s[4:5], 0x50
	s_waitcnt lgkmcnt(0)
	s_cmp_ge_i32 s6, s18
	s_cbranch_scc1 .LBB831_12
; %bb.1:
	s_load_dwordx2 s[12:13], s[4:5], 0x48
	s_load_dwordx2 s[30:31], s[4:5], 0x30
	s_load_dwordx4 s[20:23], s[4:5], 0x60
	s_cmp_lg_u32 s7, 0
	s_cselect_b64 s[14:15], -1, 0
	s_cmp_eq_u32 s7, 0
	s_cselect_b64 vcc, -1, 0
	s_and_b64 s[0:1], vcc, exec
	s_waitcnt lgkmcnt(0)
	s_cselect_b32 s7, s19, s20
	s_add_i32 s0, s7, 1
	s_lshr_b32 s1, s0, 31
	s_add_i32 s0, s0, s1
	s_lshl_b32 s0, s0, 1
	v_lshlrev_b32_e32 v1, 4, v0
	s_and_b32 s10, s0, -4
	v_cmp_gt_i32_e64 s[2:3], s7, v1
	v_mov_b32_e32 v18, 0
	v_mov_b32_e32 v6, 0
	;; [unrolled: 1-line block ×17, first 2 shown]
	s_and_saveexec_b64 s[0:1], s[2:3]
	s_cbranch_execz .LBB831_3
; %bb.2:
	s_load_dwordx2 s[8:9], s[4:5], 0x28
	s_load_dwordx2 s[26:27], s[4:5], 0x40
	s_and_b64 s[24:25], vcc, exec
	s_cselect_b32 s11, s21, s22
	v_lshlrev_b32_e32 v19, 5, v0
	s_waitcnt lgkmcnt(0)
	s_cselect_b32 s18, s9, s31
	s_cselect_b32 s21, s8, s30
	s_mul_hi_i32 s9, s11, s6
	s_mul_i32 s8, s11, s6
	s_lshl_b64 s[8:9], s[8:9], 1
	s_add_u32 s24, s21, s8
	s_addc_u32 s18, s18, s9
	s_and_b64 s[8:9], vcc, exec
	s_mov_b32 s11, 0x20000
	s_cselect_b32 s8, s26, s12
	s_cselect_b32 s9, s27, s13
	s_and_b32 s25, s18, 0xffff
	s_mov_b32 s26, s10
	s_mov_b32 s27, s11
	s_and_b32 s9, s9, 0xffff
	buffer_load_dwordx4 v[14:17], v19, s[24:27], 0 offen
	buffer_load_dwordx4 v[10:13], v19, s[24:27], 16 offen
	;; [unrolled: 1-line block ×4, first 2 shown]
.LBB831_3:
	s_or_b64 exec, exec, s[0:1]
	v_mov_b32_e32 v19, 0
	v_mov_b32_e32 v24, 0
	;; [unrolled: 1-line block ×15, first 2 shown]
	s_and_saveexec_b64 s[0:1], s[2:3]
	s_cbranch_execz .LBB831_5
; %bb.4:
	s_waitcnt vmcnt(3)
	v_cvt_f32_f16_sdwa v19, v14 dst_sel:DWORD dst_unused:UNUSED_PAD src0_sel:WORD_1
	v_cvt_f32_f16_e32 v18, v14
	v_cvt_f32_f16_sdwa v25, v15 dst_sel:DWORD dst_unused:UNUSED_PAD src0_sel:WORD_1
	v_cvt_f32_f16_e32 v24, v15
	;; [unrolled: 2-line block ×4, first 2 shown]
	s_waitcnt vmcnt(2)
	v_cvt_f32_f16_sdwa v33, v10 dst_sel:DWORD dst_unused:UNUSED_PAD src0_sel:WORD_1
	v_cvt_f32_f16_e32 v32, v10
	v_cvt_f32_f16_sdwa v31, v11 dst_sel:DWORD dst_unused:UNUSED_PAD src0_sel:WORD_1
	v_cvt_f32_f16_e32 v30, v11
	;; [unrolled: 2-line block ×4, first 2 shown]
.LBB831_5:
	s_or_b64 exec, exec, s[0:1]
	s_waitcnt vmcnt(2)
	v_mul_f32_e32 v10, v19, v19
	v_fmac_f32_e32 v10, v18, v18
	v_fmac_f32_e32 v10, v24, v24
	;; [unrolled: 1-line block ×15, first 2 shown]
	v_and_b32_e32 v12, 63, v0
	v_cmp_eq_u32_e64 s[0:1], 63, v12
	v_mov_b32_dpp v11, v10 quad_perm:[1,0,3,2] row_mask:0xf bank_mask:0xf
	v_add_f32_e32 v10, v10, v11
	s_nop 1
	v_mov_b32_dpp v11, v10 quad_perm:[2,3,0,1] row_mask:0xf bank_mask:0xf
	v_add_f32_e32 v10, v10, v11
	s_nop 1
	v_mov_b32_dpp v11, v10 row_half_mirror row_mask:0xf bank_mask:0xf
	v_add_f32_e32 v10, v10, v11
	s_nop 1
	v_mov_b32_dpp v11, v10 row_mirror row_mask:0xf bank_mask:0xf
	v_add_f32_e32 v10, v10, v11
	s_nop 1
	v_mov_b32_dpp v11, v10 row_bcast:15 row_mask:0xf bank_mask:0xf
	v_add_f32_e32 v10, v10, v11
	s_nop 1
	v_mov_b32_dpp v11, v10 row_bcast:31 row_mask:0xf bank_mask:0xf
	s_and_saveexec_b64 s[8:9], s[0:1]
	s_cbranch_execz .LBB831_7
; %bb.6:
	v_add_f32_e32 v10, v10, v11
	v_lshrrev_b32_e32 v11, 4, v0
	v_and_b32_e32 v11, 60, v11
	ds_write_b32 v11, v10 offset:16
.LBB831_7:
	s_or_b64 exec, exec, s[8:9]
	v_and_b32_e32 v10, 3, v0
	v_lshlrev_b32_e32 v34, 2, v10
	s_waitcnt lgkmcnt(0)
	s_barrier
	ds_read_b32 v11, v34 offset:16
	s_load_dwordx2 s[28:29], s[4:5], 0x18
	s_waitcnt lgkmcnt(0)
	v_mov_b32_dpp v12, v11 quad_perm:[1,0,3,2] row_mask:0xf bank_mask:0xf
	v_add_f32_e32 v11, v11, v12
	s_nop 1
	v_mov_b32_dpp v12, v11 quad_perm:[2,3,0,1] row_mask:0xf bank_mask:0xf
	s_and_saveexec_b64 s[8:9], s[2:3]
	s_cbranch_execz .LBB831_9
; %bb.8:
	v_cvt_f32_u32_e32 v13, s7
	v_add_f32_e32 v11, v11, v12
	v_mov_b32_e32 v15, s17
	v_mov_b32_e32 v16, s16
	v_div_scale_f32 v12, s[24:25], v13, v13, v11
	v_rcp_f32_e32 v14, v12
	v_cndmask_b32_e32 v15, v15, v16, vcc
	s_mov_b32 s7, 0x800000
	v_fma_f32 v16, -v12, v14, 1.0
	v_fmac_f32_e32 v14, v16, v14
	v_div_scale_f32 v16, vcc, v11, v13, v11
	v_mul_f32_e32 v17, v16, v14
	v_fma_f32 v35, -v12, v17, v16
	v_fmac_f32_e32 v17, v35, v14
	v_fma_f32 v12, -v12, v17, v16
	v_div_fmas_f32 v12, v12, v14, v17
	v_div_fixup_f32 v11, v12, v13, v11
	v_add_f32_e32 v11, v15, v11
	v_mul_f32_e32 v12, 0x4b800000, v11
	v_cmp_gt_f32_e32 vcc, s7, v11
	v_cndmask_b32_e32 v11, v11, v12, vcc
	v_rsq_f32_e32 v11, v11
	v_mul_f32_e32 v12, 0x45800000, v11
	v_cndmask_b32_e32 v12, v11, v12, vcc
	v_mov_b32_e32 v13, v12
	;;#ASMSTART
	v_pk_mul_f32 v[14:15], v[18:19], v[12:13]
	;;#ASMEND
	;;#ASMSTART
	v_pk_mul_f32 v[16:17], v[24:25], v[12:13]
	;;#ASMEND
	;; [unrolled: 3-line block ×8, first 2 shown]
	s_waitcnt vmcnt(1)
	v_cvt_f32_f16_sdwa v19, v6 dst_sel:DWORD dst_unused:UNUSED_PAD src0_sel:WORD_1
	v_cvt_f32_f16_e32 v18, v6
	v_cvt_f32_f16_sdwa v25, v7 dst_sel:DWORD dst_unused:UNUSED_PAD src0_sel:WORD_1
	v_cvt_f32_f16_e32 v24, v7
	v_cvt_f32_f16_sdwa v7, v8 dst_sel:DWORD dst_unused:UNUSED_PAD src0_sel:WORD_1
	v_cvt_f32_f16_e32 v6, v8
	v_cvt_f32_f16_sdwa v29, v9 dst_sel:DWORD dst_unused:UNUSED_PAD src0_sel:WORD_1
	v_cvt_f32_f16_e32 v28, v9
	;;#ASMSTART
	v_pk_mul_f32 v[18:19], v[14:15], v[18:19]
	;;#ASMEND
	;;#ASMSTART
	v_pk_mul_f32 v[24:25], v[16:17], v[24:25]
	;;#ASMEND
	;; [unrolled: 3-line block ×4, first 2 shown]
	s_waitcnt vmcnt(0)
	v_cvt_f32_f16_sdwa v7, v2 dst_sel:DWORD dst_unused:UNUSED_PAD src0_sel:WORD_1
	v_cvt_f32_f16_e32 v6, v2
	v_cvt_f32_f16_sdwa v9, v3 dst_sel:DWORD dst_unused:UNUSED_PAD src0_sel:WORD_1
	v_cvt_f32_f16_e32 v8, v3
	;; [unrolled: 2-line block ×4, first 2 shown]
	;;#ASMSTART
	v_pk_mul_f32 v[32:33], v[32:33], v[6:7]
	;;#ASMEND
	;;#ASMSTART
	v_pk_mul_f32 v[30:31], v[30:31], v[8:9]
	;;#ASMEND
	;; [unrolled: 3-line block ×4, first 2 shown]
.LBB831_9:
	s_or_b64 exec, exec, s[8:9]
	s_load_dword s7, s[4:5], 0x80
	s_mov_b64 s[8:9], -1
	s_and_b64 vcc, exec, s[14:15]
	s_cbranch_vccnz .LBB831_13
; %bb.10:
	s_andn2_b64 vcc, exec, s[8:9]
	s_cbranch_vccz .LBB831_16
.LBB831_11:
	s_cmp_lt_i32 s20, 1
	s_cbranch_scc0 .LBB831_25
.LBB831_12:
	s_endpgm
.LBB831_13:
	s_and_saveexec_b64 s[14:15], s[2:3]
	s_cbranch_execz .LBB831_15
; %bb.14:
	s_waitcnt lgkmcnt(0)
	s_mul_hi_i32 s9, s7, s6
	s_mul_i32 s8, s7, s6
	s_waitcnt vmcnt(0)
	v_cvt_f16_f32_e32 v2, v18
	v_cvt_f16_f32_e32 v3, v24
	;; [unrolled: 1-line block ×8, first 2 shown]
	s_lshl_b64 s[8:9], s[8:9], 1
	s_add_u32 s8, s28, s8
	s_addc_u32 s9, s29, s9
	s_and_b32 s9, s9, 0xffff
	s_mov_b32 s11, 0x20000
	v_pack_b32_f16 v5, v5, v6
	v_pack_b32_f16 v4, v4, v7
	;; [unrolled: 1-line block ×4, first 2 shown]
	v_lshlrev_b32_e32 v6, 5, v0
	buffer_store_dwordx4 v[2:5], v6, s[8:11], 0 offen
	v_cvt_f16_f32_e32 v7, v29
	v_cvt_f16_f32_e32 v2, v32
	;; [unrolled: 1-line block ×8, first 2 shown]
	v_pack_b32_f16 v5, v5, v7
	v_pack_b32_f16 v4, v4, v8
	;; [unrolled: 1-line block ×4, first 2 shown]
	;;#ASMSTART
	s_nop 0
	;;#ASMEND
	buffer_store_dwordx4 v[2:5], v6, s[8:11], 16 offen
	;;#ASMSTART
	s_nop 0
	;;#ASMEND
.LBB831_15:
	s_or_b64 exec, exec, s[14:15]
	s_cbranch_execnz .LBB831_11
.LBB831_16:
	s_load_dwordx4 s[24:27], s[4:5], 0x70
	s_waitcnt vmcnt(0)
	v_mov_b32_e32 v2, 0
	s_and_saveexec_b64 s[14:15], s[2:3]
	s_cbranch_execz .LBB831_18
; %bb.17:
	s_load_dwordx2 s[8:9], s[4:5], 0x10
	s_waitcnt lgkmcnt(0)
	s_mul_hi_i32 s35, s27, s6
	s_mul_i32 s34, s27, s6
	v_cvt_f16_f32_e32 v2, v18
	v_cvt_f16_f32_e32 v3, v24
	v_cvt_f16_f32_e32 v4, v20
	v_cvt_f16_f32_e32 v5, v22
	v_cvt_f16_f32_e32 v6, v23
	v_cvt_f16_f32_e32 v7, v21
	v_cvt_f16_f32_e32 v8, v25
	v_cvt_f16_f32_e32 v9, v19
	s_lshl_b64 s[34:35], s[34:35], 1
	s_add_u32 s8, s8, s34
	s_addc_u32 s9, s9, s35
	s_mov_b32 s11, 0x20000
	s_and_b32 s9, s9, 0xffff
	v_pack_b32_f16 v5, v5, v6
	v_pack_b32_f16 v4, v4, v7
	;; [unrolled: 1-line block ×4, first 2 shown]
	v_lshlrev_b32_e32 v6, 5, v0
	buffer_store_dwordx4 v[2:5], v6, s[8:11], 0 offen
	v_cvt_f16_f32_e32 v7, v29
	v_cvt_f16_f32_e32 v2, v32
	;; [unrolled: 1-line block ×8, first 2 shown]
	v_pack_b32_f16 v5, v5, v7
	v_pack_b32_f16 v4, v4, v8
	;; [unrolled: 1-line block ×4, first 2 shown]
	;;#ASMSTART
	s_nop 0
	;;#ASMEND
	buffer_store_dwordx4 v[2:5], v6, s[8:11], 16 offen
	;;#ASMSTART
	s_nop 0
	;;#ASMEND
	s_nop 0
	v_mov_b32_e32 v2, 0x2edbe6ff
.LBB831_18:
	s_or_b64 exec, exec, s[14:15]
	s_and_saveexec_b64 s[8:9], s[2:3]
	s_cbranch_execz .LBB831_20
; %bb.19:
	v_and_b32_e32 v3, 0x7fffffff, v18
	v_and_b32_e32 v4, 0x7fffffff, v19
	;;#ASMSTART
	v_max3_f32 v2, v2, v3, v4

	;;#ASMEND
	v_and_b32_e32 v3, 0x7fffffff, v24
	v_and_b32_e32 v4, 0x7fffffff, v25
	;;#ASMSTART
	v_max3_f32 v2, v2, v3, v4

	;;#ASMEND
	;; [unrolled: 6-line block ×8, first 2 shown]
.LBB831_20:
	s_or_b64 exec, exec, s[8:9]
	v_cmp_eq_u32_e32 vcc, 0, v10
	v_cmp_gt_i32_e64 s[8:9], s19, v1
	s_and_b64 s[10:11], vcc, s[8:9]
	;;#ASMSTART
	v_max_f32 v3, v2, v2 quad_perm:[1,0,3,2] row_mask:0xf bank_mask:0xf bound_ctrl:1
	;;#ASMEND
	;;#ASMSTART
	v_max_f32 v2, v3, v3 quad_perm:[2,3,0,1] row_mask:0xf bank_mask:0xf bound_ctrl:1
	;;#ASMEND
	s_and_saveexec_b64 s[8:9], s[10:11]
	s_cbranch_execz .LBB831_22
; %bb.21:
	s_load_dwordx2 s[10:11], s[4:5], 0x8
	v_mul_f32_e32 v2, 0x3e2aaaab, v2
	v_lshrrev_b32_e32 v3, 23, v2
	v_and_b32_e32 v4, 0x7f800000, v2
	v_and_b32_e32 v2, 0x7fffff, v2
	v_cmp_ne_u32_e32 vcc, 0, v2
	s_waitcnt lgkmcnt(0)
	s_mul_i32 s16, s25, s6
	s_mov_b32 s14, 0x7f800000
	v_addc_co_u32_e32 v2, vcc, 0, v3, vcc
	s_mul_hi_i32 s15, s25, s6
	s_add_u32 s10, s10, s16
	v_cmp_ne_u32_e32 vcc, s14, v4
	s_addc_u32 s11, s11, s15
	v_lshrrev_b32_e32 v5, 2, v0
	v_cndmask_b32_e32 v4, -1, v2, vcc
	v_pk_mov_b32 v[2:3], s[10:11], s[10:11] op_sel:[0,1]
	v_mad_i64_i32 v[2:3], s[10:11], s26, v5, v[2:3]
	global_store_byte v[2:3], v4, off
.LBB831_22:
	s_or_b64 exec, exec, s[8:9]
	s_and_saveexec_b64 s[8:9], s[2:3]
	s_cbranch_execz .LBB831_24
; %bb.23:
	s_load_dwordx2 s[2:3], s[4:5], 0x0
	s_waitcnt lgkmcnt(0)
	s_mul_i32 s11, s24, s6
	s_mul_hi_i32 s10, s24, s6
	v_mov_b32_e32 v2, 0
	v_lshlrev_b32_e32 v4, 3, v0
	s_add_u32 s24, s2, s11
	s_addc_u32 s2, s3, s10
	s_lshr_b32 s3, s19, 31
	s_add_i32 s3, s19, s3
	s_ashr_i32 s3, s3, 1
	s_add_i32 s3, s3, 3
	s_ashr_i32 s10, s3, 31
	s_lshr_b32 s10, s10, 30
	s_add_i32 s3, s3, s10
	s_and_b32 s26, s3, -4
	s_and_b32 s25, s2, 0xffff
	s_mov_b32 s27, 0x20000
	v_mov_b32_e32 v3, v2
	buffer_store_dwordx2 v[2:3], v4, s[24:27], 0 offen
	;;#ASMSTART
	s_nop 0
	;;#ASMEND
.LBB831_24:
	s_or_b64 exec, exec, s[8:9]
	s_cmp_lt_i32 s20, 1
	s_cbranch_scc1 .LBB831_12
.LBB831_25:
	s_load_dword s2, s[4:5], 0x94
	s_waitcnt lgkmcnt(0)
	s_cmp_lg_u32 s2, 1
	s_cbranch_scc1 .LBB831_12
; %bb.26:
	s_lshl_b32 s2, s20, 1
	s_add_i32 s2, s2, 2
	v_cmp_gt_u32_e32 vcc, s20, v1
	s_and_b32 s14, s2, -4
	v_mov_b32_e32 v18, 0
	v_lshlrev_b32_e32 v1, 5, v0
	v_mov_b32_e32 v14, 0
	v_mov_b32_e32 v15, 0
	;; [unrolled: 1-line block ×8, first 2 shown]
	s_waitcnt vmcnt(1)
	v_mov_b32_e32 v6, 0
	v_mov_b32_e32 v7, 0
	v_mov_b32_e32 v8, 0
	v_mov_b32_e32 v9, 0
	s_waitcnt vmcnt(0)
	v_mov_b32_e32 v2, 0
	v_mov_b32_e32 v3, 0
	;; [unrolled: 1-line block ×4, first 2 shown]
	s_barrier
	s_and_saveexec_b64 s[2:3], vcc
	s_cbranch_execz .LBB831_28
; %bb.27:
	s_mul_hi_i32 s5, s22, s6
	s_mul_i32 s4, s22, s6
	s_and_b32 s13, s13, 0xffff
	s_lshl_b64 s[4:5], s[4:5], 1
	s_add_u32 s8, s30, s4
	s_mov_b32 s15, 0x20000
	s_addc_u32 s4, s31, s5
	s_and_b32 s9, s4, 0xffff
	s_mov_b32 s10, s14
	s_mov_b32 s11, s15
	buffer_load_dwordx4 v[14:17], v1, s[8:11], 0 offen
	buffer_load_dwordx4 v[10:13], v1, s[8:11], 16 offen
	;; [unrolled: 1-line block ×4, first 2 shown]
.LBB831_28:
	s_or_b64 exec, exec, s[2:3]
	v_mov_b32_e32 v19, 0
	v_mov_b32_e32 v32, 0
	v_mov_b32_e32 v33, 0
	v_mov_b32_e32 v30, 0
	v_mov_b32_e32 v31, 0
	v_mov_b32_e32 v28, 0
	v_mov_b32_e32 v29, 0
	v_mov_b32_e32 v26, 0
	v_mov_b32_e32 v27, 0
	v_mov_b32_e32 v24, 0
	v_mov_b32_e32 v25, 0
	v_mov_b32_e32 v22, 0
	v_mov_b32_e32 v23, 0
	v_mov_b32_e32 v20, 0
	v_mov_b32_e32 v21, 0
	s_and_saveexec_b64 s[2:3], vcc
	s_cbranch_execz .LBB831_30
; %bb.29:
	s_waitcnt vmcnt(3)
	v_cvt_f32_f16_sdwa v19, v14 dst_sel:DWORD dst_unused:UNUSED_PAD src0_sel:WORD_1
	v_cvt_f32_f16_e32 v18, v14
	v_cvt_f32_f16_sdwa v33, v15 dst_sel:DWORD dst_unused:UNUSED_PAD src0_sel:WORD_1
	v_cvt_f32_f16_e32 v32, v15
	v_cvt_f32_f16_sdwa v31, v16 dst_sel:DWORD dst_unused:UNUSED_PAD src0_sel:WORD_1
	v_cvt_f32_f16_e32 v30, v16
	v_cvt_f32_f16_sdwa v29, v17 dst_sel:DWORD dst_unused:UNUSED_PAD src0_sel:WORD_1
	v_cvt_f32_f16_e32 v28, v17
	s_waitcnt vmcnt(2)
	v_cvt_f32_f16_sdwa v27, v10 dst_sel:DWORD dst_unused:UNUSED_PAD src0_sel:WORD_1
	v_cvt_f32_f16_e32 v26, v10
	v_cvt_f32_f16_sdwa v25, v11 dst_sel:DWORD dst_unused:UNUSED_PAD src0_sel:WORD_1
	v_cvt_f32_f16_e32 v24, v11
	;; [unrolled: 2-line block ×4, first 2 shown]
.LBB831_30:
	s_or_b64 exec, exec, s[2:3]
	s_waitcnt vmcnt(2)
	v_mul_f32_e32 v10, v19, v19
	v_fmac_f32_e32 v10, v18, v18
	v_fmac_f32_e32 v10, v32, v32
	;; [unrolled: 1-line block ×15, first 2 shown]
	s_nop 1
	v_mov_b32_dpp v11, v10 quad_perm:[1,0,3,2] row_mask:0xf bank_mask:0xf
	v_add_f32_e32 v10, v10, v11
	s_nop 1
	v_mov_b32_dpp v11, v10 quad_perm:[2,3,0,1] row_mask:0xf bank_mask:0xf
	v_add_f32_e32 v10, v10, v11
	s_nop 1
	v_mov_b32_dpp v11, v10 row_half_mirror row_mask:0xf bank_mask:0xf
	v_add_f32_e32 v10, v10, v11
	s_nop 1
	v_mov_b32_dpp v11, v10 row_mirror row_mask:0xf bank_mask:0xf
	v_add_f32_e32 v10, v10, v11
	s_nop 1
	v_mov_b32_dpp v11, v10 row_bcast:15 row_mask:0xf bank_mask:0xf
	v_add_f32_e32 v10, v10, v11
	s_nop 1
	v_mov_b32_dpp v11, v10 row_bcast:31 row_mask:0xf bank_mask:0xf
	s_and_saveexec_b64 s[2:3], s[0:1]
	s_cbranch_execz .LBB831_32
; %bb.31:
	v_lshrrev_b32_e32 v0, 4, v0
	v_add_f32_e32 v10, v10, v11
	v_and_b32_e32 v0, 60, v0
	ds_write_b32 v0, v10
.LBB831_32:
	s_or_b64 exec, exec, s[2:3]
	s_waitcnt lgkmcnt(0)
	s_barrier
	ds_read_b32 v0, v34
	s_waitcnt lgkmcnt(0)
	s_nop 0
	v_mov_b32_dpp v10, v0 quad_perm:[1,0,3,2] row_mask:0xf bank_mask:0xf
	v_add_f32_e32 v0, v0, v10
	s_nop 1
	v_mov_b32_dpp v10, v0 quad_perm:[2,3,0,1] row_mask:0xf bank_mask:0xf
	s_and_saveexec_b64 s[0:1], vcc
	s_cbranch_execz .LBB831_12
; %bb.33:
	v_cvt_f32_u32_e32 v11, s20
	v_add_f32_e32 v0, v0, v10
	s_mov_b32 s15, 0x20000
	v_div_scale_f32 v10, s[0:1], v11, v11, v0
	v_rcp_f32_e32 v12, v10
	v_div_scale_f32 v13, vcc, v0, v11, v0
	s_mov_b32 s0, 0x800000
	v_fma_f32 v14, -v10, v12, 1.0
	v_fmac_f32_e32 v12, v14, v12
	v_mul_f32_e32 v14, v13, v12
	v_fma_f32 v15, -v10, v14, v13
	v_fmac_f32_e32 v14, v15, v12
	v_fma_f32 v10, -v10, v14, v13
	v_div_fmas_f32 v10, v10, v12, v14
	v_div_fixup_f32 v0, v10, v11, v0
	v_add_f32_e32 v0, s17, v0
	v_mul_f32_e32 v10, 0x4b800000, v0
	v_cmp_gt_f32_e32 vcc, s0, v0
	v_cndmask_b32_e32 v0, v0, v10, vcc
	v_rsq_f32_e32 v0, v0
	s_mul_hi_i32 s1, s7, s6
	s_mul_i32 s0, s7, s6
	s_lshl_b64 s[0:1], s[0:1], 1
	v_mul_f32_e32 v10, 0x45800000, v0
	v_cndmask_b32_e32 v10, v0, v10, vcc
	v_mov_b32_e32 v11, v10
	;;#ASMSTART
	v_pk_mul_f32 v[12:13], v[18:19], v[10:11]
	;;#ASMEND
	;;#ASMSTART
	v_pk_mul_f32 v[14:15], v[32:33], v[10:11]
	;;#ASMEND
	;; [unrolled: 3-line block ×8, first 2 shown]
	s_waitcnt vmcnt(1)
	v_cvt_f32_f16_sdwa v21, v6 dst_sel:DWORD dst_unused:UNUSED_PAD src0_sel:WORD_1
	v_cvt_f32_f16_e32 v20, v6
	v_cvt_f32_f16_sdwa v29, v7 dst_sel:DWORD dst_unused:UNUSED_PAD src0_sel:WORD_1
	v_cvt_f32_f16_e32 v28, v7
	;; [unrolled: 2-line block ×4, first 2 shown]
	;;#ASMSTART
	v_pk_mul_f32 v[8:9], v[12:13], v[20:21]
	;;#ASMEND
	;;#ASMSTART
	v_pk_mul_f32 v[12:13], v[14:15], v[28:29]
	;;#ASMEND
	;;#ASMSTART
	v_pk_mul_f32 v[6:7], v[16:17], v[6:7]
	;;#ASMEND
	;;#ASMSTART
	v_pk_mul_f32 v[14:15], v[18:19], v[30:31]
	;;#ASMEND
	s_waitcnt vmcnt(0)
	v_cvt_f32_f16_sdwa v17, v2 dst_sel:DWORD dst_unused:UNUSED_PAD src0_sel:WORD_1
	v_cvt_f32_f16_e32 v16, v2
	v_cvt_f32_f16_sdwa v19, v3 dst_sel:DWORD dst_unused:UNUSED_PAD src0_sel:WORD_1
	v_cvt_f32_f16_e32 v18, v3
	;; [unrolled: 2-line block ×4, first 2 shown]
	;;#ASMSTART
	v_pk_mul_f32 v[16:17], v[26:27], v[16:17]
	;;#ASMEND
	;;#ASMSTART
	v_pk_mul_f32 v[18:19], v[24:25], v[18:19]
	;;#ASMEND
	;; [unrolled: 3-line block ×3, first 2 shown]
	v_cvt_f16_f32_e32 v0, v8
	v_cvt_f16_f32_e32 v2, v9
	;; [unrolled: 1-line block ×8, first 2 shown]
	s_add_u32 s12, s28, s0
	s_addc_u32 s0, s29, s1
	s_and_b32 s13, s0, 0xffff
	v_pack_b32_f16 v2, v0, v2
	v_pack_b32_f16 v3, v3, v4
	;; [unrolled: 1-line block ×4, first 2 shown]
	;;#ASMSTART
	v_pk_mul_f32 v[10:11], v[10:11], v[20:21]
	;;#ASMEND
	buffer_store_dwordx4 v[2:5], v1, s[12:15], 0 offen
	v_cvt_f16_f32_e32 v0, v16
	v_cvt_f16_f32_e32 v2, v17
	;; [unrolled: 1-line block ×8, first 2 shown]
	v_pack_b32_f16 v2, v0, v2
	v_pack_b32_f16 v3, v3, v4
	;; [unrolled: 1-line block ×4, first 2 shown]
	;;#ASMSTART
	s_nop 0
	;;#ASMEND
	buffer_store_dwordx4 v[2:5], v1, s[12:15], 16 offen
	;;#ASMSTART
	s_nop 0
	;;#ASMEND
	s_endpgm
	.section	.rodata,"a",@progbits
	.p2align	6, 0x0
	.amdhsa_kernel _ZN5aiter35fused_qk_rmsnorm_group_quant_kernelIDF16_N4opus5fp4_tELi256ELi16ELi4ELb0ELb1ELb0ELb0ELb0ELb0EEEvPT0_PvPT_S7_S7_PKS6_S9_S9_S9_S9_ffiiiiiiiiiiiii
		.amdhsa_group_segment_fixed_size 32
		.amdhsa_private_segment_fixed_size 0
		.amdhsa_kernarg_size 400
		.amdhsa_user_sgpr_count 6
		.amdhsa_user_sgpr_private_segment_buffer 1
		.amdhsa_user_sgpr_dispatch_ptr 0
		.amdhsa_user_sgpr_queue_ptr 0
		.amdhsa_user_sgpr_kernarg_segment_ptr 1
		.amdhsa_user_sgpr_dispatch_id 0
		.amdhsa_user_sgpr_flat_scratch_init 0
		.amdhsa_user_sgpr_kernarg_preload_length 0
		.amdhsa_user_sgpr_kernarg_preload_offset 0
		.amdhsa_user_sgpr_private_segment_size 0
		.amdhsa_uses_dynamic_stack 0
		.amdhsa_system_sgpr_private_segment_wavefront_offset 0
		.amdhsa_system_sgpr_workgroup_id_x 1
		.amdhsa_system_sgpr_workgroup_id_y 1
		.amdhsa_system_sgpr_workgroup_id_z 0
		.amdhsa_system_sgpr_workgroup_info 0
		.amdhsa_system_vgpr_workitem_id 0
		.amdhsa_next_free_vgpr 36
		.amdhsa_next_free_sgpr 36
		.amdhsa_accum_offset 36
		.amdhsa_reserve_vcc 1
		.amdhsa_reserve_flat_scratch 0
		.amdhsa_float_round_mode_32 0
		.amdhsa_float_round_mode_16_64 0
		.amdhsa_float_denorm_mode_32 3
		.amdhsa_float_denorm_mode_16_64 3
		.amdhsa_dx10_clamp 1
		.amdhsa_ieee_mode 1
		.amdhsa_fp16_overflow 0
		.amdhsa_tg_split 0
		.amdhsa_exception_fp_ieee_invalid_op 0
		.amdhsa_exception_fp_denorm_src 0
		.amdhsa_exception_fp_ieee_div_zero 0
		.amdhsa_exception_fp_ieee_overflow 0
		.amdhsa_exception_fp_ieee_underflow 0
		.amdhsa_exception_fp_ieee_inexact 0
		.amdhsa_exception_int_div_zero 0
	.end_amdhsa_kernel
	.section	.text._ZN5aiter35fused_qk_rmsnorm_group_quant_kernelIDF16_N4opus5fp4_tELi256ELi16ELi4ELb0ELb1ELb0ELb0ELb0ELb0EEEvPT0_PvPT_S7_S7_PKS6_S9_S9_S9_S9_ffiiiiiiiiiiiii,"axG",@progbits,_ZN5aiter35fused_qk_rmsnorm_group_quant_kernelIDF16_N4opus5fp4_tELi256ELi16ELi4ELb0ELb1ELb0ELb0ELb0ELb0EEEvPT0_PvPT_S7_S7_PKS6_S9_S9_S9_S9_ffiiiiiiiiiiiii,comdat
.Lfunc_end831:
	.size	_ZN5aiter35fused_qk_rmsnorm_group_quant_kernelIDF16_N4opus5fp4_tELi256ELi16ELi4ELb0ELb1ELb0ELb0ELb0ELb0EEEvPT0_PvPT_S7_S7_PKS6_S9_S9_S9_S9_ffiiiiiiiiiiiii, .Lfunc_end831-_ZN5aiter35fused_qk_rmsnorm_group_quant_kernelIDF16_N4opus5fp4_tELi256ELi16ELi4ELb0ELb1ELb0ELb0ELb0ELb0EEEvPT0_PvPT_S7_S7_PKS6_S9_S9_S9_S9_ffiiiiiiiiiiiii
                                        ; -- End function
	.section	.AMDGPU.csdata,"",@progbits
; Kernel info:
; codeLenInByte = 3336
; NumSgprs: 40
; NumVgprs: 36
; NumAgprs: 0
; TotalNumVgprs: 36
; ScratchSize: 0
; MemoryBound: 0
; FloatMode: 240
; IeeeMode: 1
; LDSByteSize: 32 bytes/workgroup (compile time only)
; SGPRBlocks: 4
; VGPRBlocks: 4
; NumSGPRsForWavesPerEU: 40
; NumVGPRsForWavesPerEU: 36
; AccumOffset: 36
; Occupancy: 8
; WaveLimiterHint : 0
; COMPUTE_PGM_RSRC2:SCRATCH_EN: 0
; COMPUTE_PGM_RSRC2:USER_SGPR: 6
; COMPUTE_PGM_RSRC2:TRAP_HANDLER: 0
; COMPUTE_PGM_RSRC2:TGID_X_EN: 1
; COMPUTE_PGM_RSRC2:TGID_Y_EN: 1
; COMPUTE_PGM_RSRC2:TGID_Z_EN: 0
; COMPUTE_PGM_RSRC2:TIDIG_COMP_CNT: 0
; COMPUTE_PGM_RSRC3_GFX90A:ACCUM_OFFSET: 8
; COMPUTE_PGM_RSRC3_GFX90A:TG_SPLIT: 0
	.section	.text._ZN5aiter35fused_qk_rmsnorm_group_quant_kernelItN4opus5fp4_tELi256ELi16ELi4ELb0ELb1ELb0ELb0ELb0ELb0EEEvPT0_PvPT_S7_S7_PKS6_S9_S9_S9_S9_ffiiiiiiiiiiiii,"axG",@progbits,_ZN5aiter35fused_qk_rmsnorm_group_quant_kernelItN4opus5fp4_tELi256ELi16ELi4ELb0ELb1ELb0ELb0ELb0ELb0EEEvPT0_PvPT_S7_S7_PKS6_S9_S9_S9_S9_ffiiiiiiiiiiiii,comdat
	.protected	_ZN5aiter35fused_qk_rmsnorm_group_quant_kernelItN4opus5fp4_tELi256ELi16ELi4ELb0ELb1ELb0ELb0ELb0ELb0EEEvPT0_PvPT_S7_S7_PKS6_S9_S9_S9_S9_ffiiiiiiiiiiiii ; -- Begin function _ZN5aiter35fused_qk_rmsnorm_group_quant_kernelItN4opus5fp4_tELi256ELi16ELi4ELb0ELb1ELb0ELb0ELb0ELb0EEEvPT0_PvPT_S7_S7_PKS6_S9_S9_S9_S9_ffiiiiiiiiiiiii
	.globl	_ZN5aiter35fused_qk_rmsnorm_group_quant_kernelItN4opus5fp4_tELi256ELi16ELi4ELb0ELb1ELb0ELb0ELb0ELb0EEEvPT0_PvPT_S7_S7_PKS6_S9_S9_S9_S9_ffiiiiiiiiiiiii
	.p2align	8
	.type	_ZN5aiter35fused_qk_rmsnorm_group_quant_kernelItN4opus5fp4_tELi256ELi16ELi4ELb0ELb1ELb0ELb0ELb0ELb0EEEvPT0_PvPT_S7_S7_PKS6_S9_S9_S9_S9_ffiiiiiiiiiiiii,@function
_ZN5aiter35fused_qk_rmsnorm_group_quant_kernelItN4opus5fp4_tELi256ELi16ELi4ELb0ELb1ELb0ELb0ELb0ELb0EEEvPT0_PvPT_S7_S7_PKS6_S9_S9_S9_S9_ffiiiiiiiiiiiii: ; @_ZN5aiter35fused_qk_rmsnorm_group_quant_kernelItN4opus5fp4_tELi256ELi16ELi4ELb0ELb1ELb0ELb0ELb0ELb0EEEvPT0_PvPT_S7_S7_PKS6_S9_S9_S9_S9_ffiiiiiiiiiiiii
; %bb.0:
	s_load_dwordx4 s[16:19], s[4:5], 0x50
	s_waitcnt lgkmcnt(0)
	s_cmp_ge_i32 s6, s18
	s_cbranch_scc1 .LBB832_12
; %bb.1:
	s_load_dwordx2 s[12:13], s[4:5], 0x48
	s_load_dwordx2 s[30:31], s[4:5], 0x30
	s_load_dwordx4 s[20:23], s[4:5], 0x60
	s_cmp_lg_u32 s7, 0
	s_cselect_b64 s[14:15], -1, 0
	s_cmp_eq_u32 s7, 0
	s_cselect_b64 vcc, -1, 0
	s_and_b64 s[0:1], vcc, exec
	s_waitcnt lgkmcnt(0)
	s_cselect_b32 s7, s19, s20
	s_add_i32 s0, s7, 1
	s_lshr_b32 s1, s0, 31
	s_add_i32 s0, s0, s1
	s_lshl_b32 s0, s0, 1
	v_lshlrev_b32_e32 v1, 4, v0
	s_and_b32 s10, s0, -4
	v_cmp_gt_i32_e64 s[2:3], s7, v1
	v_mov_b32_e32 v18, 0
	v_mov_b32_e32 v6, 0
	;; [unrolled: 1-line block ×17, first 2 shown]
	s_and_saveexec_b64 s[0:1], s[2:3]
	s_cbranch_execz .LBB832_3
; %bb.2:
	s_load_dwordx2 s[8:9], s[4:5], 0x28
	s_load_dwordx2 s[26:27], s[4:5], 0x40
	s_and_b64 s[24:25], vcc, exec
	s_cselect_b32 s11, s21, s22
	v_lshlrev_b32_e32 v19, 5, v0
	s_waitcnt lgkmcnt(0)
	s_cselect_b32 s18, s9, s31
	s_cselect_b32 s21, s8, s30
	s_mul_hi_i32 s9, s11, s6
	s_mul_i32 s8, s11, s6
	s_lshl_b64 s[8:9], s[8:9], 1
	s_add_u32 s24, s21, s8
	s_addc_u32 s18, s18, s9
	s_and_b64 s[8:9], vcc, exec
	s_mov_b32 s11, 0x20000
	s_cselect_b32 s8, s26, s12
	s_cselect_b32 s9, s27, s13
	s_and_b32 s25, s18, 0xffff
	s_mov_b32 s26, s10
	s_mov_b32 s27, s11
	s_and_b32 s9, s9, 0xffff
	buffer_load_dwordx4 v[14:17], v19, s[24:27], 0 offen
	buffer_load_dwordx4 v[10:13], v19, s[24:27], 16 offen
	;; [unrolled: 1-line block ×4, first 2 shown]
.LBB832_3:
	s_or_b64 exec, exec, s[0:1]
	v_mov_b32_e32 v19, 0
	v_mov_b32_e32 v24, 0
	v_mov_b32_e32 v25, 0
	v_mov_b32_e32 v20, 0
	v_mov_b32_e32 v21, 0
	v_mov_b32_e32 v22, 0
	v_mov_b32_e32 v23, 0
	v_mov_b32_e32 v32, 0
	v_mov_b32_e32 v33, 0
	v_mov_b32_e32 v30, 0
	v_mov_b32_e32 v31, 0
	v_mov_b32_e32 v26, 0
	v_mov_b32_e32 v27, 0
	v_mov_b32_e32 v28, 0
	v_mov_b32_e32 v29, 0
	s_and_saveexec_b64 s[0:1], s[2:3]
	s_cbranch_execz .LBB832_5
; %bb.4:
	s_waitcnt vmcnt(3)
	v_cvt_f32_u32_sdwa v18, v14 dst_sel:DWORD dst_unused:UNUSED_PAD src0_sel:WORD_0
	v_cvt_f32_u32_sdwa v19, v14 dst_sel:DWORD dst_unused:UNUSED_PAD src0_sel:WORD_1
	v_cvt_f32_u32_sdwa v24, v15 dst_sel:DWORD dst_unused:UNUSED_PAD src0_sel:WORD_0
	v_cvt_f32_u32_sdwa v25, v15 dst_sel:DWORD dst_unused:UNUSED_PAD src0_sel:WORD_1
	;; [unrolled: 2-line block ×4, first 2 shown]
	s_waitcnt vmcnt(2)
	v_cvt_f32_u32_sdwa v32, v10 dst_sel:DWORD dst_unused:UNUSED_PAD src0_sel:WORD_0
	v_cvt_f32_u32_sdwa v33, v10 dst_sel:DWORD dst_unused:UNUSED_PAD src0_sel:WORD_1
	v_cvt_f32_u32_sdwa v30, v11 dst_sel:DWORD dst_unused:UNUSED_PAD src0_sel:WORD_0
	v_cvt_f32_u32_sdwa v31, v11 dst_sel:DWORD dst_unused:UNUSED_PAD src0_sel:WORD_1
	;; [unrolled: 2-line block ×4, first 2 shown]
.LBB832_5:
	s_or_b64 exec, exec, s[0:1]
	s_waitcnt vmcnt(2)
	v_mul_f32_e32 v10, v19, v19
	v_fmac_f32_e32 v10, v18, v18
	v_fmac_f32_e32 v10, v24, v24
	;; [unrolled: 1-line block ×15, first 2 shown]
	v_and_b32_e32 v12, 63, v0
	v_cmp_eq_u32_e64 s[0:1], 63, v12
	v_mov_b32_dpp v11, v10 quad_perm:[1,0,3,2] row_mask:0xf bank_mask:0xf
	v_add_f32_e32 v10, v10, v11
	s_nop 1
	v_mov_b32_dpp v11, v10 quad_perm:[2,3,0,1] row_mask:0xf bank_mask:0xf
	v_add_f32_e32 v10, v10, v11
	s_nop 1
	v_mov_b32_dpp v11, v10 row_half_mirror row_mask:0xf bank_mask:0xf
	v_add_f32_e32 v10, v10, v11
	s_nop 1
	v_mov_b32_dpp v11, v10 row_mirror row_mask:0xf bank_mask:0xf
	v_add_f32_e32 v10, v10, v11
	s_nop 1
	v_mov_b32_dpp v11, v10 row_bcast:15 row_mask:0xf bank_mask:0xf
	v_add_f32_e32 v10, v10, v11
	s_nop 1
	v_mov_b32_dpp v11, v10 row_bcast:31 row_mask:0xf bank_mask:0xf
	s_and_saveexec_b64 s[8:9], s[0:1]
	s_cbranch_execz .LBB832_7
; %bb.6:
	v_add_f32_e32 v10, v10, v11
	v_lshrrev_b32_e32 v11, 4, v0
	v_and_b32_e32 v11, 60, v11
	ds_write_b32 v11, v10 offset:16
.LBB832_7:
	s_or_b64 exec, exec, s[8:9]
	v_and_b32_e32 v10, 3, v0
	v_lshlrev_b32_e32 v34, 2, v10
	s_waitcnt lgkmcnt(0)
	s_barrier
	ds_read_b32 v11, v34 offset:16
	s_load_dwordx2 s[28:29], s[4:5], 0x18
	s_waitcnt lgkmcnt(0)
	v_mov_b32_dpp v12, v11 quad_perm:[1,0,3,2] row_mask:0xf bank_mask:0xf
	v_add_f32_e32 v11, v11, v12
	s_nop 1
	v_mov_b32_dpp v12, v11 quad_perm:[2,3,0,1] row_mask:0xf bank_mask:0xf
	s_and_saveexec_b64 s[8:9], s[2:3]
	s_cbranch_execz .LBB832_9
; %bb.8:
	v_cvt_f32_u32_e32 v13, s7
	v_add_f32_e32 v11, v11, v12
	v_mov_b32_e32 v15, s17
	v_mov_b32_e32 v16, s16
	v_div_scale_f32 v12, s[24:25], v13, v13, v11
	v_rcp_f32_e32 v14, v12
	v_cndmask_b32_e32 v15, v15, v16, vcc
	s_mov_b32 s7, 0x800000
	v_fma_f32 v16, -v12, v14, 1.0
	v_fmac_f32_e32 v14, v16, v14
	v_div_scale_f32 v16, vcc, v11, v13, v11
	v_mul_f32_e32 v17, v16, v14
	v_fma_f32 v35, -v12, v17, v16
	v_fmac_f32_e32 v17, v35, v14
	v_fma_f32 v12, -v12, v17, v16
	v_div_fmas_f32 v12, v12, v14, v17
	v_div_fixup_f32 v11, v12, v13, v11
	v_add_f32_e32 v11, v15, v11
	v_mul_f32_e32 v12, 0x4b800000, v11
	v_cmp_gt_f32_e32 vcc, s7, v11
	v_cndmask_b32_e32 v11, v11, v12, vcc
	v_rsq_f32_e32 v11, v11
	v_mul_f32_e32 v12, 0x45800000, v11
	v_cndmask_b32_e32 v12, v11, v12, vcc
	v_mov_b32_e32 v13, v12
	;;#ASMSTART
	v_pk_mul_f32 v[14:15], v[18:19], v[12:13]
	;;#ASMEND
	;;#ASMSTART
	v_pk_mul_f32 v[16:17], v[24:25], v[12:13]
	;;#ASMEND
	;; [unrolled: 3-line block ×8, first 2 shown]
	s_waitcnt vmcnt(1)
	v_cvt_f32_u32_sdwa v19, v6 dst_sel:DWORD dst_unused:UNUSED_PAD src0_sel:WORD_1
	v_cvt_f32_u32_sdwa v18, v6 dst_sel:DWORD dst_unused:UNUSED_PAD src0_sel:WORD_0
	v_cvt_f32_u32_sdwa v25, v7 dst_sel:DWORD dst_unused:UNUSED_PAD src0_sel:WORD_1
	v_cvt_f32_u32_sdwa v24, v7 dst_sel:DWORD dst_unused:UNUSED_PAD src0_sel:WORD_0
	;; [unrolled: 2-line block ×4, first 2 shown]
	;;#ASMSTART
	v_pk_mul_f32 v[18:19], v[14:15], v[18:19]
	;;#ASMEND
	;;#ASMSTART
	v_pk_mul_f32 v[24:25], v[16:17], v[24:25]
	;;#ASMEND
	;; [unrolled: 3-line block ×4, first 2 shown]
	s_waitcnt vmcnt(0)
	v_cvt_f32_u32_sdwa v7, v2 dst_sel:DWORD dst_unused:UNUSED_PAD src0_sel:WORD_1
	v_cvt_f32_u32_sdwa v6, v2 dst_sel:DWORD dst_unused:UNUSED_PAD src0_sel:WORD_0
	v_cvt_f32_u32_sdwa v9, v3 dst_sel:DWORD dst_unused:UNUSED_PAD src0_sel:WORD_1
	v_cvt_f32_u32_sdwa v8, v3 dst_sel:DWORD dst_unused:UNUSED_PAD src0_sel:WORD_0
	;; [unrolled: 2-line block ×4, first 2 shown]
	;;#ASMSTART
	v_pk_mul_f32 v[32:33], v[32:33], v[6:7]
	;;#ASMEND
	;;#ASMSTART
	v_pk_mul_f32 v[30:31], v[30:31], v[8:9]
	;;#ASMEND
	;; [unrolled: 3-line block ×4, first 2 shown]
.LBB832_9:
	s_or_b64 exec, exec, s[8:9]
	s_load_dword s7, s[4:5], 0x80
	s_mov_b64 s[8:9], -1
	s_and_b64 vcc, exec, s[14:15]
	s_cbranch_vccnz .LBB832_13
; %bb.10:
	s_andn2_b64 vcc, exec, s[8:9]
	s_cbranch_vccz .LBB832_16
.LBB832_11:
	s_cmp_lt_i32 s20, 1
	s_cbranch_scc0 .LBB832_25
.LBB832_12:
	s_endpgm
.LBB832_13:
	s_and_saveexec_b64 s[14:15], s[2:3]
	s_cbranch_execz .LBB832_15
; %bb.14:
	s_waitcnt lgkmcnt(0)
	s_mul_hi_i32 s9, s7, s6
	s_mul_i32 s8, s7, s6
	s_lshl_b64 s[8:9], s[8:9], 1
	s_add_u32 s8, s28, s8
	s_addc_u32 s9, s29, s9
	s_mov_b32 s16, 0x7060302
	s_and_b32 s9, s9, 0xffff
	s_mov_b32 s11, 0x20000
	s_waitcnt vmcnt(0)
	v_perm_b32 v5, v23, v22, s16
	v_perm_b32 v4, v21, v20, s16
	;; [unrolled: 1-line block ×4, first 2 shown]
	v_lshlrev_b32_e32 v6, 5, v0
	buffer_store_dwordx4 v[2:5], v6, s[8:11], 0 offen
	;;#ASMSTART
	s_nop 0
	;;#ASMEND
	s_nop 0
	v_perm_b32 v5, v29, v28, s16
	v_perm_b32 v4, v27, v26, s16
	;; [unrolled: 1-line block ×4, first 2 shown]
	buffer_store_dwordx4 v[2:5], v6, s[8:11], 16 offen
	;;#ASMSTART
	s_nop 0
	;;#ASMEND
.LBB832_15:
	s_or_b64 exec, exec, s[14:15]
	s_cbranch_execnz .LBB832_11
.LBB832_16:
	s_load_dwordx4 s[24:27], s[4:5], 0x70
	s_waitcnt vmcnt(0)
	v_mov_b32_e32 v2, 0
	s_and_saveexec_b64 s[14:15], s[2:3]
	s_cbranch_execz .LBB832_18
; %bb.17:
	s_load_dwordx2 s[8:9], s[4:5], 0x10
	s_waitcnt lgkmcnt(0)
	s_mul_hi_i32 s35, s27, s6
	s_mul_i32 s34, s27, s6
	s_lshl_b64 s[34:35], s[34:35], 1
	s_mov_b32 s16, 0x7060302
	s_add_u32 s8, s8, s34
	s_addc_u32 s9, s9, s35
	s_mov_b32 s11, 0x20000
	s_and_b32 s9, s9, 0xffff
	v_perm_b32 v5, v23, v22, s16
	v_perm_b32 v4, v21, v20, s16
	;; [unrolled: 1-line block ×4, first 2 shown]
	v_lshlrev_b32_e32 v6, 5, v0
	buffer_store_dwordx4 v[2:5], v6, s[8:11], 0 offen
	;;#ASMSTART
	s_nop 0
	;;#ASMEND
	s_nop 0
	v_perm_b32 v5, v29, v28, s16
	v_perm_b32 v4, v27, v26, s16
	;; [unrolled: 1-line block ×4, first 2 shown]
	buffer_store_dwordx4 v[2:5], v6, s[8:11], 16 offen
	;;#ASMSTART
	s_nop 0
	;;#ASMEND
	s_nop 0
	v_mov_b32_e32 v2, 0x2edbe6ff
.LBB832_18:
	s_or_b64 exec, exec, s[14:15]
	s_and_saveexec_b64 s[8:9], s[2:3]
	s_cbranch_execz .LBB832_20
; %bb.19:
	v_and_b32_e32 v3, 0x7fffffff, v18
	v_and_b32_e32 v4, 0x7fffffff, v19
	;;#ASMSTART
	v_max3_f32 v2, v2, v3, v4

	;;#ASMEND
	v_and_b32_e32 v3, 0x7fffffff, v24
	v_and_b32_e32 v4, 0x7fffffff, v25
	;;#ASMSTART
	v_max3_f32 v2, v2, v3, v4

	;;#ASMEND
	v_and_b32_e32 v3, 0x7fffffff, v20
	v_and_b32_e32 v4, 0x7fffffff, v21
	;;#ASMSTART
	v_max3_f32 v2, v2, v3, v4

	;;#ASMEND
	v_and_b32_e32 v3, 0x7fffffff, v22
	v_and_b32_e32 v4, 0x7fffffff, v23
	;;#ASMSTART
	v_max3_f32 v2, v2, v3, v4

	;;#ASMEND
	v_and_b32_e32 v3, 0x7fffffff, v32
	v_and_b32_e32 v4, 0x7fffffff, v33
	;;#ASMSTART
	v_max3_f32 v2, v2, v3, v4

	;;#ASMEND
	v_and_b32_e32 v3, 0x7fffffff, v30
	v_and_b32_e32 v4, 0x7fffffff, v31
	;;#ASMSTART
	v_max3_f32 v2, v2, v3, v4

	;;#ASMEND
	v_and_b32_e32 v3, 0x7fffffff, v26
	v_and_b32_e32 v4, 0x7fffffff, v27
	;;#ASMSTART
	v_max3_f32 v2, v2, v3, v4

	;;#ASMEND
	v_and_b32_e32 v3, 0x7fffffff, v28
	v_and_b32_e32 v4, 0x7fffffff, v29
	;;#ASMSTART
	v_max3_f32 v2, v2, v3, v4

	;;#ASMEND
.LBB832_20:
	s_or_b64 exec, exec, s[8:9]
	v_cmp_eq_u32_e32 vcc, 0, v10
	v_cmp_gt_i32_e64 s[8:9], s19, v1
	s_and_b64 s[10:11], vcc, s[8:9]
	;;#ASMSTART
	v_max_f32 v3, v2, v2 quad_perm:[1,0,3,2] row_mask:0xf bank_mask:0xf bound_ctrl:1
	;;#ASMEND
	;;#ASMSTART
	v_max_f32 v2, v3, v3 quad_perm:[2,3,0,1] row_mask:0xf bank_mask:0xf bound_ctrl:1
	;;#ASMEND
	s_and_saveexec_b64 s[8:9], s[10:11]
	s_cbranch_execz .LBB832_22
; %bb.21:
	s_load_dwordx2 s[10:11], s[4:5], 0x8
	v_mul_f32_e32 v2, 0x3e2aaaab, v2
	v_lshrrev_b32_e32 v3, 23, v2
	v_and_b32_e32 v4, 0x7f800000, v2
	v_and_b32_e32 v2, 0x7fffff, v2
	v_cmp_ne_u32_e32 vcc, 0, v2
	s_waitcnt lgkmcnt(0)
	s_mul_i32 s16, s25, s6
	s_mov_b32 s14, 0x7f800000
	v_addc_co_u32_e32 v2, vcc, 0, v3, vcc
	s_mul_hi_i32 s15, s25, s6
	s_add_u32 s10, s10, s16
	v_cmp_ne_u32_e32 vcc, s14, v4
	s_addc_u32 s11, s11, s15
	v_lshrrev_b32_e32 v5, 2, v0
	v_cndmask_b32_e32 v4, -1, v2, vcc
	v_pk_mov_b32 v[2:3], s[10:11], s[10:11] op_sel:[0,1]
	v_mad_i64_i32 v[2:3], s[10:11], s26, v5, v[2:3]
	global_store_byte v[2:3], v4, off
.LBB832_22:
	s_or_b64 exec, exec, s[8:9]
	s_and_saveexec_b64 s[8:9], s[2:3]
	s_cbranch_execz .LBB832_24
; %bb.23:
	s_load_dwordx2 s[2:3], s[4:5], 0x0
	s_waitcnt lgkmcnt(0)
	s_mul_i32 s11, s24, s6
	s_mul_hi_i32 s10, s24, s6
	v_mov_b32_e32 v2, 0
	v_lshlrev_b32_e32 v4, 3, v0
	s_add_u32 s24, s2, s11
	s_addc_u32 s2, s3, s10
	s_lshr_b32 s3, s19, 31
	s_add_i32 s3, s19, s3
	s_ashr_i32 s3, s3, 1
	s_add_i32 s3, s3, 3
	s_ashr_i32 s10, s3, 31
	s_lshr_b32 s10, s10, 30
	s_add_i32 s3, s3, s10
	s_and_b32 s26, s3, -4
	s_and_b32 s25, s2, 0xffff
	s_mov_b32 s27, 0x20000
	v_mov_b32_e32 v3, v2
	buffer_store_dwordx2 v[2:3], v4, s[24:27], 0 offen
	;;#ASMSTART
	s_nop 0
	;;#ASMEND
.LBB832_24:
	s_or_b64 exec, exec, s[8:9]
	s_cmp_lt_i32 s20, 1
	s_cbranch_scc1 .LBB832_12
.LBB832_25:
	s_load_dword s2, s[4:5], 0x94
	s_waitcnt lgkmcnt(0)
	s_cmp_lg_u32 s2, 1
	s_cbranch_scc1 .LBB832_12
; %bb.26:
	s_lshl_b32 s2, s20, 1
	s_add_i32 s2, s2, 2
	v_cmp_gt_u32_e32 vcc, s20, v1
	s_and_b32 s14, s2, -4
	v_mov_b32_e32 v18, 0
	v_lshlrev_b32_e32 v1, 5, v0
	v_mov_b32_e32 v14, 0
	v_mov_b32_e32 v15, 0
	;; [unrolled: 1-line block ×8, first 2 shown]
	s_waitcnt vmcnt(1)
	v_mov_b32_e32 v6, 0
	v_mov_b32_e32 v7, 0
	;; [unrolled: 1-line block ×4, first 2 shown]
	s_waitcnt vmcnt(0)
	v_mov_b32_e32 v2, 0
	v_mov_b32_e32 v3, 0
	;; [unrolled: 1-line block ×4, first 2 shown]
	s_barrier
	s_and_saveexec_b64 s[2:3], vcc
	s_cbranch_execz .LBB832_28
; %bb.27:
	s_mul_hi_i32 s5, s22, s6
	s_mul_i32 s4, s22, s6
	s_and_b32 s13, s13, 0xffff
	s_lshl_b64 s[4:5], s[4:5], 1
	s_add_u32 s8, s30, s4
	s_mov_b32 s15, 0x20000
	s_addc_u32 s4, s31, s5
	s_and_b32 s9, s4, 0xffff
	s_mov_b32 s10, s14
	s_mov_b32 s11, s15
	buffer_load_dwordx4 v[14:17], v1, s[8:11], 0 offen
	buffer_load_dwordx4 v[10:13], v1, s[8:11], 16 offen
	;; [unrolled: 1-line block ×4, first 2 shown]
.LBB832_28:
	s_or_b64 exec, exec, s[2:3]
	v_mov_b32_e32 v19, 0
	v_mov_b32_e32 v32, 0
	;; [unrolled: 1-line block ×15, first 2 shown]
	s_and_saveexec_b64 s[2:3], vcc
	s_cbranch_execz .LBB832_30
; %bb.29:
	s_waitcnt vmcnt(3)
	v_cvt_f32_u32_sdwa v18, v14 dst_sel:DWORD dst_unused:UNUSED_PAD src0_sel:WORD_0
	v_cvt_f32_u32_sdwa v19, v14 dst_sel:DWORD dst_unused:UNUSED_PAD src0_sel:WORD_1
	v_cvt_f32_u32_sdwa v32, v15 dst_sel:DWORD dst_unused:UNUSED_PAD src0_sel:WORD_0
	v_cvt_f32_u32_sdwa v33, v15 dst_sel:DWORD dst_unused:UNUSED_PAD src0_sel:WORD_1
	;; [unrolled: 2-line block ×4, first 2 shown]
	s_waitcnt vmcnt(2)
	v_cvt_f32_u32_sdwa v26, v10 dst_sel:DWORD dst_unused:UNUSED_PAD src0_sel:WORD_0
	v_cvt_f32_u32_sdwa v27, v10 dst_sel:DWORD dst_unused:UNUSED_PAD src0_sel:WORD_1
	v_cvt_f32_u32_sdwa v24, v11 dst_sel:DWORD dst_unused:UNUSED_PAD src0_sel:WORD_0
	v_cvt_f32_u32_sdwa v25, v11 dst_sel:DWORD dst_unused:UNUSED_PAD src0_sel:WORD_1
	;; [unrolled: 2-line block ×4, first 2 shown]
.LBB832_30:
	s_or_b64 exec, exec, s[2:3]
	s_waitcnt vmcnt(2)
	v_mul_f32_e32 v10, v19, v19
	v_fmac_f32_e32 v10, v18, v18
	v_fmac_f32_e32 v10, v32, v32
	;; [unrolled: 1-line block ×15, first 2 shown]
	s_nop 1
	v_mov_b32_dpp v11, v10 quad_perm:[1,0,3,2] row_mask:0xf bank_mask:0xf
	v_add_f32_e32 v10, v10, v11
	s_nop 1
	v_mov_b32_dpp v11, v10 quad_perm:[2,3,0,1] row_mask:0xf bank_mask:0xf
	v_add_f32_e32 v10, v10, v11
	s_nop 1
	v_mov_b32_dpp v11, v10 row_half_mirror row_mask:0xf bank_mask:0xf
	v_add_f32_e32 v10, v10, v11
	s_nop 1
	v_mov_b32_dpp v11, v10 row_mirror row_mask:0xf bank_mask:0xf
	v_add_f32_e32 v10, v10, v11
	s_nop 1
	v_mov_b32_dpp v11, v10 row_bcast:15 row_mask:0xf bank_mask:0xf
	v_add_f32_e32 v10, v10, v11
	s_nop 1
	v_mov_b32_dpp v11, v10 row_bcast:31 row_mask:0xf bank_mask:0xf
	s_and_saveexec_b64 s[2:3], s[0:1]
	s_cbranch_execz .LBB832_32
; %bb.31:
	v_lshrrev_b32_e32 v0, 4, v0
	v_add_f32_e32 v10, v10, v11
	v_and_b32_e32 v0, 60, v0
	ds_write_b32 v0, v10
.LBB832_32:
	s_or_b64 exec, exec, s[2:3]
	s_waitcnt lgkmcnt(0)
	s_barrier
	ds_read_b32 v0, v34
	s_waitcnt lgkmcnt(0)
	s_nop 0
	v_mov_b32_dpp v10, v0 quad_perm:[1,0,3,2] row_mask:0xf bank_mask:0xf
	v_add_f32_e32 v0, v0, v10
	s_nop 1
	v_mov_b32_dpp v10, v0 quad_perm:[2,3,0,1] row_mask:0xf bank_mask:0xf
	s_and_saveexec_b64 s[0:1], vcc
	s_cbranch_execz .LBB832_12
; %bb.33:
	v_cvt_f32_u32_e32 v11, s20
	v_add_f32_e32 v0, v0, v10
	s_mov_b32 s15, 0x20000
	v_div_scale_f32 v10, s[0:1], v11, v11, v0
	v_rcp_f32_e32 v12, v10
	v_div_scale_f32 v13, vcc, v0, v11, v0
	s_mov_b32 s0, 0x800000
	v_fma_f32 v14, -v10, v12, 1.0
	v_fmac_f32_e32 v12, v14, v12
	v_mul_f32_e32 v14, v13, v12
	v_fma_f32 v15, -v10, v14, v13
	v_fmac_f32_e32 v14, v15, v12
	v_fma_f32 v10, -v10, v14, v13
	v_div_fmas_f32 v10, v10, v12, v14
	v_div_fixup_f32 v0, v10, v11, v0
	v_add_f32_e32 v0, s17, v0
	v_mul_f32_e32 v10, 0x4b800000, v0
	v_cmp_gt_f32_e32 vcc, s0, v0
	v_cndmask_b32_e32 v0, v0, v10, vcc
	v_rsq_f32_e32 v0, v0
	s_mul_hi_i32 s1, s7, s6
	s_mul_i32 s0, s7, s6
	s_lshl_b64 s[0:1], s[0:1], 1
	v_mul_f32_e32 v10, 0x45800000, v0
	v_cndmask_b32_e32 v10, v0, v10, vcc
	v_mov_b32_e32 v11, v10
	s_add_u32 s12, s28, s0
	;;#ASMSTART
	v_pk_mul_f32 v[12:13], v[18:19], v[10:11]
	;;#ASMEND
	;;#ASMSTART
	v_pk_mul_f32 v[14:15], v[32:33], v[10:11]
	;;#ASMEND
	;; [unrolled: 3-line block ×8, first 2 shown]
	s_waitcnt vmcnt(1)
	v_cvt_f32_u32_sdwa v21, v6 dst_sel:DWORD dst_unused:UNUSED_PAD src0_sel:WORD_1
	v_cvt_f32_u32_sdwa v20, v6 dst_sel:DWORD dst_unused:UNUSED_PAD src0_sel:WORD_0
	v_cvt_f32_u32_sdwa v29, v7 dst_sel:DWORD dst_unused:UNUSED_PAD src0_sel:WORD_1
	v_cvt_f32_u32_sdwa v28, v7 dst_sel:DWORD dst_unused:UNUSED_PAD src0_sel:WORD_0
	;; [unrolled: 2-line block ×3, first 2 shown]
	s_addc_u32 s0, s29, s1
	v_cvt_f32_u32_sdwa v31, v9 dst_sel:DWORD dst_unused:UNUSED_PAD src0_sel:WORD_1
	v_cvt_f32_u32_sdwa v30, v9 dst_sel:DWORD dst_unused:UNUSED_PAD src0_sel:WORD_0
	;;#ASMSTART
	v_pk_mul_f32 v[8:9], v[12:13], v[20:21]
	;;#ASMEND
	;;#ASMSTART
	v_pk_mul_f32 v[12:13], v[14:15], v[28:29]
	;;#ASMEND
	;; [unrolled: 3-line block ×4, first 2 shown]
	s_waitcnt vmcnt(0)
	v_cvt_f32_u32_sdwa v17, v2 dst_sel:DWORD dst_unused:UNUSED_PAD src0_sel:WORD_1
	v_cvt_f32_u32_sdwa v16, v2 dst_sel:DWORD dst_unused:UNUSED_PAD src0_sel:WORD_0
	v_cvt_f32_u32_sdwa v19, v3 dst_sel:DWORD dst_unused:UNUSED_PAD src0_sel:WORD_1
	v_cvt_f32_u32_sdwa v18, v3 dst_sel:DWORD dst_unused:UNUSED_PAD src0_sel:WORD_0
	;; [unrolled: 2-line block ×3, first 2 shown]
	s_and_b32 s13, s0, 0xffff
	s_mov_b32 s0, 0x7060302
	v_cvt_f32_u32_sdwa v21, v5 dst_sel:DWORD dst_unused:UNUSED_PAD src0_sel:WORD_1
	v_cvt_f32_u32_sdwa v20, v5 dst_sel:DWORD dst_unused:UNUSED_PAD src0_sel:WORD_0
	;;#ASMSTART
	v_pk_mul_f32 v[16:17], v[26:27], v[16:17]
	;;#ASMEND
	;;#ASMSTART
	v_pk_mul_f32 v[18:19], v[24:25], v[18:19]
	;;#ASMEND
	;; [unrolled: 3-line block ×3, first 2 shown]
	v_perm_b32 v2, v9, v8, s0
	v_perm_b32 v3, v13, v12, s0
	;; [unrolled: 1-line block ×4, first 2 shown]
	;;#ASMSTART
	v_pk_mul_f32 v[10:11], v[10:11], v[20:21]
	;;#ASMEND
	buffer_store_dwordx4 v[2:5], v1, s[12:15], 0 offen
	;;#ASMSTART
	s_nop 0
	;;#ASMEND
	s_nop 0
	v_perm_b32 v2, v17, v16, s0
	v_perm_b32 v3, v19, v18, s0
	;; [unrolled: 1-line block ×4, first 2 shown]
	buffer_store_dwordx4 v[2:5], v1, s[12:15], 16 offen
	;;#ASMSTART
	s_nop 0
	;;#ASMEND
	s_endpgm
	.section	.rodata,"a",@progbits
	.p2align	6, 0x0
	.amdhsa_kernel _ZN5aiter35fused_qk_rmsnorm_group_quant_kernelItN4opus5fp4_tELi256ELi16ELi4ELb0ELb1ELb0ELb0ELb0ELb0EEEvPT0_PvPT_S7_S7_PKS6_S9_S9_S9_S9_ffiiiiiiiiiiiii
		.amdhsa_group_segment_fixed_size 32
		.amdhsa_private_segment_fixed_size 0
		.amdhsa_kernarg_size 400
		.amdhsa_user_sgpr_count 6
		.amdhsa_user_sgpr_private_segment_buffer 1
		.amdhsa_user_sgpr_dispatch_ptr 0
		.amdhsa_user_sgpr_queue_ptr 0
		.amdhsa_user_sgpr_kernarg_segment_ptr 1
		.amdhsa_user_sgpr_dispatch_id 0
		.amdhsa_user_sgpr_flat_scratch_init 0
		.amdhsa_user_sgpr_kernarg_preload_length 0
		.amdhsa_user_sgpr_kernarg_preload_offset 0
		.amdhsa_user_sgpr_private_segment_size 0
		.amdhsa_uses_dynamic_stack 0
		.amdhsa_system_sgpr_private_segment_wavefront_offset 0
		.amdhsa_system_sgpr_workgroup_id_x 1
		.amdhsa_system_sgpr_workgroup_id_y 1
		.amdhsa_system_sgpr_workgroup_id_z 0
		.amdhsa_system_sgpr_workgroup_info 0
		.amdhsa_system_vgpr_workitem_id 0
		.amdhsa_next_free_vgpr 36
		.amdhsa_next_free_sgpr 36
		.amdhsa_accum_offset 36
		.amdhsa_reserve_vcc 1
		.amdhsa_reserve_flat_scratch 0
		.amdhsa_float_round_mode_32 0
		.amdhsa_float_round_mode_16_64 0
		.amdhsa_float_denorm_mode_32 3
		.amdhsa_float_denorm_mode_16_64 3
		.amdhsa_dx10_clamp 1
		.amdhsa_ieee_mode 1
		.amdhsa_fp16_overflow 0
		.amdhsa_tg_split 0
		.amdhsa_exception_fp_ieee_invalid_op 0
		.amdhsa_exception_fp_denorm_src 0
		.amdhsa_exception_fp_ieee_div_zero 0
		.amdhsa_exception_fp_ieee_overflow 0
		.amdhsa_exception_fp_ieee_underflow 0
		.amdhsa_exception_fp_ieee_inexact 0
		.amdhsa_exception_int_div_zero 0
	.end_amdhsa_kernel
	.section	.text._ZN5aiter35fused_qk_rmsnorm_group_quant_kernelItN4opus5fp4_tELi256ELi16ELi4ELb0ELb1ELb0ELb0ELb0ELb0EEEvPT0_PvPT_S7_S7_PKS6_S9_S9_S9_S9_ffiiiiiiiiiiiii,"axG",@progbits,_ZN5aiter35fused_qk_rmsnorm_group_quant_kernelItN4opus5fp4_tELi256ELi16ELi4ELb0ELb1ELb0ELb0ELb0ELb0EEEvPT0_PvPT_S7_S7_PKS6_S9_S9_S9_S9_ffiiiiiiiiiiiii,comdat
.Lfunc_end832:
	.size	_ZN5aiter35fused_qk_rmsnorm_group_quant_kernelItN4opus5fp4_tELi256ELi16ELi4ELb0ELb1ELb0ELb0ELb0ELb0EEEvPT0_PvPT_S7_S7_PKS6_S9_S9_S9_S9_ffiiiiiiiiiiiii, .Lfunc_end832-_ZN5aiter35fused_qk_rmsnorm_group_quant_kernelItN4opus5fp4_tELi256ELi16ELi4ELb0ELb1ELb0ELb0ELb0ELb0EEEvPT0_PvPT_S7_S7_PKS6_S9_S9_S9_S9_ffiiiiiiiiiiiii
                                        ; -- End function
	.section	.AMDGPU.csdata,"",@progbits
; Kernel info:
; codeLenInByte = 3308
; NumSgprs: 40
; NumVgprs: 36
; NumAgprs: 0
; TotalNumVgprs: 36
; ScratchSize: 0
; MemoryBound: 0
; FloatMode: 240
; IeeeMode: 1
; LDSByteSize: 32 bytes/workgroup (compile time only)
; SGPRBlocks: 4
; VGPRBlocks: 4
; NumSGPRsForWavesPerEU: 40
; NumVGPRsForWavesPerEU: 36
; AccumOffset: 36
; Occupancy: 8
; WaveLimiterHint : 0
; COMPUTE_PGM_RSRC2:SCRATCH_EN: 0
; COMPUTE_PGM_RSRC2:USER_SGPR: 6
; COMPUTE_PGM_RSRC2:TRAP_HANDLER: 0
; COMPUTE_PGM_RSRC2:TGID_X_EN: 1
; COMPUTE_PGM_RSRC2:TGID_Y_EN: 1
; COMPUTE_PGM_RSRC2:TGID_Z_EN: 0
; COMPUTE_PGM_RSRC2:TIDIG_COMP_CNT: 0
; COMPUTE_PGM_RSRC3_GFX90A:ACCUM_OFFSET: 8
; COMPUTE_PGM_RSRC3_GFX90A:TG_SPLIT: 0
	.section	.text._ZN5aiter35fused_qk_rmsnorm_group_quant_kernelIDF16_DB8_Li256ELi16ELi4ELb0ELb0ELb1ELb0ELb0ELb0EEEvPT0_PvPT_S6_S6_PKS5_S8_S8_S8_S8_ffiiiiiiiiiiiii,"axG",@progbits,_ZN5aiter35fused_qk_rmsnorm_group_quant_kernelIDF16_DB8_Li256ELi16ELi4ELb0ELb0ELb1ELb0ELb0ELb0EEEvPT0_PvPT_S6_S6_PKS5_S8_S8_S8_S8_ffiiiiiiiiiiiii,comdat
	.protected	_ZN5aiter35fused_qk_rmsnorm_group_quant_kernelIDF16_DB8_Li256ELi16ELi4ELb0ELb0ELb1ELb0ELb0ELb0EEEvPT0_PvPT_S6_S6_PKS5_S8_S8_S8_S8_ffiiiiiiiiiiiii ; -- Begin function _ZN5aiter35fused_qk_rmsnorm_group_quant_kernelIDF16_DB8_Li256ELi16ELi4ELb0ELb0ELb1ELb0ELb0ELb0EEEvPT0_PvPT_S6_S6_PKS5_S8_S8_S8_S8_ffiiiiiiiiiiiii
	.globl	_ZN5aiter35fused_qk_rmsnorm_group_quant_kernelIDF16_DB8_Li256ELi16ELi4ELb0ELb0ELb1ELb0ELb0ELb0EEEvPT0_PvPT_S6_S6_PKS5_S8_S8_S8_S8_ffiiiiiiiiiiiii
	.p2align	8
	.type	_ZN5aiter35fused_qk_rmsnorm_group_quant_kernelIDF16_DB8_Li256ELi16ELi4ELb0ELb0ELb1ELb0ELb0ELb0EEEvPT0_PvPT_S6_S6_PKS5_S8_S8_S8_S8_ffiiiiiiiiiiiii,@function
_ZN5aiter35fused_qk_rmsnorm_group_quant_kernelIDF16_DB8_Li256ELi16ELi4ELb0ELb0ELb1ELb0ELb0ELb0EEEvPT0_PvPT_S6_S6_PKS5_S8_S8_S8_S8_ffiiiiiiiiiiiii: ; @_ZN5aiter35fused_qk_rmsnorm_group_quant_kernelIDF16_DB8_Li256ELi16ELi4ELb0ELb0ELb1ELb0ELb0ELb0EEEvPT0_PvPT_S6_S6_PKS5_S8_S8_S8_S8_ffiiiiiiiiiiiii
; %bb.0:
	s_load_dwordx4 s[16:19], s[4:5], 0x50
	s_waitcnt lgkmcnt(0)
	s_cmp_ge_i32 s6, s18
	s_cbranch_scc1 .LBB833_12
; %bb.1:
	s_load_dwordx2 s[12:13], s[4:5], 0x48
	s_load_dwordx2 s[30:31], s[4:5], 0x30
	s_load_dwordx4 s[20:23], s[4:5], 0x60
	s_cmp_lg_u32 s7, 0
	s_cselect_b64 s[14:15], -1, 0
	s_cmp_eq_u32 s7, 0
	s_cselect_b64 vcc, -1, 0
	s_and_b64 s[0:1], vcc, exec
	s_waitcnt lgkmcnt(0)
	s_cselect_b32 s7, s19, s20
	s_add_i32 s0, s7, 1
	s_lshr_b32 s1, s0, 31
	s_add_i32 s0, s0, s1
	s_lshl_b32 s0, s0, 1
	v_lshlrev_b32_e32 v1, 4, v0
	s_and_b32 s10, s0, -4
	v_cmp_gt_i32_e64 s[2:3], s7, v1
	v_mov_b32_e32 v18, 0
	v_mov_b32_e32 v6, 0
	;; [unrolled: 1-line block ×17, first 2 shown]
	s_and_saveexec_b64 s[0:1], s[2:3]
	s_cbranch_execz .LBB833_3
; %bb.2:
	s_load_dwordx2 s[8:9], s[4:5], 0x28
	s_load_dwordx2 s[26:27], s[4:5], 0x40
	s_and_b64 s[24:25], vcc, exec
	s_cselect_b32 s11, s21, s22
	v_lshlrev_b32_e32 v19, 5, v0
	s_waitcnt lgkmcnt(0)
	s_cselect_b32 s18, s9, s31
	s_cselect_b32 s21, s8, s30
	s_mul_hi_i32 s9, s11, s6
	s_mul_i32 s8, s11, s6
	s_lshl_b64 s[8:9], s[8:9], 1
	s_add_u32 s24, s21, s8
	s_addc_u32 s18, s18, s9
	s_and_b64 s[8:9], vcc, exec
	s_mov_b32 s11, 0x20000
	s_cselect_b32 s8, s26, s12
	s_cselect_b32 s9, s27, s13
	s_and_b32 s25, s18, 0xffff
	s_mov_b32 s26, s10
	s_mov_b32 s27, s11
	s_and_b32 s9, s9, 0xffff
	buffer_load_dwordx4 v[14:17], v19, s[24:27], 0 offen
	buffer_load_dwordx4 v[10:13], v19, s[24:27], 16 offen
	;; [unrolled: 1-line block ×4, first 2 shown]
.LBB833_3:
	s_or_b64 exec, exec, s[0:1]
	v_mov_b32_e32 v19, 0
	v_mov_b32_e32 v32, 0
	;; [unrolled: 1-line block ×15, first 2 shown]
	s_and_saveexec_b64 s[0:1], s[2:3]
	s_cbranch_execz .LBB833_5
; %bb.4:
	s_waitcnt vmcnt(3)
	v_cvt_f32_f16_sdwa v19, v14 dst_sel:DWORD dst_unused:UNUSED_PAD src0_sel:WORD_1
	v_cvt_f32_f16_e32 v18, v14
	v_cvt_f32_f16_sdwa v33, v15 dst_sel:DWORD dst_unused:UNUSED_PAD src0_sel:WORD_1
	v_cvt_f32_f16_e32 v32, v15
	;; [unrolled: 2-line block ×4, first 2 shown]
	s_waitcnt vmcnt(2)
	v_cvt_f32_f16_sdwa v25, v10 dst_sel:DWORD dst_unused:UNUSED_PAD src0_sel:WORD_1
	v_cvt_f32_f16_e32 v24, v10
	v_cvt_f32_f16_sdwa v29, v11 dst_sel:DWORD dst_unused:UNUSED_PAD src0_sel:WORD_1
	v_cvt_f32_f16_e32 v28, v11
	;; [unrolled: 2-line block ×4, first 2 shown]
.LBB833_5:
	s_or_b64 exec, exec, s[0:1]
	s_waitcnt vmcnt(2)
	v_mul_f32_e32 v10, v19, v19
	v_fmac_f32_e32 v10, v18, v18
	v_fmac_f32_e32 v10, v32, v32
	;; [unrolled: 1-line block ×15, first 2 shown]
	v_and_b32_e32 v12, 63, v0
	v_cmp_eq_u32_e64 s[0:1], 63, v12
	v_mov_b32_dpp v11, v10 quad_perm:[1,0,3,2] row_mask:0xf bank_mask:0xf
	v_add_f32_e32 v10, v10, v11
	s_nop 1
	v_mov_b32_dpp v11, v10 quad_perm:[2,3,0,1] row_mask:0xf bank_mask:0xf
	v_add_f32_e32 v10, v10, v11
	s_nop 1
	v_mov_b32_dpp v11, v10 row_half_mirror row_mask:0xf bank_mask:0xf
	v_add_f32_e32 v10, v10, v11
	s_nop 1
	v_mov_b32_dpp v11, v10 row_mirror row_mask:0xf bank_mask:0xf
	v_add_f32_e32 v10, v10, v11
	s_nop 1
	v_mov_b32_dpp v11, v10 row_bcast:15 row_mask:0xf bank_mask:0xf
	v_add_f32_e32 v10, v10, v11
	s_nop 1
	v_mov_b32_dpp v11, v10 row_bcast:31 row_mask:0xf bank_mask:0xf
	s_and_saveexec_b64 s[8:9], s[0:1]
	s_cbranch_execz .LBB833_7
; %bb.6:
	v_add_f32_e32 v10, v10, v11
	v_lshrrev_b32_e32 v11, 4, v0
	v_and_b32_e32 v11, 60, v11
	ds_write_b32 v11, v10 offset:16
.LBB833_7:
	s_or_b64 exec, exec, s[8:9]
	v_and_b32_e32 v10, 3, v0
	v_lshlrev_b32_e32 v34, 2, v10
	s_waitcnt lgkmcnt(0)
	s_barrier
	ds_read_b32 v11, v34 offset:16
	s_load_dwordx2 s[28:29], s[4:5], 0x18
	s_waitcnt lgkmcnt(0)
	v_mov_b32_dpp v12, v11 quad_perm:[1,0,3,2] row_mask:0xf bank_mask:0xf
	v_add_f32_e32 v11, v11, v12
	s_nop 1
	v_mov_b32_dpp v12, v11 quad_perm:[2,3,0,1] row_mask:0xf bank_mask:0xf
	s_and_saveexec_b64 s[8:9], s[2:3]
	s_cbranch_execz .LBB833_9
; %bb.8:
	v_cvt_f32_u32_e32 v13, s7
	v_add_f32_e32 v11, v11, v12
	v_mov_b32_e32 v15, s17
	v_mov_b32_e32 v16, s16
	v_div_scale_f32 v12, s[24:25], v13, v13, v11
	v_rcp_f32_e32 v14, v12
	v_cndmask_b32_e32 v15, v15, v16, vcc
	s_mov_b32 s7, 0x800000
	v_fma_f32 v16, -v12, v14, 1.0
	v_fmac_f32_e32 v14, v16, v14
	v_div_scale_f32 v16, vcc, v11, v13, v11
	v_mul_f32_e32 v17, v16, v14
	v_fma_f32 v35, -v12, v17, v16
	v_fmac_f32_e32 v17, v35, v14
	v_fma_f32 v12, -v12, v17, v16
	v_div_fmas_f32 v12, v12, v14, v17
	v_div_fixup_f32 v11, v12, v13, v11
	v_add_f32_e32 v11, v15, v11
	v_mul_f32_e32 v12, 0x4b800000, v11
	v_cmp_gt_f32_e32 vcc, s7, v11
	v_cndmask_b32_e32 v11, v11, v12, vcc
	v_rsq_f32_e32 v11, v11
	v_mul_f32_e32 v12, 0x45800000, v11
	v_cndmask_b32_e32 v12, v11, v12, vcc
	v_mov_b32_e32 v13, v12
	;;#ASMSTART
	v_pk_mul_f32 v[14:15], v[18:19], v[12:13]
	;;#ASMEND
	s_waitcnt vmcnt(1)
	v_cvt_f32_f16_sdwa v19, v6 dst_sel:DWORD dst_unused:UNUSED_PAD src0_sel:WORD_1
	v_cvt_f32_f16_e32 v18, v6
	;;#ASMSTART
	v_pk_mul_f32 v[16:17], v[32:33], v[12:13]
	;;#ASMEND
	v_cvt_f32_f16_sdwa v33, v7 dst_sel:DWORD dst_unused:UNUSED_PAD src0_sel:WORD_1
	v_cvt_f32_f16_e32 v32, v7
	;;#ASMSTART
	v_pk_mul_f32 v[26:27], v[26:27], v[12:13]
	;;#ASMEND
	;;#ASMSTART
	v_pk_mul_f32 v[30:31], v[30:31], v[12:13]
	;;#ASMEND
	;;#ASMSTART
	v_pk_mul_f32 v[24:25], v[24:25], v[12:13]
	;;#ASMEND
	;;#ASMSTART
	v_pk_mul_f32 v[28:29], v[28:29], v[12:13]
	;;#ASMEND
	;;#ASMSTART
	v_pk_mul_f32 v[22:23], v[22:23], v[12:13]
	;;#ASMEND
	;;#ASMSTART
	v_pk_mul_f32 v[6:7], v[20:21], v[12:13]
	;;#ASMEND
	v_pk_add_f32 v[12:13], v[18:19], 1.0 op_sel_hi:[1,0]
	;;#ASMSTART
	v_pk_mul_f32 v[18:19], v[14:15], v[12:13]
	;;#ASMEND
	v_cvt_f32_f16_sdwa v15, v8 dst_sel:DWORD dst_unused:UNUSED_PAD src0_sel:WORD_1
	v_cvt_f32_f16_e32 v14, v8
	v_cvt_f32_f16_sdwa v21, v9 dst_sel:DWORD dst_unused:UNUSED_PAD src0_sel:WORD_1
	v_cvt_f32_f16_e32 v20, v9
	v_pk_add_f32 v[12:13], v[32:33], 1.0 op_sel_hi:[1,0]
	;;#ASMSTART
	v_pk_mul_f32 v[32:33], v[16:17], v[12:13]
	;;#ASMEND
	s_waitcnt vmcnt(0)
	v_cvt_f32_f16_sdwa v13, v2 dst_sel:DWORD dst_unused:UNUSED_PAD src0_sel:WORD_1
	v_cvt_f32_f16_e32 v12, v2
	v_pk_add_f32 v[8:9], v[14:15], 1.0 op_sel_hi:[1,0]
	;;#ASMSTART
	v_pk_mul_f32 v[26:27], v[26:27], v[8:9]
	;;#ASMEND
	v_pk_add_f32 v[8:9], v[20:21], 1.0 op_sel_hi:[1,0]
	v_cvt_f32_f16_sdwa v15, v3 dst_sel:DWORD dst_unused:UNUSED_PAD src0_sel:WORD_1
	v_cvt_f32_f16_e32 v14, v3
	;;#ASMSTART
	v_pk_mul_f32 v[30:31], v[30:31], v[8:9]
	;;#ASMEND
	v_cvt_f32_f16_sdwa v9, v4 dst_sel:DWORD dst_unused:UNUSED_PAD src0_sel:WORD_1
	v_cvt_f32_f16_e32 v8, v4
	v_pk_add_f32 v[2:3], v[12:13], 1.0 op_sel_hi:[1,0]
	v_cvt_f32_f16_sdwa v13, v5 dst_sel:DWORD dst_unused:UNUSED_PAD src0_sel:WORD_1
	v_cvt_f32_f16_e32 v12, v5
	;;#ASMSTART
	v_pk_mul_f32 v[24:25], v[24:25], v[2:3]
	;;#ASMEND
	v_pk_add_f32 v[2:3], v[14:15], 1.0 op_sel_hi:[1,0]
	;;#ASMSTART
	v_pk_mul_f32 v[28:29], v[28:29], v[2:3]
	;;#ASMEND
	v_pk_add_f32 v[2:3], v[8:9], 1.0 op_sel_hi:[1,0]
	;; [unrolled: 4-line block ×3, first 2 shown]
	;;#ASMSTART
	v_pk_mul_f32 v[20:21], v[6:7], v[2:3]
	;;#ASMEND
.LBB833_9:
	s_or_b64 exec, exec, s[8:9]
	s_load_dword s7, s[4:5], 0x80
	s_mov_b64 s[8:9], -1
	s_and_b64 vcc, exec, s[14:15]
	s_cbranch_vccnz .LBB833_13
; %bb.10:
	s_andn2_b64 vcc, exec, s[8:9]
	s_cbranch_vccz .LBB833_16
.LBB833_11:
	s_cmp_lt_i32 s20, 1
	s_cbranch_scc0 .LBB833_23
.LBB833_12:
	s_endpgm
.LBB833_13:
	s_and_saveexec_b64 s[14:15], s[2:3]
	s_cbranch_execz .LBB833_15
; %bb.14:
	s_waitcnt lgkmcnt(0)
	s_mul_hi_i32 s9, s7, s6
	s_mul_i32 s8, s7, s6
	s_waitcnt vmcnt(0)
	v_cvt_f16_f32_e32 v2, v18
	v_cvt_f16_f32_e32 v3, v32
	;; [unrolled: 1-line block ×8, first 2 shown]
	s_lshl_b64 s[8:9], s[8:9], 1
	s_add_u32 s8, s28, s8
	s_addc_u32 s9, s29, s9
	s_and_b32 s9, s9, 0xffff
	s_mov_b32 s11, 0x20000
	v_pack_b32_f16 v5, v5, v6
	v_pack_b32_f16 v4, v4, v7
	;; [unrolled: 1-line block ×4, first 2 shown]
	v_lshlrev_b32_e32 v6, 5, v0
	buffer_store_dwordx4 v[2:5], v6, s[8:11], 0 offen
	v_cvt_f16_f32_e32 v7, v21
	v_cvt_f16_f32_e32 v2, v24
	;; [unrolled: 1-line block ×8, first 2 shown]
	v_pack_b32_f16 v5, v5, v7
	v_pack_b32_f16 v4, v4, v8
	;; [unrolled: 1-line block ×4, first 2 shown]
	;;#ASMSTART
	s_nop 0
	;;#ASMEND
	buffer_store_dwordx4 v[2:5], v6, s[8:11], 16 offen
	;;#ASMSTART
	s_nop 0
	;;#ASMEND
.LBB833_15:
	s_or_b64 exec, exec, s[14:15]
	s_cbranch_execnz .LBB833_11
.LBB833_16:
	s_waitcnt vmcnt(0)
	v_mov_b32_e32 v2, 0
	s_and_saveexec_b64 s[8:9], s[2:3]
	s_cbranch_execz .LBB833_18
; %bb.17:
	v_and_b32_e32 v2, 0x7fffffff, v18
	v_and_b32_e32 v3, 0x7fffffff, v19
	v_mov_b32_e32 v4, 0x2edbe6ff
	;;#ASMSTART
	v_max3_f32 v2, v4, v2, v3

	;;#ASMEND
	v_and_b32_e32 v3, 0x7fffffff, v32
	v_and_b32_e32 v4, 0x7fffffff, v33
	;;#ASMSTART
	v_max3_f32 v2, v2, v3, v4

	;;#ASMEND
	v_and_b32_e32 v3, 0x7fffffff, v26
	v_and_b32_e32 v4, 0x7fffffff, v27
	;; [unrolled: 6-line block ×7, first 2 shown]
	;;#ASMSTART
	v_max3_f32 v2, v2, v3, v4

	;;#ASMEND
.LBB833_18:
	s_or_b64 exec, exec, s[8:9]
	s_load_dwordx4 s[24:27], s[4:5], 0x70
	;;#ASMSTART
	v_max_f32 v3, v2, v2 quad_perm:[1,0,3,2] row_mask:0xf bank_mask:0xf bound_ctrl:1
	;;#ASMEND
	;;#ASMSTART
	v_max_f32 v2, v3, v3 quad_perm:[2,3,0,1] row_mask:0xf bank_mask:0xf bound_ctrl:1
	;;#ASMEND
	v_cmp_eq_u32_e32 vcc, 0, v10
	v_cmp_gt_i32_e64 s[8:9], s19, v1
	v_mul_f32_e32 v2, 0x3b124925, v2
	s_and_b64 s[10:11], vcc, s[8:9]
	s_and_saveexec_b64 s[8:9], s[10:11]
	s_cbranch_execz .LBB833_20
; %bb.19:
	s_load_dwordx2 s[10:11], s[4:5], 0x8
	s_waitcnt lgkmcnt(0)
	s_mul_hi_i32 s15, s25, s6
	s_mul_i32 s14, s25, s6
	v_lshrrev_b32_e32 v3, 2, v0
	s_lshl_b64 s[14:15], s[14:15], 2
	v_mad_i64_i32 v[4:5], s[26:27], s26, v3, 0
	s_add_u32 s10, s10, s14
	s_addc_u32 s11, s11, s15
	v_lshlrev_b64 v[4:5], 2, v[4:5]
	v_mov_b32_e32 v3, s11
	v_add_co_u32_e32 v4, vcc, s10, v4
	v_addc_co_u32_e32 v5, vcc, v3, v5, vcc
	global_store_dword v[4:5], v2, off
.LBB833_20:
	s_or_b64 exec, exec, s[8:9]
	;;#ASMSTART
	v_rcp_f32 v2, v2
	;;#ASMEND
	s_and_saveexec_b64 s[14:15], s[2:3]
	s_cbranch_execz .LBB833_22
; %bb.21:
	s_load_dwordx2 s[2:3], s[4:5], 0x0
	s_waitcnt lgkmcnt(0)
	s_mul_i32 s8, s24, s6
	s_mul_hi_i32 s9, s24, s6
	v_mov_b32_e32 v3, v2
	;;#ASMSTART
	v_pk_mul_f32 v[4:5], v[18:19], v[2:3]
	;;#ASMEND
	s_add_u32 s8, s2, s8
	s_addc_u32 s2, s3, s9
	s_add_i32 s3, s19, 3
	s_ashr_i32 s10, s3, 31
	v_mov_b32_e32 v10, 0xc3e00000
	v_mov_b32_e32 v11, 0x43e00000
	;;#ASMSTART
	v_med3_f32 v4, v4, v10, v11
v_med3_f32 v5, v5, v10, v11
v_cvt_pk_fp8_f32 v6, v4, v5
	;;#ASMEND
	s_and_b32 s9, s2, 0xffff
	s_lshr_b32 s2, s10, 30
	;;#ASMSTART
	v_pk_mul_f32 v[4:5], v[32:33], v[2:3]
	;;#ASMEND
	s_add_i32 s3, s3, s2
	;;#ASMSTART
	v_med3_f32 v4, v4, v10, v11
v_med3_f32 v5, v5, v10, v11
v_cvt_pk_fp8_f32 v7, v4, v5
	;;#ASMEND
	s_mov_b32 s2, 0x5040100
	v_perm_b32 v4, v7, v6, s2
	s_mov_b32 s2, 0x1060504
	v_perm_b32 v4, v4, v7, s2
	;;#ASMSTART
	v_pk_mul_f32 v[6:7], v[26:27], v[2:3]
	;;#ASMEND
	v_mov_b32_e32 v5, v7
	;;#ASMSTART
	v_med3_f32 v6, v6, v10, v11
v_med3_f32 v5, v5, v10, v11
v_cvt_pk_fp8_f32 v8, v6, v5
	;;#ASMEND
	;;#ASMSTART
	v_pk_mul_f32 v[6:7], v[30:31], v[2:3]
	;;#ASMEND
	v_mov_b32_e32 v5, v7
	;;#ASMSTART
	v_med3_f32 v6, v6, v10, v11
v_med3_f32 v5, v5, v10, v11
v_cvt_pk_fp8_f32 v7, v6, v5
	;;#ASMEND
	s_mov_b32 s2, 0x1000504
	v_perm_b32 v5, v8, v7, s2
	;;#ASMSTART
	v_pk_mul_f32 v[6:7], v[24:25], v[2:3]
	;;#ASMEND
	;;#ASMSTART
	v_med3_f32 v6, v6, v10, v11
v_med3_f32 v7, v7, v10, v11
v_cvt_pk_fp8_f32 v8, v6, v7
	;;#ASMEND
	;;#ASMSTART
	v_pk_mul_f32 v[6:7], v[28:29], v[2:3]
	;;#ASMEND
	;;#ASMSTART
	v_med3_f32 v6, v6, v10, v11
v_med3_f32 v7, v7, v10, v11
v_cvt_pk_fp8_f32 v9, v6, v7
	;;#ASMEND
	v_perm_b32 v6, v8, v9, s2
	;;#ASMSTART
	v_pk_mul_f32 v[8:9], v[22:23], v[2:3]
	;;#ASMEND
	v_mov_b32_e32 v7, v9
	;;#ASMSTART
	v_med3_f32 v8, v8, v10, v11
v_med3_f32 v7, v7, v10, v11
v_cvt_pk_fp8_f32 v9, v8, v7
	;;#ASMEND
	;;#ASMSTART
	v_pk_mul_f32 v[2:3], v[20:21], v[2:3]
	;;#ASMEND
	;;#ASMSTART
	v_med3_f32 v2, v2, v10, v11
v_med3_f32 v3, v3, v10, v11
v_cvt_pk_fp8_f32 v7, v2, v3
	;;#ASMEND
	s_and_b32 s10, s3, -4
	s_mov_b32 s11, 0x20000
	v_perm_b32 v7, v9, v7, s2
	buffer_store_dwordx4 v[4:7], v1, s[8:11], 0 offen
	;;#ASMSTART
	s_nop 0
	;;#ASMEND
.LBB833_22:
	s_or_b64 exec, exec, s[14:15]
	s_cmp_lt_i32 s20, 1
	s_cbranch_scc1 .LBB833_12
.LBB833_23:
	s_load_dword s2, s[4:5], 0x94
	s_waitcnt lgkmcnt(0)
	s_cmp_lg_u32 s2, 1
	s_cbranch_scc1 .LBB833_12
; %bb.24:
	s_lshl_b32 s2, s20, 1
	s_add_i32 s2, s2, 2
	v_cmp_gt_u32_e32 vcc, s20, v1
	s_and_b32 s14, s2, -4
	v_mov_b32_e32 v18, 0
	v_lshlrev_b32_e32 v1, 5, v0
	v_mov_b32_e32 v14, 0
	v_mov_b32_e32 v15, 0
	;; [unrolled: 1-line block ×8, first 2 shown]
	s_waitcnt vmcnt(1)
	v_mov_b32_e32 v6, 0
	v_mov_b32_e32 v7, 0
	;; [unrolled: 1-line block ×4, first 2 shown]
	s_waitcnt vmcnt(0)
	v_mov_b32_e32 v2, 0
	v_mov_b32_e32 v3, 0
	;; [unrolled: 1-line block ×4, first 2 shown]
	s_barrier
	s_and_saveexec_b64 s[2:3], vcc
	s_cbranch_execz .LBB833_26
; %bb.25:
	s_mul_hi_i32 s5, s22, s6
	s_mul_i32 s4, s22, s6
	s_and_b32 s13, s13, 0xffff
	s_lshl_b64 s[4:5], s[4:5], 1
	s_add_u32 s8, s30, s4
	s_mov_b32 s15, 0x20000
	s_addc_u32 s4, s31, s5
	s_and_b32 s9, s4, 0xffff
	s_mov_b32 s10, s14
	s_mov_b32 s11, s15
	buffer_load_dwordx4 v[14:17], v1, s[8:11], 0 offen
	buffer_load_dwordx4 v[10:13], v1, s[8:11], 16 offen
	buffer_load_dwordx4 v[6:9], v1, s[12:15], 0 offen
	buffer_load_dwordx4 v[2:5], v1, s[12:15], 16 offen
.LBB833_26:
	s_or_b64 exec, exec, s[2:3]
	v_mov_b32_e32 v19, 0
	v_mov_b32_e32 v32, 0
	;; [unrolled: 1-line block ×15, first 2 shown]
	s_and_saveexec_b64 s[2:3], vcc
	s_cbranch_execz .LBB833_28
; %bb.27:
	s_waitcnt vmcnt(3)
	v_cvt_f32_f16_sdwa v19, v14 dst_sel:DWORD dst_unused:UNUSED_PAD src0_sel:WORD_1
	v_cvt_f32_f16_e32 v18, v14
	v_cvt_f32_f16_sdwa v33, v15 dst_sel:DWORD dst_unused:UNUSED_PAD src0_sel:WORD_1
	v_cvt_f32_f16_e32 v32, v15
	;; [unrolled: 2-line block ×4, first 2 shown]
	s_waitcnt vmcnt(2)
	v_cvt_f32_f16_sdwa v27, v10 dst_sel:DWORD dst_unused:UNUSED_PAD src0_sel:WORD_1
	v_cvt_f32_f16_e32 v26, v10
	v_cvt_f32_f16_sdwa v25, v11 dst_sel:DWORD dst_unused:UNUSED_PAD src0_sel:WORD_1
	v_cvt_f32_f16_e32 v24, v11
	;; [unrolled: 2-line block ×4, first 2 shown]
.LBB833_28:
	s_or_b64 exec, exec, s[2:3]
	s_waitcnt vmcnt(2)
	v_mul_f32_e32 v10, v19, v19
	v_fmac_f32_e32 v10, v18, v18
	v_fmac_f32_e32 v10, v32, v32
	;; [unrolled: 1-line block ×15, first 2 shown]
	s_nop 1
	v_mov_b32_dpp v11, v10 quad_perm:[1,0,3,2] row_mask:0xf bank_mask:0xf
	v_add_f32_e32 v10, v10, v11
	s_nop 1
	v_mov_b32_dpp v11, v10 quad_perm:[2,3,0,1] row_mask:0xf bank_mask:0xf
	v_add_f32_e32 v10, v10, v11
	s_nop 1
	v_mov_b32_dpp v11, v10 row_half_mirror row_mask:0xf bank_mask:0xf
	v_add_f32_e32 v10, v10, v11
	s_nop 1
	v_mov_b32_dpp v11, v10 row_mirror row_mask:0xf bank_mask:0xf
	v_add_f32_e32 v10, v10, v11
	s_nop 1
	v_mov_b32_dpp v11, v10 row_bcast:15 row_mask:0xf bank_mask:0xf
	v_add_f32_e32 v10, v10, v11
	s_nop 1
	v_mov_b32_dpp v11, v10 row_bcast:31 row_mask:0xf bank_mask:0xf
	s_and_saveexec_b64 s[2:3], s[0:1]
	s_cbranch_execz .LBB833_30
; %bb.29:
	v_lshrrev_b32_e32 v0, 4, v0
	v_add_f32_e32 v10, v10, v11
	v_and_b32_e32 v0, 60, v0
	ds_write_b32 v0, v10
.LBB833_30:
	s_or_b64 exec, exec, s[2:3]
	s_waitcnt lgkmcnt(0)
	s_barrier
	ds_read_b32 v0, v34
	s_waitcnt lgkmcnt(0)
	s_nop 0
	v_mov_b32_dpp v10, v0 quad_perm:[1,0,3,2] row_mask:0xf bank_mask:0xf
	v_add_f32_e32 v0, v0, v10
	s_nop 1
	v_mov_b32_dpp v10, v0 quad_perm:[2,3,0,1] row_mask:0xf bank_mask:0xf
	s_and_saveexec_b64 s[0:1], vcc
	s_cbranch_execz .LBB833_12
; %bb.31:
	v_cvt_f32_u32_e32 v11, s20
	v_add_f32_e32 v0, v0, v10
	s_mov_b32 s15, 0x20000
	v_div_scale_f32 v10, s[0:1], v11, v11, v0
	v_rcp_f32_e32 v12, v10
	v_div_scale_f32 v13, vcc, v0, v11, v0
	s_mov_b32 s0, 0x800000
	v_fma_f32 v14, -v10, v12, 1.0
	v_fmac_f32_e32 v12, v14, v12
	v_mul_f32_e32 v14, v13, v12
	v_fma_f32 v15, -v10, v14, v13
	v_fmac_f32_e32 v14, v15, v12
	v_fma_f32 v10, -v10, v14, v13
	v_div_fmas_f32 v10, v10, v12, v14
	v_div_fixup_f32 v0, v10, v11, v0
	v_add_f32_e32 v0, s17, v0
	v_mul_f32_e32 v10, 0x4b800000, v0
	v_cmp_gt_f32_e32 vcc, s0, v0
	v_cndmask_b32_e32 v0, v0, v10, vcc
	v_rsq_f32_e32 v0, v0
	s_mul_hi_i32 s1, s7, s6
	s_mul_i32 s0, s7, s6
	s_lshl_b64 s[0:1], s[0:1], 1
	v_mul_f32_e32 v10, 0x45800000, v0
	v_cndmask_b32_e32 v10, v0, v10, vcc
	v_mov_b32_e32 v11, v10
	;;#ASMSTART
	v_pk_mul_f32 v[12:13], v[18:19], v[10:11]
	;;#ASMEND
	;;#ASMSTART
	v_pk_mul_f32 v[14:15], v[32:33], v[10:11]
	;;#ASMEND
	;; [unrolled: 3-line block ×4, first 2 shown]
	s_waitcnt vmcnt(1)
	v_cvt_f32_f16_sdwa v29, v6 dst_sel:DWORD dst_unused:UNUSED_PAD src0_sel:WORD_1
	v_cvt_f32_f16_e32 v28, v6
	v_cvt_f32_f16_sdwa v31, v7 dst_sel:DWORD dst_unused:UNUSED_PAD src0_sel:WORD_1
	v_cvt_f32_f16_e32 v30, v7
	;;#ASMSTART
	v_pk_mul_f32 v[26:27], v[26:27], v[10:11]
	;;#ASMEND
	;;#ASMSTART
	v_pk_mul_f32 v[24:25], v[24:25], v[10:11]
	;;#ASMEND
	;;#ASMSTART
	v_pk_mul_f32 v[22:23], v[22:23], v[10:11]
	;;#ASMEND
	;;#ASMSTART
	v_pk_mul_f32 v[6:7], v[20:21], v[10:11]
	;;#ASMEND
	v_cvt_f32_f16_sdwa v21, v8 dst_sel:DWORD dst_unused:UNUSED_PAD src0_sel:WORD_1
	v_cvt_f32_f16_e32 v20, v8
	v_pk_add_f32 v[10:11], v[28:29], 1.0 op_sel_hi:[1,0]
	;;#ASMSTART
	v_pk_mul_f32 v[10:11], v[12:13], v[10:11]
	;;#ASMEND
	v_pk_add_f32 v[12:13], v[30:31], 1.0 op_sel_hi:[1,0]
	v_cvt_f32_f16_sdwa v29, v9 dst_sel:DWORD dst_unused:UNUSED_PAD src0_sel:WORD_1
	v_cvt_f32_f16_e32 v28, v9
	;;#ASMSTART
	v_pk_mul_f32 v[8:9], v[14:15], v[12:13]
	;;#ASMEND
	v_pk_add_f32 v[12:13], v[20:21], 1.0 op_sel_hi:[1,0]
	;;#ASMSTART
	v_pk_mul_f32 v[12:13], v[16:17], v[12:13]
	;;#ASMEND
	s_waitcnt vmcnt(0)
	v_cvt_f32_f16_sdwa v17, v2 dst_sel:DWORD dst_unused:UNUSED_PAD src0_sel:WORD_1
	v_cvt_f32_f16_e32 v16, v2
	v_cvt_f32_f16_sdwa v21, v3 dst_sel:DWORD dst_unused:UNUSED_PAD src0_sel:WORD_1
	v_cvt_f32_f16_e32 v20, v3
	v_pk_add_f32 v[14:15], v[28:29], 1.0 op_sel_hi:[1,0]
	;;#ASMSTART
	v_pk_mul_f32 v[2:3], v[18:19], v[14:15]
	;;#ASMEND
	v_cvt_f32_f16_sdwa v19, v4 dst_sel:DWORD dst_unused:UNUSED_PAD src0_sel:WORD_1
	v_cvt_f32_f16_e32 v18, v4
	v_pk_add_f32 v[14:15], v[16:17], 1.0 op_sel_hi:[1,0]
	v_pk_add_f32 v[16:17], v[20:21], 1.0 op_sel_hi:[1,0]
	v_cvt_f32_f16_sdwa v21, v5 dst_sel:DWORD dst_unused:UNUSED_PAD src0_sel:WORD_1
	v_cvt_f32_f16_e32 v20, v5
	v_pk_add_f32 v[4:5], v[18:19], 1.0 op_sel_hi:[1,0]
	;;#ASMSTART
	v_pk_mul_f32 v[14:15], v[26:27], v[14:15]
	;;#ASMEND
	;;#ASMSTART
	v_pk_mul_f32 v[16:17], v[24:25], v[16:17]
	;;#ASMEND
	;;#ASMSTART
	v_pk_mul_f32 v[18:19], v[22:23], v[4:5]
	;;#ASMEND
	v_pk_add_f32 v[4:5], v[20:21], 1.0 op_sel_hi:[1,0]
	;;#ASMSTART
	v_pk_mul_f32 v[6:7], v[6:7], v[4:5]
	;;#ASMEND
	v_cvt_f16_f32_e32 v0, v10
	v_cvt_f16_f32_e32 v4, v11
	;; [unrolled: 1-line block ×8, first 2 shown]
	s_add_u32 s12, s28, s0
	s_addc_u32 s0, s29, s1
	s_and_b32 s13, s0, 0xffff
	v_pack_b32_f16 v2, v0, v4
	v_pack_b32_f16 v3, v5, v8
	;; [unrolled: 1-line block ×4, first 2 shown]
	buffer_store_dwordx4 v[2:5], v1, s[12:15], 0 offen
	v_cvt_f16_f32_e32 v0, v14
	v_cvt_f16_f32_e32 v2, v15
	;; [unrolled: 1-line block ×8, first 2 shown]
	v_pack_b32_f16 v2, v0, v2
	v_pack_b32_f16 v3, v3, v4
	;; [unrolled: 1-line block ×4, first 2 shown]
	;;#ASMSTART
	s_nop 0
	;;#ASMEND
	buffer_store_dwordx4 v[2:5], v1, s[12:15], 16 offen
	;;#ASMSTART
	s_nop 0
	;;#ASMEND
	s_endpgm
	.section	.rodata,"a",@progbits
	.p2align	6, 0x0
	.amdhsa_kernel _ZN5aiter35fused_qk_rmsnorm_group_quant_kernelIDF16_DB8_Li256ELi16ELi4ELb0ELb0ELb1ELb0ELb0ELb0EEEvPT0_PvPT_S6_S6_PKS5_S8_S8_S8_S8_ffiiiiiiiiiiiii
		.amdhsa_group_segment_fixed_size 32
		.amdhsa_private_segment_fixed_size 0
		.amdhsa_kernarg_size 400
		.amdhsa_user_sgpr_count 6
		.amdhsa_user_sgpr_private_segment_buffer 1
		.amdhsa_user_sgpr_dispatch_ptr 0
		.amdhsa_user_sgpr_queue_ptr 0
		.amdhsa_user_sgpr_kernarg_segment_ptr 1
		.amdhsa_user_sgpr_dispatch_id 0
		.amdhsa_user_sgpr_flat_scratch_init 0
		.amdhsa_user_sgpr_kernarg_preload_length 0
		.amdhsa_user_sgpr_kernarg_preload_offset 0
		.amdhsa_user_sgpr_private_segment_size 0
		.amdhsa_uses_dynamic_stack 0
		.amdhsa_system_sgpr_private_segment_wavefront_offset 0
		.amdhsa_system_sgpr_workgroup_id_x 1
		.amdhsa_system_sgpr_workgroup_id_y 1
		.amdhsa_system_sgpr_workgroup_id_z 0
		.amdhsa_system_sgpr_workgroup_info 0
		.amdhsa_system_vgpr_workitem_id 0
		.amdhsa_next_free_vgpr 36
		.amdhsa_next_free_sgpr 32
		.amdhsa_accum_offset 36
		.amdhsa_reserve_vcc 1
		.amdhsa_reserve_flat_scratch 0
		.amdhsa_float_round_mode_32 0
		.amdhsa_float_round_mode_16_64 0
		.amdhsa_float_denorm_mode_32 3
		.amdhsa_float_denorm_mode_16_64 3
		.amdhsa_dx10_clamp 1
		.amdhsa_ieee_mode 1
		.amdhsa_fp16_overflow 0
		.amdhsa_tg_split 0
		.amdhsa_exception_fp_ieee_invalid_op 0
		.amdhsa_exception_fp_denorm_src 0
		.amdhsa_exception_fp_ieee_div_zero 0
		.amdhsa_exception_fp_ieee_overflow 0
		.amdhsa_exception_fp_ieee_underflow 0
		.amdhsa_exception_fp_ieee_inexact 0
		.amdhsa_exception_int_div_zero 0
	.end_amdhsa_kernel
	.section	.text._ZN5aiter35fused_qk_rmsnorm_group_quant_kernelIDF16_DB8_Li256ELi16ELi4ELb0ELb0ELb1ELb0ELb0ELb0EEEvPT0_PvPT_S6_S6_PKS5_S8_S8_S8_S8_ffiiiiiiiiiiiii,"axG",@progbits,_ZN5aiter35fused_qk_rmsnorm_group_quant_kernelIDF16_DB8_Li256ELi16ELi4ELb0ELb0ELb1ELb0ELb0ELb0EEEvPT0_PvPT_S6_S6_PKS5_S8_S8_S8_S8_ffiiiiiiiiiiiii,comdat
.Lfunc_end833:
	.size	_ZN5aiter35fused_qk_rmsnorm_group_quant_kernelIDF16_DB8_Li256ELi16ELi4ELb0ELb0ELb1ELb0ELb0ELb0EEEvPT0_PvPT_S6_S6_PKS5_S8_S8_S8_S8_ffiiiiiiiiiiiii, .Lfunc_end833-_ZN5aiter35fused_qk_rmsnorm_group_quant_kernelIDF16_DB8_Li256ELi16ELi4ELb0ELb0ELb1ELb0ELb0ELb0EEEvPT0_PvPT_S6_S6_PKS5_S8_S8_S8_S8_ffiiiiiiiiiiiii
                                        ; -- End function
	.section	.AMDGPU.csdata,"",@progbits
; Kernel info:
; codeLenInByte = 3544
; NumSgprs: 36
; NumVgprs: 36
; NumAgprs: 0
; TotalNumVgprs: 36
; ScratchSize: 0
; MemoryBound: 0
; FloatMode: 240
; IeeeMode: 1
; LDSByteSize: 32 bytes/workgroup (compile time only)
; SGPRBlocks: 4
; VGPRBlocks: 4
; NumSGPRsForWavesPerEU: 36
; NumVGPRsForWavesPerEU: 36
; AccumOffset: 36
; Occupancy: 8
; WaveLimiterHint : 0
; COMPUTE_PGM_RSRC2:SCRATCH_EN: 0
; COMPUTE_PGM_RSRC2:USER_SGPR: 6
; COMPUTE_PGM_RSRC2:TRAP_HANDLER: 0
; COMPUTE_PGM_RSRC2:TGID_X_EN: 1
; COMPUTE_PGM_RSRC2:TGID_Y_EN: 1
; COMPUTE_PGM_RSRC2:TGID_Z_EN: 0
; COMPUTE_PGM_RSRC2:TIDIG_COMP_CNT: 0
; COMPUTE_PGM_RSRC3_GFX90A:ACCUM_OFFSET: 8
; COMPUTE_PGM_RSRC3_GFX90A:TG_SPLIT: 0
	.section	.text._ZN5aiter35fused_qk_rmsnorm_group_quant_kernelItDB8_Li256ELi16ELi4ELb0ELb0ELb1ELb0ELb0ELb0EEEvPT0_PvPT_S6_S6_PKS5_S8_S8_S8_S8_ffiiiiiiiiiiiii,"axG",@progbits,_ZN5aiter35fused_qk_rmsnorm_group_quant_kernelItDB8_Li256ELi16ELi4ELb0ELb0ELb1ELb0ELb0ELb0EEEvPT0_PvPT_S6_S6_PKS5_S8_S8_S8_S8_ffiiiiiiiiiiiii,comdat
	.protected	_ZN5aiter35fused_qk_rmsnorm_group_quant_kernelItDB8_Li256ELi16ELi4ELb0ELb0ELb1ELb0ELb0ELb0EEEvPT0_PvPT_S6_S6_PKS5_S8_S8_S8_S8_ffiiiiiiiiiiiii ; -- Begin function _ZN5aiter35fused_qk_rmsnorm_group_quant_kernelItDB8_Li256ELi16ELi4ELb0ELb0ELb1ELb0ELb0ELb0EEEvPT0_PvPT_S6_S6_PKS5_S8_S8_S8_S8_ffiiiiiiiiiiiii
	.globl	_ZN5aiter35fused_qk_rmsnorm_group_quant_kernelItDB8_Li256ELi16ELi4ELb0ELb0ELb1ELb0ELb0ELb0EEEvPT0_PvPT_S6_S6_PKS5_S8_S8_S8_S8_ffiiiiiiiiiiiii
	.p2align	8
	.type	_ZN5aiter35fused_qk_rmsnorm_group_quant_kernelItDB8_Li256ELi16ELi4ELb0ELb0ELb1ELb0ELb0ELb0EEEvPT0_PvPT_S6_S6_PKS5_S8_S8_S8_S8_ffiiiiiiiiiiiii,@function
_ZN5aiter35fused_qk_rmsnorm_group_quant_kernelItDB8_Li256ELi16ELi4ELb0ELb0ELb1ELb0ELb0ELb0EEEvPT0_PvPT_S6_S6_PKS5_S8_S8_S8_S8_ffiiiiiiiiiiiii: ; @_ZN5aiter35fused_qk_rmsnorm_group_quant_kernelItDB8_Li256ELi16ELi4ELb0ELb0ELb1ELb0ELb0ELb0EEEvPT0_PvPT_S6_S6_PKS5_S8_S8_S8_S8_ffiiiiiiiiiiiii
; %bb.0:
	s_load_dwordx4 s[16:19], s[4:5], 0x50
	s_waitcnt lgkmcnt(0)
	s_cmp_ge_i32 s6, s18
	s_cbranch_scc1 .LBB834_12
; %bb.1:
	s_load_dwordx2 s[12:13], s[4:5], 0x48
	s_load_dwordx2 s[30:31], s[4:5], 0x30
	s_load_dwordx4 s[20:23], s[4:5], 0x60
	s_cmp_lg_u32 s7, 0
	s_cselect_b64 s[14:15], -1, 0
	s_cmp_eq_u32 s7, 0
	s_cselect_b64 vcc, -1, 0
	s_and_b64 s[0:1], vcc, exec
	s_waitcnt lgkmcnt(0)
	s_cselect_b32 s7, s19, s20
	s_add_i32 s0, s7, 1
	s_lshr_b32 s1, s0, 31
	s_add_i32 s0, s0, s1
	s_lshl_b32 s0, s0, 1
	v_lshlrev_b32_e32 v1, 4, v0
	s_and_b32 s10, s0, -4
	v_cmp_gt_i32_e64 s[2:3], s7, v1
	v_mov_b32_e32 v18, 0
	v_mov_b32_e32 v6, 0
	;; [unrolled: 1-line block ×17, first 2 shown]
	s_and_saveexec_b64 s[0:1], s[2:3]
	s_cbranch_execz .LBB834_3
; %bb.2:
	s_load_dwordx2 s[8:9], s[4:5], 0x28
	s_load_dwordx2 s[26:27], s[4:5], 0x40
	s_and_b64 s[24:25], vcc, exec
	s_cselect_b32 s11, s21, s22
	v_lshlrev_b32_e32 v19, 5, v0
	s_waitcnt lgkmcnt(0)
	s_cselect_b32 s18, s9, s31
	s_cselect_b32 s21, s8, s30
	s_mul_hi_i32 s9, s11, s6
	s_mul_i32 s8, s11, s6
	s_lshl_b64 s[8:9], s[8:9], 1
	s_add_u32 s24, s21, s8
	s_addc_u32 s18, s18, s9
	s_and_b64 s[8:9], vcc, exec
	s_mov_b32 s11, 0x20000
	s_cselect_b32 s8, s26, s12
	s_cselect_b32 s9, s27, s13
	s_and_b32 s25, s18, 0xffff
	s_mov_b32 s26, s10
	s_mov_b32 s27, s11
	s_and_b32 s9, s9, 0xffff
	buffer_load_dwordx4 v[14:17], v19, s[24:27], 0 offen
	buffer_load_dwordx4 v[10:13], v19, s[24:27], 16 offen
	;; [unrolled: 1-line block ×4, first 2 shown]
.LBB834_3:
	s_or_b64 exec, exec, s[0:1]
	v_mov_b32_e32 v19, 0
	v_mov_b32_e32 v32, 0
	;; [unrolled: 1-line block ×15, first 2 shown]
	s_and_saveexec_b64 s[0:1], s[2:3]
	s_cbranch_execz .LBB834_5
; %bb.4:
	s_waitcnt vmcnt(3)
	v_cvt_f32_u32_sdwa v18, v14 dst_sel:DWORD dst_unused:UNUSED_PAD src0_sel:WORD_0
	v_cvt_f32_u32_sdwa v19, v14 dst_sel:DWORD dst_unused:UNUSED_PAD src0_sel:WORD_1
	v_cvt_f32_u32_sdwa v32, v15 dst_sel:DWORD dst_unused:UNUSED_PAD src0_sel:WORD_0
	v_cvt_f32_u32_sdwa v33, v15 dst_sel:DWORD dst_unused:UNUSED_PAD src0_sel:WORD_1
	;; [unrolled: 2-line block ×4, first 2 shown]
	s_waitcnt vmcnt(2)
	v_cvt_f32_u32_sdwa v24, v10 dst_sel:DWORD dst_unused:UNUSED_PAD src0_sel:WORD_0
	v_cvt_f32_u32_sdwa v25, v10 dst_sel:DWORD dst_unused:UNUSED_PAD src0_sel:WORD_1
	v_cvt_f32_u32_sdwa v28, v11 dst_sel:DWORD dst_unused:UNUSED_PAD src0_sel:WORD_0
	v_cvt_f32_u32_sdwa v29, v11 dst_sel:DWORD dst_unused:UNUSED_PAD src0_sel:WORD_1
	;; [unrolled: 2-line block ×4, first 2 shown]
.LBB834_5:
	s_or_b64 exec, exec, s[0:1]
	s_waitcnt vmcnt(2)
	v_mul_f32_e32 v10, v19, v19
	v_fmac_f32_e32 v10, v18, v18
	v_fmac_f32_e32 v10, v32, v32
	;; [unrolled: 1-line block ×15, first 2 shown]
	v_and_b32_e32 v12, 63, v0
	v_cmp_eq_u32_e64 s[0:1], 63, v12
	v_mov_b32_dpp v11, v10 quad_perm:[1,0,3,2] row_mask:0xf bank_mask:0xf
	v_add_f32_e32 v10, v10, v11
	s_nop 1
	v_mov_b32_dpp v11, v10 quad_perm:[2,3,0,1] row_mask:0xf bank_mask:0xf
	v_add_f32_e32 v10, v10, v11
	s_nop 1
	v_mov_b32_dpp v11, v10 row_half_mirror row_mask:0xf bank_mask:0xf
	v_add_f32_e32 v10, v10, v11
	s_nop 1
	v_mov_b32_dpp v11, v10 row_mirror row_mask:0xf bank_mask:0xf
	v_add_f32_e32 v10, v10, v11
	s_nop 1
	v_mov_b32_dpp v11, v10 row_bcast:15 row_mask:0xf bank_mask:0xf
	v_add_f32_e32 v10, v10, v11
	s_nop 1
	v_mov_b32_dpp v11, v10 row_bcast:31 row_mask:0xf bank_mask:0xf
	s_and_saveexec_b64 s[8:9], s[0:1]
	s_cbranch_execz .LBB834_7
; %bb.6:
	v_add_f32_e32 v10, v10, v11
	v_lshrrev_b32_e32 v11, 4, v0
	v_and_b32_e32 v11, 60, v11
	ds_write_b32 v11, v10 offset:16
.LBB834_7:
	s_or_b64 exec, exec, s[8:9]
	v_and_b32_e32 v10, 3, v0
	v_lshlrev_b32_e32 v34, 2, v10
	s_waitcnt lgkmcnt(0)
	s_barrier
	ds_read_b32 v11, v34 offset:16
	s_load_dwordx2 s[28:29], s[4:5], 0x18
	s_waitcnt lgkmcnt(0)
	v_mov_b32_dpp v12, v11 quad_perm:[1,0,3,2] row_mask:0xf bank_mask:0xf
	v_add_f32_e32 v11, v11, v12
	s_nop 1
	v_mov_b32_dpp v12, v11 quad_perm:[2,3,0,1] row_mask:0xf bank_mask:0xf
	s_and_saveexec_b64 s[8:9], s[2:3]
	s_cbranch_execz .LBB834_9
; %bb.8:
	v_cvt_f32_u32_e32 v13, s7
	v_add_f32_e32 v11, v11, v12
	v_mov_b32_e32 v15, s17
	v_mov_b32_e32 v16, s16
	v_div_scale_f32 v12, s[24:25], v13, v13, v11
	v_rcp_f32_e32 v14, v12
	v_cndmask_b32_e32 v15, v15, v16, vcc
	s_mov_b32 s7, 0x800000
	v_fma_f32 v16, -v12, v14, 1.0
	v_fmac_f32_e32 v14, v16, v14
	v_div_scale_f32 v16, vcc, v11, v13, v11
	v_mul_f32_e32 v17, v16, v14
	v_fma_f32 v35, -v12, v17, v16
	v_fmac_f32_e32 v17, v35, v14
	v_fma_f32 v12, -v12, v17, v16
	v_div_fmas_f32 v12, v12, v14, v17
	v_div_fixup_f32 v11, v12, v13, v11
	v_add_f32_e32 v11, v15, v11
	v_mul_f32_e32 v12, 0x4b800000, v11
	v_cmp_gt_f32_e32 vcc, s7, v11
	v_cndmask_b32_e32 v11, v11, v12, vcc
	v_rsq_f32_e32 v11, v11
	v_mul_f32_e32 v12, 0x45800000, v11
	v_cndmask_b32_e32 v12, v11, v12, vcc
	v_mov_b32_e32 v13, v12
	;;#ASMSTART
	v_pk_mul_f32 v[14:15], v[18:19], v[12:13]
	;;#ASMEND
	s_waitcnt vmcnt(1)
	v_cvt_f32_u32_sdwa v19, v6 dst_sel:DWORD dst_unused:UNUSED_PAD src0_sel:WORD_1
	v_cvt_f32_u32_sdwa v18, v6 dst_sel:DWORD dst_unused:UNUSED_PAD src0_sel:WORD_0
	;;#ASMSTART
	v_pk_mul_f32 v[16:17], v[32:33], v[12:13]
	;;#ASMEND
	v_cvt_f32_u32_sdwa v33, v7 dst_sel:DWORD dst_unused:UNUSED_PAD src0_sel:WORD_1
	v_cvt_f32_u32_sdwa v32, v7 dst_sel:DWORD dst_unused:UNUSED_PAD src0_sel:WORD_0
	;;#ASMSTART
	v_pk_mul_f32 v[26:27], v[26:27], v[12:13]
	;;#ASMEND
	;;#ASMSTART
	v_pk_mul_f32 v[30:31], v[30:31], v[12:13]
	;;#ASMEND
	;; [unrolled: 3-line block ×6, first 2 shown]
	v_pk_add_f32 v[12:13], v[18:19], 1.0 op_sel_hi:[1,0]
	;;#ASMSTART
	v_pk_mul_f32 v[18:19], v[14:15], v[12:13]
	;;#ASMEND
	v_cvt_f32_u32_sdwa v15, v8 dst_sel:DWORD dst_unused:UNUSED_PAD src0_sel:WORD_1
	v_cvt_f32_u32_sdwa v14, v8 dst_sel:DWORD dst_unused:UNUSED_PAD src0_sel:WORD_0
	v_cvt_f32_u32_sdwa v21, v9 dst_sel:DWORD dst_unused:UNUSED_PAD src0_sel:WORD_1
	v_cvt_f32_u32_sdwa v20, v9 dst_sel:DWORD dst_unused:UNUSED_PAD src0_sel:WORD_0
	v_pk_add_f32 v[12:13], v[32:33], 1.0 op_sel_hi:[1,0]
	;;#ASMSTART
	v_pk_mul_f32 v[32:33], v[16:17], v[12:13]
	;;#ASMEND
	s_waitcnt vmcnt(0)
	v_cvt_f32_u32_sdwa v13, v2 dst_sel:DWORD dst_unused:UNUSED_PAD src0_sel:WORD_1
	v_cvt_f32_u32_sdwa v12, v2 dst_sel:DWORD dst_unused:UNUSED_PAD src0_sel:WORD_0
	v_pk_add_f32 v[8:9], v[14:15], 1.0 op_sel_hi:[1,0]
	;;#ASMSTART
	v_pk_mul_f32 v[26:27], v[26:27], v[8:9]
	;;#ASMEND
	v_pk_add_f32 v[8:9], v[20:21], 1.0 op_sel_hi:[1,0]
	v_cvt_f32_u32_sdwa v15, v3 dst_sel:DWORD dst_unused:UNUSED_PAD src0_sel:WORD_1
	v_cvt_f32_u32_sdwa v14, v3 dst_sel:DWORD dst_unused:UNUSED_PAD src0_sel:WORD_0
	;;#ASMSTART
	v_pk_mul_f32 v[30:31], v[30:31], v[8:9]
	;;#ASMEND
	v_cvt_f32_u32_sdwa v9, v4 dst_sel:DWORD dst_unused:UNUSED_PAD src0_sel:WORD_1
	v_cvt_f32_u32_sdwa v8, v4 dst_sel:DWORD dst_unused:UNUSED_PAD src0_sel:WORD_0
	v_pk_add_f32 v[2:3], v[12:13], 1.0 op_sel_hi:[1,0]
	v_cvt_f32_u32_sdwa v13, v5 dst_sel:DWORD dst_unused:UNUSED_PAD src0_sel:WORD_1
	v_cvt_f32_u32_sdwa v12, v5 dst_sel:DWORD dst_unused:UNUSED_PAD src0_sel:WORD_0
	;;#ASMSTART
	v_pk_mul_f32 v[24:25], v[24:25], v[2:3]
	;;#ASMEND
	v_pk_add_f32 v[2:3], v[14:15], 1.0 op_sel_hi:[1,0]
	;;#ASMSTART
	v_pk_mul_f32 v[28:29], v[28:29], v[2:3]
	;;#ASMEND
	v_pk_add_f32 v[2:3], v[8:9], 1.0 op_sel_hi:[1,0]
	;; [unrolled: 4-line block ×3, first 2 shown]
	;;#ASMSTART
	v_pk_mul_f32 v[20:21], v[6:7], v[2:3]
	;;#ASMEND
.LBB834_9:
	s_or_b64 exec, exec, s[8:9]
	s_load_dword s7, s[4:5], 0x80
	s_mov_b64 s[8:9], -1
	s_and_b64 vcc, exec, s[14:15]
	s_cbranch_vccnz .LBB834_13
; %bb.10:
	s_andn2_b64 vcc, exec, s[8:9]
	s_cbranch_vccz .LBB834_16
.LBB834_11:
	s_cmp_lt_i32 s20, 1
	s_cbranch_scc0 .LBB834_23
.LBB834_12:
	s_endpgm
.LBB834_13:
	s_and_saveexec_b64 s[14:15], s[2:3]
	s_cbranch_execz .LBB834_15
; %bb.14:
	s_waitcnt lgkmcnt(0)
	s_mul_hi_i32 s9, s7, s6
	s_mul_i32 s8, s7, s6
	s_lshl_b64 s[8:9], s[8:9], 1
	s_add_u32 s8, s28, s8
	s_addc_u32 s9, s29, s9
	s_mov_b32 s16, 0x7060302
	s_and_b32 s9, s9, 0xffff
	s_mov_b32 s11, 0x20000
	s_waitcnt vmcnt(0)
	v_perm_b32 v5, v31, v30, s16
	v_perm_b32 v4, v27, v26, s16
	;; [unrolled: 1-line block ×4, first 2 shown]
	v_lshlrev_b32_e32 v6, 5, v0
	buffer_store_dwordx4 v[2:5], v6, s[8:11], 0 offen
	;;#ASMSTART
	s_nop 0
	;;#ASMEND
	s_nop 0
	v_perm_b32 v5, v21, v20, s16
	v_perm_b32 v4, v23, v22, s16
	;; [unrolled: 1-line block ×4, first 2 shown]
	buffer_store_dwordx4 v[2:5], v6, s[8:11], 16 offen
	;;#ASMSTART
	s_nop 0
	;;#ASMEND
.LBB834_15:
	s_or_b64 exec, exec, s[14:15]
	s_cbranch_execnz .LBB834_11
.LBB834_16:
	s_waitcnt vmcnt(0)
	v_mov_b32_e32 v2, 0
	s_and_saveexec_b64 s[8:9], s[2:3]
	s_cbranch_execz .LBB834_18
; %bb.17:
	v_and_b32_e32 v2, 0x7fffffff, v18
	v_and_b32_e32 v3, 0x7fffffff, v19
	v_mov_b32_e32 v4, 0x2edbe6ff
	;;#ASMSTART
	v_max3_f32 v2, v4, v2, v3

	;;#ASMEND
	v_and_b32_e32 v3, 0x7fffffff, v32
	v_and_b32_e32 v4, 0x7fffffff, v33
	;;#ASMSTART
	v_max3_f32 v2, v2, v3, v4

	;;#ASMEND
	v_and_b32_e32 v3, 0x7fffffff, v26
	v_and_b32_e32 v4, 0x7fffffff, v27
	;; [unrolled: 6-line block ×7, first 2 shown]
	;;#ASMSTART
	v_max3_f32 v2, v2, v3, v4

	;;#ASMEND
.LBB834_18:
	s_or_b64 exec, exec, s[8:9]
	s_load_dwordx4 s[24:27], s[4:5], 0x70
	;;#ASMSTART
	v_max_f32 v3, v2, v2 quad_perm:[1,0,3,2] row_mask:0xf bank_mask:0xf bound_ctrl:1
	;;#ASMEND
	;;#ASMSTART
	v_max_f32 v2, v3, v3 quad_perm:[2,3,0,1] row_mask:0xf bank_mask:0xf bound_ctrl:1
	;;#ASMEND
	v_cmp_eq_u32_e32 vcc, 0, v10
	v_cmp_gt_i32_e64 s[8:9], s19, v1
	v_mul_f32_e32 v2, 0x3b124925, v2
	s_and_b64 s[10:11], vcc, s[8:9]
	s_and_saveexec_b64 s[8:9], s[10:11]
	s_cbranch_execz .LBB834_20
; %bb.19:
	s_load_dwordx2 s[10:11], s[4:5], 0x8
	s_waitcnt lgkmcnt(0)
	s_mul_hi_i32 s15, s25, s6
	s_mul_i32 s14, s25, s6
	v_lshrrev_b32_e32 v3, 2, v0
	s_lshl_b64 s[14:15], s[14:15], 2
	v_mad_i64_i32 v[4:5], s[26:27], s26, v3, 0
	s_add_u32 s10, s10, s14
	s_addc_u32 s11, s11, s15
	v_lshlrev_b64 v[4:5], 2, v[4:5]
	v_mov_b32_e32 v3, s11
	v_add_co_u32_e32 v4, vcc, s10, v4
	v_addc_co_u32_e32 v5, vcc, v3, v5, vcc
	global_store_dword v[4:5], v2, off
.LBB834_20:
	s_or_b64 exec, exec, s[8:9]
	;;#ASMSTART
	v_rcp_f32 v2, v2
	;;#ASMEND
	s_and_saveexec_b64 s[14:15], s[2:3]
	s_cbranch_execz .LBB834_22
; %bb.21:
	s_load_dwordx2 s[2:3], s[4:5], 0x0
	s_waitcnt lgkmcnt(0)
	s_mul_i32 s8, s24, s6
	s_mul_hi_i32 s9, s24, s6
	v_mov_b32_e32 v3, v2
	;;#ASMSTART
	v_pk_mul_f32 v[4:5], v[18:19], v[2:3]
	;;#ASMEND
	s_add_u32 s8, s2, s8
	s_addc_u32 s2, s3, s9
	s_add_i32 s3, s19, 3
	s_ashr_i32 s10, s3, 31
	v_mov_b32_e32 v10, 0xc3e00000
	v_mov_b32_e32 v11, 0x43e00000
	;;#ASMSTART
	v_med3_f32 v4, v4, v10, v11
v_med3_f32 v5, v5, v10, v11
v_cvt_pk_fp8_f32 v6, v4, v5
	;;#ASMEND
	s_and_b32 s9, s2, 0xffff
	s_lshr_b32 s2, s10, 30
	;;#ASMSTART
	v_pk_mul_f32 v[4:5], v[32:33], v[2:3]
	;;#ASMEND
	s_add_i32 s3, s3, s2
	;;#ASMSTART
	v_med3_f32 v4, v4, v10, v11
v_med3_f32 v5, v5, v10, v11
v_cvt_pk_fp8_f32 v7, v4, v5
	;;#ASMEND
	s_mov_b32 s2, 0x5040100
	v_perm_b32 v4, v7, v6, s2
	s_mov_b32 s2, 0x1060504
	v_perm_b32 v4, v4, v7, s2
	;;#ASMSTART
	v_pk_mul_f32 v[6:7], v[26:27], v[2:3]
	;;#ASMEND
	v_mov_b32_e32 v5, v7
	;;#ASMSTART
	v_med3_f32 v6, v6, v10, v11
v_med3_f32 v5, v5, v10, v11
v_cvt_pk_fp8_f32 v8, v6, v5
	;;#ASMEND
	;;#ASMSTART
	v_pk_mul_f32 v[6:7], v[30:31], v[2:3]
	;;#ASMEND
	v_mov_b32_e32 v5, v6
	;;#ASMSTART
	v_med3_f32 v5, v5, v10, v11
v_med3_f32 v7, v7, v10, v11
v_cvt_pk_fp8_f32 v6, v5, v7
	;;#ASMEND
	s_mov_b32 s2, 0x1000504
	v_perm_b32 v5, v8, v6, s2
	;;#ASMSTART
	v_pk_mul_f32 v[6:7], v[24:25], v[2:3]
	;;#ASMEND
	;;#ASMSTART
	v_med3_f32 v6, v6, v10, v11
v_med3_f32 v7, v7, v10, v11
v_cvt_pk_fp8_f32 v8, v6, v7
	;;#ASMEND
	;;#ASMSTART
	v_pk_mul_f32 v[6:7], v[28:29], v[2:3]
	;;#ASMEND
	;;#ASMSTART
	v_med3_f32 v6, v6, v10, v11
v_med3_f32 v7, v7, v10, v11
v_cvt_pk_fp8_f32 v9, v6, v7
	;;#ASMEND
	v_perm_b32 v6, v8, v9, s2
	;;#ASMSTART
	v_pk_mul_f32 v[8:9], v[22:23], v[2:3]
	;;#ASMEND
	v_mov_b32_e32 v7, v9
	;;#ASMSTART
	v_med3_f32 v8, v8, v10, v11
v_med3_f32 v7, v7, v10, v11
v_cvt_pk_fp8_f32 v9, v8, v7
	;;#ASMEND
	;;#ASMSTART
	v_pk_mul_f32 v[2:3], v[20:21], v[2:3]
	;;#ASMEND
	;;#ASMSTART
	v_med3_f32 v2, v2, v10, v11
v_med3_f32 v3, v3, v10, v11
v_cvt_pk_fp8_f32 v7, v2, v3
	;;#ASMEND
	s_and_b32 s10, s3, -4
	s_mov_b32 s11, 0x20000
	v_perm_b32 v7, v9, v7, s2
	buffer_store_dwordx4 v[4:7], v1, s[8:11], 0 offen
	;;#ASMSTART
	s_nop 0
	;;#ASMEND
.LBB834_22:
	s_or_b64 exec, exec, s[14:15]
	s_cmp_lt_i32 s20, 1
	s_cbranch_scc1 .LBB834_12
.LBB834_23:
	s_load_dword s2, s[4:5], 0x94
	s_waitcnt lgkmcnt(0)
	s_cmp_lg_u32 s2, 1
	s_cbranch_scc1 .LBB834_12
; %bb.24:
	s_lshl_b32 s2, s20, 1
	s_add_i32 s2, s2, 2
	v_cmp_gt_u32_e32 vcc, s20, v1
	s_and_b32 s14, s2, -4
	v_mov_b32_e32 v18, 0
	v_lshlrev_b32_e32 v1, 5, v0
	v_mov_b32_e32 v14, 0
	v_mov_b32_e32 v15, 0
	;; [unrolled: 1-line block ×8, first 2 shown]
	s_waitcnt vmcnt(1)
	v_mov_b32_e32 v6, 0
	v_mov_b32_e32 v7, 0
	;; [unrolled: 1-line block ×4, first 2 shown]
	s_waitcnt vmcnt(0)
	v_mov_b32_e32 v2, 0
	v_mov_b32_e32 v3, 0
	;; [unrolled: 1-line block ×4, first 2 shown]
	s_barrier
	s_and_saveexec_b64 s[2:3], vcc
	s_cbranch_execz .LBB834_26
; %bb.25:
	s_mul_hi_i32 s5, s22, s6
	s_mul_i32 s4, s22, s6
	s_and_b32 s13, s13, 0xffff
	s_lshl_b64 s[4:5], s[4:5], 1
	s_add_u32 s8, s30, s4
	s_mov_b32 s15, 0x20000
	s_addc_u32 s4, s31, s5
	s_and_b32 s9, s4, 0xffff
	s_mov_b32 s10, s14
	s_mov_b32 s11, s15
	buffer_load_dwordx4 v[14:17], v1, s[8:11], 0 offen
	buffer_load_dwordx4 v[10:13], v1, s[8:11], 16 offen
	;; [unrolled: 1-line block ×4, first 2 shown]
.LBB834_26:
	s_or_b64 exec, exec, s[2:3]
	v_mov_b32_e32 v19, 0
	v_mov_b32_e32 v32, 0
	;; [unrolled: 1-line block ×15, first 2 shown]
	s_and_saveexec_b64 s[2:3], vcc
	s_cbranch_execz .LBB834_28
; %bb.27:
	s_waitcnt vmcnt(3)
	v_cvt_f32_u32_sdwa v18, v14 dst_sel:DWORD dst_unused:UNUSED_PAD src0_sel:WORD_0
	v_cvt_f32_u32_sdwa v19, v14 dst_sel:DWORD dst_unused:UNUSED_PAD src0_sel:WORD_1
	v_cvt_f32_u32_sdwa v32, v15 dst_sel:DWORD dst_unused:UNUSED_PAD src0_sel:WORD_0
	v_cvt_f32_u32_sdwa v33, v15 dst_sel:DWORD dst_unused:UNUSED_PAD src0_sel:WORD_1
	;; [unrolled: 2-line block ×4, first 2 shown]
	s_waitcnt vmcnt(2)
	v_cvt_f32_u32_sdwa v26, v10 dst_sel:DWORD dst_unused:UNUSED_PAD src0_sel:WORD_0
	v_cvt_f32_u32_sdwa v27, v10 dst_sel:DWORD dst_unused:UNUSED_PAD src0_sel:WORD_1
	v_cvt_f32_u32_sdwa v24, v11 dst_sel:DWORD dst_unused:UNUSED_PAD src0_sel:WORD_0
	v_cvt_f32_u32_sdwa v25, v11 dst_sel:DWORD dst_unused:UNUSED_PAD src0_sel:WORD_1
	v_cvt_f32_u32_sdwa v22, v12 dst_sel:DWORD dst_unused:UNUSED_PAD src0_sel:WORD_0
	v_cvt_f32_u32_sdwa v23, v12 dst_sel:DWORD dst_unused:UNUSED_PAD src0_sel:WORD_1
	v_cvt_f32_u32_sdwa v20, v13 dst_sel:DWORD dst_unused:UNUSED_PAD src0_sel:WORD_0
	v_cvt_f32_u32_sdwa v21, v13 dst_sel:DWORD dst_unused:UNUSED_PAD src0_sel:WORD_1
.LBB834_28:
	s_or_b64 exec, exec, s[2:3]
	s_waitcnt vmcnt(2)
	v_mul_f32_e32 v10, v19, v19
	v_fmac_f32_e32 v10, v18, v18
	v_fmac_f32_e32 v10, v32, v32
	;; [unrolled: 1-line block ×15, first 2 shown]
	s_nop 1
	v_mov_b32_dpp v11, v10 quad_perm:[1,0,3,2] row_mask:0xf bank_mask:0xf
	v_add_f32_e32 v10, v10, v11
	s_nop 1
	v_mov_b32_dpp v11, v10 quad_perm:[2,3,0,1] row_mask:0xf bank_mask:0xf
	v_add_f32_e32 v10, v10, v11
	s_nop 1
	v_mov_b32_dpp v11, v10 row_half_mirror row_mask:0xf bank_mask:0xf
	v_add_f32_e32 v10, v10, v11
	s_nop 1
	v_mov_b32_dpp v11, v10 row_mirror row_mask:0xf bank_mask:0xf
	v_add_f32_e32 v10, v10, v11
	s_nop 1
	v_mov_b32_dpp v11, v10 row_bcast:15 row_mask:0xf bank_mask:0xf
	v_add_f32_e32 v10, v10, v11
	s_nop 1
	v_mov_b32_dpp v11, v10 row_bcast:31 row_mask:0xf bank_mask:0xf
	s_and_saveexec_b64 s[2:3], s[0:1]
	s_cbranch_execz .LBB834_30
; %bb.29:
	v_lshrrev_b32_e32 v0, 4, v0
	v_add_f32_e32 v10, v10, v11
	v_and_b32_e32 v0, 60, v0
	ds_write_b32 v0, v10
.LBB834_30:
	s_or_b64 exec, exec, s[2:3]
	s_waitcnt lgkmcnt(0)
	s_barrier
	ds_read_b32 v0, v34
	s_waitcnt lgkmcnt(0)
	s_nop 0
	v_mov_b32_dpp v10, v0 quad_perm:[1,0,3,2] row_mask:0xf bank_mask:0xf
	v_add_f32_e32 v0, v0, v10
	s_nop 1
	v_mov_b32_dpp v10, v0 quad_perm:[2,3,0,1] row_mask:0xf bank_mask:0xf
	s_and_saveexec_b64 s[0:1], vcc
	s_cbranch_execz .LBB834_12
; %bb.31:
	v_cvt_f32_u32_e32 v11, s20
	v_add_f32_e32 v0, v0, v10
	s_mov_b32 s15, 0x20000
	v_div_scale_f32 v10, s[0:1], v11, v11, v0
	v_rcp_f32_e32 v12, v10
	v_div_scale_f32 v13, vcc, v0, v11, v0
	s_mov_b32 s0, 0x800000
	v_fma_f32 v14, -v10, v12, 1.0
	v_fmac_f32_e32 v12, v14, v12
	v_mul_f32_e32 v14, v13, v12
	v_fma_f32 v15, -v10, v14, v13
	v_fmac_f32_e32 v14, v15, v12
	v_fma_f32 v10, -v10, v14, v13
	v_div_fmas_f32 v10, v10, v12, v14
	v_div_fixup_f32 v0, v10, v11, v0
	v_add_f32_e32 v0, s17, v0
	v_mul_f32_e32 v10, 0x4b800000, v0
	v_cmp_gt_f32_e32 vcc, s0, v0
	v_cndmask_b32_e32 v0, v0, v10, vcc
	v_rsq_f32_e32 v0, v0
	s_mul_hi_i32 s1, s7, s6
	s_mul_i32 s0, s7, s6
	s_lshl_b64 s[0:1], s[0:1], 1
	v_mul_f32_e32 v10, 0x45800000, v0
	v_cndmask_b32_e32 v10, v0, v10, vcc
	v_mov_b32_e32 v11, v10
	;;#ASMSTART
	v_pk_mul_f32 v[12:13], v[18:19], v[10:11]
	;;#ASMEND
	;;#ASMSTART
	v_pk_mul_f32 v[14:15], v[32:33], v[10:11]
	;;#ASMEND
	;; [unrolled: 3-line block ×4, first 2 shown]
	s_waitcnt vmcnt(1)
	v_cvt_f32_u32_sdwa v29, v6 dst_sel:DWORD dst_unused:UNUSED_PAD src0_sel:WORD_1
	v_cvt_f32_u32_sdwa v28, v6 dst_sel:DWORD dst_unused:UNUSED_PAD src0_sel:WORD_0
	v_cvt_f32_u32_sdwa v31, v7 dst_sel:DWORD dst_unused:UNUSED_PAD src0_sel:WORD_1
	v_cvt_f32_u32_sdwa v30, v7 dst_sel:DWORD dst_unused:UNUSED_PAD src0_sel:WORD_0
	;;#ASMSTART
	v_pk_mul_f32 v[26:27], v[26:27], v[10:11]
	;;#ASMEND
	;;#ASMSTART
	v_pk_mul_f32 v[24:25], v[24:25], v[10:11]
	;;#ASMEND
	;; [unrolled: 3-line block ×4, first 2 shown]
	v_cvt_f32_u32_sdwa v21, v8 dst_sel:DWORD dst_unused:UNUSED_PAD src0_sel:WORD_1
	v_cvt_f32_u32_sdwa v20, v8 dst_sel:DWORD dst_unused:UNUSED_PAD src0_sel:WORD_0
	v_pk_add_f32 v[10:11], v[28:29], 1.0 op_sel_hi:[1,0]
	;;#ASMSTART
	v_pk_mul_f32 v[10:11], v[12:13], v[10:11]
	;;#ASMEND
	v_pk_add_f32 v[12:13], v[30:31], 1.0 op_sel_hi:[1,0]
	v_cvt_f32_u32_sdwa v29, v9 dst_sel:DWORD dst_unused:UNUSED_PAD src0_sel:WORD_1
	v_cvt_f32_u32_sdwa v28, v9 dst_sel:DWORD dst_unused:UNUSED_PAD src0_sel:WORD_0
	;;#ASMSTART
	v_pk_mul_f32 v[8:9], v[14:15], v[12:13]
	;;#ASMEND
	v_pk_add_f32 v[12:13], v[20:21], 1.0 op_sel_hi:[1,0]
	;;#ASMSTART
	v_pk_mul_f32 v[12:13], v[16:17], v[12:13]
	;;#ASMEND
	s_waitcnt vmcnt(0)
	v_cvt_f32_u32_sdwa v17, v2 dst_sel:DWORD dst_unused:UNUSED_PAD src0_sel:WORD_1
	v_cvt_f32_u32_sdwa v16, v2 dst_sel:DWORD dst_unused:UNUSED_PAD src0_sel:WORD_0
	v_cvt_f32_u32_sdwa v21, v3 dst_sel:DWORD dst_unused:UNUSED_PAD src0_sel:WORD_1
	v_cvt_f32_u32_sdwa v20, v3 dst_sel:DWORD dst_unused:UNUSED_PAD src0_sel:WORD_0
	v_pk_add_f32 v[14:15], v[28:29], 1.0 op_sel_hi:[1,0]
	;;#ASMSTART
	v_pk_mul_f32 v[14:15], v[18:19], v[14:15]
	;;#ASMEND
	v_pk_add_f32 v[2:3], v[16:17], 1.0 op_sel_hi:[1,0]
	v_cvt_f32_u32_sdwa v19, v4 dst_sel:DWORD dst_unused:UNUSED_PAD src0_sel:WORD_1
	v_cvt_f32_u32_sdwa v18, v4 dst_sel:DWORD dst_unused:UNUSED_PAD src0_sel:WORD_0
	;;#ASMSTART
	v_pk_mul_f32 v[16:17], v[26:27], v[2:3]
	;;#ASMEND
	v_pk_add_f32 v[2:3], v[20:21], 1.0 op_sel_hi:[1,0]
	v_cvt_f32_u32_sdwa v21, v5 dst_sel:DWORD dst_unused:UNUSED_PAD src0_sel:WORD_1
	v_cvt_f32_u32_sdwa v20, v5 dst_sel:DWORD dst_unused:UNUSED_PAD src0_sel:WORD_0
	s_add_u32 s12, s28, s0
	;;#ASMSTART
	v_pk_mul_f32 v[24:25], v[24:25], v[2:3]
	;;#ASMEND
	v_pk_add_f32 v[2:3], v[18:19], 1.0 op_sel_hi:[1,0]
	s_addc_u32 s0, s29, s1
	;;#ASMSTART
	v_pk_mul_f32 v[18:19], v[22:23], v[2:3]
	;;#ASMEND
	v_pk_add_f32 v[2:3], v[20:21], 1.0 op_sel_hi:[1,0]
	s_and_b32 s13, s0, 0xffff
	s_mov_b32 s0, 0x7060302
	;;#ASMSTART
	v_pk_mul_f32 v[6:7], v[6:7], v[2:3]
	;;#ASMEND
	v_perm_b32 v2, v11, v10, s0
	v_perm_b32 v3, v9, v8, s0
	;; [unrolled: 1-line block ×4, first 2 shown]
	buffer_store_dwordx4 v[2:5], v1, s[12:15], 0 offen
	;;#ASMSTART
	s_nop 0
	;;#ASMEND
	s_nop 0
	v_perm_b32 v2, v17, v16, s0
	v_perm_b32 v3, v25, v24, s0
	;; [unrolled: 1-line block ×4, first 2 shown]
	buffer_store_dwordx4 v[2:5], v1, s[12:15], 16 offen
	;;#ASMSTART
	s_nop 0
	;;#ASMEND
	s_endpgm
	.section	.rodata,"a",@progbits
	.p2align	6, 0x0
	.amdhsa_kernel _ZN5aiter35fused_qk_rmsnorm_group_quant_kernelItDB8_Li256ELi16ELi4ELb0ELb0ELb1ELb0ELb0ELb0EEEvPT0_PvPT_S6_S6_PKS5_S8_S8_S8_S8_ffiiiiiiiiiiiii
		.amdhsa_group_segment_fixed_size 32
		.amdhsa_private_segment_fixed_size 0
		.amdhsa_kernarg_size 400
		.amdhsa_user_sgpr_count 6
		.amdhsa_user_sgpr_private_segment_buffer 1
		.amdhsa_user_sgpr_dispatch_ptr 0
		.amdhsa_user_sgpr_queue_ptr 0
		.amdhsa_user_sgpr_kernarg_segment_ptr 1
		.amdhsa_user_sgpr_dispatch_id 0
		.amdhsa_user_sgpr_flat_scratch_init 0
		.amdhsa_user_sgpr_kernarg_preload_length 0
		.amdhsa_user_sgpr_kernarg_preload_offset 0
		.amdhsa_user_sgpr_private_segment_size 0
		.amdhsa_uses_dynamic_stack 0
		.amdhsa_system_sgpr_private_segment_wavefront_offset 0
		.amdhsa_system_sgpr_workgroup_id_x 1
		.amdhsa_system_sgpr_workgroup_id_y 1
		.amdhsa_system_sgpr_workgroup_id_z 0
		.amdhsa_system_sgpr_workgroup_info 0
		.amdhsa_system_vgpr_workitem_id 0
		.amdhsa_next_free_vgpr 36
		.amdhsa_next_free_sgpr 32
		.amdhsa_accum_offset 36
		.amdhsa_reserve_vcc 1
		.amdhsa_reserve_flat_scratch 0
		.amdhsa_float_round_mode_32 0
		.amdhsa_float_round_mode_16_64 0
		.amdhsa_float_denorm_mode_32 3
		.amdhsa_float_denorm_mode_16_64 3
		.amdhsa_dx10_clamp 1
		.amdhsa_ieee_mode 1
		.amdhsa_fp16_overflow 0
		.amdhsa_tg_split 0
		.amdhsa_exception_fp_ieee_invalid_op 0
		.amdhsa_exception_fp_denorm_src 0
		.amdhsa_exception_fp_ieee_div_zero 0
		.amdhsa_exception_fp_ieee_overflow 0
		.amdhsa_exception_fp_ieee_underflow 0
		.amdhsa_exception_fp_ieee_inexact 0
		.amdhsa_exception_int_div_zero 0
	.end_amdhsa_kernel
	.section	.text._ZN5aiter35fused_qk_rmsnorm_group_quant_kernelItDB8_Li256ELi16ELi4ELb0ELb0ELb1ELb0ELb0ELb0EEEvPT0_PvPT_S6_S6_PKS5_S8_S8_S8_S8_ffiiiiiiiiiiiii,"axG",@progbits,_ZN5aiter35fused_qk_rmsnorm_group_quant_kernelItDB8_Li256ELi16ELi4ELb0ELb0ELb1ELb0ELb0ELb0EEEvPT0_PvPT_S6_S6_PKS5_S8_S8_S8_S8_ffiiiiiiiiiiiii,comdat
.Lfunc_end834:
	.size	_ZN5aiter35fused_qk_rmsnorm_group_quant_kernelItDB8_Li256ELi16ELi4ELb0ELb0ELb1ELb0ELb0ELb0EEEvPT0_PvPT_S6_S6_PKS5_S8_S8_S8_S8_ffiiiiiiiiiiiii, .Lfunc_end834-_ZN5aiter35fused_qk_rmsnorm_group_quant_kernelItDB8_Li256ELi16ELi4ELb0ELb0ELb1ELb0ELb0ELb0EEEvPT0_PvPT_S6_S6_PKS5_S8_S8_S8_S8_ffiiiiiiiiiiiii
                                        ; -- End function
	.section	.AMDGPU.csdata,"",@progbits
; Kernel info:
; codeLenInByte = 3568
; NumSgprs: 36
; NumVgprs: 36
; NumAgprs: 0
; TotalNumVgprs: 36
; ScratchSize: 0
; MemoryBound: 0
; FloatMode: 240
; IeeeMode: 1
; LDSByteSize: 32 bytes/workgroup (compile time only)
; SGPRBlocks: 4
; VGPRBlocks: 4
; NumSGPRsForWavesPerEU: 36
; NumVGPRsForWavesPerEU: 36
; AccumOffset: 36
; Occupancy: 8
; WaveLimiterHint : 0
; COMPUTE_PGM_RSRC2:SCRATCH_EN: 0
; COMPUTE_PGM_RSRC2:USER_SGPR: 6
; COMPUTE_PGM_RSRC2:TRAP_HANDLER: 0
; COMPUTE_PGM_RSRC2:TGID_X_EN: 1
; COMPUTE_PGM_RSRC2:TGID_Y_EN: 1
; COMPUTE_PGM_RSRC2:TGID_Z_EN: 0
; COMPUTE_PGM_RSRC2:TIDIG_COMP_CNT: 0
; COMPUTE_PGM_RSRC3_GFX90A:ACCUM_OFFSET: 8
; COMPUTE_PGM_RSRC3_GFX90A:TG_SPLIT: 0
	.section	.text._ZN5aiter35fused_qk_rmsnorm_group_quant_kernelIDF16_N4opus5fp4_tELi256ELi16ELi4ELb0ELb0ELb1ELb0ELb0ELb0EEEvPT0_PvPT_S7_S7_PKS6_S9_S9_S9_S9_ffiiiiiiiiiiiii,"axG",@progbits,_ZN5aiter35fused_qk_rmsnorm_group_quant_kernelIDF16_N4opus5fp4_tELi256ELi16ELi4ELb0ELb0ELb1ELb0ELb0ELb0EEEvPT0_PvPT_S7_S7_PKS6_S9_S9_S9_S9_ffiiiiiiiiiiiii,comdat
	.protected	_ZN5aiter35fused_qk_rmsnorm_group_quant_kernelIDF16_N4opus5fp4_tELi256ELi16ELi4ELb0ELb0ELb1ELb0ELb0ELb0EEEvPT0_PvPT_S7_S7_PKS6_S9_S9_S9_S9_ffiiiiiiiiiiiii ; -- Begin function _ZN5aiter35fused_qk_rmsnorm_group_quant_kernelIDF16_N4opus5fp4_tELi256ELi16ELi4ELb0ELb0ELb1ELb0ELb0ELb0EEEvPT0_PvPT_S7_S7_PKS6_S9_S9_S9_S9_ffiiiiiiiiiiiii
	.globl	_ZN5aiter35fused_qk_rmsnorm_group_quant_kernelIDF16_N4opus5fp4_tELi256ELi16ELi4ELb0ELb0ELb1ELb0ELb0ELb0EEEvPT0_PvPT_S7_S7_PKS6_S9_S9_S9_S9_ffiiiiiiiiiiiii
	.p2align	8
	.type	_ZN5aiter35fused_qk_rmsnorm_group_quant_kernelIDF16_N4opus5fp4_tELi256ELi16ELi4ELb0ELb0ELb1ELb0ELb0ELb0EEEvPT0_PvPT_S7_S7_PKS6_S9_S9_S9_S9_ffiiiiiiiiiiiii,@function
_ZN5aiter35fused_qk_rmsnorm_group_quant_kernelIDF16_N4opus5fp4_tELi256ELi16ELi4ELb0ELb0ELb1ELb0ELb0ELb0EEEvPT0_PvPT_S7_S7_PKS6_S9_S9_S9_S9_ffiiiiiiiiiiiii: ; @_ZN5aiter35fused_qk_rmsnorm_group_quant_kernelIDF16_N4opus5fp4_tELi256ELi16ELi4ELb0ELb0ELb1ELb0ELb0ELb0EEEvPT0_PvPT_S7_S7_PKS6_S9_S9_S9_S9_ffiiiiiiiiiiiii
; %bb.0:
	s_load_dwordx4 s[16:19], s[4:5], 0x50
	s_waitcnt lgkmcnt(0)
	s_cmp_ge_i32 s6, s18
	s_cbranch_scc1 .LBB835_12
; %bb.1:
	s_load_dwordx2 s[12:13], s[4:5], 0x48
	s_load_dwordx2 s[30:31], s[4:5], 0x30
	s_load_dwordx4 s[20:23], s[4:5], 0x60
	s_cmp_lg_u32 s7, 0
	s_cselect_b64 s[14:15], -1, 0
	s_cmp_eq_u32 s7, 0
	s_cselect_b64 vcc, -1, 0
	s_and_b64 s[0:1], vcc, exec
	s_waitcnt lgkmcnt(0)
	s_cselect_b32 s7, s19, s20
	s_add_i32 s0, s7, 1
	s_lshr_b32 s1, s0, 31
	s_add_i32 s0, s0, s1
	s_lshl_b32 s0, s0, 1
	v_lshlrev_b32_e32 v1, 4, v0
	s_and_b32 s10, s0, -4
	v_cmp_gt_i32_e64 s[2:3], s7, v1
	v_mov_b32_e32 v18, 0
	v_mov_b32_e32 v6, 0
	;; [unrolled: 1-line block ×17, first 2 shown]
	s_and_saveexec_b64 s[0:1], s[2:3]
	s_cbranch_execz .LBB835_3
; %bb.2:
	s_load_dwordx2 s[8:9], s[4:5], 0x28
	s_load_dwordx2 s[26:27], s[4:5], 0x40
	s_and_b64 s[24:25], vcc, exec
	s_cselect_b32 s11, s21, s22
	v_lshlrev_b32_e32 v19, 5, v0
	s_waitcnt lgkmcnt(0)
	s_cselect_b32 s18, s9, s31
	s_cselect_b32 s21, s8, s30
	s_mul_hi_i32 s9, s11, s6
	s_mul_i32 s8, s11, s6
	s_lshl_b64 s[8:9], s[8:9], 1
	s_add_u32 s24, s21, s8
	s_addc_u32 s18, s18, s9
	s_and_b64 s[8:9], vcc, exec
	s_mov_b32 s11, 0x20000
	s_cselect_b32 s8, s26, s12
	s_cselect_b32 s9, s27, s13
	s_and_b32 s25, s18, 0xffff
	s_mov_b32 s26, s10
	s_mov_b32 s27, s11
	s_and_b32 s9, s9, 0xffff
	buffer_load_dwordx4 v[14:17], v19, s[24:27], 0 offen
	buffer_load_dwordx4 v[10:13], v19, s[24:27], 16 offen
	;; [unrolled: 1-line block ×4, first 2 shown]
.LBB835_3:
	s_or_b64 exec, exec, s[0:1]
	v_mov_b32_e32 v19, 0
	v_mov_b32_e32 v22, 0
	;; [unrolled: 1-line block ×15, first 2 shown]
	s_and_saveexec_b64 s[0:1], s[2:3]
	s_cbranch_execz .LBB835_5
; %bb.4:
	s_waitcnt vmcnt(3)
	v_cvt_f32_f16_sdwa v19, v14 dst_sel:DWORD dst_unused:UNUSED_PAD src0_sel:WORD_1
	v_cvt_f32_f16_e32 v18, v14
	v_cvt_f32_f16_sdwa v23, v15 dst_sel:DWORD dst_unused:UNUSED_PAD src0_sel:WORD_1
	v_cvt_f32_f16_e32 v22, v15
	;; [unrolled: 2-line block ×4, first 2 shown]
	s_waitcnt vmcnt(2)
	v_cvt_f32_f16_sdwa v27, v10 dst_sel:DWORD dst_unused:UNUSED_PAD src0_sel:WORD_1
	v_cvt_f32_f16_e32 v26, v10
	v_cvt_f32_f16_sdwa v33, v11 dst_sel:DWORD dst_unused:UNUSED_PAD src0_sel:WORD_1
	v_cvt_f32_f16_e32 v32, v11
	;; [unrolled: 2-line block ×4, first 2 shown]
.LBB835_5:
	s_or_b64 exec, exec, s[0:1]
	s_waitcnt vmcnt(2)
	v_mul_f32_e32 v10, v19, v19
	v_fmac_f32_e32 v10, v18, v18
	v_fmac_f32_e32 v10, v22, v22
	;; [unrolled: 1-line block ×15, first 2 shown]
	v_and_b32_e32 v12, 63, v0
	v_cmp_eq_u32_e64 s[0:1], 63, v12
	v_mov_b32_dpp v11, v10 quad_perm:[1,0,3,2] row_mask:0xf bank_mask:0xf
	v_add_f32_e32 v10, v10, v11
	s_nop 1
	v_mov_b32_dpp v11, v10 quad_perm:[2,3,0,1] row_mask:0xf bank_mask:0xf
	v_add_f32_e32 v10, v10, v11
	s_nop 1
	v_mov_b32_dpp v11, v10 row_half_mirror row_mask:0xf bank_mask:0xf
	v_add_f32_e32 v10, v10, v11
	s_nop 1
	v_mov_b32_dpp v11, v10 row_mirror row_mask:0xf bank_mask:0xf
	v_add_f32_e32 v10, v10, v11
	s_nop 1
	v_mov_b32_dpp v11, v10 row_bcast:15 row_mask:0xf bank_mask:0xf
	v_add_f32_e32 v10, v10, v11
	s_nop 1
	v_mov_b32_dpp v11, v10 row_bcast:31 row_mask:0xf bank_mask:0xf
	s_and_saveexec_b64 s[8:9], s[0:1]
	s_cbranch_execz .LBB835_7
; %bb.6:
	v_add_f32_e32 v10, v10, v11
	v_lshrrev_b32_e32 v11, 4, v0
	v_and_b32_e32 v11, 60, v11
	ds_write_b32 v11, v10 offset:16
.LBB835_7:
	s_or_b64 exec, exec, s[8:9]
	v_and_b32_e32 v10, 3, v0
	v_lshlrev_b32_e32 v34, 2, v10
	s_waitcnt lgkmcnt(0)
	s_barrier
	ds_read_b32 v11, v34 offset:16
	s_load_dwordx2 s[28:29], s[4:5], 0x18
	s_waitcnt lgkmcnt(0)
	v_mov_b32_dpp v12, v11 quad_perm:[1,0,3,2] row_mask:0xf bank_mask:0xf
	v_add_f32_e32 v11, v11, v12
	s_nop 1
	v_mov_b32_dpp v12, v11 quad_perm:[2,3,0,1] row_mask:0xf bank_mask:0xf
	s_and_saveexec_b64 s[8:9], s[2:3]
	s_cbranch_execz .LBB835_9
; %bb.8:
	v_cvt_f32_u32_e32 v13, s7
	v_add_f32_e32 v11, v11, v12
	v_mov_b32_e32 v15, s17
	v_mov_b32_e32 v16, s16
	v_div_scale_f32 v12, s[24:25], v13, v13, v11
	v_rcp_f32_e32 v14, v12
	v_cndmask_b32_e32 v15, v15, v16, vcc
	s_mov_b32 s7, 0x800000
	v_fma_f32 v16, -v12, v14, 1.0
	v_fmac_f32_e32 v14, v16, v14
	v_div_scale_f32 v16, vcc, v11, v13, v11
	v_mul_f32_e32 v17, v16, v14
	v_fma_f32 v35, -v12, v17, v16
	v_fmac_f32_e32 v17, v35, v14
	v_fma_f32 v12, -v12, v17, v16
	v_div_fmas_f32 v12, v12, v14, v17
	v_div_fixup_f32 v11, v12, v13, v11
	v_add_f32_e32 v11, v15, v11
	v_mul_f32_e32 v12, 0x4b800000, v11
	v_cmp_gt_f32_e32 vcc, s7, v11
	v_cndmask_b32_e32 v11, v11, v12, vcc
	v_rsq_f32_e32 v11, v11
	v_mul_f32_e32 v12, 0x45800000, v11
	v_cndmask_b32_e32 v12, v11, v12, vcc
	v_mov_b32_e32 v13, v12
	;;#ASMSTART
	v_pk_mul_f32 v[14:15], v[18:19], v[12:13]
	;;#ASMEND
	s_waitcnt vmcnt(1)
	v_cvt_f32_f16_sdwa v19, v6 dst_sel:DWORD dst_unused:UNUSED_PAD src0_sel:WORD_1
	v_cvt_f32_f16_e32 v18, v6
	;;#ASMSTART
	v_pk_mul_f32 v[16:17], v[22:23], v[12:13]
	;;#ASMEND
	v_cvt_f32_f16_sdwa v23, v7 dst_sel:DWORD dst_unused:UNUSED_PAD src0_sel:WORD_1
	v_cvt_f32_f16_e32 v22, v7
	;;#ASMSTART
	v_pk_mul_f32 v[20:21], v[20:21], v[12:13]
	;;#ASMEND
	;;#ASMSTART
	v_pk_mul_f32 v[28:29], v[28:29], v[12:13]
	;;#ASMEND
	;; [unrolled: 3-line block ×6, first 2 shown]
	v_pk_add_f32 v[12:13], v[18:19], 1.0 op_sel_hi:[1,0]
	;;#ASMSTART
	v_pk_mul_f32 v[18:19], v[14:15], v[12:13]
	;;#ASMEND
	v_cvt_f32_f16_sdwa v15, v8 dst_sel:DWORD dst_unused:UNUSED_PAD src0_sel:WORD_1
	v_cvt_f32_f16_e32 v14, v8
	v_cvt_f32_f16_sdwa v25, v9 dst_sel:DWORD dst_unused:UNUSED_PAD src0_sel:WORD_1
	v_cvt_f32_f16_e32 v24, v9
	v_pk_add_f32 v[12:13], v[22:23], 1.0 op_sel_hi:[1,0]
	;;#ASMSTART
	v_pk_mul_f32 v[22:23], v[16:17], v[12:13]
	;;#ASMEND
	s_waitcnt vmcnt(0)
	v_cvt_f32_f16_sdwa v13, v2 dst_sel:DWORD dst_unused:UNUSED_PAD src0_sel:WORD_1
	v_cvt_f32_f16_e32 v12, v2
	v_pk_add_f32 v[8:9], v[14:15], 1.0 op_sel_hi:[1,0]
	;;#ASMSTART
	v_pk_mul_f32 v[20:21], v[20:21], v[8:9]
	;;#ASMEND
	v_pk_add_f32 v[8:9], v[24:25], 1.0 op_sel_hi:[1,0]
	v_cvt_f32_f16_sdwa v15, v3 dst_sel:DWORD dst_unused:UNUSED_PAD src0_sel:WORD_1
	v_cvt_f32_f16_e32 v14, v3
	;;#ASMSTART
	v_pk_mul_f32 v[28:29], v[28:29], v[8:9]
	;;#ASMEND
	v_cvt_f32_f16_sdwa v9, v4 dst_sel:DWORD dst_unused:UNUSED_PAD src0_sel:WORD_1
	v_cvt_f32_f16_e32 v8, v4
	v_pk_add_f32 v[2:3], v[12:13], 1.0 op_sel_hi:[1,0]
	v_cvt_f32_f16_sdwa v13, v5 dst_sel:DWORD dst_unused:UNUSED_PAD src0_sel:WORD_1
	v_cvt_f32_f16_e32 v12, v5
	;;#ASMSTART
	v_pk_mul_f32 v[26:27], v[26:27], v[2:3]
	;;#ASMEND
	v_pk_add_f32 v[2:3], v[14:15], 1.0 op_sel_hi:[1,0]
	;;#ASMSTART
	v_pk_mul_f32 v[32:33], v[32:33], v[2:3]
	;;#ASMEND
	v_pk_add_f32 v[2:3], v[8:9], 1.0 op_sel_hi:[1,0]
	;; [unrolled: 4-line block ×3, first 2 shown]
	;;#ASMSTART
	v_pk_mul_f32 v[24:25], v[6:7], v[2:3]
	;;#ASMEND
.LBB835_9:
	s_or_b64 exec, exec, s[8:9]
	s_load_dword s7, s[4:5], 0x80
	s_mov_b64 s[8:9], -1
	s_and_b64 vcc, exec, s[14:15]
	s_cbranch_vccnz .LBB835_13
; %bb.10:
	s_andn2_b64 vcc, exec, s[8:9]
	s_cbranch_vccz .LBB835_16
.LBB835_11:
	s_cmp_lt_i32 s20, 1
	s_cbranch_scc0 .LBB835_23
.LBB835_12:
	s_endpgm
.LBB835_13:
	s_and_saveexec_b64 s[14:15], s[2:3]
	s_cbranch_execz .LBB835_15
; %bb.14:
	s_waitcnt lgkmcnt(0)
	s_mul_hi_i32 s9, s7, s6
	s_mul_i32 s8, s7, s6
	s_waitcnt vmcnt(0)
	v_cvt_f16_f32_e32 v2, v18
	v_cvt_f16_f32_e32 v3, v22
	;; [unrolled: 1-line block ×8, first 2 shown]
	s_lshl_b64 s[8:9], s[8:9], 1
	s_add_u32 s8, s28, s8
	s_addc_u32 s9, s29, s9
	s_and_b32 s9, s9, 0xffff
	s_mov_b32 s11, 0x20000
	v_pack_b32_f16 v5, v5, v6
	v_pack_b32_f16 v4, v4, v7
	;; [unrolled: 1-line block ×4, first 2 shown]
	v_lshlrev_b32_e32 v6, 5, v0
	buffer_store_dwordx4 v[2:5], v6, s[8:11], 0 offen
	v_cvt_f16_f32_e32 v7, v25
	v_cvt_f16_f32_e32 v2, v26
	;; [unrolled: 1-line block ×8, first 2 shown]
	v_pack_b32_f16 v5, v5, v7
	v_pack_b32_f16 v4, v4, v8
	;; [unrolled: 1-line block ×4, first 2 shown]
	;;#ASMSTART
	s_nop 0
	;;#ASMEND
	buffer_store_dwordx4 v[2:5], v6, s[8:11], 16 offen
	;;#ASMSTART
	s_nop 0
	;;#ASMEND
.LBB835_15:
	s_or_b64 exec, exec, s[14:15]
	s_cbranch_execnz .LBB835_11
.LBB835_16:
	s_waitcnt vmcnt(0)
	v_mov_b32_e32 v2, 0
	s_and_saveexec_b64 s[8:9], s[2:3]
	s_cbranch_execz .LBB835_18
; %bb.17:
	v_and_b32_e32 v2, 0x7fffffff, v18
	v_and_b32_e32 v3, 0x7fffffff, v19
	v_mov_b32_e32 v4, 0x2edbe6ff
	;;#ASMSTART
	v_max3_f32 v2, v4, v2, v3

	;;#ASMEND
	v_and_b32_e32 v3, 0x7fffffff, v22
	v_and_b32_e32 v4, 0x7fffffff, v23
	;;#ASMSTART
	v_max3_f32 v2, v2, v3, v4

	;;#ASMEND
	v_and_b32_e32 v3, 0x7fffffff, v20
	v_and_b32_e32 v4, 0x7fffffff, v21
	;; [unrolled: 6-line block ×7, first 2 shown]
	;;#ASMSTART
	v_max3_f32 v2, v2, v3, v4

	;;#ASMEND
.LBB835_18:
	s_or_b64 exec, exec, s[8:9]
	s_load_dwordx4 s[24:27], s[4:5], 0x70
	v_cmp_eq_u32_e32 vcc, 0, v10
	v_cmp_gt_i32_e64 s[8:9], s19, v1
	s_and_b64 s[10:11], vcc, s[8:9]
	;;#ASMSTART
	v_max_f32 v3, v2, v2 quad_perm:[1,0,3,2] row_mask:0xf bank_mask:0xf bound_ctrl:1
	;;#ASMEND
	;;#ASMSTART
	v_max_f32 v2, v3, v3 quad_perm:[2,3,0,1] row_mask:0xf bank_mask:0xf bound_ctrl:1
	;;#ASMEND
	s_and_saveexec_b64 s[8:9], s[10:11]
	s_cbranch_execz .LBB835_20
; %bb.19:
	s_load_dwordx2 s[10:11], s[4:5], 0x8
	v_mul_f32_e32 v2, 0x3e2aaaab, v2
	v_lshrrev_b32_e32 v3, 23, v2
	v_and_b32_e32 v4, 0x7f800000, v2
	v_and_b32_e32 v2, 0x7fffff, v2
	v_cmp_ne_u32_e32 vcc, 0, v2
	s_waitcnt lgkmcnt(0)
	s_mul_i32 s16, s25, s6
	s_mov_b32 s14, 0x7f800000
	v_addc_co_u32_e32 v2, vcc, 0, v3, vcc
	s_mul_hi_i32 s15, s25, s6
	s_add_u32 s10, s10, s16
	v_cmp_ne_u32_e32 vcc, s14, v4
	s_addc_u32 s11, s11, s15
	v_lshrrev_b32_e32 v5, 2, v0
	v_cndmask_b32_e32 v4, -1, v2, vcc
	v_pk_mov_b32 v[2:3], s[10:11], s[10:11] op_sel:[0,1]
	v_mad_i64_i32 v[2:3], s[10:11], s26, v5, v[2:3]
	global_store_byte v[2:3], v4, off
.LBB835_20:
	s_or_b64 exec, exec, s[8:9]
	s_and_saveexec_b64 s[8:9], s[2:3]
	s_cbranch_execz .LBB835_22
; %bb.21:
	s_load_dwordx2 s[2:3], s[4:5], 0x0
	s_waitcnt lgkmcnt(0)
	s_mul_i32 s11, s24, s6
	s_mul_hi_i32 s10, s24, s6
	v_mov_b32_e32 v2, 0
	v_lshlrev_b32_e32 v4, 3, v0
	s_add_u32 s24, s2, s11
	s_addc_u32 s2, s3, s10
	s_lshr_b32 s3, s19, 31
	s_add_i32 s3, s19, s3
	s_ashr_i32 s3, s3, 1
	s_add_i32 s3, s3, 3
	s_ashr_i32 s10, s3, 31
	s_lshr_b32 s10, s10, 30
	s_add_i32 s3, s3, s10
	s_and_b32 s26, s3, -4
	s_and_b32 s25, s2, 0xffff
	s_mov_b32 s27, 0x20000
	v_mov_b32_e32 v3, v2
	buffer_store_dwordx2 v[2:3], v4, s[24:27], 0 offen
	;;#ASMSTART
	s_nop 0
	;;#ASMEND
.LBB835_22:
	s_or_b64 exec, exec, s[8:9]
	s_cmp_lt_i32 s20, 1
	s_cbranch_scc1 .LBB835_12
.LBB835_23:
	s_load_dword s2, s[4:5], 0x94
	s_waitcnt lgkmcnt(0)
	s_cmp_lg_u32 s2, 1
	s_cbranch_scc1 .LBB835_12
; %bb.24:
	s_lshl_b32 s2, s20, 1
	s_add_i32 s2, s2, 2
	v_cmp_gt_u32_e32 vcc, s20, v1
	s_and_b32 s14, s2, -4
	v_mov_b32_e32 v18, 0
	v_lshlrev_b32_e32 v1, 5, v0
	v_mov_b32_e32 v14, 0
	v_mov_b32_e32 v15, 0
	;; [unrolled: 1-line block ×8, first 2 shown]
	s_waitcnt vmcnt(1)
	v_mov_b32_e32 v6, 0
	v_mov_b32_e32 v7, 0
	;; [unrolled: 1-line block ×4, first 2 shown]
	s_waitcnt vmcnt(0)
	v_mov_b32_e32 v2, 0
	v_mov_b32_e32 v3, 0
	;; [unrolled: 1-line block ×4, first 2 shown]
	s_barrier
	s_and_saveexec_b64 s[2:3], vcc
	s_cbranch_execz .LBB835_26
; %bb.25:
	s_mul_hi_i32 s5, s22, s6
	s_mul_i32 s4, s22, s6
	s_and_b32 s13, s13, 0xffff
	s_lshl_b64 s[4:5], s[4:5], 1
	s_add_u32 s8, s30, s4
	s_mov_b32 s15, 0x20000
	s_addc_u32 s4, s31, s5
	s_and_b32 s9, s4, 0xffff
	s_mov_b32 s10, s14
	s_mov_b32 s11, s15
	buffer_load_dwordx4 v[14:17], v1, s[8:11], 0 offen
	buffer_load_dwordx4 v[10:13], v1, s[8:11], 16 offen
	;; [unrolled: 1-line block ×4, first 2 shown]
.LBB835_26:
	s_or_b64 exec, exec, s[2:3]
	v_mov_b32_e32 v19, 0
	v_mov_b32_e32 v32, 0
	;; [unrolled: 1-line block ×15, first 2 shown]
	s_and_saveexec_b64 s[2:3], vcc
	s_cbranch_execz .LBB835_28
; %bb.27:
	s_waitcnt vmcnt(3)
	v_cvt_f32_f16_sdwa v19, v14 dst_sel:DWORD dst_unused:UNUSED_PAD src0_sel:WORD_1
	v_cvt_f32_f16_e32 v18, v14
	v_cvt_f32_f16_sdwa v33, v15 dst_sel:DWORD dst_unused:UNUSED_PAD src0_sel:WORD_1
	v_cvt_f32_f16_e32 v32, v15
	;; [unrolled: 2-line block ×4, first 2 shown]
	s_waitcnt vmcnt(2)
	v_cvt_f32_f16_sdwa v27, v10 dst_sel:DWORD dst_unused:UNUSED_PAD src0_sel:WORD_1
	v_cvt_f32_f16_e32 v26, v10
	v_cvt_f32_f16_sdwa v25, v11 dst_sel:DWORD dst_unused:UNUSED_PAD src0_sel:WORD_1
	v_cvt_f32_f16_e32 v24, v11
	;; [unrolled: 2-line block ×4, first 2 shown]
.LBB835_28:
	s_or_b64 exec, exec, s[2:3]
	s_waitcnt vmcnt(2)
	v_mul_f32_e32 v10, v19, v19
	v_fmac_f32_e32 v10, v18, v18
	v_fmac_f32_e32 v10, v32, v32
	;; [unrolled: 1-line block ×15, first 2 shown]
	s_nop 1
	v_mov_b32_dpp v11, v10 quad_perm:[1,0,3,2] row_mask:0xf bank_mask:0xf
	v_add_f32_e32 v10, v10, v11
	s_nop 1
	v_mov_b32_dpp v11, v10 quad_perm:[2,3,0,1] row_mask:0xf bank_mask:0xf
	v_add_f32_e32 v10, v10, v11
	s_nop 1
	v_mov_b32_dpp v11, v10 row_half_mirror row_mask:0xf bank_mask:0xf
	v_add_f32_e32 v10, v10, v11
	s_nop 1
	v_mov_b32_dpp v11, v10 row_mirror row_mask:0xf bank_mask:0xf
	v_add_f32_e32 v10, v10, v11
	s_nop 1
	v_mov_b32_dpp v11, v10 row_bcast:15 row_mask:0xf bank_mask:0xf
	v_add_f32_e32 v10, v10, v11
	s_nop 1
	v_mov_b32_dpp v11, v10 row_bcast:31 row_mask:0xf bank_mask:0xf
	s_and_saveexec_b64 s[2:3], s[0:1]
	s_cbranch_execz .LBB835_30
; %bb.29:
	v_lshrrev_b32_e32 v0, 4, v0
	v_add_f32_e32 v10, v10, v11
	v_and_b32_e32 v0, 60, v0
	ds_write_b32 v0, v10
.LBB835_30:
	s_or_b64 exec, exec, s[2:3]
	s_waitcnt lgkmcnt(0)
	s_barrier
	ds_read_b32 v0, v34
	s_waitcnt lgkmcnt(0)
	s_nop 0
	v_mov_b32_dpp v10, v0 quad_perm:[1,0,3,2] row_mask:0xf bank_mask:0xf
	v_add_f32_e32 v0, v0, v10
	s_nop 1
	v_mov_b32_dpp v10, v0 quad_perm:[2,3,0,1] row_mask:0xf bank_mask:0xf
	s_and_saveexec_b64 s[0:1], vcc
	s_cbranch_execz .LBB835_12
; %bb.31:
	v_cvt_f32_u32_e32 v11, s20
	v_add_f32_e32 v0, v0, v10
	s_mov_b32 s15, 0x20000
	v_div_scale_f32 v10, s[0:1], v11, v11, v0
	v_rcp_f32_e32 v12, v10
	v_div_scale_f32 v13, vcc, v0, v11, v0
	s_mov_b32 s0, 0x800000
	v_fma_f32 v14, -v10, v12, 1.0
	v_fmac_f32_e32 v12, v14, v12
	v_mul_f32_e32 v14, v13, v12
	v_fma_f32 v15, -v10, v14, v13
	v_fmac_f32_e32 v14, v15, v12
	v_fma_f32 v10, -v10, v14, v13
	v_div_fmas_f32 v10, v10, v12, v14
	v_div_fixup_f32 v0, v10, v11, v0
	v_add_f32_e32 v0, s17, v0
	v_mul_f32_e32 v10, 0x4b800000, v0
	v_cmp_gt_f32_e32 vcc, s0, v0
	v_cndmask_b32_e32 v0, v0, v10, vcc
	v_rsq_f32_e32 v0, v0
	s_mul_hi_i32 s1, s7, s6
	s_mul_i32 s0, s7, s6
	s_lshl_b64 s[0:1], s[0:1], 1
	v_mul_f32_e32 v10, 0x45800000, v0
	v_cndmask_b32_e32 v10, v0, v10, vcc
	v_mov_b32_e32 v11, v10
	;;#ASMSTART
	v_pk_mul_f32 v[12:13], v[18:19], v[10:11]
	;;#ASMEND
	;;#ASMSTART
	v_pk_mul_f32 v[14:15], v[32:33], v[10:11]
	;;#ASMEND
	;; [unrolled: 3-line block ×4, first 2 shown]
	s_waitcnt vmcnt(1)
	v_cvt_f32_f16_sdwa v29, v6 dst_sel:DWORD dst_unused:UNUSED_PAD src0_sel:WORD_1
	v_cvt_f32_f16_e32 v28, v6
	v_cvt_f32_f16_sdwa v31, v7 dst_sel:DWORD dst_unused:UNUSED_PAD src0_sel:WORD_1
	v_cvt_f32_f16_e32 v30, v7
	;;#ASMSTART
	v_pk_mul_f32 v[26:27], v[26:27], v[10:11]
	;;#ASMEND
	;;#ASMSTART
	v_pk_mul_f32 v[24:25], v[24:25], v[10:11]
	;;#ASMEND
	;; [unrolled: 3-line block ×4, first 2 shown]
	v_cvt_f32_f16_sdwa v21, v8 dst_sel:DWORD dst_unused:UNUSED_PAD src0_sel:WORD_1
	v_cvt_f32_f16_e32 v20, v8
	v_pk_add_f32 v[10:11], v[28:29], 1.0 op_sel_hi:[1,0]
	;;#ASMSTART
	v_pk_mul_f32 v[10:11], v[12:13], v[10:11]
	;;#ASMEND
	v_pk_add_f32 v[12:13], v[30:31], 1.0 op_sel_hi:[1,0]
	v_cvt_f32_f16_sdwa v29, v9 dst_sel:DWORD dst_unused:UNUSED_PAD src0_sel:WORD_1
	v_cvt_f32_f16_e32 v28, v9
	;;#ASMSTART
	v_pk_mul_f32 v[8:9], v[14:15], v[12:13]
	;;#ASMEND
	v_pk_add_f32 v[12:13], v[20:21], 1.0 op_sel_hi:[1,0]
	;;#ASMSTART
	v_pk_mul_f32 v[12:13], v[16:17], v[12:13]
	;;#ASMEND
	s_waitcnt vmcnt(0)
	v_cvt_f32_f16_sdwa v17, v2 dst_sel:DWORD dst_unused:UNUSED_PAD src0_sel:WORD_1
	v_cvt_f32_f16_e32 v16, v2
	v_cvt_f32_f16_sdwa v21, v3 dst_sel:DWORD dst_unused:UNUSED_PAD src0_sel:WORD_1
	v_cvt_f32_f16_e32 v20, v3
	v_pk_add_f32 v[14:15], v[28:29], 1.0 op_sel_hi:[1,0]
	;;#ASMSTART
	v_pk_mul_f32 v[2:3], v[18:19], v[14:15]
	;;#ASMEND
	v_cvt_f32_f16_sdwa v19, v4 dst_sel:DWORD dst_unused:UNUSED_PAD src0_sel:WORD_1
	v_cvt_f32_f16_e32 v18, v4
	v_pk_add_f32 v[14:15], v[16:17], 1.0 op_sel_hi:[1,0]
	v_pk_add_f32 v[16:17], v[20:21], 1.0 op_sel_hi:[1,0]
	v_cvt_f32_f16_sdwa v21, v5 dst_sel:DWORD dst_unused:UNUSED_PAD src0_sel:WORD_1
	v_cvt_f32_f16_e32 v20, v5
	v_pk_add_f32 v[4:5], v[18:19], 1.0 op_sel_hi:[1,0]
	;;#ASMSTART
	v_pk_mul_f32 v[14:15], v[26:27], v[14:15]
	;;#ASMEND
	;;#ASMSTART
	v_pk_mul_f32 v[16:17], v[24:25], v[16:17]
	;;#ASMEND
	;; [unrolled: 3-line block ×3, first 2 shown]
	v_pk_add_f32 v[4:5], v[20:21], 1.0 op_sel_hi:[1,0]
	;;#ASMSTART
	v_pk_mul_f32 v[6:7], v[6:7], v[4:5]
	;;#ASMEND
	v_cvt_f16_f32_e32 v0, v10
	v_cvt_f16_f32_e32 v4, v11
	;; [unrolled: 1-line block ×8, first 2 shown]
	s_add_u32 s12, s28, s0
	s_addc_u32 s0, s29, s1
	s_and_b32 s13, s0, 0xffff
	v_pack_b32_f16 v2, v0, v4
	v_pack_b32_f16 v3, v5, v8
	;; [unrolled: 1-line block ×4, first 2 shown]
	buffer_store_dwordx4 v[2:5], v1, s[12:15], 0 offen
	v_cvt_f16_f32_e32 v0, v14
	v_cvt_f16_f32_e32 v2, v15
	;; [unrolled: 1-line block ×8, first 2 shown]
	v_pack_b32_f16 v2, v0, v2
	v_pack_b32_f16 v3, v3, v4
	;; [unrolled: 1-line block ×4, first 2 shown]
	;;#ASMSTART
	s_nop 0
	;;#ASMEND
	buffer_store_dwordx4 v[2:5], v1, s[12:15], 16 offen
	;;#ASMSTART
	s_nop 0
	;;#ASMEND
	s_endpgm
	.section	.rodata,"a",@progbits
	.p2align	6, 0x0
	.amdhsa_kernel _ZN5aiter35fused_qk_rmsnorm_group_quant_kernelIDF16_N4opus5fp4_tELi256ELi16ELi4ELb0ELb0ELb1ELb0ELb0ELb0EEEvPT0_PvPT_S7_S7_PKS6_S9_S9_S9_S9_ffiiiiiiiiiiiii
		.amdhsa_group_segment_fixed_size 32
		.amdhsa_private_segment_fixed_size 0
		.amdhsa_kernarg_size 400
		.amdhsa_user_sgpr_count 6
		.amdhsa_user_sgpr_private_segment_buffer 1
		.amdhsa_user_sgpr_dispatch_ptr 0
		.amdhsa_user_sgpr_queue_ptr 0
		.amdhsa_user_sgpr_kernarg_segment_ptr 1
		.amdhsa_user_sgpr_dispatch_id 0
		.amdhsa_user_sgpr_flat_scratch_init 0
		.amdhsa_user_sgpr_kernarg_preload_length 0
		.amdhsa_user_sgpr_kernarg_preload_offset 0
		.amdhsa_user_sgpr_private_segment_size 0
		.amdhsa_uses_dynamic_stack 0
		.amdhsa_system_sgpr_private_segment_wavefront_offset 0
		.amdhsa_system_sgpr_workgroup_id_x 1
		.amdhsa_system_sgpr_workgroup_id_y 1
		.amdhsa_system_sgpr_workgroup_id_z 0
		.amdhsa_system_sgpr_workgroup_info 0
		.amdhsa_system_vgpr_workitem_id 0
		.amdhsa_next_free_vgpr 36
		.amdhsa_next_free_sgpr 32
		.amdhsa_accum_offset 36
		.amdhsa_reserve_vcc 1
		.amdhsa_reserve_flat_scratch 0
		.amdhsa_float_round_mode_32 0
		.amdhsa_float_round_mode_16_64 0
		.amdhsa_float_denorm_mode_32 3
		.amdhsa_float_denorm_mode_16_64 3
		.amdhsa_dx10_clamp 1
		.amdhsa_ieee_mode 1
		.amdhsa_fp16_overflow 0
		.amdhsa_tg_split 0
		.amdhsa_exception_fp_ieee_invalid_op 0
		.amdhsa_exception_fp_denorm_src 0
		.amdhsa_exception_fp_ieee_div_zero 0
		.amdhsa_exception_fp_ieee_overflow 0
		.amdhsa_exception_fp_ieee_underflow 0
		.amdhsa_exception_fp_ieee_inexact 0
		.amdhsa_exception_int_div_zero 0
	.end_amdhsa_kernel
	.section	.text._ZN5aiter35fused_qk_rmsnorm_group_quant_kernelIDF16_N4opus5fp4_tELi256ELi16ELi4ELb0ELb0ELb1ELb0ELb0ELb0EEEvPT0_PvPT_S7_S7_PKS6_S9_S9_S9_S9_ffiiiiiiiiiiiii,"axG",@progbits,_ZN5aiter35fused_qk_rmsnorm_group_quant_kernelIDF16_N4opus5fp4_tELi256ELi16ELi4ELb0ELb0ELb1ELb0ELb0ELb0EEEvPT0_PvPT_S7_S7_PKS6_S9_S9_S9_S9_ffiiiiiiiiiiiii,comdat
.Lfunc_end835:
	.size	_ZN5aiter35fused_qk_rmsnorm_group_quant_kernelIDF16_N4opus5fp4_tELi256ELi16ELi4ELb0ELb0ELb1ELb0ELb0ELb0EEEvPT0_PvPT_S7_S7_PKS6_S9_S9_S9_S9_ffiiiiiiiiiiiii, .Lfunc_end835-_ZN5aiter35fused_qk_rmsnorm_group_quant_kernelIDF16_N4opus5fp4_tELi256ELi16ELi4ELb0ELb0ELb1ELb0ELb0ELb0EEEvPT0_PvPT_S7_S7_PKS6_S9_S9_S9_S9_ffiiiiiiiiiiiii
                                        ; -- End function
	.section	.AMDGPU.csdata,"",@progbits
; Kernel info:
; codeLenInByte = 3236
; NumSgprs: 36
; NumVgprs: 36
; NumAgprs: 0
; TotalNumVgprs: 36
; ScratchSize: 0
; MemoryBound: 0
; FloatMode: 240
; IeeeMode: 1
; LDSByteSize: 32 bytes/workgroup (compile time only)
; SGPRBlocks: 4
; VGPRBlocks: 4
; NumSGPRsForWavesPerEU: 36
; NumVGPRsForWavesPerEU: 36
; AccumOffset: 36
; Occupancy: 8
; WaveLimiterHint : 0
; COMPUTE_PGM_RSRC2:SCRATCH_EN: 0
; COMPUTE_PGM_RSRC2:USER_SGPR: 6
; COMPUTE_PGM_RSRC2:TRAP_HANDLER: 0
; COMPUTE_PGM_RSRC2:TGID_X_EN: 1
; COMPUTE_PGM_RSRC2:TGID_Y_EN: 1
; COMPUTE_PGM_RSRC2:TGID_Z_EN: 0
; COMPUTE_PGM_RSRC2:TIDIG_COMP_CNT: 0
; COMPUTE_PGM_RSRC3_GFX90A:ACCUM_OFFSET: 8
; COMPUTE_PGM_RSRC3_GFX90A:TG_SPLIT: 0
	.section	.text._ZN5aiter35fused_qk_rmsnorm_group_quant_kernelItN4opus5fp4_tELi256ELi16ELi4ELb0ELb0ELb1ELb0ELb0ELb0EEEvPT0_PvPT_S7_S7_PKS6_S9_S9_S9_S9_ffiiiiiiiiiiiii,"axG",@progbits,_ZN5aiter35fused_qk_rmsnorm_group_quant_kernelItN4opus5fp4_tELi256ELi16ELi4ELb0ELb0ELb1ELb0ELb0ELb0EEEvPT0_PvPT_S7_S7_PKS6_S9_S9_S9_S9_ffiiiiiiiiiiiii,comdat
	.protected	_ZN5aiter35fused_qk_rmsnorm_group_quant_kernelItN4opus5fp4_tELi256ELi16ELi4ELb0ELb0ELb1ELb0ELb0ELb0EEEvPT0_PvPT_S7_S7_PKS6_S9_S9_S9_S9_ffiiiiiiiiiiiii ; -- Begin function _ZN5aiter35fused_qk_rmsnorm_group_quant_kernelItN4opus5fp4_tELi256ELi16ELi4ELb0ELb0ELb1ELb0ELb0ELb0EEEvPT0_PvPT_S7_S7_PKS6_S9_S9_S9_S9_ffiiiiiiiiiiiii
	.globl	_ZN5aiter35fused_qk_rmsnorm_group_quant_kernelItN4opus5fp4_tELi256ELi16ELi4ELb0ELb0ELb1ELb0ELb0ELb0EEEvPT0_PvPT_S7_S7_PKS6_S9_S9_S9_S9_ffiiiiiiiiiiiii
	.p2align	8
	.type	_ZN5aiter35fused_qk_rmsnorm_group_quant_kernelItN4opus5fp4_tELi256ELi16ELi4ELb0ELb0ELb1ELb0ELb0ELb0EEEvPT0_PvPT_S7_S7_PKS6_S9_S9_S9_S9_ffiiiiiiiiiiiii,@function
_ZN5aiter35fused_qk_rmsnorm_group_quant_kernelItN4opus5fp4_tELi256ELi16ELi4ELb0ELb0ELb1ELb0ELb0ELb0EEEvPT0_PvPT_S7_S7_PKS6_S9_S9_S9_S9_ffiiiiiiiiiiiii: ; @_ZN5aiter35fused_qk_rmsnorm_group_quant_kernelItN4opus5fp4_tELi256ELi16ELi4ELb0ELb0ELb1ELb0ELb0ELb0EEEvPT0_PvPT_S7_S7_PKS6_S9_S9_S9_S9_ffiiiiiiiiiiiii
; %bb.0:
	s_load_dwordx4 s[16:19], s[4:5], 0x50
	s_waitcnt lgkmcnt(0)
	s_cmp_ge_i32 s6, s18
	s_cbranch_scc1 .LBB836_12
; %bb.1:
	s_load_dwordx2 s[12:13], s[4:5], 0x48
	s_load_dwordx2 s[30:31], s[4:5], 0x30
	s_load_dwordx4 s[20:23], s[4:5], 0x60
	s_cmp_lg_u32 s7, 0
	s_cselect_b64 s[14:15], -1, 0
	s_cmp_eq_u32 s7, 0
	s_cselect_b64 vcc, -1, 0
	s_and_b64 s[0:1], vcc, exec
	s_waitcnt lgkmcnt(0)
	s_cselect_b32 s7, s19, s20
	s_add_i32 s0, s7, 1
	s_lshr_b32 s1, s0, 31
	s_add_i32 s0, s0, s1
	s_lshl_b32 s0, s0, 1
	v_lshlrev_b32_e32 v1, 4, v0
	s_and_b32 s10, s0, -4
	v_cmp_gt_i32_e64 s[2:3], s7, v1
	v_mov_b32_e32 v18, 0
	v_mov_b32_e32 v6, 0
	;; [unrolled: 1-line block ×17, first 2 shown]
	s_and_saveexec_b64 s[0:1], s[2:3]
	s_cbranch_execz .LBB836_3
; %bb.2:
	s_load_dwordx2 s[8:9], s[4:5], 0x28
	s_load_dwordx2 s[26:27], s[4:5], 0x40
	s_and_b64 s[24:25], vcc, exec
	s_cselect_b32 s11, s21, s22
	v_lshlrev_b32_e32 v19, 5, v0
	s_waitcnt lgkmcnt(0)
	s_cselect_b32 s18, s9, s31
	s_cselect_b32 s21, s8, s30
	s_mul_hi_i32 s9, s11, s6
	s_mul_i32 s8, s11, s6
	s_lshl_b64 s[8:9], s[8:9], 1
	s_add_u32 s24, s21, s8
	s_addc_u32 s18, s18, s9
	s_and_b64 s[8:9], vcc, exec
	s_mov_b32 s11, 0x20000
	s_cselect_b32 s8, s26, s12
	s_cselect_b32 s9, s27, s13
	s_and_b32 s25, s18, 0xffff
	s_mov_b32 s26, s10
	s_mov_b32 s27, s11
	s_and_b32 s9, s9, 0xffff
	buffer_load_dwordx4 v[14:17], v19, s[24:27], 0 offen
	buffer_load_dwordx4 v[10:13], v19, s[24:27], 16 offen
	;; [unrolled: 1-line block ×4, first 2 shown]
.LBB836_3:
	s_or_b64 exec, exec, s[0:1]
	v_mov_b32_e32 v19, 0
	v_mov_b32_e32 v22, 0
	;; [unrolled: 1-line block ×15, first 2 shown]
	s_and_saveexec_b64 s[0:1], s[2:3]
	s_cbranch_execz .LBB836_5
; %bb.4:
	s_waitcnt vmcnt(3)
	v_cvt_f32_u32_sdwa v18, v14 dst_sel:DWORD dst_unused:UNUSED_PAD src0_sel:WORD_0
	v_cvt_f32_u32_sdwa v19, v14 dst_sel:DWORD dst_unused:UNUSED_PAD src0_sel:WORD_1
	v_cvt_f32_u32_sdwa v22, v15 dst_sel:DWORD dst_unused:UNUSED_PAD src0_sel:WORD_0
	v_cvt_f32_u32_sdwa v23, v15 dst_sel:DWORD dst_unused:UNUSED_PAD src0_sel:WORD_1
	;; [unrolled: 2-line block ×4, first 2 shown]
	s_waitcnt vmcnt(2)
	v_cvt_f32_u32_sdwa v24, v10 dst_sel:DWORD dst_unused:UNUSED_PAD src0_sel:WORD_0
	v_cvt_f32_u32_sdwa v25, v10 dst_sel:DWORD dst_unused:UNUSED_PAD src0_sel:WORD_1
	v_cvt_f32_u32_sdwa v32, v11 dst_sel:DWORD dst_unused:UNUSED_PAD src0_sel:WORD_0
	v_cvt_f32_u32_sdwa v33, v11 dst_sel:DWORD dst_unused:UNUSED_PAD src0_sel:WORD_1
	;; [unrolled: 2-line block ×4, first 2 shown]
.LBB836_5:
	s_or_b64 exec, exec, s[0:1]
	s_waitcnt vmcnt(2)
	v_mul_f32_e32 v10, v19, v19
	v_fmac_f32_e32 v10, v18, v18
	v_fmac_f32_e32 v10, v22, v22
	;; [unrolled: 1-line block ×15, first 2 shown]
	v_and_b32_e32 v12, 63, v0
	v_cmp_eq_u32_e64 s[0:1], 63, v12
	v_mov_b32_dpp v11, v10 quad_perm:[1,0,3,2] row_mask:0xf bank_mask:0xf
	v_add_f32_e32 v10, v10, v11
	s_nop 1
	v_mov_b32_dpp v11, v10 quad_perm:[2,3,0,1] row_mask:0xf bank_mask:0xf
	v_add_f32_e32 v10, v10, v11
	s_nop 1
	v_mov_b32_dpp v11, v10 row_half_mirror row_mask:0xf bank_mask:0xf
	v_add_f32_e32 v10, v10, v11
	s_nop 1
	v_mov_b32_dpp v11, v10 row_mirror row_mask:0xf bank_mask:0xf
	v_add_f32_e32 v10, v10, v11
	s_nop 1
	v_mov_b32_dpp v11, v10 row_bcast:15 row_mask:0xf bank_mask:0xf
	v_add_f32_e32 v10, v10, v11
	s_nop 1
	v_mov_b32_dpp v11, v10 row_bcast:31 row_mask:0xf bank_mask:0xf
	s_and_saveexec_b64 s[8:9], s[0:1]
	s_cbranch_execz .LBB836_7
; %bb.6:
	v_add_f32_e32 v10, v10, v11
	v_lshrrev_b32_e32 v11, 4, v0
	v_and_b32_e32 v11, 60, v11
	ds_write_b32 v11, v10 offset:16
.LBB836_7:
	s_or_b64 exec, exec, s[8:9]
	v_and_b32_e32 v10, 3, v0
	v_lshlrev_b32_e32 v34, 2, v10
	s_waitcnt lgkmcnt(0)
	s_barrier
	ds_read_b32 v11, v34 offset:16
	s_load_dwordx2 s[28:29], s[4:5], 0x18
	s_waitcnt lgkmcnt(0)
	v_mov_b32_dpp v12, v11 quad_perm:[1,0,3,2] row_mask:0xf bank_mask:0xf
	v_add_f32_e32 v11, v11, v12
	s_nop 1
	v_mov_b32_dpp v12, v11 quad_perm:[2,3,0,1] row_mask:0xf bank_mask:0xf
	s_and_saveexec_b64 s[8:9], s[2:3]
	s_cbranch_execz .LBB836_9
; %bb.8:
	v_cvt_f32_u32_e32 v13, s7
	v_add_f32_e32 v11, v11, v12
	v_mov_b32_e32 v15, s17
	v_mov_b32_e32 v16, s16
	v_div_scale_f32 v12, s[24:25], v13, v13, v11
	v_rcp_f32_e32 v14, v12
	v_cndmask_b32_e32 v15, v15, v16, vcc
	s_mov_b32 s7, 0x800000
	v_fma_f32 v16, -v12, v14, 1.0
	v_fmac_f32_e32 v14, v16, v14
	v_div_scale_f32 v16, vcc, v11, v13, v11
	v_mul_f32_e32 v17, v16, v14
	v_fma_f32 v35, -v12, v17, v16
	v_fmac_f32_e32 v17, v35, v14
	v_fma_f32 v12, -v12, v17, v16
	v_div_fmas_f32 v12, v12, v14, v17
	v_div_fixup_f32 v11, v12, v13, v11
	v_add_f32_e32 v11, v15, v11
	v_mul_f32_e32 v12, 0x4b800000, v11
	v_cmp_gt_f32_e32 vcc, s7, v11
	v_cndmask_b32_e32 v11, v11, v12, vcc
	v_rsq_f32_e32 v11, v11
	v_mul_f32_e32 v12, 0x45800000, v11
	v_cndmask_b32_e32 v12, v11, v12, vcc
	v_mov_b32_e32 v13, v12
	;;#ASMSTART
	v_pk_mul_f32 v[14:15], v[18:19], v[12:13]
	;;#ASMEND
	s_waitcnt vmcnt(1)
	v_cvt_f32_u32_sdwa v19, v6 dst_sel:DWORD dst_unused:UNUSED_PAD src0_sel:WORD_1
	v_cvt_f32_u32_sdwa v18, v6 dst_sel:DWORD dst_unused:UNUSED_PAD src0_sel:WORD_0
	;;#ASMSTART
	v_pk_mul_f32 v[16:17], v[22:23], v[12:13]
	;;#ASMEND
	v_cvt_f32_u32_sdwa v23, v7 dst_sel:DWORD dst_unused:UNUSED_PAD src0_sel:WORD_1
	v_cvt_f32_u32_sdwa v22, v7 dst_sel:DWORD dst_unused:UNUSED_PAD src0_sel:WORD_0
	;;#ASMSTART
	v_pk_mul_f32 v[20:21], v[20:21], v[12:13]
	;;#ASMEND
	;;#ASMSTART
	v_pk_mul_f32 v[28:29], v[28:29], v[12:13]
	;;#ASMEND
	;; [unrolled: 3-line block ×6, first 2 shown]
	v_pk_add_f32 v[12:13], v[18:19], 1.0 op_sel_hi:[1,0]
	;;#ASMSTART
	v_pk_mul_f32 v[18:19], v[14:15], v[12:13]
	;;#ASMEND
	v_cvt_f32_u32_sdwa v15, v8 dst_sel:DWORD dst_unused:UNUSED_PAD src0_sel:WORD_1
	v_cvt_f32_u32_sdwa v14, v8 dst_sel:DWORD dst_unused:UNUSED_PAD src0_sel:WORD_0
	v_cvt_f32_u32_sdwa v27, v9 dst_sel:DWORD dst_unused:UNUSED_PAD src0_sel:WORD_1
	v_cvt_f32_u32_sdwa v26, v9 dst_sel:DWORD dst_unused:UNUSED_PAD src0_sel:WORD_0
	v_pk_add_f32 v[12:13], v[22:23], 1.0 op_sel_hi:[1,0]
	;;#ASMSTART
	v_pk_mul_f32 v[22:23], v[16:17], v[12:13]
	;;#ASMEND
	s_waitcnt vmcnt(0)
	v_cvt_f32_u32_sdwa v13, v2 dst_sel:DWORD dst_unused:UNUSED_PAD src0_sel:WORD_1
	v_cvt_f32_u32_sdwa v12, v2 dst_sel:DWORD dst_unused:UNUSED_PAD src0_sel:WORD_0
	v_pk_add_f32 v[8:9], v[14:15], 1.0 op_sel_hi:[1,0]
	;;#ASMSTART
	v_pk_mul_f32 v[20:21], v[20:21], v[8:9]
	;;#ASMEND
	v_pk_add_f32 v[8:9], v[26:27], 1.0 op_sel_hi:[1,0]
	v_cvt_f32_u32_sdwa v15, v3 dst_sel:DWORD dst_unused:UNUSED_PAD src0_sel:WORD_1
	v_cvt_f32_u32_sdwa v14, v3 dst_sel:DWORD dst_unused:UNUSED_PAD src0_sel:WORD_0
	;;#ASMSTART
	v_pk_mul_f32 v[28:29], v[28:29], v[8:9]
	;;#ASMEND
	v_cvt_f32_u32_sdwa v9, v4 dst_sel:DWORD dst_unused:UNUSED_PAD src0_sel:WORD_1
	v_cvt_f32_u32_sdwa v8, v4 dst_sel:DWORD dst_unused:UNUSED_PAD src0_sel:WORD_0
	v_pk_add_f32 v[2:3], v[12:13], 1.0 op_sel_hi:[1,0]
	v_cvt_f32_u32_sdwa v13, v5 dst_sel:DWORD dst_unused:UNUSED_PAD src0_sel:WORD_1
	v_cvt_f32_u32_sdwa v12, v5 dst_sel:DWORD dst_unused:UNUSED_PAD src0_sel:WORD_0
	;;#ASMSTART
	v_pk_mul_f32 v[24:25], v[24:25], v[2:3]
	;;#ASMEND
	v_pk_add_f32 v[2:3], v[14:15], 1.0 op_sel_hi:[1,0]
	;;#ASMSTART
	v_pk_mul_f32 v[32:33], v[32:33], v[2:3]
	;;#ASMEND
	v_pk_add_f32 v[2:3], v[8:9], 1.0 op_sel_hi:[1,0]
	;; [unrolled: 4-line block ×3, first 2 shown]
	;;#ASMSTART
	v_pk_mul_f32 v[26:27], v[6:7], v[2:3]
	;;#ASMEND
.LBB836_9:
	s_or_b64 exec, exec, s[8:9]
	s_load_dword s7, s[4:5], 0x80
	s_mov_b64 s[8:9], -1
	s_and_b64 vcc, exec, s[14:15]
	s_cbranch_vccnz .LBB836_13
; %bb.10:
	s_andn2_b64 vcc, exec, s[8:9]
	s_cbranch_vccz .LBB836_16
.LBB836_11:
	s_cmp_lt_i32 s20, 1
	s_cbranch_scc0 .LBB836_23
.LBB836_12:
	s_endpgm
.LBB836_13:
	s_and_saveexec_b64 s[14:15], s[2:3]
	s_cbranch_execz .LBB836_15
; %bb.14:
	s_waitcnt lgkmcnt(0)
	s_mul_hi_i32 s9, s7, s6
	s_mul_i32 s8, s7, s6
	s_lshl_b64 s[8:9], s[8:9], 1
	s_add_u32 s8, s28, s8
	s_addc_u32 s9, s29, s9
	s_mov_b32 s16, 0x7060302
	s_and_b32 s9, s9, 0xffff
	s_mov_b32 s11, 0x20000
	s_waitcnt vmcnt(0)
	v_perm_b32 v5, v29, v28, s16
	v_perm_b32 v4, v21, v20, s16
	;; [unrolled: 1-line block ×4, first 2 shown]
	v_lshlrev_b32_e32 v6, 5, v0
	buffer_store_dwordx4 v[2:5], v6, s[8:11], 0 offen
	;;#ASMSTART
	s_nop 0
	;;#ASMEND
	s_nop 0
	v_perm_b32 v5, v27, v26, s16
	v_perm_b32 v4, v31, v30, s16
	;; [unrolled: 1-line block ×4, first 2 shown]
	buffer_store_dwordx4 v[2:5], v6, s[8:11], 16 offen
	;;#ASMSTART
	s_nop 0
	;;#ASMEND
.LBB836_15:
	s_or_b64 exec, exec, s[14:15]
	s_cbranch_execnz .LBB836_11
.LBB836_16:
	s_waitcnt vmcnt(0)
	v_mov_b32_e32 v2, 0
	s_and_saveexec_b64 s[8:9], s[2:3]
	s_cbranch_execz .LBB836_18
; %bb.17:
	v_and_b32_e32 v2, 0x7fffffff, v18
	v_and_b32_e32 v3, 0x7fffffff, v19
	v_mov_b32_e32 v4, 0x2edbe6ff
	;;#ASMSTART
	v_max3_f32 v2, v4, v2, v3

	;;#ASMEND
	v_and_b32_e32 v3, 0x7fffffff, v22
	v_and_b32_e32 v4, 0x7fffffff, v23
	;;#ASMSTART
	v_max3_f32 v2, v2, v3, v4

	;;#ASMEND
	v_and_b32_e32 v3, 0x7fffffff, v20
	v_and_b32_e32 v4, 0x7fffffff, v21
	;; [unrolled: 6-line block ×7, first 2 shown]
	;;#ASMSTART
	v_max3_f32 v2, v2, v3, v4

	;;#ASMEND
.LBB836_18:
	s_or_b64 exec, exec, s[8:9]
	s_load_dwordx4 s[24:27], s[4:5], 0x70
	v_cmp_eq_u32_e32 vcc, 0, v10
	v_cmp_gt_i32_e64 s[8:9], s19, v1
	s_and_b64 s[10:11], vcc, s[8:9]
	;;#ASMSTART
	v_max_f32 v3, v2, v2 quad_perm:[1,0,3,2] row_mask:0xf bank_mask:0xf bound_ctrl:1
	;;#ASMEND
	;;#ASMSTART
	v_max_f32 v2, v3, v3 quad_perm:[2,3,0,1] row_mask:0xf bank_mask:0xf bound_ctrl:1
	;;#ASMEND
	s_and_saveexec_b64 s[8:9], s[10:11]
	s_cbranch_execz .LBB836_20
; %bb.19:
	s_load_dwordx2 s[10:11], s[4:5], 0x8
	v_mul_f32_e32 v2, 0x3e2aaaab, v2
	v_lshrrev_b32_e32 v3, 23, v2
	v_and_b32_e32 v4, 0x7f800000, v2
	v_and_b32_e32 v2, 0x7fffff, v2
	v_cmp_ne_u32_e32 vcc, 0, v2
	s_waitcnt lgkmcnt(0)
	s_mul_i32 s16, s25, s6
	s_mov_b32 s14, 0x7f800000
	v_addc_co_u32_e32 v2, vcc, 0, v3, vcc
	s_mul_hi_i32 s15, s25, s6
	s_add_u32 s10, s10, s16
	v_cmp_ne_u32_e32 vcc, s14, v4
	s_addc_u32 s11, s11, s15
	v_lshrrev_b32_e32 v5, 2, v0
	v_cndmask_b32_e32 v4, -1, v2, vcc
	v_pk_mov_b32 v[2:3], s[10:11], s[10:11] op_sel:[0,1]
	v_mad_i64_i32 v[2:3], s[10:11], s26, v5, v[2:3]
	global_store_byte v[2:3], v4, off
.LBB836_20:
	s_or_b64 exec, exec, s[8:9]
	s_and_saveexec_b64 s[8:9], s[2:3]
	s_cbranch_execz .LBB836_22
; %bb.21:
	s_load_dwordx2 s[2:3], s[4:5], 0x0
	s_waitcnt lgkmcnt(0)
	s_mul_i32 s11, s24, s6
	s_mul_hi_i32 s10, s24, s6
	v_mov_b32_e32 v2, 0
	v_lshlrev_b32_e32 v4, 3, v0
	s_add_u32 s24, s2, s11
	s_addc_u32 s2, s3, s10
	s_lshr_b32 s3, s19, 31
	s_add_i32 s3, s19, s3
	s_ashr_i32 s3, s3, 1
	s_add_i32 s3, s3, 3
	s_ashr_i32 s10, s3, 31
	s_lshr_b32 s10, s10, 30
	s_add_i32 s3, s3, s10
	s_and_b32 s26, s3, -4
	s_and_b32 s25, s2, 0xffff
	s_mov_b32 s27, 0x20000
	v_mov_b32_e32 v3, v2
	buffer_store_dwordx2 v[2:3], v4, s[24:27], 0 offen
	;;#ASMSTART
	s_nop 0
	;;#ASMEND
.LBB836_22:
	s_or_b64 exec, exec, s[8:9]
	s_cmp_lt_i32 s20, 1
	s_cbranch_scc1 .LBB836_12
.LBB836_23:
	s_load_dword s2, s[4:5], 0x94
	s_waitcnt lgkmcnt(0)
	s_cmp_lg_u32 s2, 1
	s_cbranch_scc1 .LBB836_12
; %bb.24:
	s_lshl_b32 s2, s20, 1
	s_add_i32 s2, s2, 2
	v_cmp_gt_u32_e32 vcc, s20, v1
	s_and_b32 s14, s2, -4
	v_mov_b32_e32 v18, 0
	v_lshlrev_b32_e32 v1, 5, v0
	v_mov_b32_e32 v14, 0
	v_mov_b32_e32 v15, 0
	;; [unrolled: 1-line block ×8, first 2 shown]
	s_waitcnt vmcnt(1)
	v_mov_b32_e32 v6, 0
	v_mov_b32_e32 v7, 0
	;; [unrolled: 1-line block ×4, first 2 shown]
	s_waitcnt vmcnt(0)
	v_mov_b32_e32 v2, 0
	v_mov_b32_e32 v3, 0
	;; [unrolled: 1-line block ×4, first 2 shown]
	s_barrier
	s_and_saveexec_b64 s[2:3], vcc
	s_cbranch_execz .LBB836_26
; %bb.25:
	s_mul_hi_i32 s5, s22, s6
	s_mul_i32 s4, s22, s6
	s_and_b32 s13, s13, 0xffff
	s_lshl_b64 s[4:5], s[4:5], 1
	s_add_u32 s8, s30, s4
	s_mov_b32 s15, 0x20000
	s_addc_u32 s4, s31, s5
	s_and_b32 s9, s4, 0xffff
	s_mov_b32 s10, s14
	s_mov_b32 s11, s15
	buffer_load_dwordx4 v[14:17], v1, s[8:11], 0 offen
	buffer_load_dwordx4 v[10:13], v1, s[8:11], 16 offen
	;; [unrolled: 1-line block ×4, first 2 shown]
.LBB836_26:
	s_or_b64 exec, exec, s[2:3]
	v_mov_b32_e32 v19, 0
	v_mov_b32_e32 v32, 0
	;; [unrolled: 1-line block ×15, first 2 shown]
	s_and_saveexec_b64 s[2:3], vcc
	s_cbranch_execz .LBB836_28
; %bb.27:
	s_waitcnt vmcnt(3)
	v_cvt_f32_u32_sdwa v18, v14 dst_sel:DWORD dst_unused:UNUSED_PAD src0_sel:WORD_0
	v_cvt_f32_u32_sdwa v19, v14 dst_sel:DWORD dst_unused:UNUSED_PAD src0_sel:WORD_1
	v_cvt_f32_u32_sdwa v32, v15 dst_sel:DWORD dst_unused:UNUSED_PAD src0_sel:WORD_0
	v_cvt_f32_u32_sdwa v33, v15 dst_sel:DWORD dst_unused:UNUSED_PAD src0_sel:WORD_1
	;; [unrolled: 2-line block ×4, first 2 shown]
	s_waitcnt vmcnt(2)
	v_cvt_f32_u32_sdwa v26, v10 dst_sel:DWORD dst_unused:UNUSED_PAD src0_sel:WORD_0
	v_cvt_f32_u32_sdwa v27, v10 dst_sel:DWORD dst_unused:UNUSED_PAD src0_sel:WORD_1
	v_cvt_f32_u32_sdwa v24, v11 dst_sel:DWORD dst_unused:UNUSED_PAD src0_sel:WORD_0
	v_cvt_f32_u32_sdwa v25, v11 dst_sel:DWORD dst_unused:UNUSED_PAD src0_sel:WORD_1
	;; [unrolled: 2-line block ×4, first 2 shown]
.LBB836_28:
	s_or_b64 exec, exec, s[2:3]
	s_waitcnt vmcnt(2)
	v_mul_f32_e32 v10, v19, v19
	v_fmac_f32_e32 v10, v18, v18
	v_fmac_f32_e32 v10, v32, v32
	;; [unrolled: 1-line block ×15, first 2 shown]
	s_nop 1
	v_mov_b32_dpp v11, v10 quad_perm:[1,0,3,2] row_mask:0xf bank_mask:0xf
	v_add_f32_e32 v10, v10, v11
	s_nop 1
	v_mov_b32_dpp v11, v10 quad_perm:[2,3,0,1] row_mask:0xf bank_mask:0xf
	v_add_f32_e32 v10, v10, v11
	s_nop 1
	v_mov_b32_dpp v11, v10 row_half_mirror row_mask:0xf bank_mask:0xf
	v_add_f32_e32 v10, v10, v11
	s_nop 1
	v_mov_b32_dpp v11, v10 row_mirror row_mask:0xf bank_mask:0xf
	v_add_f32_e32 v10, v10, v11
	s_nop 1
	v_mov_b32_dpp v11, v10 row_bcast:15 row_mask:0xf bank_mask:0xf
	v_add_f32_e32 v10, v10, v11
	s_nop 1
	v_mov_b32_dpp v11, v10 row_bcast:31 row_mask:0xf bank_mask:0xf
	s_and_saveexec_b64 s[2:3], s[0:1]
	s_cbranch_execz .LBB836_30
; %bb.29:
	v_lshrrev_b32_e32 v0, 4, v0
	v_add_f32_e32 v10, v10, v11
	v_and_b32_e32 v0, 60, v0
	ds_write_b32 v0, v10
.LBB836_30:
	s_or_b64 exec, exec, s[2:3]
	s_waitcnt lgkmcnt(0)
	s_barrier
	ds_read_b32 v0, v34
	s_waitcnt lgkmcnt(0)
	s_nop 0
	v_mov_b32_dpp v10, v0 quad_perm:[1,0,3,2] row_mask:0xf bank_mask:0xf
	v_add_f32_e32 v0, v0, v10
	s_nop 1
	v_mov_b32_dpp v10, v0 quad_perm:[2,3,0,1] row_mask:0xf bank_mask:0xf
	s_and_saveexec_b64 s[0:1], vcc
	s_cbranch_execz .LBB836_12
; %bb.31:
	v_cvt_f32_u32_e32 v11, s20
	v_add_f32_e32 v0, v0, v10
	s_mov_b32 s15, 0x20000
	v_div_scale_f32 v10, s[0:1], v11, v11, v0
	v_rcp_f32_e32 v12, v10
	v_div_scale_f32 v13, vcc, v0, v11, v0
	s_mov_b32 s0, 0x800000
	v_fma_f32 v14, -v10, v12, 1.0
	v_fmac_f32_e32 v12, v14, v12
	v_mul_f32_e32 v14, v13, v12
	v_fma_f32 v15, -v10, v14, v13
	v_fmac_f32_e32 v14, v15, v12
	v_fma_f32 v10, -v10, v14, v13
	v_div_fmas_f32 v10, v10, v12, v14
	v_div_fixup_f32 v0, v10, v11, v0
	v_add_f32_e32 v0, s17, v0
	v_mul_f32_e32 v10, 0x4b800000, v0
	v_cmp_gt_f32_e32 vcc, s0, v0
	v_cndmask_b32_e32 v0, v0, v10, vcc
	v_rsq_f32_e32 v0, v0
	s_mul_hi_i32 s1, s7, s6
	s_mul_i32 s0, s7, s6
	s_lshl_b64 s[0:1], s[0:1], 1
	v_mul_f32_e32 v10, 0x45800000, v0
	v_cndmask_b32_e32 v10, v0, v10, vcc
	v_mov_b32_e32 v11, v10
	;;#ASMSTART
	v_pk_mul_f32 v[12:13], v[18:19], v[10:11]
	;;#ASMEND
	;;#ASMSTART
	v_pk_mul_f32 v[14:15], v[32:33], v[10:11]
	;;#ASMEND
	;; [unrolled: 3-line block ×4, first 2 shown]
	s_waitcnt vmcnt(1)
	v_cvt_f32_u32_sdwa v29, v6 dst_sel:DWORD dst_unused:UNUSED_PAD src0_sel:WORD_1
	v_cvt_f32_u32_sdwa v28, v6 dst_sel:DWORD dst_unused:UNUSED_PAD src0_sel:WORD_0
	v_cvt_f32_u32_sdwa v31, v7 dst_sel:DWORD dst_unused:UNUSED_PAD src0_sel:WORD_1
	v_cvt_f32_u32_sdwa v30, v7 dst_sel:DWORD dst_unused:UNUSED_PAD src0_sel:WORD_0
	;;#ASMSTART
	v_pk_mul_f32 v[26:27], v[26:27], v[10:11]
	;;#ASMEND
	;;#ASMSTART
	v_pk_mul_f32 v[24:25], v[24:25], v[10:11]
	;;#ASMEND
	;; [unrolled: 3-line block ×4, first 2 shown]
	v_cvt_f32_u32_sdwa v21, v8 dst_sel:DWORD dst_unused:UNUSED_PAD src0_sel:WORD_1
	v_cvt_f32_u32_sdwa v20, v8 dst_sel:DWORD dst_unused:UNUSED_PAD src0_sel:WORD_0
	v_pk_add_f32 v[10:11], v[28:29], 1.0 op_sel_hi:[1,0]
	;;#ASMSTART
	v_pk_mul_f32 v[10:11], v[12:13], v[10:11]
	;;#ASMEND
	v_pk_add_f32 v[12:13], v[30:31], 1.0 op_sel_hi:[1,0]
	v_cvt_f32_u32_sdwa v29, v9 dst_sel:DWORD dst_unused:UNUSED_PAD src0_sel:WORD_1
	v_cvt_f32_u32_sdwa v28, v9 dst_sel:DWORD dst_unused:UNUSED_PAD src0_sel:WORD_0
	;;#ASMSTART
	v_pk_mul_f32 v[8:9], v[14:15], v[12:13]
	;;#ASMEND
	v_pk_add_f32 v[12:13], v[20:21], 1.0 op_sel_hi:[1,0]
	;;#ASMSTART
	v_pk_mul_f32 v[12:13], v[16:17], v[12:13]
	;;#ASMEND
	s_waitcnt vmcnt(0)
	v_cvt_f32_u32_sdwa v17, v2 dst_sel:DWORD dst_unused:UNUSED_PAD src0_sel:WORD_1
	v_cvt_f32_u32_sdwa v16, v2 dst_sel:DWORD dst_unused:UNUSED_PAD src0_sel:WORD_0
	v_cvt_f32_u32_sdwa v21, v3 dst_sel:DWORD dst_unused:UNUSED_PAD src0_sel:WORD_1
	v_cvt_f32_u32_sdwa v20, v3 dst_sel:DWORD dst_unused:UNUSED_PAD src0_sel:WORD_0
	v_pk_add_f32 v[14:15], v[28:29], 1.0 op_sel_hi:[1,0]
	;;#ASMSTART
	v_pk_mul_f32 v[14:15], v[18:19], v[14:15]
	;;#ASMEND
	v_pk_add_f32 v[2:3], v[16:17], 1.0 op_sel_hi:[1,0]
	v_cvt_f32_u32_sdwa v19, v4 dst_sel:DWORD dst_unused:UNUSED_PAD src0_sel:WORD_1
	v_cvt_f32_u32_sdwa v18, v4 dst_sel:DWORD dst_unused:UNUSED_PAD src0_sel:WORD_0
	;;#ASMSTART
	v_pk_mul_f32 v[16:17], v[26:27], v[2:3]
	;;#ASMEND
	v_pk_add_f32 v[2:3], v[20:21], 1.0 op_sel_hi:[1,0]
	v_cvt_f32_u32_sdwa v21, v5 dst_sel:DWORD dst_unused:UNUSED_PAD src0_sel:WORD_1
	v_cvt_f32_u32_sdwa v20, v5 dst_sel:DWORD dst_unused:UNUSED_PAD src0_sel:WORD_0
	s_add_u32 s12, s28, s0
	;;#ASMSTART
	v_pk_mul_f32 v[24:25], v[24:25], v[2:3]
	;;#ASMEND
	v_pk_add_f32 v[2:3], v[18:19], 1.0 op_sel_hi:[1,0]
	s_addc_u32 s0, s29, s1
	;;#ASMSTART
	v_pk_mul_f32 v[18:19], v[22:23], v[2:3]
	;;#ASMEND
	v_pk_add_f32 v[2:3], v[20:21], 1.0 op_sel_hi:[1,0]
	s_and_b32 s13, s0, 0xffff
	s_mov_b32 s0, 0x7060302
	;;#ASMSTART
	v_pk_mul_f32 v[6:7], v[6:7], v[2:3]
	;;#ASMEND
	v_perm_b32 v2, v11, v10, s0
	v_perm_b32 v3, v9, v8, s0
	v_perm_b32 v4, v13, v12, s0
	v_perm_b32 v5, v15, v14, s0
	buffer_store_dwordx4 v[2:5], v1, s[12:15], 0 offen
	;;#ASMSTART
	s_nop 0
	;;#ASMEND
	s_nop 0
	v_perm_b32 v2, v17, v16, s0
	v_perm_b32 v3, v25, v24, s0
	;; [unrolled: 1-line block ×4, first 2 shown]
	buffer_store_dwordx4 v[2:5], v1, s[12:15], 16 offen
	;;#ASMSTART
	s_nop 0
	;;#ASMEND
	s_endpgm
	.section	.rodata,"a",@progbits
	.p2align	6, 0x0
	.amdhsa_kernel _ZN5aiter35fused_qk_rmsnorm_group_quant_kernelItN4opus5fp4_tELi256ELi16ELi4ELb0ELb0ELb1ELb0ELb0ELb0EEEvPT0_PvPT_S7_S7_PKS6_S9_S9_S9_S9_ffiiiiiiiiiiiii
		.amdhsa_group_segment_fixed_size 32
		.amdhsa_private_segment_fixed_size 0
		.amdhsa_kernarg_size 400
		.amdhsa_user_sgpr_count 6
		.amdhsa_user_sgpr_private_segment_buffer 1
		.amdhsa_user_sgpr_dispatch_ptr 0
		.amdhsa_user_sgpr_queue_ptr 0
		.amdhsa_user_sgpr_kernarg_segment_ptr 1
		.amdhsa_user_sgpr_dispatch_id 0
		.amdhsa_user_sgpr_flat_scratch_init 0
		.amdhsa_user_sgpr_kernarg_preload_length 0
		.amdhsa_user_sgpr_kernarg_preload_offset 0
		.amdhsa_user_sgpr_private_segment_size 0
		.amdhsa_uses_dynamic_stack 0
		.amdhsa_system_sgpr_private_segment_wavefront_offset 0
		.amdhsa_system_sgpr_workgroup_id_x 1
		.amdhsa_system_sgpr_workgroup_id_y 1
		.amdhsa_system_sgpr_workgroup_id_z 0
		.amdhsa_system_sgpr_workgroup_info 0
		.amdhsa_system_vgpr_workitem_id 0
		.amdhsa_next_free_vgpr 36
		.amdhsa_next_free_sgpr 32
		.amdhsa_accum_offset 36
		.amdhsa_reserve_vcc 1
		.amdhsa_reserve_flat_scratch 0
		.amdhsa_float_round_mode_32 0
		.amdhsa_float_round_mode_16_64 0
		.amdhsa_float_denorm_mode_32 3
		.amdhsa_float_denorm_mode_16_64 3
		.amdhsa_dx10_clamp 1
		.amdhsa_ieee_mode 1
		.amdhsa_fp16_overflow 0
		.amdhsa_tg_split 0
		.amdhsa_exception_fp_ieee_invalid_op 0
		.amdhsa_exception_fp_denorm_src 0
		.amdhsa_exception_fp_ieee_div_zero 0
		.amdhsa_exception_fp_ieee_overflow 0
		.amdhsa_exception_fp_ieee_underflow 0
		.amdhsa_exception_fp_ieee_inexact 0
		.amdhsa_exception_int_div_zero 0
	.end_amdhsa_kernel
	.section	.text._ZN5aiter35fused_qk_rmsnorm_group_quant_kernelItN4opus5fp4_tELi256ELi16ELi4ELb0ELb0ELb1ELb0ELb0ELb0EEEvPT0_PvPT_S7_S7_PKS6_S9_S9_S9_S9_ffiiiiiiiiiiiii,"axG",@progbits,_ZN5aiter35fused_qk_rmsnorm_group_quant_kernelItN4opus5fp4_tELi256ELi16ELi4ELb0ELb0ELb1ELb0ELb0ELb0EEEvPT0_PvPT_S7_S7_PKS6_S9_S9_S9_S9_ffiiiiiiiiiiiii,comdat
.Lfunc_end836:
	.size	_ZN5aiter35fused_qk_rmsnorm_group_quant_kernelItN4opus5fp4_tELi256ELi16ELi4ELb0ELb0ELb1ELb0ELb0ELb0EEEvPT0_PvPT_S7_S7_PKS6_S9_S9_S9_S9_ffiiiiiiiiiiiii, .Lfunc_end836-_ZN5aiter35fused_qk_rmsnorm_group_quant_kernelItN4opus5fp4_tELi256ELi16ELi4ELb0ELb0ELb1ELb0ELb0ELb0EEEvPT0_PvPT_S7_S7_PKS6_S9_S9_S9_S9_ffiiiiiiiiiiiii
                                        ; -- End function
	.section	.AMDGPU.csdata,"",@progbits
; Kernel info:
; codeLenInByte = 3260
; NumSgprs: 36
; NumVgprs: 36
; NumAgprs: 0
; TotalNumVgprs: 36
; ScratchSize: 0
; MemoryBound: 0
; FloatMode: 240
; IeeeMode: 1
; LDSByteSize: 32 bytes/workgroup (compile time only)
; SGPRBlocks: 4
; VGPRBlocks: 4
; NumSGPRsForWavesPerEU: 36
; NumVGPRsForWavesPerEU: 36
; AccumOffset: 36
; Occupancy: 8
; WaveLimiterHint : 0
; COMPUTE_PGM_RSRC2:SCRATCH_EN: 0
; COMPUTE_PGM_RSRC2:USER_SGPR: 6
; COMPUTE_PGM_RSRC2:TRAP_HANDLER: 0
; COMPUTE_PGM_RSRC2:TGID_X_EN: 1
; COMPUTE_PGM_RSRC2:TGID_Y_EN: 1
; COMPUTE_PGM_RSRC2:TGID_Z_EN: 0
; COMPUTE_PGM_RSRC2:TIDIG_COMP_CNT: 0
; COMPUTE_PGM_RSRC3_GFX90A:ACCUM_OFFSET: 8
; COMPUTE_PGM_RSRC3_GFX90A:TG_SPLIT: 0
	.section	.text._ZN5aiter35fused_qk_rmsnorm_group_quant_kernelIDF16_DB8_Li256ELi16ELi4ELb0ELb0ELb0ELb0ELb0ELb0EEEvPT0_PvPT_S6_S6_PKS5_S8_S8_S8_S8_ffiiiiiiiiiiiii,"axG",@progbits,_ZN5aiter35fused_qk_rmsnorm_group_quant_kernelIDF16_DB8_Li256ELi16ELi4ELb0ELb0ELb0ELb0ELb0ELb0EEEvPT0_PvPT_S6_S6_PKS5_S8_S8_S8_S8_ffiiiiiiiiiiiii,comdat
	.protected	_ZN5aiter35fused_qk_rmsnorm_group_quant_kernelIDF16_DB8_Li256ELi16ELi4ELb0ELb0ELb0ELb0ELb0ELb0EEEvPT0_PvPT_S6_S6_PKS5_S8_S8_S8_S8_ffiiiiiiiiiiiii ; -- Begin function _ZN5aiter35fused_qk_rmsnorm_group_quant_kernelIDF16_DB8_Li256ELi16ELi4ELb0ELb0ELb0ELb0ELb0ELb0EEEvPT0_PvPT_S6_S6_PKS5_S8_S8_S8_S8_ffiiiiiiiiiiiii
	.globl	_ZN5aiter35fused_qk_rmsnorm_group_quant_kernelIDF16_DB8_Li256ELi16ELi4ELb0ELb0ELb0ELb0ELb0ELb0EEEvPT0_PvPT_S6_S6_PKS5_S8_S8_S8_S8_ffiiiiiiiiiiiii
	.p2align	8
	.type	_ZN5aiter35fused_qk_rmsnorm_group_quant_kernelIDF16_DB8_Li256ELi16ELi4ELb0ELb0ELb0ELb0ELb0ELb0EEEvPT0_PvPT_S6_S6_PKS5_S8_S8_S8_S8_ffiiiiiiiiiiiii,@function
_ZN5aiter35fused_qk_rmsnorm_group_quant_kernelIDF16_DB8_Li256ELi16ELi4ELb0ELb0ELb0ELb0ELb0ELb0EEEvPT0_PvPT_S6_S6_PKS5_S8_S8_S8_S8_ffiiiiiiiiiiiii: ; @_ZN5aiter35fused_qk_rmsnorm_group_quant_kernelIDF16_DB8_Li256ELi16ELi4ELb0ELb0ELb0ELb0ELb0ELb0EEEvPT0_PvPT_S6_S6_PKS5_S8_S8_S8_S8_ffiiiiiiiiiiiii
; %bb.0:
	s_load_dwordx4 s[16:19], s[4:5], 0x50
	s_waitcnt lgkmcnt(0)
	s_cmp_ge_i32 s6, s18
	s_cbranch_scc1 .LBB837_12
; %bb.1:
	s_load_dwordx2 s[12:13], s[4:5], 0x48
	s_load_dwordx2 s[30:31], s[4:5], 0x30
	s_load_dwordx4 s[20:23], s[4:5], 0x60
	s_cmp_lg_u32 s7, 0
	s_cselect_b64 s[14:15], -1, 0
	s_cmp_eq_u32 s7, 0
	s_cselect_b64 vcc, -1, 0
	s_and_b64 s[0:1], vcc, exec
	s_waitcnt lgkmcnt(0)
	s_cselect_b32 s7, s19, s20
	s_add_i32 s0, s7, 1
	s_lshr_b32 s1, s0, 31
	s_add_i32 s0, s0, s1
	s_lshl_b32 s0, s0, 1
	v_lshlrev_b32_e32 v1, 4, v0
	s_and_b32 s10, s0, -4
	v_cmp_gt_i32_e64 s[2:3], s7, v1
	v_mov_b32_e32 v18, 0
	v_mov_b32_e32 v6, 0
	;; [unrolled: 1-line block ×17, first 2 shown]
	s_and_saveexec_b64 s[0:1], s[2:3]
	s_cbranch_execz .LBB837_3
; %bb.2:
	s_load_dwordx2 s[8:9], s[4:5], 0x28
	s_load_dwordx2 s[26:27], s[4:5], 0x40
	s_and_b64 s[24:25], vcc, exec
	s_cselect_b32 s11, s21, s22
	v_lshlrev_b32_e32 v19, 5, v0
	s_waitcnt lgkmcnt(0)
	s_cselect_b32 s18, s9, s31
	s_cselect_b32 s21, s8, s30
	s_mul_hi_i32 s9, s11, s6
	s_mul_i32 s8, s11, s6
	s_lshl_b64 s[8:9], s[8:9], 1
	s_add_u32 s24, s21, s8
	s_addc_u32 s18, s18, s9
	s_and_b64 s[8:9], vcc, exec
	s_mov_b32 s11, 0x20000
	s_cselect_b32 s8, s26, s12
	s_cselect_b32 s9, s27, s13
	s_and_b32 s25, s18, 0xffff
	s_mov_b32 s26, s10
	s_mov_b32 s27, s11
	s_and_b32 s9, s9, 0xffff
	buffer_load_dwordx4 v[14:17], v19, s[24:27], 0 offen
	buffer_load_dwordx4 v[10:13], v19, s[24:27], 16 offen
	;; [unrolled: 1-line block ×4, first 2 shown]
.LBB837_3:
	s_or_b64 exec, exec, s[0:1]
	v_mov_b32_e32 v19, 0
	v_mov_b32_e32 v32, 0
	;; [unrolled: 1-line block ×15, first 2 shown]
	s_and_saveexec_b64 s[0:1], s[2:3]
	s_cbranch_execz .LBB837_5
; %bb.4:
	s_waitcnt vmcnt(3)
	v_cvt_f32_f16_sdwa v19, v14 dst_sel:DWORD dst_unused:UNUSED_PAD src0_sel:WORD_1
	v_cvt_f32_f16_e32 v18, v14
	v_cvt_f32_f16_sdwa v33, v15 dst_sel:DWORD dst_unused:UNUSED_PAD src0_sel:WORD_1
	v_cvt_f32_f16_e32 v32, v15
	;; [unrolled: 2-line block ×4, first 2 shown]
	s_waitcnt vmcnt(2)
	v_cvt_f32_f16_sdwa v31, v10 dst_sel:DWORD dst_unused:UNUSED_PAD src0_sel:WORD_1
	v_cvt_f32_f16_e32 v30, v10
	v_cvt_f32_f16_sdwa v29, v11 dst_sel:DWORD dst_unused:UNUSED_PAD src0_sel:WORD_1
	v_cvt_f32_f16_e32 v28, v11
	;; [unrolled: 2-line block ×4, first 2 shown]
.LBB837_5:
	s_or_b64 exec, exec, s[0:1]
	s_waitcnt vmcnt(2)
	v_mul_f32_e32 v10, v19, v19
	v_fmac_f32_e32 v10, v18, v18
	v_fmac_f32_e32 v10, v32, v32
	;; [unrolled: 1-line block ×15, first 2 shown]
	v_and_b32_e32 v12, 63, v0
	v_cmp_eq_u32_e64 s[0:1], 63, v12
	v_mov_b32_dpp v11, v10 quad_perm:[1,0,3,2] row_mask:0xf bank_mask:0xf
	v_add_f32_e32 v10, v10, v11
	s_nop 1
	v_mov_b32_dpp v11, v10 quad_perm:[2,3,0,1] row_mask:0xf bank_mask:0xf
	v_add_f32_e32 v10, v10, v11
	s_nop 1
	v_mov_b32_dpp v11, v10 row_half_mirror row_mask:0xf bank_mask:0xf
	v_add_f32_e32 v10, v10, v11
	s_nop 1
	v_mov_b32_dpp v11, v10 row_mirror row_mask:0xf bank_mask:0xf
	v_add_f32_e32 v10, v10, v11
	s_nop 1
	v_mov_b32_dpp v11, v10 row_bcast:15 row_mask:0xf bank_mask:0xf
	v_add_f32_e32 v10, v10, v11
	s_nop 1
	v_mov_b32_dpp v11, v10 row_bcast:31 row_mask:0xf bank_mask:0xf
	s_and_saveexec_b64 s[8:9], s[0:1]
	s_cbranch_execz .LBB837_7
; %bb.6:
	v_add_f32_e32 v10, v10, v11
	v_lshrrev_b32_e32 v11, 4, v0
	v_and_b32_e32 v11, 60, v11
	ds_write_b32 v11, v10 offset:16
.LBB837_7:
	s_or_b64 exec, exec, s[8:9]
	v_and_b32_e32 v10, 3, v0
	v_lshlrev_b32_e32 v34, 2, v10
	s_waitcnt lgkmcnt(0)
	s_barrier
	ds_read_b32 v11, v34 offset:16
	s_load_dwordx2 s[28:29], s[4:5], 0x18
	s_waitcnt lgkmcnt(0)
	v_mov_b32_dpp v12, v11 quad_perm:[1,0,3,2] row_mask:0xf bank_mask:0xf
	v_add_f32_e32 v11, v11, v12
	s_nop 1
	v_mov_b32_dpp v12, v11 quad_perm:[2,3,0,1] row_mask:0xf bank_mask:0xf
	s_and_saveexec_b64 s[8:9], s[2:3]
	s_cbranch_execz .LBB837_9
; %bb.8:
	v_cvt_f32_u32_e32 v13, s7
	v_add_f32_e32 v11, v11, v12
	v_mov_b32_e32 v15, s17
	v_mov_b32_e32 v16, s16
	v_div_scale_f32 v12, s[24:25], v13, v13, v11
	v_rcp_f32_e32 v14, v12
	v_cndmask_b32_e32 v15, v15, v16, vcc
	s_mov_b32 s7, 0x800000
	s_waitcnt vmcnt(1)
	v_cvt_f32_f16_sdwa v37, v9 dst_sel:DWORD dst_unused:UNUSED_PAD src0_sel:WORD_1
	v_fma_f32 v16, -v12, v14, 1.0
	v_fmac_f32_e32 v14, v16, v14
	v_div_scale_f32 v16, vcc, v11, v13, v11
	v_mul_f32_e32 v17, v16, v14
	v_fma_f32 v35, -v12, v17, v16
	v_fmac_f32_e32 v17, v35, v14
	v_fma_f32 v12, -v12, v17, v16
	v_div_fmas_f32 v12, v12, v14, v17
	v_div_fixup_f32 v11, v12, v13, v11
	v_add_f32_e32 v11, v15, v11
	v_mul_f32_e32 v12, 0x4b800000, v11
	v_cmp_gt_f32_e32 vcc, s7, v11
	v_cndmask_b32_e32 v11, v11, v12, vcc
	v_rsq_f32_e32 v11, v11
	v_cvt_f32_f16_e32 v36, v9
	s_waitcnt vmcnt(0)
	v_cvt_f32_f16_sdwa v9, v3 dst_sel:DWORD dst_unused:UNUSED_PAD src0_sel:WORD_1
	v_mul_f32_e32 v12, 0x45800000, v11
	v_cndmask_b32_e32 v12, v11, v12, vcc
	v_mov_b32_e32 v13, v12
	;;#ASMSTART
	v_pk_mul_f32 v[14:15], v[18:19], v[12:13]
	;;#ASMEND
	;;#ASMSTART
	v_pk_mul_f32 v[16:17], v[32:33], v[12:13]
	;;#ASMEND
	;; [unrolled: 3-line block ×8, first 2 shown]
	v_cvt_f32_f16_sdwa v19, v6 dst_sel:DWORD dst_unused:UNUSED_PAD src0_sel:WORD_1
	v_cvt_f32_f16_e32 v18, v6
	v_cvt_f32_f16_sdwa v21, v7 dst_sel:DWORD dst_unused:UNUSED_PAD src0_sel:WORD_1
	v_cvt_f32_f16_e32 v20, v7
	;; [unrolled: 2-line block ×3, first 2 shown]
	;;#ASMSTART
	v_pk_mul_f32 v[18:19], v[14:15], v[18:19]
	;;#ASMEND
	;;#ASMSTART
	v_pk_mul_f32 v[32:33], v[16:17], v[20:21]
	;;#ASMEND
	;; [unrolled: 3-line block ×4, first 2 shown]
	v_cvt_f32_f16_sdwa v7, v2 dst_sel:DWORD dst_unused:UNUSED_PAD src0_sel:WORD_1
	v_cvt_f32_f16_e32 v6, v2
	v_cvt_f32_f16_e32 v8, v3
	v_cvt_f32_f16_sdwa v3, v4 dst_sel:DWORD dst_unused:UNUSED_PAD src0_sel:WORD_1
	v_cvt_f32_f16_e32 v2, v4
	v_cvt_f32_f16_sdwa v15, v5 dst_sel:DWORD dst_unused:UNUSED_PAD src0_sel:WORD_1
	v_cvt_f32_f16_e32 v14, v5
	;;#ASMSTART
	v_pk_mul_f32 v[30:31], v[30:31], v[6:7]
	;;#ASMEND
	;;#ASMSTART
	v_pk_mul_f32 v[28:29], v[28:29], v[8:9]
	;;#ASMEND
	;; [unrolled: 3-line block ×4, first 2 shown]
.LBB837_9:
	s_or_b64 exec, exec, s[8:9]
	s_load_dword s7, s[4:5], 0x80
	s_mov_b64 s[8:9], -1
	s_and_b64 vcc, exec, s[14:15]
	s_cbranch_vccnz .LBB837_13
; %bb.10:
	s_andn2_b64 vcc, exec, s[8:9]
	s_cbranch_vccz .LBB837_16
.LBB837_11:
	s_cmp_lt_i32 s20, 1
	s_cbranch_scc0 .LBB837_23
.LBB837_12:
	s_endpgm
.LBB837_13:
	s_and_saveexec_b64 s[14:15], s[2:3]
	s_cbranch_execz .LBB837_15
; %bb.14:
	s_waitcnt lgkmcnt(0)
	s_mul_hi_i32 s9, s7, s6
	s_mul_i32 s8, s7, s6
	s_waitcnt vmcnt(0)
	v_cvt_f16_f32_e32 v2, v18
	v_cvt_f16_f32_e32 v3, v32
	;; [unrolled: 1-line block ×8, first 2 shown]
	s_lshl_b64 s[8:9], s[8:9], 1
	s_add_u32 s8, s28, s8
	s_addc_u32 s9, s29, s9
	s_and_b32 s9, s9, 0xffff
	s_mov_b32 s11, 0x20000
	v_pack_b32_f16 v5, v5, v6
	v_pack_b32_f16 v4, v4, v7
	;; [unrolled: 1-line block ×4, first 2 shown]
	v_lshlrev_b32_e32 v6, 5, v0
	buffer_store_dwordx4 v[2:5], v6, s[8:11], 0 offen
	v_cvt_f16_f32_e32 v7, v21
	v_cvt_f16_f32_e32 v2, v30
	;; [unrolled: 1-line block ×8, first 2 shown]
	v_pack_b32_f16 v5, v5, v7
	v_pack_b32_f16 v4, v4, v8
	;; [unrolled: 1-line block ×4, first 2 shown]
	;;#ASMSTART
	s_nop 0
	;;#ASMEND
	buffer_store_dwordx4 v[2:5], v6, s[8:11], 16 offen
	;;#ASMSTART
	s_nop 0
	;;#ASMEND
.LBB837_15:
	s_or_b64 exec, exec, s[14:15]
	s_cbranch_execnz .LBB837_11
.LBB837_16:
	s_waitcnt vmcnt(0)
	v_mov_b32_e32 v2, 0
	s_and_saveexec_b64 s[8:9], s[2:3]
	s_cbranch_execz .LBB837_18
; %bb.17:
	v_and_b32_e32 v2, 0x7fffffff, v18
	v_and_b32_e32 v3, 0x7fffffff, v19
	v_mov_b32_e32 v4, 0x2edbe6ff
	;;#ASMSTART
	v_max3_f32 v2, v4, v2, v3

	;;#ASMEND
	v_and_b32_e32 v3, 0x7fffffff, v32
	v_and_b32_e32 v4, 0x7fffffff, v33
	;;#ASMSTART
	v_max3_f32 v2, v2, v3, v4

	;;#ASMEND
	v_and_b32_e32 v3, 0x7fffffff, v26
	v_and_b32_e32 v4, 0x7fffffff, v27
	;; [unrolled: 6-line block ×7, first 2 shown]
	;;#ASMSTART
	v_max3_f32 v2, v2, v3, v4

	;;#ASMEND
.LBB837_18:
	s_or_b64 exec, exec, s[8:9]
	s_load_dwordx4 s[24:27], s[4:5], 0x70
	;;#ASMSTART
	v_max_f32 v3, v2, v2 quad_perm:[1,0,3,2] row_mask:0xf bank_mask:0xf bound_ctrl:1
	;;#ASMEND
	;;#ASMSTART
	v_max_f32 v2, v3, v3 quad_perm:[2,3,0,1] row_mask:0xf bank_mask:0xf bound_ctrl:1
	;;#ASMEND
	v_cmp_eq_u32_e32 vcc, 0, v10
	v_cmp_gt_i32_e64 s[8:9], s19, v1
	v_mul_f32_e32 v2, 0x3b124925, v2
	s_and_b64 s[10:11], vcc, s[8:9]
	s_and_saveexec_b64 s[8:9], s[10:11]
	s_cbranch_execz .LBB837_20
; %bb.19:
	s_load_dwordx2 s[10:11], s[4:5], 0x8
	s_waitcnt lgkmcnt(0)
	s_mul_hi_i32 s15, s25, s6
	s_mul_i32 s14, s25, s6
	v_lshrrev_b32_e32 v3, 2, v0
	s_lshl_b64 s[14:15], s[14:15], 2
	v_mad_i64_i32 v[4:5], s[26:27], s26, v3, 0
	s_add_u32 s10, s10, s14
	s_addc_u32 s11, s11, s15
	v_lshlrev_b64 v[4:5], 2, v[4:5]
	v_mov_b32_e32 v3, s11
	v_add_co_u32_e32 v4, vcc, s10, v4
	v_addc_co_u32_e32 v5, vcc, v3, v5, vcc
	global_store_dword v[4:5], v2, off
.LBB837_20:
	s_or_b64 exec, exec, s[8:9]
	;;#ASMSTART
	v_rcp_f32 v2, v2
	;;#ASMEND
	s_and_saveexec_b64 s[14:15], s[2:3]
	s_cbranch_execz .LBB837_22
; %bb.21:
	s_load_dwordx2 s[2:3], s[4:5], 0x0
	s_waitcnt lgkmcnt(0)
	s_mul_i32 s8, s24, s6
	s_mul_hi_i32 s9, s24, s6
	v_mov_b32_e32 v3, v2
	;;#ASMSTART
	v_pk_mul_f32 v[4:5], v[18:19], v[2:3]
	;;#ASMEND
	s_add_u32 s8, s2, s8
	s_addc_u32 s2, s3, s9
	s_add_i32 s3, s19, 3
	s_ashr_i32 s10, s3, 31
	v_mov_b32_e32 v10, 0xc3e00000
	v_mov_b32_e32 v11, 0x43e00000
	;;#ASMSTART
	v_med3_f32 v4, v4, v10, v11
v_med3_f32 v5, v5, v10, v11
v_cvt_pk_fp8_f32 v6, v4, v5
	;;#ASMEND
	s_and_b32 s9, s2, 0xffff
	s_lshr_b32 s2, s10, 30
	;;#ASMSTART
	v_pk_mul_f32 v[4:5], v[32:33], v[2:3]
	;;#ASMEND
	s_add_i32 s3, s3, s2
	;;#ASMSTART
	v_med3_f32 v4, v4, v10, v11
v_med3_f32 v5, v5, v10, v11
v_cvt_pk_fp8_f32 v7, v4, v5
	;;#ASMEND
	s_mov_b32 s2, 0x5040100
	v_perm_b32 v4, v7, v6, s2
	s_mov_b32 s2, 0x1060504
	v_perm_b32 v4, v4, v7, s2
	;;#ASMSTART
	v_pk_mul_f32 v[6:7], v[26:27], v[2:3]
	;;#ASMEND
	v_mov_b32_e32 v5, v7
	;;#ASMSTART
	v_med3_f32 v6, v6, v10, v11
v_med3_f32 v5, v5, v10, v11
v_cvt_pk_fp8_f32 v8, v6, v5
	;;#ASMEND
	;;#ASMSTART
	v_pk_mul_f32 v[6:7], v[24:25], v[2:3]
	;;#ASMEND
	v_mov_b32_e32 v5, v7
	;;#ASMSTART
	v_med3_f32 v6, v6, v10, v11
v_med3_f32 v5, v5, v10, v11
v_cvt_pk_fp8_f32 v7, v6, v5
	;;#ASMEND
	s_mov_b32 s2, 0x1000504
	v_perm_b32 v5, v8, v7, s2
	;;#ASMSTART
	v_pk_mul_f32 v[6:7], v[30:31], v[2:3]
	;;#ASMEND
	;;#ASMSTART
	v_med3_f32 v6, v6, v10, v11
v_med3_f32 v7, v7, v10, v11
v_cvt_pk_fp8_f32 v8, v6, v7
	;;#ASMEND
	;;#ASMSTART
	v_pk_mul_f32 v[6:7], v[28:29], v[2:3]
	;;#ASMEND
	;;#ASMSTART
	v_med3_f32 v6, v6, v10, v11
v_med3_f32 v7, v7, v10, v11
v_cvt_pk_fp8_f32 v9, v6, v7
	;;#ASMEND
	v_perm_b32 v6, v8, v9, s2
	;;#ASMSTART
	v_pk_mul_f32 v[8:9], v[22:23], v[2:3]
	;;#ASMEND
	v_mov_b32_e32 v7, v9
	;;#ASMSTART
	v_med3_f32 v8, v8, v10, v11
v_med3_f32 v7, v7, v10, v11
v_cvt_pk_fp8_f32 v9, v8, v7
	;;#ASMEND
	;;#ASMSTART
	v_pk_mul_f32 v[2:3], v[20:21], v[2:3]
	;;#ASMEND
	;;#ASMSTART
	v_med3_f32 v2, v2, v10, v11
v_med3_f32 v3, v3, v10, v11
v_cvt_pk_fp8_f32 v7, v2, v3
	;;#ASMEND
	s_and_b32 s10, s3, -4
	s_mov_b32 s11, 0x20000
	v_perm_b32 v7, v9, v7, s2
	buffer_store_dwordx4 v[4:7], v1, s[8:11], 0 offen
	;;#ASMSTART
	s_nop 0
	;;#ASMEND
.LBB837_22:
	s_or_b64 exec, exec, s[14:15]
	s_cmp_lt_i32 s20, 1
	s_cbranch_scc1 .LBB837_12
.LBB837_23:
	s_load_dword s2, s[4:5], 0x94
	s_waitcnt lgkmcnt(0)
	s_cmp_lg_u32 s2, 1
	s_cbranch_scc1 .LBB837_12
; %bb.24:
	s_lshl_b32 s2, s20, 1
	s_add_i32 s2, s2, 2
	v_cmp_gt_u32_e32 vcc, s20, v1
	s_and_b32 s14, s2, -4
	v_mov_b32_e32 v18, 0
	v_lshlrev_b32_e32 v1, 5, v0
	v_mov_b32_e32 v14, 0
	v_mov_b32_e32 v15, 0
	;; [unrolled: 1-line block ×8, first 2 shown]
	s_waitcnt vmcnt(1)
	v_mov_b32_e32 v6, 0
	v_mov_b32_e32 v7, 0
	;; [unrolled: 1-line block ×4, first 2 shown]
	s_waitcnt vmcnt(0)
	v_mov_b32_e32 v2, 0
	v_mov_b32_e32 v3, 0
	;; [unrolled: 1-line block ×4, first 2 shown]
	s_barrier
	s_and_saveexec_b64 s[2:3], vcc
	s_cbranch_execz .LBB837_26
; %bb.25:
	s_mul_hi_i32 s5, s22, s6
	s_mul_i32 s4, s22, s6
	s_and_b32 s13, s13, 0xffff
	s_lshl_b64 s[4:5], s[4:5], 1
	s_add_u32 s8, s30, s4
	s_mov_b32 s15, 0x20000
	s_addc_u32 s4, s31, s5
	s_and_b32 s9, s4, 0xffff
	s_mov_b32 s10, s14
	s_mov_b32 s11, s15
	buffer_load_dwordx4 v[14:17], v1, s[8:11], 0 offen
	buffer_load_dwordx4 v[10:13], v1, s[8:11], 16 offen
	;; [unrolled: 1-line block ×4, first 2 shown]
.LBB837_26:
	s_or_b64 exec, exec, s[2:3]
	v_mov_b32_e32 v19, 0
	v_mov_b32_e32 v32, 0
	;; [unrolled: 1-line block ×15, first 2 shown]
	s_and_saveexec_b64 s[2:3], vcc
	s_cbranch_execz .LBB837_28
; %bb.27:
	s_waitcnt vmcnt(3)
	v_cvt_f32_f16_sdwa v19, v14 dst_sel:DWORD dst_unused:UNUSED_PAD src0_sel:WORD_1
	v_cvt_f32_f16_e32 v18, v14
	v_cvt_f32_f16_sdwa v33, v15 dst_sel:DWORD dst_unused:UNUSED_PAD src0_sel:WORD_1
	v_cvt_f32_f16_e32 v32, v15
	;; [unrolled: 2-line block ×4, first 2 shown]
	s_waitcnt vmcnt(2)
	v_cvt_f32_f16_sdwa v27, v10 dst_sel:DWORD dst_unused:UNUSED_PAD src0_sel:WORD_1
	v_cvt_f32_f16_e32 v26, v10
	v_cvt_f32_f16_sdwa v25, v11 dst_sel:DWORD dst_unused:UNUSED_PAD src0_sel:WORD_1
	v_cvt_f32_f16_e32 v24, v11
	v_cvt_f32_f16_sdwa v23, v12 dst_sel:DWORD dst_unused:UNUSED_PAD src0_sel:WORD_1
	v_cvt_f32_f16_e32 v22, v12
	v_cvt_f32_f16_sdwa v21, v13 dst_sel:DWORD dst_unused:UNUSED_PAD src0_sel:WORD_1
	v_cvt_f32_f16_e32 v20, v13
.LBB837_28:
	s_or_b64 exec, exec, s[2:3]
	s_waitcnt vmcnt(2)
	v_mul_f32_e32 v10, v19, v19
	v_fmac_f32_e32 v10, v18, v18
	v_fmac_f32_e32 v10, v32, v32
	;; [unrolled: 1-line block ×15, first 2 shown]
	s_nop 1
	v_mov_b32_dpp v11, v10 quad_perm:[1,0,3,2] row_mask:0xf bank_mask:0xf
	v_add_f32_e32 v10, v10, v11
	s_nop 1
	v_mov_b32_dpp v11, v10 quad_perm:[2,3,0,1] row_mask:0xf bank_mask:0xf
	v_add_f32_e32 v10, v10, v11
	s_nop 1
	v_mov_b32_dpp v11, v10 row_half_mirror row_mask:0xf bank_mask:0xf
	v_add_f32_e32 v10, v10, v11
	s_nop 1
	v_mov_b32_dpp v11, v10 row_mirror row_mask:0xf bank_mask:0xf
	v_add_f32_e32 v10, v10, v11
	s_nop 1
	v_mov_b32_dpp v11, v10 row_bcast:15 row_mask:0xf bank_mask:0xf
	v_add_f32_e32 v10, v10, v11
	s_nop 1
	v_mov_b32_dpp v11, v10 row_bcast:31 row_mask:0xf bank_mask:0xf
	s_and_saveexec_b64 s[2:3], s[0:1]
	s_cbranch_execz .LBB837_30
; %bb.29:
	v_lshrrev_b32_e32 v0, 4, v0
	v_add_f32_e32 v10, v10, v11
	v_and_b32_e32 v0, 60, v0
	ds_write_b32 v0, v10
.LBB837_30:
	s_or_b64 exec, exec, s[2:3]
	s_waitcnt lgkmcnt(0)
	s_barrier
	ds_read_b32 v0, v34
	s_waitcnt lgkmcnt(0)
	s_nop 0
	v_mov_b32_dpp v10, v0 quad_perm:[1,0,3,2] row_mask:0xf bank_mask:0xf
	v_add_f32_e32 v0, v0, v10
	s_nop 1
	v_mov_b32_dpp v10, v0 quad_perm:[2,3,0,1] row_mask:0xf bank_mask:0xf
	s_and_saveexec_b64 s[0:1], vcc
	s_cbranch_execz .LBB837_12
; %bb.31:
	v_cvt_f32_u32_e32 v11, s20
	v_add_f32_e32 v0, v0, v10
	s_mov_b32 s15, 0x20000
	v_div_scale_f32 v10, s[0:1], v11, v11, v0
	v_rcp_f32_e32 v12, v10
	v_div_scale_f32 v13, vcc, v0, v11, v0
	s_mov_b32 s0, 0x800000
	v_fma_f32 v14, -v10, v12, 1.0
	v_fmac_f32_e32 v12, v14, v12
	v_mul_f32_e32 v14, v13, v12
	v_fma_f32 v15, -v10, v14, v13
	v_fmac_f32_e32 v14, v15, v12
	v_fma_f32 v10, -v10, v14, v13
	v_div_fmas_f32 v10, v10, v12, v14
	v_div_fixup_f32 v0, v10, v11, v0
	v_add_f32_e32 v0, s17, v0
	v_mul_f32_e32 v10, 0x4b800000, v0
	v_cmp_gt_f32_e32 vcc, s0, v0
	v_cndmask_b32_e32 v0, v0, v10, vcc
	v_rsq_f32_e32 v0, v0
	s_mul_hi_i32 s1, s7, s6
	s_mul_i32 s0, s7, s6
	s_lshl_b64 s[0:1], s[0:1], 1
	v_mul_f32_e32 v10, 0x45800000, v0
	v_cndmask_b32_e32 v10, v0, v10, vcc
	v_mov_b32_e32 v11, v10
	;;#ASMSTART
	v_pk_mul_f32 v[12:13], v[18:19], v[10:11]
	;;#ASMEND
	;;#ASMSTART
	v_pk_mul_f32 v[14:15], v[32:33], v[10:11]
	;;#ASMEND
	;; [unrolled: 3-line block ×8, first 2 shown]
	s_waitcnt vmcnt(1)
	v_cvt_f32_f16_sdwa v21, v6 dst_sel:DWORD dst_unused:UNUSED_PAD src0_sel:WORD_1
	v_cvt_f32_f16_e32 v20, v6
	v_cvt_f32_f16_sdwa v29, v7 dst_sel:DWORD dst_unused:UNUSED_PAD src0_sel:WORD_1
	v_cvt_f32_f16_e32 v28, v7
	v_cvt_f32_f16_sdwa v7, v8 dst_sel:DWORD dst_unused:UNUSED_PAD src0_sel:WORD_1
	v_cvt_f32_f16_e32 v6, v8
	v_cvt_f32_f16_sdwa v31, v9 dst_sel:DWORD dst_unused:UNUSED_PAD src0_sel:WORD_1
	v_cvt_f32_f16_e32 v30, v9
	;;#ASMSTART
	v_pk_mul_f32 v[8:9], v[12:13], v[20:21]
	;;#ASMEND
	;;#ASMSTART
	v_pk_mul_f32 v[12:13], v[14:15], v[28:29]
	;;#ASMEND
	;; [unrolled: 3-line block ×4, first 2 shown]
	s_waitcnt vmcnt(0)
	v_cvt_f32_f16_sdwa v17, v2 dst_sel:DWORD dst_unused:UNUSED_PAD src0_sel:WORD_1
	v_cvt_f32_f16_e32 v16, v2
	v_cvt_f32_f16_sdwa v19, v3 dst_sel:DWORD dst_unused:UNUSED_PAD src0_sel:WORD_1
	v_cvt_f32_f16_e32 v18, v3
	;; [unrolled: 2-line block ×4, first 2 shown]
	;;#ASMSTART
	v_pk_mul_f32 v[16:17], v[26:27], v[16:17]
	;;#ASMEND
	;;#ASMSTART
	v_pk_mul_f32 v[18:19], v[24:25], v[18:19]
	;;#ASMEND
	;; [unrolled: 3-line block ×3, first 2 shown]
	v_cvt_f16_f32_e32 v0, v8
	v_cvt_f16_f32_e32 v2, v9
	v_cvt_f16_f32_e32 v3, v12
	v_cvt_f16_f32_e32 v4, v13
	v_cvt_f16_f32_e32 v5, v6
	v_cvt_f16_f32_e32 v6, v7
	v_cvt_f16_f32_e32 v7, v14
	v_cvt_f16_f32_e32 v8, v15
	s_add_u32 s12, s28, s0
	s_addc_u32 s0, s29, s1
	s_and_b32 s13, s0, 0xffff
	v_pack_b32_f16 v2, v0, v2
	v_pack_b32_f16 v3, v3, v4
	;; [unrolled: 1-line block ×4, first 2 shown]
	;;#ASMSTART
	v_pk_mul_f32 v[10:11], v[10:11], v[20:21]
	;;#ASMEND
	buffer_store_dwordx4 v[2:5], v1, s[12:15], 0 offen
	v_cvt_f16_f32_e32 v0, v16
	v_cvt_f16_f32_e32 v2, v17
	;; [unrolled: 1-line block ×8, first 2 shown]
	v_pack_b32_f16 v2, v0, v2
	v_pack_b32_f16 v3, v3, v4
	;; [unrolled: 1-line block ×4, first 2 shown]
	;;#ASMSTART
	s_nop 0
	;;#ASMEND
	buffer_store_dwordx4 v[2:5], v1, s[12:15], 16 offen
	;;#ASMSTART
	s_nop 0
	;;#ASMEND
	s_endpgm
	.section	.rodata,"a",@progbits
	.p2align	6, 0x0
	.amdhsa_kernel _ZN5aiter35fused_qk_rmsnorm_group_quant_kernelIDF16_DB8_Li256ELi16ELi4ELb0ELb0ELb0ELb0ELb0ELb0EEEvPT0_PvPT_S6_S6_PKS5_S8_S8_S8_S8_ffiiiiiiiiiiiii
		.amdhsa_group_segment_fixed_size 32
		.amdhsa_private_segment_fixed_size 0
		.amdhsa_kernarg_size 400
		.amdhsa_user_sgpr_count 6
		.amdhsa_user_sgpr_private_segment_buffer 1
		.amdhsa_user_sgpr_dispatch_ptr 0
		.amdhsa_user_sgpr_queue_ptr 0
		.amdhsa_user_sgpr_kernarg_segment_ptr 1
		.amdhsa_user_sgpr_dispatch_id 0
		.amdhsa_user_sgpr_flat_scratch_init 0
		.amdhsa_user_sgpr_kernarg_preload_length 0
		.amdhsa_user_sgpr_kernarg_preload_offset 0
		.amdhsa_user_sgpr_private_segment_size 0
		.amdhsa_uses_dynamic_stack 0
		.amdhsa_system_sgpr_private_segment_wavefront_offset 0
		.amdhsa_system_sgpr_workgroup_id_x 1
		.amdhsa_system_sgpr_workgroup_id_y 1
		.amdhsa_system_sgpr_workgroup_id_z 0
		.amdhsa_system_sgpr_workgroup_info 0
		.amdhsa_system_vgpr_workitem_id 0
		.amdhsa_next_free_vgpr 38
		.amdhsa_next_free_sgpr 32
		.amdhsa_accum_offset 40
		.amdhsa_reserve_vcc 1
		.amdhsa_reserve_flat_scratch 0
		.amdhsa_float_round_mode_32 0
		.amdhsa_float_round_mode_16_64 0
		.amdhsa_float_denorm_mode_32 3
		.amdhsa_float_denorm_mode_16_64 3
		.amdhsa_dx10_clamp 1
		.amdhsa_ieee_mode 1
		.amdhsa_fp16_overflow 0
		.amdhsa_tg_split 0
		.amdhsa_exception_fp_ieee_invalid_op 0
		.amdhsa_exception_fp_denorm_src 0
		.amdhsa_exception_fp_ieee_div_zero 0
		.amdhsa_exception_fp_ieee_overflow 0
		.amdhsa_exception_fp_ieee_underflow 0
		.amdhsa_exception_fp_ieee_inexact 0
		.amdhsa_exception_int_div_zero 0
	.end_amdhsa_kernel
	.section	.text._ZN5aiter35fused_qk_rmsnorm_group_quant_kernelIDF16_DB8_Li256ELi16ELi4ELb0ELb0ELb0ELb0ELb0ELb0EEEvPT0_PvPT_S6_S6_PKS5_S8_S8_S8_S8_ffiiiiiiiiiiiii,"axG",@progbits,_ZN5aiter35fused_qk_rmsnorm_group_quant_kernelIDF16_DB8_Li256ELi16ELi4ELb0ELb0ELb0ELb0ELb0ELb0EEEvPT0_PvPT_S6_S6_PKS5_S8_S8_S8_S8_ffiiiiiiiiiiiii,comdat
.Lfunc_end837:
	.size	_ZN5aiter35fused_qk_rmsnorm_group_quant_kernelIDF16_DB8_Li256ELi16ELi4ELb0ELb0ELb0ELb0ELb0ELb0EEEvPT0_PvPT_S6_S6_PKS5_S8_S8_S8_S8_ffiiiiiiiiiiiii, .Lfunc_end837-_ZN5aiter35fused_qk_rmsnorm_group_quant_kernelIDF16_DB8_Li256ELi16ELi4ELb0ELb0ELb0ELb0ELb0ELb0EEEvPT0_PvPT_S6_S6_PKS5_S8_S8_S8_S8_ffiiiiiiiiiiiii
                                        ; -- End function
	.section	.AMDGPU.csdata,"",@progbits
; Kernel info:
; codeLenInByte = 3416
; NumSgprs: 36
; NumVgprs: 38
; NumAgprs: 0
; TotalNumVgprs: 38
; ScratchSize: 0
; MemoryBound: 0
; FloatMode: 240
; IeeeMode: 1
; LDSByteSize: 32 bytes/workgroup (compile time only)
; SGPRBlocks: 4
; VGPRBlocks: 4
; NumSGPRsForWavesPerEU: 36
; NumVGPRsForWavesPerEU: 38
; AccumOffset: 40
; Occupancy: 8
; WaveLimiterHint : 0
; COMPUTE_PGM_RSRC2:SCRATCH_EN: 0
; COMPUTE_PGM_RSRC2:USER_SGPR: 6
; COMPUTE_PGM_RSRC2:TRAP_HANDLER: 0
; COMPUTE_PGM_RSRC2:TGID_X_EN: 1
; COMPUTE_PGM_RSRC2:TGID_Y_EN: 1
; COMPUTE_PGM_RSRC2:TGID_Z_EN: 0
; COMPUTE_PGM_RSRC2:TIDIG_COMP_CNT: 0
; COMPUTE_PGM_RSRC3_GFX90A:ACCUM_OFFSET: 9
; COMPUTE_PGM_RSRC3_GFX90A:TG_SPLIT: 0
	.section	.text._ZN5aiter35fused_qk_rmsnorm_group_quant_kernelItDB8_Li256ELi16ELi4ELb0ELb0ELb0ELb0ELb0ELb0EEEvPT0_PvPT_S6_S6_PKS5_S8_S8_S8_S8_ffiiiiiiiiiiiii,"axG",@progbits,_ZN5aiter35fused_qk_rmsnorm_group_quant_kernelItDB8_Li256ELi16ELi4ELb0ELb0ELb0ELb0ELb0ELb0EEEvPT0_PvPT_S6_S6_PKS5_S8_S8_S8_S8_ffiiiiiiiiiiiii,comdat
	.protected	_ZN5aiter35fused_qk_rmsnorm_group_quant_kernelItDB8_Li256ELi16ELi4ELb0ELb0ELb0ELb0ELb0ELb0EEEvPT0_PvPT_S6_S6_PKS5_S8_S8_S8_S8_ffiiiiiiiiiiiii ; -- Begin function _ZN5aiter35fused_qk_rmsnorm_group_quant_kernelItDB8_Li256ELi16ELi4ELb0ELb0ELb0ELb0ELb0ELb0EEEvPT0_PvPT_S6_S6_PKS5_S8_S8_S8_S8_ffiiiiiiiiiiiii
	.globl	_ZN5aiter35fused_qk_rmsnorm_group_quant_kernelItDB8_Li256ELi16ELi4ELb0ELb0ELb0ELb0ELb0ELb0EEEvPT0_PvPT_S6_S6_PKS5_S8_S8_S8_S8_ffiiiiiiiiiiiii
	.p2align	8
	.type	_ZN5aiter35fused_qk_rmsnorm_group_quant_kernelItDB8_Li256ELi16ELi4ELb0ELb0ELb0ELb0ELb0ELb0EEEvPT0_PvPT_S6_S6_PKS5_S8_S8_S8_S8_ffiiiiiiiiiiiii,@function
_ZN5aiter35fused_qk_rmsnorm_group_quant_kernelItDB8_Li256ELi16ELi4ELb0ELb0ELb0ELb0ELb0ELb0EEEvPT0_PvPT_S6_S6_PKS5_S8_S8_S8_S8_ffiiiiiiiiiiiii: ; @_ZN5aiter35fused_qk_rmsnorm_group_quant_kernelItDB8_Li256ELi16ELi4ELb0ELb0ELb0ELb0ELb0ELb0EEEvPT0_PvPT_S6_S6_PKS5_S8_S8_S8_S8_ffiiiiiiiiiiiii
; %bb.0:
	s_load_dwordx4 s[16:19], s[4:5], 0x50
	s_waitcnt lgkmcnt(0)
	s_cmp_ge_i32 s6, s18
	s_cbranch_scc1 .LBB838_12
; %bb.1:
	s_load_dwordx2 s[12:13], s[4:5], 0x48
	s_load_dwordx2 s[30:31], s[4:5], 0x30
	s_load_dwordx4 s[20:23], s[4:5], 0x60
	s_cmp_lg_u32 s7, 0
	s_cselect_b64 s[14:15], -1, 0
	s_cmp_eq_u32 s7, 0
	s_cselect_b64 vcc, -1, 0
	s_and_b64 s[0:1], vcc, exec
	s_waitcnt lgkmcnt(0)
	s_cselect_b32 s7, s19, s20
	s_add_i32 s0, s7, 1
	s_lshr_b32 s1, s0, 31
	s_add_i32 s0, s0, s1
	s_lshl_b32 s0, s0, 1
	v_lshlrev_b32_e32 v1, 4, v0
	s_and_b32 s10, s0, -4
	v_cmp_gt_i32_e64 s[2:3], s7, v1
	v_mov_b32_e32 v18, 0
	v_mov_b32_e32 v6, 0
	;; [unrolled: 1-line block ×17, first 2 shown]
	s_and_saveexec_b64 s[0:1], s[2:3]
	s_cbranch_execz .LBB838_3
; %bb.2:
	s_load_dwordx2 s[8:9], s[4:5], 0x28
	s_load_dwordx2 s[26:27], s[4:5], 0x40
	s_and_b64 s[24:25], vcc, exec
	s_cselect_b32 s11, s21, s22
	v_lshlrev_b32_e32 v19, 5, v0
	s_waitcnt lgkmcnt(0)
	s_cselect_b32 s18, s9, s31
	s_cselect_b32 s21, s8, s30
	s_mul_hi_i32 s9, s11, s6
	s_mul_i32 s8, s11, s6
	s_lshl_b64 s[8:9], s[8:9], 1
	s_add_u32 s24, s21, s8
	s_addc_u32 s18, s18, s9
	s_and_b64 s[8:9], vcc, exec
	s_mov_b32 s11, 0x20000
	s_cselect_b32 s8, s26, s12
	s_cselect_b32 s9, s27, s13
	s_and_b32 s25, s18, 0xffff
	s_mov_b32 s26, s10
	s_mov_b32 s27, s11
	s_and_b32 s9, s9, 0xffff
	buffer_load_dwordx4 v[14:17], v19, s[24:27], 0 offen
	buffer_load_dwordx4 v[10:13], v19, s[24:27], 16 offen
	;; [unrolled: 1-line block ×4, first 2 shown]
.LBB838_3:
	s_or_b64 exec, exec, s[0:1]
	v_mov_b32_e32 v19, 0
	v_mov_b32_e32 v32, 0
	;; [unrolled: 1-line block ×15, first 2 shown]
	s_and_saveexec_b64 s[0:1], s[2:3]
	s_cbranch_execz .LBB838_5
; %bb.4:
	s_waitcnt vmcnt(3)
	v_cvt_f32_u32_sdwa v18, v14 dst_sel:DWORD dst_unused:UNUSED_PAD src0_sel:WORD_0
	v_cvt_f32_u32_sdwa v19, v14 dst_sel:DWORD dst_unused:UNUSED_PAD src0_sel:WORD_1
	v_cvt_f32_u32_sdwa v32, v15 dst_sel:DWORD dst_unused:UNUSED_PAD src0_sel:WORD_0
	v_cvt_f32_u32_sdwa v33, v15 dst_sel:DWORD dst_unused:UNUSED_PAD src0_sel:WORD_1
	;; [unrolled: 2-line block ×4, first 2 shown]
	s_waitcnt vmcnt(2)
	v_cvt_f32_u32_sdwa v30, v10 dst_sel:DWORD dst_unused:UNUSED_PAD src0_sel:WORD_0
	v_cvt_f32_u32_sdwa v31, v10 dst_sel:DWORD dst_unused:UNUSED_PAD src0_sel:WORD_1
	v_cvt_f32_u32_sdwa v28, v11 dst_sel:DWORD dst_unused:UNUSED_PAD src0_sel:WORD_0
	v_cvt_f32_u32_sdwa v29, v11 dst_sel:DWORD dst_unused:UNUSED_PAD src0_sel:WORD_1
	;; [unrolled: 2-line block ×4, first 2 shown]
.LBB838_5:
	s_or_b64 exec, exec, s[0:1]
	s_waitcnt vmcnt(2)
	v_mul_f32_e32 v10, v19, v19
	v_fmac_f32_e32 v10, v18, v18
	v_fmac_f32_e32 v10, v32, v32
	;; [unrolled: 1-line block ×15, first 2 shown]
	v_and_b32_e32 v12, 63, v0
	v_cmp_eq_u32_e64 s[0:1], 63, v12
	v_mov_b32_dpp v11, v10 quad_perm:[1,0,3,2] row_mask:0xf bank_mask:0xf
	v_add_f32_e32 v10, v10, v11
	s_nop 1
	v_mov_b32_dpp v11, v10 quad_perm:[2,3,0,1] row_mask:0xf bank_mask:0xf
	v_add_f32_e32 v10, v10, v11
	s_nop 1
	v_mov_b32_dpp v11, v10 row_half_mirror row_mask:0xf bank_mask:0xf
	v_add_f32_e32 v10, v10, v11
	s_nop 1
	v_mov_b32_dpp v11, v10 row_mirror row_mask:0xf bank_mask:0xf
	v_add_f32_e32 v10, v10, v11
	s_nop 1
	v_mov_b32_dpp v11, v10 row_bcast:15 row_mask:0xf bank_mask:0xf
	v_add_f32_e32 v10, v10, v11
	s_nop 1
	v_mov_b32_dpp v11, v10 row_bcast:31 row_mask:0xf bank_mask:0xf
	s_and_saveexec_b64 s[8:9], s[0:1]
	s_cbranch_execz .LBB838_7
; %bb.6:
	v_add_f32_e32 v10, v10, v11
	v_lshrrev_b32_e32 v11, 4, v0
	v_and_b32_e32 v11, 60, v11
	ds_write_b32 v11, v10 offset:16
.LBB838_7:
	s_or_b64 exec, exec, s[8:9]
	v_and_b32_e32 v10, 3, v0
	v_lshlrev_b32_e32 v34, 2, v10
	s_waitcnt lgkmcnt(0)
	s_barrier
	ds_read_b32 v11, v34 offset:16
	s_load_dwordx2 s[28:29], s[4:5], 0x18
	s_waitcnt lgkmcnt(0)
	v_mov_b32_dpp v12, v11 quad_perm:[1,0,3,2] row_mask:0xf bank_mask:0xf
	v_add_f32_e32 v11, v11, v12
	s_nop 1
	v_mov_b32_dpp v12, v11 quad_perm:[2,3,0,1] row_mask:0xf bank_mask:0xf
	s_and_saveexec_b64 s[8:9], s[2:3]
	s_cbranch_execz .LBB838_9
; %bb.8:
	v_cvt_f32_u32_e32 v13, s7
	v_add_f32_e32 v11, v11, v12
	v_mov_b32_e32 v15, s17
	v_mov_b32_e32 v16, s16
	v_div_scale_f32 v12, s[24:25], v13, v13, v11
	v_rcp_f32_e32 v14, v12
	v_cndmask_b32_e32 v15, v15, v16, vcc
	s_mov_b32 s7, 0x800000
	s_waitcnt vmcnt(1)
	v_cvt_f32_u32_sdwa v37, v9 dst_sel:DWORD dst_unused:UNUSED_PAD src0_sel:WORD_1
	v_fma_f32 v16, -v12, v14, 1.0
	v_fmac_f32_e32 v14, v16, v14
	v_div_scale_f32 v16, vcc, v11, v13, v11
	v_mul_f32_e32 v17, v16, v14
	v_fma_f32 v35, -v12, v17, v16
	v_fmac_f32_e32 v17, v35, v14
	v_fma_f32 v12, -v12, v17, v16
	v_div_fmas_f32 v12, v12, v14, v17
	v_div_fixup_f32 v11, v12, v13, v11
	v_add_f32_e32 v11, v15, v11
	v_mul_f32_e32 v12, 0x4b800000, v11
	v_cmp_gt_f32_e32 vcc, s7, v11
	v_cndmask_b32_e32 v11, v11, v12, vcc
	v_rsq_f32_e32 v11, v11
	v_cvt_f32_u32_sdwa v36, v9 dst_sel:DWORD dst_unused:UNUSED_PAD src0_sel:WORD_0
	s_waitcnt vmcnt(0)
	v_cvt_f32_u32_sdwa v9, v3 dst_sel:DWORD dst_unused:UNUSED_PAD src0_sel:WORD_1
	v_mul_f32_e32 v12, 0x45800000, v11
	v_cndmask_b32_e32 v12, v11, v12, vcc
	v_mov_b32_e32 v13, v12
	;;#ASMSTART
	v_pk_mul_f32 v[14:15], v[18:19], v[12:13]
	;;#ASMEND
	;;#ASMSTART
	v_pk_mul_f32 v[16:17], v[32:33], v[12:13]
	;;#ASMEND
	;; [unrolled: 3-line block ×8, first 2 shown]
	v_cvt_f32_u32_sdwa v19, v6 dst_sel:DWORD dst_unused:UNUSED_PAD src0_sel:WORD_1
	v_cvt_f32_u32_sdwa v18, v6 dst_sel:DWORD dst_unused:UNUSED_PAD src0_sel:WORD_0
	v_cvt_f32_u32_sdwa v21, v7 dst_sel:DWORD dst_unused:UNUSED_PAD src0_sel:WORD_1
	v_cvt_f32_u32_sdwa v20, v7 dst_sel:DWORD dst_unused:UNUSED_PAD src0_sel:WORD_0
	;; [unrolled: 2-line block ×3, first 2 shown]
	;;#ASMSTART
	v_pk_mul_f32 v[18:19], v[14:15], v[18:19]
	;;#ASMEND
	;;#ASMSTART
	v_pk_mul_f32 v[32:33], v[16:17], v[20:21]
	;;#ASMEND
	;; [unrolled: 3-line block ×4, first 2 shown]
	v_cvt_f32_u32_sdwa v7, v2 dst_sel:DWORD dst_unused:UNUSED_PAD src0_sel:WORD_1
	v_cvt_f32_u32_sdwa v6, v2 dst_sel:DWORD dst_unused:UNUSED_PAD src0_sel:WORD_0
	v_cvt_f32_u32_sdwa v8, v3 dst_sel:DWORD dst_unused:UNUSED_PAD src0_sel:WORD_0
	v_cvt_f32_u32_sdwa v3, v4 dst_sel:DWORD dst_unused:UNUSED_PAD src0_sel:WORD_1
	v_cvt_f32_u32_sdwa v2, v4 dst_sel:DWORD dst_unused:UNUSED_PAD src0_sel:WORD_0
	v_cvt_f32_u32_sdwa v15, v5 dst_sel:DWORD dst_unused:UNUSED_PAD src0_sel:WORD_1
	v_cvt_f32_u32_sdwa v14, v5 dst_sel:DWORD dst_unused:UNUSED_PAD src0_sel:WORD_0
	;;#ASMSTART
	v_pk_mul_f32 v[30:31], v[30:31], v[6:7]
	;;#ASMEND
	;;#ASMSTART
	v_pk_mul_f32 v[28:29], v[28:29], v[8:9]
	;;#ASMEND
	;;#ASMSTART
	v_pk_mul_f32 v[22:23], v[22:23], v[2:3]
	;;#ASMEND
	;;#ASMSTART
	v_pk_mul_f32 v[20:21], v[12:13], v[14:15]
	;;#ASMEND
.LBB838_9:
	s_or_b64 exec, exec, s[8:9]
	s_load_dword s7, s[4:5], 0x80
	s_mov_b64 s[8:9], -1
	s_and_b64 vcc, exec, s[14:15]
	s_cbranch_vccnz .LBB838_13
; %bb.10:
	s_andn2_b64 vcc, exec, s[8:9]
	s_cbranch_vccz .LBB838_16
.LBB838_11:
	s_cmp_lt_i32 s20, 1
	s_cbranch_scc0 .LBB838_23
.LBB838_12:
	s_endpgm
.LBB838_13:
	s_and_saveexec_b64 s[14:15], s[2:3]
	s_cbranch_execz .LBB838_15
; %bb.14:
	s_waitcnt lgkmcnt(0)
	s_mul_hi_i32 s9, s7, s6
	s_mul_i32 s8, s7, s6
	s_lshl_b64 s[8:9], s[8:9], 1
	s_add_u32 s8, s28, s8
	s_addc_u32 s9, s29, s9
	s_mov_b32 s16, 0x7060302
	s_and_b32 s9, s9, 0xffff
	s_mov_b32 s11, 0x20000
	s_waitcnt vmcnt(0)
	v_perm_b32 v5, v25, v24, s16
	v_perm_b32 v4, v27, v26, s16
	;; [unrolled: 1-line block ×4, first 2 shown]
	v_lshlrev_b32_e32 v6, 5, v0
	buffer_store_dwordx4 v[2:5], v6, s[8:11], 0 offen
	;;#ASMSTART
	s_nop 0
	;;#ASMEND
	s_nop 0
	v_perm_b32 v5, v21, v20, s16
	v_perm_b32 v4, v23, v22, s16
	v_perm_b32 v3, v29, v28, s16
	v_perm_b32 v2, v31, v30, s16
	buffer_store_dwordx4 v[2:5], v6, s[8:11], 16 offen
	;;#ASMSTART
	s_nop 0
	;;#ASMEND
.LBB838_15:
	s_or_b64 exec, exec, s[14:15]
	s_cbranch_execnz .LBB838_11
.LBB838_16:
	s_waitcnt vmcnt(0)
	v_mov_b32_e32 v2, 0
	s_and_saveexec_b64 s[8:9], s[2:3]
	s_cbranch_execz .LBB838_18
; %bb.17:
	v_and_b32_e32 v2, 0x7fffffff, v18
	v_and_b32_e32 v3, 0x7fffffff, v19
	v_mov_b32_e32 v4, 0x2edbe6ff
	;;#ASMSTART
	v_max3_f32 v2, v4, v2, v3

	;;#ASMEND
	v_and_b32_e32 v3, 0x7fffffff, v32
	v_and_b32_e32 v4, 0x7fffffff, v33
	;;#ASMSTART
	v_max3_f32 v2, v2, v3, v4

	;;#ASMEND
	v_and_b32_e32 v3, 0x7fffffff, v26
	v_and_b32_e32 v4, 0x7fffffff, v27
	;; [unrolled: 6-line block ×7, first 2 shown]
	;;#ASMSTART
	v_max3_f32 v2, v2, v3, v4

	;;#ASMEND
.LBB838_18:
	s_or_b64 exec, exec, s[8:9]
	s_load_dwordx4 s[24:27], s[4:5], 0x70
	;;#ASMSTART
	v_max_f32 v3, v2, v2 quad_perm:[1,0,3,2] row_mask:0xf bank_mask:0xf bound_ctrl:1
	;;#ASMEND
	;;#ASMSTART
	v_max_f32 v2, v3, v3 quad_perm:[2,3,0,1] row_mask:0xf bank_mask:0xf bound_ctrl:1
	;;#ASMEND
	v_cmp_eq_u32_e32 vcc, 0, v10
	v_cmp_gt_i32_e64 s[8:9], s19, v1
	v_mul_f32_e32 v2, 0x3b124925, v2
	s_and_b64 s[10:11], vcc, s[8:9]
	s_and_saveexec_b64 s[8:9], s[10:11]
	s_cbranch_execz .LBB838_20
; %bb.19:
	s_load_dwordx2 s[10:11], s[4:5], 0x8
	s_waitcnt lgkmcnt(0)
	s_mul_hi_i32 s15, s25, s6
	s_mul_i32 s14, s25, s6
	v_lshrrev_b32_e32 v3, 2, v0
	s_lshl_b64 s[14:15], s[14:15], 2
	v_mad_i64_i32 v[4:5], s[26:27], s26, v3, 0
	s_add_u32 s10, s10, s14
	s_addc_u32 s11, s11, s15
	v_lshlrev_b64 v[4:5], 2, v[4:5]
	v_mov_b32_e32 v3, s11
	v_add_co_u32_e32 v4, vcc, s10, v4
	v_addc_co_u32_e32 v5, vcc, v3, v5, vcc
	global_store_dword v[4:5], v2, off
.LBB838_20:
	s_or_b64 exec, exec, s[8:9]
	;;#ASMSTART
	v_rcp_f32 v2, v2
	;;#ASMEND
	s_and_saveexec_b64 s[14:15], s[2:3]
	s_cbranch_execz .LBB838_22
; %bb.21:
	s_load_dwordx2 s[2:3], s[4:5], 0x0
	s_waitcnt lgkmcnt(0)
	s_mul_i32 s8, s24, s6
	s_mul_hi_i32 s9, s24, s6
	v_mov_b32_e32 v3, v2
	;;#ASMSTART
	v_pk_mul_f32 v[4:5], v[18:19], v[2:3]
	;;#ASMEND
	s_add_u32 s8, s2, s8
	s_addc_u32 s2, s3, s9
	s_add_i32 s3, s19, 3
	s_ashr_i32 s10, s3, 31
	v_mov_b32_e32 v10, 0xc3e00000
	v_mov_b32_e32 v11, 0x43e00000
	;;#ASMSTART
	v_med3_f32 v4, v4, v10, v11
v_med3_f32 v5, v5, v10, v11
v_cvt_pk_fp8_f32 v6, v4, v5
	;;#ASMEND
	s_and_b32 s9, s2, 0xffff
	s_lshr_b32 s2, s10, 30
	;;#ASMSTART
	v_pk_mul_f32 v[4:5], v[32:33], v[2:3]
	;;#ASMEND
	s_add_i32 s3, s3, s2
	;;#ASMSTART
	v_med3_f32 v4, v4, v10, v11
v_med3_f32 v5, v5, v10, v11
v_cvt_pk_fp8_f32 v7, v4, v5
	;;#ASMEND
	s_mov_b32 s2, 0x5040100
	v_perm_b32 v4, v7, v6, s2
	s_mov_b32 s2, 0x1060504
	v_perm_b32 v4, v4, v7, s2
	;;#ASMSTART
	v_pk_mul_f32 v[6:7], v[26:27], v[2:3]
	;;#ASMEND
	v_mov_b32_e32 v5, v7
	;;#ASMSTART
	v_med3_f32 v6, v6, v10, v11
v_med3_f32 v5, v5, v10, v11
v_cvt_pk_fp8_f32 v8, v6, v5
	;;#ASMEND
	;;#ASMSTART
	v_pk_mul_f32 v[6:7], v[24:25], v[2:3]
	;;#ASMEND
	v_mov_b32_e32 v5, v6
	;;#ASMSTART
	v_med3_f32 v5, v5, v10, v11
v_med3_f32 v7, v7, v10, v11
v_cvt_pk_fp8_f32 v6, v5, v7
	;;#ASMEND
	s_mov_b32 s2, 0x1000504
	v_perm_b32 v5, v8, v6, s2
	;;#ASMSTART
	v_pk_mul_f32 v[6:7], v[30:31], v[2:3]
	;;#ASMEND
	;;#ASMSTART
	v_med3_f32 v6, v6, v10, v11
v_med3_f32 v7, v7, v10, v11
v_cvt_pk_fp8_f32 v8, v6, v7
	;;#ASMEND
	;;#ASMSTART
	v_pk_mul_f32 v[6:7], v[28:29], v[2:3]
	;;#ASMEND
	;;#ASMSTART
	v_med3_f32 v6, v6, v10, v11
v_med3_f32 v7, v7, v10, v11
v_cvt_pk_fp8_f32 v9, v6, v7
	;;#ASMEND
	v_perm_b32 v6, v8, v9, s2
	;;#ASMSTART
	v_pk_mul_f32 v[8:9], v[22:23], v[2:3]
	;;#ASMEND
	v_mov_b32_e32 v7, v9
	;;#ASMSTART
	v_med3_f32 v8, v8, v10, v11
v_med3_f32 v7, v7, v10, v11
v_cvt_pk_fp8_f32 v9, v8, v7
	;;#ASMEND
	;;#ASMSTART
	v_pk_mul_f32 v[2:3], v[20:21], v[2:3]
	;;#ASMEND
	;;#ASMSTART
	v_med3_f32 v2, v2, v10, v11
v_med3_f32 v3, v3, v10, v11
v_cvt_pk_fp8_f32 v7, v2, v3
	;;#ASMEND
	s_and_b32 s10, s3, -4
	s_mov_b32 s11, 0x20000
	v_perm_b32 v7, v9, v7, s2
	buffer_store_dwordx4 v[4:7], v1, s[8:11], 0 offen
	;;#ASMSTART
	s_nop 0
	;;#ASMEND
.LBB838_22:
	s_or_b64 exec, exec, s[14:15]
	s_cmp_lt_i32 s20, 1
	s_cbranch_scc1 .LBB838_12
.LBB838_23:
	s_load_dword s2, s[4:5], 0x94
	s_waitcnt lgkmcnt(0)
	s_cmp_lg_u32 s2, 1
	s_cbranch_scc1 .LBB838_12
; %bb.24:
	s_lshl_b32 s2, s20, 1
	s_add_i32 s2, s2, 2
	v_cmp_gt_u32_e32 vcc, s20, v1
	s_and_b32 s14, s2, -4
	v_mov_b32_e32 v18, 0
	v_lshlrev_b32_e32 v1, 5, v0
	v_mov_b32_e32 v14, 0
	v_mov_b32_e32 v15, 0
	;; [unrolled: 1-line block ×8, first 2 shown]
	s_waitcnt vmcnt(1)
	v_mov_b32_e32 v6, 0
	v_mov_b32_e32 v7, 0
	;; [unrolled: 1-line block ×4, first 2 shown]
	s_waitcnt vmcnt(0)
	v_mov_b32_e32 v2, 0
	v_mov_b32_e32 v3, 0
	v_mov_b32_e32 v4, 0
	v_mov_b32_e32 v5, 0
	s_barrier
	s_and_saveexec_b64 s[2:3], vcc
	s_cbranch_execz .LBB838_26
; %bb.25:
	s_mul_hi_i32 s5, s22, s6
	s_mul_i32 s4, s22, s6
	s_and_b32 s13, s13, 0xffff
	s_lshl_b64 s[4:5], s[4:5], 1
	s_add_u32 s8, s30, s4
	s_mov_b32 s15, 0x20000
	s_addc_u32 s4, s31, s5
	s_and_b32 s9, s4, 0xffff
	s_mov_b32 s10, s14
	s_mov_b32 s11, s15
	buffer_load_dwordx4 v[14:17], v1, s[8:11], 0 offen
	buffer_load_dwordx4 v[10:13], v1, s[8:11], 16 offen
	;; [unrolled: 1-line block ×4, first 2 shown]
.LBB838_26:
	s_or_b64 exec, exec, s[2:3]
	v_mov_b32_e32 v19, 0
	v_mov_b32_e32 v32, 0
	v_mov_b32_e32 v33, 0
	v_mov_b32_e32 v30, 0
	v_mov_b32_e32 v31, 0
	v_mov_b32_e32 v28, 0
	v_mov_b32_e32 v29, 0
	v_mov_b32_e32 v26, 0
	v_mov_b32_e32 v27, 0
	v_mov_b32_e32 v24, 0
	v_mov_b32_e32 v25, 0
	v_mov_b32_e32 v22, 0
	v_mov_b32_e32 v23, 0
	v_mov_b32_e32 v20, 0
	v_mov_b32_e32 v21, 0
	s_and_saveexec_b64 s[2:3], vcc
	s_cbranch_execz .LBB838_28
; %bb.27:
	s_waitcnt vmcnt(3)
	v_cvt_f32_u32_sdwa v18, v14 dst_sel:DWORD dst_unused:UNUSED_PAD src0_sel:WORD_0
	v_cvt_f32_u32_sdwa v19, v14 dst_sel:DWORD dst_unused:UNUSED_PAD src0_sel:WORD_1
	v_cvt_f32_u32_sdwa v32, v15 dst_sel:DWORD dst_unused:UNUSED_PAD src0_sel:WORD_0
	v_cvt_f32_u32_sdwa v33, v15 dst_sel:DWORD dst_unused:UNUSED_PAD src0_sel:WORD_1
	;; [unrolled: 2-line block ×4, first 2 shown]
	s_waitcnt vmcnt(2)
	v_cvt_f32_u32_sdwa v26, v10 dst_sel:DWORD dst_unused:UNUSED_PAD src0_sel:WORD_0
	v_cvt_f32_u32_sdwa v27, v10 dst_sel:DWORD dst_unused:UNUSED_PAD src0_sel:WORD_1
	v_cvt_f32_u32_sdwa v24, v11 dst_sel:DWORD dst_unused:UNUSED_PAD src0_sel:WORD_0
	v_cvt_f32_u32_sdwa v25, v11 dst_sel:DWORD dst_unused:UNUSED_PAD src0_sel:WORD_1
	;; [unrolled: 2-line block ×4, first 2 shown]
.LBB838_28:
	s_or_b64 exec, exec, s[2:3]
	s_waitcnt vmcnt(2)
	v_mul_f32_e32 v10, v19, v19
	v_fmac_f32_e32 v10, v18, v18
	v_fmac_f32_e32 v10, v32, v32
	;; [unrolled: 1-line block ×15, first 2 shown]
	s_nop 1
	v_mov_b32_dpp v11, v10 quad_perm:[1,0,3,2] row_mask:0xf bank_mask:0xf
	v_add_f32_e32 v10, v10, v11
	s_nop 1
	v_mov_b32_dpp v11, v10 quad_perm:[2,3,0,1] row_mask:0xf bank_mask:0xf
	v_add_f32_e32 v10, v10, v11
	s_nop 1
	v_mov_b32_dpp v11, v10 row_half_mirror row_mask:0xf bank_mask:0xf
	v_add_f32_e32 v10, v10, v11
	s_nop 1
	v_mov_b32_dpp v11, v10 row_mirror row_mask:0xf bank_mask:0xf
	v_add_f32_e32 v10, v10, v11
	s_nop 1
	v_mov_b32_dpp v11, v10 row_bcast:15 row_mask:0xf bank_mask:0xf
	v_add_f32_e32 v10, v10, v11
	s_nop 1
	v_mov_b32_dpp v11, v10 row_bcast:31 row_mask:0xf bank_mask:0xf
	s_and_saveexec_b64 s[2:3], s[0:1]
	s_cbranch_execz .LBB838_30
; %bb.29:
	v_lshrrev_b32_e32 v0, 4, v0
	v_add_f32_e32 v10, v10, v11
	v_and_b32_e32 v0, 60, v0
	ds_write_b32 v0, v10
.LBB838_30:
	s_or_b64 exec, exec, s[2:3]
	s_waitcnt lgkmcnt(0)
	s_barrier
	ds_read_b32 v0, v34
	s_waitcnt lgkmcnt(0)
	s_nop 0
	v_mov_b32_dpp v10, v0 quad_perm:[1,0,3,2] row_mask:0xf bank_mask:0xf
	v_add_f32_e32 v0, v0, v10
	s_nop 1
	v_mov_b32_dpp v10, v0 quad_perm:[2,3,0,1] row_mask:0xf bank_mask:0xf
	s_and_saveexec_b64 s[0:1], vcc
	s_cbranch_execz .LBB838_12
; %bb.31:
	v_cvt_f32_u32_e32 v11, s20
	v_add_f32_e32 v0, v0, v10
	s_mov_b32 s15, 0x20000
	v_div_scale_f32 v10, s[0:1], v11, v11, v0
	v_rcp_f32_e32 v12, v10
	v_div_scale_f32 v13, vcc, v0, v11, v0
	s_mov_b32 s0, 0x800000
	v_fma_f32 v14, -v10, v12, 1.0
	v_fmac_f32_e32 v12, v14, v12
	v_mul_f32_e32 v14, v13, v12
	v_fma_f32 v15, -v10, v14, v13
	v_fmac_f32_e32 v14, v15, v12
	v_fma_f32 v10, -v10, v14, v13
	v_div_fmas_f32 v10, v10, v12, v14
	v_div_fixup_f32 v0, v10, v11, v0
	v_add_f32_e32 v0, s17, v0
	v_mul_f32_e32 v10, 0x4b800000, v0
	v_cmp_gt_f32_e32 vcc, s0, v0
	v_cndmask_b32_e32 v0, v0, v10, vcc
	v_rsq_f32_e32 v0, v0
	s_mul_hi_i32 s1, s7, s6
	s_mul_i32 s0, s7, s6
	s_lshl_b64 s[0:1], s[0:1], 1
	v_mul_f32_e32 v10, 0x45800000, v0
	v_cndmask_b32_e32 v10, v0, v10, vcc
	v_mov_b32_e32 v11, v10
	s_add_u32 s12, s28, s0
	;;#ASMSTART
	v_pk_mul_f32 v[12:13], v[18:19], v[10:11]
	;;#ASMEND
	;;#ASMSTART
	v_pk_mul_f32 v[14:15], v[32:33], v[10:11]
	;;#ASMEND
	;; [unrolled: 3-line block ×8, first 2 shown]
	s_waitcnt vmcnt(1)
	v_cvt_f32_u32_sdwa v21, v6 dst_sel:DWORD dst_unused:UNUSED_PAD src0_sel:WORD_1
	v_cvt_f32_u32_sdwa v20, v6 dst_sel:DWORD dst_unused:UNUSED_PAD src0_sel:WORD_0
	v_cvt_f32_u32_sdwa v29, v7 dst_sel:DWORD dst_unused:UNUSED_PAD src0_sel:WORD_1
	v_cvt_f32_u32_sdwa v28, v7 dst_sel:DWORD dst_unused:UNUSED_PAD src0_sel:WORD_0
	;; [unrolled: 2-line block ×3, first 2 shown]
	s_addc_u32 s0, s29, s1
	v_cvt_f32_u32_sdwa v31, v9 dst_sel:DWORD dst_unused:UNUSED_PAD src0_sel:WORD_1
	v_cvt_f32_u32_sdwa v30, v9 dst_sel:DWORD dst_unused:UNUSED_PAD src0_sel:WORD_0
	;;#ASMSTART
	v_pk_mul_f32 v[8:9], v[12:13], v[20:21]
	;;#ASMEND
	;;#ASMSTART
	v_pk_mul_f32 v[12:13], v[14:15], v[28:29]
	;;#ASMEND
	;; [unrolled: 3-line block ×4, first 2 shown]
	s_waitcnt vmcnt(0)
	v_cvt_f32_u32_sdwa v17, v2 dst_sel:DWORD dst_unused:UNUSED_PAD src0_sel:WORD_1
	v_cvt_f32_u32_sdwa v16, v2 dst_sel:DWORD dst_unused:UNUSED_PAD src0_sel:WORD_0
	v_cvt_f32_u32_sdwa v19, v3 dst_sel:DWORD dst_unused:UNUSED_PAD src0_sel:WORD_1
	v_cvt_f32_u32_sdwa v18, v3 dst_sel:DWORD dst_unused:UNUSED_PAD src0_sel:WORD_0
	v_cvt_f32_u32_sdwa v3, v4 dst_sel:DWORD dst_unused:UNUSED_PAD src0_sel:WORD_1
	v_cvt_f32_u32_sdwa v2, v4 dst_sel:DWORD dst_unused:UNUSED_PAD src0_sel:WORD_0
	s_and_b32 s13, s0, 0xffff
	s_mov_b32 s0, 0x7060302
	v_cvt_f32_u32_sdwa v21, v5 dst_sel:DWORD dst_unused:UNUSED_PAD src0_sel:WORD_1
	v_cvt_f32_u32_sdwa v20, v5 dst_sel:DWORD dst_unused:UNUSED_PAD src0_sel:WORD_0
	;;#ASMSTART
	v_pk_mul_f32 v[16:17], v[26:27], v[16:17]
	;;#ASMEND
	;;#ASMSTART
	v_pk_mul_f32 v[18:19], v[24:25], v[18:19]
	;;#ASMEND
	;; [unrolled: 3-line block ×3, first 2 shown]
	v_perm_b32 v2, v9, v8, s0
	v_perm_b32 v3, v13, v12, s0
	;; [unrolled: 1-line block ×4, first 2 shown]
	;;#ASMSTART
	v_pk_mul_f32 v[10:11], v[10:11], v[20:21]
	;;#ASMEND
	buffer_store_dwordx4 v[2:5], v1, s[12:15], 0 offen
	;;#ASMSTART
	s_nop 0
	;;#ASMEND
	s_nop 0
	v_perm_b32 v2, v17, v16, s0
	v_perm_b32 v3, v19, v18, s0
	;; [unrolled: 1-line block ×4, first 2 shown]
	buffer_store_dwordx4 v[2:5], v1, s[12:15], 16 offen
	;;#ASMSTART
	s_nop 0
	;;#ASMEND
	s_endpgm
	.section	.rodata,"a",@progbits
	.p2align	6, 0x0
	.amdhsa_kernel _ZN5aiter35fused_qk_rmsnorm_group_quant_kernelItDB8_Li256ELi16ELi4ELb0ELb0ELb0ELb0ELb0ELb0EEEvPT0_PvPT_S6_S6_PKS5_S8_S8_S8_S8_ffiiiiiiiiiiiii
		.amdhsa_group_segment_fixed_size 32
		.amdhsa_private_segment_fixed_size 0
		.amdhsa_kernarg_size 400
		.amdhsa_user_sgpr_count 6
		.amdhsa_user_sgpr_private_segment_buffer 1
		.amdhsa_user_sgpr_dispatch_ptr 0
		.amdhsa_user_sgpr_queue_ptr 0
		.amdhsa_user_sgpr_kernarg_segment_ptr 1
		.amdhsa_user_sgpr_dispatch_id 0
		.amdhsa_user_sgpr_flat_scratch_init 0
		.amdhsa_user_sgpr_kernarg_preload_length 0
		.amdhsa_user_sgpr_kernarg_preload_offset 0
		.amdhsa_user_sgpr_private_segment_size 0
		.amdhsa_uses_dynamic_stack 0
		.amdhsa_system_sgpr_private_segment_wavefront_offset 0
		.amdhsa_system_sgpr_workgroup_id_x 1
		.amdhsa_system_sgpr_workgroup_id_y 1
		.amdhsa_system_sgpr_workgroup_id_z 0
		.amdhsa_system_sgpr_workgroup_info 0
		.amdhsa_system_vgpr_workitem_id 0
		.amdhsa_next_free_vgpr 38
		.amdhsa_next_free_sgpr 32
		.amdhsa_accum_offset 40
		.amdhsa_reserve_vcc 1
		.amdhsa_reserve_flat_scratch 0
		.amdhsa_float_round_mode_32 0
		.amdhsa_float_round_mode_16_64 0
		.amdhsa_float_denorm_mode_32 3
		.amdhsa_float_denorm_mode_16_64 3
		.amdhsa_dx10_clamp 1
		.amdhsa_ieee_mode 1
		.amdhsa_fp16_overflow 0
		.amdhsa_tg_split 0
		.amdhsa_exception_fp_ieee_invalid_op 0
		.amdhsa_exception_fp_denorm_src 0
		.amdhsa_exception_fp_ieee_div_zero 0
		.amdhsa_exception_fp_ieee_overflow 0
		.amdhsa_exception_fp_ieee_underflow 0
		.amdhsa_exception_fp_ieee_inexact 0
		.amdhsa_exception_int_div_zero 0
	.end_amdhsa_kernel
	.section	.text._ZN5aiter35fused_qk_rmsnorm_group_quant_kernelItDB8_Li256ELi16ELi4ELb0ELb0ELb0ELb0ELb0ELb0EEEvPT0_PvPT_S6_S6_PKS5_S8_S8_S8_S8_ffiiiiiiiiiiiii,"axG",@progbits,_ZN5aiter35fused_qk_rmsnorm_group_quant_kernelItDB8_Li256ELi16ELi4ELb0ELb0ELb0ELb0ELb0ELb0EEEvPT0_PvPT_S6_S6_PKS5_S8_S8_S8_S8_ffiiiiiiiiiiiii,comdat
.Lfunc_end838:
	.size	_ZN5aiter35fused_qk_rmsnorm_group_quant_kernelItDB8_Li256ELi16ELi4ELb0ELb0ELb0ELb0ELb0ELb0EEEvPT0_PvPT_S6_S6_PKS5_S8_S8_S8_S8_ffiiiiiiiiiiiii, .Lfunc_end838-_ZN5aiter35fused_qk_rmsnorm_group_quant_kernelItDB8_Li256ELi16ELi4ELb0ELb0ELb0ELb0ELb0ELb0EEEvPT0_PvPT_S6_S6_PKS5_S8_S8_S8_S8_ffiiiiiiiiiiiii
                                        ; -- End function
	.section	.AMDGPU.csdata,"",@progbits
; Kernel info:
; codeLenInByte = 3440
; NumSgprs: 36
; NumVgprs: 38
; NumAgprs: 0
; TotalNumVgprs: 38
; ScratchSize: 0
; MemoryBound: 0
; FloatMode: 240
; IeeeMode: 1
; LDSByteSize: 32 bytes/workgroup (compile time only)
; SGPRBlocks: 4
; VGPRBlocks: 4
; NumSGPRsForWavesPerEU: 36
; NumVGPRsForWavesPerEU: 38
; AccumOffset: 40
; Occupancy: 8
; WaveLimiterHint : 0
; COMPUTE_PGM_RSRC2:SCRATCH_EN: 0
; COMPUTE_PGM_RSRC2:USER_SGPR: 6
; COMPUTE_PGM_RSRC2:TRAP_HANDLER: 0
; COMPUTE_PGM_RSRC2:TGID_X_EN: 1
; COMPUTE_PGM_RSRC2:TGID_Y_EN: 1
; COMPUTE_PGM_RSRC2:TGID_Z_EN: 0
; COMPUTE_PGM_RSRC2:TIDIG_COMP_CNT: 0
; COMPUTE_PGM_RSRC3_GFX90A:ACCUM_OFFSET: 9
; COMPUTE_PGM_RSRC3_GFX90A:TG_SPLIT: 0
	.section	.text._ZN5aiter35fused_qk_rmsnorm_group_quant_kernelIDF16_N4opus5fp4_tELi256ELi16ELi4ELb0ELb0ELb0ELb0ELb0ELb0EEEvPT0_PvPT_S7_S7_PKS6_S9_S9_S9_S9_ffiiiiiiiiiiiii,"axG",@progbits,_ZN5aiter35fused_qk_rmsnorm_group_quant_kernelIDF16_N4opus5fp4_tELi256ELi16ELi4ELb0ELb0ELb0ELb0ELb0ELb0EEEvPT0_PvPT_S7_S7_PKS6_S9_S9_S9_S9_ffiiiiiiiiiiiii,comdat
	.protected	_ZN5aiter35fused_qk_rmsnorm_group_quant_kernelIDF16_N4opus5fp4_tELi256ELi16ELi4ELb0ELb0ELb0ELb0ELb0ELb0EEEvPT0_PvPT_S7_S7_PKS6_S9_S9_S9_S9_ffiiiiiiiiiiiii ; -- Begin function _ZN5aiter35fused_qk_rmsnorm_group_quant_kernelIDF16_N4opus5fp4_tELi256ELi16ELi4ELb0ELb0ELb0ELb0ELb0ELb0EEEvPT0_PvPT_S7_S7_PKS6_S9_S9_S9_S9_ffiiiiiiiiiiiii
	.globl	_ZN5aiter35fused_qk_rmsnorm_group_quant_kernelIDF16_N4opus5fp4_tELi256ELi16ELi4ELb0ELb0ELb0ELb0ELb0ELb0EEEvPT0_PvPT_S7_S7_PKS6_S9_S9_S9_S9_ffiiiiiiiiiiiii
	.p2align	8
	.type	_ZN5aiter35fused_qk_rmsnorm_group_quant_kernelIDF16_N4opus5fp4_tELi256ELi16ELi4ELb0ELb0ELb0ELb0ELb0ELb0EEEvPT0_PvPT_S7_S7_PKS6_S9_S9_S9_S9_ffiiiiiiiiiiiii,@function
_ZN5aiter35fused_qk_rmsnorm_group_quant_kernelIDF16_N4opus5fp4_tELi256ELi16ELi4ELb0ELb0ELb0ELb0ELb0ELb0EEEvPT0_PvPT_S7_S7_PKS6_S9_S9_S9_S9_ffiiiiiiiiiiiii: ; @_ZN5aiter35fused_qk_rmsnorm_group_quant_kernelIDF16_N4opus5fp4_tELi256ELi16ELi4ELb0ELb0ELb0ELb0ELb0ELb0EEEvPT0_PvPT_S7_S7_PKS6_S9_S9_S9_S9_ffiiiiiiiiiiiii
; %bb.0:
	s_load_dwordx4 s[16:19], s[4:5], 0x50
	s_waitcnt lgkmcnt(0)
	s_cmp_ge_i32 s6, s18
	s_cbranch_scc1 .LBB839_12
; %bb.1:
	s_load_dwordx2 s[12:13], s[4:5], 0x48
	s_load_dwordx2 s[30:31], s[4:5], 0x30
	s_load_dwordx4 s[20:23], s[4:5], 0x60
	s_cmp_lg_u32 s7, 0
	s_cselect_b64 s[14:15], -1, 0
	s_cmp_eq_u32 s7, 0
	s_cselect_b64 vcc, -1, 0
	s_and_b64 s[0:1], vcc, exec
	s_waitcnt lgkmcnt(0)
	s_cselect_b32 s7, s19, s20
	s_add_i32 s0, s7, 1
	s_lshr_b32 s1, s0, 31
	s_add_i32 s0, s0, s1
	s_lshl_b32 s0, s0, 1
	v_lshlrev_b32_e32 v1, 4, v0
	s_and_b32 s10, s0, -4
	v_cmp_gt_i32_e64 s[2:3], s7, v1
	v_mov_b32_e32 v18, 0
	v_mov_b32_e32 v6, 0
	;; [unrolled: 1-line block ×17, first 2 shown]
	s_and_saveexec_b64 s[0:1], s[2:3]
	s_cbranch_execz .LBB839_3
; %bb.2:
	s_load_dwordx2 s[8:9], s[4:5], 0x28
	s_load_dwordx2 s[26:27], s[4:5], 0x40
	s_and_b64 s[24:25], vcc, exec
	s_cselect_b32 s11, s21, s22
	v_lshlrev_b32_e32 v19, 5, v0
	s_waitcnt lgkmcnt(0)
	s_cselect_b32 s18, s9, s31
	s_cselect_b32 s21, s8, s30
	s_mul_hi_i32 s9, s11, s6
	s_mul_i32 s8, s11, s6
	s_lshl_b64 s[8:9], s[8:9], 1
	s_add_u32 s24, s21, s8
	s_addc_u32 s18, s18, s9
	s_and_b64 s[8:9], vcc, exec
	s_mov_b32 s11, 0x20000
	s_cselect_b32 s8, s26, s12
	s_cselect_b32 s9, s27, s13
	s_and_b32 s25, s18, 0xffff
	s_mov_b32 s26, s10
	s_mov_b32 s27, s11
	s_and_b32 s9, s9, 0xffff
	buffer_load_dwordx4 v[14:17], v19, s[24:27], 0 offen
	buffer_load_dwordx4 v[10:13], v19, s[24:27], 16 offen
	;; [unrolled: 1-line block ×4, first 2 shown]
.LBB839_3:
	s_or_b64 exec, exec, s[0:1]
	v_mov_b32_e32 v19, 0
	v_mov_b32_e32 v24, 0
	;; [unrolled: 1-line block ×15, first 2 shown]
	s_and_saveexec_b64 s[0:1], s[2:3]
	s_cbranch_execz .LBB839_5
; %bb.4:
	s_waitcnt vmcnt(3)
	v_cvt_f32_f16_sdwa v19, v14 dst_sel:DWORD dst_unused:UNUSED_PAD src0_sel:WORD_1
	v_cvt_f32_f16_e32 v18, v14
	v_cvt_f32_f16_sdwa v25, v15 dst_sel:DWORD dst_unused:UNUSED_PAD src0_sel:WORD_1
	v_cvt_f32_f16_e32 v24, v15
	;; [unrolled: 2-line block ×4, first 2 shown]
	s_waitcnt vmcnt(2)
	v_cvt_f32_f16_sdwa v33, v10 dst_sel:DWORD dst_unused:UNUSED_PAD src0_sel:WORD_1
	v_cvt_f32_f16_e32 v32, v10
	v_cvt_f32_f16_sdwa v31, v11 dst_sel:DWORD dst_unused:UNUSED_PAD src0_sel:WORD_1
	v_cvt_f32_f16_e32 v30, v11
	;; [unrolled: 2-line block ×4, first 2 shown]
.LBB839_5:
	s_or_b64 exec, exec, s[0:1]
	s_waitcnt vmcnt(2)
	v_mul_f32_e32 v10, v19, v19
	v_fmac_f32_e32 v10, v18, v18
	v_fmac_f32_e32 v10, v24, v24
	v_fmac_f32_e32 v10, v25, v25
	v_fmac_f32_e32 v10, v20, v20
	v_fmac_f32_e32 v10, v21, v21
	v_fmac_f32_e32 v10, v22, v22
	v_fmac_f32_e32 v10, v23, v23
	v_fmac_f32_e32 v10, v32, v32
	v_fmac_f32_e32 v10, v33, v33
	v_fmac_f32_e32 v10, v30, v30
	v_fmac_f32_e32 v10, v31, v31
	v_fmac_f32_e32 v10, v26, v26
	v_fmac_f32_e32 v10, v27, v27
	v_fmac_f32_e32 v10, v28, v28
	v_fmac_f32_e32 v10, v29, v29
	v_and_b32_e32 v12, 63, v0
	v_cmp_eq_u32_e64 s[0:1], 63, v12
	v_mov_b32_dpp v11, v10 quad_perm:[1,0,3,2] row_mask:0xf bank_mask:0xf
	v_add_f32_e32 v10, v10, v11
	s_nop 1
	v_mov_b32_dpp v11, v10 quad_perm:[2,3,0,1] row_mask:0xf bank_mask:0xf
	v_add_f32_e32 v10, v10, v11
	s_nop 1
	v_mov_b32_dpp v11, v10 row_half_mirror row_mask:0xf bank_mask:0xf
	v_add_f32_e32 v10, v10, v11
	s_nop 1
	v_mov_b32_dpp v11, v10 row_mirror row_mask:0xf bank_mask:0xf
	v_add_f32_e32 v10, v10, v11
	s_nop 1
	v_mov_b32_dpp v11, v10 row_bcast:15 row_mask:0xf bank_mask:0xf
	v_add_f32_e32 v10, v10, v11
	s_nop 1
	v_mov_b32_dpp v11, v10 row_bcast:31 row_mask:0xf bank_mask:0xf
	s_and_saveexec_b64 s[8:9], s[0:1]
	s_cbranch_execz .LBB839_7
; %bb.6:
	v_add_f32_e32 v10, v10, v11
	v_lshrrev_b32_e32 v11, 4, v0
	v_and_b32_e32 v11, 60, v11
	ds_write_b32 v11, v10 offset:16
.LBB839_7:
	s_or_b64 exec, exec, s[8:9]
	v_and_b32_e32 v10, 3, v0
	v_lshlrev_b32_e32 v34, 2, v10
	s_waitcnt lgkmcnt(0)
	s_barrier
	ds_read_b32 v11, v34 offset:16
	s_load_dwordx2 s[28:29], s[4:5], 0x18
	s_waitcnt lgkmcnt(0)
	v_mov_b32_dpp v12, v11 quad_perm:[1,0,3,2] row_mask:0xf bank_mask:0xf
	v_add_f32_e32 v11, v11, v12
	s_nop 1
	v_mov_b32_dpp v12, v11 quad_perm:[2,3,0,1] row_mask:0xf bank_mask:0xf
	s_and_saveexec_b64 s[8:9], s[2:3]
	s_cbranch_execz .LBB839_9
; %bb.8:
	v_cvt_f32_u32_e32 v13, s7
	v_add_f32_e32 v11, v11, v12
	v_mov_b32_e32 v15, s17
	v_mov_b32_e32 v16, s16
	v_div_scale_f32 v12, s[24:25], v13, v13, v11
	v_rcp_f32_e32 v14, v12
	v_cndmask_b32_e32 v15, v15, v16, vcc
	s_mov_b32 s7, 0x800000
	v_fma_f32 v16, -v12, v14, 1.0
	v_fmac_f32_e32 v14, v16, v14
	v_div_scale_f32 v16, vcc, v11, v13, v11
	v_mul_f32_e32 v17, v16, v14
	v_fma_f32 v35, -v12, v17, v16
	v_fmac_f32_e32 v17, v35, v14
	v_fma_f32 v12, -v12, v17, v16
	v_div_fmas_f32 v12, v12, v14, v17
	v_div_fixup_f32 v11, v12, v13, v11
	v_add_f32_e32 v11, v15, v11
	v_mul_f32_e32 v12, 0x4b800000, v11
	v_cmp_gt_f32_e32 vcc, s7, v11
	v_cndmask_b32_e32 v11, v11, v12, vcc
	v_rsq_f32_e32 v11, v11
	v_mul_f32_e32 v12, 0x45800000, v11
	v_cndmask_b32_e32 v12, v11, v12, vcc
	v_mov_b32_e32 v13, v12
	;;#ASMSTART
	v_pk_mul_f32 v[14:15], v[18:19], v[12:13]
	;;#ASMEND
	;;#ASMSTART
	v_pk_mul_f32 v[16:17], v[24:25], v[12:13]
	;;#ASMEND
	;; [unrolled: 3-line block ×8, first 2 shown]
	s_waitcnt vmcnt(1)
	v_cvt_f32_f16_sdwa v19, v6 dst_sel:DWORD dst_unused:UNUSED_PAD src0_sel:WORD_1
	v_cvt_f32_f16_e32 v18, v6
	v_cvt_f32_f16_sdwa v25, v7 dst_sel:DWORD dst_unused:UNUSED_PAD src0_sel:WORD_1
	v_cvt_f32_f16_e32 v24, v7
	v_cvt_f32_f16_sdwa v7, v8 dst_sel:DWORD dst_unused:UNUSED_PAD src0_sel:WORD_1
	v_cvt_f32_f16_e32 v6, v8
	v_cvt_f32_f16_sdwa v29, v9 dst_sel:DWORD dst_unused:UNUSED_PAD src0_sel:WORD_1
	v_cvt_f32_f16_e32 v28, v9
	;;#ASMSTART
	v_pk_mul_f32 v[18:19], v[14:15], v[18:19]
	;;#ASMEND
	;;#ASMSTART
	v_pk_mul_f32 v[24:25], v[16:17], v[24:25]
	;;#ASMEND
	;; [unrolled: 3-line block ×4, first 2 shown]
	s_waitcnt vmcnt(0)
	v_cvt_f32_f16_sdwa v7, v2 dst_sel:DWORD dst_unused:UNUSED_PAD src0_sel:WORD_1
	v_cvt_f32_f16_e32 v6, v2
	v_cvt_f32_f16_sdwa v9, v3 dst_sel:DWORD dst_unused:UNUSED_PAD src0_sel:WORD_1
	v_cvt_f32_f16_e32 v8, v3
	;; [unrolled: 2-line block ×4, first 2 shown]
	;;#ASMSTART
	v_pk_mul_f32 v[32:33], v[32:33], v[6:7]
	;;#ASMEND
	;;#ASMSTART
	v_pk_mul_f32 v[30:31], v[30:31], v[8:9]
	;;#ASMEND
	;; [unrolled: 3-line block ×4, first 2 shown]
.LBB839_9:
	s_or_b64 exec, exec, s[8:9]
	s_load_dword s7, s[4:5], 0x80
	s_mov_b64 s[8:9], -1
	s_and_b64 vcc, exec, s[14:15]
	s_cbranch_vccnz .LBB839_13
; %bb.10:
	s_andn2_b64 vcc, exec, s[8:9]
	s_cbranch_vccz .LBB839_16
.LBB839_11:
	s_cmp_lt_i32 s20, 1
	s_cbranch_scc0 .LBB839_23
.LBB839_12:
	s_endpgm
.LBB839_13:
	s_and_saveexec_b64 s[14:15], s[2:3]
	s_cbranch_execz .LBB839_15
; %bb.14:
	s_waitcnt lgkmcnt(0)
	s_mul_hi_i32 s9, s7, s6
	s_mul_i32 s8, s7, s6
	s_waitcnt vmcnt(0)
	v_cvt_f16_f32_e32 v2, v18
	v_cvt_f16_f32_e32 v3, v24
	;; [unrolled: 1-line block ×8, first 2 shown]
	s_lshl_b64 s[8:9], s[8:9], 1
	s_add_u32 s8, s28, s8
	s_addc_u32 s9, s29, s9
	s_and_b32 s9, s9, 0xffff
	s_mov_b32 s11, 0x20000
	v_pack_b32_f16 v5, v5, v6
	v_pack_b32_f16 v4, v4, v7
	;; [unrolled: 1-line block ×4, first 2 shown]
	v_lshlrev_b32_e32 v6, 5, v0
	buffer_store_dwordx4 v[2:5], v6, s[8:11], 0 offen
	v_cvt_f16_f32_e32 v7, v29
	v_cvt_f16_f32_e32 v2, v32
	;; [unrolled: 1-line block ×8, first 2 shown]
	v_pack_b32_f16 v5, v5, v7
	v_pack_b32_f16 v4, v4, v8
	;; [unrolled: 1-line block ×4, first 2 shown]
	;;#ASMSTART
	s_nop 0
	;;#ASMEND
	buffer_store_dwordx4 v[2:5], v6, s[8:11], 16 offen
	;;#ASMSTART
	s_nop 0
	;;#ASMEND
.LBB839_15:
	s_or_b64 exec, exec, s[14:15]
	s_cbranch_execnz .LBB839_11
.LBB839_16:
	s_waitcnt vmcnt(0)
	v_mov_b32_e32 v2, 0
	s_and_saveexec_b64 s[8:9], s[2:3]
	s_cbranch_execz .LBB839_18
; %bb.17:
	v_and_b32_e32 v2, 0x7fffffff, v18
	v_and_b32_e32 v3, 0x7fffffff, v19
	v_mov_b32_e32 v4, 0x2edbe6ff
	;;#ASMSTART
	v_max3_f32 v2, v4, v2, v3

	;;#ASMEND
	v_and_b32_e32 v3, 0x7fffffff, v24
	v_and_b32_e32 v4, 0x7fffffff, v25
	;;#ASMSTART
	v_max3_f32 v2, v2, v3, v4

	;;#ASMEND
	v_and_b32_e32 v3, 0x7fffffff, v20
	v_and_b32_e32 v4, 0x7fffffff, v21
	;; [unrolled: 6-line block ×7, first 2 shown]
	;;#ASMSTART
	v_max3_f32 v2, v2, v3, v4

	;;#ASMEND
.LBB839_18:
	s_or_b64 exec, exec, s[8:9]
	s_load_dwordx4 s[24:27], s[4:5], 0x70
	v_cmp_eq_u32_e32 vcc, 0, v10
	v_cmp_gt_i32_e64 s[8:9], s19, v1
	s_and_b64 s[10:11], vcc, s[8:9]
	;;#ASMSTART
	v_max_f32 v3, v2, v2 quad_perm:[1,0,3,2] row_mask:0xf bank_mask:0xf bound_ctrl:1
	;;#ASMEND
	;;#ASMSTART
	v_max_f32 v2, v3, v3 quad_perm:[2,3,0,1] row_mask:0xf bank_mask:0xf bound_ctrl:1
	;;#ASMEND
	s_and_saveexec_b64 s[8:9], s[10:11]
	s_cbranch_execz .LBB839_20
; %bb.19:
	s_load_dwordx2 s[10:11], s[4:5], 0x8
	v_mul_f32_e32 v2, 0x3e2aaaab, v2
	v_lshrrev_b32_e32 v3, 23, v2
	v_and_b32_e32 v4, 0x7f800000, v2
	v_and_b32_e32 v2, 0x7fffff, v2
	v_cmp_ne_u32_e32 vcc, 0, v2
	s_waitcnt lgkmcnt(0)
	s_mul_i32 s16, s25, s6
	s_mov_b32 s14, 0x7f800000
	v_addc_co_u32_e32 v2, vcc, 0, v3, vcc
	s_mul_hi_i32 s15, s25, s6
	s_add_u32 s10, s10, s16
	v_cmp_ne_u32_e32 vcc, s14, v4
	s_addc_u32 s11, s11, s15
	v_lshrrev_b32_e32 v5, 2, v0
	v_cndmask_b32_e32 v4, -1, v2, vcc
	v_pk_mov_b32 v[2:3], s[10:11], s[10:11] op_sel:[0,1]
	v_mad_i64_i32 v[2:3], s[10:11], s26, v5, v[2:3]
	global_store_byte v[2:3], v4, off
.LBB839_20:
	s_or_b64 exec, exec, s[8:9]
	s_and_saveexec_b64 s[8:9], s[2:3]
	s_cbranch_execz .LBB839_22
; %bb.21:
	s_load_dwordx2 s[2:3], s[4:5], 0x0
	s_waitcnt lgkmcnt(0)
	s_mul_i32 s11, s24, s6
	s_mul_hi_i32 s10, s24, s6
	v_mov_b32_e32 v2, 0
	v_lshlrev_b32_e32 v4, 3, v0
	s_add_u32 s24, s2, s11
	s_addc_u32 s2, s3, s10
	s_lshr_b32 s3, s19, 31
	s_add_i32 s3, s19, s3
	s_ashr_i32 s3, s3, 1
	s_add_i32 s3, s3, 3
	s_ashr_i32 s10, s3, 31
	s_lshr_b32 s10, s10, 30
	s_add_i32 s3, s3, s10
	s_and_b32 s26, s3, -4
	s_and_b32 s25, s2, 0xffff
	s_mov_b32 s27, 0x20000
	v_mov_b32_e32 v3, v2
	buffer_store_dwordx2 v[2:3], v4, s[24:27], 0 offen
	;;#ASMSTART
	s_nop 0
	;;#ASMEND
.LBB839_22:
	s_or_b64 exec, exec, s[8:9]
	s_cmp_lt_i32 s20, 1
	s_cbranch_scc1 .LBB839_12
.LBB839_23:
	s_load_dword s2, s[4:5], 0x94
	s_waitcnt lgkmcnt(0)
	s_cmp_lg_u32 s2, 1
	s_cbranch_scc1 .LBB839_12
; %bb.24:
	s_lshl_b32 s2, s20, 1
	s_add_i32 s2, s2, 2
	v_cmp_gt_u32_e32 vcc, s20, v1
	s_and_b32 s14, s2, -4
	v_mov_b32_e32 v18, 0
	v_lshlrev_b32_e32 v1, 5, v0
	v_mov_b32_e32 v14, 0
	v_mov_b32_e32 v15, 0
	;; [unrolled: 1-line block ×8, first 2 shown]
	s_waitcnt vmcnt(1)
	v_mov_b32_e32 v6, 0
	v_mov_b32_e32 v7, 0
	;; [unrolled: 1-line block ×4, first 2 shown]
	s_waitcnt vmcnt(0)
	v_mov_b32_e32 v2, 0
	v_mov_b32_e32 v3, 0
	;; [unrolled: 1-line block ×4, first 2 shown]
	s_barrier
	s_and_saveexec_b64 s[2:3], vcc
	s_cbranch_execz .LBB839_26
; %bb.25:
	s_mul_hi_i32 s5, s22, s6
	s_mul_i32 s4, s22, s6
	s_and_b32 s13, s13, 0xffff
	s_lshl_b64 s[4:5], s[4:5], 1
	s_add_u32 s8, s30, s4
	s_mov_b32 s15, 0x20000
	s_addc_u32 s4, s31, s5
	s_and_b32 s9, s4, 0xffff
	s_mov_b32 s10, s14
	s_mov_b32 s11, s15
	buffer_load_dwordx4 v[14:17], v1, s[8:11], 0 offen
	buffer_load_dwordx4 v[10:13], v1, s[8:11], 16 offen
	;; [unrolled: 1-line block ×4, first 2 shown]
.LBB839_26:
	s_or_b64 exec, exec, s[2:3]
	v_mov_b32_e32 v19, 0
	v_mov_b32_e32 v32, 0
	;; [unrolled: 1-line block ×15, first 2 shown]
	s_and_saveexec_b64 s[2:3], vcc
	s_cbranch_execz .LBB839_28
; %bb.27:
	s_waitcnt vmcnt(3)
	v_cvt_f32_f16_sdwa v19, v14 dst_sel:DWORD dst_unused:UNUSED_PAD src0_sel:WORD_1
	v_cvt_f32_f16_e32 v18, v14
	v_cvt_f32_f16_sdwa v33, v15 dst_sel:DWORD dst_unused:UNUSED_PAD src0_sel:WORD_1
	v_cvt_f32_f16_e32 v32, v15
	;; [unrolled: 2-line block ×4, first 2 shown]
	s_waitcnt vmcnt(2)
	v_cvt_f32_f16_sdwa v27, v10 dst_sel:DWORD dst_unused:UNUSED_PAD src0_sel:WORD_1
	v_cvt_f32_f16_e32 v26, v10
	v_cvt_f32_f16_sdwa v25, v11 dst_sel:DWORD dst_unused:UNUSED_PAD src0_sel:WORD_1
	v_cvt_f32_f16_e32 v24, v11
	;; [unrolled: 2-line block ×4, first 2 shown]
.LBB839_28:
	s_or_b64 exec, exec, s[2:3]
	s_waitcnt vmcnt(2)
	v_mul_f32_e32 v10, v19, v19
	v_fmac_f32_e32 v10, v18, v18
	v_fmac_f32_e32 v10, v32, v32
	;; [unrolled: 1-line block ×15, first 2 shown]
	s_nop 1
	v_mov_b32_dpp v11, v10 quad_perm:[1,0,3,2] row_mask:0xf bank_mask:0xf
	v_add_f32_e32 v10, v10, v11
	s_nop 1
	v_mov_b32_dpp v11, v10 quad_perm:[2,3,0,1] row_mask:0xf bank_mask:0xf
	v_add_f32_e32 v10, v10, v11
	s_nop 1
	v_mov_b32_dpp v11, v10 row_half_mirror row_mask:0xf bank_mask:0xf
	v_add_f32_e32 v10, v10, v11
	s_nop 1
	v_mov_b32_dpp v11, v10 row_mirror row_mask:0xf bank_mask:0xf
	v_add_f32_e32 v10, v10, v11
	s_nop 1
	v_mov_b32_dpp v11, v10 row_bcast:15 row_mask:0xf bank_mask:0xf
	v_add_f32_e32 v10, v10, v11
	s_nop 1
	v_mov_b32_dpp v11, v10 row_bcast:31 row_mask:0xf bank_mask:0xf
	s_and_saveexec_b64 s[2:3], s[0:1]
	s_cbranch_execz .LBB839_30
; %bb.29:
	v_lshrrev_b32_e32 v0, 4, v0
	v_add_f32_e32 v10, v10, v11
	v_and_b32_e32 v0, 60, v0
	ds_write_b32 v0, v10
.LBB839_30:
	s_or_b64 exec, exec, s[2:3]
	s_waitcnt lgkmcnt(0)
	s_barrier
	ds_read_b32 v0, v34
	s_waitcnt lgkmcnt(0)
	s_nop 0
	v_mov_b32_dpp v10, v0 quad_perm:[1,0,3,2] row_mask:0xf bank_mask:0xf
	v_add_f32_e32 v0, v0, v10
	s_nop 1
	v_mov_b32_dpp v10, v0 quad_perm:[2,3,0,1] row_mask:0xf bank_mask:0xf
	s_and_saveexec_b64 s[0:1], vcc
	s_cbranch_execz .LBB839_12
; %bb.31:
	v_cvt_f32_u32_e32 v11, s20
	v_add_f32_e32 v0, v0, v10
	s_mov_b32 s15, 0x20000
	v_div_scale_f32 v10, s[0:1], v11, v11, v0
	v_rcp_f32_e32 v12, v10
	v_div_scale_f32 v13, vcc, v0, v11, v0
	s_mov_b32 s0, 0x800000
	v_fma_f32 v14, -v10, v12, 1.0
	v_fmac_f32_e32 v12, v14, v12
	v_mul_f32_e32 v14, v13, v12
	v_fma_f32 v15, -v10, v14, v13
	v_fmac_f32_e32 v14, v15, v12
	v_fma_f32 v10, -v10, v14, v13
	v_div_fmas_f32 v10, v10, v12, v14
	v_div_fixup_f32 v0, v10, v11, v0
	v_add_f32_e32 v0, s17, v0
	v_mul_f32_e32 v10, 0x4b800000, v0
	v_cmp_gt_f32_e32 vcc, s0, v0
	v_cndmask_b32_e32 v0, v0, v10, vcc
	v_rsq_f32_e32 v0, v0
	s_mul_hi_i32 s1, s7, s6
	s_mul_i32 s0, s7, s6
	s_lshl_b64 s[0:1], s[0:1], 1
	v_mul_f32_e32 v10, 0x45800000, v0
	v_cndmask_b32_e32 v10, v0, v10, vcc
	v_mov_b32_e32 v11, v10
	;;#ASMSTART
	v_pk_mul_f32 v[12:13], v[18:19], v[10:11]
	;;#ASMEND
	;;#ASMSTART
	v_pk_mul_f32 v[14:15], v[32:33], v[10:11]
	;;#ASMEND
	;; [unrolled: 3-line block ×8, first 2 shown]
	s_waitcnt vmcnt(1)
	v_cvt_f32_f16_sdwa v21, v6 dst_sel:DWORD dst_unused:UNUSED_PAD src0_sel:WORD_1
	v_cvt_f32_f16_e32 v20, v6
	v_cvt_f32_f16_sdwa v29, v7 dst_sel:DWORD dst_unused:UNUSED_PAD src0_sel:WORD_1
	v_cvt_f32_f16_e32 v28, v7
	;; [unrolled: 2-line block ×4, first 2 shown]
	;;#ASMSTART
	v_pk_mul_f32 v[8:9], v[12:13], v[20:21]
	;;#ASMEND
	;;#ASMSTART
	v_pk_mul_f32 v[12:13], v[14:15], v[28:29]
	;;#ASMEND
	;; [unrolled: 3-line block ×4, first 2 shown]
	s_waitcnt vmcnt(0)
	v_cvt_f32_f16_sdwa v17, v2 dst_sel:DWORD dst_unused:UNUSED_PAD src0_sel:WORD_1
	v_cvt_f32_f16_e32 v16, v2
	v_cvt_f32_f16_sdwa v19, v3 dst_sel:DWORD dst_unused:UNUSED_PAD src0_sel:WORD_1
	v_cvt_f32_f16_e32 v18, v3
	;; [unrolled: 2-line block ×4, first 2 shown]
	;;#ASMSTART
	v_pk_mul_f32 v[16:17], v[26:27], v[16:17]
	;;#ASMEND
	;;#ASMSTART
	v_pk_mul_f32 v[18:19], v[24:25], v[18:19]
	;;#ASMEND
	;; [unrolled: 3-line block ×3, first 2 shown]
	v_cvt_f16_f32_e32 v0, v8
	v_cvt_f16_f32_e32 v2, v9
	;; [unrolled: 1-line block ×8, first 2 shown]
	s_add_u32 s12, s28, s0
	s_addc_u32 s0, s29, s1
	s_and_b32 s13, s0, 0xffff
	v_pack_b32_f16 v2, v0, v2
	v_pack_b32_f16 v3, v3, v4
	v_pack_b32_f16 v4, v5, v6
	v_pack_b32_f16 v5, v7, v8
	;;#ASMSTART
	v_pk_mul_f32 v[10:11], v[10:11], v[20:21]
	;;#ASMEND
	buffer_store_dwordx4 v[2:5], v1, s[12:15], 0 offen
	v_cvt_f16_f32_e32 v0, v16
	v_cvt_f16_f32_e32 v2, v17
	v_cvt_f16_f32_e32 v3, v18
	v_cvt_f16_f32_e32 v4, v19
	v_cvt_f16_f32_e32 v5, v22
	v_cvt_f16_f32_e32 v6, v23
	v_cvt_f16_f32_e32 v7, v10
	v_cvt_f16_f32_e32 v8, v11
	v_pack_b32_f16 v2, v0, v2
	v_pack_b32_f16 v3, v3, v4
	;; [unrolled: 1-line block ×4, first 2 shown]
	;;#ASMSTART
	s_nop 0
	;;#ASMEND
	buffer_store_dwordx4 v[2:5], v1, s[12:15], 16 offen
	;;#ASMSTART
	s_nop 0
	;;#ASMEND
	s_endpgm
	.section	.rodata,"a",@progbits
	.p2align	6, 0x0
	.amdhsa_kernel _ZN5aiter35fused_qk_rmsnorm_group_quant_kernelIDF16_N4opus5fp4_tELi256ELi16ELi4ELb0ELb0ELb0ELb0ELb0ELb0EEEvPT0_PvPT_S7_S7_PKS6_S9_S9_S9_S9_ffiiiiiiiiiiiii
		.amdhsa_group_segment_fixed_size 32
		.amdhsa_private_segment_fixed_size 0
		.amdhsa_kernarg_size 400
		.amdhsa_user_sgpr_count 6
		.amdhsa_user_sgpr_private_segment_buffer 1
		.amdhsa_user_sgpr_dispatch_ptr 0
		.amdhsa_user_sgpr_queue_ptr 0
		.amdhsa_user_sgpr_kernarg_segment_ptr 1
		.amdhsa_user_sgpr_dispatch_id 0
		.amdhsa_user_sgpr_flat_scratch_init 0
		.amdhsa_user_sgpr_kernarg_preload_length 0
		.amdhsa_user_sgpr_kernarg_preload_offset 0
		.amdhsa_user_sgpr_private_segment_size 0
		.amdhsa_uses_dynamic_stack 0
		.amdhsa_system_sgpr_private_segment_wavefront_offset 0
		.amdhsa_system_sgpr_workgroup_id_x 1
		.amdhsa_system_sgpr_workgroup_id_y 1
		.amdhsa_system_sgpr_workgroup_id_z 0
		.amdhsa_system_sgpr_workgroup_info 0
		.amdhsa_system_vgpr_workitem_id 0
		.amdhsa_next_free_vgpr 36
		.amdhsa_next_free_sgpr 32
		.amdhsa_accum_offset 36
		.amdhsa_reserve_vcc 1
		.amdhsa_reserve_flat_scratch 0
		.amdhsa_float_round_mode_32 0
		.amdhsa_float_round_mode_16_64 0
		.amdhsa_float_denorm_mode_32 3
		.amdhsa_float_denorm_mode_16_64 3
		.amdhsa_dx10_clamp 1
		.amdhsa_ieee_mode 1
		.amdhsa_fp16_overflow 0
		.amdhsa_tg_split 0
		.amdhsa_exception_fp_ieee_invalid_op 0
		.amdhsa_exception_fp_denorm_src 0
		.amdhsa_exception_fp_ieee_div_zero 0
		.amdhsa_exception_fp_ieee_overflow 0
		.amdhsa_exception_fp_ieee_underflow 0
		.amdhsa_exception_fp_ieee_inexact 0
		.amdhsa_exception_int_div_zero 0
	.end_amdhsa_kernel
	.section	.text._ZN5aiter35fused_qk_rmsnorm_group_quant_kernelIDF16_N4opus5fp4_tELi256ELi16ELi4ELb0ELb0ELb0ELb0ELb0ELb0EEEvPT0_PvPT_S7_S7_PKS6_S9_S9_S9_S9_ffiiiiiiiiiiiii,"axG",@progbits,_ZN5aiter35fused_qk_rmsnorm_group_quant_kernelIDF16_N4opus5fp4_tELi256ELi16ELi4ELb0ELb0ELb0ELb0ELb0ELb0EEEvPT0_PvPT_S7_S7_PKS6_S9_S9_S9_S9_ffiiiiiiiiiiiii,comdat
.Lfunc_end839:
	.size	_ZN5aiter35fused_qk_rmsnorm_group_quant_kernelIDF16_N4opus5fp4_tELi256ELi16ELi4ELb0ELb0ELb0ELb0ELb0ELb0EEEvPT0_PvPT_S7_S7_PKS6_S9_S9_S9_S9_ffiiiiiiiiiiiii, .Lfunc_end839-_ZN5aiter35fused_qk_rmsnorm_group_quant_kernelIDF16_N4opus5fp4_tELi256ELi16ELi4ELb0ELb0ELb0ELb0ELb0ELb0EEEvPT0_PvPT_S7_S7_PKS6_S9_S9_S9_S9_ffiiiiiiiiiiiii
                                        ; -- End function
	.section	.AMDGPU.csdata,"",@progbits
; Kernel info:
; codeLenInByte = 3108
; NumSgprs: 36
; NumVgprs: 36
; NumAgprs: 0
; TotalNumVgprs: 36
; ScratchSize: 0
; MemoryBound: 0
; FloatMode: 240
; IeeeMode: 1
; LDSByteSize: 32 bytes/workgroup (compile time only)
; SGPRBlocks: 4
; VGPRBlocks: 4
; NumSGPRsForWavesPerEU: 36
; NumVGPRsForWavesPerEU: 36
; AccumOffset: 36
; Occupancy: 8
; WaveLimiterHint : 0
; COMPUTE_PGM_RSRC2:SCRATCH_EN: 0
; COMPUTE_PGM_RSRC2:USER_SGPR: 6
; COMPUTE_PGM_RSRC2:TRAP_HANDLER: 0
; COMPUTE_PGM_RSRC2:TGID_X_EN: 1
; COMPUTE_PGM_RSRC2:TGID_Y_EN: 1
; COMPUTE_PGM_RSRC2:TGID_Z_EN: 0
; COMPUTE_PGM_RSRC2:TIDIG_COMP_CNT: 0
; COMPUTE_PGM_RSRC3_GFX90A:ACCUM_OFFSET: 8
; COMPUTE_PGM_RSRC3_GFX90A:TG_SPLIT: 0
	.section	.text._ZN5aiter35fused_qk_rmsnorm_group_quant_kernelItN4opus5fp4_tELi256ELi16ELi4ELb0ELb0ELb0ELb0ELb0ELb0EEEvPT0_PvPT_S7_S7_PKS6_S9_S9_S9_S9_ffiiiiiiiiiiiii,"axG",@progbits,_ZN5aiter35fused_qk_rmsnorm_group_quant_kernelItN4opus5fp4_tELi256ELi16ELi4ELb0ELb0ELb0ELb0ELb0ELb0EEEvPT0_PvPT_S7_S7_PKS6_S9_S9_S9_S9_ffiiiiiiiiiiiii,comdat
	.protected	_ZN5aiter35fused_qk_rmsnorm_group_quant_kernelItN4opus5fp4_tELi256ELi16ELi4ELb0ELb0ELb0ELb0ELb0ELb0EEEvPT0_PvPT_S7_S7_PKS6_S9_S9_S9_S9_ffiiiiiiiiiiiii ; -- Begin function _ZN5aiter35fused_qk_rmsnorm_group_quant_kernelItN4opus5fp4_tELi256ELi16ELi4ELb0ELb0ELb0ELb0ELb0ELb0EEEvPT0_PvPT_S7_S7_PKS6_S9_S9_S9_S9_ffiiiiiiiiiiiii
	.globl	_ZN5aiter35fused_qk_rmsnorm_group_quant_kernelItN4opus5fp4_tELi256ELi16ELi4ELb0ELb0ELb0ELb0ELb0ELb0EEEvPT0_PvPT_S7_S7_PKS6_S9_S9_S9_S9_ffiiiiiiiiiiiii
	.p2align	8
	.type	_ZN5aiter35fused_qk_rmsnorm_group_quant_kernelItN4opus5fp4_tELi256ELi16ELi4ELb0ELb0ELb0ELb0ELb0ELb0EEEvPT0_PvPT_S7_S7_PKS6_S9_S9_S9_S9_ffiiiiiiiiiiiii,@function
_ZN5aiter35fused_qk_rmsnorm_group_quant_kernelItN4opus5fp4_tELi256ELi16ELi4ELb0ELb0ELb0ELb0ELb0ELb0EEEvPT0_PvPT_S7_S7_PKS6_S9_S9_S9_S9_ffiiiiiiiiiiiii: ; @_ZN5aiter35fused_qk_rmsnorm_group_quant_kernelItN4opus5fp4_tELi256ELi16ELi4ELb0ELb0ELb0ELb0ELb0ELb0EEEvPT0_PvPT_S7_S7_PKS6_S9_S9_S9_S9_ffiiiiiiiiiiiii
; %bb.0:
	s_load_dwordx4 s[16:19], s[4:5], 0x50
	s_waitcnt lgkmcnt(0)
	s_cmp_ge_i32 s6, s18
	s_cbranch_scc1 .LBB840_12
; %bb.1:
	s_load_dwordx2 s[12:13], s[4:5], 0x48
	s_load_dwordx2 s[30:31], s[4:5], 0x30
	s_load_dwordx4 s[20:23], s[4:5], 0x60
	s_cmp_lg_u32 s7, 0
	s_cselect_b64 s[14:15], -1, 0
	s_cmp_eq_u32 s7, 0
	s_cselect_b64 vcc, -1, 0
	s_and_b64 s[0:1], vcc, exec
	s_waitcnt lgkmcnt(0)
	s_cselect_b32 s7, s19, s20
	s_add_i32 s0, s7, 1
	s_lshr_b32 s1, s0, 31
	s_add_i32 s0, s0, s1
	s_lshl_b32 s0, s0, 1
	v_lshlrev_b32_e32 v1, 4, v0
	s_and_b32 s10, s0, -4
	v_cmp_gt_i32_e64 s[2:3], s7, v1
	v_mov_b32_e32 v18, 0
	v_mov_b32_e32 v6, 0
	;; [unrolled: 1-line block ×17, first 2 shown]
	s_and_saveexec_b64 s[0:1], s[2:3]
	s_cbranch_execz .LBB840_3
; %bb.2:
	s_load_dwordx2 s[8:9], s[4:5], 0x28
	s_load_dwordx2 s[26:27], s[4:5], 0x40
	s_and_b64 s[24:25], vcc, exec
	s_cselect_b32 s11, s21, s22
	v_lshlrev_b32_e32 v19, 5, v0
	s_waitcnt lgkmcnt(0)
	s_cselect_b32 s18, s9, s31
	s_cselect_b32 s21, s8, s30
	s_mul_hi_i32 s9, s11, s6
	s_mul_i32 s8, s11, s6
	s_lshl_b64 s[8:9], s[8:9], 1
	s_add_u32 s24, s21, s8
	s_addc_u32 s18, s18, s9
	s_and_b64 s[8:9], vcc, exec
	s_mov_b32 s11, 0x20000
	s_cselect_b32 s8, s26, s12
	s_cselect_b32 s9, s27, s13
	s_and_b32 s25, s18, 0xffff
	s_mov_b32 s26, s10
	s_mov_b32 s27, s11
	s_and_b32 s9, s9, 0xffff
	buffer_load_dwordx4 v[14:17], v19, s[24:27], 0 offen
	buffer_load_dwordx4 v[10:13], v19, s[24:27], 16 offen
	;; [unrolled: 1-line block ×4, first 2 shown]
.LBB840_3:
	s_or_b64 exec, exec, s[0:1]
	v_mov_b32_e32 v19, 0
	v_mov_b32_e32 v24, 0
	;; [unrolled: 1-line block ×15, first 2 shown]
	s_and_saveexec_b64 s[0:1], s[2:3]
	s_cbranch_execz .LBB840_5
; %bb.4:
	s_waitcnt vmcnt(3)
	v_cvt_f32_u32_sdwa v18, v14 dst_sel:DWORD dst_unused:UNUSED_PAD src0_sel:WORD_0
	v_cvt_f32_u32_sdwa v19, v14 dst_sel:DWORD dst_unused:UNUSED_PAD src0_sel:WORD_1
	v_cvt_f32_u32_sdwa v24, v15 dst_sel:DWORD dst_unused:UNUSED_PAD src0_sel:WORD_0
	v_cvt_f32_u32_sdwa v25, v15 dst_sel:DWORD dst_unused:UNUSED_PAD src0_sel:WORD_1
	;; [unrolled: 2-line block ×4, first 2 shown]
	s_waitcnt vmcnt(2)
	v_cvt_f32_u32_sdwa v32, v10 dst_sel:DWORD dst_unused:UNUSED_PAD src0_sel:WORD_0
	v_cvt_f32_u32_sdwa v33, v10 dst_sel:DWORD dst_unused:UNUSED_PAD src0_sel:WORD_1
	v_cvt_f32_u32_sdwa v30, v11 dst_sel:DWORD dst_unused:UNUSED_PAD src0_sel:WORD_0
	v_cvt_f32_u32_sdwa v31, v11 dst_sel:DWORD dst_unused:UNUSED_PAD src0_sel:WORD_1
	;; [unrolled: 2-line block ×4, first 2 shown]
.LBB840_5:
	s_or_b64 exec, exec, s[0:1]
	s_waitcnt vmcnt(2)
	v_mul_f32_e32 v10, v19, v19
	v_fmac_f32_e32 v10, v18, v18
	v_fmac_f32_e32 v10, v24, v24
	;; [unrolled: 1-line block ×15, first 2 shown]
	v_and_b32_e32 v12, 63, v0
	v_cmp_eq_u32_e64 s[0:1], 63, v12
	v_mov_b32_dpp v11, v10 quad_perm:[1,0,3,2] row_mask:0xf bank_mask:0xf
	v_add_f32_e32 v10, v10, v11
	s_nop 1
	v_mov_b32_dpp v11, v10 quad_perm:[2,3,0,1] row_mask:0xf bank_mask:0xf
	v_add_f32_e32 v10, v10, v11
	s_nop 1
	v_mov_b32_dpp v11, v10 row_half_mirror row_mask:0xf bank_mask:0xf
	v_add_f32_e32 v10, v10, v11
	s_nop 1
	v_mov_b32_dpp v11, v10 row_mirror row_mask:0xf bank_mask:0xf
	v_add_f32_e32 v10, v10, v11
	s_nop 1
	v_mov_b32_dpp v11, v10 row_bcast:15 row_mask:0xf bank_mask:0xf
	v_add_f32_e32 v10, v10, v11
	s_nop 1
	v_mov_b32_dpp v11, v10 row_bcast:31 row_mask:0xf bank_mask:0xf
	s_and_saveexec_b64 s[8:9], s[0:1]
	s_cbranch_execz .LBB840_7
; %bb.6:
	v_add_f32_e32 v10, v10, v11
	v_lshrrev_b32_e32 v11, 4, v0
	v_and_b32_e32 v11, 60, v11
	ds_write_b32 v11, v10 offset:16
.LBB840_7:
	s_or_b64 exec, exec, s[8:9]
	v_and_b32_e32 v10, 3, v0
	v_lshlrev_b32_e32 v34, 2, v10
	s_waitcnt lgkmcnt(0)
	s_barrier
	ds_read_b32 v11, v34 offset:16
	s_load_dwordx2 s[28:29], s[4:5], 0x18
	s_waitcnt lgkmcnt(0)
	v_mov_b32_dpp v12, v11 quad_perm:[1,0,3,2] row_mask:0xf bank_mask:0xf
	v_add_f32_e32 v11, v11, v12
	s_nop 1
	v_mov_b32_dpp v12, v11 quad_perm:[2,3,0,1] row_mask:0xf bank_mask:0xf
	s_and_saveexec_b64 s[8:9], s[2:3]
	s_cbranch_execz .LBB840_9
; %bb.8:
	v_cvt_f32_u32_e32 v13, s7
	v_add_f32_e32 v11, v11, v12
	v_mov_b32_e32 v15, s17
	v_mov_b32_e32 v16, s16
	v_div_scale_f32 v12, s[24:25], v13, v13, v11
	v_rcp_f32_e32 v14, v12
	v_cndmask_b32_e32 v15, v15, v16, vcc
	s_mov_b32 s7, 0x800000
	v_fma_f32 v16, -v12, v14, 1.0
	v_fmac_f32_e32 v14, v16, v14
	v_div_scale_f32 v16, vcc, v11, v13, v11
	v_mul_f32_e32 v17, v16, v14
	v_fma_f32 v35, -v12, v17, v16
	v_fmac_f32_e32 v17, v35, v14
	v_fma_f32 v12, -v12, v17, v16
	v_div_fmas_f32 v12, v12, v14, v17
	v_div_fixup_f32 v11, v12, v13, v11
	v_add_f32_e32 v11, v15, v11
	v_mul_f32_e32 v12, 0x4b800000, v11
	v_cmp_gt_f32_e32 vcc, s7, v11
	v_cndmask_b32_e32 v11, v11, v12, vcc
	v_rsq_f32_e32 v11, v11
	v_mul_f32_e32 v12, 0x45800000, v11
	v_cndmask_b32_e32 v12, v11, v12, vcc
	v_mov_b32_e32 v13, v12
	;;#ASMSTART
	v_pk_mul_f32 v[14:15], v[18:19], v[12:13]
	;;#ASMEND
	;;#ASMSTART
	v_pk_mul_f32 v[16:17], v[24:25], v[12:13]
	;;#ASMEND
	;; [unrolled: 3-line block ×8, first 2 shown]
	s_waitcnt vmcnt(1)
	v_cvt_f32_u32_sdwa v19, v6 dst_sel:DWORD dst_unused:UNUSED_PAD src0_sel:WORD_1
	v_cvt_f32_u32_sdwa v18, v6 dst_sel:DWORD dst_unused:UNUSED_PAD src0_sel:WORD_0
	v_cvt_f32_u32_sdwa v25, v7 dst_sel:DWORD dst_unused:UNUSED_PAD src0_sel:WORD_1
	v_cvt_f32_u32_sdwa v24, v7 dst_sel:DWORD dst_unused:UNUSED_PAD src0_sel:WORD_0
	;; [unrolled: 2-line block ×4, first 2 shown]
	;;#ASMSTART
	v_pk_mul_f32 v[18:19], v[14:15], v[18:19]
	;;#ASMEND
	;;#ASMSTART
	v_pk_mul_f32 v[24:25], v[16:17], v[24:25]
	;;#ASMEND
	;; [unrolled: 3-line block ×4, first 2 shown]
	s_waitcnt vmcnt(0)
	v_cvt_f32_u32_sdwa v7, v2 dst_sel:DWORD dst_unused:UNUSED_PAD src0_sel:WORD_1
	v_cvt_f32_u32_sdwa v6, v2 dst_sel:DWORD dst_unused:UNUSED_PAD src0_sel:WORD_0
	v_cvt_f32_u32_sdwa v9, v3 dst_sel:DWORD dst_unused:UNUSED_PAD src0_sel:WORD_1
	v_cvt_f32_u32_sdwa v8, v3 dst_sel:DWORD dst_unused:UNUSED_PAD src0_sel:WORD_0
	;; [unrolled: 2-line block ×4, first 2 shown]
	;;#ASMSTART
	v_pk_mul_f32 v[32:33], v[32:33], v[6:7]
	;;#ASMEND
	;;#ASMSTART
	v_pk_mul_f32 v[30:31], v[30:31], v[8:9]
	;;#ASMEND
	;; [unrolled: 3-line block ×4, first 2 shown]
.LBB840_9:
	s_or_b64 exec, exec, s[8:9]
	s_load_dword s7, s[4:5], 0x80
	s_mov_b64 s[8:9], -1
	s_and_b64 vcc, exec, s[14:15]
	s_cbranch_vccnz .LBB840_13
; %bb.10:
	s_andn2_b64 vcc, exec, s[8:9]
	s_cbranch_vccz .LBB840_16
.LBB840_11:
	s_cmp_lt_i32 s20, 1
	s_cbranch_scc0 .LBB840_23
.LBB840_12:
	s_endpgm
.LBB840_13:
	s_and_saveexec_b64 s[14:15], s[2:3]
	s_cbranch_execz .LBB840_15
; %bb.14:
	s_waitcnt lgkmcnt(0)
	s_mul_hi_i32 s9, s7, s6
	s_mul_i32 s8, s7, s6
	s_lshl_b64 s[8:9], s[8:9], 1
	s_add_u32 s8, s28, s8
	s_addc_u32 s9, s29, s9
	s_mov_b32 s16, 0x7060302
	s_and_b32 s9, s9, 0xffff
	s_mov_b32 s11, 0x20000
	s_waitcnt vmcnt(0)
	v_perm_b32 v5, v23, v22, s16
	v_perm_b32 v4, v21, v20, s16
	;; [unrolled: 1-line block ×4, first 2 shown]
	v_lshlrev_b32_e32 v6, 5, v0
	buffer_store_dwordx4 v[2:5], v6, s[8:11], 0 offen
	;;#ASMSTART
	s_nop 0
	;;#ASMEND
	s_nop 0
	v_perm_b32 v5, v29, v28, s16
	v_perm_b32 v4, v27, v26, s16
	;; [unrolled: 1-line block ×4, first 2 shown]
	buffer_store_dwordx4 v[2:5], v6, s[8:11], 16 offen
	;;#ASMSTART
	s_nop 0
	;;#ASMEND
.LBB840_15:
	s_or_b64 exec, exec, s[14:15]
	s_cbranch_execnz .LBB840_11
.LBB840_16:
	s_waitcnt vmcnt(0)
	v_mov_b32_e32 v2, 0
	s_and_saveexec_b64 s[8:9], s[2:3]
	s_cbranch_execz .LBB840_18
; %bb.17:
	v_and_b32_e32 v2, 0x7fffffff, v18
	v_and_b32_e32 v3, 0x7fffffff, v19
	v_mov_b32_e32 v4, 0x2edbe6ff
	;;#ASMSTART
	v_max3_f32 v2, v4, v2, v3

	;;#ASMEND
	v_and_b32_e32 v3, 0x7fffffff, v24
	v_and_b32_e32 v4, 0x7fffffff, v25
	;;#ASMSTART
	v_max3_f32 v2, v2, v3, v4

	;;#ASMEND
	v_and_b32_e32 v3, 0x7fffffff, v20
	v_and_b32_e32 v4, 0x7fffffff, v21
	;; [unrolled: 6-line block ×7, first 2 shown]
	;;#ASMSTART
	v_max3_f32 v2, v2, v3, v4

	;;#ASMEND
.LBB840_18:
	s_or_b64 exec, exec, s[8:9]
	s_load_dwordx4 s[24:27], s[4:5], 0x70
	v_cmp_eq_u32_e32 vcc, 0, v10
	v_cmp_gt_i32_e64 s[8:9], s19, v1
	s_and_b64 s[10:11], vcc, s[8:9]
	;;#ASMSTART
	v_max_f32 v3, v2, v2 quad_perm:[1,0,3,2] row_mask:0xf bank_mask:0xf bound_ctrl:1
	;;#ASMEND
	;;#ASMSTART
	v_max_f32 v2, v3, v3 quad_perm:[2,3,0,1] row_mask:0xf bank_mask:0xf bound_ctrl:1
	;;#ASMEND
	s_and_saveexec_b64 s[8:9], s[10:11]
	s_cbranch_execz .LBB840_20
; %bb.19:
	s_load_dwordx2 s[10:11], s[4:5], 0x8
	v_mul_f32_e32 v2, 0x3e2aaaab, v2
	v_lshrrev_b32_e32 v3, 23, v2
	v_and_b32_e32 v4, 0x7f800000, v2
	v_and_b32_e32 v2, 0x7fffff, v2
	v_cmp_ne_u32_e32 vcc, 0, v2
	s_waitcnt lgkmcnt(0)
	s_mul_i32 s16, s25, s6
	s_mov_b32 s14, 0x7f800000
	v_addc_co_u32_e32 v2, vcc, 0, v3, vcc
	s_mul_hi_i32 s15, s25, s6
	s_add_u32 s10, s10, s16
	v_cmp_ne_u32_e32 vcc, s14, v4
	s_addc_u32 s11, s11, s15
	v_lshrrev_b32_e32 v5, 2, v0
	v_cndmask_b32_e32 v4, -1, v2, vcc
	v_pk_mov_b32 v[2:3], s[10:11], s[10:11] op_sel:[0,1]
	v_mad_i64_i32 v[2:3], s[10:11], s26, v5, v[2:3]
	global_store_byte v[2:3], v4, off
.LBB840_20:
	s_or_b64 exec, exec, s[8:9]
	s_and_saveexec_b64 s[8:9], s[2:3]
	s_cbranch_execz .LBB840_22
; %bb.21:
	s_load_dwordx2 s[2:3], s[4:5], 0x0
	s_waitcnt lgkmcnt(0)
	s_mul_i32 s11, s24, s6
	s_mul_hi_i32 s10, s24, s6
	v_mov_b32_e32 v2, 0
	v_lshlrev_b32_e32 v4, 3, v0
	s_add_u32 s24, s2, s11
	s_addc_u32 s2, s3, s10
	s_lshr_b32 s3, s19, 31
	s_add_i32 s3, s19, s3
	s_ashr_i32 s3, s3, 1
	s_add_i32 s3, s3, 3
	s_ashr_i32 s10, s3, 31
	s_lshr_b32 s10, s10, 30
	s_add_i32 s3, s3, s10
	s_and_b32 s26, s3, -4
	s_and_b32 s25, s2, 0xffff
	s_mov_b32 s27, 0x20000
	v_mov_b32_e32 v3, v2
	buffer_store_dwordx2 v[2:3], v4, s[24:27], 0 offen
	;;#ASMSTART
	s_nop 0
	;;#ASMEND
.LBB840_22:
	s_or_b64 exec, exec, s[8:9]
	s_cmp_lt_i32 s20, 1
	s_cbranch_scc1 .LBB840_12
.LBB840_23:
	s_load_dword s2, s[4:5], 0x94
	s_waitcnt lgkmcnt(0)
	s_cmp_lg_u32 s2, 1
	s_cbranch_scc1 .LBB840_12
; %bb.24:
	s_lshl_b32 s2, s20, 1
	s_add_i32 s2, s2, 2
	v_cmp_gt_u32_e32 vcc, s20, v1
	s_and_b32 s14, s2, -4
	v_mov_b32_e32 v18, 0
	v_lshlrev_b32_e32 v1, 5, v0
	v_mov_b32_e32 v14, 0
	v_mov_b32_e32 v15, 0
	;; [unrolled: 1-line block ×8, first 2 shown]
	s_waitcnt vmcnt(1)
	v_mov_b32_e32 v6, 0
	v_mov_b32_e32 v7, 0
	v_mov_b32_e32 v8, 0
	v_mov_b32_e32 v9, 0
	s_waitcnt vmcnt(0)
	v_mov_b32_e32 v2, 0
	v_mov_b32_e32 v3, 0
	v_mov_b32_e32 v4, 0
	v_mov_b32_e32 v5, 0
	s_barrier
	s_and_saveexec_b64 s[2:3], vcc
	s_cbranch_execz .LBB840_26
; %bb.25:
	s_mul_hi_i32 s5, s22, s6
	s_mul_i32 s4, s22, s6
	s_and_b32 s13, s13, 0xffff
	s_lshl_b64 s[4:5], s[4:5], 1
	s_add_u32 s8, s30, s4
	s_mov_b32 s15, 0x20000
	s_addc_u32 s4, s31, s5
	s_and_b32 s9, s4, 0xffff
	s_mov_b32 s10, s14
	s_mov_b32 s11, s15
	buffer_load_dwordx4 v[14:17], v1, s[8:11], 0 offen
	buffer_load_dwordx4 v[10:13], v1, s[8:11], 16 offen
	buffer_load_dwordx4 v[6:9], v1, s[12:15], 0 offen
	buffer_load_dwordx4 v[2:5], v1, s[12:15], 16 offen
.LBB840_26:
	s_or_b64 exec, exec, s[2:3]
	v_mov_b32_e32 v19, 0
	v_mov_b32_e32 v32, 0
	;; [unrolled: 1-line block ×15, first 2 shown]
	s_and_saveexec_b64 s[2:3], vcc
	s_cbranch_execz .LBB840_28
; %bb.27:
	s_waitcnt vmcnt(3)
	v_cvt_f32_u32_sdwa v18, v14 dst_sel:DWORD dst_unused:UNUSED_PAD src0_sel:WORD_0
	v_cvt_f32_u32_sdwa v19, v14 dst_sel:DWORD dst_unused:UNUSED_PAD src0_sel:WORD_1
	v_cvt_f32_u32_sdwa v32, v15 dst_sel:DWORD dst_unused:UNUSED_PAD src0_sel:WORD_0
	v_cvt_f32_u32_sdwa v33, v15 dst_sel:DWORD dst_unused:UNUSED_PAD src0_sel:WORD_1
	;; [unrolled: 2-line block ×4, first 2 shown]
	s_waitcnt vmcnt(2)
	v_cvt_f32_u32_sdwa v26, v10 dst_sel:DWORD dst_unused:UNUSED_PAD src0_sel:WORD_0
	v_cvt_f32_u32_sdwa v27, v10 dst_sel:DWORD dst_unused:UNUSED_PAD src0_sel:WORD_1
	v_cvt_f32_u32_sdwa v24, v11 dst_sel:DWORD dst_unused:UNUSED_PAD src0_sel:WORD_0
	v_cvt_f32_u32_sdwa v25, v11 dst_sel:DWORD dst_unused:UNUSED_PAD src0_sel:WORD_1
	;; [unrolled: 2-line block ×4, first 2 shown]
.LBB840_28:
	s_or_b64 exec, exec, s[2:3]
	s_waitcnt vmcnt(2)
	v_mul_f32_e32 v10, v19, v19
	v_fmac_f32_e32 v10, v18, v18
	v_fmac_f32_e32 v10, v32, v32
	;; [unrolled: 1-line block ×15, first 2 shown]
	s_nop 1
	v_mov_b32_dpp v11, v10 quad_perm:[1,0,3,2] row_mask:0xf bank_mask:0xf
	v_add_f32_e32 v10, v10, v11
	s_nop 1
	v_mov_b32_dpp v11, v10 quad_perm:[2,3,0,1] row_mask:0xf bank_mask:0xf
	v_add_f32_e32 v10, v10, v11
	s_nop 1
	v_mov_b32_dpp v11, v10 row_half_mirror row_mask:0xf bank_mask:0xf
	v_add_f32_e32 v10, v10, v11
	s_nop 1
	v_mov_b32_dpp v11, v10 row_mirror row_mask:0xf bank_mask:0xf
	v_add_f32_e32 v10, v10, v11
	s_nop 1
	v_mov_b32_dpp v11, v10 row_bcast:15 row_mask:0xf bank_mask:0xf
	v_add_f32_e32 v10, v10, v11
	s_nop 1
	v_mov_b32_dpp v11, v10 row_bcast:31 row_mask:0xf bank_mask:0xf
	s_and_saveexec_b64 s[2:3], s[0:1]
	s_cbranch_execz .LBB840_30
; %bb.29:
	v_lshrrev_b32_e32 v0, 4, v0
	v_add_f32_e32 v10, v10, v11
	v_and_b32_e32 v0, 60, v0
	ds_write_b32 v0, v10
.LBB840_30:
	s_or_b64 exec, exec, s[2:3]
	s_waitcnt lgkmcnt(0)
	s_barrier
	ds_read_b32 v0, v34
	s_waitcnt lgkmcnt(0)
	s_nop 0
	v_mov_b32_dpp v10, v0 quad_perm:[1,0,3,2] row_mask:0xf bank_mask:0xf
	v_add_f32_e32 v0, v0, v10
	s_nop 1
	v_mov_b32_dpp v10, v0 quad_perm:[2,3,0,1] row_mask:0xf bank_mask:0xf
	s_and_saveexec_b64 s[0:1], vcc
	s_cbranch_execz .LBB840_12
; %bb.31:
	v_cvt_f32_u32_e32 v11, s20
	v_add_f32_e32 v0, v0, v10
	s_mov_b32 s15, 0x20000
	v_div_scale_f32 v10, s[0:1], v11, v11, v0
	v_rcp_f32_e32 v12, v10
	v_div_scale_f32 v13, vcc, v0, v11, v0
	s_mov_b32 s0, 0x800000
	v_fma_f32 v14, -v10, v12, 1.0
	v_fmac_f32_e32 v12, v14, v12
	v_mul_f32_e32 v14, v13, v12
	v_fma_f32 v15, -v10, v14, v13
	v_fmac_f32_e32 v14, v15, v12
	v_fma_f32 v10, -v10, v14, v13
	v_div_fmas_f32 v10, v10, v12, v14
	v_div_fixup_f32 v0, v10, v11, v0
	v_add_f32_e32 v0, s17, v0
	v_mul_f32_e32 v10, 0x4b800000, v0
	v_cmp_gt_f32_e32 vcc, s0, v0
	v_cndmask_b32_e32 v0, v0, v10, vcc
	v_rsq_f32_e32 v0, v0
	s_mul_hi_i32 s1, s7, s6
	s_mul_i32 s0, s7, s6
	s_lshl_b64 s[0:1], s[0:1], 1
	v_mul_f32_e32 v10, 0x45800000, v0
	v_cndmask_b32_e32 v10, v0, v10, vcc
	v_mov_b32_e32 v11, v10
	s_add_u32 s12, s28, s0
	;;#ASMSTART
	v_pk_mul_f32 v[12:13], v[18:19], v[10:11]
	;;#ASMEND
	;;#ASMSTART
	v_pk_mul_f32 v[14:15], v[32:33], v[10:11]
	;;#ASMEND
	;; [unrolled: 3-line block ×8, first 2 shown]
	s_waitcnt vmcnt(1)
	v_cvt_f32_u32_sdwa v21, v6 dst_sel:DWORD dst_unused:UNUSED_PAD src0_sel:WORD_1
	v_cvt_f32_u32_sdwa v20, v6 dst_sel:DWORD dst_unused:UNUSED_PAD src0_sel:WORD_0
	v_cvt_f32_u32_sdwa v29, v7 dst_sel:DWORD dst_unused:UNUSED_PAD src0_sel:WORD_1
	v_cvt_f32_u32_sdwa v28, v7 dst_sel:DWORD dst_unused:UNUSED_PAD src0_sel:WORD_0
	;; [unrolled: 2-line block ×3, first 2 shown]
	s_addc_u32 s0, s29, s1
	v_cvt_f32_u32_sdwa v31, v9 dst_sel:DWORD dst_unused:UNUSED_PAD src0_sel:WORD_1
	v_cvt_f32_u32_sdwa v30, v9 dst_sel:DWORD dst_unused:UNUSED_PAD src0_sel:WORD_0
	;;#ASMSTART
	v_pk_mul_f32 v[8:9], v[12:13], v[20:21]
	;;#ASMEND
	;;#ASMSTART
	v_pk_mul_f32 v[12:13], v[14:15], v[28:29]
	;;#ASMEND
	;; [unrolled: 3-line block ×4, first 2 shown]
	s_waitcnt vmcnt(0)
	v_cvt_f32_u32_sdwa v17, v2 dst_sel:DWORD dst_unused:UNUSED_PAD src0_sel:WORD_1
	v_cvt_f32_u32_sdwa v16, v2 dst_sel:DWORD dst_unused:UNUSED_PAD src0_sel:WORD_0
	v_cvt_f32_u32_sdwa v19, v3 dst_sel:DWORD dst_unused:UNUSED_PAD src0_sel:WORD_1
	v_cvt_f32_u32_sdwa v18, v3 dst_sel:DWORD dst_unused:UNUSED_PAD src0_sel:WORD_0
	;; [unrolled: 2-line block ×3, first 2 shown]
	s_and_b32 s13, s0, 0xffff
	s_mov_b32 s0, 0x7060302
	v_cvt_f32_u32_sdwa v21, v5 dst_sel:DWORD dst_unused:UNUSED_PAD src0_sel:WORD_1
	v_cvt_f32_u32_sdwa v20, v5 dst_sel:DWORD dst_unused:UNUSED_PAD src0_sel:WORD_0
	;;#ASMSTART
	v_pk_mul_f32 v[16:17], v[26:27], v[16:17]
	;;#ASMEND
	;;#ASMSTART
	v_pk_mul_f32 v[18:19], v[24:25], v[18:19]
	;;#ASMEND
	;; [unrolled: 3-line block ×3, first 2 shown]
	v_perm_b32 v2, v9, v8, s0
	v_perm_b32 v3, v13, v12, s0
	;; [unrolled: 1-line block ×4, first 2 shown]
	;;#ASMSTART
	v_pk_mul_f32 v[10:11], v[10:11], v[20:21]
	;;#ASMEND
	buffer_store_dwordx4 v[2:5], v1, s[12:15], 0 offen
	;;#ASMSTART
	s_nop 0
	;;#ASMEND
	s_nop 0
	v_perm_b32 v2, v17, v16, s0
	v_perm_b32 v3, v19, v18, s0
	;; [unrolled: 1-line block ×4, first 2 shown]
	buffer_store_dwordx4 v[2:5], v1, s[12:15], 16 offen
	;;#ASMSTART
	s_nop 0
	;;#ASMEND
	s_endpgm
	.section	.rodata,"a",@progbits
	.p2align	6, 0x0
	.amdhsa_kernel _ZN5aiter35fused_qk_rmsnorm_group_quant_kernelItN4opus5fp4_tELi256ELi16ELi4ELb0ELb0ELb0ELb0ELb0ELb0EEEvPT0_PvPT_S7_S7_PKS6_S9_S9_S9_S9_ffiiiiiiiiiiiii
		.amdhsa_group_segment_fixed_size 32
		.amdhsa_private_segment_fixed_size 0
		.amdhsa_kernarg_size 400
		.amdhsa_user_sgpr_count 6
		.amdhsa_user_sgpr_private_segment_buffer 1
		.amdhsa_user_sgpr_dispatch_ptr 0
		.amdhsa_user_sgpr_queue_ptr 0
		.amdhsa_user_sgpr_kernarg_segment_ptr 1
		.amdhsa_user_sgpr_dispatch_id 0
		.amdhsa_user_sgpr_flat_scratch_init 0
		.amdhsa_user_sgpr_kernarg_preload_length 0
		.amdhsa_user_sgpr_kernarg_preload_offset 0
		.amdhsa_user_sgpr_private_segment_size 0
		.amdhsa_uses_dynamic_stack 0
		.amdhsa_system_sgpr_private_segment_wavefront_offset 0
		.amdhsa_system_sgpr_workgroup_id_x 1
		.amdhsa_system_sgpr_workgroup_id_y 1
		.amdhsa_system_sgpr_workgroup_id_z 0
		.amdhsa_system_sgpr_workgroup_info 0
		.amdhsa_system_vgpr_workitem_id 0
		.amdhsa_next_free_vgpr 36
		.amdhsa_next_free_sgpr 32
		.amdhsa_accum_offset 36
		.amdhsa_reserve_vcc 1
		.amdhsa_reserve_flat_scratch 0
		.amdhsa_float_round_mode_32 0
		.amdhsa_float_round_mode_16_64 0
		.amdhsa_float_denorm_mode_32 3
		.amdhsa_float_denorm_mode_16_64 3
		.amdhsa_dx10_clamp 1
		.amdhsa_ieee_mode 1
		.amdhsa_fp16_overflow 0
		.amdhsa_tg_split 0
		.amdhsa_exception_fp_ieee_invalid_op 0
		.amdhsa_exception_fp_denorm_src 0
		.amdhsa_exception_fp_ieee_div_zero 0
		.amdhsa_exception_fp_ieee_overflow 0
		.amdhsa_exception_fp_ieee_underflow 0
		.amdhsa_exception_fp_ieee_inexact 0
		.amdhsa_exception_int_div_zero 0
	.end_amdhsa_kernel
	.section	.text._ZN5aiter35fused_qk_rmsnorm_group_quant_kernelItN4opus5fp4_tELi256ELi16ELi4ELb0ELb0ELb0ELb0ELb0ELb0EEEvPT0_PvPT_S7_S7_PKS6_S9_S9_S9_S9_ffiiiiiiiiiiiii,"axG",@progbits,_ZN5aiter35fused_qk_rmsnorm_group_quant_kernelItN4opus5fp4_tELi256ELi16ELi4ELb0ELb0ELb0ELb0ELb0ELb0EEEvPT0_PvPT_S7_S7_PKS6_S9_S9_S9_S9_ffiiiiiiiiiiiii,comdat
.Lfunc_end840:
	.size	_ZN5aiter35fused_qk_rmsnorm_group_quant_kernelItN4opus5fp4_tELi256ELi16ELi4ELb0ELb0ELb0ELb0ELb0ELb0EEEvPT0_PvPT_S7_S7_PKS6_S9_S9_S9_S9_ffiiiiiiiiiiiii, .Lfunc_end840-_ZN5aiter35fused_qk_rmsnorm_group_quant_kernelItN4opus5fp4_tELi256ELi16ELi4ELb0ELb0ELb0ELb0ELb0ELb0EEEvPT0_PvPT_S7_S7_PKS6_S9_S9_S9_S9_ffiiiiiiiiiiiii
                                        ; -- End function
	.section	.AMDGPU.csdata,"",@progbits
; Kernel info:
; codeLenInByte = 3132
; NumSgprs: 36
; NumVgprs: 36
; NumAgprs: 0
; TotalNumVgprs: 36
; ScratchSize: 0
; MemoryBound: 0
; FloatMode: 240
; IeeeMode: 1
; LDSByteSize: 32 bytes/workgroup (compile time only)
; SGPRBlocks: 4
; VGPRBlocks: 4
; NumSGPRsForWavesPerEU: 36
; NumVGPRsForWavesPerEU: 36
; AccumOffset: 36
; Occupancy: 8
; WaveLimiterHint : 0
; COMPUTE_PGM_RSRC2:SCRATCH_EN: 0
; COMPUTE_PGM_RSRC2:USER_SGPR: 6
; COMPUTE_PGM_RSRC2:TRAP_HANDLER: 0
; COMPUTE_PGM_RSRC2:TGID_X_EN: 1
; COMPUTE_PGM_RSRC2:TGID_Y_EN: 1
; COMPUTE_PGM_RSRC2:TGID_Z_EN: 0
; COMPUTE_PGM_RSRC2:TIDIG_COMP_CNT: 0
; COMPUTE_PGM_RSRC3_GFX90A:ACCUM_OFFSET: 8
; COMPUTE_PGM_RSRC3_GFX90A:TG_SPLIT: 0
	.section	.text._ZN5aiter35fused_qk_rmsnorm_group_quant_kernelIDF16_DB8_Li256ELi16ELi2ELb1ELb1ELb1ELb1ELb0ELb0EEEvPT0_PvPT_S6_S6_PKS5_S8_S8_S8_S8_ffiiiiiiiiiiiii,"axG",@progbits,_ZN5aiter35fused_qk_rmsnorm_group_quant_kernelIDF16_DB8_Li256ELi16ELi2ELb1ELb1ELb1ELb1ELb0ELb0EEEvPT0_PvPT_S6_S6_PKS5_S8_S8_S8_S8_ffiiiiiiiiiiiii,comdat
	.protected	_ZN5aiter35fused_qk_rmsnorm_group_quant_kernelIDF16_DB8_Li256ELi16ELi2ELb1ELb1ELb1ELb1ELb0ELb0EEEvPT0_PvPT_S6_S6_PKS5_S8_S8_S8_S8_ffiiiiiiiiiiiii ; -- Begin function _ZN5aiter35fused_qk_rmsnorm_group_quant_kernelIDF16_DB8_Li256ELi16ELi2ELb1ELb1ELb1ELb1ELb0ELb0EEEvPT0_PvPT_S6_S6_PKS5_S8_S8_S8_S8_ffiiiiiiiiiiiii
	.globl	_ZN5aiter35fused_qk_rmsnorm_group_quant_kernelIDF16_DB8_Li256ELi16ELi2ELb1ELb1ELb1ELb1ELb0ELb0EEEvPT0_PvPT_S6_S6_PKS5_S8_S8_S8_S8_ffiiiiiiiiiiiii
	.p2align	8
	.type	_ZN5aiter35fused_qk_rmsnorm_group_quant_kernelIDF16_DB8_Li256ELi16ELi2ELb1ELb1ELb1ELb1ELb0ELb0EEEvPT0_PvPT_S6_S6_PKS5_S8_S8_S8_S8_ffiiiiiiiiiiiii,@function
_ZN5aiter35fused_qk_rmsnorm_group_quant_kernelIDF16_DB8_Li256ELi16ELi2ELb1ELb1ELb1ELb1ELb0ELb0EEEvPT0_PvPT_S6_S6_PKS5_S8_S8_S8_S8_ffiiiiiiiiiiiii: ; @_ZN5aiter35fused_qk_rmsnorm_group_quant_kernelIDF16_DB8_Li256ELi16ELi2ELb1ELb1ELb1ELb1ELb0ELb0EEEvPT0_PvPT_S6_S6_PKS5_S8_S8_S8_S8_ffiiiiiiiiiiiii
; %bb.0:
	s_load_dwordx8 s[12:19], s[4:5], 0x50
	s_waitcnt lgkmcnt(0)
	s_cmp_ge_i32 s6, s14
	s_cbranch_scc1 .LBB841_17
; %bb.1:
	s_cmp_lg_u32 s7, 0
	s_cselect_b64 s[22:23], -1, 0
	s_cmp_eq_u32 s7, 0
	s_cselect_b64 s[2:3], -1, 0
	s_and_b64 s[0:1], s[2:3], exec
	s_cselect_b32 s7, s15, s16
	s_load_dwordx2 s[10:11], s[4:5], 0x30
	s_load_dwordx2 s[20:21], s[4:5], 0x48
	s_add_i32 s0, s7, 1
	s_lshr_b32 s1, s0, 31
	s_add_i32 s0, s0, s1
	s_lshl_b32 s0, s0, 1
	v_lshlrev_b32_e32 v1, 4, v0
	s_and_b32 s30, s0, -4
	v_cmp_gt_i32_e64 s[0:1], s7, v1
	v_mov_b32_e32 v6, 0
	v_mov_b32_e32 v7, 0
	;; [unrolled: 1-line block ×16, first 2 shown]
	s_and_saveexec_b64 s[8:9], s[0:1]
	s_cbranch_execz .LBB841_3
; %bb.2:
	s_load_dwordx2 s[14:15], s[4:5], 0x28
	s_load_dwordx2 s[26:27], s[4:5], 0x40
	s_and_b64 s[24:25], s[2:3], exec
	s_cselect_b32 s17, s17, s18
	s_mov_b32 s31, 0x20000
	s_waitcnt lgkmcnt(0)
	s_cselect_b32 s25, s15, s11
	s_cselect_b32 s24, s14, s10
	s_mul_hi_i32 s15, s17, s6
	s_mul_i32 s14, s17, s6
	s_lshl_b64 s[14:15], s[14:15], 1
	s_add_u32 s24, s24, s14
	s_addc_u32 s17, s25, s15
	s_and_b64 s[14:15], s[2:3], exec
	s_cselect_b32 s28, s26, s20
	s_cselect_b32 s14, s27, s21
	s_and_b32 s25, s17, 0xffff
	s_mov_b32 s26, s30
	s_mov_b32 s27, s31
	v_lshlrev_b32_e32 v18, 5, v0
	s_and_b32 s29, s14, 0xffff
	buffer_load_dwordx4 v[10:13], v18, s[24:27], 0 offen
	buffer_load_dwordx4 v[14:17], v18, s[24:27], 16 offen
	;; [unrolled: 1-line block ×4, first 2 shown]
.LBB841_3:
	s_or_b64 exec, exec, s[8:9]
	s_load_dwordx4 s[24:27], s[4:5], 0x7c
	s_and_b64 vcc, exec, s[22:23]
	s_cbranch_vccz .LBB841_7
; %bb.4:
	v_mov_b32_e32 v19, 0
	v_mov_b32_e32 v18, 0
	;; [unrolled: 1-line block ×16, first 2 shown]
	s_and_saveexec_b64 s[8:9], s[0:1]
	s_cbranch_execz .LBB841_6
; %bb.5:
	s_waitcnt vmcnt(3)
	v_cvt_f32_f16_sdwa v27, v10 dst_sel:DWORD dst_unused:UNUSED_PAD src0_sel:WORD_1
	v_cvt_f32_f16_e32 v26, v10
	v_cvt_f32_f16_sdwa v31, v11 dst_sel:DWORD dst_unused:UNUSED_PAD src0_sel:WORD_1
	v_cvt_f32_f16_e32 v30, v11
	;; [unrolled: 2-line block ×4, first 2 shown]
	s_waitcnt vmcnt(2)
	v_cvt_f32_f16_sdwa v21, v14 dst_sel:DWORD dst_unused:UNUSED_PAD src0_sel:WORD_1
	v_cvt_f32_f16_e32 v20, v14
	v_cvt_f32_f16_sdwa v25, v15 dst_sel:DWORD dst_unused:UNUSED_PAD src0_sel:WORD_1
	v_cvt_f32_f16_e32 v24, v15
	v_cvt_f32_f16_sdwa v23, v16 dst_sel:DWORD dst_unused:UNUSED_PAD src0_sel:WORD_1
	v_cvt_f32_f16_e32 v22, v16
	v_cvt_f32_f16_sdwa v19, v17 dst_sel:DWORD dst_unused:UNUSED_PAD src0_sel:WORD_1
	v_cvt_f32_f16_e32 v18, v17
.LBB841_6:
	s_or_b64 exec, exec, s[8:9]
	s_cbranch_execz .LBB841_8
	s_branch .LBB841_11
.LBB841_7:
                                        ; implicit-def: $vgpr19
                                        ; implicit-def: $vgpr23
                                        ; implicit-def: $vgpr25
                                        ; implicit-def: $vgpr21
                                        ; implicit-def: $vgpr33
                                        ; implicit-def: $vgpr29
                                        ; implicit-def: $vgpr31
                                        ; implicit-def: $vgpr27
.LBB841_8:
	v_mov_b32_e32 v19, 0
	v_mov_b32_e32 v18, 0
	v_mov_b32_e32 v23, 0
	v_mov_b32_e32 v22, 0
	v_mov_b32_e32 v25, 0
	v_mov_b32_e32 v24, 0
	v_mov_b32_e32 v21, 0
	v_mov_b32_e32 v20, 0
	v_mov_b32_e32 v33, 0
	v_mov_b32_e32 v32, 0
	v_mov_b32_e32 v29, 0
	v_mov_b32_e32 v28, 0
	v_mov_b32_e32 v31, 0
	v_mov_b32_e32 v30, 0
	v_mov_b32_e32 v27, 0
	v_mov_b32_e32 v26, 0
	s_and_saveexec_b64 s[8:9], s[0:1]
	s_cbranch_execz .LBB841_10
; %bb.9:
	s_load_dwordx2 s[14:15], s[4:5], 0x38
	s_mul_hi_i32 s29, s19, s6
	s_mul_i32 s28, s19, s6
	s_lshl_b64 s[28:29], s[28:29], 1
	s_mov_b32 s31, 0x20000
	s_waitcnt lgkmcnt(0)
	s_add_u32 s28, s14, s28
	s_addc_u32 s14, s15, s29
	s_and_b32 s29, s14, 0xffff
	v_lshlrev_b32_e32 v48, 5, v0
	buffer_load_dwordx4 v[18:21], v48, s[28:31], 16 offen
	buffer_load_dwordx4 v[22:25], v48, s[28:31], 0 offen
	s_waitcnt vmcnt(4)
	v_cvt_f32_f16_sdwa v27, v14 dst_sel:DWORD dst_unused:UNUSED_PAD src0_sel:WORD_1
	v_cvt_f32_f16_e32 v26, v14
	v_cvt_f32_f16_sdwa v29, v15 dst_sel:DWORD dst_unused:UNUSED_PAD src0_sel:WORD_1
	v_cvt_f32_f16_e32 v28, v15
	;; [unrolled: 2-line block ×8, first 2 shown]
	s_load_dwordx2 s[14:15], s[4:5], 0x20
	s_mul_hi_i32 s27, s26, s6
	s_mul_i32 s26, s26, s6
	s_lshl_b64 s[26:27], s[26:27], 1
	s_waitcnt lgkmcnt(0)
	s_add_u32 s28, s14, s26
	s_addc_u32 s14, s15, s27
	s_and_b32 s29, s14, 0xffff
	s_waitcnt vmcnt(1)
	v_cvt_f32_f16_e32 v12, v18
	v_cvt_f32_f16_sdwa v13, v18 dst_sel:DWORD dst_unused:UNUSED_PAD src0_sel:WORD_1
	v_cvt_f32_f16_e32 v18, v19
	v_cvt_f32_f16_sdwa v19, v19 dst_sel:DWORD dst_unused:UNUSED_PAD src0_sel:WORD_1
	;; [unrolled: 2-line block ×4, first 2 shown]
	s_waitcnt vmcnt(0)
	v_cvt_f32_f16_e32 v40, v22
	v_cvt_f32_f16_sdwa v41, v22 dst_sel:DWORD dst_unused:UNUSED_PAD src0_sel:WORD_1
	v_cvt_f32_f16_e32 v42, v23
	v_cvt_f32_f16_sdwa v43, v23 dst_sel:DWORD dst_unused:UNUSED_PAD src0_sel:WORD_1
	;; [unrolled: 2-line block ×4, first 2 shown]
	v_pk_add_f32 v[20:21], v[26:27], v[12:13]
	v_pk_add_f32 v[24:25], v[28:29], v[18:19]
	;; [unrolled: 1-line block ×8, first 2 shown]
	v_cvt_f16_f32_e32 v10, v27
	v_cvt_f16_f32_e32 v14, v26
	;; [unrolled: 1-line block ×16, first 2 shown]
	v_pack_b32_f16 v13, v17, v13
	v_pack_b32_f16 v12, v16, v12
	;; [unrolled: 1-line block ×8, first 2 shown]
	buffer_store_dwordx4 v[10:13], v48, s[28:31], 0 offen
	;;#ASMSTART
	s_nop 0
	;;#ASMEND
	buffer_store_dwordx4 v[14:17], v48, s[28:31], 16 offen
	;;#ASMSTART
	s_nop 0
	;;#ASMEND
.LBB841_10:
	s_or_b64 exec, exec, s[8:9]
.LBB841_11:
	s_waitcnt vmcnt(3)
	v_mul_f32_e32 v10, v27, v27
	v_fmac_f32_e32 v10, v26, v26
	v_fmac_f32_e32 v10, v30, v30
	v_fmac_f32_e32 v10, v31, v31
	v_fmac_f32_e32 v10, v28, v28
	v_fmac_f32_e32 v10, v29, v29
	v_fmac_f32_e32 v10, v32, v32
	v_fmac_f32_e32 v10, v33, v33
	v_fmac_f32_e32 v10, v20, v20
	v_fmac_f32_e32 v10, v21, v21
	v_fmac_f32_e32 v10, v24, v24
	v_fmac_f32_e32 v10, v25, v25
	v_fmac_f32_e32 v10, v22, v22
	v_fmac_f32_e32 v10, v23, v23
	v_fmac_f32_e32 v10, v18, v18
	v_fmac_f32_e32 v10, v19, v19
	v_and_b32_e32 v12, 63, v0
	v_cmp_eq_u32_e64 s[8:9], 63, v12
	v_mov_b32_dpp v11, v10 quad_perm:[1,0,3,2] row_mask:0xf bank_mask:0xf
	v_add_f32_e32 v10, v10, v11
	s_nop 1
	v_mov_b32_dpp v11, v10 quad_perm:[2,3,0,1] row_mask:0xf bank_mask:0xf
	v_add_f32_e32 v10, v10, v11
	s_nop 1
	v_mov_b32_dpp v11, v10 row_half_mirror row_mask:0xf bank_mask:0xf
	v_add_f32_e32 v10, v10, v11
	s_nop 1
	v_mov_b32_dpp v11, v10 row_mirror row_mask:0xf bank_mask:0xf
	v_add_f32_e32 v10, v10, v11
	s_nop 1
	v_mov_b32_dpp v11, v10 row_bcast:15 row_mask:0xf bank_mask:0xf
	v_add_f32_e32 v10, v10, v11
	s_nop 1
	v_mov_b32_dpp v11, v10 row_bcast:31 row_mask:0xf bank_mask:0xf
	s_and_saveexec_b64 s[14:15], s[8:9]
	s_cbranch_execz .LBB841_13
; %bb.12:
	v_add_f32_e32 v10, v10, v11
	v_lshrrev_b32_e32 v11, 4, v0
	v_and_b32_e32 v11, 60, v11
	ds_write_b32 v11, v10 offset:16
.LBB841_13:
	s_or_b64 exec, exec, s[14:15]
	v_and_b32_e32 v10, 3, v0
	v_lshlrev_b32_e32 v34, 2, v10
	s_waitcnt lgkmcnt(0)
	s_barrier
	ds_read_b32 v10, v34 offset:16
	s_load_dwordx2 s[14:15], s[4:5], 0x18
	s_waitcnt lgkmcnt(0)
	v_mov_b32_dpp v11, v10 quad_perm:[1,0,3,2] row_mask:0xf bank_mask:0xf
	v_add_f32_e32 v10, v10, v11
	s_nop 1
	v_mov_b32_dpp v11, v10 quad_perm:[2,3,0,1] row_mask:0xf bank_mask:0xf
	s_and_saveexec_b64 s[26:27], s[0:1]
	s_cbranch_execnz .LBB841_18
; %bb.14:
	s_or_b64 exec, exec, s[26:27]
	s_mov_b64 s[2:3], -1
	s_and_b64 vcc, exec, s[22:23]
	s_cbranch_vccnz .LBB841_19
.LBB841_15:
	s_andn2_b64 vcc, exec, s[2:3]
	s_cbranch_vccz .LBB841_22
.LBB841_16:
	s_cmp_lt_i32 s16, 1
	s_cbranch_scc0 .LBB841_25
.LBB841_17:
	s_endpgm
.LBB841_18:
	v_cvt_f32_u32_e32 v12, s7
	v_add_f32_e32 v10, v10, v11
	s_waitcnt vmcnt(2)
	v_mov_b32_e32 v14, s13
	v_mov_b32_e32 v15, s12
	v_div_scale_f32 v11, s[28:29], v12, v12, v10
	v_rcp_f32_e32 v13, v11
	v_cndmask_b32_e64 v14, v14, v15, s[2:3]
	s_mov_b32 s2, 0x800000
	v_fma_f32 v15, -v11, v13, 1.0
	v_fmac_f32_e32 v13, v15, v13
	v_div_scale_f32 v15, vcc, v10, v12, v10
	v_mul_f32_e32 v16, v15, v13
	v_fma_f32 v17, -v11, v16, v15
	v_fmac_f32_e32 v16, v17, v13
	v_fma_f32 v11, -v11, v16, v15
	v_div_fmas_f32 v11, v11, v13, v16
	v_div_fixup_f32 v10, v11, v12, v10
	v_add_f32_e32 v10, v14, v10
	v_mul_f32_e32 v11, 0x4b800000, v10
	v_cmp_gt_f32_e32 vcc, s2, v10
	v_cndmask_b32_e32 v10, v10, v11, vcc
	v_rsq_f32_e32 v10, v10
	v_mul_f32_e32 v11, 0x45800000, v10
	v_cndmask_b32_e32 v10, v10, v11, vcc
	v_mov_b32_e32 v11, v10
	;;#ASMSTART
	v_pk_mul_f32 v[12:13], v[26:27], v[10:11]
	;;#ASMEND
	s_waitcnt vmcnt(1)
	v_cvt_f32_f16_sdwa v27, v6 dst_sel:DWORD dst_unused:UNUSED_PAD src0_sel:WORD_1
	v_cvt_f32_f16_e32 v26, v6
	;;#ASMSTART
	v_pk_mul_f32 v[14:15], v[30:31], v[10:11]
	;;#ASMEND
	;;#ASMSTART
	v_pk_mul_f32 v[16:17], v[28:29], v[10:11]
	;;#ASMEND
	v_cvt_f32_f16_sdwa v29, v7 dst_sel:DWORD dst_unused:UNUSED_PAD src0_sel:WORD_1
	v_cvt_f32_f16_e32 v28, v7
	;;#ASMSTART
	v_pk_mul_f32 v[32:33], v[32:33], v[10:11]
	;;#ASMEND
	;;#ASMSTART
	v_pk_mul_f32 v[20:21], v[20:21], v[10:11]
	;;#ASMEND
	;;#ASMSTART
	v_pk_mul_f32 v[24:25], v[24:25], v[10:11]
	;;#ASMEND
	;;#ASMSTART
	v_pk_mul_f32 v[22:23], v[22:23], v[10:11]
	;;#ASMEND
	;;#ASMSTART
	v_pk_mul_f32 v[6:7], v[18:19], v[10:11]
	;;#ASMEND
	v_pk_add_f32 v[10:11], v[26:27], 1.0 op_sel_hi:[1,0]
	;;#ASMSTART
	v_pk_mul_f32 v[26:27], v[12:13], v[10:11]
	;;#ASMEND
	v_cvt_f32_f16_sdwa v13, v8 dst_sel:DWORD dst_unused:UNUSED_PAD src0_sel:WORD_1
	v_cvt_f32_f16_e32 v12, v8
	v_cvt_f32_f16_sdwa v19, v9 dst_sel:DWORD dst_unused:UNUSED_PAD src0_sel:WORD_1
	v_cvt_f32_f16_e32 v18, v9
	v_pk_add_f32 v[10:11], v[28:29], 1.0 op_sel_hi:[1,0]
	;;#ASMSTART
	v_pk_mul_f32 v[30:31], v[14:15], v[10:11]
	;;#ASMEND
	s_waitcnt vmcnt(0)
	v_cvt_f32_f16_sdwa v11, v2 dst_sel:DWORD dst_unused:UNUSED_PAD src0_sel:WORD_1
	v_cvt_f32_f16_e32 v10, v2
	v_pk_add_f32 v[8:9], v[12:13], 1.0 op_sel_hi:[1,0]
	;;#ASMSTART
	v_pk_mul_f32 v[28:29], v[16:17], v[8:9]
	;;#ASMEND
	v_pk_add_f32 v[8:9], v[18:19], 1.0 op_sel_hi:[1,0]
	v_cvt_f32_f16_sdwa v13, v3 dst_sel:DWORD dst_unused:UNUSED_PAD src0_sel:WORD_1
	v_cvt_f32_f16_e32 v12, v3
	;;#ASMSTART
	v_pk_mul_f32 v[32:33], v[32:33], v[8:9]
	;;#ASMEND
	v_cvt_f32_f16_sdwa v9, v4 dst_sel:DWORD dst_unused:UNUSED_PAD src0_sel:WORD_1
	v_cvt_f32_f16_e32 v8, v4
	v_pk_add_f32 v[2:3], v[10:11], 1.0 op_sel_hi:[1,0]
	v_cvt_f32_f16_sdwa v11, v5 dst_sel:DWORD dst_unused:UNUSED_PAD src0_sel:WORD_1
	v_cvt_f32_f16_e32 v10, v5
	;;#ASMSTART
	v_pk_mul_f32 v[20:21], v[20:21], v[2:3]
	;;#ASMEND
	v_pk_add_f32 v[2:3], v[12:13], 1.0 op_sel_hi:[1,0]
	;;#ASMSTART
	v_pk_mul_f32 v[24:25], v[24:25], v[2:3]
	;;#ASMEND
	v_pk_add_f32 v[2:3], v[8:9], 1.0 op_sel_hi:[1,0]
	;; [unrolled: 4-line block ×3, first 2 shown]
	;;#ASMSTART
	v_pk_mul_f32 v[18:19], v[6:7], v[2:3]
	;;#ASMEND
	s_or_b64 exec, exec, s[26:27]
	s_mov_b64 s[2:3], -1
	s_and_b64 vcc, exec, s[22:23]
	s_cbranch_vccz .LBB841_15
.LBB841_19:
	s_and_saveexec_b64 s[2:3], s[0:1]
	s_cbranch_execz .LBB841_21
; %bb.20:
	s_mul_hi_i32 s23, s25, s6
	s_mul_i32 s22, s25, s6
	s_waitcnt vmcnt(0)
	v_cvt_f16_f32_e32 v2, v26
	v_cvt_f16_f32_e32 v3, v30
	v_cvt_f16_f32_e32 v4, v28
	v_cvt_f16_f32_e32 v5, v32
	v_cvt_f16_f32_e32 v6, v33
	v_cvt_f16_f32_e32 v7, v29
	v_cvt_f16_f32_e32 v8, v31
	v_cvt_f16_f32_e32 v9, v27
	s_lshl_b64 s[22:23], s[22:23], 1
	s_add_u32 s28, s14, s22
	s_addc_u32 s7, s15, s23
	s_and_b32 s29, s7, 0xffff
	s_mov_b32 s31, 0x20000
	v_pack_b32_f16 v5, v5, v6
	v_pack_b32_f16 v4, v4, v7
	;; [unrolled: 1-line block ×4, first 2 shown]
	v_lshlrev_b32_e32 v6, 5, v0
	buffer_store_dwordx4 v[2:5], v6, s[28:31], 0 offen
	v_cvt_f16_f32_e32 v7, v19
	v_cvt_f16_f32_e32 v2, v20
	;; [unrolled: 1-line block ×8, first 2 shown]
	v_pack_b32_f16 v5, v5, v7
	v_pack_b32_f16 v4, v4, v8
	;; [unrolled: 1-line block ×4, first 2 shown]
	;;#ASMSTART
	s_nop 0
	;;#ASMEND
	buffer_store_dwordx4 v[2:5], v6, s[28:31], 16 offen
	;;#ASMSTART
	s_nop 0
	;;#ASMEND
.LBB841_21:
	s_or_b64 exec, exec, s[2:3]
	s_cbranch_execnz .LBB841_16
.LBB841_22:
	s_and_saveexec_b64 s[2:3], s[0:1]
	s_cbranch_execz .LBB841_24
; %bb.23:
	s_load_dwordx2 s[0:1], s[4:5], 0x10
	s_mul_hi_i32 s23, s24, s6
	s_mul_i32 s22, s24, s6
	s_waitcnt vmcnt(0)
	v_cvt_f16_f32_e32 v2, v26
	v_cvt_f16_f32_e32 v3, v30
	;; [unrolled: 1-line block ×8, first 2 shown]
	s_lshl_b64 s[22:23], s[22:23], 1
	s_waitcnt lgkmcnt(0)
	s_add_u32 s28, s0, s22
	s_addc_u32 s0, s1, s23
	s_mov_b32 s31, 0x20000
	s_and_b32 s29, s0, 0xffff
	v_pack_b32_f16 v5, v5, v6
	v_pack_b32_f16 v4, v4, v7
	;; [unrolled: 1-line block ×4, first 2 shown]
	v_lshlrev_b32_e32 v6, 5, v0
	buffer_store_dwordx4 v[2:5], v6, s[28:31], 0 offen
	v_cvt_f16_f32_e32 v7, v19
	v_cvt_f16_f32_e32 v2, v20
	;; [unrolled: 1-line block ×8, first 2 shown]
	v_pack_b32_f16 v5, v5, v7
	v_pack_b32_f16 v4, v4, v8
	;; [unrolled: 1-line block ×4, first 2 shown]
	;;#ASMSTART
	s_nop 0
	;;#ASMEND
	buffer_store_dwordx4 v[2:5], v6, s[28:31], 16 offen
	;;#ASMSTART
	s_nop 0
	;;#ASMEND
.LBB841_24:
	s_or_b64 exec, exec, s[2:3]
	s_cmp_lt_i32 s16, 1
	s_cbranch_scc1 .LBB841_17
.LBB841_25:
	s_load_dword s0, s[4:5], 0x94
	s_waitcnt lgkmcnt(0)
	s_cmp_lg_u32 s0, 1
	s_cbranch_scc1 .LBB841_17
; %bb.26:
	s_lshl_b32 s0, s16, 1
	s_add_i32 s0, s0, 2
	v_cmp_gt_u32_e32 vcc, s16, v1
	s_and_b32 s22, s0, -4
	v_mov_b32_e32 v18, 0
	v_lshlrev_b32_e32 v1, 5, v0
	s_waitcnt vmcnt(2)
	v_mov_b32_e32 v14, 0
	v_mov_b32_e32 v15, 0
	;; [unrolled: 1-line block ×8, first 2 shown]
	s_waitcnt vmcnt(1)
	v_mov_b32_e32 v6, 0
	v_mov_b32_e32 v7, 0
	v_mov_b32_e32 v8, 0
	v_mov_b32_e32 v9, 0
	s_waitcnt vmcnt(0)
	v_mov_b32_e32 v2, 0
	v_mov_b32_e32 v3, 0
	;; [unrolled: 1-line block ×4, first 2 shown]
	s_barrier
	s_and_saveexec_b64 s[0:1], vcc
	s_cbranch_execz .LBB841_28
; %bb.27:
	s_mul_hi_i32 s3, s18, s6
	s_mul_i32 s2, s18, s6
	s_and_b32 s21, s21, 0xffff
	s_lshl_b64 s[2:3], s[2:3], 1
	s_add_u32 s28, s10, s2
	s_mov_b32 s23, 0x20000
	s_addc_u32 s2, s11, s3
	s_and_b32 s29, s2, 0xffff
	s_mov_b32 s30, s22
	s_mov_b32 s31, s23
	buffer_load_dwordx4 v[14:17], v1, s[28:31], 0 offen
	buffer_load_dwordx4 v[10:13], v1, s[28:31], 16 offen
	;; [unrolled: 1-line block ×4, first 2 shown]
.LBB841_28:
	s_or_b64 exec, exec, s[0:1]
	v_mov_b32_e32 v19, 0
	v_mov_b32_e32 v32, 0
	;; [unrolled: 1-line block ×15, first 2 shown]
	s_and_saveexec_b64 s[0:1], vcc
	s_cbranch_execz .LBB841_30
; %bb.29:
	s_waitcnt vmcnt(3)
	v_cvt_f32_f16_sdwa v19, v14 dst_sel:DWORD dst_unused:UNUSED_PAD src0_sel:WORD_1
	v_cvt_f32_f16_e32 v18, v14
	v_cvt_f32_f16_sdwa v33, v15 dst_sel:DWORD dst_unused:UNUSED_PAD src0_sel:WORD_1
	v_cvt_f32_f16_e32 v32, v15
	;; [unrolled: 2-line block ×4, first 2 shown]
	s_waitcnt vmcnt(2)
	v_cvt_f32_f16_sdwa v27, v10 dst_sel:DWORD dst_unused:UNUSED_PAD src0_sel:WORD_1
	v_cvt_f32_f16_e32 v26, v10
	v_cvt_f32_f16_sdwa v25, v11 dst_sel:DWORD dst_unused:UNUSED_PAD src0_sel:WORD_1
	v_cvt_f32_f16_e32 v24, v11
	;; [unrolled: 2-line block ×4, first 2 shown]
.LBB841_30:
	s_or_b64 exec, exec, s[0:1]
	s_waitcnt vmcnt(2)
	v_mul_f32_e32 v10, v19, v19
	v_fmac_f32_e32 v10, v18, v18
	v_fmac_f32_e32 v10, v32, v32
	;; [unrolled: 1-line block ×15, first 2 shown]
	s_nop 1
	v_mov_b32_dpp v11, v10 quad_perm:[1,0,3,2] row_mask:0xf bank_mask:0xf
	v_add_f32_e32 v10, v10, v11
	s_nop 1
	v_mov_b32_dpp v11, v10 quad_perm:[2,3,0,1] row_mask:0xf bank_mask:0xf
	v_add_f32_e32 v10, v10, v11
	s_nop 1
	v_mov_b32_dpp v11, v10 row_half_mirror row_mask:0xf bank_mask:0xf
	v_add_f32_e32 v10, v10, v11
	s_nop 1
	v_mov_b32_dpp v11, v10 row_mirror row_mask:0xf bank_mask:0xf
	v_add_f32_e32 v10, v10, v11
	s_nop 1
	v_mov_b32_dpp v11, v10 row_bcast:15 row_mask:0xf bank_mask:0xf
	v_add_f32_e32 v10, v10, v11
	s_nop 1
	v_mov_b32_dpp v11, v10 row_bcast:31 row_mask:0xf bank_mask:0xf
	s_and_saveexec_b64 s[0:1], s[8:9]
	s_cbranch_execz .LBB841_32
; %bb.31:
	v_lshrrev_b32_e32 v0, 4, v0
	v_add_f32_e32 v10, v10, v11
	v_and_b32_e32 v0, 60, v0
	ds_write_b32 v0, v10
.LBB841_32:
	s_or_b64 exec, exec, s[0:1]
	s_waitcnt lgkmcnt(0)
	s_barrier
	ds_read_b32 v0, v34
	s_waitcnt lgkmcnt(0)
	s_nop 0
	v_mov_b32_dpp v10, v0 quad_perm:[1,0,3,2] row_mask:0xf bank_mask:0xf
	v_add_f32_e32 v0, v0, v10
	s_nop 1
	v_mov_b32_dpp v10, v0 quad_perm:[2,3,0,1] row_mask:0xf bank_mask:0xf
	s_and_saveexec_b64 s[0:1], vcc
	s_cbranch_execz .LBB841_17
; %bb.33:
	v_cvt_f32_u32_e32 v11, s16
	v_add_f32_e32 v0, v0, v10
	s_mov_b32 s23, 0x20000
	v_div_scale_f32 v10, s[0:1], v11, v11, v0
	v_rcp_f32_e32 v12, v10
	v_div_scale_f32 v13, vcc, v0, v11, v0
	s_mov_b32 s0, 0x800000
	v_fma_f32 v14, -v10, v12, 1.0
	v_fmac_f32_e32 v12, v14, v12
	v_mul_f32_e32 v14, v13, v12
	v_fma_f32 v15, -v10, v14, v13
	v_fmac_f32_e32 v14, v15, v12
	v_fma_f32 v10, -v10, v14, v13
	v_div_fmas_f32 v10, v10, v12, v14
	v_div_fixup_f32 v0, v10, v11, v0
	v_add_f32_e32 v0, s13, v0
	v_mul_f32_e32 v10, 0x4b800000, v0
	v_cmp_gt_f32_e32 vcc, s0, v0
	v_cndmask_b32_e32 v0, v0, v10, vcc
	v_rsq_f32_e32 v0, v0
	s_mul_hi_i32 s1, s25, s6
	s_mul_i32 s0, s25, s6
	s_lshl_b64 s[0:1], s[0:1], 1
	v_mul_f32_e32 v10, 0x45800000, v0
	v_cndmask_b32_e32 v10, v0, v10, vcc
	v_mov_b32_e32 v11, v10
	;;#ASMSTART
	v_pk_mul_f32 v[12:13], v[18:19], v[10:11]
	;;#ASMEND
	;;#ASMSTART
	v_pk_mul_f32 v[14:15], v[32:33], v[10:11]
	;;#ASMEND
	;; [unrolled: 3-line block ×4, first 2 shown]
	s_waitcnt vmcnt(1)
	v_cvt_f32_f16_sdwa v29, v6 dst_sel:DWORD dst_unused:UNUSED_PAD src0_sel:WORD_1
	v_cvt_f32_f16_e32 v28, v6
	v_cvt_f32_f16_sdwa v31, v7 dst_sel:DWORD dst_unused:UNUSED_PAD src0_sel:WORD_1
	v_cvt_f32_f16_e32 v30, v7
	;;#ASMSTART
	v_pk_mul_f32 v[26:27], v[26:27], v[10:11]
	;;#ASMEND
	;;#ASMSTART
	v_pk_mul_f32 v[24:25], v[24:25], v[10:11]
	;;#ASMEND
	;; [unrolled: 3-line block ×4, first 2 shown]
	v_cvt_f32_f16_sdwa v21, v8 dst_sel:DWORD dst_unused:UNUSED_PAD src0_sel:WORD_1
	v_cvt_f32_f16_e32 v20, v8
	v_pk_add_f32 v[10:11], v[28:29], 1.0 op_sel_hi:[1,0]
	;;#ASMSTART
	v_pk_mul_f32 v[10:11], v[12:13], v[10:11]
	;;#ASMEND
	v_pk_add_f32 v[12:13], v[30:31], 1.0 op_sel_hi:[1,0]
	v_cvt_f32_f16_sdwa v29, v9 dst_sel:DWORD dst_unused:UNUSED_PAD src0_sel:WORD_1
	v_cvt_f32_f16_e32 v28, v9
	;;#ASMSTART
	v_pk_mul_f32 v[8:9], v[14:15], v[12:13]
	;;#ASMEND
	v_pk_add_f32 v[12:13], v[20:21], 1.0 op_sel_hi:[1,0]
	;;#ASMSTART
	v_pk_mul_f32 v[12:13], v[16:17], v[12:13]
	;;#ASMEND
	s_waitcnt vmcnt(0)
	v_cvt_f32_f16_sdwa v17, v2 dst_sel:DWORD dst_unused:UNUSED_PAD src0_sel:WORD_1
	v_cvt_f32_f16_e32 v16, v2
	v_cvt_f32_f16_sdwa v21, v3 dst_sel:DWORD dst_unused:UNUSED_PAD src0_sel:WORD_1
	v_cvt_f32_f16_e32 v20, v3
	v_pk_add_f32 v[14:15], v[28:29], 1.0 op_sel_hi:[1,0]
	;;#ASMSTART
	v_pk_mul_f32 v[2:3], v[18:19], v[14:15]
	;;#ASMEND
	v_cvt_f32_f16_sdwa v19, v4 dst_sel:DWORD dst_unused:UNUSED_PAD src0_sel:WORD_1
	v_cvt_f32_f16_e32 v18, v4
	v_pk_add_f32 v[14:15], v[16:17], 1.0 op_sel_hi:[1,0]
	v_pk_add_f32 v[16:17], v[20:21], 1.0 op_sel_hi:[1,0]
	v_cvt_f32_f16_sdwa v21, v5 dst_sel:DWORD dst_unused:UNUSED_PAD src0_sel:WORD_1
	v_cvt_f32_f16_e32 v20, v5
	v_pk_add_f32 v[4:5], v[18:19], 1.0 op_sel_hi:[1,0]
	;;#ASMSTART
	v_pk_mul_f32 v[14:15], v[26:27], v[14:15]
	;;#ASMEND
	;;#ASMSTART
	v_pk_mul_f32 v[16:17], v[24:25], v[16:17]
	;;#ASMEND
	;; [unrolled: 3-line block ×3, first 2 shown]
	v_pk_add_f32 v[4:5], v[20:21], 1.0 op_sel_hi:[1,0]
	;;#ASMSTART
	v_pk_mul_f32 v[6:7], v[6:7], v[4:5]
	;;#ASMEND
	v_cvt_f16_f32_e32 v0, v10
	v_cvt_f16_f32_e32 v4, v11
	;; [unrolled: 1-line block ×8, first 2 shown]
	s_add_u32 s20, s14, s0
	s_addc_u32 s0, s15, s1
	s_and_b32 s21, s0, 0xffff
	v_pack_b32_f16 v2, v0, v4
	v_pack_b32_f16 v3, v5, v8
	;; [unrolled: 1-line block ×4, first 2 shown]
	buffer_store_dwordx4 v[2:5], v1, s[20:23], 0 offen
	v_cvt_f16_f32_e32 v0, v14
	v_cvt_f16_f32_e32 v2, v15
	;; [unrolled: 1-line block ×8, first 2 shown]
	v_pack_b32_f16 v2, v0, v2
	v_pack_b32_f16 v3, v3, v4
	;; [unrolled: 1-line block ×4, first 2 shown]
	;;#ASMSTART
	s_nop 0
	;;#ASMEND
	buffer_store_dwordx4 v[2:5], v1, s[20:23], 16 offen
	;;#ASMSTART
	s_nop 0
	;;#ASMEND
	s_endpgm
	.section	.rodata,"a",@progbits
	.p2align	6, 0x0
	.amdhsa_kernel _ZN5aiter35fused_qk_rmsnorm_group_quant_kernelIDF16_DB8_Li256ELi16ELi2ELb1ELb1ELb1ELb1ELb0ELb0EEEvPT0_PvPT_S6_S6_PKS5_S8_S8_S8_S8_ffiiiiiiiiiiiii
		.amdhsa_group_segment_fixed_size 32
		.amdhsa_private_segment_fixed_size 0
		.amdhsa_kernarg_size 400
		.amdhsa_user_sgpr_count 6
		.amdhsa_user_sgpr_private_segment_buffer 1
		.amdhsa_user_sgpr_dispatch_ptr 0
		.amdhsa_user_sgpr_queue_ptr 0
		.amdhsa_user_sgpr_kernarg_segment_ptr 1
		.amdhsa_user_sgpr_dispatch_id 0
		.amdhsa_user_sgpr_flat_scratch_init 0
		.amdhsa_user_sgpr_kernarg_preload_length 0
		.amdhsa_user_sgpr_kernarg_preload_offset 0
		.amdhsa_user_sgpr_private_segment_size 0
		.amdhsa_uses_dynamic_stack 0
		.amdhsa_system_sgpr_private_segment_wavefront_offset 0
		.amdhsa_system_sgpr_workgroup_id_x 1
		.amdhsa_system_sgpr_workgroup_id_y 1
		.amdhsa_system_sgpr_workgroup_id_z 0
		.amdhsa_system_sgpr_workgroup_info 0
		.amdhsa_system_vgpr_workitem_id 0
		.amdhsa_next_free_vgpr 49
		.amdhsa_next_free_sgpr 32
		.amdhsa_accum_offset 52
		.amdhsa_reserve_vcc 1
		.amdhsa_reserve_flat_scratch 0
		.amdhsa_float_round_mode_32 0
		.amdhsa_float_round_mode_16_64 0
		.amdhsa_float_denorm_mode_32 3
		.amdhsa_float_denorm_mode_16_64 3
		.amdhsa_dx10_clamp 1
		.amdhsa_ieee_mode 1
		.amdhsa_fp16_overflow 0
		.amdhsa_tg_split 0
		.amdhsa_exception_fp_ieee_invalid_op 0
		.amdhsa_exception_fp_denorm_src 0
		.amdhsa_exception_fp_ieee_div_zero 0
		.amdhsa_exception_fp_ieee_overflow 0
		.amdhsa_exception_fp_ieee_underflow 0
		.amdhsa_exception_fp_ieee_inexact 0
		.amdhsa_exception_int_div_zero 0
	.end_amdhsa_kernel
	.section	.text._ZN5aiter35fused_qk_rmsnorm_group_quant_kernelIDF16_DB8_Li256ELi16ELi2ELb1ELb1ELb1ELb1ELb0ELb0EEEvPT0_PvPT_S6_S6_PKS5_S8_S8_S8_S8_ffiiiiiiiiiiiii,"axG",@progbits,_ZN5aiter35fused_qk_rmsnorm_group_quant_kernelIDF16_DB8_Li256ELi16ELi2ELb1ELb1ELb1ELb1ELb0ELb0EEEvPT0_PvPT_S6_S6_PKS5_S8_S8_S8_S8_ffiiiiiiiiiiiii,comdat
.Lfunc_end841:
	.size	_ZN5aiter35fused_qk_rmsnorm_group_quant_kernelIDF16_DB8_Li256ELi16ELi2ELb1ELb1ELb1ELb1ELb0ELb0EEEvPT0_PvPT_S6_S6_PKS5_S8_S8_S8_S8_ffiiiiiiiiiiiii, .Lfunc_end841-_ZN5aiter35fused_qk_rmsnorm_group_quant_kernelIDF16_DB8_Li256ELi16ELi2ELb1ELb1ELb1ELb1ELb0ELb0EEEvPT0_PvPT_S6_S6_PKS5_S8_S8_S8_S8_ffiiiiiiiiiiiii
                                        ; -- End function
	.section	.AMDGPU.csdata,"",@progbits
; Kernel info:
; codeLenInByte = 3608
; NumSgprs: 36
; NumVgprs: 49
; NumAgprs: 0
; TotalNumVgprs: 49
; ScratchSize: 0
; MemoryBound: 0
; FloatMode: 240
; IeeeMode: 1
; LDSByteSize: 32 bytes/workgroup (compile time only)
; SGPRBlocks: 4
; VGPRBlocks: 6
; NumSGPRsForWavesPerEU: 36
; NumVGPRsForWavesPerEU: 49
; AccumOffset: 52
; Occupancy: 8
; WaveLimiterHint : 0
; COMPUTE_PGM_RSRC2:SCRATCH_EN: 0
; COMPUTE_PGM_RSRC2:USER_SGPR: 6
; COMPUTE_PGM_RSRC2:TRAP_HANDLER: 0
; COMPUTE_PGM_RSRC2:TGID_X_EN: 1
; COMPUTE_PGM_RSRC2:TGID_Y_EN: 1
; COMPUTE_PGM_RSRC2:TGID_Z_EN: 0
; COMPUTE_PGM_RSRC2:TIDIG_COMP_CNT: 0
; COMPUTE_PGM_RSRC3_GFX90A:ACCUM_OFFSET: 12
; COMPUTE_PGM_RSRC3_GFX90A:TG_SPLIT: 0
	.section	.text._ZN5aiter35fused_qk_rmsnorm_group_quant_kernelItDB8_Li256ELi16ELi2ELb1ELb1ELb1ELb1ELb0ELb0EEEvPT0_PvPT_S6_S6_PKS5_S8_S8_S8_S8_ffiiiiiiiiiiiii,"axG",@progbits,_ZN5aiter35fused_qk_rmsnorm_group_quant_kernelItDB8_Li256ELi16ELi2ELb1ELb1ELb1ELb1ELb0ELb0EEEvPT0_PvPT_S6_S6_PKS5_S8_S8_S8_S8_ffiiiiiiiiiiiii,comdat
	.protected	_ZN5aiter35fused_qk_rmsnorm_group_quant_kernelItDB8_Li256ELi16ELi2ELb1ELb1ELb1ELb1ELb0ELb0EEEvPT0_PvPT_S6_S6_PKS5_S8_S8_S8_S8_ffiiiiiiiiiiiii ; -- Begin function _ZN5aiter35fused_qk_rmsnorm_group_quant_kernelItDB8_Li256ELi16ELi2ELb1ELb1ELb1ELb1ELb0ELb0EEEvPT0_PvPT_S6_S6_PKS5_S8_S8_S8_S8_ffiiiiiiiiiiiii
	.globl	_ZN5aiter35fused_qk_rmsnorm_group_quant_kernelItDB8_Li256ELi16ELi2ELb1ELb1ELb1ELb1ELb0ELb0EEEvPT0_PvPT_S6_S6_PKS5_S8_S8_S8_S8_ffiiiiiiiiiiiii
	.p2align	8
	.type	_ZN5aiter35fused_qk_rmsnorm_group_quant_kernelItDB8_Li256ELi16ELi2ELb1ELb1ELb1ELb1ELb0ELb0EEEvPT0_PvPT_S6_S6_PKS5_S8_S8_S8_S8_ffiiiiiiiiiiiii,@function
_ZN5aiter35fused_qk_rmsnorm_group_quant_kernelItDB8_Li256ELi16ELi2ELb1ELb1ELb1ELb1ELb0ELb0EEEvPT0_PvPT_S6_S6_PKS5_S8_S8_S8_S8_ffiiiiiiiiiiiii: ; @_ZN5aiter35fused_qk_rmsnorm_group_quant_kernelItDB8_Li256ELi16ELi2ELb1ELb1ELb1ELb1ELb0ELb0EEEvPT0_PvPT_S6_S6_PKS5_S8_S8_S8_S8_ffiiiiiiiiiiiii
; %bb.0:
	s_load_dwordx8 s[12:19], s[4:5], 0x50
	s_waitcnt lgkmcnt(0)
	s_cmp_ge_i32 s6, s14
	s_cbranch_scc1 .LBB842_17
; %bb.1:
	s_cmp_lg_u32 s7, 0
	s_cselect_b64 s[22:23], -1, 0
	s_cmp_eq_u32 s7, 0
	s_cselect_b64 s[2:3], -1, 0
	s_and_b64 s[0:1], s[2:3], exec
	s_cselect_b32 s7, s15, s16
	s_load_dwordx2 s[10:11], s[4:5], 0x30
	s_load_dwordx2 s[20:21], s[4:5], 0x48
	s_add_i32 s0, s7, 1
	s_lshr_b32 s1, s0, 31
	s_add_i32 s0, s0, s1
	s_lshl_b32 s0, s0, 1
	v_lshlrev_b32_e32 v1, 4, v0
	s_and_b32 s30, s0, -4
	v_cmp_gt_i32_e64 s[0:1], s7, v1
	v_mov_b32_e32 v62, 0
	v_mov_b32_e32 v63, 0
	;; [unrolled: 1-line block ×16, first 2 shown]
	s_and_saveexec_b64 s[8:9], s[0:1]
	s_cbranch_execz .LBB842_3
; %bb.2:
	s_load_dwordx2 s[14:15], s[4:5], 0x28
	s_load_dwordx2 s[26:27], s[4:5], 0x40
	s_and_b64 s[24:25], s[2:3], exec
	s_cselect_b32 s17, s17, s18
	s_mov_b32 s31, 0x20000
	s_waitcnt lgkmcnt(0)
	s_cselect_b32 s25, s15, s11
	s_cselect_b32 s24, s14, s10
	s_mul_hi_i32 s15, s17, s6
	s_mul_i32 s14, s17, s6
	s_lshl_b64 s[14:15], s[14:15], 1
	s_add_u32 s24, s24, s14
	s_addc_u32 s17, s25, s15
	s_and_b64 s[14:15], s[2:3], exec
	s_cselect_b32 s28, s26, s20
	s_cselect_b32 s14, s27, s21
	s_and_b32 s25, s17, 0xffff
	s_mov_b32 s26, s30
	s_mov_b32 s27, s31
	v_lshlrev_b32_e32 v2, 5, v0
	s_and_b32 s29, s14, 0xffff
	buffer_load_dwordx4 v[66:69], v2, s[24:27], 0 offen
	buffer_load_dwordx4 v[70:73], v2, s[24:27], 16 offen
	;; [unrolled: 1-line block ×4, first 2 shown]
.LBB842_3:
	s_or_b64 exec, exec, s[8:9]
	s_load_dwordx4 s[24:27], s[4:5], 0x7c
	s_and_b64 vcc, exec, s[22:23]
	s_cbranch_vccz .LBB842_7
; %bb.4:
	v_mov_b32_e32 v75, 0
	v_mov_b32_e32 v74, 0
	;; [unrolled: 1-line block ×16, first 2 shown]
	s_and_saveexec_b64 s[8:9], s[0:1]
	s_cbranch_execz .LBB842_6
; %bb.5:
	s_waitcnt vmcnt(3)
	v_cvt_f32_u32_sdwa v2, v66 dst_sel:DWORD dst_unused:UNUSED_PAD src0_sel:WORD_0
	v_cvt_f32_u32_sdwa v3, v66 dst_sel:DWORD dst_unused:UNUSED_PAD src0_sel:WORD_1
	v_cvt_f32_u32_sdwa v6, v67 dst_sel:DWORD dst_unused:UNUSED_PAD src0_sel:WORD_0
	v_cvt_f32_u32_sdwa v7, v67 dst_sel:DWORD dst_unused:UNUSED_PAD src0_sel:WORD_1
	;; [unrolled: 2-line block ×4, first 2 shown]
	s_waitcnt vmcnt(2)
	v_cvt_f32_u32_sdwa v50, v70 dst_sel:DWORD dst_unused:UNUSED_PAD src0_sel:WORD_0
	v_cvt_f32_u32_sdwa v51, v70 dst_sel:DWORD dst_unused:UNUSED_PAD src0_sel:WORD_1
	v_cvt_f32_u32_sdwa v24, v71 dst_sel:DWORD dst_unused:UNUSED_PAD src0_sel:WORD_0
	v_cvt_f32_u32_sdwa v25, v71 dst_sel:DWORD dst_unused:UNUSED_PAD src0_sel:WORD_1
	;; [unrolled: 2-line block ×4, first 2 shown]
.LBB842_6:
	s_or_b64 exec, exec, s[8:9]
	s_cbranch_execz .LBB842_8
	s_branch .LBB842_11
.LBB842_7:
                                        ; implicit-def: $vgpr2_vgpr3_vgpr4_vgpr5_vgpr6_vgpr7_vgpr8_vgpr9_vgpr10_vgpr11_vgpr12_vgpr13_vgpr14_vgpr15_vgpr16_vgpr17
                                        ; implicit-def: $vgpr36_vgpr37_vgpr38_vgpr39_vgpr40_vgpr41_vgpr42_vgpr43_vgpr44_vgpr45_vgpr46_vgpr47_vgpr48_vgpr49_vgpr50_vgpr51
                                        ; implicit-def: $vgpr4_vgpr5_vgpr6_vgpr7_vgpr8_vgpr9_vgpr10_vgpr11_vgpr12_vgpr13_vgpr14_vgpr15_vgpr16_vgpr17_vgpr18_vgpr19
                                        ; implicit-def: $vgpr24_vgpr25_vgpr26_vgpr27_vgpr28_vgpr29_vgpr30_vgpr31_vgpr32_vgpr33_vgpr34_vgpr35_vgpr36_vgpr37_vgpr38_vgpr39
                                        ; implicit-def: $vgpr75
                                        ; implicit-def: $vgpr42_vgpr43_vgpr44_vgpr45_vgpr46_vgpr47_vgpr48_vgpr49_vgpr50_vgpr51_vgpr52_vgpr53_vgpr54_vgpr55_vgpr56_vgpr57
                                        ; implicit-def: $vgpr14_vgpr15_vgpr16_vgpr17_vgpr18_vgpr19_vgpr20_vgpr21_vgpr22_vgpr23_vgpr24_vgpr25_vgpr26_vgpr27_vgpr28_vgpr29
                                        ; implicit-def: $vgpr8_vgpr9_vgpr10_vgpr11_vgpr12_vgpr13_vgpr14_vgpr15_vgpr16_vgpr17_vgpr18_vgpr19_vgpr20_vgpr21_vgpr22_vgpr23
.LBB842_8:
	v_mov_b32_e32 v75, 0
	v_mov_b32_e32 v74, 0
	;; [unrolled: 1-line block ×16, first 2 shown]
	s_and_saveexec_b64 s[8:9], s[0:1]
	s_cbranch_execz .LBB842_10
; %bb.9:
	s_load_dwordx2 s[14:15], s[4:5], 0x38
	s_mul_hi_i32 s29, s19, s6
	s_mul_i32 s28, s19, s6
	s_lshl_b64 s[28:29], s[28:29], 1
	s_mov_b32 s31, 0x20000
	s_waitcnt lgkmcnt(0)
	s_add_u32 s28, s14, s28
	s_addc_u32 s14, s15, s29
	s_and_b32 s29, s14, 0xffff
	v_lshlrev_b32_e32 v38, 5, v0
	buffer_load_dwordx4 v[6:9], v38, s[28:31], 16 offen
	buffer_load_dwordx4 v[10:13], v38, s[28:31], 0 offen
	s_load_dwordx2 s[14:15], s[4:5], 0x20
	s_waitcnt vmcnt(5)
	v_cvt_f32_u32_sdwa v3, v66 dst_sel:DWORD dst_unused:UNUSED_PAD src0_sel:WORD_1
	v_cvt_f32_u32_sdwa v2, v66 dst_sel:DWORD dst_unused:UNUSED_PAD src0_sel:WORD_0
	v_cvt_f32_u32_sdwa v21, v67 dst_sel:DWORD dst_unused:UNUSED_PAD src0_sel:WORD_1
	v_cvt_f32_u32_sdwa v20, v67 dst_sel:DWORD dst_unused:UNUSED_PAD src0_sel:WORD_0
	;; [unrolled: 2-line block ×4, first 2 shown]
	s_waitcnt vmcnt(4)
	v_cvt_f32_u32_sdwa v5, v70 dst_sel:DWORD dst_unused:UNUSED_PAD src0_sel:WORD_1
	v_cvt_f32_u32_sdwa v4, v70 dst_sel:DWORD dst_unused:UNUSED_PAD src0_sel:WORD_0
	v_cvt_f32_u32_sdwa v15, v71 dst_sel:DWORD dst_unused:UNUSED_PAD src0_sel:WORD_1
	v_cvt_f32_u32_sdwa v14, v71 dst_sel:DWORD dst_unused:UNUSED_PAD src0_sel:WORD_0
	v_cvt_f32_u32_sdwa v17, v72 dst_sel:DWORD dst_unused:UNUSED_PAD src0_sel:WORD_1
	v_cvt_f32_u32_sdwa v16, v72 dst_sel:DWORD dst_unused:UNUSED_PAD src0_sel:WORD_0
	v_cvt_f32_u32_sdwa v18, v73 dst_sel:DWORD dst_unused:UNUSED_PAD src0_sel:WORD_0
	v_cvt_f32_u32_sdwa v19, v73 dst_sel:DWORD dst_unused:UNUSED_PAD src0_sel:WORD_1
	s_mul_hi_i32 s27, s26, s6
	s_mul_i32 s26, s26, s6
	s_lshl_b64 s[26:27], s[26:27], 1
	s_waitcnt lgkmcnt(0)
	s_add_u32 s28, s14, s26
	s_mov_b32 s17, 0x7060302
	s_addc_u32 s14, s15, s27
	s_and_b32 s29, s14, 0xffff
	s_waitcnt vmcnt(1)
	v_cvt_f32_u32_sdwa v27, v6 dst_sel:DWORD dst_unused:UNUSED_PAD src0_sel:WORD_1
	v_cvt_f32_u32_sdwa v26, v6 dst_sel:DWORD dst_unused:UNUSED_PAD src0_sel:WORD_0
	v_cvt_f32_u32_sdwa v29, v7 dst_sel:DWORD dst_unused:UNUSED_PAD src0_sel:WORD_1
	v_cvt_f32_u32_sdwa v28, v7 dst_sel:DWORD dst_unused:UNUSED_PAD src0_sel:WORD_0
	;; [unrolled: 2-line block ×3, first 2 shown]
	v_cvt_f32_u32_sdwa v34, v9 dst_sel:DWORD dst_unused:UNUSED_PAD src0_sel:WORD_0
	v_cvt_f32_u32_sdwa v35, v9 dst_sel:DWORD dst_unused:UNUSED_PAD src0_sel:WORD_1
	s_waitcnt vmcnt(0)
	v_cvt_f32_u32_sdwa v37, v10 dst_sel:DWORD dst_unused:UNUSED_PAD src0_sel:WORD_1
	v_cvt_f32_u32_sdwa v36, v10 dst_sel:DWORD dst_unused:UNUSED_PAD src0_sel:WORD_0
	v_cvt_f32_u32_sdwa v7, v12 dst_sel:DWORD dst_unused:UNUSED_PAD src0_sel:WORD_1
	v_cvt_f32_u32_sdwa v6, v12 dst_sel:DWORD dst_unused:UNUSED_PAD src0_sel:WORD_0
	;; [unrolled: 2-line block ×4, first 2 shown]
	v_pk_add_f32 v[40:41], v[22:23], v[6:7]
	v_pk_add_f32 v[30:31], v[24:25], v[8:9]
	;; [unrolled: 1-line block ×4, first 2 shown]
	v_perm_b32 v11, v31, v30, s17
	v_perm_b32 v10, v41, v40, s17
	;; [unrolled: 1-line block ×4, first 2 shown]
	v_pk_add_f32 v[74:75], v[18:19], v[34:35]
	v_pk_add_f32 v[20:21], v[16:17], v[32:33]
	;; [unrolled: 1-line block ×4, first 2 shown]
	buffer_store_dwordx4 v[8:11], v38, s[28:31], 0 offen
	;;#ASMSTART
	s_nop 0
	;;#ASMEND
	s_nop 0
	v_perm_b32 v11, v75, v74, s17
	v_perm_b32 v10, v21, v20, s17
	;; [unrolled: 1-line block ×4, first 2 shown]
	buffer_store_dwordx4 v[8:11], v38, s[28:31], 16 offen
	;;#ASMSTART
	s_nop 0
	;;#ASMEND
.LBB842_10:
	s_or_b64 exec, exec, s[8:9]
.LBB842_11:
	v_mul_f32_e32 v4, v3, v3
	v_fmac_f32_e32 v4, v2, v2
	v_fmac_f32_e32 v4, v6, v6
	;; [unrolled: 1-line block ×15, first 2 shown]
	s_nop 1
	v_mov_b32_dpp v5, v4 quad_perm:[1,0,3,2] row_mask:0xf bank_mask:0xf
	v_add_f32_e32 v4, v4, v5
	s_nop 1
	v_mov_b32_dpp v5, v4 quad_perm:[2,3,0,1] row_mask:0xf bank_mask:0xf
	v_add_f32_e32 v4, v4, v5
	s_nop 1
	v_mov_b32_dpp v5, v4 row_half_mirror row_mask:0xf bank_mask:0xf
	v_add_f32_e32 v4, v4, v5
	s_nop 1
	v_mov_b32_dpp v5, v4 row_mirror row_mask:0xf bank_mask:0xf
	v_add_f32_e32 v4, v4, v5
	s_nop 1
	v_mov_b32_dpp v5, v4 row_bcast:15 row_mask:0xf bank_mask:0xf
	v_add_f32_e32 v4, v4, v5
	v_and_b32_e32 v5, 63, v0
	v_cmp_eq_u32_e64 s[8:9], 63, v5
	s_nop 0
	v_mov_b32_dpp v5, v4 row_bcast:31 row_mask:0xf bank_mask:0xf
	s_and_saveexec_b64 s[14:15], s[8:9]
	s_cbranch_execz .LBB842_13
; %bb.12:
	v_add_f32_e32 v4, v4, v5
	v_lshrrev_b32_e32 v5, 4, v0
	v_and_b32_e32 v5, 60, v5
	ds_write_b32 v5, v4 offset:16
.LBB842_13:
	s_or_b64 exec, exec, s[14:15]
	v_and_b32_e32 v4, 3, v0
	v_lshlrev_b32_e32 v34, 2, v4
	s_waitcnt lgkmcnt(0)
	s_barrier
	ds_read_b32 v4, v34 offset:16
	s_load_dwordx2 s[14:15], s[4:5], 0x18
	s_waitcnt lgkmcnt(0)
	v_mov_b32_dpp v5, v4 quad_perm:[1,0,3,2] row_mask:0xf bank_mask:0xf
	v_add_f32_e32 v4, v4, v5
	s_nop 1
	v_mov_b32_dpp v5, v4 quad_perm:[2,3,0,1] row_mask:0xf bank_mask:0xf
	s_and_saveexec_b64 s[26:27], s[0:1]
	s_cbranch_execnz .LBB842_18
; %bb.14:
	s_or_b64 exec, exec, s[26:27]
	s_mov_b64 s[2:3], -1
	s_and_b64 vcc, exec, s[22:23]
	s_cbranch_vccnz .LBB842_19
.LBB842_15:
	s_andn2_b64 vcc, exec, s[2:3]
	s_cbranch_vccz .LBB842_22
.LBB842_16:
	s_cmp_lt_i32 s16, 1
	s_cbranch_scc0 .LBB842_25
.LBB842_17:
	s_endpgm
.LBB842_18:
	v_add_f32_e32 v4, v4, v5
	v_cvt_f32_u32_e32 v5, s7
	s_waitcnt vmcnt(1)
	v_cvt_f32_u32_sdwa v15, v62 dst_sel:DWORD dst_unused:UNUSED_PAD src0_sel:WORD_1
	v_cvt_f32_u32_sdwa v14, v62 dst_sel:DWORD dst_unused:UNUSED_PAD src0_sel:WORD_0
	v_cvt_f32_u32_sdwa v23, v65 dst_sel:DWORD dst_unused:UNUSED_PAD src0_sel:WORD_1
	v_div_scale_f32 v8, s[28:29], v5, v5, v4
	v_rcp_f32_e32 v9, v8
	v_pk_add_f32 v[14:15], v[14:15], 1.0 op_sel_hi:[1,0]
	v_cvt_f32_u32_sdwa v22, v65 dst_sel:DWORD dst_unused:UNUSED_PAD src0_sel:WORD_0
	s_waitcnt vmcnt(0)
	v_cvt_f32_u32_sdwa v27, v60 dst_sel:DWORD dst_unused:UNUSED_PAD src0_sel:WORD_1
	v_fma_f32 v10, -v8, v9, 1.0
	v_fmac_f32_e32 v9, v10, v9
	v_div_scale_f32 v10, vcc, v4, v5, v4
	v_mul_f32_e32 v11, v10, v9
	v_fma_f32 v12, -v8, v11, v10
	v_fmac_f32_e32 v11, v12, v9
	v_fma_f32 v8, -v8, v11, v10
	v_div_fmas_f32 v8, v8, v9, v11
	v_div_fixup_f32 v4, v8, v5, v4
	v_mov_b32_e32 v5, s13
	v_mov_b32_e32 v8, s12
	v_cndmask_b32_e64 v5, v5, v8, s[2:3]
	v_add_f32_e32 v4, v5, v4
	s_mov_b32 s2, 0x800000
	v_mul_f32_e32 v5, 0x4b800000, v4
	v_cmp_gt_f32_e32 vcc, s2, v4
	v_cndmask_b32_e32 v4, v4, v5, vcc
	v_rsq_f32_e32 v4, v4
	v_cvt_f32_u32_sdwa v26, v60 dst_sel:DWORD dst_unused:UNUSED_PAD src0_sel:WORD_0
	v_cvt_f32_u32_sdwa v29, v61 dst_sel:DWORD dst_unused:UNUSED_PAD src0_sel:WORD_1
	v_cvt_f32_u32_sdwa v28, v61 dst_sel:DWORD dst_unused:UNUSED_PAD src0_sel:WORD_0
	v_mul_f32_e32 v5, 0x45800000, v4
	v_cndmask_b32_e32 v4, v4, v5, vcc
	v_mov_b32_e32 v5, v4
	;;#ASMSTART
	v_pk_mul_f32 v[2:3], v[2:3], v[4:5]
	;;#ASMEND
	;;#ASMSTART
	v_pk_mul_f32 v[6:7], v[6:7], v[4:5]
	;;#ASMEND
	;; [unrolled: 3-line block ×9, first 2 shown]
	v_cvt_f32_u32_sdwa v15, v63 dst_sel:DWORD dst_unused:UNUSED_PAD src0_sel:WORD_1
	v_cvt_f32_u32_sdwa v14, v63 dst_sel:DWORD dst_unused:UNUSED_PAD src0_sel:WORD_0
	v_cvt_f32_u32_sdwa v21, v64 dst_sel:DWORD dst_unused:UNUSED_PAD src0_sel:WORD_1
	v_cvt_f32_u32_sdwa v20, v64 dst_sel:DWORD dst_unused:UNUSED_PAD src0_sel:WORD_0
	v_cvt_f32_u32_sdwa v25, v59 dst_sel:DWORD dst_unused:UNUSED_PAD src0_sel:WORD_1
	v_pk_add_f32 v[14:15], v[14:15], 1.0 op_sel_hi:[1,0]
	v_cvt_f32_u32_sdwa v24, v59 dst_sel:DWORD dst_unused:UNUSED_PAD src0_sel:WORD_0
	;;#ASMSTART
	v_pk_mul_f32 v[6:7], v[6:7], v[14:15]
	;;#ASMEND
	v_pk_add_f32 v[14:15], v[20:21], 1.0 op_sel_hi:[1,0]
	v_pk_add_f32 v[20:21], v[22:23], 1.0 op_sel_hi:[1,0]
	v_cvt_f32_u32_sdwa v23, v58 dst_sel:DWORD dst_unused:UNUSED_PAD src0_sel:WORD_1
	v_cvt_f32_u32_sdwa v22, v58 dst_sel:DWORD dst_unused:UNUSED_PAD src0_sel:WORD_0
	v_pk_add_f32 v[24:25], v[24:25], 1.0 op_sel_hi:[1,0]
	v_pk_add_f32 v[26:27], v[26:27], 1.0 op_sel_hi:[1,0]
	;; [unrolled: 1-line block ×4, first 2 shown]
	;;#ASMSTART
	v_pk_mul_f32 v[40:41], v[8:9], v[14:15]
	;;#ASMEND
	;;#ASMSTART
	v_pk_mul_f32 v[30:31], v[10:11], v[20:21]
	;;#ASMEND
	;;#ASMSTART
	v_pk_mul_f32 v[50:51], v[12:13], v[22:23]
	;;#ASMEND
	;;#ASMSTART
	v_pk_mul_f32 v[24:25], v[16:17], v[24:25]
	;;#ASMEND
	;;#ASMSTART
	v_pk_mul_f32 v[20:21], v[18:19], v[26:27]
	;;#ASMEND
	;;#ASMSTART
	v_pk_mul_f32 v[74:75], v[4:5], v[28:29]
	;;#ASMEND
	s_or_b64 exec, exec, s[26:27]
	s_mov_b64 s[2:3], -1
	s_and_b64 vcc, exec, s[22:23]
	s_cbranch_vccz .LBB842_15
.LBB842_19:
	s_and_saveexec_b64 s[2:3], s[0:1]
	s_cbranch_execz .LBB842_21
; %bb.20:
	s_mul_hi_i32 s23, s25, s6
	s_mul_i32 s22, s25, s6
	s_lshl_b64 s[22:23], s[22:23], 1
	s_add_u32 s28, s14, s22
	s_addc_u32 s7, s15, s23
	s_and_b32 s29, s7, 0xffff
	s_mov_b32 s7, 0x7060302
	s_mov_b32 s31, 0x20000
	v_perm_b32 v11, v31, v30, s7
	v_perm_b32 v10, v41, v40, s7
	;; [unrolled: 1-line block ×4, first 2 shown]
	v_lshlrev_b32_e32 v4, 5, v0
	buffer_store_dwordx4 v[8:11], v4, s[28:31], 0 offen
	;;#ASMSTART
	s_nop 0
	;;#ASMEND
	s_nop 0
	v_perm_b32 v11, v75, v74, s7
	v_perm_b32 v10, v21, v20, s7
	;; [unrolled: 1-line block ×4, first 2 shown]
	buffer_store_dwordx4 v[8:11], v4, s[28:31], 16 offen
	;;#ASMSTART
	s_nop 0
	;;#ASMEND
.LBB842_21:
	s_or_b64 exec, exec, s[2:3]
	s_cbranch_execnz .LBB842_16
.LBB842_22:
	s_and_saveexec_b64 s[2:3], s[0:1]
	s_cbranch_execz .LBB842_24
; %bb.23:
	s_load_dwordx2 s[0:1], s[4:5], 0x10
	s_mul_hi_i32 s23, s24, s6
	s_mul_i32 s22, s24, s6
	s_lshl_b64 s[22:23], s[22:23], 1
	s_mov_b32 s7, 0x7060302
	s_waitcnt lgkmcnt(0)
	s_add_u32 s28, s0, s22
	s_addc_u32 s0, s1, s23
	v_perm_b32 v9, v31, v30, s7
	v_perm_b32 v8, v41, v40, s7
	;; [unrolled: 1-line block ×4, first 2 shown]
	s_and_b32 s29, s0, 0xffff
	s_mov_b32 s31, 0x20000
	v_lshlrev_b32_e32 v10, 5, v0
	v_perm_b32 v5, v75, v74, s7
	v_perm_b32 v4, v21, v20, s7
	;; [unrolled: 1-line block ×4, first 2 shown]
	buffer_store_dwordx4 v[6:9], v10, s[28:31], 0 offen
	;;#ASMSTART
	s_nop 0
	;;#ASMEND
	buffer_store_dwordx4 v[2:5], v10, s[28:31], 16 offen
	;;#ASMSTART
	s_nop 0
	;;#ASMEND
.LBB842_24:
	s_or_b64 exec, exec, s[2:3]
	s_cmp_lt_i32 s16, 1
	s_cbranch_scc1 .LBB842_17
.LBB842_25:
	s_load_dword s0, s[4:5], 0x94
	s_waitcnt lgkmcnt(0)
	s_cmp_lg_u32 s0, 1
	s_cbranch_scc1 .LBB842_17
; %bb.26:
	s_lshl_b32 s0, s16, 1
	s_add_i32 s0, s0, 2
	v_cmp_gt_u32_e32 vcc, s16, v1
	s_and_b32 s22, s0, -4
	v_mov_b32_e32 v18, 0
	v_lshlrev_b32_e32 v1, 5, v0
	v_mov_b32_e32 v14, 0
	v_mov_b32_e32 v15, 0
	;; [unrolled: 1-line block ×16, first 2 shown]
	s_barrier
	s_and_saveexec_b64 s[0:1], vcc
	s_cbranch_execz .LBB842_28
; %bb.27:
	s_mul_hi_i32 s3, s18, s6
	s_mul_i32 s2, s18, s6
	s_and_b32 s21, s21, 0xffff
	s_lshl_b64 s[2:3], s[2:3], 1
	s_add_u32 s28, s10, s2
	s_mov_b32 s23, 0x20000
	s_addc_u32 s2, s11, s3
	s_and_b32 s29, s2, 0xffff
	s_mov_b32 s30, s22
	s_mov_b32 s31, s23
	buffer_load_dwordx4 v[14:17], v1, s[28:31], 0 offen
	buffer_load_dwordx4 v[10:13], v1, s[28:31], 16 offen
	;; [unrolled: 1-line block ×4, first 2 shown]
.LBB842_28:
	s_or_b64 exec, exec, s[0:1]
	v_mov_b32_e32 v19, 0
	v_mov_b32_e32 v32, 0
	;; [unrolled: 1-line block ×15, first 2 shown]
	s_and_saveexec_b64 s[0:1], vcc
	s_cbranch_execz .LBB842_30
; %bb.29:
	s_waitcnt vmcnt(3)
	v_cvt_f32_u32_sdwa v18, v14 dst_sel:DWORD dst_unused:UNUSED_PAD src0_sel:WORD_0
	v_cvt_f32_u32_sdwa v19, v14 dst_sel:DWORD dst_unused:UNUSED_PAD src0_sel:WORD_1
	v_cvt_f32_u32_sdwa v32, v15 dst_sel:DWORD dst_unused:UNUSED_PAD src0_sel:WORD_0
	v_cvt_f32_u32_sdwa v33, v15 dst_sel:DWORD dst_unused:UNUSED_PAD src0_sel:WORD_1
	;; [unrolled: 2-line block ×4, first 2 shown]
	s_waitcnt vmcnt(2)
	v_cvt_f32_u32_sdwa v26, v10 dst_sel:DWORD dst_unused:UNUSED_PAD src0_sel:WORD_0
	v_cvt_f32_u32_sdwa v27, v10 dst_sel:DWORD dst_unused:UNUSED_PAD src0_sel:WORD_1
	v_cvt_f32_u32_sdwa v24, v11 dst_sel:DWORD dst_unused:UNUSED_PAD src0_sel:WORD_0
	v_cvt_f32_u32_sdwa v25, v11 dst_sel:DWORD dst_unused:UNUSED_PAD src0_sel:WORD_1
	;; [unrolled: 2-line block ×4, first 2 shown]
.LBB842_30:
	s_or_b64 exec, exec, s[0:1]
	s_waitcnt vmcnt(2)
	v_mul_f32_e32 v10, v19, v19
	v_fmac_f32_e32 v10, v18, v18
	v_fmac_f32_e32 v10, v32, v32
	v_fmac_f32_e32 v10, v33, v33
	v_fmac_f32_e32 v10, v30, v30
	v_fmac_f32_e32 v10, v31, v31
	v_fmac_f32_e32 v10, v28, v28
	v_fmac_f32_e32 v10, v29, v29
	v_fmac_f32_e32 v10, v26, v26
	v_fmac_f32_e32 v10, v27, v27
	v_fmac_f32_e32 v10, v24, v24
	v_fmac_f32_e32 v10, v25, v25
	v_fmac_f32_e32 v10, v22, v22
	v_fmac_f32_e32 v10, v23, v23
	v_fmac_f32_e32 v10, v20, v20
	v_fmac_f32_e32 v10, v21, v21
	s_nop 1
	v_mov_b32_dpp v11, v10 quad_perm:[1,0,3,2] row_mask:0xf bank_mask:0xf
	v_add_f32_e32 v10, v10, v11
	s_nop 1
	v_mov_b32_dpp v11, v10 quad_perm:[2,3,0,1] row_mask:0xf bank_mask:0xf
	v_add_f32_e32 v10, v10, v11
	s_nop 1
	v_mov_b32_dpp v11, v10 row_half_mirror row_mask:0xf bank_mask:0xf
	v_add_f32_e32 v10, v10, v11
	s_nop 1
	v_mov_b32_dpp v11, v10 row_mirror row_mask:0xf bank_mask:0xf
	v_add_f32_e32 v10, v10, v11
	s_nop 1
	v_mov_b32_dpp v11, v10 row_bcast:15 row_mask:0xf bank_mask:0xf
	v_add_f32_e32 v10, v10, v11
	s_nop 1
	v_mov_b32_dpp v11, v10 row_bcast:31 row_mask:0xf bank_mask:0xf
	s_and_saveexec_b64 s[0:1], s[8:9]
	s_cbranch_execz .LBB842_32
; %bb.31:
	v_lshrrev_b32_e32 v0, 4, v0
	v_add_f32_e32 v10, v10, v11
	v_and_b32_e32 v0, 60, v0
	ds_write_b32 v0, v10
.LBB842_32:
	s_or_b64 exec, exec, s[0:1]
	s_waitcnt lgkmcnt(0)
	s_barrier
	ds_read_b32 v0, v34
	s_waitcnt lgkmcnt(0)
	s_nop 0
	v_mov_b32_dpp v10, v0 quad_perm:[1,0,3,2] row_mask:0xf bank_mask:0xf
	v_add_f32_e32 v0, v0, v10
	s_nop 1
	v_mov_b32_dpp v10, v0 quad_perm:[2,3,0,1] row_mask:0xf bank_mask:0xf
	s_and_saveexec_b64 s[0:1], vcc
	s_cbranch_execz .LBB842_17
; %bb.33:
	v_cvt_f32_u32_e32 v11, s16
	v_add_f32_e32 v0, v0, v10
	s_mov_b32 s23, 0x20000
	v_div_scale_f32 v10, s[0:1], v11, v11, v0
	v_rcp_f32_e32 v12, v10
	v_div_scale_f32 v13, vcc, v0, v11, v0
	s_mov_b32 s0, 0x800000
	v_fma_f32 v14, -v10, v12, 1.0
	v_fmac_f32_e32 v12, v14, v12
	v_mul_f32_e32 v14, v13, v12
	v_fma_f32 v15, -v10, v14, v13
	v_fmac_f32_e32 v14, v15, v12
	v_fma_f32 v10, -v10, v14, v13
	v_div_fmas_f32 v10, v10, v12, v14
	v_div_fixup_f32 v0, v10, v11, v0
	v_add_f32_e32 v0, s13, v0
	v_mul_f32_e32 v10, 0x4b800000, v0
	v_cmp_gt_f32_e32 vcc, s0, v0
	v_cndmask_b32_e32 v0, v0, v10, vcc
	v_rsq_f32_e32 v0, v0
	s_mul_hi_i32 s1, s25, s6
	s_mul_i32 s0, s25, s6
	s_lshl_b64 s[0:1], s[0:1], 1
	v_mul_f32_e32 v10, 0x45800000, v0
	v_cndmask_b32_e32 v10, v0, v10, vcc
	v_mov_b32_e32 v11, v10
	;;#ASMSTART
	v_pk_mul_f32 v[12:13], v[18:19], v[10:11]
	;;#ASMEND
	;;#ASMSTART
	v_pk_mul_f32 v[14:15], v[32:33], v[10:11]
	;;#ASMEND
	;; [unrolled: 3-line block ×4, first 2 shown]
	s_waitcnt vmcnt(1)
	v_cvt_f32_u32_sdwa v29, v6 dst_sel:DWORD dst_unused:UNUSED_PAD src0_sel:WORD_1
	v_cvt_f32_u32_sdwa v28, v6 dst_sel:DWORD dst_unused:UNUSED_PAD src0_sel:WORD_0
	v_cvt_f32_u32_sdwa v31, v7 dst_sel:DWORD dst_unused:UNUSED_PAD src0_sel:WORD_1
	v_cvt_f32_u32_sdwa v30, v7 dst_sel:DWORD dst_unused:UNUSED_PAD src0_sel:WORD_0
	;;#ASMSTART
	v_pk_mul_f32 v[26:27], v[26:27], v[10:11]
	;;#ASMEND
	;;#ASMSTART
	v_pk_mul_f32 v[24:25], v[24:25], v[10:11]
	;;#ASMEND
	;; [unrolled: 3-line block ×4, first 2 shown]
	v_cvt_f32_u32_sdwa v21, v8 dst_sel:DWORD dst_unused:UNUSED_PAD src0_sel:WORD_1
	v_cvt_f32_u32_sdwa v20, v8 dst_sel:DWORD dst_unused:UNUSED_PAD src0_sel:WORD_0
	v_pk_add_f32 v[10:11], v[28:29], 1.0 op_sel_hi:[1,0]
	;;#ASMSTART
	v_pk_mul_f32 v[10:11], v[12:13], v[10:11]
	;;#ASMEND
	v_pk_add_f32 v[12:13], v[30:31], 1.0 op_sel_hi:[1,0]
	v_cvt_f32_u32_sdwa v29, v9 dst_sel:DWORD dst_unused:UNUSED_PAD src0_sel:WORD_1
	v_cvt_f32_u32_sdwa v28, v9 dst_sel:DWORD dst_unused:UNUSED_PAD src0_sel:WORD_0
	;;#ASMSTART
	v_pk_mul_f32 v[8:9], v[14:15], v[12:13]
	;;#ASMEND
	v_pk_add_f32 v[12:13], v[20:21], 1.0 op_sel_hi:[1,0]
	;;#ASMSTART
	v_pk_mul_f32 v[12:13], v[16:17], v[12:13]
	;;#ASMEND
	s_waitcnt vmcnt(0)
	v_cvt_f32_u32_sdwa v17, v2 dst_sel:DWORD dst_unused:UNUSED_PAD src0_sel:WORD_1
	v_cvt_f32_u32_sdwa v16, v2 dst_sel:DWORD dst_unused:UNUSED_PAD src0_sel:WORD_0
	v_cvt_f32_u32_sdwa v21, v3 dst_sel:DWORD dst_unused:UNUSED_PAD src0_sel:WORD_1
	v_cvt_f32_u32_sdwa v20, v3 dst_sel:DWORD dst_unused:UNUSED_PAD src0_sel:WORD_0
	v_pk_add_f32 v[14:15], v[28:29], 1.0 op_sel_hi:[1,0]
	;;#ASMSTART
	v_pk_mul_f32 v[14:15], v[18:19], v[14:15]
	;;#ASMEND
	v_pk_add_f32 v[2:3], v[16:17], 1.0 op_sel_hi:[1,0]
	v_cvt_f32_u32_sdwa v19, v4 dst_sel:DWORD dst_unused:UNUSED_PAD src0_sel:WORD_1
	v_cvt_f32_u32_sdwa v18, v4 dst_sel:DWORD dst_unused:UNUSED_PAD src0_sel:WORD_0
	;;#ASMSTART
	v_pk_mul_f32 v[16:17], v[26:27], v[2:3]
	;;#ASMEND
	v_pk_add_f32 v[2:3], v[20:21], 1.0 op_sel_hi:[1,0]
	v_cvt_f32_u32_sdwa v21, v5 dst_sel:DWORD dst_unused:UNUSED_PAD src0_sel:WORD_1
	v_cvt_f32_u32_sdwa v20, v5 dst_sel:DWORD dst_unused:UNUSED_PAD src0_sel:WORD_0
	s_add_u32 s20, s14, s0
	;;#ASMSTART
	v_pk_mul_f32 v[24:25], v[24:25], v[2:3]
	;;#ASMEND
	v_pk_add_f32 v[2:3], v[18:19], 1.0 op_sel_hi:[1,0]
	s_addc_u32 s0, s15, s1
	;;#ASMSTART
	v_pk_mul_f32 v[18:19], v[22:23], v[2:3]
	;;#ASMEND
	v_pk_add_f32 v[2:3], v[20:21], 1.0 op_sel_hi:[1,0]
	s_and_b32 s21, s0, 0xffff
	s_mov_b32 s0, 0x7060302
	;;#ASMSTART
	v_pk_mul_f32 v[6:7], v[6:7], v[2:3]
	;;#ASMEND
	v_perm_b32 v2, v11, v10, s0
	v_perm_b32 v3, v9, v8, s0
	;; [unrolled: 1-line block ×4, first 2 shown]
	buffer_store_dwordx4 v[2:5], v1, s[20:23], 0 offen
	;;#ASMSTART
	s_nop 0
	;;#ASMEND
	s_nop 0
	v_perm_b32 v2, v17, v16, s0
	v_perm_b32 v3, v25, v24, s0
	;; [unrolled: 1-line block ×4, first 2 shown]
	buffer_store_dwordx4 v[2:5], v1, s[20:23], 16 offen
	;;#ASMSTART
	s_nop 0
	;;#ASMEND
	s_endpgm
	.section	.rodata,"a",@progbits
	.p2align	6, 0x0
	.amdhsa_kernel _ZN5aiter35fused_qk_rmsnorm_group_quant_kernelItDB8_Li256ELi16ELi2ELb1ELb1ELb1ELb1ELb0ELb0EEEvPT0_PvPT_S6_S6_PKS5_S8_S8_S8_S8_ffiiiiiiiiiiiii
		.amdhsa_group_segment_fixed_size 32
		.amdhsa_private_segment_fixed_size 0
		.amdhsa_kernarg_size 400
		.amdhsa_user_sgpr_count 6
		.amdhsa_user_sgpr_private_segment_buffer 1
		.amdhsa_user_sgpr_dispatch_ptr 0
		.amdhsa_user_sgpr_queue_ptr 0
		.amdhsa_user_sgpr_kernarg_segment_ptr 1
		.amdhsa_user_sgpr_dispatch_id 0
		.amdhsa_user_sgpr_flat_scratch_init 0
		.amdhsa_user_sgpr_kernarg_preload_length 0
		.amdhsa_user_sgpr_kernarg_preload_offset 0
		.amdhsa_user_sgpr_private_segment_size 0
		.amdhsa_uses_dynamic_stack 0
		.amdhsa_system_sgpr_private_segment_wavefront_offset 0
		.amdhsa_system_sgpr_workgroup_id_x 1
		.amdhsa_system_sgpr_workgroup_id_y 1
		.amdhsa_system_sgpr_workgroup_id_z 0
		.amdhsa_system_sgpr_workgroup_info 0
		.amdhsa_system_vgpr_workitem_id 0
		.amdhsa_next_free_vgpr 76
		.amdhsa_next_free_sgpr 32
		.amdhsa_accum_offset 76
		.amdhsa_reserve_vcc 1
		.amdhsa_reserve_flat_scratch 0
		.amdhsa_float_round_mode_32 0
		.amdhsa_float_round_mode_16_64 0
		.amdhsa_float_denorm_mode_32 3
		.amdhsa_float_denorm_mode_16_64 3
		.amdhsa_dx10_clamp 1
		.amdhsa_ieee_mode 1
		.amdhsa_fp16_overflow 0
		.amdhsa_tg_split 0
		.amdhsa_exception_fp_ieee_invalid_op 0
		.amdhsa_exception_fp_denorm_src 0
		.amdhsa_exception_fp_ieee_div_zero 0
		.amdhsa_exception_fp_ieee_overflow 0
		.amdhsa_exception_fp_ieee_underflow 0
		.amdhsa_exception_fp_ieee_inexact 0
		.amdhsa_exception_int_div_zero 0
	.end_amdhsa_kernel
	.section	.text._ZN5aiter35fused_qk_rmsnorm_group_quant_kernelItDB8_Li256ELi16ELi2ELb1ELb1ELb1ELb1ELb0ELb0EEEvPT0_PvPT_S6_S6_PKS5_S8_S8_S8_S8_ffiiiiiiiiiiiii,"axG",@progbits,_ZN5aiter35fused_qk_rmsnorm_group_quant_kernelItDB8_Li256ELi16ELi2ELb1ELb1ELb1ELb1ELb0ELb0EEEvPT0_PvPT_S6_S6_PKS5_S8_S8_S8_S8_ffiiiiiiiiiiiii,comdat
.Lfunc_end842:
	.size	_ZN5aiter35fused_qk_rmsnorm_group_quant_kernelItDB8_Li256ELi16ELi2ELb1ELb1ELb1ELb1ELb0ELb0EEEvPT0_PvPT_S6_S6_PKS5_S8_S8_S8_S8_ffiiiiiiiiiiiii, .Lfunc_end842-_ZN5aiter35fused_qk_rmsnorm_group_quant_kernelItDB8_Li256ELi16ELi2ELb1ELb1ELb1ELb1ELb0ELb0EEEvPT0_PvPT_S6_S6_PKS5_S8_S8_S8_S8_ffiiiiiiiiiiiii
                                        ; -- End function
	.section	.AMDGPU.csdata,"",@progbits
; Kernel info:
; codeLenInByte = 3568
; NumSgprs: 36
; NumVgprs: 76
; NumAgprs: 0
; TotalNumVgprs: 76
; ScratchSize: 0
; MemoryBound: 0
; FloatMode: 240
; IeeeMode: 1
; LDSByteSize: 32 bytes/workgroup (compile time only)
; SGPRBlocks: 4
; VGPRBlocks: 9
; NumSGPRsForWavesPerEU: 36
; NumVGPRsForWavesPerEU: 76
; AccumOffset: 76
; Occupancy: 6
; WaveLimiterHint : 0
; COMPUTE_PGM_RSRC2:SCRATCH_EN: 0
; COMPUTE_PGM_RSRC2:USER_SGPR: 6
; COMPUTE_PGM_RSRC2:TRAP_HANDLER: 0
; COMPUTE_PGM_RSRC2:TGID_X_EN: 1
; COMPUTE_PGM_RSRC2:TGID_Y_EN: 1
; COMPUTE_PGM_RSRC2:TGID_Z_EN: 0
; COMPUTE_PGM_RSRC2:TIDIG_COMP_CNT: 0
; COMPUTE_PGM_RSRC3_GFX90A:ACCUM_OFFSET: 18
; COMPUTE_PGM_RSRC3_GFX90A:TG_SPLIT: 0
	.section	.text._ZN5aiter35fused_qk_rmsnorm_group_quant_kernelIDF16_N4opus5fp4_tELi256ELi16ELi2ELb1ELb1ELb1ELb1ELb0ELb0EEEvPT0_PvPT_S7_S7_PKS6_S9_S9_S9_S9_ffiiiiiiiiiiiii,"axG",@progbits,_ZN5aiter35fused_qk_rmsnorm_group_quant_kernelIDF16_N4opus5fp4_tELi256ELi16ELi2ELb1ELb1ELb1ELb1ELb0ELb0EEEvPT0_PvPT_S7_S7_PKS6_S9_S9_S9_S9_ffiiiiiiiiiiiii,comdat
	.protected	_ZN5aiter35fused_qk_rmsnorm_group_quant_kernelIDF16_N4opus5fp4_tELi256ELi16ELi2ELb1ELb1ELb1ELb1ELb0ELb0EEEvPT0_PvPT_S7_S7_PKS6_S9_S9_S9_S9_ffiiiiiiiiiiiii ; -- Begin function _ZN5aiter35fused_qk_rmsnorm_group_quant_kernelIDF16_N4opus5fp4_tELi256ELi16ELi2ELb1ELb1ELb1ELb1ELb0ELb0EEEvPT0_PvPT_S7_S7_PKS6_S9_S9_S9_S9_ffiiiiiiiiiiiii
	.globl	_ZN5aiter35fused_qk_rmsnorm_group_quant_kernelIDF16_N4opus5fp4_tELi256ELi16ELi2ELb1ELb1ELb1ELb1ELb0ELb0EEEvPT0_PvPT_S7_S7_PKS6_S9_S9_S9_S9_ffiiiiiiiiiiiii
	.p2align	8
	.type	_ZN5aiter35fused_qk_rmsnorm_group_quant_kernelIDF16_N4opus5fp4_tELi256ELi16ELi2ELb1ELb1ELb1ELb1ELb0ELb0EEEvPT0_PvPT_S7_S7_PKS6_S9_S9_S9_S9_ffiiiiiiiiiiiii,@function
_ZN5aiter35fused_qk_rmsnorm_group_quant_kernelIDF16_N4opus5fp4_tELi256ELi16ELi2ELb1ELb1ELb1ELb1ELb0ELb0EEEvPT0_PvPT_S7_S7_PKS6_S9_S9_S9_S9_ffiiiiiiiiiiiii: ; @_ZN5aiter35fused_qk_rmsnorm_group_quant_kernelIDF16_N4opus5fp4_tELi256ELi16ELi2ELb1ELb1ELb1ELb1ELb0ELb0EEEvPT0_PvPT_S7_S7_PKS6_S9_S9_S9_S9_ffiiiiiiiiiiiii
; %bb.0:
	s_load_dwordx8 s[12:19], s[4:5], 0x50
	s_waitcnt lgkmcnt(0)
	s_cmp_ge_i32 s6, s14
	s_cbranch_scc1 .LBB843_17
; %bb.1:
	s_cmp_lg_u32 s7, 0
	s_cselect_b64 s[22:23], -1, 0
	s_cmp_eq_u32 s7, 0
	s_cselect_b64 s[2:3], -1, 0
	s_and_b64 s[0:1], s[2:3], exec
	s_cselect_b32 s7, s15, s16
	s_load_dwordx2 s[10:11], s[4:5], 0x30
	s_load_dwordx2 s[20:21], s[4:5], 0x48
	s_add_i32 s0, s7, 1
	s_lshr_b32 s1, s0, 31
	s_add_i32 s0, s0, s1
	s_lshl_b32 s0, s0, 1
	v_lshlrev_b32_e32 v1, 4, v0
	s_and_b32 s30, s0, -4
	v_cmp_gt_i32_e64 s[0:1], s7, v1
	v_mov_b32_e32 v6, 0
	v_mov_b32_e32 v7, 0
	;; [unrolled: 1-line block ×16, first 2 shown]
	s_and_saveexec_b64 s[8:9], s[0:1]
	s_cbranch_execz .LBB843_3
; %bb.2:
	s_load_dwordx2 s[14:15], s[4:5], 0x28
	s_load_dwordx2 s[26:27], s[4:5], 0x40
	s_and_b64 s[24:25], s[2:3], exec
	s_cselect_b32 s17, s17, s18
	s_mov_b32 s31, 0x20000
	s_waitcnt lgkmcnt(0)
	s_cselect_b32 s25, s15, s11
	s_cselect_b32 s24, s14, s10
	s_mul_hi_i32 s15, s17, s6
	s_mul_i32 s14, s17, s6
	s_lshl_b64 s[14:15], s[14:15], 1
	s_add_u32 s24, s24, s14
	s_addc_u32 s17, s25, s15
	s_and_b64 s[14:15], s[2:3], exec
	s_cselect_b32 s28, s26, s20
	s_cselect_b32 s14, s27, s21
	s_and_b32 s25, s17, 0xffff
	s_mov_b32 s26, s30
	s_mov_b32 s27, s31
	v_lshlrev_b32_e32 v18, 5, v0
	s_and_b32 s29, s14, 0xffff
	buffer_load_dwordx4 v[10:13], v18, s[24:27], 0 offen
	buffer_load_dwordx4 v[14:17], v18, s[24:27], 16 offen
	buffer_load_dwordx4 v[6:9], v18, s[28:31], 0 offen
	buffer_load_dwordx4 v[2:5], v18, s[28:31], 16 offen
.LBB843_3:
	s_or_b64 exec, exec, s[8:9]
	s_load_dwordx4 s[24:27], s[4:5], 0x7c
	s_and_b64 vcc, exec, s[22:23]
	s_cbranch_vccz .LBB843_7
; %bb.4:
	v_mov_b32_e32 v19, 0
	v_mov_b32_e32 v18, 0
	v_mov_b32_e32 v23, 0
	v_mov_b32_e32 v22, 0
	v_mov_b32_e32 v25, 0
	v_mov_b32_e32 v24, 0
	v_mov_b32_e32 v21, 0
	v_mov_b32_e32 v20, 0
	v_mov_b32_e32 v33, 0
	v_mov_b32_e32 v32, 0
	v_mov_b32_e32 v29, 0
	v_mov_b32_e32 v28, 0
	v_mov_b32_e32 v31, 0
	v_mov_b32_e32 v30, 0
	v_mov_b32_e32 v27, 0
	v_mov_b32_e32 v26, 0
	s_and_saveexec_b64 s[8:9], s[0:1]
	s_cbranch_execz .LBB843_6
; %bb.5:
	s_waitcnt vmcnt(3)
	v_cvt_f32_f16_sdwa v27, v10 dst_sel:DWORD dst_unused:UNUSED_PAD src0_sel:WORD_1
	v_cvt_f32_f16_e32 v26, v10
	v_cvt_f32_f16_sdwa v31, v11 dst_sel:DWORD dst_unused:UNUSED_PAD src0_sel:WORD_1
	v_cvt_f32_f16_e32 v30, v11
	;; [unrolled: 2-line block ×4, first 2 shown]
	s_waitcnt vmcnt(2)
	v_cvt_f32_f16_sdwa v21, v14 dst_sel:DWORD dst_unused:UNUSED_PAD src0_sel:WORD_1
	v_cvt_f32_f16_e32 v20, v14
	v_cvt_f32_f16_sdwa v25, v15 dst_sel:DWORD dst_unused:UNUSED_PAD src0_sel:WORD_1
	v_cvt_f32_f16_e32 v24, v15
	;; [unrolled: 2-line block ×4, first 2 shown]
.LBB843_6:
	s_or_b64 exec, exec, s[8:9]
	s_cbranch_execz .LBB843_8
	s_branch .LBB843_11
.LBB843_7:
                                        ; implicit-def: $vgpr19
                                        ; implicit-def: $vgpr23
                                        ; implicit-def: $vgpr25
                                        ; implicit-def: $vgpr21
                                        ; implicit-def: $vgpr33
                                        ; implicit-def: $vgpr29
                                        ; implicit-def: $vgpr31
                                        ; implicit-def: $vgpr27
.LBB843_8:
	v_mov_b32_e32 v19, 0
	v_mov_b32_e32 v18, 0
	;; [unrolled: 1-line block ×16, first 2 shown]
	s_and_saveexec_b64 s[8:9], s[0:1]
	s_cbranch_execz .LBB843_10
; %bb.9:
	s_load_dwordx2 s[14:15], s[4:5], 0x38
	s_mul_hi_i32 s29, s19, s6
	s_mul_i32 s28, s19, s6
	s_lshl_b64 s[28:29], s[28:29], 1
	s_mov_b32 s31, 0x20000
	s_waitcnt lgkmcnt(0)
	s_add_u32 s28, s14, s28
	s_addc_u32 s14, s15, s29
	s_and_b32 s29, s14, 0xffff
	v_lshlrev_b32_e32 v48, 5, v0
	buffer_load_dwordx4 v[18:21], v48, s[28:31], 16 offen
	buffer_load_dwordx4 v[22:25], v48, s[28:31], 0 offen
	s_waitcnt vmcnt(4)
	v_cvt_f32_f16_sdwa v27, v14 dst_sel:DWORD dst_unused:UNUSED_PAD src0_sel:WORD_1
	v_cvt_f32_f16_e32 v26, v14
	v_cvt_f32_f16_sdwa v29, v15 dst_sel:DWORD dst_unused:UNUSED_PAD src0_sel:WORD_1
	v_cvt_f32_f16_e32 v28, v15
	;; [unrolled: 2-line block ×8, first 2 shown]
	s_load_dwordx2 s[14:15], s[4:5], 0x20
	s_mul_hi_i32 s27, s26, s6
	s_mul_i32 s26, s26, s6
	s_lshl_b64 s[26:27], s[26:27], 1
	s_waitcnt lgkmcnt(0)
	s_add_u32 s28, s14, s26
	s_addc_u32 s14, s15, s27
	s_and_b32 s29, s14, 0xffff
	s_waitcnt vmcnt(1)
	v_cvt_f32_f16_e32 v12, v18
	v_cvt_f32_f16_sdwa v13, v18 dst_sel:DWORD dst_unused:UNUSED_PAD src0_sel:WORD_1
	v_cvt_f32_f16_e32 v18, v19
	v_cvt_f32_f16_sdwa v19, v19 dst_sel:DWORD dst_unused:UNUSED_PAD src0_sel:WORD_1
	;; [unrolled: 2-line block ×4, first 2 shown]
	s_waitcnt vmcnt(0)
	v_cvt_f32_f16_e32 v40, v22
	v_cvt_f32_f16_sdwa v41, v22 dst_sel:DWORD dst_unused:UNUSED_PAD src0_sel:WORD_1
	v_cvt_f32_f16_e32 v42, v23
	v_cvt_f32_f16_sdwa v43, v23 dst_sel:DWORD dst_unused:UNUSED_PAD src0_sel:WORD_1
	;; [unrolled: 2-line block ×4, first 2 shown]
	v_pk_add_f32 v[20:21], v[26:27], v[12:13]
	v_pk_add_f32 v[24:25], v[28:29], v[18:19]
	;; [unrolled: 1-line block ×8, first 2 shown]
	v_cvt_f16_f32_e32 v10, v27
	v_cvt_f16_f32_e32 v14, v26
	;; [unrolled: 1-line block ×16, first 2 shown]
	v_pack_b32_f16 v13, v17, v13
	v_pack_b32_f16 v12, v16, v12
	;; [unrolled: 1-line block ×8, first 2 shown]
	buffer_store_dwordx4 v[10:13], v48, s[28:31], 0 offen
	;;#ASMSTART
	s_nop 0
	;;#ASMEND
	buffer_store_dwordx4 v[14:17], v48, s[28:31], 16 offen
	;;#ASMSTART
	s_nop 0
	;;#ASMEND
.LBB843_10:
	s_or_b64 exec, exec, s[8:9]
.LBB843_11:
	s_waitcnt vmcnt(3)
	v_mul_f32_e32 v10, v27, v27
	v_fmac_f32_e32 v10, v26, v26
	v_fmac_f32_e32 v10, v30, v30
	;; [unrolled: 1-line block ×15, first 2 shown]
	v_and_b32_e32 v12, 63, v0
	v_cmp_eq_u32_e64 s[8:9], 63, v12
	v_mov_b32_dpp v11, v10 quad_perm:[1,0,3,2] row_mask:0xf bank_mask:0xf
	v_add_f32_e32 v10, v10, v11
	s_nop 1
	v_mov_b32_dpp v11, v10 quad_perm:[2,3,0,1] row_mask:0xf bank_mask:0xf
	v_add_f32_e32 v10, v10, v11
	s_nop 1
	v_mov_b32_dpp v11, v10 row_half_mirror row_mask:0xf bank_mask:0xf
	v_add_f32_e32 v10, v10, v11
	s_nop 1
	v_mov_b32_dpp v11, v10 row_mirror row_mask:0xf bank_mask:0xf
	v_add_f32_e32 v10, v10, v11
	s_nop 1
	v_mov_b32_dpp v11, v10 row_bcast:15 row_mask:0xf bank_mask:0xf
	v_add_f32_e32 v10, v10, v11
	s_nop 1
	v_mov_b32_dpp v11, v10 row_bcast:31 row_mask:0xf bank_mask:0xf
	s_and_saveexec_b64 s[14:15], s[8:9]
	s_cbranch_execz .LBB843_13
; %bb.12:
	v_add_f32_e32 v10, v10, v11
	v_lshrrev_b32_e32 v11, 4, v0
	v_and_b32_e32 v11, 60, v11
	ds_write_b32 v11, v10 offset:16
.LBB843_13:
	s_or_b64 exec, exec, s[14:15]
	v_and_b32_e32 v10, 3, v0
	v_lshlrev_b32_e32 v34, 2, v10
	s_waitcnt lgkmcnt(0)
	s_barrier
	ds_read_b32 v10, v34 offset:16
	s_load_dwordx2 s[14:15], s[4:5], 0x18
	s_waitcnt lgkmcnt(0)
	v_mov_b32_dpp v11, v10 quad_perm:[1,0,3,2] row_mask:0xf bank_mask:0xf
	v_add_f32_e32 v10, v10, v11
	s_nop 1
	v_mov_b32_dpp v11, v10 quad_perm:[2,3,0,1] row_mask:0xf bank_mask:0xf
	s_and_saveexec_b64 s[26:27], s[0:1]
	s_cbranch_execnz .LBB843_18
; %bb.14:
	s_or_b64 exec, exec, s[26:27]
	s_mov_b64 s[2:3], -1
	s_and_b64 vcc, exec, s[22:23]
	s_cbranch_vccnz .LBB843_19
.LBB843_15:
	s_andn2_b64 vcc, exec, s[2:3]
	s_cbranch_vccz .LBB843_22
.LBB843_16:
	s_cmp_lt_i32 s16, 1
	s_cbranch_scc0 .LBB843_25
.LBB843_17:
	s_endpgm
.LBB843_18:
	v_cvt_f32_u32_e32 v12, s7
	v_add_f32_e32 v10, v10, v11
	s_waitcnt vmcnt(2)
	v_mov_b32_e32 v14, s13
	v_mov_b32_e32 v15, s12
	v_div_scale_f32 v11, s[28:29], v12, v12, v10
	v_rcp_f32_e32 v13, v11
	v_cndmask_b32_e64 v14, v14, v15, s[2:3]
	s_mov_b32 s2, 0x800000
	v_fma_f32 v15, -v11, v13, 1.0
	v_fmac_f32_e32 v13, v15, v13
	v_div_scale_f32 v15, vcc, v10, v12, v10
	v_mul_f32_e32 v16, v15, v13
	v_fma_f32 v17, -v11, v16, v15
	v_fmac_f32_e32 v16, v17, v13
	v_fma_f32 v11, -v11, v16, v15
	v_div_fmas_f32 v11, v11, v13, v16
	v_div_fixup_f32 v10, v11, v12, v10
	v_add_f32_e32 v10, v14, v10
	v_mul_f32_e32 v11, 0x4b800000, v10
	v_cmp_gt_f32_e32 vcc, s2, v10
	v_cndmask_b32_e32 v10, v10, v11, vcc
	v_rsq_f32_e32 v10, v10
	v_mul_f32_e32 v11, 0x45800000, v10
	v_cndmask_b32_e32 v10, v10, v11, vcc
	v_mov_b32_e32 v11, v10
	;;#ASMSTART
	v_pk_mul_f32 v[12:13], v[26:27], v[10:11]
	;;#ASMEND
	s_waitcnt vmcnt(1)
	v_cvt_f32_f16_sdwa v27, v6 dst_sel:DWORD dst_unused:UNUSED_PAD src0_sel:WORD_1
	v_cvt_f32_f16_e32 v26, v6
	;;#ASMSTART
	v_pk_mul_f32 v[14:15], v[30:31], v[10:11]
	;;#ASMEND
	;;#ASMSTART
	v_pk_mul_f32 v[16:17], v[28:29], v[10:11]
	;;#ASMEND
	v_cvt_f32_f16_sdwa v29, v7 dst_sel:DWORD dst_unused:UNUSED_PAD src0_sel:WORD_1
	v_cvt_f32_f16_e32 v28, v7
	;;#ASMSTART
	v_pk_mul_f32 v[32:33], v[32:33], v[10:11]
	;;#ASMEND
	;;#ASMSTART
	v_pk_mul_f32 v[20:21], v[20:21], v[10:11]
	;;#ASMEND
	;; [unrolled: 3-line block ×5, first 2 shown]
	v_pk_add_f32 v[10:11], v[26:27], 1.0 op_sel_hi:[1,0]
	;;#ASMSTART
	v_pk_mul_f32 v[26:27], v[12:13], v[10:11]
	;;#ASMEND
	v_cvt_f32_f16_sdwa v13, v8 dst_sel:DWORD dst_unused:UNUSED_PAD src0_sel:WORD_1
	v_cvt_f32_f16_e32 v12, v8
	v_cvt_f32_f16_sdwa v19, v9 dst_sel:DWORD dst_unused:UNUSED_PAD src0_sel:WORD_1
	v_cvt_f32_f16_e32 v18, v9
	v_pk_add_f32 v[10:11], v[28:29], 1.0 op_sel_hi:[1,0]
	;;#ASMSTART
	v_pk_mul_f32 v[30:31], v[14:15], v[10:11]
	;;#ASMEND
	s_waitcnt vmcnt(0)
	v_cvt_f32_f16_sdwa v11, v2 dst_sel:DWORD dst_unused:UNUSED_PAD src0_sel:WORD_1
	v_cvt_f32_f16_e32 v10, v2
	v_pk_add_f32 v[8:9], v[12:13], 1.0 op_sel_hi:[1,0]
	;;#ASMSTART
	v_pk_mul_f32 v[28:29], v[16:17], v[8:9]
	;;#ASMEND
	v_pk_add_f32 v[8:9], v[18:19], 1.0 op_sel_hi:[1,0]
	v_cvt_f32_f16_sdwa v13, v3 dst_sel:DWORD dst_unused:UNUSED_PAD src0_sel:WORD_1
	v_cvt_f32_f16_e32 v12, v3
	;;#ASMSTART
	v_pk_mul_f32 v[32:33], v[32:33], v[8:9]
	;;#ASMEND
	v_cvt_f32_f16_sdwa v9, v4 dst_sel:DWORD dst_unused:UNUSED_PAD src0_sel:WORD_1
	v_cvt_f32_f16_e32 v8, v4
	v_pk_add_f32 v[2:3], v[10:11], 1.0 op_sel_hi:[1,0]
	v_cvt_f32_f16_sdwa v11, v5 dst_sel:DWORD dst_unused:UNUSED_PAD src0_sel:WORD_1
	v_cvt_f32_f16_e32 v10, v5
	;;#ASMSTART
	v_pk_mul_f32 v[20:21], v[20:21], v[2:3]
	;;#ASMEND
	v_pk_add_f32 v[2:3], v[12:13], 1.0 op_sel_hi:[1,0]
	;;#ASMSTART
	v_pk_mul_f32 v[24:25], v[24:25], v[2:3]
	;;#ASMEND
	v_pk_add_f32 v[2:3], v[8:9], 1.0 op_sel_hi:[1,0]
	;; [unrolled: 4-line block ×3, first 2 shown]
	;;#ASMSTART
	v_pk_mul_f32 v[18:19], v[6:7], v[2:3]
	;;#ASMEND
	s_or_b64 exec, exec, s[26:27]
	s_mov_b64 s[2:3], -1
	s_and_b64 vcc, exec, s[22:23]
	s_cbranch_vccz .LBB843_15
.LBB843_19:
	s_and_saveexec_b64 s[2:3], s[0:1]
	s_cbranch_execz .LBB843_21
; %bb.20:
	s_mul_hi_i32 s23, s25, s6
	s_mul_i32 s22, s25, s6
	s_waitcnt vmcnt(0)
	v_cvt_f16_f32_e32 v2, v26
	v_cvt_f16_f32_e32 v3, v30
	;; [unrolled: 1-line block ×8, first 2 shown]
	s_lshl_b64 s[22:23], s[22:23], 1
	s_add_u32 s28, s14, s22
	s_addc_u32 s7, s15, s23
	s_and_b32 s29, s7, 0xffff
	s_mov_b32 s31, 0x20000
	v_pack_b32_f16 v5, v5, v6
	v_pack_b32_f16 v4, v4, v7
	v_pack_b32_f16 v3, v3, v8
	v_pack_b32_f16 v2, v2, v9
	v_lshlrev_b32_e32 v6, 5, v0
	buffer_store_dwordx4 v[2:5], v6, s[28:31], 0 offen
	v_cvt_f16_f32_e32 v7, v19
	v_cvt_f16_f32_e32 v2, v20
	;; [unrolled: 1-line block ×8, first 2 shown]
	v_pack_b32_f16 v5, v5, v7
	v_pack_b32_f16 v4, v4, v8
	;; [unrolled: 1-line block ×4, first 2 shown]
	;;#ASMSTART
	s_nop 0
	;;#ASMEND
	buffer_store_dwordx4 v[2:5], v6, s[28:31], 16 offen
	;;#ASMSTART
	s_nop 0
	;;#ASMEND
.LBB843_21:
	s_or_b64 exec, exec, s[2:3]
	s_cbranch_execnz .LBB843_16
.LBB843_22:
	s_and_saveexec_b64 s[2:3], s[0:1]
	s_cbranch_execz .LBB843_24
; %bb.23:
	s_load_dwordx2 s[0:1], s[4:5], 0x10
	s_mul_hi_i32 s23, s24, s6
	s_mul_i32 s22, s24, s6
	s_waitcnt vmcnt(0)
	v_cvt_f16_f32_e32 v2, v26
	v_cvt_f16_f32_e32 v3, v30
	;; [unrolled: 1-line block ×8, first 2 shown]
	s_lshl_b64 s[22:23], s[22:23], 1
	s_waitcnt lgkmcnt(0)
	s_add_u32 s28, s0, s22
	s_addc_u32 s0, s1, s23
	s_mov_b32 s31, 0x20000
	s_and_b32 s29, s0, 0xffff
	v_pack_b32_f16 v5, v5, v6
	v_pack_b32_f16 v4, v4, v7
	;; [unrolled: 1-line block ×4, first 2 shown]
	v_lshlrev_b32_e32 v6, 5, v0
	buffer_store_dwordx4 v[2:5], v6, s[28:31], 0 offen
	v_cvt_f16_f32_e32 v7, v19
	v_cvt_f16_f32_e32 v2, v20
	v_cvt_f16_f32_e32 v3, v24
	v_cvt_f16_f32_e32 v4, v22
	v_cvt_f16_f32_e32 v5, v18
	v_cvt_f16_f32_e32 v8, v23
	v_cvt_f16_f32_e32 v9, v25
	v_cvt_f16_f32_e32 v10, v21
	v_pack_b32_f16 v5, v5, v7
	v_pack_b32_f16 v4, v4, v8
	;; [unrolled: 1-line block ×4, first 2 shown]
	;;#ASMSTART
	s_nop 0
	;;#ASMEND
	buffer_store_dwordx4 v[2:5], v6, s[28:31], 16 offen
	;;#ASMSTART
	s_nop 0
	;;#ASMEND
.LBB843_24:
	s_or_b64 exec, exec, s[2:3]
	s_cmp_lt_i32 s16, 1
	s_cbranch_scc1 .LBB843_17
.LBB843_25:
	s_load_dword s0, s[4:5], 0x94
	s_waitcnt lgkmcnt(0)
	s_cmp_lg_u32 s0, 1
	s_cbranch_scc1 .LBB843_17
; %bb.26:
	s_lshl_b32 s0, s16, 1
	s_add_i32 s0, s0, 2
	v_cmp_gt_u32_e32 vcc, s16, v1
	s_and_b32 s22, s0, -4
	v_mov_b32_e32 v18, 0
	v_lshlrev_b32_e32 v1, 5, v0
	s_waitcnt vmcnt(2)
	v_mov_b32_e32 v14, 0
	v_mov_b32_e32 v15, 0
	;; [unrolled: 1-line block ×8, first 2 shown]
	s_waitcnt vmcnt(1)
	v_mov_b32_e32 v6, 0
	v_mov_b32_e32 v7, 0
	;; [unrolled: 1-line block ×4, first 2 shown]
	s_waitcnt vmcnt(0)
	v_mov_b32_e32 v2, 0
	v_mov_b32_e32 v3, 0
	v_mov_b32_e32 v4, 0
	v_mov_b32_e32 v5, 0
	s_barrier
	s_and_saveexec_b64 s[0:1], vcc
	s_cbranch_execz .LBB843_28
; %bb.27:
	s_mul_hi_i32 s3, s18, s6
	s_mul_i32 s2, s18, s6
	s_and_b32 s21, s21, 0xffff
	s_lshl_b64 s[2:3], s[2:3], 1
	s_add_u32 s28, s10, s2
	s_mov_b32 s23, 0x20000
	s_addc_u32 s2, s11, s3
	s_and_b32 s29, s2, 0xffff
	s_mov_b32 s30, s22
	s_mov_b32 s31, s23
	buffer_load_dwordx4 v[14:17], v1, s[28:31], 0 offen
	buffer_load_dwordx4 v[10:13], v1, s[28:31], 16 offen
	;; [unrolled: 1-line block ×4, first 2 shown]
.LBB843_28:
	s_or_b64 exec, exec, s[0:1]
	v_mov_b32_e32 v19, 0
	v_mov_b32_e32 v32, 0
	;; [unrolled: 1-line block ×15, first 2 shown]
	s_and_saveexec_b64 s[0:1], vcc
	s_cbranch_execz .LBB843_30
; %bb.29:
	s_waitcnt vmcnt(3)
	v_cvt_f32_f16_sdwa v19, v14 dst_sel:DWORD dst_unused:UNUSED_PAD src0_sel:WORD_1
	v_cvt_f32_f16_e32 v18, v14
	v_cvt_f32_f16_sdwa v33, v15 dst_sel:DWORD dst_unused:UNUSED_PAD src0_sel:WORD_1
	v_cvt_f32_f16_e32 v32, v15
	;; [unrolled: 2-line block ×4, first 2 shown]
	s_waitcnt vmcnt(2)
	v_cvt_f32_f16_sdwa v27, v10 dst_sel:DWORD dst_unused:UNUSED_PAD src0_sel:WORD_1
	v_cvt_f32_f16_e32 v26, v10
	v_cvt_f32_f16_sdwa v25, v11 dst_sel:DWORD dst_unused:UNUSED_PAD src0_sel:WORD_1
	v_cvt_f32_f16_e32 v24, v11
	;; [unrolled: 2-line block ×4, first 2 shown]
.LBB843_30:
	s_or_b64 exec, exec, s[0:1]
	s_waitcnt vmcnt(2)
	v_mul_f32_e32 v10, v19, v19
	v_fmac_f32_e32 v10, v18, v18
	v_fmac_f32_e32 v10, v32, v32
	v_fmac_f32_e32 v10, v33, v33
	v_fmac_f32_e32 v10, v30, v30
	v_fmac_f32_e32 v10, v31, v31
	v_fmac_f32_e32 v10, v28, v28
	v_fmac_f32_e32 v10, v29, v29
	v_fmac_f32_e32 v10, v26, v26
	v_fmac_f32_e32 v10, v27, v27
	v_fmac_f32_e32 v10, v24, v24
	v_fmac_f32_e32 v10, v25, v25
	v_fmac_f32_e32 v10, v22, v22
	v_fmac_f32_e32 v10, v23, v23
	v_fmac_f32_e32 v10, v20, v20
	v_fmac_f32_e32 v10, v21, v21
	s_nop 1
	v_mov_b32_dpp v11, v10 quad_perm:[1,0,3,2] row_mask:0xf bank_mask:0xf
	v_add_f32_e32 v10, v10, v11
	s_nop 1
	v_mov_b32_dpp v11, v10 quad_perm:[2,3,0,1] row_mask:0xf bank_mask:0xf
	v_add_f32_e32 v10, v10, v11
	s_nop 1
	v_mov_b32_dpp v11, v10 row_half_mirror row_mask:0xf bank_mask:0xf
	v_add_f32_e32 v10, v10, v11
	s_nop 1
	v_mov_b32_dpp v11, v10 row_mirror row_mask:0xf bank_mask:0xf
	v_add_f32_e32 v10, v10, v11
	s_nop 1
	v_mov_b32_dpp v11, v10 row_bcast:15 row_mask:0xf bank_mask:0xf
	v_add_f32_e32 v10, v10, v11
	s_nop 1
	v_mov_b32_dpp v11, v10 row_bcast:31 row_mask:0xf bank_mask:0xf
	s_and_saveexec_b64 s[0:1], s[8:9]
	s_cbranch_execz .LBB843_32
; %bb.31:
	v_lshrrev_b32_e32 v0, 4, v0
	v_add_f32_e32 v10, v10, v11
	v_and_b32_e32 v0, 60, v0
	ds_write_b32 v0, v10
.LBB843_32:
	s_or_b64 exec, exec, s[0:1]
	s_waitcnt lgkmcnt(0)
	s_barrier
	ds_read_b32 v0, v34
	s_waitcnt lgkmcnt(0)
	s_nop 0
	v_mov_b32_dpp v10, v0 quad_perm:[1,0,3,2] row_mask:0xf bank_mask:0xf
	v_add_f32_e32 v0, v0, v10
	s_nop 1
	v_mov_b32_dpp v10, v0 quad_perm:[2,3,0,1] row_mask:0xf bank_mask:0xf
	s_and_saveexec_b64 s[0:1], vcc
	s_cbranch_execz .LBB843_17
; %bb.33:
	v_cvt_f32_u32_e32 v11, s16
	v_add_f32_e32 v0, v0, v10
	s_mov_b32 s23, 0x20000
	v_div_scale_f32 v10, s[0:1], v11, v11, v0
	v_rcp_f32_e32 v12, v10
	v_div_scale_f32 v13, vcc, v0, v11, v0
	s_mov_b32 s0, 0x800000
	v_fma_f32 v14, -v10, v12, 1.0
	v_fmac_f32_e32 v12, v14, v12
	v_mul_f32_e32 v14, v13, v12
	v_fma_f32 v15, -v10, v14, v13
	v_fmac_f32_e32 v14, v15, v12
	v_fma_f32 v10, -v10, v14, v13
	v_div_fmas_f32 v10, v10, v12, v14
	v_div_fixup_f32 v0, v10, v11, v0
	v_add_f32_e32 v0, s13, v0
	v_mul_f32_e32 v10, 0x4b800000, v0
	v_cmp_gt_f32_e32 vcc, s0, v0
	v_cndmask_b32_e32 v0, v0, v10, vcc
	v_rsq_f32_e32 v0, v0
	s_mul_hi_i32 s1, s25, s6
	s_mul_i32 s0, s25, s6
	s_lshl_b64 s[0:1], s[0:1], 1
	v_mul_f32_e32 v10, 0x45800000, v0
	v_cndmask_b32_e32 v10, v0, v10, vcc
	v_mov_b32_e32 v11, v10
	;;#ASMSTART
	v_pk_mul_f32 v[12:13], v[18:19], v[10:11]
	;;#ASMEND
	;;#ASMSTART
	v_pk_mul_f32 v[14:15], v[32:33], v[10:11]
	;;#ASMEND
	;; [unrolled: 3-line block ×4, first 2 shown]
	s_waitcnt vmcnt(1)
	v_cvt_f32_f16_sdwa v29, v6 dst_sel:DWORD dst_unused:UNUSED_PAD src0_sel:WORD_1
	v_cvt_f32_f16_e32 v28, v6
	v_cvt_f32_f16_sdwa v31, v7 dst_sel:DWORD dst_unused:UNUSED_PAD src0_sel:WORD_1
	v_cvt_f32_f16_e32 v30, v7
	;;#ASMSTART
	v_pk_mul_f32 v[26:27], v[26:27], v[10:11]
	;;#ASMEND
	;;#ASMSTART
	v_pk_mul_f32 v[24:25], v[24:25], v[10:11]
	;;#ASMEND
	;; [unrolled: 3-line block ×4, first 2 shown]
	v_cvt_f32_f16_sdwa v21, v8 dst_sel:DWORD dst_unused:UNUSED_PAD src0_sel:WORD_1
	v_cvt_f32_f16_e32 v20, v8
	v_pk_add_f32 v[10:11], v[28:29], 1.0 op_sel_hi:[1,0]
	;;#ASMSTART
	v_pk_mul_f32 v[10:11], v[12:13], v[10:11]
	;;#ASMEND
	v_pk_add_f32 v[12:13], v[30:31], 1.0 op_sel_hi:[1,0]
	v_cvt_f32_f16_sdwa v29, v9 dst_sel:DWORD dst_unused:UNUSED_PAD src0_sel:WORD_1
	v_cvt_f32_f16_e32 v28, v9
	;;#ASMSTART
	v_pk_mul_f32 v[8:9], v[14:15], v[12:13]
	;;#ASMEND
	v_pk_add_f32 v[12:13], v[20:21], 1.0 op_sel_hi:[1,0]
	;;#ASMSTART
	v_pk_mul_f32 v[12:13], v[16:17], v[12:13]
	;;#ASMEND
	s_waitcnt vmcnt(0)
	v_cvt_f32_f16_sdwa v17, v2 dst_sel:DWORD dst_unused:UNUSED_PAD src0_sel:WORD_1
	v_cvt_f32_f16_e32 v16, v2
	v_cvt_f32_f16_sdwa v21, v3 dst_sel:DWORD dst_unused:UNUSED_PAD src0_sel:WORD_1
	v_cvt_f32_f16_e32 v20, v3
	v_pk_add_f32 v[14:15], v[28:29], 1.0 op_sel_hi:[1,0]
	;;#ASMSTART
	v_pk_mul_f32 v[2:3], v[18:19], v[14:15]
	;;#ASMEND
	v_cvt_f32_f16_sdwa v19, v4 dst_sel:DWORD dst_unused:UNUSED_PAD src0_sel:WORD_1
	v_cvt_f32_f16_e32 v18, v4
	v_pk_add_f32 v[14:15], v[16:17], 1.0 op_sel_hi:[1,0]
	v_pk_add_f32 v[16:17], v[20:21], 1.0 op_sel_hi:[1,0]
	v_cvt_f32_f16_sdwa v21, v5 dst_sel:DWORD dst_unused:UNUSED_PAD src0_sel:WORD_1
	v_cvt_f32_f16_e32 v20, v5
	v_pk_add_f32 v[4:5], v[18:19], 1.0 op_sel_hi:[1,0]
	;;#ASMSTART
	v_pk_mul_f32 v[14:15], v[26:27], v[14:15]
	;;#ASMEND
	;;#ASMSTART
	v_pk_mul_f32 v[16:17], v[24:25], v[16:17]
	;;#ASMEND
	;; [unrolled: 3-line block ×3, first 2 shown]
	v_pk_add_f32 v[4:5], v[20:21], 1.0 op_sel_hi:[1,0]
	;;#ASMSTART
	v_pk_mul_f32 v[6:7], v[6:7], v[4:5]
	;;#ASMEND
	v_cvt_f16_f32_e32 v0, v10
	v_cvt_f16_f32_e32 v4, v11
	;; [unrolled: 1-line block ×8, first 2 shown]
	s_add_u32 s20, s14, s0
	s_addc_u32 s0, s15, s1
	s_and_b32 s21, s0, 0xffff
	v_pack_b32_f16 v2, v0, v4
	v_pack_b32_f16 v3, v5, v8
	;; [unrolled: 1-line block ×4, first 2 shown]
	buffer_store_dwordx4 v[2:5], v1, s[20:23], 0 offen
	v_cvt_f16_f32_e32 v0, v14
	v_cvt_f16_f32_e32 v2, v15
	;; [unrolled: 1-line block ×8, first 2 shown]
	v_pack_b32_f16 v2, v0, v2
	v_pack_b32_f16 v3, v3, v4
	;; [unrolled: 1-line block ×4, first 2 shown]
	;;#ASMSTART
	s_nop 0
	;;#ASMEND
	buffer_store_dwordx4 v[2:5], v1, s[20:23], 16 offen
	;;#ASMSTART
	s_nop 0
	;;#ASMEND
	s_endpgm
	.section	.rodata,"a",@progbits
	.p2align	6, 0x0
	.amdhsa_kernel _ZN5aiter35fused_qk_rmsnorm_group_quant_kernelIDF16_N4opus5fp4_tELi256ELi16ELi2ELb1ELb1ELb1ELb1ELb0ELb0EEEvPT0_PvPT_S7_S7_PKS6_S9_S9_S9_S9_ffiiiiiiiiiiiii
		.amdhsa_group_segment_fixed_size 32
		.amdhsa_private_segment_fixed_size 0
		.amdhsa_kernarg_size 400
		.amdhsa_user_sgpr_count 6
		.amdhsa_user_sgpr_private_segment_buffer 1
		.amdhsa_user_sgpr_dispatch_ptr 0
		.amdhsa_user_sgpr_queue_ptr 0
		.amdhsa_user_sgpr_kernarg_segment_ptr 1
		.amdhsa_user_sgpr_dispatch_id 0
		.amdhsa_user_sgpr_flat_scratch_init 0
		.amdhsa_user_sgpr_kernarg_preload_length 0
		.amdhsa_user_sgpr_kernarg_preload_offset 0
		.amdhsa_user_sgpr_private_segment_size 0
		.amdhsa_uses_dynamic_stack 0
		.amdhsa_system_sgpr_private_segment_wavefront_offset 0
		.amdhsa_system_sgpr_workgroup_id_x 1
		.amdhsa_system_sgpr_workgroup_id_y 1
		.amdhsa_system_sgpr_workgroup_id_z 0
		.amdhsa_system_sgpr_workgroup_info 0
		.amdhsa_system_vgpr_workitem_id 0
		.amdhsa_next_free_vgpr 49
		.amdhsa_next_free_sgpr 32
		.amdhsa_accum_offset 52
		.amdhsa_reserve_vcc 1
		.amdhsa_reserve_flat_scratch 0
		.amdhsa_float_round_mode_32 0
		.amdhsa_float_round_mode_16_64 0
		.amdhsa_float_denorm_mode_32 3
		.amdhsa_float_denorm_mode_16_64 3
		.amdhsa_dx10_clamp 1
		.amdhsa_ieee_mode 1
		.amdhsa_fp16_overflow 0
		.amdhsa_tg_split 0
		.amdhsa_exception_fp_ieee_invalid_op 0
		.amdhsa_exception_fp_denorm_src 0
		.amdhsa_exception_fp_ieee_div_zero 0
		.amdhsa_exception_fp_ieee_overflow 0
		.amdhsa_exception_fp_ieee_underflow 0
		.amdhsa_exception_fp_ieee_inexact 0
		.amdhsa_exception_int_div_zero 0
	.end_amdhsa_kernel
	.section	.text._ZN5aiter35fused_qk_rmsnorm_group_quant_kernelIDF16_N4opus5fp4_tELi256ELi16ELi2ELb1ELb1ELb1ELb1ELb0ELb0EEEvPT0_PvPT_S7_S7_PKS6_S9_S9_S9_S9_ffiiiiiiiiiiiii,"axG",@progbits,_ZN5aiter35fused_qk_rmsnorm_group_quant_kernelIDF16_N4opus5fp4_tELi256ELi16ELi2ELb1ELb1ELb1ELb1ELb0ELb0EEEvPT0_PvPT_S7_S7_PKS6_S9_S9_S9_S9_ffiiiiiiiiiiiii,comdat
.Lfunc_end843:
	.size	_ZN5aiter35fused_qk_rmsnorm_group_quant_kernelIDF16_N4opus5fp4_tELi256ELi16ELi2ELb1ELb1ELb1ELb1ELb0ELb0EEEvPT0_PvPT_S7_S7_PKS6_S9_S9_S9_S9_ffiiiiiiiiiiiii, .Lfunc_end843-_ZN5aiter35fused_qk_rmsnorm_group_quant_kernelIDF16_N4opus5fp4_tELi256ELi16ELi2ELb1ELb1ELb1ELb1ELb0ELb0EEEvPT0_PvPT_S7_S7_PKS6_S9_S9_S9_S9_ffiiiiiiiiiiiii
                                        ; -- End function
	.section	.AMDGPU.csdata,"",@progbits
; Kernel info:
; codeLenInByte = 3608
; NumSgprs: 36
; NumVgprs: 49
; NumAgprs: 0
; TotalNumVgprs: 49
; ScratchSize: 0
; MemoryBound: 0
; FloatMode: 240
; IeeeMode: 1
; LDSByteSize: 32 bytes/workgroup (compile time only)
; SGPRBlocks: 4
; VGPRBlocks: 6
; NumSGPRsForWavesPerEU: 36
; NumVGPRsForWavesPerEU: 49
; AccumOffset: 52
; Occupancy: 8
; WaveLimiterHint : 0
; COMPUTE_PGM_RSRC2:SCRATCH_EN: 0
; COMPUTE_PGM_RSRC2:USER_SGPR: 6
; COMPUTE_PGM_RSRC2:TRAP_HANDLER: 0
; COMPUTE_PGM_RSRC2:TGID_X_EN: 1
; COMPUTE_PGM_RSRC2:TGID_Y_EN: 1
; COMPUTE_PGM_RSRC2:TGID_Z_EN: 0
; COMPUTE_PGM_RSRC2:TIDIG_COMP_CNT: 0
; COMPUTE_PGM_RSRC3_GFX90A:ACCUM_OFFSET: 12
; COMPUTE_PGM_RSRC3_GFX90A:TG_SPLIT: 0
	.section	.text._ZN5aiter35fused_qk_rmsnorm_group_quant_kernelItN4opus5fp4_tELi256ELi16ELi2ELb1ELb1ELb1ELb1ELb0ELb0EEEvPT0_PvPT_S7_S7_PKS6_S9_S9_S9_S9_ffiiiiiiiiiiiii,"axG",@progbits,_ZN5aiter35fused_qk_rmsnorm_group_quant_kernelItN4opus5fp4_tELi256ELi16ELi2ELb1ELb1ELb1ELb1ELb0ELb0EEEvPT0_PvPT_S7_S7_PKS6_S9_S9_S9_S9_ffiiiiiiiiiiiii,comdat
	.protected	_ZN5aiter35fused_qk_rmsnorm_group_quant_kernelItN4opus5fp4_tELi256ELi16ELi2ELb1ELb1ELb1ELb1ELb0ELb0EEEvPT0_PvPT_S7_S7_PKS6_S9_S9_S9_S9_ffiiiiiiiiiiiii ; -- Begin function _ZN5aiter35fused_qk_rmsnorm_group_quant_kernelItN4opus5fp4_tELi256ELi16ELi2ELb1ELb1ELb1ELb1ELb0ELb0EEEvPT0_PvPT_S7_S7_PKS6_S9_S9_S9_S9_ffiiiiiiiiiiiii
	.globl	_ZN5aiter35fused_qk_rmsnorm_group_quant_kernelItN4opus5fp4_tELi256ELi16ELi2ELb1ELb1ELb1ELb1ELb0ELb0EEEvPT0_PvPT_S7_S7_PKS6_S9_S9_S9_S9_ffiiiiiiiiiiiii
	.p2align	8
	.type	_ZN5aiter35fused_qk_rmsnorm_group_quant_kernelItN4opus5fp4_tELi256ELi16ELi2ELb1ELb1ELb1ELb1ELb0ELb0EEEvPT0_PvPT_S7_S7_PKS6_S9_S9_S9_S9_ffiiiiiiiiiiiii,@function
_ZN5aiter35fused_qk_rmsnorm_group_quant_kernelItN4opus5fp4_tELi256ELi16ELi2ELb1ELb1ELb1ELb1ELb0ELb0EEEvPT0_PvPT_S7_S7_PKS6_S9_S9_S9_S9_ffiiiiiiiiiiiii: ; @_ZN5aiter35fused_qk_rmsnorm_group_quant_kernelItN4opus5fp4_tELi256ELi16ELi2ELb1ELb1ELb1ELb1ELb0ELb0EEEvPT0_PvPT_S7_S7_PKS6_S9_S9_S9_S9_ffiiiiiiiiiiiii
; %bb.0:
	s_load_dwordx8 s[12:19], s[4:5], 0x50
	s_waitcnt lgkmcnt(0)
	s_cmp_ge_i32 s6, s14
	s_cbranch_scc1 .LBB844_17
; %bb.1:
	s_cmp_lg_u32 s7, 0
	s_cselect_b64 s[22:23], -1, 0
	s_cmp_eq_u32 s7, 0
	s_cselect_b64 s[2:3], -1, 0
	s_and_b64 s[0:1], s[2:3], exec
	s_cselect_b32 s7, s15, s16
	s_load_dwordx2 s[10:11], s[4:5], 0x30
	s_load_dwordx2 s[20:21], s[4:5], 0x48
	s_add_i32 s0, s7, 1
	s_lshr_b32 s1, s0, 31
	s_add_i32 s0, s0, s1
	s_lshl_b32 s0, s0, 1
	v_lshlrev_b32_e32 v1, 4, v0
	s_and_b32 s30, s0, -4
	v_cmp_gt_i32_e64 s[0:1], s7, v1
	v_mov_b32_e32 v62, 0
	v_mov_b32_e32 v63, 0
	;; [unrolled: 1-line block ×16, first 2 shown]
	s_and_saveexec_b64 s[8:9], s[0:1]
	s_cbranch_execz .LBB844_3
; %bb.2:
	s_load_dwordx2 s[14:15], s[4:5], 0x28
	s_load_dwordx2 s[26:27], s[4:5], 0x40
	s_and_b64 s[24:25], s[2:3], exec
	s_cselect_b32 s17, s17, s18
	s_mov_b32 s31, 0x20000
	s_waitcnt lgkmcnt(0)
	s_cselect_b32 s25, s15, s11
	s_cselect_b32 s24, s14, s10
	s_mul_hi_i32 s15, s17, s6
	s_mul_i32 s14, s17, s6
	s_lshl_b64 s[14:15], s[14:15], 1
	s_add_u32 s24, s24, s14
	s_addc_u32 s17, s25, s15
	s_and_b64 s[14:15], s[2:3], exec
	s_cselect_b32 s28, s26, s20
	s_cselect_b32 s14, s27, s21
	s_and_b32 s25, s17, 0xffff
	s_mov_b32 s26, s30
	s_mov_b32 s27, s31
	v_lshlrev_b32_e32 v2, 5, v0
	s_and_b32 s29, s14, 0xffff
	buffer_load_dwordx4 v[66:69], v2, s[24:27], 0 offen
	buffer_load_dwordx4 v[70:73], v2, s[24:27], 16 offen
	;; [unrolled: 1-line block ×4, first 2 shown]
.LBB844_3:
	s_or_b64 exec, exec, s[8:9]
	s_load_dwordx4 s[24:27], s[4:5], 0x7c
	s_and_b64 vcc, exec, s[22:23]
	s_cbranch_vccz .LBB844_7
; %bb.4:
	v_mov_b32_e32 v75, 0
	v_mov_b32_e32 v74, 0
	;; [unrolled: 1-line block ×16, first 2 shown]
	s_and_saveexec_b64 s[8:9], s[0:1]
	s_cbranch_execz .LBB844_6
; %bb.5:
	s_waitcnt vmcnt(3)
	v_cvt_f32_u32_sdwa v2, v66 dst_sel:DWORD dst_unused:UNUSED_PAD src0_sel:WORD_0
	v_cvt_f32_u32_sdwa v3, v66 dst_sel:DWORD dst_unused:UNUSED_PAD src0_sel:WORD_1
	v_cvt_f32_u32_sdwa v6, v67 dst_sel:DWORD dst_unused:UNUSED_PAD src0_sel:WORD_0
	v_cvt_f32_u32_sdwa v7, v67 dst_sel:DWORD dst_unused:UNUSED_PAD src0_sel:WORD_1
	;; [unrolled: 2-line block ×4, first 2 shown]
	s_waitcnt vmcnt(2)
	v_cvt_f32_u32_sdwa v50, v70 dst_sel:DWORD dst_unused:UNUSED_PAD src0_sel:WORD_0
	v_cvt_f32_u32_sdwa v51, v70 dst_sel:DWORD dst_unused:UNUSED_PAD src0_sel:WORD_1
	v_cvt_f32_u32_sdwa v24, v71 dst_sel:DWORD dst_unused:UNUSED_PAD src0_sel:WORD_0
	v_cvt_f32_u32_sdwa v25, v71 dst_sel:DWORD dst_unused:UNUSED_PAD src0_sel:WORD_1
	;; [unrolled: 2-line block ×4, first 2 shown]
.LBB844_6:
	s_or_b64 exec, exec, s[8:9]
	s_cbranch_execz .LBB844_8
	s_branch .LBB844_11
.LBB844_7:
                                        ; implicit-def: $vgpr2_vgpr3_vgpr4_vgpr5_vgpr6_vgpr7_vgpr8_vgpr9_vgpr10_vgpr11_vgpr12_vgpr13_vgpr14_vgpr15_vgpr16_vgpr17
                                        ; implicit-def: $vgpr36_vgpr37_vgpr38_vgpr39_vgpr40_vgpr41_vgpr42_vgpr43_vgpr44_vgpr45_vgpr46_vgpr47_vgpr48_vgpr49_vgpr50_vgpr51
                                        ; implicit-def: $vgpr4_vgpr5_vgpr6_vgpr7_vgpr8_vgpr9_vgpr10_vgpr11_vgpr12_vgpr13_vgpr14_vgpr15_vgpr16_vgpr17_vgpr18_vgpr19
                                        ; implicit-def: $vgpr24_vgpr25_vgpr26_vgpr27_vgpr28_vgpr29_vgpr30_vgpr31_vgpr32_vgpr33_vgpr34_vgpr35_vgpr36_vgpr37_vgpr38_vgpr39
                                        ; implicit-def: $vgpr75
                                        ; implicit-def: $vgpr42_vgpr43_vgpr44_vgpr45_vgpr46_vgpr47_vgpr48_vgpr49_vgpr50_vgpr51_vgpr52_vgpr53_vgpr54_vgpr55_vgpr56_vgpr57
                                        ; implicit-def: $vgpr14_vgpr15_vgpr16_vgpr17_vgpr18_vgpr19_vgpr20_vgpr21_vgpr22_vgpr23_vgpr24_vgpr25_vgpr26_vgpr27_vgpr28_vgpr29
                                        ; implicit-def: $vgpr8_vgpr9_vgpr10_vgpr11_vgpr12_vgpr13_vgpr14_vgpr15_vgpr16_vgpr17_vgpr18_vgpr19_vgpr20_vgpr21_vgpr22_vgpr23
.LBB844_8:
	v_mov_b32_e32 v75, 0
	v_mov_b32_e32 v74, 0
	;; [unrolled: 1-line block ×16, first 2 shown]
	s_and_saveexec_b64 s[8:9], s[0:1]
	s_cbranch_execz .LBB844_10
; %bb.9:
	s_load_dwordx2 s[14:15], s[4:5], 0x38
	s_mul_hi_i32 s29, s19, s6
	s_mul_i32 s28, s19, s6
	s_lshl_b64 s[28:29], s[28:29], 1
	s_mov_b32 s31, 0x20000
	s_waitcnt lgkmcnt(0)
	s_add_u32 s28, s14, s28
	s_addc_u32 s14, s15, s29
	s_and_b32 s29, s14, 0xffff
	v_lshlrev_b32_e32 v38, 5, v0
	buffer_load_dwordx4 v[6:9], v38, s[28:31], 16 offen
	buffer_load_dwordx4 v[10:13], v38, s[28:31], 0 offen
	s_load_dwordx2 s[14:15], s[4:5], 0x20
	s_waitcnt vmcnt(5)
	v_cvt_f32_u32_sdwa v3, v66 dst_sel:DWORD dst_unused:UNUSED_PAD src0_sel:WORD_1
	v_cvt_f32_u32_sdwa v2, v66 dst_sel:DWORD dst_unused:UNUSED_PAD src0_sel:WORD_0
	v_cvt_f32_u32_sdwa v21, v67 dst_sel:DWORD dst_unused:UNUSED_PAD src0_sel:WORD_1
	v_cvt_f32_u32_sdwa v20, v67 dst_sel:DWORD dst_unused:UNUSED_PAD src0_sel:WORD_0
	;; [unrolled: 2-line block ×4, first 2 shown]
	s_waitcnt vmcnt(4)
	v_cvt_f32_u32_sdwa v5, v70 dst_sel:DWORD dst_unused:UNUSED_PAD src0_sel:WORD_1
	v_cvt_f32_u32_sdwa v4, v70 dst_sel:DWORD dst_unused:UNUSED_PAD src0_sel:WORD_0
	v_cvt_f32_u32_sdwa v15, v71 dst_sel:DWORD dst_unused:UNUSED_PAD src0_sel:WORD_1
	v_cvt_f32_u32_sdwa v14, v71 dst_sel:DWORD dst_unused:UNUSED_PAD src0_sel:WORD_0
	;; [unrolled: 2-line block ×3, first 2 shown]
	v_cvt_f32_u32_sdwa v18, v73 dst_sel:DWORD dst_unused:UNUSED_PAD src0_sel:WORD_0
	v_cvt_f32_u32_sdwa v19, v73 dst_sel:DWORD dst_unused:UNUSED_PAD src0_sel:WORD_1
	s_mul_hi_i32 s27, s26, s6
	s_mul_i32 s26, s26, s6
	s_lshl_b64 s[26:27], s[26:27], 1
	s_waitcnt lgkmcnt(0)
	s_add_u32 s28, s14, s26
	s_mov_b32 s17, 0x7060302
	s_addc_u32 s14, s15, s27
	s_and_b32 s29, s14, 0xffff
	s_waitcnt vmcnt(1)
	v_cvt_f32_u32_sdwa v27, v6 dst_sel:DWORD dst_unused:UNUSED_PAD src0_sel:WORD_1
	v_cvt_f32_u32_sdwa v26, v6 dst_sel:DWORD dst_unused:UNUSED_PAD src0_sel:WORD_0
	v_cvt_f32_u32_sdwa v29, v7 dst_sel:DWORD dst_unused:UNUSED_PAD src0_sel:WORD_1
	v_cvt_f32_u32_sdwa v28, v7 dst_sel:DWORD dst_unused:UNUSED_PAD src0_sel:WORD_0
	;; [unrolled: 2-line block ×3, first 2 shown]
	v_cvt_f32_u32_sdwa v34, v9 dst_sel:DWORD dst_unused:UNUSED_PAD src0_sel:WORD_0
	v_cvt_f32_u32_sdwa v35, v9 dst_sel:DWORD dst_unused:UNUSED_PAD src0_sel:WORD_1
	s_waitcnt vmcnt(0)
	v_cvt_f32_u32_sdwa v37, v10 dst_sel:DWORD dst_unused:UNUSED_PAD src0_sel:WORD_1
	v_cvt_f32_u32_sdwa v36, v10 dst_sel:DWORD dst_unused:UNUSED_PAD src0_sel:WORD_0
	v_cvt_f32_u32_sdwa v7, v12 dst_sel:DWORD dst_unused:UNUSED_PAD src0_sel:WORD_1
	v_cvt_f32_u32_sdwa v6, v12 dst_sel:DWORD dst_unused:UNUSED_PAD src0_sel:WORD_0
	;; [unrolled: 2-line block ×4, first 2 shown]
	v_pk_add_f32 v[40:41], v[22:23], v[6:7]
	v_pk_add_f32 v[30:31], v[24:25], v[8:9]
	v_pk_add_f32 v[2:3], v[2:3], v[36:37]
	v_pk_add_f32 v[6:7], v[20:21], v[12:13]
	v_perm_b32 v11, v31, v30, s17
	v_perm_b32 v10, v41, v40, s17
	;; [unrolled: 1-line block ×4, first 2 shown]
	v_pk_add_f32 v[74:75], v[18:19], v[34:35]
	v_pk_add_f32 v[20:21], v[16:17], v[32:33]
	v_pk_add_f32 v[24:25], v[14:15], v[28:29]
	v_pk_add_f32 v[50:51], v[4:5], v[26:27]
	buffer_store_dwordx4 v[8:11], v38, s[28:31], 0 offen
	;;#ASMSTART
	s_nop 0
	;;#ASMEND
	s_nop 0
	v_perm_b32 v11, v75, v74, s17
	v_perm_b32 v10, v21, v20, s17
	;; [unrolled: 1-line block ×4, first 2 shown]
	buffer_store_dwordx4 v[8:11], v38, s[28:31], 16 offen
	;;#ASMSTART
	s_nop 0
	;;#ASMEND
.LBB844_10:
	s_or_b64 exec, exec, s[8:9]
.LBB844_11:
	v_mul_f32_e32 v4, v3, v3
	v_fmac_f32_e32 v4, v2, v2
	v_fmac_f32_e32 v4, v6, v6
	;; [unrolled: 1-line block ×15, first 2 shown]
	s_nop 1
	v_mov_b32_dpp v5, v4 quad_perm:[1,0,3,2] row_mask:0xf bank_mask:0xf
	v_add_f32_e32 v4, v4, v5
	s_nop 1
	v_mov_b32_dpp v5, v4 quad_perm:[2,3,0,1] row_mask:0xf bank_mask:0xf
	v_add_f32_e32 v4, v4, v5
	s_nop 1
	v_mov_b32_dpp v5, v4 row_half_mirror row_mask:0xf bank_mask:0xf
	v_add_f32_e32 v4, v4, v5
	s_nop 1
	v_mov_b32_dpp v5, v4 row_mirror row_mask:0xf bank_mask:0xf
	v_add_f32_e32 v4, v4, v5
	s_nop 1
	v_mov_b32_dpp v5, v4 row_bcast:15 row_mask:0xf bank_mask:0xf
	v_add_f32_e32 v4, v4, v5
	v_and_b32_e32 v5, 63, v0
	v_cmp_eq_u32_e64 s[8:9], 63, v5
	s_nop 0
	v_mov_b32_dpp v5, v4 row_bcast:31 row_mask:0xf bank_mask:0xf
	s_and_saveexec_b64 s[14:15], s[8:9]
	s_cbranch_execz .LBB844_13
; %bb.12:
	v_add_f32_e32 v4, v4, v5
	v_lshrrev_b32_e32 v5, 4, v0
	v_and_b32_e32 v5, 60, v5
	ds_write_b32 v5, v4 offset:16
.LBB844_13:
	s_or_b64 exec, exec, s[14:15]
	v_and_b32_e32 v4, 3, v0
	v_lshlrev_b32_e32 v34, 2, v4
	s_waitcnt lgkmcnt(0)
	s_barrier
	ds_read_b32 v4, v34 offset:16
	s_load_dwordx2 s[14:15], s[4:5], 0x18
	s_waitcnt lgkmcnt(0)
	v_mov_b32_dpp v5, v4 quad_perm:[1,0,3,2] row_mask:0xf bank_mask:0xf
	v_add_f32_e32 v4, v4, v5
	s_nop 1
	v_mov_b32_dpp v5, v4 quad_perm:[2,3,0,1] row_mask:0xf bank_mask:0xf
	s_and_saveexec_b64 s[26:27], s[0:1]
	s_cbranch_execnz .LBB844_18
; %bb.14:
	s_or_b64 exec, exec, s[26:27]
	s_mov_b64 s[2:3], -1
	s_and_b64 vcc, exec, s[22:23]
	s_cbranch_vccnz .LBB844_19
.LBB844_15:
	s_andn2_b64 vcc, exec, s[2:3]
	s_cbranch_vccz .LBB844_22
.LBB844_16:
	s_cmp_lt_i32 s16, 1
	s_cbranch_scc0 .LBB844_25
.LBB844_17:
	s_endpgm
.LBB844_18:
	v_add_f32_e32 v4, v4, v5
	v_cvt_f32_u32_e32 v5, s7
	s_waitcnt vmcnt(1)
	v_cvt_f32_u32_sdwa v15, v62 dst_sel:DWORD dst_unused:UNUSED_PAD src0_sel:WORD_1
	v_cvt_f32_u32_sdwa v14, v62 dst_sel:DWORD dst_unused:UNUSED_PAD src0_sel:WORD_0
	v_cvt_f32_u32_sdwa v23, v65 dst_sel:DWORD dst_unused:UNUSED_PAD src0_sel:WORD_1
	v_div_scale_f32 v8, s[28:29], v5, v5, v4
	v_rcp_f32_e32 v9, v8
	v_pk_add_f32 v[14:15], v[14:15], 1.0 op_sel_hi:[1,0]
	v_cvt_f32_u32_sdwa v22, v65 dst_sel:DWORD dst_unused:UNUSED_PAD src0_sel:WORD_0
	s_waitcnt vmcnt(0)
	v_cvt_f32_u32_sdwa v27, v60 dst_sel:DWORD dst_unused:UNUSED_PAD src0_sel:WORD_1
	v_fma_f32 v10, -v8, v9, 1.0
	v_fmac_f32_e32 v9, v10, v9
	v_div_scale_f32 v10, vcc, v4, v5, v4
	v_mul_f32_e32 v11, v10, v9
	v_fma_f32 v12, -v8, v11, v10
	v_fmac_f32_e32 v11, v12, v9
	v_fma_f32 v8, -v8, v11, v10
	v_div_fmas_f32 v8, v8, v9, v11
	v_div_fixup_f32 v4, v8, v5, v4
	v_mov_b32_e32 v5, s13
	v_mov_b32_e32 v8, s12
	v_cndmask_b32_e64 v5, v5, v8, s[2:3]
	v_add_f32_e32 v4, v5, v4
	s_mov_b32 s2, 0x800000
	v_mul_f32_e32 v5, 0x4b800000, v4
	v_cmp_gt_f32_e32 vcc, s2, v4
	v_cndmask_b32_e32 v4, v4, v5, vcc
	v_rsq_f32_e32 v4, v4
	v_cvt_f32_u32_sdwa v26, v60 dst_sel:DWORD dst_unused:UNUSED_PAD src0_sel:WORD_0
	v_cvt_f32_u32_sdwa v29, v61 dst_sel:DWORD dst_unused:UNUSED_PAD src0_sel:WORD_1
	v_cvt_f32_u32_sdwa v28, v61 dst_sel:DWORD dst_unused:UNUSED_PAD src0_sel:WORD_0
	v_mul_f32_e32 v5, 0x45800000, v4
	v_cndmask_b32_e32 v4, v4, v5, vcc
	v_mov_b32_e32 v5, v4
	;;#ASMSTART
	v_pk_mul_f32 v[2:3], v[2:3], v[4:5]
	;;#ASMEND
	;;#ASMSTART
	v_pk_mul_f32 v[6:7], v[6:7], v[4:5]
	;;#ASMEND
	;; [unrolled: 3-line block ×9, first 2 shown]
	v_cvt_f32_u32_sdwa v15, v63 dst_sel:DWORD dst_unused:UNUSED_PAD src0_sel:WORD_1
	v_cvt_f32_u32_sdwa v14, v63 dst_sel:DWORD dst_unused:UNUSED_PAD src0_sel:WORD_0
	v_cvt_f32_u32_sdwa v21, v64 dst_sel:DWORD dst_unused:UNUSED_PAD src0_sel:WORD_1
	v_cvt_f32_u32_sdwa v20, v64 dst_sel:DWORD dst_unused:UNUSED_PAD src0_sel:WORD_0
	v_cvt_f32_u32_sdwa v25, v59 dst_sel:DWORD dst_unused:UNUSED_PAD src0_sel:WORD_1
	v_pk_add_f32 v[14:15], v[14:15], 1.0 op_sel_hi:[1,0]
	v_cvt_f32_u32_sdwa v24, v59 dst_sel:DWORD dst_unused:UNUSED_PAD src0_sel:WORD_0
	;;#ASMSTART
	v_pk_mul_f32 v[6:7], v[6:7], v[14:15]
	;;#ASMEND
	v_pk_add_f32 v[14:15], v[20:21], 1.0 op_sel_hi:[1,0]
	v_pk_add_f32 v[20:21], v[22:23], 1.0 op_sel_hi:[1,0]
	v_cvt_f32_u32_sdwa v23, v58 dst_sel:DWORD dst_unused:UNUSED_PAD src0_sel:WORD_1
	v_cvt_f32_u32_sdwa v22, v58 dst_sel:DWORD dst_unused:UNUSED_PAD src0_sel:WORD_0
	v_pk_add_f32 v[24:25], v[24:25], 1.0 op_sel_hi:[1,0]
	v_pk_add_f32 v[26:27], v[26:27], 1.0 op_sel_hi:[1,0]
	;; [unrolled: 1-line block ×4, first 2 shown]
	;;#ASMSTART
	v_pk_mul_f32 v[40:41], v[8:9], v[14:15]
	;;#ASMEND
	;;#ASMSTART
	v_pk_mul_f32 v[30:31], v[10:11], v[20:21]
	;;#ASMEND
	;;#ASMSTART
	v_pk_mul_f32 v[50:51], v[12:13], v[22:23]
	;;#ASMEND
	;;#ASMSTART
	v_pk_mul_f32 v[24:25], v[16:17], v[24:25]
	;;#ASMEND
	;;#ASMSTART
	v_pk_mul_f32 v[20:21], v[18:19], v[26:27]
	;;#ASMEND
	;;#ASMSTART
	v_pk_mul_f32 v[74:75], v[4:5], v[28:29]
	;;#ASMEND
	s_or_b64 exec, exec, s[26:27]
	s_mov_b64 s[2:3], -1
	s_and_b64 vcc, exec, s[22:23]
	s_cbranch_vccz .LBB844_15
.LBB844_19:
	s_and_saveexec_b64 s[2:3], s[0:1]
	s_cbranch_execz .LBB844_21
; %bb.20:
	s_mul_hi_i32 s23, s25, s6
	s_mul_i32 s22, s25, s6
	s_lshl_b64 s[22:23], s[22:23], 1
	s_add_u32 s28, s14, s22
	s_addc_u32 s7, s15, s23
	s_and_b32 s29, s7, 0xffff
	s_mov_b32 s7, 0x7060302
	s_mov_b32 s31, 0x20000
	v_perm_b32 v11, v31, v30, s7
	v_perm_b32 v10, v41, v40, s7
	;; [unrolled: 1-line block ×4, first 2 shown]
	v_lshlrev_b32_e32 v4, 5, v0
	buffer_store_dwordx4 v[8:11], v4, s[28:31], 0 offen
	;;#ASMSTART
	s_nop 0
	;;#ASMEND
	s_nop 0
	v_perm_b32 v11, v75, v74, s7
	v_perm_b32 v10, v21, v20, s7
	;; [unrolled: 1-line block ×4, first 2 shown]
	buffer_store_dwordx4 v[8:11], v4, s[28:31], 16 offen
	;;#ASMSTART
	s_nop 0
	;;#ASMEND
.LBB844_21:
	s_or_b64 exec, exec, s[2:3]
	s_cbranch_execnz .LBB844_16
.LBB844_22:
	s_and_saveexec_b64 s[2:3], s[0:1]
	s_cbranch_execz .LBB844_24
; %bb.23:
	s_load_dwordx2 s[0:1], s[4:5], 0x10
	s_mul_hi_i32 s23, s24, s6
	s_mul_i32 s22, s24, s6
	s_lshl_b64 s[22:23], s[22:23], 1
	s_mov_b32 s7, 0x7060302
	s_waitcnt lgkmcnt(0)
	s_add_u32 s28, s0, s22
	s_addc_u32 s0, s1, s23
	v_perm_b32 v9, v31, v30, s7
	v_perm_b32 v8, v41, v40, s7
	v_perm_b32 v7, v7, v6, s7
	v_perm_b32 v6, v3, v2, s7
	s_and_b32 s29, s0, 0xffff
	s_mov_b32 s31, 0x20000
	v_lshlrev_b32_e32 v10, 5, v0
	v_perm_b32 v5, v75, v74, s7
	v_perm_b32 v4, v21, v20, s7
	;; [unrolled: 1-line block ×4, first 2 shown]
	buffer_store_dwordx4 v[6:9], v10, s[28:31], 0 offen
	;;#ASMSTART
	s_nop 0
	;;#ASMEND
	buffer_store_dwordx4 v[2:5], v10, s[28:31], 16 offen
	;;#ASMSTART
	s_nop 0
	;;#ASMEND
.LBB844_24:
	s_or_b64 exec, exec, s[2:3]
	s_cmp_lt_i32 s16, 1
	s_cbranch_scc1 .LBB844_17
.LBB844_25:
	s_load_dword s0, s[4:5], 0x94
	s_waitcnt lgkmcnt(0)
	s_cmp_lg_u32 s0, 1
	s_cbranch_scc1 .LBB844_17
; %bb.26:
	s_lshl_b32 s0, s16, 1
	s_add_i32 s0, s0, 2
	v_cmp_gt_u32_e32 vcc, s16, v1
	s_and_b32 s22, s0, -4
	v_mov_b32_e32 v18, 0
	v_lshlrev_b32_e32 v1, 5, v0
	v_mov_b32_e32 v14, 0
	v_mov_b32_e32 v15, 0
	;; [unrolled: 1-line block ×16, first 2 shown]
	s_barrier
	s_and_saveexec_b64 s[0:1], vcc
	s_cbranch_execz .LBB844_28
; %bb.27:
	s_mul_hi_i32 s3, s18, s6
	s_mul_i32 s2, s18, s6
	s_and_b32 s21, s21, 0xffff
	s_lshl_b64 s[2:3], s[2:3], 1
	s_add_u32 s28, s10, s2
	s_mov_b32 s23, 0x20000
	s_addc_u32 s2, s11, s3
	s_and_b32 s29, s2, 0xffff
	s_mov_b32 s30, s22
	s_mov_b32 s31, s23
	buffer_load_dwordx4 v[14:17], v1, s[28:31], 0 offen
	buffer_load_dwordx4 v[10:13], v1, s[28:31], 16 offen
	;; [unrolled: 1-line block ×4, first 2 shown]
.LBB844_28:
	s_or_b64 exec, exec, s[0:1]
	v_mov_b32_e32 v19, 0
	v_mov_b32_e32 v32, 0
	;; [unrolled: 1-line block ×15, first 2 shown]
	s_and_saveexec_b64 s[0:1], vcc
	s_cbranch_execz .LBB844_30
; %bb.29:
	s_waitcnt vmcnt(3)
	v_cvt_f32_u32_sdwa v18, v14 dst_sel:DWORD dst_unused:UNUSED_PAD src0_sel:WORD_0
	v_cvt_f32_u32_sdwa v19, v14 dst_sel:DWORD dst_unused:UNUSED_PAD src0_sel:WORD_1
	v_cvt_f32_u32_sdwa v32, v15 dst_sel:DWORD dst_unused:UNUSED_PAD src0_sel:WORD_0
	v_cvt_f32_u32_sdwa v33, v15 dst_sel:DWORD dst_unused:UNUSED_PAD src0_sel:WORD_1
	;; [unrolled: 2-line block ×4, first 2 shown]
	s_waitcnt vmcnt(2)
	v_cvt_f32_u32_sdwa v26, v10 dst_sel:DWORD dst_unused:UNUSED_PAD src0_sel:WORD_0
	v_cvt_f32_u32_sdwa v27, v10 dst_sel:DWORD dst_unused:UNUSED_PAD src0_sel:WORD_1
	v_cvt_f32_u32_sdwa v24, v11 dst_sel:DWORD dst_unused:UNUSED_PAD src0_sel:WORD_0
	v_cvt_f32_u32_sdwa v25, v11 dst_sel:DWORD dst_unused:UNUSED_PAD src0_sel:WORD_1
	;; [unrolled: 2-line block ×4, first 2 shown]
.LBB844_30:
	s_or_b64 exec, exec, s[0:1]
	s_waitcnt vmcnt(2)
	v_mul_f32_e32 v10, v19, v19
	v_fmac_f32_e32 v10, v18, v18
	v_fmac_f32_e32 v10, v32, v32
	;; [unrolled: 1-line block ×15, first 2 shown]
	s_nop 1
	v_mov_b32_dpp v11, v10 quad_perm:[1,0,3,2] row_mask:0xf bank_mask:0xf
	v_add_f32_e32 v10, v10, v11
	s_nop 1
	v_mov_b32_dpp v11, v10 quad_perm:[2,3,0,1] row_mask:0xf bank_mask:0xf
	v_add_f32_e32 v10, v10, v11
	s_nop 1
	v_mov_b32_dpp v11, v10 row_half_mirror row_mask:0xf bank_mask:0xf
	v_add_f32_e32 v10, v10, v11
	s_nop 1
	v_mov_b32_dpp v11, v10 row_mirror row_mask:0xf bank_mask:0xf
	v_add_f32_e32 v10, v10, v11
	s_nop 1
	v_mov_b32_dpp v11, v10 row_bcast:15 row_mask:0xf bank_mask:0xf
	v_add_f32_e32 v10, v10, v11
	s_nop 1
	v_mov_b32_dpp v11, v10 row_bcast:31 row_mask:0xf bank_mask:0xf
	s_and_saveexec_b64 s[0:1], s[8:9]
	s_cbranch_execz .LBB844_32
; %bb.31:
	v_lshrrev_b32_e32 v0, 4, v0
	v_add_f32_e32 v10, v10, v11
	v_and_b32_e32 v0, 60, v0
	ds_write_b32 v0, v10
.LBB844_32:
	s_or_b64 exec, exec, s[0:1]
	s_waitcnt lgkmcnt(0)
	s_barrier
	ds_read_b32 v0, v34
	s_waitcnt lgkmcnt(0)
	s_nop 0
	v_mov_b32_dpp v10, v0 quad_perm:[1,0,3,2] row_mask:0xf bank_mask:0xf
	v_add_f32_e32 v0, v0, v10
	s_nop 1
	v_mov_b32_dpp v10, v0 quad_perm:[2,3,0,1] row_mask:0xf bank_mask:0xf
	s_and_saveexec_b64 s[0:1], vcc
	s_cbranch_execz .LBB844_17
; %bb.33:
	v_cvt_f32_u32_e32 v11, s16
	v_add_f32_e32 v0, v0, v10
	s_mov_b32 s23, 0x20000
	v_div_scale_f32 v10, s[0:1], v11, v11, v0
	v_rcp_f32_e32 v12, v10
	v_div_scale_f32 v13, vcc, v0, v11, v0
	s_mov_b32 s0, 0x800000
	v_fma_f32 v14, -v10, v12, 1.0
	v_fmac_f32_e32 v12, v14, v12
	v_mul_f32_e32 v14, v13, v12
	v_fma_f32 v15, -v10, v14, v13
	v_fmac_f32_e32 v14, v15, v12
	v_fma_f32 v10, -v10, v14, v13
	v_div_fmas_f32 v10, v10, v12, v14
	v_div_fixup_f32 v0, v10, v11, v0
	v_add_f32_e32 v0, s13, v0
	v_mul_f32_e32 v10, 0x4b800000, v0
	v_cmp_gt_f32_e32 vcc, s0, v0
	v_cndmask_b32_e32 v0, v0, v10, vcc
	v_rsq_f32_e32 v0, v0
	s_mul_hi_i32 s1, s25, s6
	s_mul_i32 s0, s25, s6
	s_lshl_b64 s[0:1], s[0:1], 1
	v_mul_f32_e32 v10, 0x45800000, v0
	v_cndmask_b32_e32 v10, v0, v10, vcc
	v_mov_b32_e32 v11, v10
	;;#ASMSTART
	v_pk_mul_f32 v[12:13], v[18:19], v[10:11]
	;;#ASMEND
	;;#ASMSTART
	v_pk_mul_f32 v[14:15], v[32:33], v[10:11]
	;;#ASMEND
	;; [unrolled: 3-line block ×4, first 2 shown]
	s_waitcnt vmcnt(1)
	v_cvt_f32_u32_sdwa v29, v6 dst_sel:DWORD dst_unused:UNUSED_PAD src0_sel:WORD_1
	v_cvt_f32_u32_sdwa v28, v6 dst_sel:DWORD dst_unused:UNUSED_PAD src0_sel:WORD_0
	v_cvt_f32_u32_sdwa v31, v7 dst_sel:DWORD dst_unused:UNUSED_PAD src0_sel:WORD_1
	v_cvt_f32_u32_sdwa v30, v7 dst_sel:DWORD dst_unused:UNUSED_PAD src0_sel:WORD_0
	;;#ASMSTART
	v_pk_mul_f32 v[26:27], v[26:27], v[10:11]
	;;#ASMEND
	;;#ASMSTART
	v_pk_mul_f32 v[24:25], v[24:25], v[10:11]
	;;#ASMEND
	;; [unrolled: 3-line block ×4, first 2 shown]
	v_cvt_f32_u32_sdwa v21, v8 dst_sel:DWORD dst_unused:UNUSED_PAD src0_sel:WORD_1
	v_cvt_f32_u32_sdwa v20, v8 dst_sel:DWORD dst_unused:UNUSED_PAD src0_sel:WORD_0
	v_pk_add_f32 v[10:11], v[28:29], 1.0 op_sel_hi:[1,0]
	;;#ASMSTART
	v_pk_mul_f32 v[10:11], v[12:13], v[10:11]
	;;#ASMEND
	v_pk_add_f32 v[12:13], v[30:31], 1.0 op_sel_hi:[1,0]
	v_cvt_f32_u32_sdwa v29, v9 dst_sel:DWORD dst_unused:UNUSED_PAD src0_sel:WORD_1
	v_cvt_f32_u32_sdwa v28, v9 dst_sel:DWORD dst_unused:UNUSED_PAD src0_sel:WORD_0
	;;#ASMSTART
	v_pk_mul_f32 v[8:9], v[14:15], v[12:13]
	;;#ASMEND
	v_pk_add_f32 v[12:13], v[20:21], 1.0 op_sel_hi:[1,0]
	;;#ASMSTART
	v_pk_mul_f32 v[12:13], v[16:17], v[12:13]
	;;#ASMEND
	s_waitcnt vmcnt(0)
	v_cvt_f32_u32_sdwa v17, v2 dst_sel:DWORD dst_unused:UNUSED_PAD src0_sel:WORD_1
	v_cvt_f32_u32_sdwa v16, v2 dst_sel:DWORD dst_unused:UNUSED_PAD src0_sel:WORD_0
	v_cvt_f32_u32_sdwa v21, v3 dst_sel:DWORD dst_unused:UNUSED_PAD src0_sel:WORD_1
	v_cvt_f32_u32_sdwa v20, v3 dst_sel:DWORD dst_unused:UNUSED_PAD src0_sel:WORD_0
	v_pk_add_f32 v[14:15], v[28:29], 1.0 op_sel_hi:[1,0]
	;;#ASMSTART
	v_pk_mul_f32 v[14:15], v[18:19], v[14:15]
	;;#ASMEND
	v_pk_add_f32 v[2:3], v[16:17], 1.0 op_sel_hi:[1,0]
	v_cvt_f32_u32_sdwa v19, v4 dst_sel:DWORD dst_unused:UNUSED_PAD src0_sel:WORD_1
	v_cvt_f32_u32_sdwa v18, v4 dst_sel:DWORD dst_unused:UNUSED_PAD src0_sel:WORD_0
	;;#ASMSTART
	v_pk_mul_f32 v[16:17], v[26:27], v[2:3]
	;;#ASMEND
	v_pk_add_f32 v[2:3], v[20:21], 1.0 op_sel_hi:[1,0]
	v_cvt_f32_u32_sdwa v21, v5 dst_sel:DWORD dst_unused:UNUSED_PAD src0_sel:WORD_1
	v_cvt_f32_u32_sdwa v20, v5 dst_sel:DWORD dst_unused:UNUSED_PAD src0_sel:WORD_0
	s_add_u32 s20, s14, s0
	;;#ASMSTART
	v_pk_mul_f32 v[24:25], v[24:25], v[2:3]
	;;#ASMEND
	v_pk_add_f32 v[2:3], v[18:19], 1.0 op_sel_hi:[1,0]
	s_addc_u32 s0, s15, s1
	;;#ASMSTART
	v_pk_mul_f32 v[18:19], v[22:23], v[2:3]
	;;#ASMEND
	v_pk_add_f32 v[2:3], v[20:21], 1.0 op_sel_hi:[1,0]
	s_and_b32 s21, s0, 0xffff
	s_mov_b32 s0, 0x7060302
	;;#ASMSTART
	v_pk_mul_f32 v[6:7], v[6:7], v[2:3]
	;;#ASMEND
	v_perm_b32 v2, v11, v10, s0
	v_perm_b32 v3, v9, v8, s0
	;; [unrolled: 1-line block ×4, first 2 shown]
	buffer_store_dwordx4 v[2:5], v1, s[20:23], 0 offen
	;;#ASMSTART
	s_nop 0
	;;#ASMEND
	s_nop 0
	v_perm_b32 v2, v17, v16, s0
	v_perm_b32 v3, v25, v24, s0
	;; [unrolled: 1-line block ×4, first 2 shown]
	buffer_store_dwordx4 v[2:5], v1, s[20:23], 16 offen
	;;#ASMSTART
	s_nop 0
	;;#ASMEND
	s_endpgm
	.section	.rodata,"a",@progbits
	.p2align	6, 0x0
	.amdhsa_kernel _ZN5aiter35fused_qk_rmsnorm_group_quant_kernelItN4opus5fp4_tELi256ELi16ELi2ELb1ELb1ELb1ELb1ELb0ELb0EEEvPT0_PvPT_S7_S7_PKS6_S9_S9_S9_S9_ffiiiiiiiiiiiii
		.amdhsa_group_segment_fixed_size 32
		.amdhsa_private_segment_fixed_size 0
		.amdhsa_kernarg_size 400
		.amdhsa_user_sgpr_count 6
		.amdhsa_user_sgpr_private_segment_buffer 1
		.amdhsa_user_sgpr_dispatch_ptr 0
		.amdhsa_user_sgpr_queue_ptr 0
		.amdhsa_user_sgpr_kernarg_segment_ptr 1
		.amdhsa_user_sgpr_dispatch_id 0
		.amdhsa_user_sgpr_flat_scratch_init 0
		.amdhsa_user_sgpr_kernarg_preload_length 0
		.amdhsa_user_sgpr_kernarg_preload_offset 0
		.amdhsa_user_sgpr_private_segment_size 0
		.amdhsa_uses_dynamic_stack 0
		.amdhsa_system_sgpr_private_segment_wavefront_offset 0
		.amdhsa_system_sgpr_workgroup_id_x 1
		.amdhsa_system_sgpr_workgroup_id_y 1
		.amdhsa_system_sgpr_workgroup_id_z 0
		.amdhsa_system_sgpr_workgroup_info 0
		.amdhsa_system_vgpr_workitem_id 0
		.amdhsa_next_free_vgpr 76
		.amdhsa_next_free_sgpr 32
		.amdhsa_accum_offset 76
		.amdhsa_reserve_vcc 1
		.amdhsa_reserve_flat_scratch 0
		.amdhsa_float_round_mode_32 0
		.amdhsa_float_round_mode_16_64 0
		.amdhsa_float_denorm_mode_32 3
		.amdhsa_float_denorm_mode_16_64 3
		.amdhsa_dx10_clamp 1
		.amdhsa_ieee_mode 1
		.amdhsa_fp16_overflow 0
		.amdhsa_tg_split 0
		.amdhsa_exception_fp_ieee_invalid_op 0
		.amdhsa_exception_fp_denorm_src 0
		.amdhsa_exception_fp_ieee_div_zero 0
		.amdhsa_exception_fp_ieee_overflow 0
		.amdhsa_exception_fp_ieee_underflow 0
		.amdhsa_exception_fp_ieee_inexact 0
		.amdhsa_exception_int_div_zero 0
	.end_amdhsa_kernel
	.section	.text._ZN5aiter35fused_qk_rmsnorm_group_quant_kernelItN4opus5fp4_tELi256ELi16ELi2ELb1ELb1ELb1ELb1ELb0ELb0EEEvPT0_PvPT_S7_S7_PKS6_S9_S9_S9_S9_ffiiiiiiiiiiiii,"axG",@progbits,_ZN5aiter35fused_qk_rmsnorm_group_quant_kernelItN4opus5fp4_tELi256ELi16ELi2ELb1ELb1ELb1ELb1ELb0ELb0EEEvPT0_PvPT_S7_S7_PKS6_S9_S9_S9_S9_ffiiiiiiiiiiiii,comdat
.Lfunc_end844:
	.size	_ZN5aiter35fused_qk_rmsnorm_group_quant_kernelItN4opus5fp4_tELi256ELi16ELi2ELb1ELb1ELb1ELb1ELb0ELb0EEEvPT0_PvPT_S7_S7_PKS6_S9_S9_S9_S9_ffiiiiiiiiiiiii, .Lfunc_end844-_ZN5aiter35fused_qk_rmsnorm_group_quant_kernelItN4opus5fp4_tELi256ELi16ELi2ELb1ELb1ELb1ELb1ELb0ELb0EEEvPT0_PvPT_S7_S7_PKS6_S9_S9_S9_S9_ffiiiiiiiiiiiii
                                        ; -- End function
	.section	.AMDGPU.csdata,"",@progbits
; Kernel info:
; codeLenInByte = 3568
; NumSgprs: 36
; NumVgprs: 76
; NumAgprs: 0
; TotalNumVgprs: 76
; ScratchSize: 0
; MemoryBound: 0
; FloatMode: 240
; IeeeMode: 1
; LDSByteSize: 32 bytes/workgroup (compile time only)
; SGPRBlocks: 4
; VGPRBlocks: 9
; NumSGPRsForWavesPerEU: 36
; NumVGPRsForWavesPerEU: 76
; AccumOffset: 76
; Occupancy: 6
; WaveLimiterHint : 0
; COMPUTE_PGM_RSRC2:SCRATCH_EN: 0
; COMPUTE_PGM_RSRC2:USER_SGPR: 6
; COMPUTE_PGM_RSRC2:TRAP_HANDLER: 0
; COMPUTE_PGM_RSRC2:TGID_X_EN: 1
; COMPUTE_PGM_RSRC2:TGID_Y_EN: 1
; COMPUTE_PGM_RSRC2:TGID_Z_EN: 0
; COMPUTE_PGM_RSRC2:TIDIG_COMP_CNT: 0
; COMPUTE_PGM_RSRC3_GFX90A:ACCUM_OFFSET: 18
; COMPUTE_PGM_RSRC3_GFX90A:TG_SPLIT: 0
	.section	.text._ZN5aiter35fused_qk_rmsnorm_group_quant_kernelIDF16_DB8_Li256ELi16ELi2ELb1ELb1ELb0ELb1ELb0ELb0EEEvPT0_PvPT_S6_S6_PKS5_S8_S8_S8_S8_ffiiiiiiiiiiiii,"axG",@progbits,_ZN5aiter35fused_qk_rmsnorm_group_quant_kernelIDF16_DB8_Li256ELi16ELi2ELb1ELb1ELb0ELb1ELb0ELb0EEEvPT0_PvPT_S6_S6_PKS5_S8_S8_S8_S8_ffiiiiiiiiiiiii,comdat
	.protected	_ZN5aiter35fused_qk_rmsnorm_group_quant_kernelIDF16_DB8_Li256ELi16ELi2ELb1ELb1ELb0ELb1ELb0ELb0EEEvPT0_PvPT_S6_S6_PKS5_S8_S8_S8_S8_ffiiiiiiiiiiiii ; -- Begin function _ZN5aiter35fused_qk_rmsnorm_group_quant_kernelIDF16_DB8_Li256ELi16ELi2ELb1ELb1ELb0ELb1ELb0ELb0EEEvPT0_PvPT_S6_S6_PKS5_S8_S8_S8_S8_ffiiiiiiiiiiiii
	.globl	_ZN5aiter35fused_qk_rmsnorm_group_quant_kernelIDF16_DB8_Li256ELi16ELi2ELb1ELb1ELb0ELb1ELb0ELb0EEEvPT0_PvPT_S6_S6_PKS5_S8_S8_S8_S8_ffiiiiiiiiiiiii
	.p2align	8
	.type	_ZN5aiter35fused_qk_rmsnorm_group_quant_kernelIDF16_DB8_Li256ELi16ELi2ELb1ELb1ELb0ELb1ELb0ELb0EEEvPT0_PvPT_S6_S6_PKS5_S8_S8_S8_S8_ffiiiiiiiiiiiii,@function
_ZN5aiter35fused_qk_rmsnorm_group_quant_kernelIDF16_DB8_Li256ELi16ELi2ELb1ELb1ELb0ELb1ELb0ELb0EEEvPT0_PvPT_S6_S6_PKS5_S8_S8_S8_S8_ffiiiiiiiiiiiii: ; @_ZN5aiter35fused_qk_rmsnorm_group_quant_kernelIDF16_DB8_Li256ELi16ELi2ELb1ELb1ELb0ELb1ELb0ELb0EEEvPT0_PvPT_S6_S6_PKS5_S8_S8_S8_S8_ffiiiiiiiiiiiii
; %bb.0:
	s_load_dwordx8 s[12:19], s[4:5], 0x50
	s_waitcnt lgkmcnt(0)
	s_cmp_ge_i32 s6, s14
	s_cbranch_scc1 .LBB845_17
; %bb.1:
	s_cmp_lg_u32 s7, 0
	s_cselect_b64 s[22:23], -1, 0
	s_cmp_eq_u32 s7, 0
	s_cselect_b64 s[2:3], -1, 0
	s_and_b64 s[0:1], s[2:3], exec
	s_cselect_b32 s7, s15, s16
	s_load_dwordx2 s[10:11], s[4:5], 0x30
	s_load_dwordx2 s[20:21], s[4:5], 0x48
	s_add_i32 s0, s7, 1
	s_lshr_b32 s1, s0, 31
	s_add_i32 s0, s0, s1
	s_lshl_b32 s0, s0, 1
	v_lshlrev_b32_e32 v1, 4, v0
	s_and_b32 s30, s0, -4
	v_cmp_gt_i32_e64 s[0:1], s7, v1
	v_mov_b32_e32 v6, 0
	v_mov_b32_e32 v7, 0
	;; [unrolled: 1-line block ×16, first 2 shown]
	s_and_saveexec_b64 s[8:9], s[0:1]
	s_cbranch_execz .LBB845_3
; %bb.2:
	s_load_dwordx2 s[14:15], s[4:5], 0x28
	s_load_dwordx2 s[26:27], s[4:5], 0x40
	s_and_b64 s[24:25], s[2:3], exec
	s_cselect_b32 s17, s17, s18
	s_mov_b32 s31, 0x20000
	s_waitcnt lgkmcnt(0)
	s_cselect_b32 s25, s15, s11
	s_cselect_b32 s24, s14, s10
	s_mul_hi_i32 s15, s17, s6
	s_mul_i32 s14, s17, s6
	s_lshl_b64 s[14:15], s[14:15], 1
	s_add_u32 s24, s24, s14
	s_addc_u32 s17, s25, s15
	s_and_b64 s[14:15], s[2:3], exec
	s_cselect_b32 s28, s26, s20
	s_cselect_b32 s14, s27, s21
	s_and_b32 s25, s17, 0xffff
	s_mov_b32 s26, s30
	s_mov_b32 s27, s31
	v_lshlrev_b32_e32 v18, 5, v0
	s_and_b32 s29, s14, 0xffff
	buffer_load_dwordx4 v[10:13], v18, s[24:27], 0 offen
	buffer_load_dwordx4 v[14:17], v18, s[24:27], 16 offen
	;; [unrolled: 1-line block ×4, first 2 shown]
.LBB845_3:
	s_or_b64 exec, exec, s[8:9]
	s_load_dwordx4 s[24:27], s[4:5], 0x7c
	s_and_b64 vcc, exec, s[22:23]
	s_cbranch_vccz .LBB845_7
; %bb.4:
	v_mov_b32_e32 v19, 0
	v_mov_b32_e32 v18, 0
	;; [unrolled: 1-line block ×16, first 2 shown]
	s_and_saveexec_b64 s[8:9], s[0:1]
	s_cbranch_execz .LBB845_6
; %bb.5:
	s_waitcnt vmcnt(3)
	v_cvt_f32_f16_sdwa v33, v10 dst_sel:DWORD dst_unused:UNUSED_PAD src0_sel:WORD_1
	v_cvt_f32_f16_e32 v32, v10
	v_cvt_f32_f16_sdwa v31, v11 dst_sel:DWORD dst_unused:UNUSED_PAD src0_sel:WORD_1
	v_cvt_f32_f16_e32 v30, v11
	;; [unrolled: 2-line block ×4, first 2 shown]
	s_waitcnt vmcnt(2)
	v_cvt_f32_f16_sdwa v25, v14 dst_sel:DWORD dst_unused:UNUSED_PAD src0_sel:WORD_1
	v_cvt_f32_f16_e32 v24, v14
	v_cvt_f32_f16_sdwa v23, v15 dst_sel:DWORD dst_unused:UNUSED_PAD src0_sel:WORD_1
	v_cvt_f32_f16_e32 v22, v15
	;; [unrolled: 2-line block ×4, first 2 shown]
.LBB845_6:
	s_or_b64 exec, exec, s[8:9]
	s_cbranch_execz .LBB845_8
	s_branch .LBB845_11
.LBB845_7:
                                        ; implicit-def: $vgpr19
                                        ; implicit-def: $vgpr21
                                        ; implicit-def: $vgpr23
                                        ; implicit-def: $vgpr25
                                        ; implicit-def: $vgpr29
                                        ; implicit-def: $vgpr27
                                        ; implicit-def: $vgpr31
                                        ; implicit-def: $vgpr33
.LBB845_8:
	v_mov_b32_e32 v19, 0
	v_mov_b32_e32 v18, 0
	;; [unrolled: 1-line block ×16, first 2 shown]
	s_and_saveexec_b64 s[8:9], s[0:1]
	s_cbranch_execz .LBB845_10
; %bb.9:
	s_load_dwordx2 s[14:15], s[4:5], 0x38
	s_mul_hi_i32 s29, s19, s6
	s_mul_i32 s28, s19, s6
	s_lshl_b64 s[28:29], s[28:29], 1
	s_mov_b32 s31, 0x20000
	s_waitcnt lgkmcnt(0)
	s_add_u32 s28, s14, s28
	s_addc_u32 s14, s15, s29
	s_and_b32 s29, s14, 0xffff
	v_lshlrev_b32_e32 v48, 5, v0
	buffer_load_dwordx4 v[18:21], v48, s[28:31], 16 offen
	buffer_load_dwordx4 v[22:25], v48, s[28:31], 0 offen
	s_waitcnt vmcnt(4)
	v_cvt_f32_f16_sdwa v27, v14 dst_sel:DWORD dst_unused:UNUSED_PAD src0_sel:WORD_1
	v_cvt_f32_f16_e32 v26, v14
	v_cvt_f32_f16_sdwa v29, v15 dst_sel:DWORD dst_unused:UNUSED_PAD src0_sel:WORD_1
	v_cvt_f32_f16_e32 v28, v15
	v_cvt_f32_f16_sdwa v15, v16 dst_sel:DWORD dst_unused:UNUSED_PAD src0_sel:WORD_1
	v_cvt_f32_f16_e32 v14, v16
	v_cvt_f32_f16_sdwa v31, v17 dst_sel:DWORD dst_unused:UNUSED_PAD src0_sel:WORD_1
	v_cvt_f32_f16_e32 v30, v17
	v_cvt_f32_f16_sdwa v17, v10 dst_sel:DWORD dst_unused:UNUSED_PAD src0_sel:WORD_1
	v_cvt_f32_f16_e32 v16, v10
	v_cvt_f32_f16_sdwa v35, v11 dst_sel:DWORD dst_unused:UNUSED_PAD src0_sel:WORD_1
	v_cvt_f32_f16_e32 v34, v11
	v_cvt_f32_f16_sdwa v11, v12 dst_sel:DWORD dst_unused:UNUSED_PAD src0_sel:WORD_1
	v_cvt_f32_f16_e32 v10, v12
	v_cvt_f32_f16_sdwa v37, v13 dst_sel:DWORD dst_unused:UNUSED_PAD src0_sel:WORD_1
	v_cvt_f32_f16_e32 v36, v13
	s_load_dwordx2 s[14:15], s[4:5], 0x20
	s_mul_hi_i32 s27, s26, s6
	s_mul_i32 s26, s26, s6
	s_lshl_b64 s[26:27], s[26:27], 1
	s_waitcnt lgkmcnt(0)
	s_add_u32 s28, s14, s26
	s_addc_u32 s14, s15, s27
	s_and_b32 s29, s14, 0xffff
	s_waitcnt vmcnt(1)
	v_cvt_f32_f16_e32 v12, v18
	v_cvt_f32_f16_sdwa v13, v18 dst_sel:DWORD dst_unused:UNUSED_PAD src0_sel:WORD_1
	v_cvt_f32_f16_e32 v18, v19
	v_cvt_f32_f16_sdwa v19, v19 dst_sel:DWORD dst_unused:UNUSED_PAD src0_sel:WORD_1
	;; [unrolled: 2-line block ×4, first 2 shown]
	s_waitcnt vmcnt(0)
	v_cvt_f32_f16_e32 v40, v22
	v_cvt_f32_f16_sdwa v41, v22 dst_sel:DWORD dst_unused:UNUSED_PAD src0_sel:WORD_1
	v_cvt_f32_f16_e32 v42, v23
	v_cvt_f32_f16_sdwa v43, v23 dst_sel:DWORD dst_unused:UNUSED_PAD src0_sel:WORD_1
	;; [unrolled: 2-line block ×4, first 2 shown]
	v_pk_add_f32 v[24:25], v[26:27], v[12:13]
	v_pk_add_f32 v[22:23], v[28:29], v[18:19]
	;; [unrolled: 1-line block ×8, first 2 shown]
	v_cvt_f16_f32_e32 v10, v33
	v_cvt_f16_f32_e32 v14, v32
	;; [unrolled: 1-line block ×16, first 2 shown]
	v_pack_b32_f16 v13, v17, v13
	v_pack_b32_f16 v12, v16, v12
	;; [unrolled: 1-line block ×8, first 2 shown]
	buffer_store_dwordx4 v[10:13], v48, s[28:31], 0 offen
	;;#ASMSTART
	s_nop 0
	;;#ASMEND
	buffer_store_dwordx4 v[14:17], v48, s[28:31], 16 offen
	;;#ASMSTART
	s_nop 0
	;;#ASMEND
.LBB845_10:
	s_or_b64 exec, exec, s[8:9]
.LBB845_11:
	s_waitcnt vmcnt(3)
	v_mul_f32_e32 v10, v33, v33
	v_fmac_f32_e32 v10, v32, v32
	v_fmac_f32_e32 v10, v30, v30
	;; [unrolled: 1-line block ×15, first 2 shown]
	v_and_b32_e32 v12, 63, v0
	v_cmp_eq_u32_e64 s[8:9], 63, v12
	v_mov_b32_dpp v11, v10 quad_perm:[1,0,3,2] row_mask:0xf bank_mask:0xf
	v_add_f32_e32 v10, v10, v11
	s_nop 1
	v_mov_b32_dpp v11, v10 quad_perm:[2,3,0,1] row_mask:0xf bank_mask:0xf
	v_add_f32_e32 v10, v10, v11
	s_nop 1
	v_mov_b32_dpp v11, v10 row_half_mirror row_mask:0xf bank_mask:0xf
	v_add_f32_e32 v10, v10, v11
	s_nop 1
	v_mov_b32_dpp v11, v10 row_mirror row_mask:0xf bank_mask:0xf
	v_add_f32_e32 v10, v10, v11
	s_nop 1
	v_mov_b32_dpp v11, v10 row_bcast:15 row_mask:0xf bank_mask:0xf
	v_add_f32_e32 v10, v10, v11
	s_nop 1
	v_mov_b32_dpp v11, v10 row_bcast:31 row_mask:0xf bank_mask:0xf
	s_and_saveexec_b64 s[14:15], s[8:9]
	s_cbranch_execz .LBB845_13
; %bb.12:
	v_add_f32_e32 v10, v10, v11
	v_lshrrev_b32_e32 v11, 4, v0
	v_and_b32_e32 v11, 60, v11
	ds_write_b32 v11, v10 offset:16
.LBB845_13:
	s_or_b64 exec, exec, s[14:15]
	v_and_b32_e32 v10, 3, v0
	v_lshlrev_b32_e32 v34, 2, v10
	s_waitcnt lgkmcnt(0)
	s_barrier
	ds_read_b32 v10, v34 offset:16
	s_load_dwordx2 s[14:15], s[4:5], 0x18
	s_waitcnt lgkmcnt(0)
	v_mov_b32_dpp v11, v10 quad_perm:[1,0,3,2] row_mask:0xf bank_mask:0xf
	v_add_f32_e32 v10, v10, v11
	s_nop 1
	v_mov_b32_dpp v11, v10 quad_perm:[2,3,0,1] row_mask:0xf bank_mask:0xf
	s_and_saveexec_b64 s[26:27], s[0:1]
	s_cbranch_execnz .LBB845_18
; %bb.14:
	s_or_b64 exec, exec, s[26:27]
	s_mov_b64 s[2:3], -1
	s_and_b64 vcc, exec, s[22:23]
	s_cbranch_vccnz .LBB845_19
.LBB845_15:
	s_andn2_b64 vcc, exec, s[2:3]
	s_cbranch_vccz .LBB845_22
.LBB845_16:
	s_cmp_lt_i32 s16, 1
	s_cbranch_scc0 .LBB845_25
.LBB845_17:
	s_endpgm
.LBB845_18:
	v_cvt_f32_u32_e32 v12, s7
	v_add_f32_e32 v10, v10, v11
	s_waitcnt vmcnt(2)
	v_mov_b32_e32 v14, s13
	v_mov_b32_e32 v15, s12
	v_div_scale_f32 v11, s[28:29], v12, v12, v10
	v_rcp_f32_e32 v13, v11
	v_cndmask_b32_e64 v14, v14, v15, s[2:3]
	s_mov_b32 s2, 0x800000
	s_waitcnt vmcnt(1)
	v_cvt_f32_f16_sdwa v37, v9 dst_sel:DWORD dst_unused:UNUSED_PAD src0_sel:WORD_1
	v_fma_f32 v15, -v11, v13, 1.0
	v_fmac_f32_e32 v13, v15, v13
	v_div_scale_f32 v15, vcc, v10, v12, v10
	v_mul_f32_e32 v16, v15, v13
	v_fma_f32 v17, -v11, v16, v15
	v_fmac_f32_e32 v16, v17, v13
	v_fma_f32 v11, -v11, v16, v15
	v_div_fmas_f32 v11, v11, v13, v16
	v_div_fixup_f32 v10, v11, v12, v10
	v_add_f32_e32 v10, v14, v10
	v_mul_f32_e32 v11, 0x4b800000, v10
	v_cmp_gt_f32_e32 vcc, s2, v10
	v_cndmask_b32_e32 v10, v10, v11, vcc
	v_rsq_f32_e32 v10, v10
	v_cvt_f32_f16_e32 v36, v9
	s_waitcnt vmcnt(0)
	v_cvt_f32_f16_sdwa v9, v3 dst_sel:DWORD dst_unused:UNUSED_PAD src0_sel:WORD_1
	v_mul_f32_e32 v11, 0x45800000, v10
	v_cndmask_b32_e32 v10, v10, v11, vcc
	v_mov_b32_e32 v11, v10
	;;#ASMSTART
	v_pk_mul_f32 v[12:13], v[32:33], v[10:11]
	;;#ASMEND
	;;#ASMSTART
	v_pk_mul_f32 v[14:15], v[30:31], v[10:11]
	;;#ASMEND
	;; [unrolled: 3-line block ×8, first 2 shown]
	v_cvt_f32_f16_sdwa v19, v6 dst_sel:DWORD dst_unused:UNUSED_PAD src0_sel:WORD_1
	v_cvt_f32_f16_e32 v18, v6
	v_cvt_f32_f16_sdwa v27, v7 dst_sel:DWORD dst_unused:UNUSED_PAD src0_sel:WORD_1
	v_cvt_f32_f16_e32 v26, v7
	;; [unrolled: 2-line block ×3, first 2 shown]
	;;#ASMSTART
	v_pk_mul_f32 v[32:33], v[12:13], v[18:19]
	;;#ASMEND
	;;#ASMSTART
	v_pk_mul_f32 v[30:31], v[14:15], v[26:27]
	;;#ASMEND
	;; [unrolled: 3-line block ×4, first 2 shown]
	v_cvt_f32_f16_sdwa v7, v2 dst_sel:DWORD dst_unused:UNUSED_PAD src0_sel:WORD_1
	v_cvt_f32_f16_e32 v6, v2
	v_cvt_f32_f16_e32 v8, v3
	v_cvt_f32_f16_sdwa v3, v4 dst_sel:DWORD dst_unused:UNUSED_PAD src0_sel:WORD_1
	v_cvt_f32_f16_e32 v2, v4
	v_cvt_f32_f16_sdwa v13, v5 dst_sel:DWORD dst_unused:UNUSED_PAD src0_sel:WORD_1
	v_cvt_f32_f16_e32 v12, v5
	;;#ASMSTART
	v_pk_mul_f32 v[24:25], v[24:25], v[6:7]
	;;#ASMEND
	;;#ASMSTART
	v_pk_mul_f32 v[22:23], v[22:23], v[8:9]
	;;#ASMEND
	;; [unrolled: 3-line block ×4, first 2 shown]
	s_or_b64 exec, exec, s[26:27]
	s_mov_b64 s[2:3], -1
	s_and_b64 vcc, exec, s[22:23]
	s_cbranch_vccz .LBB845_15
.LBB845_19:
	s_and_saveexec_b64 s[2:3], s[0:1]
	s_cbranch_execz .LBB845_21
; %bb.20:
	s_mul_hi_i32 s23, s25, s6
	s_mul_i32 s22, s25, s6
	s_waitcnt vmcnt(0)
	v_cvt_f16_f32_e32 v2, v32
	v_cvt_f16_f32_e32 v3, v30
	;; [unrolled: 1-line block ×8, first 2 shown]
	s_lshl_b64 s[22:23], s[22:23], 1
	s_add_u32 s28, s14, s22
	s_addc_u32 s7, s15, s23
	s_and_b32 s29, s7, 0xffff
	s_mov_b32 s31, 0x20000
	v_pack_b32_f16 v5, v5, v6
	v_pack_b32_f16 v4, v4, v7
	v_pack_b32_f16 v3, v3, v8
	v_pack_b32_f16 v2, v2, v9
	v_lshlrev_b32_e32 v6, 5, v0
	buffer_store_dwordx4 v[2:5], v6, s[28:31], 0 offen
	v_cvt_f16_f32_e32 v7, v19
	v_cvt_f16_f32_e32 v2, v24
	;; [unrolled: 1-line block ×8, first 2 shown]
	v_pack_b32_f16 v5, v5, v7
	v_pack_b32_f16 v4, v4, v8
	;; [unrolled: 1-line block ×4, first 2 shown]
	;;#ASMSTART
	s_nop 0
	;;#ASMEND
	buffer_store_dwordx4 v[2:5], v6, s[28:31], 16 offen
	;;#ASMSTART
	s_nop 0
	;;#ASMEND
.LBB845_21:
	s_or_b64 exec, exec, s[2:3]
	s_cbranch_execnz .LBB845_16
.LBB845_22:
	s_and_saveexec_b64 s[2:3], s[0:1]
	s_cbranch_execz .LBB845_24
; %bb.23:
	s_load_dwordx2 s[0:1], s[4:5], 0x10
	s_mul_hi_i32 s23, s24, s6
	s_mul_i32 s22, s24, s6
	s_waitcnt vmcnt(0)
	v_cvt_f16_f32_e32 v2, v32
	v_cvt_f16_f32_e32 v3, v30
	;; [unrolled: 1-line block ×8, first 2 shown]
	s_lshl_b64 s[22:23], s[22:23], 1
	s_waitcnt lgkmcnt(0)
	s_add_u32 s28, s0, s22
	s_addc_u32 s0, s1, s23
	s_mov_b32 s31, 0x20000
	s_and_b32 s29, s0, 0xffff
	v_pack_b32_f16 v5, v5, v6
	v_pack_b32_f16 v4, v4, v7
	;; [unrolled: 1-line block ×4, first 2 shown]
	v_lshlrev_b32_e32 v6, 5, v0
	buffer_store_dwordx4 v[2:5], v6, s[28:31], 0 offen
	v_cvt_f16_f32_e32 v7, v19
	v_cvt_f16_f32_e32 v2, v24
	;; [unrolled: 1-line block ×8, first 2 shown]
	v_pack_b32_f16 v5, v5, v7
	v_pack_b32_f16 v4, v4, v8
	;; [unrolled: 1-line block ×4, first 2 shown]
	;;#ASMSTART
	s_nop 0
	;;#ASMEND
	buffer_store_dwordx4 v[2:5], v6, s[28:31], 16 offen
	;;#ASMSTART
	s_nop 0
	;;#ASMEND
.LBB845_24:
	s_or_b64 exec, exec, s[2:3]
	s_cmp_lt_i32 s16, 1
	s_cbranch_scc1 .LBB845_17
.LBB845_25:
	s_load_dword s0, s[4:5], 0x94
	s_waitcnt lgkmcnt(0)
	s_cmp_lg_u32 s0, 1
	s_cbranch_scc1 .LBB845_17
; %bb.26:
	s_lshl_b32 s0, s16, 1
	s_add_i32 s0, s0, 2
	v_cmp_gt_u32_e32 vcc, s16, v1
	s_and_b32 s22, s0, -4
	v_mov_b32_e32 v18, 0
	v_lshlrev_b32_e32 v1, 5, v0
	s_waitcnt vmcnt(2)
	v_mov_b32_e32 v14, 0
	v_mov_b32_e32 v15, 0
	;; [unrolled: 1-line block ×8, first 2 shown]
	s_waitcnt vmcnt(1)
	v_mov_b32_e32 v6, 0
	v_mov_b32_e32 v7, 0
	;; [unrolled: 1-line block ×4, first 2 shown]
	s_waitcnt vmcnt(0)
	v_mov_b32_e32 v2, 0
	v_mov_b32_e32 v3, 0
	;; [unrolled: 1-line block ×4, first 2 shown]
	s_barrier
	s_and_saveexec_b64 s[0:1], vcc
	s_cbranch_execz .LBB845_28
; %bb.27:
	s_mul_hi_i32 s3, s18, s6
	s_mul_i32 s2, s18, s6
	s_and_b32 s21, s21, 0xffff
	s_lshl_b64 s[2:3], s[2:3], 1
	s_add_u32 s28, s10, s2
	s_mov_b32 s23, 0x20000
	s_addc_u32 s2, s11, s3
	s_and_b32 s29, s2, 0xffff
	s_mov_b32 s30, s22
	s_mov_b32 s31, s23
	buffer_load_dwordx4 v[14:17], v1, s[28:31], 0 offen
	buffer_load_dwordx4 v[10:13], v1, s[28:31], 16 offen
	buffer_load_dwordx4 v[6:9], v1, s[20:23], 0 offen
	buffer_load_dwordx4 v[2:5], v1, s[20:23], 16 offen
.LBB845_28:
	s_or_b64 exec, exec, s[0:1]
	v_mov_b32_e32 v19, 0
	v_mov_b32_e32 v32, 0
	;; [unrolled: 1-line block ×15, first 2 shown]
	s_and_saveexec_b64 s[0:1], vcc
	s_cbranch_execz .LBB845_30
; %bb.29:
	s_waitcnt vmcnt(3)
	v_cvt_f32_f16_sdwa v19, v14 dst_sel:DWORD dst_unused:UNUSED_PAD src0_sel:WORD_1
	v_cvt_f32_f16_e32 v18, v14
	v_cvt_f32_f16_sdwa v33, v15 dst_sel:DWORD dst_unused:UNUSED_PAD src0_sel:WORD_1
	v_cvt_f32_f16_e32 v32, v15
	;; [unrolled: 2-line block ×4, first 2 shown]
	s_waitcnt vmcnt(2)
	v_cvt_f32_f16_sdwa v27, v10 dst_sel:DWORD dst_unused:UNUSED_PAD src0_sel:WORD_1
	v_cvt_f32_f16_e32 v26, v10
	v_cvt_f32_f16_sdwa v25, v11 dst_sel:DWORD dst_unused:UNUSED_PAD src0_sel:WORD_1
	v_cvt_f32_f16_e32 v24, v11
	;; [unrolled: 2-line block ×4, first 2 shown]
.LBB845_30:
	s_or_b64 exec, exec, s[0:1]
	s_waitcnt vmcnt(2)
	v_mul_f32_e32 v10, v19, v19
	v_fmac_f32_e32 v10, v18, v18
	v_fmac_f32_e32 v10, v32, v32
	;; [unrolled: 1-line block ×15, first 2 shown]
	s_nop 1
	v_mov_b32_dpp v11, v10 quad_perm:[1,0,3,2] row_mask:0xf bank_mask:0xf
	v_add_f32_e32 v10, v10, v11
	s_nop 1
	v_mov_b32_dpp v11, v10 quad_perm:[2,3,0,1] row_mask:0xf bank_mask:0xf
	v_add_f32_e32 v10, v10, v11
	s_nop 1
	v_mov_b32_dpp v11, v10 row_half_mirror row_mask:0xf bank_mask:0xf
	v_add_f32_e32 v10, v10, v11
	s_nop 1
	v_mov_b32_dpp v11, v10 row_mirror row_mask:0xf bank_mask:0xf
	v_add_f32_e32 v10, v10, v11
	s_nop 1
	v_mov_b32_dpp v11, v10 row_bcast:15 row_mask:0xf bank_mask:0xf
	v_add_f32_e32 v10, v10, v11
	s_nop 1
	v_mov_b32_dpp v11, v10 row_bcast:31 row_mask:0xf bank_mask:0xf
	s_and_saveexec_b64 s[0:1], s[8:9]
	s_cbranch_execz .LBB845_32
; %bb.31:
	v_lshrrev_b32_e32 v0, 4, v0
	v_add_f32_e32 v10, v10, v11
	v_and_b32_e32 v0, 60, v0
	ds_write_b32 v0, v10
.LBB845_32:
	s_or_b64 exec, exec, s[0:1]
	s_waitcnt lgkmcnt(0)
	s_barrier
	ds_read_b32 v0, v34
	s_waitcnt lgkmcnt(0)
	s_nop 0
	v_mov_b32_dpp v10, v0 quad_perm:[1,0,3,2] row_mask:0xf bank_mask:0xf
	v_add_f32_e32 v0, v0, v10
	s_nop 1
	v_mov_b32_dpp v10, v0 quad_perm:[2,3,0,1] row_mask:0xf bank_mask:0xf
	s_and_saveexec_b64 s[0:1], vcc
	s_cbranch_execz .LBB845_17
; %bb.33:
	v_cvt_f32_u32_e32 v11, s16
	v_add_f32_e32 v0, v0, v10
	s_mov_b32 s23, 0x20000
	v_div_scale_f32 v10, s[0:1], v11, v11, v0
	v_rcp_f32_e32 v12, v10
	v_div_scale_f32 v13, vcc, v0, v11, v0
	s_mov_b32 s0, 0x800000
	v_fma_f32 v14, -v10, v12, 1.0
	v_fmac_f32_e32 v12, v14, v12
	v_mul_f32_e32 v14, v13, v12
	v_fma_f32 v15, -v10, v14, v13
	v_fmac_f32_e32 v14, v15, v12
	v_fma_f32 v10, -v10, v14, v13
	v_div_fmas_f32 v10, v10, v12, v14
	v_div_fixup_f32 v0, v10, v11, v0
	v_add_f32_e32 v0, s13, v0
	v_mul_f32_e32 v10, 0x4b800000, v0
	v_cmp_gt_f32_e32 vcc, s0, v0
	v_cndmask_b32_e32 v0, v0, v10, vcc
	v_rsq_f32_e32 v0, v0
	s_mul_hi_i32 s1, s25, s6
	s_mul_i32 s0, s25, s6
	s_lshl_b64 s[0:1], s[0:1], 1
	v_mul_f32_e32 v10, 0x45800000, v0
	v_cndmask_b32_e32 v10, v0, v10, vcc
	v_mov_b32_e32 v11, v10
	;;#ASMSTART
	v_pk_mul_f32 v[12:13], v[18:19], v[10:11]
	;;#ASMEND
	;;#ASMSTART
	v_pk_mul_f32 v[14:15], v[32:33], v[10:11]
	;;#ASMEND
	;; [unrolled: 3-line block ×8, first 2 shown]
	s_waitcnt vmcnt(1)
	v_cvt_f32_f16_sdwa v21, v6 dst_sel:DWORD dst_unused:UNUSED_PAD src0_sel:WORD_1
	v_cvt_f32_f16_e32 v20, v6
	v_cvt_f32_f16_sdwa v29, v7 dst_sel:DWORD dst_unused:UNUSED_PAD src0_sel:WORD_1
	v_cvt_f32_f16_e32 v28, v7
	;; [unrolled: 2-line block ×4, first 2 shown]
	;;#ASMSTART
	v_pk_mul_f32 v[8:9], v[12:13], v[20:21]
	;;#ASMEND
	;;#ASMSTART
	v_pk_mul_f32 v[12:13], v[14:15], v[28:29]
	;;#ASMEND
	;; [unrolled: 3-line block ×4, first 2 shown]
	s_waitcnt vmcnt(0)
	v_cvt_f32_f16_sdwa v17, v2 dst_sel:DWORD dst_unused:UNUSED_PAD src0_sel:WORD_1
	v_cvt_f32_f16_e32 v16, v2
	v_cvt_f32_f16_sdwa v19, v3 dst_sel:DWORD dst_unused:UNUSED_PAD src0_sel:WORD_1
	v_cvt_f32_f16_e32 v18, v3
	;; [unrolled: 2-line block ×4, first 2 shown]
	;;#ASMSTART
	v_pk_mul_f32 v[16:17], v[26:27], v[16:17]
	;;#ASMEND
	;;#ASMSTART
	v_pk_mul_f32 v[18:19], v[24:25], v[18:19]
	;;#ASMEND
	;; [unrolled: 3-line block ×3, first 2 shown]
	v_cvt_f16_f32_e32 v0, v8
	v_cvt_f16_f32_e32 v2, v9
	;; [unrolled: 1-line block ×8, first 2 shown]
	s_add_u32 s20, s14, s0
	s_addc_u32 s0, s15, s1
	s_and_b32 s21, s0, 0xffff
	v_pack_b32_f16 v2, v0, v2
	v_pack_b32_f16 v3, v3, v4
	;; [unrolled: 1-line block ×4, first 2 shown]
	;;#ASMSTART
	v_pk_mul_f32 v[10:11], v[10:11], v[20:21]
	;;#ASMEND
	buffer_store_dwordx4 v[2:5], v1, s[20:23], 0 offen
	v_cvt_f16_f32_e32 v0, v16
	v_cvt_f16_f32_e32 v2, v17
	;; [unrolled: 1-line block ×8, first 2 shown]
	v_pack_b32_f16 v2, v0, v2
	v_pack_b32_f16 v3, v3, v4
	;; [unrolled: 1-line block ×4, first 2 shown]
	;;#ASMSTART
	s_nop 0
	;;#ASMEND
	buffer_store_dwordx4 v[2:5], v1, s[20:23], 16 offen
	;;#ASMSTART
	s_nop 0
	;;#ASMEND
	s_endpgm
	.section	.rodata,"a",@progbits
	.p2align	6, 0x0
	.amdhsa_kernel _ZN5aiter35fused_qk_rmsnorm_group_quant_kernelIDF16_DB8_Li256ELi16ELi2ELb1ELb1ELb0ELb1ELb0ELb0EEEvPT0_PvPT_S6_S6_PKS5_S8_S8_S8_S8_ffiiiiiiiiiiiii
		.amdhsa_group_segment_fixed_size 32
		.amdhsa_private_segment_fixed_size 0
		.amdhsa_kernarg_size 400
		.amdhsa_user_sgpr_count 6
		.amdhsa_user_sgpr_private_segment_buffer 1
		.amdhsa_user_sgpr_dispatch_ptr 0
		.amdhsa_user_sgpr_queue_ptr 0
		.amdhsa_user_sgpr_kernarg_segment_ptr 1
		.amdhsa_user_sgpr_dispatch_id 0
		.amdhsa_user_sgpr_flat_scratch_init 0
		.amdhsa_user_sgpr_kernarg_preload_length 0
		.amdhsa_user_sgpr_kernarg_preload_offset 0
		.amdhsa_user_sgpr_private_segment_size 0
		.amdhsa_uses_dynamic_stack 0
		.amdhsa_system_sgpr_private_segment_wavefront_offset 0
		.amdhsa_system_sgpr_workgroup_id_x 1
		.amdhsa_system_sgpr_workgroup_id_y 1
		.amdhsa_system_sgpr_workgroup_id_z 0
		.amdhsa_system_sgpr_workgroup_info 0
		.amdhsa_system_vgpr_workitem_id 0
		.amdhsa_next_free_vgpr 49
		.amdhsa_next_free_sgpr 32
		.amdhsa_accum_offset 52
		.amdhsa_reserve_vcc 1
		.amdhsa_reserve_flat_scratch 0
		.amdhsa_float_round_mode_32 0
		.amdhsa_float_round_mode_16_64 0
		.amdhsa_float_denorm_mode_32 3
		.amdhsa_float_denorm_mode_16_64 3
		.amdhsa_dx10_clamp 1
		.amdhsa_ieee_mode 1
		.amdhsa_fp16_overflow 0
		.amdhsa_tg_split 0
		.amdhsa_exception_fp_ieee_invalid_op 0
		.amdhsa_exception_fp_denorm_src 0
		.amdhsa_exception_fp_ieee_div_zero 0
		.amdhsa_exception_fp_ieee_overflow 0
		.amdhsa_exception_fp_ieee_underflow 0
		.amdhsa_exception_fp_ieee_inexact 0
		.amdhsa_exception_int_div_zero 0
	.end_amdhsa_kernel
	.section	.text._ZN5aiter35fused_qk_rmsnorm_group_quant_kernelIDF16_DB8_Li256ELi16ELi2ELb1ELb1ELb0ELb1ELb0ELb0EEEvPT0_PvPT_S6_S6_PKS5_S8_S8_S8_S8_ffiiiiiiiiiiiii,"axG",@progbits,_ZN5aiter35fused_qk_rmsnorm_group_quant_kernelIDF16_DB8_Li256ELi16ELi2ELb1ELb1ELb0ELb1ELb0ELb0EEEvPT0_PvPT_S6_S6_PKS5_S8_S8_S8_S8_ffiiiiiiiiiiiii,comdat
.Lfunc_end845:
	.size	_ZN5aiter35fused_qk_rmsnorm_group_quant_kernelIDF16_DB8_Li256ELi16ELi2ELb1ELb1ELb0ELb1ELb0ELb0EEEvPT0_PvPT_S6_S6_PKS5_S8_S8_S8_S8_ffiiiiiiiiiiiii, .Lfunc_end845-_ZN5aiter35fused_qk_rmsnorm_group_quant_kernelIDF16_DB8_Li256ELi16ELi2ELb1ELb1ELb0ELb1ELb0ELb0EEEvPT0_PvPT_S6_S6_PKS5_S8_S8_S8_S8_ffiiiiiiiiiiiii
                                        ; -- End function
	.section	.AMDGPU.csdata,"",@progbits
; Kernel info:
; codeLenInByte = 3480
; NumSgprs: 36
; NumVgprs: 49
; NumAgprs: 0
; TotalNumVgprs: 49
; ScratchSize: 0
; MemoryBound: 0
; FloatMode: 240
; IeeeMode: 1
; LDSByteSize: 32 bytes/workgroup (compile time only)
; SGPRBlocks: 4
; VGPRBlocks: 6
; NumSGPRsForWavesPerEU: 36
; NumVGPRsForWavesPerEU: 49
; AccumOffset: 52
; Occupancy: 8
; WaveLimiterHint : 0
; COMPUTE_PGM_RSRC2:SCRATCH_EN: 0
; COMPUTE_PGM_RSRC2:USER_SGPR: 6
; COMPUTE_PGM_RSRC2:TRAP_HANDLER: 0
; COMPUTE_PGM_RSRC2:TGID_X_EN: 1
; COMPUTE_PGM_RSRC2:TGID_Y_EN: 1
; COMPUTE_PGM_RSRC2:TGID_Z_EN: 0
; COMPUTE_PGM_RSRC2:TIDIG_COMP_CNT: 0
; COMPUTE_PGM_RSRC3_GFX90A:ACCUM_OFFSET: 12
; COMPUTE_PGM_RSRC3_GFX90A:TG_SPLIT: 0
	.section	.text._ZN5aiter35fused_qk_rmsnorm_group_quant_kernelItDB8_Li256ELi16ELi2ELb1ELb1ELb0ELb1ELb0ELb0EEEvPT0_PvPT_S6_S6_PKS5_S8_S8_S8_S8_ffiiiiiiiiiiiii,"axG",@progbits,_ZN5aiter35fused_qk_rmsnorm_group_quant_kernelItDB8_Li256ELi16ELi2ELb1ELb1ELb0ELb1ELb0ELb0EEEvPT0_PvPT_S6_S6_PKS5_S8_S8_S8_S8_ffiiiiiiiiiiiii,comdat
	.protected	_ZN5aiter35fused_qk_rmsnorm_group_quant_kernelItDB8_Li256ELi16ELi2ELb1ELb1ELb0ELb1ELb0ELb0EEEvPT0_PvPT_S6_S6_PKS5_S8_S8_S8_S8_ffiiiiiiiiiiiii ; -- Begin function _ZN5aiter35fused_qk_rmsnorm_group_quant_kernelItDB8_Li256ELi16ELi2ELb1ELb1ELb0ELb1ELb0ELb0EEEvPT0_PvPT_S6_S6_PKS5_S8_S8_S8_S8_ffiiiiiiiiiiiii
	.globl	_ZN5aiter35fused_qk_rmsnorm_group_quant_kernelItDB8_Li256ELi16ELi2ELb1ELb1ELb0ELb1ELb0ELb0EEEvPT0_PvPT_S6_S6_PKS5_S8_S8_S8_S8_ffiiiiiiiiiiiii
	.p2align	8
	.type	_ZN5aiter35fused_qk_rmsnorm_group_quant_kernelItDB8_Li256ELi16ELi2ELb1ELb1ELb0ELb1ELb0ELb0EEEvPT0_PvPT_S6_S6_PKS5_S8_S8_S8_S8_ffiiiiiiiiiiiii,@function
_ZN5aiter35fused_qk_rmsnorm_group_quant_kernelItDB8_Li256ELi16ELi2ELb1ELb1ELb0ELb1ELb0ELb0EEEvPT0_PvPT_S6_S6_PKS5_S8_S8_S8_S8_ffiiiiiiiiiiiii: ; @_ZN5aiter35fused_qk_rmsnorm_group_quant_kernelItDB8_Li256ELi16ELi2ELb1ELb1ELb0ELb1ELb0ELb0EEEvPT0_PvPT_S6_S6_PKS5_S8_S8_S8_S8_ffiiiiiiiiiiiii
; %bb.0:
	s_load_dwordx8 s[12:19], s[4:5], 0x50
	s_waitcnt lgkmcnt(0)
	s_cmp_ge_i32 s6, s14
	s_cbranch_scc1 .LBB846_17
; %bb.1:
	s_cmp_lg_u32 s7, 0
	s_cselect_b64 s[22:23], -1, 0
	s_cmp_eq_u32 s7, 0
	s_cselect_b64 s[2:3], -1, 0
	s_and_b64 s[0:1], s[2:3], exec
	s_cselect_b32 s7, s15, s16
	s_load_dwordx2 s[10:11], s[4:5], 0x30
	s_load_dwordx2 s[20:21], s[4:5], 0x48
	s_add_i32 s0, s7, 1
	s_lshr_b32 s1, s0, 31
	s_add_i32 s0, s0, s1
	s_lshl_b32 s0, s0, 1
	v_lshlrev_b32_e32 v1, 4, v0
	s_and_b32 s30, s0, -4
	v_cmp_gt_i32_e64 s[0:1], s7, v1
	v_mov_b32_e32 v76, 0
	v_mov_b32_e32 v77, 0
	;; [unrolled: 1-line block ×16, first 2 shown]
	s_and_saveexec_b64 s[8:9], s[0:1]
	s_cbranch_execz .LBB846_3
; %bb.2:
	s_load_dwordx2 s[14:15], s[4:5], 0x28
	s_load_dwordx2 s[26:27], s[4:5], 0x40
	s_and_b64 s[24:25], s[2:3], exec
	s_cselect_b32 s17, s17, s18
	s_mov_b32 s31, 0x20000
	s_waitcnt lgkmcnt(0)
	s_cselect_b32 s25, s15, s11
	s_cselect_b32 s24, s14, s10
	s_mul_hi_i32 s15, s17, s6
	s_mul_i32 s14, s17, s6
	s_lshl_b64 s[14:15], s[14:15], 1
	s_add_u32 s24, s24, s14
	s_addc_u32 s17, s25, s15
	s_and_b64 s[14:15], s[2:3], exec
	s_cselect_b32 s28, s26, s20
	s_cselect_b32 s14, s27, s21
	s_and_b32 s25, s17, 0xffff
	s_mov_b32 s26, s30
	s_mov_b32 s27, s31
	v_lshlrev_b32_e32 v2, 5, v0
	s_and_b32 s29, s14, 0xffff
	buffer_load_dwordx4 v[80:83], v2, s[24:27], 0 offen
	buffer_load_dwordx4 v[84:87], v2, s[24:27], 16 offen
	buffer_load_dwordx4 v[76:79], v2, s[28:31], 0 offen
	buffer_load_dwordx4 v[72:75], v2, s[28:31], 16 offen
.LBB846_3:
	s_or_b64 exec, exec, s[8:9]
	s_load_dwordx4 s[24:27], s[4:5], 0x7c
	s_and_b64 vcc, exec, s[22:23]
	s_cbranch_vccz .LBB846_7
; %bb.4:
	v_mov_b32_e32 v89, 0
	v_mov_b32_e32 v88, 0
	;; [unrolled: 1-line block ×16, first 2 shown]
	s_and_saveexec_b64 s[8:9], s[0:1]
	s_cbranch_execz .LBB846_6
; %bb.5:
	s_waitcnt vmcnt(3)
	v_cvt_f32_u32_sdwa v18, v80 dst_sel:DWORD dst_unused:UNUSED_PAD src0_sel:WORD_0
	v_cvt_f32_u32_sdwa v19, v80 dst_sel:DWORD dst_unused:UNUSED_PAD src0_sel:WORD_1
	v_cvt_f32_u32_sdwa v4, v81 dst_sel:DWORD dst_unused:UNUSED_PAD src0_sel:WORD_0
	v_cvt_f32_u32_sdwa v5, v81 dst_sel:DWORD dst_unused:UNUSED_PAD src0_sel:WORD_1
	;; [unrolled: 2-line block ×4, first 2 shown]
	s_waitcnt vmcnt(2)
	v_cvt_f32_u32_sdwa v64, v84 dst_sel:DWORD dst_unused:UNUSED_PAD src0_sel:WORD_0
	v_cvt_f32_u32_sdwa v65, v84 dst_sel:DWORD dst_unused:UNUSED_PAD src0_sel:WORD_1
	v_cvt_f32_u32_sdwa v48, v85 dst_sel:DWORD dst_unused:UNUSED_PAD src0_sel:WORD_0
	v_cvt_f32_u32_sdwa v49, v85 dst_sel:DWORD dst_unused:UNUSED_PAD src0_sel:WORD_1
	;; [unrolled: 2-line block ×4, first 2 shown]
.LBB846_6:
	s_or_b64 exec, exec, s[8:9]
	s_cbranch_execz .LBB846_8
	s_branch .LBB846_11
.LBB846_7:
                                        ; implicit-def: $vgpr18_vgpr19_vgpr20_vgpr21_vgpr22_vgpr23_vgpr24_vgpr25_vgpr26_vgpr27_vgpr28_vgpr29_vgpr30_vgpr31_vgpr32_vgpr33
                                        ; implicit-def: $vgpr50_vgpr51_vgpr52_vgpr53_vgpr54_vgpr55_vgpr56_vgpr57_vgpr58_vgpr59_vgpr60_vgpr61_vgpr62_vgpr63_vgpr64_vgpr65
                                        ; implicit-def: $vgpr30_vgpr31_vgpr32_vgpr33_vgpr34_vgpr35_vgpr36_vgpr37_vgpr38_vgpr39_vgpr40_vgpr41_vgpr42_vgpr43_vgpr44_vgpr45
                                        ; implicit-def: $vgpr89
                                        ; implicit-def: $vgpr2_vgpr3_vgpr4_vgpr5_vgpr6_vgpr7_vgpr8_vgpr9_vgpr10_vgpr11_vgpr12_vgpr13_vgpr14_vgpr15_vgpr16_vgpr17
                                        ; implicit-def: $vgpr56_vgpr57_vgpr58_vgpr59_vgpr60_vgpr61_vgpr62_vgpr63_vgpr64_vgpr65_vgpr66_vgpr67_vgpr68_vgpr69_vgpr70_vgpr71
                                        ; implicit-def: $vgpr38_vgpr39_vgpr40_vgpr41_vgpr42_vgpr43_vgpr44_vgpr45_vgpr46_vgpr47_vgpr48_vgpr49_vgpr50_vgpr51_vgpr52_vgpr53
                                        ; implicit-def: $vgpr20_vgpr21_vgpr22_vgpr23_vgpr24_vgpr25_vgpr26_vgpr27_vgpr28_vgpr29_vgpr30_vgpr31_vgpr32_vgpr33_vgpr34_vgpr35
.LBB846_8:
	v_mov_b32_e32 v89, 0
	v_mov_b32_e32 v88, 0
	;; [unrolled: 1-line block ×16, first 2 shown]
	s_and_saveexec_b64 s[8:9], s[0:1]
	s_cbranch_execz .LBB846_10
; %bb.9:
	s_load_dwordx2 s[14:15], s[4:5], 0x38
	s_mul_hi_i32 s29, s19, s6
	s_mul_i32 s28, s19, s6
	s_lshl_b64 s[28:29], s[28:29], 1
	s_mov_b32 s31, 0x20000
	s_waitcnt lgkmcnt(0)
	s_add_u32 s28, s14, s28
	s_addc_u32 s14, s15, s29
	s_and_b32 s29, s14, 0xffff
	v_lshlrev_b32_e32 v38, 5, v0
	buffer_load_dwordx4 v[4:7], v38, s[28:31], 16 offen
	buffer_load_dwordx4 v[8:11], v38, s[28:31], 0 offen
	s_load_dwordx2 s[14:15], s[4:5], 0x20
	s_waitcnt vmcnt(5)
	v_cvt_f32_u32_sdwa v19, v80 dst_sel:DWORD dst_unused:UNUSED_PAD src0_sel:WORD_1
	v_cvt_f32_u32_sdwa v18, v80 dst_sel:DWORD dst_unused:UNUSED_PAD src0_sel:WORD_0
	v_cvt_f32_u32_sdwa v21, v81 dst_sel:DWORD dst_unused:UNUSED_PAD src0_sel:WORD_1
	v_cvt_f32_u32_sdwa v20, v81 dst_sel:DWORD dst_unused:UNUSED_PAD src0_sel:WORD_0
	;; [unrolled: 2-line block ×4, first 2 shown]
	s_waitcnt vmcnt(4)
	v_cvt_f32_u32_sdwa v3, v84 dst_sel:DWORD dst_unused:UNUSED_PAD src0_sel:WORD_1
	v_cvt_f32_u32_sdwa v2, v84 dst_sel:DWORD dst_unused:UNUSED_PAD src0_sel:WORD_0
	v_cvt_f32_u32_sdwa v13, v85 dst_sel:DWORD dst_unused:UNUSED_PAD src0_sel:WORD_1
	v_cvt_f32_u32_sdwa v12, v85 dst_sel:DWORD dst_unused:UNUSED_PAD src0_sel:WORD_0
	;; [unrolled: 2-line block ×3, first 2 shown]
	v_cvt_f32_u32_sdwa v16, v87 dst_sel:DWORD dst_unused:UNUSED_PAD src0_sel:WORD_0
	v_cvt_f32_u32_sdwa v17, v87 dst_sel:DWORD dst_unused:UNUSED_PAD src0_sel:WORD_1
	s_mul_hi_i32 s27, s26, s6
	s_mul_i32 s26, s26, s6
	s_lshl_b64 s[26:27], s[26:27], 1
	s_waitcnt lgkmcnt(0)
	s_add_u32 s28, s14, s26
	s_mov_b32 s17, 0x7060302
	s_addc_u32 s14, s15, s27
	s_and_b32 s29, s14, 0xffff
	s_waitcnt vmcnt(1)
	v_cvt_f32_u32_sdwa v27, v4 dst_sel:DWORD dst_unused:UNUSED_PAD src0_sel:WORD_1
	v_cvt_f32_u32_sdwa v26, v4 dst_sel:DWORD dst_unused:UNUSED_PAD src0_sel:WORD_0
	v_cvt_f32_u32_sdwa v29, v5 dst_sel:DWORD dst_unused:UNUSED_PAD src0_sel:WORD_1
	v_cvt_f32_u32_sdwa v28, v5 dst_sel:DWORD dst_unused:UNUSED_PAD src0_sel:WORD_0
	;; [unrolled: 2-line block ×3, first 2 shown]
	v_cvt_f32_u32_sdwa v32, v7 dst_sel:DWORD dst_unused:UNUSED_PAD src0_sel:WORD_0
	v_cvt_f32_u32_sdwa v33, v7 dst_sel:DWORD dst_unused:UNUSED_PAD src0_sel:WORD_1
	s_waitcnt vmcnt(0)
	v_cvt_f32_u32_sdwa v35, v8 dst_sel:DWORD dst_unused:UNUSED_PAD src0_sel:WORD_1
	v_cvt_f32_u32_sdwa v34, v8 dst_sel:DWORD dst_unused:UNUSED_PAD src0_sel:WORD_0
	v_cvt_f32_u32_sdwa v5, v10 dst_sel:DWORD dst_unused:UNUSED_PAD src0_sel:WORD_1
	v_cvt_f32_u32_sdwa v4, v10 dst_sel:DWORD dst_unused:UNUSED_PAD src0_sel:WORD_0
	;; [unrolled: 2-line block ×4, first 2 shown]
	v_pk_add_f32 v[54:55], v[22:23], v[4:5]
	v_pk_add_f32 v[36:37], v[24:25], v[6:7]
	;; [unrolled: 1-line block ×4, first 2 shown]
	v_perm_b32 v9, v37, v36, s17
	v_perm_b32 v8, v55, v54, s17
	;; [unrolled: 1-line block ×4, first 2 shown]
	v_pk_add_f32 v[88:89], v[16:17], v[32:33]
	v_pk_add_f32 v[32:33], v[14:15], v[30:31]
	v_pk_add_f32 v[48:49], v[12:13], v[28:29]
	v_pk_add_f32 v[64:65], v[2:3], v[26:27]
	buffer_store_dwordx4 v[6:9], v38, s[28:31], 0 offen
	;;#ASMSTART
	s_nop 0
	;;#ASMEND
	s_nop 0
	v_perm_b32 v9, v89, v88, s17
	v_perm_b32 v8, v33, v32, s17
	v_perm_b32 v7, v49, v48, s17
	v_perm_b32 v6, v65, v64, s17
	buffer_store_dwordx4 v[6:9], v38, s[28:31], 16 offen
	;;#ASMSTART
	s_nop 0
	;;#ASMEND
.LBB846_10:
	s_or_b64 exec, exec, s[8:9]
.LBB846_11:
	v_mul_f32_e32 v2, v19, v19
	v_fmac_f32_e32 v2, v18, v18
	v_fmac_f32_e32 v2, v4, v4
	;; [unrolled: 1-line block ×15, first 2 shown]
	s_nop 1
	v_mov_b32_dpp v3, v2 quad_perm:[1,0,3,2] row_mask:0xf bank_mask:0xf
	v_add_f32_e32 v2, v2, v3
	s_nop 1
	v_mov_b32_dpp v3, v2 quad_perm:[2,3,0,1] row_mask:0xf bank_mask:0xf
	v_add_f32_e32 v2, v2, v3
	s_nop 1
	v_mov_b32_dpp v3, v2 row_half_mirror row_mask:0xf bank_mask:0xf
	v_add_f32_e32 v2, v2, v3
	s_nop 1
	v_mov_b32_dpp v3, v2 row_mirror row_mask:0xf bank_mask:0xf
	v_add_f32_e32 v2, v2, v3
	s_nop 1
	v_mov_b32_dpp v3, v2 row_bcast:15 row_mask:0xf bank_mask:0xf
	v_add_f32_e32 v2, v2, v3
	v_and_b32_e32 v3, 63, v0
	v_cmp_eq_u32_e64 s[8:9], 63, v3
	s_nop 0
	v_mov_b32_dpp v3, v2 row_bcast:31 row_mask:0xf bank_mask:0xf
	s_and_saveexec_b64 s[14:15], s[8:9]
	s_cbranch_execz .LBB846_13
; %bb.12:
	v_add_f32_e32 v2, v2, v3
	v_lshrrev_b32_e32 v3, 4, v0
	v_and_b32_e32 v3, 60, v3
	ds_write_b32 v3, v2 offset:16
.LBB846_13:
	s_or_b64 exec, exec, s[14:15]
	v_and_b32_e32 v2, 3, v0
	v_lshlrev_b32_e32 v34, 2, v2
	s_waitcnt lgkmcnt(0)
	s_barrier
	ds_read_b32 v2, v34 offset:16
	s_load_dwordx2 s[14:15], s[4:5], 0x18
	s_waitcnt lgkmcnt(0)
	v_mov_b32_dpp v3, v2 quad_perm:[1,0,3,2] row_mask:0xf bank_mask:0xf
	v_add_f32_e32 v2, v2, v3
	s_nop 1
	v_mov_b32_dpp v3, v2 quad_perm:[2,3,0,1] row_mask:0xf bank_mask:0xf
	s_and_saveexec_b64 s[26:27], s[0:1]
	s_cbranch_execnz .LBB846_18
; %bb.14:
	s_or_b64 exec, exec, s[26:27]
	s_mov_b64 s[2:3], -1
	s_and_b64 vcc, exec, s[22:23]
	s_cbranch_vccnz .LBB846_19
.LBB846_15:
	s_andn2_b64 vcc, exec, s[2:3]
	s_cbranch_vccz .LBB846_22
.LBB846_16:
	s_cmp_lt_i32 s16, 1
	s_cbranch_scc0 .LBB846_25
.LBB846_17:
	s_endpgm
.LBB846_18:
	v_add_f32_e32 v2, v2, v3
	v_cvt_f32_u32_e32 v3, s7
	s_waitcnt vmcnt(1)
	v_cvt_f32_u32_sdwa v17, v76 dst_sel:DWORD dst_unused:UNUSED_PAD src0_sel:WORD_1
	v_cvt_f32_u32_sdwa v16, v76 dst_sel:DWORD dst_unused:UNUSED_PAD src0_sel:WORD_0
	v_cvt_f32_u32_sdwa v21, v77 dst_sel:DWORD dst_unused:UNUSED_PAD src0_sel:WORD_1
	v_div_scale_f32 v6, s[28:29], v3, v3, v2
	v_rcp_f32_e32 v7, v6
	v_cvt_f32_u32_sdwa v20, v77 dst_sel:DWORD dst_unused:UNUSED_PAD src0_sel:WORD_0
	s_waitcnt vmcnt(0)
	v_cvt_f32_u32_sdwa v25, v73 dst_sel:DWORD dst_unused:UNUSED_PAD src0_sel:WORD_1
	v_cvt_f32_u32_sdwa v24, v73 dst_sel:DWORD dst_unused:UNUSED_PAD src0_sel:WORD_0
	v_fma_f32 v8, -v6, v7, 1.0
	v_fmac_f32_e32 v7, v8, v7
	v_div_scale_f32 v8, vcc, v2, v3, v2
	v_mul_f32_e32 v9, v8, v7
	v_fma_f32 v10, -v6, v9, v8
	v_fmac_f32_e32 v9, v10, v7
	v_fma_f32 v6, -v6, v9, v8
	v_div_fmas_f32 v6, v6, v7, v9
	v_div_fixup_f32 v2, v6, v3, v2
	v_mov_b32_e32 v3, s13
	v_mov_b32_e32 v6, s12
	v_cndmask_b32_e64 v3, v3, v6, s[2:3]
	v_add_f32_e32 v2, v3, v2
	s_mov_b32 s2, 0x800000
	v_mul_f32_e32 v3, 0x4b800000, v2
	v_cmp_gt_f32_e32 vcc, s2, v2
	v_cndmask_b32_e32 v2, v2, v3, vcc
	v_rsq_f32_e32 v2, v2
	v_cvt_f32_u32_sdwa v27, v74 dst_sel:DWORD dst_unused:UNUSED_PAD src0_sel:WORD_1
	v_cvt_f32_u32_sdwa v26, v74 dst_sel:DWORD dst_unused:UNUSED_PAD src0_sel:WORD_0
	v_cvt_f32_u32_sdwa v29, v75 dst_sel:DWORD dst_unused:UNUSED_PAD src0_sel:WORD_1
	v_mul_f32_e32 v3, 0x45800000, v2
	v_cndmask_b32_e32 v2, v2, v3, vcc
	v_mov_b32_e32 v3, v2
	;;#ASMSTART
	v_pk_mul_f32 v[6:7], v[18:19], v[2:3]
	;;#ASMEND
	;;#ASMSTART
	v_pk_mul_f32 v[4:5], v[4:5], v[2:3]
	;;#ASMEND
	;; [unrolled: 3-line block ×10, first 2 shown]
	v_cvt_f32_u32_sdwa v7, v78 dst_sel:DWORD dst_unused:UNUSED_PAD src0_sel:WORD_1
	v_cvt_f32_u32_sdwa v6, v78 dst_sel:DWORD dst_unused:UNUSED_PAD src0_sel:WORD_0
	v_cvt_f32_u32_sdwa v17, v79 dst_sel:DWORD dst_unused:UNUSED_PAD src0_sel:WORD_1
	v_cvt_f32_u32_sdwa v16, v79 dst_sel:DWORD dst_unused:UNUSED_PAD src0_sel:WORD_0
	;; [unrolled: 2-line block ×3, first 2 shown]
	v_cvt_f32_u32_sdwa v28, v75 dst_sel:DWORD dst_unused:UNUSED_PAD src0_sel:WORD_0
	;;#ASMSTART
	v_pk_mul_f32 v[54:55], v[8:9], v[6:7]
	;;#ASMEND
	;;#ASMSTART
	v_pk_mul_f32 v[36:37], v[10:11], v[16:17]
	;;#ASMEND
	;;#ASMSTART
	v_pk_mul_f32 v[64:65], v[12:13], v[20:21]
	;;#ASMEND
	;;#ASMSTART
	v_pk_mul_f32 v[48:49], v[14:15], v[24:25]
	;;#ASMEND
	;;#ASMSTART
	v_pk_mul_f32 v[32:33], v[22:23], v[26:27]
	;;#ASMEND
	;;#ASMSTART
	v_pk_mul_f32 v[88:89], v[2:3], v[28:29]
	;;#ASMEND
	s_or_b64 exec, exec, s[26:27]
	s_mov_b64 s[2:3], -1
	s_and_b64 vcc, exec, s[22:23]
	s_cbranch_vccz .LBB846_15
.LBB846_19:
	s_and_saveexec_b64 s[2:3], s[0:1]
	s_cbranch_execz .LBB846_21
; %bb.20:
	s_mul_hi_i32 s23, s25, s6
	s_mul_i32 s22, s25, s6
	s_lshl_b64 s[22:23], s[22:23], 1
	s_add_u32 s28, s14, s22
	s_addc_u32 s7, s15, s23
	s_and_b32 s29, s7, 0xffff
	s_mov_b32 s7, 0x7060302
	s_mov_b32 s31, 0x20000
	v_perm_b32 v9, v37, v36, s7
	v_perm_b32 v8, v55, v54, s7
	;; [unrolled: 1-line block ×4, first 2 shown]
	v_lshlrev_b32_e32 v2, 5, v0
	buffer_store_dwordx4 v[6:9], v2, s[28:31], 0 offen
	;;#ASMSTART
	s_nop 0
	;;#ASMEND
	s_nop 0
	v_perm_b32 v9, v89, v88, s7
	v_perm_b32 v8, v33, v32, s7
	;; [unrolled: 1-line block ×4, first 2 shown]
	buffer_store_dwordx4 v[6:9], v2, s[28:31], 16 offen
	;;#ASMSTART
	s_nop 0
	;;#ASMEND
.LBB846_21:
	s_or_b64 exec, exec, s[2:3]
	s_cbranch_execnz .LBB846_16
.LBB846_22:
	s_and_saveexec_b64 s[2:3], s[0:1]
	s_cbranch_execz .LBB846_24
; %bb.23:
	s_load_dwordx2 s[0:1], s[4:5], 0x10
	s_mul_hi_i32 s23, s24, s6
	s_mul_i32 s22, s24, s6
	s_lshl_b64 s[22:23], s[22:23], 1
	s_mov_b32 s7, 0x7060302
	s_waitcnt lgkmcnt(0)
	s_add_u32 s28, s0, s22
	s_addc_u32 s0, s1, s23
	v_perm_b32 v7, v37, v36, s7
	v_perm_b32 v6, v55, v54, s7
	;; [unrolled: 1-line block ×4, first 2 shown]
	s_and_b32 s29, s0, 0xffff
	s_mov_b32 s31, 0x20000
	v_lshlrev_b32_e32 v8, 5, v0
	buffer_store_dwordx4 v[4:7], v8, s[28:31], 0 offen
	v_perm_b32 v3, v49, v48, s7
	v_perm_b32 v5, v89, v88, s7
	;; [unrolled: 1-line block ×4, first 2 shown]
	;;#ASMSTART
	s_nop 0
	;;#ASMEND
	buffer_store_dwordx4 v[2:5], v8, s[28:31], 16 offen
	;;#ASMSTART
	s_nop 0
	;;#ASMEND
.LBB846_24:
	s_or_b64 exec, exec, s[2:3]
	s_cmp_lt_i32 s16, 1
	s_cbranch_scc1 .LBB846_17
.LBB846_25:
	s_load_dword s0, s[4:5], 0x94
	s_waitcnt lgkmcnt(0)
	s_cmp_lg_u32 s0, 1
	s_cbranch_scc1 .LBB846_17
; %bb.26:
	s_lshl_b32 s0, s16, 1
	s_add_i32 s0, s0, 2
	v_cmp_gt_u32_e32 vcc, s16, v1
	s_and_b32 s22, s0, -4
	v_mov_b32_e32 v18, 0
	v_lshlrev_b32_e32 v1, 5, v0
	v_mov_b32_e32 v14, 0
	v_mov_b32_e32 v15, 0
	;; [unrolled: 1-line block ×16, first 2 shown]
	s_barrier
	s_and_saveexec_b64 s[0:1], vcc
	s_cbranch_execz .LBB846_28
; %bb.27:
	s_mul_hi_i32 s3, s18, s6
	s_mul_i32 s2, s18, s6
	s_and_b32 s21, s21, 0xffff
	s_lshl_b64 s[2:3], s[2:3], 1
	s_add_u32 s28, s10, s2
	s_mov_b32 s23, 0x20000
	s_addc_u32 s2, s11, s3
	s_and_b32 s29, s2, 0xffff
	s_mov_b32 s30, s22
	s_mov_b32 s31, s23
	buffer_load_dwordx4 v[14:17], v1, s[28:31], 0 offen
	buffer_load_dwordx4 v[10:13], v1, s[28:31], 16 offen
	;; [unrolled: 1-line block ×4, first 2 shown]
.LBB846_28:
	s_or_b64 exec, exec, s[0:1]
	v_mov_b32_e32 v19, 0
	v_mov_b32_e32 v32, 0
	;; [unrolled: 1-line block ×15, first 2 shown]
	s_and_saveexec_b64 s[0:1], vcc
	s_cbranch_execz .LBB846_30
; %bb.29:
	s_waitcnt vmcnt(3)
	v_cvt_f32_u32_sdwa v18, v14 dst_sel:DWORD dst_unused:UNUSED_PAD src0_sel:WORD_0
	v_cvt_f32_u32_sdwa v19, v14 dst_sel:DWORD dst_unused:UNUSED_PAD src0_sel:WORD_1
	v_cvt_f32_u32_sdwa v32, v15 dst_sel:DWORD dst_unused:UNUSED_PAD src0_sel:WORD_0
	v_cvt_f32_u32_sdwa v33, v15 dst_sel:DWORD dst_unused:UNUSED_PAD src0_sel:WORD_1
	;; [unrolled: 2-line block ×4, first 2 shown]
	s_waitcnt vmcnt(2)
	v_cvt_f32_u32_sdwa v26, v10 dst_sel:DWORD dst_unused:UNUSED_PAD src0_sel:WORD_0
	v_cvt_f32_u32_sdwa v27, v10 dst_sel:DWORD dst_unused:UNUSED_PAD src0_sel:WORD_1
	v_cvt_f32_u32_sdwa v24, v11 dst_sel:DWORD dst_unused:UNUSED_PAD src0_sel:WORD_0
	v_cvt_f32_u32_sdwa v25, v11 dst_sel:DWORD dst_unused:UNUSED_PAD src0_sel:WORD_1
	;; [unrolled: 2-line block ×4, first 2 shown]
.LBB846_30:
	s_or_b64 exec, exec, s[0:1]
	s_waitcnt vmcnt(2)
	v_mul_f32_e32 v10, v19, v19
	v_fmac_f32_e32 v10, v18, v18
	v_fmac_f32_e32 v10, v32, v32
	;; [unrolled: 1-line block ×15, first 2 shown]
	s_nop 1
	v_mov_b32_dpp v11, v10 quad_perm:[1,0,3,2] row_mask:0xf bank_mask:0xf
	v_add_f32_e32 v10, v10, v11
	s_nop 1
	v_mov_b32_dpp v11, v10 quad_perm:[2,3,0,1] row_mask:0xf bank_mask:0xf
	v_add_f32_e32 v10, v10, v11
	s_nop 1
	v_mov_b32_dpp v11, v10 row_half_mirror row_mask:0xf bank_mask:0xf
	v_add_f32_e32 v10, v10, v11
	s_nop 1
	v_mov_b32_dpp v11, v10 row_mirror row_mask:0xf bank_mask:0xf
	v_add_f32_e32 v10, v10, v11
	s_nop 1
	v_mov_b32_dpp v11, v10 row_bcast:15 row_mask:0xf bank_mask:0xf
	v_add_f32_e32 v10, v10, v11
	s_nop 1
	v_mov_b32_dpp v11, v10 row_bcast:31 row_mask:0xf bank_mask:0xf
	s_and_saveexec_b64 s[0:1], s[8:9]
	s_cbranch_execz .LBB846_32
; %bb.31:
	v_lshrrev_b32_e32 v0, 4, v0
	v_add_f32_e32 v10, v10, v11
	v_and_b32_e32 v0, 60, v0
	ds_write_b32 v0, v10
.LBB846_32:
	s_or_b64 exec, exec, s[0:1]
	s_waitcnt lgkmcnt(0)
	s_barrier
	ds_read_b32 v0, v34
	s_waitcnt lgkmcnt(0)
	s_nop 0
	v_mov_b32_dpp v10, v0 quad_perm:[1,0,3,2] row_mask:0xf bank_mask:0xf
	v_add_f32_e32 v0, v0, v10
	s_nop 1
	v_mov_b32_dpp v10, v0 quad_perm:[2,3,0,1] row_mask:0xf bank_mask:0xf
	s_and_saveexec_b64 s[0:1], vcc
	s_cbranch_execz .LBB846_17
; %bb.33:
	v_cvt_f32_u32_e32 v11, s16
	v_add_f32_e32 v0, v0, v10
	s_mov_b32 s23, 0x20000
	v_div_scale_f32 v10, s[0:1], v11, v11, v0
	v_rcp_f32_e32 v12, v10
	v_div_scale_f32 v13, vcc, v0, v11, v0
	s_mov_b32 s0, 0x800000
	v_fma_f32 v14, -v10, v12, 1.0
	v_fmac_f32_e32 v12, v14, v12
	v_mul_f32_e32 v14, v13, v12
	v_fma_f32 v15, -v10, v14, v13
	v_fmac_f32_e32 v14, v15, v12
	v_fma_f32 v10, -v10, v14, v13
	v_div_fmas_f32 v10, v10, v12, v14
	v_div_fixup_f32 v0, v10, v11, v0
	v_add_f32_e32 v0, s13, v0
	v_mul_f32_e32 v10, 0x4b800000, v0
	v_cmp_gt_f32_e32 vcc, s0, v0
	v_cndmask_b32_e32 v0, v0, v10, vcc
	v_rsq_f32_e32 v0, v0
	s_mul_hi_i32 s1, s25, s6
	s_mul_i32 s0, s25, s6
	s_lshl_b64 s[0:1], s[0:1], 1
	v_mul_f32_e32 v10, 0x45800000, v0
	v_cndmask_b32_e32 v10, v0, v10, vcc
	v_mov_b32_e32 v11, v10
	s_add_u32 s20, s14, s0
	;;#ASMSTART
	v_pk_mul_f32 v[12:13], v[18:19], v[10:11]
	;;#ASMEND
	;;#ASMSTART
	v_pk_mul_f32 v[14:15], v[32:33], v[10:11]
	;;#ASMEND
	;;#ASMSTART
	v_pk_mul_f32 v[16:17], v[30:31], v[10:11]
	;;#ASMEND
	;;#ASMSTART
	v_pk_mul_f32 v[18:19], v[28:29], v[10:11]
	;;#ASMEND
	;;#ASMSTART
	v_pk_mul_f32 v[26:27], v[26:27], v[10:11]
	;;#ASMEND
	;;#ASMSTART
	v_pk_mul_f32 v[24:25], v[24:25], v[10:11]
	;;#ASMEND
	;;#ASMSTART
	v_pk_mul_f32 v[22:23], v[22:23], v[10:11]
	;;#ASMEND
	;;#ASMSTART
	v_pk_mul_f32 v[10:11], v[20:21], v[10:11]
	;;#ASMEND
	s_waitcnt vmcnt(1)
	v_cvt_f32_u32_sdwa v21, v6 dst_sel:DWORD dst_unused:UNUSED_PAD src0_sel:WORD_1
	v_cvt_f32_u32_sdwa v20, v6 dst_sel:DWORD dst_unused:UNUSED_PAD src0_sel:WORD_0
	v_cvt_f32_u32_sdwa v29, v7 dst_sel:DWORD dst_unused:UNUSED_PAD src0_sel:WORD_1
	v_cvt_f32_u32_sdwa v28, v7 dst_sel:DWORD dst_unused:UNUSED_PAD src0_sel:WORD_0
	;; [unrolled: 2-line block ×3, first 2 shown]
	s_addc_u32 s0, s15, s1
	v_cvt_f32_u32_sdwa v31, v9 dst_sel:DWORD dst_unused:UNUSED_PAD src0_sel:WORD_1
	v_cvt_f32_u32_sdwa v30, v9 dst_sel:DWORD dst_unused:UNUSED_PAD src0_sel:WORD_0
	;;#ASMSTART
	v_pk_mul_f32 v[8:9], v[12:13], v[20:21]
	;;#ASMEND
	;;#ASMSTART
	v_pk_mul_f32 v[12:13], v[14:15], v[28:29]
	;;#ASMEND
	;; [unrolled: 3-line block ×4, first 2 shown]
	s_waitcnt vmcnt(0)
	v_cvt_f32_u32_sdwa v17, v2 dst_sel:DWORD dst_unused:UNUSED_PAD src0_sel:WORD_1
	v_cvt_f32_u32_sdwa v16, v2 dst_sel:DWORD dst_unused:UNUSED_PAD src0_sel:WORD_0
	v_cvt_f32_u32_sdwa v19, v3 dst_sel:DWORD dst_unused:UNUSED_PAD src0_sel:WORD_1
	v_cvt_f32_u32_sdwa v18, v3 dst_sel:DWORD dst_unused:UNUSED_PAD src0_sel:WORD_0
	;; [unrolled: 2-line block ×3, first 2 shown]
	s_and_b32 s21, s0, 0xffff
	s_mov_b32 s0, 0x7060302
	v_cvt_f32_u32_sdwa v21, v5 dst_sel:DWORD dst_unused:UNUSED_PAD src0_sel:WORD_1
	v_cvt_f32_u32_sdwa v20, v5 dst_sel:DWORD dst_unused:UNUSED_PAD src0_sel:WORD_0
	;;#ASMSTART
	v_pk_mul_f32 v[16:17], v[26:27], v[16:17]
	;;#ASMEND
	;;#ASMSTART
	v_pk_mul_f32 v[18:19], v[24:25], v[18:19]
	;;#ASMEND
	;; [unrolled: 3-line block ×3, first 2 shown]
	v_perm_b32 v2, v9, v8, s0
	v_perm_b32 v3, v13, v12, s0
	;; [unrolled: 1-line block ×4, first 2 shown]
	;;#ASMSTART
	v_pk_mul_f32 v[10:11], v[10:11], v[20:21]
	;;#ASMEND
	buffer_store_dwordx4 v[2:5], v1, s[20:23], 0 offen
	;;#ASMSTART
	s_nop 0
	;;#ASMEND
	s_nop 0
	v_perm_b32 v2, v17, v16, s0
	v_perm_b32 v3, v19, v18, s0
	;; [unrolled: 1-line block ×4, first 2 shown]
	buffer_store_dwordx4 v[2:5], v1, s[20:23], 16 offen
	;;#ASMSTART
	s_nop 0
	;;#ASMEND
	s_endpgm
	.section	.rodata,"a",@progbits
	.p2align	6, 0x0
	.amdhsa_kernel _ZN5aiter35fused_qk_rmsnorm_group_quant_kernelItDB8_Li256ELi16ELi2ELb1ELb1ELb0ELb1ELb0ELb0EEEvPT0_PvPT_S6_S6_PKS5_S8_S8_S8_S8_ffiiiiiiiiiiiii
		.amdhsa_group_segment_fixed_size 32
		.amdhsa_private_segment_fixed_size 0
		.amdhsa_kernarg_size 400
		.amdhsa_user_sgpr_count 6
		.amdhsa_user_sgpr_private_segment_buffer 1
		.amdhsa_user_sgpr_dispatch_ptr 0
		.amdhsa_user_sgpr_queue_ptr 0
		.amdhsa_user_sgpr_kernarg_segment_ptr 1
		.amdhsa_user_sgpr_dispatch_id 0
		.amdhsa_user_sgpr_flat_scratch_init 0
		.amdhsa_user_sgpr_kernarg_preload_length 0
		.amdhsa_user_sgpr_kernarg_preload_offset 0
		.amdhsa_user_sgpr_private_segment_size 0
		.amdhsa_uses_dynamic_stack 0
		.amdhsa_system_sgpr_private_segment_wavefront_offset 0
		.amdhsa_system_sgpr_workgroup_id_x 1
		.amdhsa_system_sgpr_workgroup_id_y 1
		.amdhsa_system_sgpr_workgroup_id_z 0
		.amdhsa_system_sgpr_workgroup_info 0
		.amdhsa_system_vgpr_workitem_id 0
		.amdhsa_next_free_vgpr 90
		.amdhsa_next_free_sgpr 32
		.amdhsa_accum_offset 92
		.amdhsa_reserve_vcc 1
		.amdhsa_reserve_flat_scratch 0
		.amdhsa_float_round_mode_32 0
		.amdhsa_float_round_mode_16_64 0
		.amdhsa_float_denorm_mode_32 3
		.amdhsa_float_denorm_mode_16_64 3
		.amdhsa_dx10_clamp 1
		.amdhsa_ieee_mode 1
		.amdhsa_fp16_overflow 0
		.amdhsa_tg_split 0
		.amdhsa_exception_fp_ieee_invalid_op 0
		.amdhsa_exception_fp_denorm_src 0
		.amdhsa_exception_fp_ieee_div_zero 0
		.amdhsa_exception_fp_ieee_overflow 0
		.amdhsa_exception_fp_ieee_underflow 0
		.amdhsa_exception_fp_ieee_inexact 0
		.amdhsa_exception_int_div_zero 0
	.end_amdhsa_kernel
	.section	.text._ZN5aiter35fused_qk_rmsnorm_group_quant_kernelItDB8_Li256ELi16ELi2ELb1ELb1ELb0ELb1ELb0ELb0EEEvPT0_PvPT_S6_S6_PKS5_S8_S8_S8_S8_ffiiiiiiiiiiiii,"axG",@progbits,_ZN5aiter35fused_qk_rmsnorm_group_quant_kernelItDB8_Li256ELi16ELi2ELb1ELb1ELb0ELb1ELb0ELb0EEEvPT0_PvPT_S6_S6_PKS5_S8_S8_S8_S8_ffiiiiiiiiiiiii,comdat
.Lfunc_end846:
	.size	_ZN5aiter35fused_qk_rmsnorm_group_quant_kernelItDB8_Li256ELi16ELi2ELb1ELb1ELb0ELb1ELb0ELb0EEEvPT0_PvPT_S6_S6_PKS5_S8_S8_S8_S8_ffiiiiiiiiiiiii, .Lfunc_end846-_ZN5aiter35fused_qk_rmsnorm_group_quant_kernelItDB8_Li256ELi16ELi2ELb1ELb1ELb0ELb1ELb0ELb0EEEvPT0_PvPT_S6_S6_PKS5_S8_S8_S8_S8_ffiiiiiiiiiiiii
                                        ; -- End function
	.section	.AMDGPU.csdata,"",@progbits
; Kernel info:
; codeLenInByte = 3440
; NumSgprs: 36
; NumVgprs: 90
; NumAgprs: 0
; TotalNumVgprs: 90
; ScratchSize: 0
; MemoryBound: 0
; FloatMode: 240
; IeeeMode: 1
; LDSByteSize: 32 bytes/workgroup (compile time only)
; SGPRBlocks: 4
; VGPRBlocks: 11
; NumSGPRsForWavesPerEU: 36
; NumVGPRsForWavesPerEU: 90
; AccumOffset: 92
; Occupancy: 5
; WaveLimiterHint : 0
; COMPUTE_PGM_RSRC2:SCRATCH_EN: 0
; COMPUTE_PGM_RSRC2:USER_SGPR: 6
; COMPUTE_PGM_RSRC2:TRAP_HANDLER: 0
; COMPUTE_PGM_RSRC2:TGID_X_EN: 1
; COMPUTE_PGM_RSRC2:TGID_Y_EN: 1
; COMPUTE_PGM_RSRC2:TGID_Z_EN: 0
; COMPUTE_PGM_RSRC2:TIDIG_COMP_CNT: 0
; COMPUTE_PGM_RSRC3_GFX90A:ACCUM_OFFSET: 22
; COMPUTE_PGM_RSRC3_GFX90A:TG_SPLIT: 0
	.section	.text._ZN5aiter35fused_qk_rmsnorm_group_quant_kernelIDF16_N4opus5fp4_tELi256ELi16ELi2ELb1ELb1ELb0ELb1ELb0ELb0EEEvPT0_PvPT_S7_S7_PKS6_S9_S9_S9_S9_ffiiiiiiiiiiiii,"axG",@progbits,_ZN5aiter35fused_qk_rmsnorm_group_quant_kernelIDF16_N4opus5fp4_tELi256ELi16ELi2ELb1ELb1ELb0ELb1ELb0ELb0EEEvPT0_PvPT_S7_S7_PKS6_S9_S9_S9_S9_ffiiiiiiiiiiiii,comdat
	.protected	_ZN5aiter35fused_qk_rmsnorm_group_quant_kernelIDF16_N4opus5fp4_tELi256ELi16ELi2ELb1ELb1ELb0ELb1ELb0ELb0EEEvPT0_PvPT_S7_S7_PKS6_S9_S9_S9_S9_ffiiiiiiiiiiiii ; -- Begin function _ZN5aiter35fused_qk_rmsnorm_group_quant_kernelIDF16_N4opus5fp4_tELi256ELi16ELi2ELb1ELb1ELb0ELb1ELb0ELb0EEEvPT0_PvPT_S7_S7_PKS6_S9_S9_S9_S9_ffiiiiiiiiiiiii
	.globl	_ZN5aiter35fused_qk_rmsnorm_group_quant_kernelIDF16_N4opus5fp4_tELi256ELi16ELi2ELb1ELb1ELb0ELb1ELb0ELb0EEEvPT0_PvPT_S7_S7_PKS6_S9_S9_S9_S9_ffiiiiiiiiiiiii
	.p2align	8
	.type	_ZN5aiter35fused_qk_rmsnorm_group_quant_kernelIDF16_N4opus5fp4_tELi256ELi16ELi2ELb1ELb1ELb0ELb1ELb0ELb0EEEvPT0_PvPT_S7_S7_PKS6_S9_S9_S9_S9_ffiiiiiiiiiiiii,@function
_ZN5aiter35fused_qk_rmsnorm_group_quant_kernelIDF16_N4opus5fp4_tELi256ELi16ELi2ELb1ELb1ELb0ELb1ELb0ELb0EEEvPT0_PvPT_S7_S7_PKS6_S9_S9_S9_S9_ffiiiiiiiiiiiii: ; @_ZN5aiter35fused_qk_rmsnorm_group_quant_kernelIDF16_N4opus5fp4_tELi256ELi16ELi2ELb1ELb1ELb0ELb1ELb0ELb0EEEvPT0_PvPT_S7_S7_PKS6_S9_S9_S9_S9_ffiiiiiiiiiiiii
; %bb.0:
	s_load_dwordx8 s[12:19], s[4:5], 0x50
	s_waitcnt lgkmcnt(0)
	s_cmp_ge_i32 s6, s14
	s_cbranch_scc1 .LBB847_17
; %bb.1:
	s_cmp_lg_u32 s7, 0
	s_cselect_b64 s[22:23], -1, 0
	s_cmp_eq_u32 s7, 0
	s_cselect_b64 s[2:3], -1, 0
	s_and_b64 s[0:1], s[2:3], exec
	s_cselect_b32 s7, s15, s16
	s_load_dwordx2 s[10:11], s[4:5], 0x30
	s_load_dwordx2 s[20:21], s[4:5], 0x48
	s_add_i32 s0, s7, 1
	s_lshr_b32 s1, s0, 31
	s_add_i32 s0, s0, s1
	s_lshl_b32 s0, s0, 1
	v_lshlrev_b32_e32 v1, 4, v0
	s_and_b32 s30, s0, -4
	v_cmp_gt_i32_e64 s[0:1], s7, v1
	v_mov_b32_e32 v6, 0
	v_mov_b32_e32 v7, 0
	;; [unrolled: 1-line block ×16, first 2 shown]
	s_and_saveexec_b64 s[8:9], s[0:1]
	s_cbranch_execz .LBB847_3
; %bb.2:
	s_load_dwordx2 s[14:15], s[4:5], 0x28
	s_load_dwordx2 s[26:27], s[4:5], 0x40
	s_and_b64 s[24:25], s[2:3], exec
	s_cselect_b32 s17, s17, s18
	s_mov_b32 s31, 0x20000
	s_waitcnt lgkmcnt(0)
	s_cselect_b32 s25, s15, s11
	s_cselect_b32 s24, s14, s10
	s_mul_hi_i32 s15, s17, s6
	s_mul_i32 s14, s17, s6
	s_lshl_b64 s[14:15], s[14:15], 1
	s_add_u32 s24, s24, s14
	s_addc_u32 s17, s25, s15
	s_and_b64 s[14:15], s[2:3], exec
	s_cselect_b32 s28, s26, s20
	s_cselect_b32 s14, s27, s21
	s_and_b32 s25, s17, 0xffff
	s_mov_b32 s26, s30
	s_mov_b32 s27, s31
	v_lshlrev_b32_e32 v18, 5, v0
	s_and_b32 s29, s14, 0xffff
	buffer_load_dwordx4 v[10:13], v18, s[24:27], 0 offen
	buffer_load_dwordx4 v[14:17], v18, s[24:27], 16 offen
	;; [unrolled: 1-line block ×4, first 2 shown]
.LBB847_3:
	s_or_b64 exec, exec, s[8:9]
	s_load_dwordx4 s[24:27], s[4:5], 0x7c
	s_and_b64 vcc, exec, s[22:23]
	s_cbranch_vccz .LBB847_7
; %bb.4:
	v_mov_b32_e32 v19, 0
	v_mov_b32_e32 v18, 0
	;; [unrolled: 1-line block ×16, first 2 shown]
	s_and_saveexec_b64 s[8:9], s[0:1]
	s_cbranch_execz .LBB847_6
; %bb.5:
	s_waitcnt vmcnt(3)
	v_cvt_f32_f16_sdwa v33, v10 dst_sel:DWORD dst_unused:UNUSED_PAD src0_sel:WORD_1
	v_cvt_f32_f16_e32 v32, v10
	v_cvt_f32_f16_sdwa v31, v11 dst_sel:DWORD dst_unused:UNUSED_PAD src0_sel:WORD_1
	v_cvt_f32_f16_e32 v30, v11
	;; [unrolled: 2-line block ×4, first 2 shown]
	s_waitcnt vmcnt(2)
	v_cvt_f32_f16_sdwa v25, v14 dst_sel:DWORD dst_unused:UNUSED_PAD src0_sel:WORD_1
	v_cvt_f32_f16_e32 v24, v14
	v_cvt_f32_f16_sdwa v23, v15 dst_sel:DWORD dst_unused:UNUSED_PAD src0_sel:WORD_1
	v_cvt_f32_f16_e32 v22, v15
	;; [unrolled: 2-line block ×4, first 2 shown]
.LBB847_6:
	s_or_b64 exec, exec, s[8:9]
	s_cbranch_execz .LBB847_8
	s_branch .LBB847_11
.LBB847_7:
                                        ; implicit-def: $vgpr19
                                        ; implicit-def: $vgpr21
                                        ; implicit-def: $vgpr23
                                        ; implicit-def: $vgpr25
                                        ; implicit-def: $vgpr29
                                        ; implicit-def: $vgpr27
                                        ; implicit-def: $vgpr31
                                        ; implicit-def: $vgpr33
.LBB847_8:
	v_mov_b32_e32 v19, 0
	v_mov_b32_e32 v18, 0
	;; [unrolled: 1-line block ×16, first 2 shown]
	s_and_saveexec_b64 s[8:9], s[0:1]
	s_cbranch_execz .LBB847_10
; %bb.9:
	s_load_dwordx2 s[14:15], s[4:5], 0x38
	s_mul_hi_i32 s29, s19, s6
	s_mul_i32 s28, s19, s6
	s_lshl_b64 s[28:29], s[28:29], 1
	s_mov_b32 s31, 0x20000
	s_waitcnt lgkmcnt(0)
	s_add_u32 s28, s14, s28
	s_addc_u32 s14, s15, s29
	s_and_b32 s29, s14, 0xffff
	v_lshlrev_b32_e32 v48, 5, v0
	buffer_load_dwordx4 v[18:21], v48, s[28:31], 16 offen
	buffer_load_dwordx4 v[22:25], v48, s[28:31], 0 offen
	s_waitcnt vmcnt(4)
	v_cvt_f32_f16_sdwa v27, v14 dst_sel:DWORD dst_unused:UNUSED_PAD src0_sel:WORD_1
	v_cvt_f32_f16_e32 v26, v14
	v_cvt_f32_f16_sdwa v29, v15 dst_sel:DWORD dst_unused:UNUSED_PAD src0_sel:WORD_1
	v_cvt_f32_f16_e32 v28, v15
	;; [unrolled: 2-line block ×8, first 2 shown]
	s_load_dwordx2 s[14:15], s[4:5], 0x20
	s_mul_hi_i32 s27, s26, s6
	s_mul_i32 s26, s26, s6
	s_lshl_b64 s[26:27], s[26:27], 1
	s_waitcnt lgkmcnt(0)
	s_add_u32 s28, s14, s26
	s_addc_u32 s14, s15, s27
	s_and_b32 s29, s14, 0xffff
	s_waitcnt vmcnt(1)
	v_cvt_f32_f16_e32 v12, v18
	v_cvt_f32_f16_sdwa v13, v18 dst_sel:DWORD dst_unused:UNUSED_PAD src0_sel:WORD_1
	v_cvt_f32_f16_e32 v18, v19
	v_cvt_f32_f16_sdwa v19, v19 dst_sel:DWORD dst_unused:UNUSED_PAD src0_sel:WORD_1
	;; [unrolled: 2-line block ×4, first 2 shown]
	s_waitcnt vmcnt(0)
	v_cvt_f32_f16_e32 v40, v22
	v_cvt_f32_f16_sdwa v41, v22 dst_sel:DWORD dst_unused:UNUSED_PAD src0_sel:WORD_1
	v_cvt_f32_f16_e32 v42, v23
	v_cvt_f32_f16_sdwa v43, v23 dst_sel:DWORD dst_unused:UNUSED_PAD src0_sel:WORD_1
	;; [unrolled: 2-line block ×4, first 2 shown]
	v_pk_add_f32 v[24:25], v[26:27], v[12:13]
	v_pk_add_f32 v[22:23], v[28:29], v[18:19]
	;; [unrolled: 1-line block ×8, first 2 shown]
	v_cvt_f16_f32_e32 v10, v33
	v_cvt_f16_f32_e32 v14, v32
	;; [unrolled: 1-line block ×16, first 2 shown]
	v_pack_b32_f16 v13, v17, v13
	v_pack_b32_f16 v12, v16, v12
	;; [unrolled: 1-line block ×8, first 2 shown]
	buffer_store_dwordx4 v[10:13], v48, s[28:31], 0 offen
	;;#ASMSTART
	s_nop 0
	;;#ASMEND
	buffer_store_dwordx4 v[14:17], v48, s[28:31], 16 offen
	;;#ASMSTART
	s_nop 0
	;;#ASMEND
.LBB847_10:
	s_or_b64 exec, exec, s[8:9]
.LBB847_11:
	s_waitcnt vmcnt(3)
	v_mul_f32_e32 v10, v33, v33
	v_fmac_f32_e32 v10, v32, v32
	v_fmac_f32_e32 v10, v30, v30
	;; [unrolled: 1-line block ×15, first 2 shown]
	v_and_b32_e32 v12, 63, v0
	v_cmp_eq_u32_e64 s[8:9], 63, v12
	v_mov_b32_dpp v11, v10 quad_perm:[1,0,3,2] row_mask:0xf bank_mask:0xf
	v_add_f32_e32 v10, v10, v11
	s_nop 1
	v_mov_b32_dpp v11, v10 quad_perm:[2,3,0,1] row_mask:0xf bank_mask:0xf
	v_add_f32_e32 v10, v10, v11
	s_nop 1
	v_mov_b32_dpp v11, v10 row_half_mirror row_mask:0xf bank_mask:0xf
	v_add_f32_e32 v10, v10, v11
	s_nop 1
	v_mov_b32_dpp v11, v10 row_mirror row_mask:0xf bank_mask:0xf
	v_add_f32_e32 v10, v10, v11
	s_nop 1
	v_mov_b32_dpp v11, v10 row_bcast:15 row_mask:0xf bank_mask:0xf
	v_add_f32_e32 v10, v10, v11
	s_nop 1
	v_mov_b32_dpp v11, v10 row_bcast:31 row_mask:0xf bank_mask:0xf
	s_and_saveexec_b64 s[14:15], s[8:9]
	s_cbranch_execz .LBB847_13
; %bb.12:
	v_add_f32_e32 v10, v10, v11
	v_lshrrev_b32_e32 v11, 4, v0
	v_and_b32_e32 v11, 60, v11
	ds_write_b32 v11, v10 offset:16
.LBB847_13:
	s_or_b64 exec, exec, s[14:15]
	v_and_b32_e32 v10, 3, v0
	v_lshlrev_b32_e32 v34, 2, v10
	s_waitcnt lgkmcnt(0)
	s_barrier
	ds_read_b32 v10, v34 offset:16
	s_load_dwordx2 s[14:15], s[4:5], 0x18
	s_waitcnt lgkmcnt(0)
	v_mov_b32_dpp v11, v10 quad_perm:[1,0,3,2] row_mask:0xf bank_mask:0xf
	v_add_f32_e32 v10, v10, v11
	s_nop 1
	v_mov_b32_dpp v11, v10 quad_perm:[2,3,0,1] row_mask:0xf bank_mask:0xf
	s_and_saveexec_b64 s[26:27], s[0:1]
	s_cbranch_execnz .LBB847_18
; %bb.14:
	s_or_b64 exec, exec, s[26:27]
	s_mov_b64 s[2:3], -1
	s_and_b64 vcc, exec, s[22:23]
	s_cbranch_vccnz .LBB847_19
.LBB847_15:
	s_andn2_b64 vcc, exec, s[2:3]
	s_cbranch_vccz .LBB847_22
.LBB847_16:
	s_cmp_lt_i32 s16, 1
	s_cbranch_scc0 .LBB847_25
.LBB847_17:
	s_endpgm
.LBB847_18:
	v_cvt_f32_u32_e32 v12, s7
	v_add_f32_e32 v10, v10, v11
	s_waitcnt vmcnt(2)
	v_mov_b32_e32 v14, s13
	v_mov_b32_e32 v15, s12
	v_div_scale_f32 v11, s[28:29], v12, v12, v10
	v_rcp_f32_e32 v13, v11
	v_cndmask_b32_e64 v14, v14, v15, s[2:3]
	s_mov_b32 s2, 0x800000
	s_waitcnt vmcnt(1)
	v_cvt_f32_f16_sdwa v37, v9 dst_sel:DWORD dst_unused:UNUSED_PAD src0_sel:WORD_1
	v_fma_f32 v15, -v11, v13, 1.0
	v_fmac_f32_e32 v13, v15, v13
	v_div_scale_f32 v15, vcc, v10, v12, v10
	v_mul_f32_e32 v16, v15, v13
	v_fma_f32 v17, -v11, v16, v15
	v_fmac_f32_e32 v16, v17, v13
	v_fma_f32 v11, -v11, v16, v15
	v_div_fmas_f32 v11, v11, v13, v16
	v_div_fixup_f32 v10, v11, v12, v10
	v_add_f32_e32 v10, v14, v10
	v_mul_f32_e32 v11, 0x4b800000, v10
	v_cmp_gt_f32_e32 vcc, s2, v10
	v_cndmask_b32_e32 v10, v10, v11, vcc
	v_rsq_f32_e32 v10, v10
	v_cvt_f32_f16_e32 v36, v9
	s_waitcnt vmcnt(0)
	v_cvt_f32_f16_sdwa v9, v3 dst_sel:DWORD dst_unused:UNUSED_PAD src0_sel:WORD_1
	v_mul_f32_e32 v11, 0x45800000, v10
	v_cndmask_b32_e32 v10, v10, v11, vcc
	v_mov_b32_e32 v11, v10
	;;#ASMSTART
	v_pk_mul_f32 v[12:13], v[32:33], v[10:11]
	;;#ASMEND
	;;#ASMSTART
	v_pk_mul_f32 v[14:15], v[30:31], v[10:11]
	;;#ASMEND
	;; [unrolled: 3-line block ×8, first 2 shown]
	v_cvt_f32_f16_sdwa v19, v6 dst_sel:DWORD dst_unused:UNUSED_PAD src0_sel:WORD_1
	v_cvt_f32_f16_e32 v18, v6
	v_cvt_f32_f16_sdwa v27, v7 dst_sel:DWORD dst_unused:UNUSED_PAD src0_sel:WORD_1
	v_cvt_f32_f16_e32 v26, v7
	;; [unrolled: 2-line block ×3, first 2 shown]
	;;#ASMSTART
	v_pk_mul_f32 v[32:33], v[12:13], v[18:19]
	;;#ASMEND
	;;#ASMSTART
	v_pk_mul_f32 v[30:31], v[14:15], v[26:27]
	;;#ASMEND
	;; [unrolled: 3-line block ×4, first 2 shown]
	v_cvt_f32_f16_sdwa v7, v2 dst_sel:DWORD dst_unused:UNUSED_PAD src0_sel:WORD_1
	v_cvt_f32_f16_e32 v6, v2
	v_cvt_f32_f16_e32 v8, v3
	v_cvt_f32_f16_sdwa v3, v4 dst_sel:DWORD dst_unused:UNUSED_PAD src0_sel:WORD_1
	v_cvt_f32_f16_e32 v2, v4
	v_cvt_f32_f16_sdwa v13, v5 dst_sel:DWORD dst_unused:UNUSED_PAD src0_sel:WORD_1
	v_cvt_f32_f16_e32 v12, v5
	;;#ASMSTART
	v_pk_mul_f32 v[24:25], v[24:25], v[6:7]
	;;#ASMEND
	;;#ASMSTART
	v_pk_mul_f32 v[22:23], v[22:23], v[8:9]
	;;#ASMEND
	;; [unrolled: 3-line block ×4, first 2 shown]
	s_or_b64 exec, exec, s[26:27]
	s_mov_b64 s[2:3], -1
	s_and_b64 vcc, exec, s[22:23]
	s_cbranch_vccz .LBB847_15
.LBB847_19:
	s_and_saveexec_b64 s[2:3], s[0:1]
	s_cbranch_execz .LBB847_21
; %bb.20:
	s_mul_hi_i32 s23, s25, s6
	s_mul_i32 s22, s25, s6
	s_waitcnt vmcnt(0)
	v_cvt_f16_f32_e32 v2, v32
	v_cvt_f16_f32_e32 v3, v30
	;; [unrolled: 1-line block ×8, first 2 shown]
	s_lshl_b64 s[22:23], s[22:23], 1
	s_add_u32 s28, s14, s22
	s_addc_u32 s7, s15, s23
	s_and_b32 s29, s7, 0xffff
	s_mov_b32 s31, 0x20000
	v_pack_b32_f16 v5, v5, v6
	v_pack_b32_f16 v4, v4, v7
	;; [unrolled: 1-line block ×4, first 2 shown]
	v_lshlrev_b32_e32 v6, 5, v0
	buffer_store_dwordx4 v[2:5], v6, s[28:31], 0 offen
	v_cvt_f16_f32_e32 v7, v19
	v_cvt_f16_f32_e32 v2, v24
	;; [unrolled: 1-line block ×8, first 2 shown]
	v_pack_b32_f16 v5, v5, v7
	v_pack_b32_f16 v4, v4, v8
	;; [unrolled: 1-line block ×4, first 2 shown]
	;;#ASMSTART
	s_nop 0
	;;#ASMEND
	buffer_store_dwordx4 v[2:5], v6, s[28:31], 16 offen
	;;#ASMSTART
	s_nop 0
	;;#ASMEND
.LBB847_21:
	s_or_b64 exec, exec, s[2:3]
	s_cbranch_execnz .LBB847_16
.LBB847_22:
	s_and_saveexec_b64 s[2:3], s[0:1]
	s_cbranch_execz .LBB847_24
; %bb.23:
	s_load_dwordx2 s[0:1], s[4:5], 0x10
	s_mul_hi_i32 s23, s24, s6
	s_mul_i32 s22, s24, s6
	s_waitcnt vmcnt(0)
	v_cvt_f16_f32_e32 v2, v32
	v_cvt_f16_f32_e32 v3, v30
	;; [unrolled: 1-line block ×8, first 2 shown]
	s_lshl_b64 s[22:23], s[22:23], 1
	s_waitcnt lgkmcnt(0)
	s_add_u32 s28, s0, s22
	s_addc_u32 s0, s1, s23
	s_mov_b32 s31, 0x20000
	s_and_b32 s29, s0, 0xffff
	v_pack_b32_f16 v5, v5, v6
	v_pack_b32_f16 v4, v4, v7
	;; [unrolled: 1-line block ×4, first 2 shown]
	v_lshlrev_b32_e32 v6, 5, v0
	buffer_store_dwordx4 v[2:5], v6, s[28:31], 0 offen
	v_cvt_f16_f32_e32 v7, v19
	v_cvt_f16_f32_e32 v2, v24
	;; [unrolled: 1-line block ×8, first 2 shown]
	v_pack_b32_f16 v5, v5, v7
	v_pack_b32_f16 v4, v4, v8
	;; [unrolled: 1-line block ×4, first 2 shown]
	;;#ASMSTART
	s_nop 0
	;;#ASMEND
	buffer_store_dwordx4 v[2:5], v6, s[28:31], 16 offen
	;;#ASMSTART
	s_nop 0
	;;#ASMEND
.LBB847_24:
	s_or_b64 exec, exec, s[2:3]
	s_cmp_lt_i32 s16, 1
	s_cbranch_scc1 .LBB847_17
.LBB847_25:
	s_load_dword s0, s[4:5], 0x94
	s_waitcnt lgkmcnt(0)
	s_cmp_lg_u32 s0, 1
	s_cbranch_scc1 .LBB847_17
; %bb.26:
	s_lshl_b32 s0, s16, 1
	s_add_i32 s0, s0, 2
	v_cmp_gt_u32_e32 vcc, s16, v1
	s_and_b32 s22, s0, -4
	v_mov_b32_e32 v18, 0
	v_lshlrev_b32_e32 v1, 5, v0
	s_waitcnt vmcnt(2)
	v_mov_b32_e32 v14, 0
	v_mov_b32_e32 v15, 0
	;; [unrolled: 1-line block ×8, first 2 shown]
	s_waitcnt vmcnt(1)
	v_mov_b32_e32 v6, 0
	v_mov_b32_e32 v7, 0
	;; [unrolled: 1-line block ×4, first 2 shown]
	s_waitcnt vmcnt(0)
	v_mov_b32_e32 v2, 0
	v_mov_b32_e32 v3, 0
	;; [unrolled: 1-line block ×4, first 2 shown]
	s_barrier
	s_and_saveexec_b64 s[0:1], vcc
	s_cbranch_execz .LBB847_28
; %bb.27:
	s_mul_hi_i32 s3, s18, s6
	s_mul_i32 s2, s18, s6
	s_and_b32 s21, s21, 0xffff
	s_lshl_b64 s[2:3], s[2:3], 1
	s_add_u32 s28, s10, s2
	s_mov_b32 s23, 0x20000
	s_addc_u32 s2, s11, s3
	s_and_b32 s29, s2, 0xffff
	s_mov_b32 s30, s22
	s_mov_b32 s31, s23
	buffer_load_dwordx4 v[14:17], v1, s[28:31], 0 offen
	buffer_load_dwordx4 v[10:13], v1, s[28:31], 16 offen
	;; [unrolled: 1-line block ×4, first 2 shown]
.LBB847_28:
	s_or_b64 exec, exec, s[0:1]
	v_mov_b32_e32 v19, 0
	v_mov_b32_e32 v32, 0
	;; [unrolled: 1-line block ×15, first 2 shown]
	s_and_saveexec_b64 s[0:1], vcc
	s_cbranch_execz .LBB847_30
; %bb.29:
	s_waitcnt vmcnt(3)
	v_cvt_f32_f16_sdwa v19, v14 dst_sel:DWORD dst_unused:UNUSED_PAD src0_sel:WORD_1
	v_cvt_f32_f16_e32 v18, v14
	v_cvt_f32_f16_sdwa v33, v15 dst_sel:DWORD dst_unused:UNUSED_PAD src0_sel:WORD_1
	v_cvt_f32_f16_e32 v32, v15
	;; [unrolled: 2-line block ×4, first 2 shown]
	s_waitcnt vmcnt(2)
	v_cvt_f32_f16_sdwa v27, v10 dst_sel:DWORD dst_unused:UNUSED_PAD src0_sel:WORD_1
	v_cvt_f32_f16_e32 v26, v10
	v_cvt_f32_f16_sdwa v25, v11 dst_sel:DWORD dst_unused:UNUSED_PAD src0_sel:WORD_1
	v_cvt_f32_f16_e32 v24, v11
	;; [unrolled: 2-line block ×4, first 2 shown]
.LBB847_30:
	s_or_b64 exec, exec, s[0:1]
	s_waitcnt vmcnt(2)
	v_mul_f32_e32 v10, v19, v19
	v_fmac_f32_e32 v10, v18, v18
	v_fmac_f32_e32 v10, v32, v32
	;; [unrolled: 1-line block ×15, first 2 shown]
	s_nop 1
	v_mov_b32_dpp v11, v10 quad_perm:[1,0,3,2] row_mask:0xf bank_mask:0xf
	v_add_f32_e32 v10, v10, v11
	s_nop 1
	v_mov_b32_dpp v11, v10 quad_perm:[2,3,0,1] row_mask:0xf bank_mask:0xf
	v_add_f32_e32 v10, v10, v11
	s_nop 1
	v_mov_b32_dpp v11, v10 row_half_mirror row_mask:0xf bank_mask:0xf
	v_add_f32_e32 v10, v10, v11
	s_nop 1
	v_mov_b32_dpp v11, v10 row_mirror row_mask:0xf bank_mask:0xf
	v_add_f32_e32 v10, v10, v11
	s_nop 1
	v_mov_b32_dpp v11, v10 row_bcast:15 row_mask:0xf bank_mask:0xf
	v_add_f32_e32 v10, v10, v11
	s_nop 1
	v_mov_b32_dpp v11, v10 row_bcast:31 row_mask:0xf bank_mask:0xf
	s_and_saveexec_b64 s[0:1], s[8:9]
	s_cbranch_execz .LBB847_32
; %bb.31:
	v_lshrrev_b32_e32 v0, 4, v0
	v_add_f32_e32 v10, v10, v11
	v_and_b32_e32 v0, 60, v0
	ds_write_b32 v0, v10
.LBB847_32:
	s_or_b64 exec, exec, s[0:1]
	s_waitcnt lgkmcnt(0)
	s_barrier
	ds_read_b32 v0, v34
	s_waitcnt lgkmcnt(0)
	s_nop 0
	v_mov_b32_dpp v10, v0 quad_perm:[1,0,3,2] row_mask:0xf bank_mask:0xf
	v_add_f32_e32 v0, v0, v10
	s_nop 1
	v_mov_b32_dpp v10, v0 quad_perm:[2,3,0,1] row_mask:0xf bank_mask:0xf
	s_and_saveexec_b64 s[0:1], vcc
	s_cbranch_execz .LBB847_17
; %bb.33:
	v_cvt_f32_u32_e32 v11, s16
	v_add_f32_e32 v0, v0, v10
	s_mov_b32 s23, 0x20000
	v_div_scale_f32 v10, s[0:1], v11, v11, v0
	v_rcp_f32_e32 v12, v10
	v_div_scale_f32 v13, vcc, v0, v11, v0
	s_mov_b32 s0, 0x800000
	v_fma_f32 v14, -v10, v12, 1.0
	v_fmac_f32_e32 v12, v14, v12
	v_mul_f32_e32 v14, v13, v12
	v_fma_f32 v15, -v10, v14, v13
	v_fmac_f32_e32 v14, v15, v12
	v_fma_f32 v10, -v10, v14, v13
	v_div_fmas_f32 v10, v10, v12, v14
	v_div_fixup_f32 v0, v10, v11, v0
	v_add_f32_e32 v0, s13, v0
	v_mul_f32_e32 v10, 0x4b800000, v0
	v_cmp_gt_f32_e32 vcc, s0, v0
	v_cndmask_b32_e32 v0, v0, v10, vcc
	v_rsq_f32_e32 v0, v0
	s_mul_hi_i32 s1, s25, s6
	s_mul_i32 s0, s25, s6
	s_lshl_b64 s[0:1], s[0:1], 1
	v_mul_f32_e32 v10, 0x45800000, v0
	v_cndmask_b32_e32 v10, v0, v10, vcc
	v_mov_b32_e32 v11, v10
	;;#ASMSTART
	v_pk_mul_f32 v[12:13], v[18:19], v[10:11]
	;;#ASMEND
	;;#ASMSTART
	v_pk_mul_f32 v[14:15], v[32:33], v[10:11]
	;;#ASMEND
	;; [unrolled: 3-line block ×8, first 2 shown]
	s_waitcnt vmcnt(1)
	v_cvt_f32_f16_sdwa v21, v6 dst_sel:DWORD dst_unused:UNUSED_PAD src0_sel:WORD_1
	v_cvt_f32_f16_e32 v20, v6
	v_cvt_f32_f16_sdwa v29, v7 dst_sel:DWORD dst_unused:UNUSED_PAD src0_sel:WORD_1
	v_cvt_f32_f16_e32 v28, v7
	;; [unrolled: 2-line block ×4, first 2 shown]
	;;#ASMSTART
	v_pk_mul_f32 v[8:9], v[12:13], v[20:21]
	;;#ASMEND
	;;#ASMSTART
	v_pk_mul_f32 v[12:13], v[14:15], v[28:29]
	;;#ASMEND
	;; [unrolled: 3-line block ×4, first 2 shown]
	s_waitcnt vmcnt(0)
	v_cvt_f32_f16_sdwa v17, v2 dst_sel:DWORD dst_unused:UNUSED_PAD src0_sel:WORD_1
	v_cvt_f32_f16_e32 v16, v2
	v_cvt_f32_f16_sdwa v19, v3 dst_sel:DWORD dst_unused:UNUSED_PAD src0_sel:WORD_1
	v_cvt_f32_f16_e32 v18, v3
	;; [unrolled: 2-line block ×4, first 2 shown]
	;;#ASMSTART
	v_pk_mul_f32 v[16:17], v[26:27], v[16:17]
	;;#ASMEND
	;;#ASMSTART
	v_pk_mul_f32 v[18:19], v[24:25], v[18:19]
	;;#ASMEND
	;;#ASMSTART
	v_pk_mul_f32 v[22:23], v[22:23], v[2:3]
	;;#ASMEND
	v_cvt_f16_f32_e32 v0, v8
	v_cvt_f16_f32_e32 v2, v9
	;; [unrolled: 1-line block ×8, first 2 shown]
	s_add_u32 s20, s14, s0
	s_addc_u32 s0, s15, s1
	s_and_b32 s21, s0, 0xffff
	v_pack_b32_f16 v2, v0, v2
	v_pack_b32_f16 v3, v3, v4
	;; [unrolled: 1-line block ×4, first 2 shown]
	;;#ASMSTART
	v_pk_mul_f32 v[10:11], v[10:11], v[20:21]
	;;#ASMEND
	buffer_store_dwordx4 v[2:5], v1, s[20:23], 0 offen
	v_cvt_f16_f32_e32 v0, v16
	v_cvt_f16_f32_e32 v2, v17
	;; [unrolled: 1-line block ×8, first 2 shown]
	v_pack_b32_f16 v2, v0, v2
	v_pack_b32_f16 v3, v3, v4
	;; [unrolled: 1-line block ×4, first 2 shown]
	;;#ASMSTART
	s_nop 0
	;;#ASMEND
	buffer_store_dwordx4 v[2:5], v1, s[20:23], 16 offen
	;;#ASMSTART
	s_nop 0
	;;#ASMEND
	s_endpgm
	.section	.rodata,"a",@progbits
	.p2align	6, 0x0
	.amdhsa_kernel _ZN5aiter35fused_qk_rmsnorm_group_quant_kernelIDF16_N4opus5fp4_tELi256ELi16ELi2ELb1ELb1ELb0ELb1ELb0ELb0EEEvPT0_PvPT_S7_S7_PKS6_S9_S9_S9_S9_ffiiiiiiiiiiiii
		.amdhsa_group_segment_fixed_size 32
		.amdhsa_private_segment_fixed_size 0
		.amdhsa_kernarg_size 400
		.amdhsa_user_sgpr_count 6
		.amdhsa_user_sgpr_private_segment_buffer 1
		.amdhsa_user_sgpr_dispatch_ptr 0
		.amdhsa_user_sgpr_queue_ptr 0
		.amdhsa_user_sgpr_kernarg_segment_ptr 1
		.amdhsa_user_sgpr_dispatch_id 0
		.amdhsa_user_sgpr_flat_scratch_init 0
		.amdhsa_user_sgpr_kernarg_preload_length 0
		.amdhsa_user_sgpr_kernarg_preload_offset 0
		.amdhsa_user_sgpr_private_segment_size 0
		.amdhsa_uses_dynamic_stack 0
		.amdhsa_system_sgpr_private_segment_wavefront_offset 0
		.amdhsa_system_sgpr_workgroup_id_x 1
		.amdhsa_system_sgpr_workgroup_id_y 1
		.amdhsa_system_sgpr_workgroup_id_z 0
		.amdhsa_system_sgpr_workgroup_info 0
		.amdhsa_system_vgpr_workitem_id 0
		.amdhsa_next_free_vgpr 49
		.amdhsa_next_free_sgpr 32
		.amdhsa_accum_offset 52
		.amdhsa_reserve_vcc 1
		.amdhsa_reserve_flat_scratch 0
		.amdhsa_float_round_mode_32 0
		.amdhsa_float_round_mode_16_64 0
		.amdhsa_float_denorm_mode_32 3
		.amdhsa_float_denorm_mode_16_64 3
		.amdhsa_dx10_clamp 1
		.amdhsa_ieee_mode 1
		.amdhsa_fp16_overflow 0
		.amdhsa_tg_split 0
		.amdhsa_exception_fp_ieee_invalid_op 0
		.amdhsa_exception_fp_denorm_src 0
		.amdhsa_exception_fp_ieee_div_zero 0
		.amdhsa_exception_fp_ieee_overflow 0
		.amdhsa_exception_fp_ieee_underflow 0
		.amdhsa_exception_fp_ieee_inexact 0
		.amdhsa_exception_int_div_zero 0
	.end_amdhsa_kernel
	.section	.text._ZN5aiter35fused_qk_rmsnorm_group_quant_kernelIDF16_N4opus5fp4_tELi256ELi16ELi2ELb1ELb1ELb0ELb1ELb0ELb0EEEvPT0_PvPT_S7_S7_PKS6_S9_S9_S9_S9_ffiiiiiiiiiiiii,"axG",@progbits,_ZN5aiter35fused_qk_rmsnorm_group_quant_kernelIDF16_N4opus5fp4_tELi256ELi16ELi2ELb1ELb1ELb0ELb1ELb0ELb0EEEvPT0_PvPT_S7_S7_PKS6_S9_S9_S9_S9_ffiiiiiiiiiiiii,comdat
.Lfunc_end847:
	.size	_ZN5aiter35fused_qk_rmsnorm_group_quant_kernelIDF16_N4opus5fp4_tELi256ELi16ELi2ELb1ELb1ELb0ELb1ELb0ELb0EEEvPT0_PvPT_S7_S7_PKS6_S9_S9_S9_S9_ffiiiiiiiiiiiii, .Lfunc_end847-_ZN5aiter35fused_qk_rmsnorm_group_quant_kernelIDF16_N4opus5fp4_tELi256ELi16ELi2ELb1ELb1ELb0ELb1ELb0ELb0EEEvPT0_PvPT_S7_S7_PKS6_S9_S9_S9_S9_ffiiiiiiiiiiiii
                                        ; -- End function
	.section	.AMDGPU.csdata,"",@progbits
; Kernel info:
; codeLenInByte = 3480
; NumSgprs: 36
; NumVgprs: 49
; NumAgprs: 0
; TotalNumVgprs: 49
; ScratchSize: 0
; MemoryBound: 0
; FloatMode: 240
; IeeeMode: 1
; LDSByteSize: 32 bytes/workgroup (compile time only)
; SGPRBlocks: 4
; VGPRBlocks: 6
; NumSGPRsForWavesPerEU: 36
; NumVGPRsForWavesPerEU: 49
; AccumOffset: 52
; Occupancy: 8
; WaveLimiterHint : 0
; COMPUTE_PGM_RSRC2:SCRATCH_EN: 0
; COMPUTE_PGM_RSRC2:USER_SGPR: 6
; COMPUTE_PGM_RSRC2:TRAP_HANDLER: 0
; COMPUTE_PGM_RSRC2:TGID_X_EN: 1
; COMPUTE_PGM_RSRC2:TGID_Y_EN: 1
; COMPUTE_PGM_RSRC2:TGID_Z_EN: 0
; COMPUTE_PGM_RSRC2:TIDIG_COMP_CNT: 0
; COMPUTE_PGM_RSRC3_GFX90A:ACCUM_OFFSET: 12
; COMPUTE_PGM_RSRC3_GFX90A:TG_SPLIT: 0
	.section	.text._ZN5aiter35fused_qk_rmsnorm_group_quant_kernelItN4opus5fp4_tELi256ELi16ELi2ELb1ELb1ELb0ELb1ELb0ELb0EEEvPT0_PvPT_S7_S7_PKS6_S9_S9_S9_S9_ffiiiiiiiiiiiii,"axG",@progbits,_ZN5aiter35fused_qk_rmsnorm_group_quant_kernelItN4opus5fp4_tELi256ELi16ELi2ELb1ELb1ELb0ELb1ELb0ELb0EEEvPT0_PvPT_S7_S7_PKS6_S9_S9_S9_S9_ffiiiiiiiiiiiii,comdat
	.protected	_ZN5aiter35fused_qk_rmsnorm_group_quant_kernelItN4opus5fp4_tELi256ELi16ELi2ELb1ELb1ELb0ELb1ELb0ELb0EEEvPT0_PvPT_S7_S7_PKS6_S9_S9_S9_S9_ffiiiiiiiiiiiii ; -- Begin function _ZN5aiter35fused_qk_rmsnorm_group_quant_kernelItN4opus5fp4_tELi256ELi16ELi2ELb1ELb1ELb0ELb1ELb0ELb0EEEvPT0_PvPT_S7_S7_PKS6_S9_S9_S9_S9_ffiiiiiiiiiiiii
	.globl	_ZN5aiter35fused_qk_rmsnorm_group_quant_kernelItN4opus5fp4_tELi256ELi16ELi2ELb1ELb1ELb0ELb1ELb0ELb0EEEvPT0_PvPT_S7_S7_PKS6_S9_S9_S9_S9_ffiiiiiiiiiiiii
	.p2align	8
	.type	_ZN5aiter35fused_qk_rmsnorm_group_quant_kernelItN4opus5fp4_tELi256ELi16ELi2ELb1ELb1ELb0ELb1ELb0ELb0EEEvPT0_PvPT_S7_S7_PKS6_S9_S9_S9_S9_ffiiiiiiiiiiiii,@function
_ZN5aiter35fused_qk_rmsnorm_group_quant_kernelItN4opus5fp4_tELi256ELi16ELi2ELb1ELb1ELb0ELb1ELb0ELb0EEEvPT0_PvPT_S7_S7_PKS6_S9_S9_S9_S9_ffiiiiiiiiiiiii: ; @_ZN5aiter35fused_qk_rmsnorm_group_quant_kernelItN4opus5fp4_tELi256ELi16ELi2ELb1ELb1ELb0ELb1ELb0ELb0EEEvPT0_PvPT_S7_S7_PKS6_S9_S9_S9_S9_ffiiiiiiiiiiiii
; %bb.0:
	s_load_dwordx8 s[12:19], s[4:5], 0x50
	s_waitcnt lgkmcnt(0)
	s_cmp_ge_i32 s6, s14
	s_cbranch_scc1 .LBB848_17
; %bb.1:
	s_cmp_lg_u32 s7, 0
	s_cselect_b64 s[22:23], -1, 0
	s_cmp_eq_u32 s7, 0
	s_cselect_b64 s[2:3], -1, 0
	s_and_b64 s[0:1], s[2:3], exec
	s_cselect_b32 s7, s15, s16
	s_load_dwordx2 s[10:11], s[4:5], 0x30
	s_load_dwordx2 s[20:21], s[4:5], 0x48
	s_add_i32 s0, s7, 1
	s_lshr_b32 s1, s0, 31
	s_add_i32 s0, s0, s1
	s_lshl_b32 s0, s0, 1
	v_lshlrev_b32_e32 v1, 4, v0
	s_and_b32 s30, s0, -4
	v_cmp_gt_i32_e64 s[0:1], s7, v1
	v_mov_b32_e32 v76, 0
	v_mov_b32_e32 v77, 0
	;; [unrolled: 1-line block ×16, first 2 shown]
	s_and_saveexec_b64 s[8:9], s[0:1]
	s_cbranch_execz .LBB848_3
; %bb.2:
	s_load_dwordx2 s[14:15], s[4:5], 0x28
	s_load_dwordx2 s[26:27], s[4:5], 0x40
	s_and_b64 s[24:25], s[2:3], exec
	s_cselect_b32 s17, s17, s18
	s_mov_b32 s31, 0x20000
	s_waitcnt lgkmcnt(0)
	s_cselect_b32 s25, s15, s11
	s_cselect_b32 s24, s14, s10
	s_mul_hi_i32 s15, s17, s6
	s_mul_i32 s14, s17, s6
	s_lshl_b64 s[14:15], s[14:15], 1
	s_add_u32 s24, s24, s14
	s_addc_u32 s17, s25, s15
	s_and_b64 s[14:15], s[2:3], exec
	s_cselect_b32 s28, s26, s20
	s_cselect_b32 s14, s27, s21
	s_and_b32 s25, s17, 0xffff
	s_mov_b32 s26, s30
	s_mov_b32 s27, s31
	v_lshlrev_b32_e32 v2, 5, v0
	s_and_b32 s29, s14, 0xffff
	buffer_load_dwordx4 v[80:83], v2, s[24:27], 0 offen
	buffer_load_dwordx4 v[84:87], v2, s[24:27], 16 offen
	;; [unrolled: 1-line block ×4, first 2 shown]
.LBB848_3:
	s_or_b64 exec, exec, s[8:9]
	s_load_dwordx4 s[24:27], s[4:5], 0x7c
	s_and_b64 vcc, exec, s[22:23]
	s_cbranch_vccz .LBB848_7
; %bb.4:
	v_mov_b32_e32 v89, 0
	v_mov_b32_e32 v88, 0
	;; [unrolled: 1-line block ×16, first 2 shown]
	s_and_saveexec_b64 s[8:9], s[0:1]
	s_cbranch_execz .LBB848_6
; %bb.5:
	s_waitcnt vmcnt(3)
	v_cvt_f32_u32_sdwa v18, v80 dst_sel:DWORD dst_unused:UNUSED_PAD src0_sel:WORD_0
	v_cvt_f32_u32_sdwa v19, v80 dst_sel:DWORD dst_unused:UNUSED_PAD src0_sel:WORD_1
	v_cvt_f32_u32_sdwa v4, v81 dst_sel:DWORD dst_unused:UNUSED_PAD src0_sel:WORD_0
	v_cvt_f32_u32_sdwa v5, v81 dst_sel:DWORD dst_unused:UNUSED_PAD src0_sel:WORD_1
	;; [unrolled: 2-line block ×4, first 2 shown]
	s_waitcnt vmcnt(2)
	v_cvt_f32_u32_sdwa v64, v84 dst_sel:DWORD dst_unused:UNUSED_PAD src0_sel:WORD_0
	v_cvt_f32_u32_sdwa v65, v84 dst_sel:DWORD dst_unused:UNUSED_PAD src0_sel:WORD_1
	v_cvt_f32_u32_sdwa v48, v85 dst_sel:DWORD dst_unused:UNUSED_PAD src0_sel:WORD_0
	v_cvt_f32_u32_sdwa v49, v85 dst_sel:DWORD dst_unused:UNUSED_PAD src0_sel:WORD_1
	;; [unrolled: 2-line block ×4, first 2 shown]
.LBB848_6:
	s_or_b64 exec, exec, s[8:9]
	s_cbranch_execz .LBB848_8
	s_branch .LBB848_11
.LBB848_7:
                                        ; implicit-def: $vgpr18_vgpr19_vgpr20_vgpr21_vgpr22_vgpr23_vgpr24_vgpr25_vgpr26_vgpr27_vgpr28_vgpr29_vgpr30_vgpr31_vgpr32_vgpr33
                                        ; implicit-def: $vgpr50_vgpr51_vgpr52_vgpr53_vgpr54_vgpr55_vgpr56_vgpr57_vgpr58_vgpr59_vgpr60_vgpr61_vgpr62_vgpr63_vgpr64_vgpr65
                                        ; implicit-def: $vgpr30_vgpr31_vgpr32_vgpr33_vgpr34_vgpr35_vgpr36_vgpr37_vgpr38_vgpr39_vgpr40_vgpr41_vgpr42_vgpr43_vgpr44_vgpr45
                                        ; implicit-def: $vgpr89
                                        ; implicit-def: $vgpr2_vgpr3_vgpr4_vgpr5_vgpr6_vgpr7_vgpr8_vgpr9_vgpr10_vgpr11_vgpr12_vgpr13_vgpr14_vgpr15_vgpr16_vgpr17
                                        ; implicit-def: $vgpr56_vgpr57_vgpr58_vgpr59_vgpr60_vgpr61_vgpr62_vgpr63_vgpr64_vgpr65_vgpr66_vgpr67_vgpr68_vgpr69_vgpr70_vgpr71
                                        ; implicit-def: $vgpr38_vgpr39_vgpr40_vgpr41_vgpr42_vgpr43_vgpr44_vgpr45_vgpr46_vgpr47_vgpr48_vgpr49_vgpr50_vgpr51_vgpr52_vgpr53
                                        ; implicit-def: $vgpr20_vgpr21_vgpr22_vgpr23_vgpr24_vgpr25_vgpr26_vgpr27_vgpr28_vgpr29_vgpr30_vgpr31_vgpr32_vgpr33_vgpr34_vgpr35
.LBB848_8:
	v_mov_b32_e32 v89, 0
	v_mov_b32_e32 v88, 0
	;; [unrolled: 1-line block ×16, first 2 shown]
	s_and_saveexec_b64 s[8:9], s[0:1]
	s_cbranch_execz .LBB848_10
; %bb.9:
	s_load_dwordx2 s[14:15], s[4:5], 0x38
	s_mul_hi_i32 s29, s19, s6
	s_mul_i32 s28, s19, s6
	s_lshl_b64 s[28:29], s[28:29], 1
	s_mov_b32 s31, 0x20000
	s_waitcnt lgkmcnt(0)
	s_add_u32 s28, s14, s28
	s_addc_u32 s14, s15, s29
	s_and_b32 s29, s14, 0xffff
	v_lshlrev_b32_e32 v38, 5, v0
	buffer_load_dwordx4 v[4:7], v38, s[28:31], 16 offen
	buffer_load_dwordx4 v[8:11], v38, s[28:31], 0 offen
	s_load_dwordx2 s[14:15], s[4:5], 0x20
	s_waitcnt vmcnt(5)
	v_cvt_f32_u32_sdwa v19, v80 dst_sel:DWORD dst_unused:UNUSED_PAD src0_sel:WORD_1
	v_cvt_f32_u32_sdwa v18, v80 dst_sel:DWORD dst_unused:UNUSED_PAD src0_sel:WORD_0
	v_cvt_f32_u32_sdwa v21, v81 dst_sel:DWORD dst_unused:UNUSED_PAD src0_sel:WORD_1
	v_cvt_f32_u32_sdwa v20, v81 dst_sel:DWORD dst_unused:UNUSED_PAD src0_sel:WORD_0
	;; [unrolled: 2-line block ×4, first 2 shown]
	s_waitcnt vmcnt(4)
	v_cvt_f32_u32_sdwa v3, v84 dst_sel:DWORD dst_unused:UNUSED_PAD src0_sel:WORD_1
	v_cvt_f32_u32_sdwa v2, v84 dst_sel:DWORD dst_unused:UNUSED_PAD src0_sel:WORD_0
	v_cvt_f32_u32_sdwa v13, v85 dst_sel:DWORD dst_unused:UNUSED_PAD src0_sel:WORD_1
	v_cvt_f32_u32_sdwa v12, v85 dst_sel:DWORD dst_unused:UNUSED_PAD src0_sel:WORD_0
	;; [unrolled: 2-line block ×3, first 2 shown]
	v_cvt_f32_u32_sdwa v16, v87 dst_sel:DWORD dst_unused:UNUSED_PAD src0_sel:WORD_0
	v_cvt_f32_u32_sdwa v17, v87 dst_sel:DWORD dst_unused:UNUSED_PAD src0_sel:WORD_1
	s_mul_hi_i32 s27, s26, s6
	s_mul_i32 s26, s26, s6
	s_lshl_b64 s[26:27], s[26:27], 1
	s_waitcnt lgkmcnt(0)
	s_add_u32 s28, s14, s26
	s_mov_b32 s17, 0x7060302
	s_addc_u32 s14, s15, s27
	s_and_b32 s29, s14, 0xffff
	s_waitcnt vmcnt(1)
	v_cvt_f32_u32_sdwa v27, v4 dst_sel:DWORD dst_unused:UNUSED_PAD src0_sel:WORD_1
	v_cvt_f32_u32_sdwa v26, v4 dst_sel:DWORD dst_unused:UNUSED_PAD src0_sel:WORD_0
	v_cvt_f32_u32_sdwa v29, v5 dst_sel:DWORD dst_unused:UNUSED_PAD src0_sel:WORD_1
	v_cvt_f32_u32_sdwa v28, v5 dst_sel:DWORD dst_unused:UNUSED_PAD src0_sel:WORD_0
	;; [unrolled: 2-line block ×3, first 2 shown]
	v_cvt_f32_u32_sdwa v32, v7 dst_sel:DWORD dst_unused:UNUSED_PAD src0_sel:WORD_0
	v_cvt_f32_u32_sdwa v33, v7 dst_sel:DWORD dst_unused:UNUSED_PAD src0_sel:WORD_1
	s_waitcnt vmcnt(0)
	v_cvt_f32_u32_sdwa v35, v8 dst_sel:DWORD dst_unused:UNUSED_PAD src0_sel:WORD_1
	v_cvt_f32_u32_sdwa v34, v8 dst_sel:DWORD dst_unused:UNUSED_PAD src0_sel:WORD_0
	v_cvt_f32_u32_sdwa v5, v10 dst_sel:DWORD dst_unused:UNUSED_PAD src0_sel:WORD_1
	v_cvt_f32_u32_sdwa v4, v10 dst_sel:DWORD dst_unused:UNUSED_PAD src0_sel:WORD_0
	;; [unrolled: 2-line block ×4, first 2 shown]
	v_pk_add_f32 v[54:55], v[22:23], v[4:5]
	v_pk_add_f32 v[36:37], v[24:25], v[6:7]
	;; [unrolled: 1-line block ×4, first 2 shown]
	v_perm_b32 v9, v37, v36, s17
	v_perm_b32 v8, v55, v54, s17
	v_perm_b32 v7, v5, v4, s17
	v_perm_b32 v6, v19, v18, s17
	v_pk_add_f32 v[88:89], v[16:17], v[32:33]
	v_pk_add_f32 v[32:33], v[14:15], v[30:31]
	;; [unrolled: 1-line block ×4, first 2 shown]
	buffer_store_dwordx4 v[6:9], v38, s[28:31], 0 offen
	;;#ASMSTART
	s_nop 0
	;;#ASMEND
	s_nop 0
	v_perm_b32 v9, v89, v88, s17
	v_perm_b32 v8, v33, v32, s17
	;; [unrolled: 1-line block ×4, first 2 shown]
	buffer_store_dwordx4 v[6:9], v38, s[28:31], 16 offen
	;;#ASMSTART
	s_nop 0
	;;#ASMEND
.LBB848_10:
	s_or_b64 exec, exec, s[8:9]
.LBB848_11:
	v_mul_f32_e32 v2, v19, v19
	v_fmac_f32_e32 v2, v18, v18
	v_fmac_f32_e32 v2, v4, v4
	;; [unrolled: 1-line block ×15, first 2 shown]
	s_nop 1
	v_mov_b32_dpp v3, v2 quad_perm:[1,0,3,2] row_mask:0xf bank_mask:0xf
	v_add_f32_e32 v2, v2, v3
	s_nop 1
	v_mov_b32_dpp v3, v2 quad_perm:[2,3,0,1] row_mask:0xf bank_mask:0xf
	v_add_f32_e32 v2, v2, v3
	s_nop 1
	v_mov_b32_dpp v3, v2 row_half_mirror row_mask:0xf bank_mask:0xf
	v_add_f32_e32 v2, v2, v3
	s_nop 1
	v_mov_b32_dpp v3, v2 row_mirror row_mask:0xf bank_mask:0xf
	v_add_f32_e32 v2, v2, v3
	s_nop 1
	v_mov_b32_dpp v3, v2 row_bcast:15 row_mask:0xf bank_mask:0xf
	v_add_f32_e32 v2, v2, v3
	v_and_b32_e32 v3, 63, v0
	v_cmp_eq_u32_e64 s[8:9], 63, v3
	s_nop 0
	v_mov_b32_dpp v3, v2 row_bcast:31 row_mask:0xf bank_mask:0xf
	s_and_saveexec_b64 s[14:15], s[8:9]
	s_cbranch_execz .LBB848_13
; %bb.12:
	v_add_f32_e32 v2, v2, v3
	v_lshrrev_b32_e32 v3, 4, v0
	v_and_b32_e32 v3, 60, v3
	ds_write_b32 v3, v2 offset:16
.LBB848_13:
	s_or_b64 exec, exec, s[14:15]
	v_and_b32_e32 v2, 3, v0
	v_lshlrev_b32_e32 v34, 2, v2
	s_waitcnt lgkmcnt(0)
	s_barrier
	ds_read_b32 v2, v34 offset:16
	s_load_dwordx2 s[14:15], s[4:5], 0x18
	s_waitcnt lgkmcnt(0)
	v_mov_b32_dpp v3, v2 quad_perm:[1,0,3,2] row_mask:0xf bank_mask:0xf
	v_add_f32_e32 v2, v2, v3
	s_nop 1
	v_mov_b32_dpp v3, v2 quad_perm:[2,3,0,1] row_mask:0xf bank_mask:0xf
	s_and_saveexec_b64 s[26:27], s[0:1]
	s_cbranch_execnz .LBB848_18
; %bb.14:
	s_or_b64 exec, exec, s[26:27]
	s_mov_b64 s[2:3], -1
	s_and_b64 vcc, exec, s[22:23]
	s_cbranch_vccnz .LBB848_19
.LBB848_15:
	s_andn2_b64 vcc, exec, s[2:3]
	s_cbranch_vccz .LBB848_22
.LBB848_16:
	s_cmp_lt_i32 s16, 1
	s_cbranch_scc0 .LBB848_25
.LBB848_17:
	s_endpgm
.LBB848_18:
	v_add_f32_e32 v2, v2, v3
	v_cvt_f32_u32_e32 v3, s7
	s_waitcnt vmcnt(1)
	v_cvt_f32_u32_sdwa v17, v76 dst_sel:DWORD dst_unused:UNUSED_PAD src0_sel:WORD_1
	v_cvt_f32_u32_sdwa v16, v76 dst_sel:DWORD dst_unused:UNUSED_PAD src0_sel:WORD_0
	v_cvt_f32_u32_sdwa v21, v77 dst_sel:DWORD dst_unused:UNUSED_PAD src0_sel:WORD_1
	v_div_scale_f32 v6, s[28:29], v3, v3, v2
	v_rcp_f32_e32 v7, v6
	v_cvt_f32_u32_sdwa v20, v77 dst_sel:DWORD dst_unused:UNUSED_PAD src0_sel:WORD_0
	s_waitcnt vmcnt(0)
	v_cvt_f32_u32_sdwa v25, v73 dst_sel:DWORD dst_unused:UNUSED_PAD src0_sel:WORD_1
	v_cvt_f32_u32_sdwa v24, v73 dst_sel:DWORD dst_unused:UNUSED_PAD src0_sel:WORD_0
	v_fma_f32 v8, -v6, v7, 1.0
	v_fmac_f32_e32 v7, v8, v7
	v_div_scale_f32 v8, vcc, v2, v3, v2
	v_mul_f32_e32 v9, v8, v7
	v_fma_f32 v10, -v6, v9, v8
	v_fmac_f32_e32 v9, v10, v7
	v_fma_f32 v6, -v6, v9, v8
	v_div_fmas_f32 v6, v6, v7, v9
	v_div_fixup_f32 v2, v6, v3, v2
	v_mov_b32_e32 v3, s13
	v_mov_b32_e32 v6, s12
	v_cndmask_b32_e64 v3, v3, v6, s[2:3]
	v_add_f32_e32 v2, v3, v2
	s_mov_b32 s2, 0x800000
	v_mul_f32_e32 v3, 0x4b800000, v2
	v_cmp_gt_f32_e32 vcc, s2, v2
	v_cndmask_b32_e32 v2, v2, v3, vcc
	v_rsq_f32_e32 v2, v2
	v_cvt_f32_u32_sdwa v27, v74 dst_sel:DWORD dst_unused:UNUSED_PAD src0_sel:WORD_1
	v_cvt_f32_u32_sdwa v26, v74 dst_sel:DWORD dst_unused:UNUSED_PAD src0_sel:WORD_0
	v_cvt_f32_u32_sdwa v29, v75 dst_sel:DWORD dst_unused:UNUSED_PAD src0_sel:WORD_1
	v_mul_f32_e32 v3, 0x45800000, v2
	v_cndmask_b32_e32 v2, v2, v3, vcc
	v_mov_b32_e32 v3, v2
	;;#ASMSTART
	v_pk_mul_f32 v[6:7], v[18:19], v[2:3]
	;;#ASMEND
	;;#ASMSTART
	v_pk_mul_f32 v[4:5], v[4:5], v[2:3]
	;;#ASMEND
	;; [unrolled: 3-line block ×10, first 2 shown]
	v_cvt_f32_u32_sdwa v7, v78 dst_sel:DWORD dst_unused:UNUSED_PAD src0_sel:WORD_1
	v_cvt_f32_u32_sdwa v6, v78 dst_sel:DWORD dst_unused:UNUSED_PAD src0_sel:WORD_0
	v_cvt_f32_u32_sdwa v17, v79 dst_sel:DWORD dst_unused:UNUSED_PAD src0_sel:WORD_1
	v_cvt_f32_u32_sdwa v16, v79 dst_sel:DWORD dst_unused:UNUSED_PAD src0_sel:WORD_0
	;; [unrolled: 2-line block ×3, first 2 shown]
	v_cvt_f32_u32_sdwa v28, v75 dst_sel:DWORD dst_unused:UNUSED_PAD src0_sel:WORD_0
	;;#ASMSTART
	v_pk_mul_f32 v[54:55], v[8:9], v[6:7]
	;;#ASMEND
	;;#ASMSTART
	v_pk_mul_f32 v[36:37], v[10:11], v[16:17]
	;;#ASMEND
	;; [unrolled: 3-line block ×6, first 2 shown]
	s_or_b64 exec, exec, s[26:27]
	s_mov_b64 s[2:3], -1
	s_and_b64 vcc, exec, s[22:23]
	s_cbranch_vccz .LBB848_15
.LBB848_19:
	s_and_saveexec_b64 s[2:3], s[0:1]
	s_cbranch_execz .LBB848_21
; %bb.20:
	s_mul_hi_i32 s23, s25, s6
	s_mul_i32 s22, s25, s6
	s_lshl_b64 s[22:23], s[22:23], 1
	s_add_u32 s28, s14, s22
	s_addc_u32 s7, s15, s23
	s_and_b32 s29, s7, 0xffff
	s_mov_b32 s7, 0x7060302
	s_mov_b32 s31, 0x20000
	v_perm_b32 v9, v37, v36, s7
	v_perm_b32 v8, v55, v54, s7
	v_perm_b32 v7, v5, v4, s7
	v_perm_b32 v6, v19, v18, s7
	v_lshlrev_b32_e32 v2, 5, v0
	buffer_store_dwordx4 v[6:9], v2, s[28:31], 0 offen
	;;#ASMSTART
	s_nop 0
	;;#ASMEND
	s_nop 0
	v_perm_b32 v9, v89, v88, s7
	v_perm_b32 v8, v33, v32, s7
	v_perm_b32 v7, v49, v48, s7
	v_perm_b32 v6, v65, v64, s7
	buffer_store_dwordx4 v[6:9], v2, s[28:31], 16 offen
	;;#ASMSTART
	s_nop 0
	;;#ASMEND
.LBB848_21:
	s_or_b64 exec, exec, s[2:3]
	s_cbranch_execnz .LBB848_16
.LBB848_22:
	s_and_saveexec_b64 s[2:3], s[0:1]
	s_cbranch_execz .LBB848_24
; %bb.23:
	s_load_dwordx2 s[0:1], s[4:5], 0x10
	s_mul_hi_i32 s23, s24, s6
	s_mul_i32 s22, s24, s6
	s_lshl_b64 s[22:23], s[22:23], 1
	s_mov_b32 s7, 0x7060302
	s_waitcnt lgkmcnt(0)
	s_add_u32 s28, s0, s22
	s_addc_u32 s0, s1, s23
	v_perm_b32 v7, v37, v36, s7
	v_perm_b32 v6, v55, v54, s7
	;; [unrolled: 1-line block ×4, first 2 shown]
	s_and_b32 s29, s0, 0xffff
	s_mov_b32 s31, 0x20000
	v_lshlrev_b32_e32 v8, 5, v0
	buffer_store_dwordx4 v[4:7], v8, s[28:31], 0 offen
	v_perm_b32 v3, v49, v48, s7
	v_perm_b32 v5, v89, v88, s7
	v_perm_b32 v4, v33, v32, s7
	v_perm_b32 v2, v65, v64, s7
	;;#ASMSTART
	s_nop 0
	;;#ASMEND
	buffer_store_dwordx4 v[2:5], v8, s[28:31], 16 offen
	;;#ASMSTART
	s_nop 0
	;;#ASMEND
.LBB848_24:
	s_or_b64 exec, exec, s[2:3]
	s_cmp_lt_i32 s16, 1
	s_cbranch_scc1 .LBB848_17
.LBB848_25:
	s_load_dword s0, s[4:5], 0x94
	s_waitcnt lgkmcnt(0)
	s_cmp_lg_u32 s0, 1
	s_cbranch_scc1 .LBB848_17
; %bb.26:
	s_lshl_b32 s0, s16, 1
	s_add_i32 s0, s0, 2
	v_cmp_gt_u32_e32 vcc, s16, v1
	s_and_b32 s22, s0, -4
	v_mov_b32_e32 v18, 0
	v_lshlrev_b32_e32 v1, 5, v0
	v_mov_b32_e32 v14, 0
	v_mov_b32_e32 v15, 0
	;; [unrolled: 1-line block ×16, first 2 shown]
	s_barrier
	s_and_saveexec_b64 s[0:1], vcc
	s_cbranch_execz .LBB848_28
; %bb.27:
	s_mul_hi_i32 s3, s18, s6
	s_mul_i32 s2, s18, s6
	s_and_b32 s21, s21, 0xffff
	s_lshl_b64 s[2:3], s[2:3], 1
	s_add_u32 s28, s10, s2
	s_mov_b32 s23, 0x20000
	s_addc_u32 s2, s11, s3
	s_and_b32 s29, s2, 0xffff
	s_mov_b32 s30, s22
	s_mov_b32 s31, s23
	buffer_load_dwordx4 v[14:17], v1, s[28:31], 0 offen
	buffer_load_dwordx4 v[10:13], v1, s[28:31], 16 offen
	;; [unrolled: 1-line block ×4, first 2 shown]
.LBB848_28:
	s_or_b64 exec, exec, s[0:1]
	v_mov_b32_e32 v19, 0
	v_mov_b32_e32 v32, 0
	;; [unrolled: 1-line block ×15, first 2 shown]
	s_and_saveexec_b64 s[0:1], vcc
	s_cbranch_execz .LBB848_30
; %bb.29:
	s_waitcnt vmcnt(3)
	v_cvt_f32_u32_sdwa v18, v14 dst_sel:DWORD dst_unused:UNUSED_PAD src0_sel:WORD_0
	v_cvt_f32_u32_sdwa v19, v14 dst_sel:DWORD dst_unused:UNUSED_PAD src0_sel:WORD_1
	v_cvt_f32_u32_sdwa v32, v15 dst_sel:DWORD dst_unused:UNUSED_PAD src0_sel:WORD_0
	v_cvt_f32_u32_sdwa v33, v15 dst_sel:DWORD dst_unused:UNUSED_PAD src0_sel:WORD_1
	;; [unrolled: 2-line block ×4, first 2 shown]
	s_waitcnt vmcnt(2)
	v_cvt_f32_u32_sdwa v26, v10 dst_sel:DWORD dst_unused:UNUSED_PAD src0_sel:WORD_0
	v_cvt_f32_u32_sdwa v27, v10 dst_sel:DWORD dst_unused:UNUSED_PAD src0_sel:WORD_1
	v_cvt_f32_u32_sdwa v24, v11 dst_sel:DWORD dst_unused:UNUSED_PAD src0_sel:WORD_0
	v_cvt_f32_u32_sdwa v25, v11 dst_sel:DWORD dst_unused:UNUSED_PAD src0_sel:WORD_1
	;; [unrolled: 2-line block ×4, first 2 shown]
.LBB848_30:
	s_or_b64 exec, exec, s[0:1]
	s_waitcnt vmcnt(2)
	v_mul_f32_e32 v10, v19, v19
	v_fmac_f32_e32 v10, v18, v18
	v_fmac_f32_e32 v10, v32, v32
	;; [unrolled: 1-line block ×15, first 2 shown]
	s_nop 1
	v_mov_b32_dpp v11, v10 quad_perm:[1,0,3,2] row_mask:0xf bank_mask:0xf
	v_add_f32_e32 v10, v10, v11
	s_nop 1
	v_mov_b32_dpp v11, v10 quad_perm:[2,3,0,1] row_mask:0xf bank_mask:0xf
	v_add_f32_e32 v10, v10, v11
	s_nop 1
	v_mov_b32_dpp v11, v10 row_half_mirror row_mask:0xf bank_mask:0xf
	v_add_f32_e32 v10, v10, v11
	s_nop 1
	v_mov_b32_dpp v11, v10 row_mirror row_mask:0xf bank_mask:0xf
	v_add_f32_e32 v10, v10, v11
	s_nop 1
	v_mov_b32_dpp v11, v10 row_bcast:15 row_mask:0xf bank_mask:0xf
	v_add_f32_e32 v10, v10, v11
	s_nop 1
	v_mov_b32_dpp v11, v10 row_bcast:31 row_mask:0xf bank_mask:0xf
	s_and_saveexec_b64 s[0:1], s[8:9]
	s_cbranch_execz .LBB848_32
; %bb.31:
	v_lshrrev_b32_e32 v0, 4, v0
	v_add_f32_e32 v10, v10, v11
	v_and_b32_e32 v0, 60, v0
	ds_write_b32 v0, v10
.LBB848_32:
	s_or_b64 exec, exec, s[0:1]
	s_waitcnt lgkmcnt(0)
	s_barrier
	ds_read_b32 v0, v34
	s_waitcnt lgkmcnt(0)
	s_nop 0
	v_mov_b32_dpp v10, v0 quad_perm:[1,0,3,2] row_mask:0xf bank_mask:0xf
	v_add_f32_e32 v0, v0, v10
	s_nop 1
	v_mov_b32_dpp v10, v0 quad_perm:[2,3,0,1] row_mask:0xf bank_mask:0xf
	s_and_saveexec_b64 s[0:1], vcc
	s_cbranch_execz .LBB848_17
; %bb.33:
	v_cvt_f32_u32_e32 v11, s16
	v_add_f32_e32 v0, v0, v10
	s_mov_b32 s23, 0x20000
	v_div_scale_f32 v10, s[0:1], v11, v11, v0
	v_rcp_f32_e32 v12, v10
	v_div_scale_f32 v13, vcc, v0, v11, v0
	s_mov_b32 s0, 0x800000
	v_fma_f32 v14, -v10, v12, 1.0
	v_fmac_f32_e32 v12, v14, v12
	v_mul_f32_e32 v14, v13, v12
	v_fma_f32 v15, -v10, v14, v13
	v_fmac_f32_e32 v14, v15, v12
	v_fma_f32 v10, -v10, v14, v13
	v_div_fmas_f32 v10, v10, v12, v14
	v_div_fixup_f32 v0, v10, v11, v0
	v_add_f32_e32 v0, s13, v0
	v_mul_f32_e32 v10, 0x4b800000, v0
	v_cmp_gt_f32_e32 vcc, s0, v0
	v_cndmask_b32_e32 v0, v0, v10, vcc
	v_rsq_f32_e32 v0, v0
	s_mul_hi_i32 s1, s25, s6
	s_mul_i32 s0, s25, s6
	s_lshl_b64 s[0:1], s[0:1], 1
	v_mul_f32_e32 v10, 0x45800000, v0
	v_cndmask_b32_e32 v10, v0, v10, vcc
	v_mov_b32_e32 v11, v10
	s_add_u32 s20, s14, s0
	;;#ASMSTART
	v_pk_mul_f32 v[12:13], v[18:19], v[10:11]
	;;#ASMEND
	;;#ASMSTART
	v_pk_mul_f32 v[14:15], v[32:33], v[10:11]
	;;#ASMEND
	;; [unrolled: 3-line block ×8, first 2 shown]
	s_waitcnt vmcnt(1)
	v_cvt_f32_u32_sdwa v21, v6 dst_sel:DWORD dst_unused:UNUSED_PAD src0_sel:WORD_1
	v_cvt_f32_u32_sdwa v20, v6 dst_sel:DWORD dst_unused:UNUSED_PAD src0_sel:WORD_0
	v_cvt_f32_u32_sdwa v29, v7 dst_sel:DWORD dst_unused:UNUSED_PAD src0_sel:WORD_1
	v_cvt_f32_u32_sdwa v28, v7 dst_sel:DWORD dst_unused:UNUSED_PAD src0_sel:WORD_0
	;; [unrolled: 2-line block ×3, first 2 shown]
	s_addc_u32 s0, s15, s1
	v_cvt_f32_u32_sdwa v31, v9 dst_sel:DWORD dst_unused:UNUSED_PAD src0_sel:WORD_1
	v_cvt_f32_u32_sdwa v30, v9 dst_sel:DWORD dst_unused:UNUSED_PAD src0_sel:WORD_0
	;;#ASMSTART
	v_pk_mul_f32 v[8:9], v[12:13], v[20:21]
	;;#ASMEND
	;;#ASMSTART
	v_pk_mul_f32 v[12:13], v[14:15], v[28:29]
	;;#ASMEND
	;; [unrolled: 3-line block ×4, first 2 shown]
	s_waitcnt vmcnt(0)
	v_cvt_f32_u32_sdwa v17, v2 dst_sel:DWORD dst_unused:UNUSED_PAD src0_sel:WORD_1
	v_cvt_f32_u32_sdwa v16, v2 dst_sel:DWORD dst_unused:UNUSED_PAD src0_sel:WORD_0
	v_cvt_f32_u32_sdwa v19, v3 dst_sel:DWORD dst_unused:UNUSED_PAD src0_sel:WORD_1
	v_cvt_f32_u32_sdwa v18, v3 dst_sel:DWORD dst_unused:UNUSED_PAD src0_sel:WORD_0
	;; [unrolled: 2-line block ×3, first 2 shown]
	s_and_b32 s21, s0, 0xffff
	s_mov_b32 s0, 0x7060302
	v_cvt_f32_u32_sdwa v21, v5 dst_sel:DWORD dst_unused:UNUSED_PAD src0_sel:WORD_1
	v_cvt_f32_u32_sdwa v20, v5 dst_sel:DWORD dst_unused:UNUSED_PAD src0_sel:WORD_0
	;;#ASMSTART
	v_pk_mul_f32 v[16:17], v[26:27], v[16:17]
	;;#ASMEND
	;;#ASMSTART
	v_pk_mul_f32 v[18:19], v[24:25], v[18:19]
	;;#ASMEND
	;; [unrolled: 3-line block ×3, first 2 shown]
	v_perm_b32 v2, v9, v8, s0
	v_perm_b32 v3, v13, v12, s0
	;; [unrolled: 1-line block ×4, first 2 shown]
	;;#ASMSTART
	v_pk_mul_f32 v[10:11], v[10:11], v[20:21]
	;;#ASMEND
	buffer_store_dwordx4 v[2:5], v1, s[20:23], 0 offen
	;;#ASMSTART
	s_nop 0
	;;#ASMEND
	s_nop 0
	v_perm_b32 v2, v17, v16, s0
	v_perm_b32 v3, v19, v18, s0
	;; [unrolled: 1-line block ×4, first 2 shown]
	buffer_store_dwordx4 v[2:5], v1, s[20:23], 16 offen
	;;#ASMSTART
	s_nop 0
	;;#ASMEND
	s_endpgm
	.section	.rodata,"a",@progbits
	.p2align	6, 0x0
	.amdhsa_kernel _ZN5aiter35fused_qk_rmsnorm_group_quant_kernelItN4opus5fp4_tELi256ELi16ELi2ELb1ELb1ELb0ELb1ELb0ELb0EEEvPT0_PvPT_S7_S7_PKS6_S9_S9_S9_S9_ffiiiiiiiiiiiii
		.amdhsa_group_segment_fixed_size 32
		.amdhsa_private_segment_fixed_size 0
		.amdhsa_kernarg_size 400
		.amdhsa_user_sgpr_count 6
		.amdhsa_user_sgpr_private_segment_buffer 1
		.amdhsa_user_sgpr_dispatch_ptr 0
		.amdhsa_user_sgpr_queue_ptr 0
		.amdhsa_user_sgpr_kernarg_segment_ptr 1
		.amdhsa_user_sgpr_dispatch_id 0
		.amdhsa_user_sgpr_flat_scratch_init 0
		.amdhsa_user_sgpr_kernarg_preload_length 0
		.amdhsa_user_sgpr_kernarg_preload_offset 0
		.amdhsa_user_sgpr_private_segment_size 0
		.amdhsa_uses_dynamic_stack 0
		.amdhsa_system_sgpr_private_segment_wavefront_offset 0
		.amdhsa_system_sgpr_workgroup_id_x 1
		.amdhsa_system_sgpr_workgroup_id_y 1
		.amdhsa_system_sgpr_workgroup_id_z 0
		.amdhsa_system_sgpr_workgroup_info 0
		.amdhsa_system_vgpr_workitem_id 0
		.amdhsa_next_free_vgpr 90
		.amdhsa_next_free_sgpr 32
		.amdhsa_accum_offset 92
		.amdhsa_reserve_vcc 1
		.amdhsa_reserve_flat_scratch 0
		.amdhsa_float_round_mode_32 0
		.amdhsa_float_round_mode_16_64 0
		.amdhsa_float_denorm_mode_32 3
		.amdhsa_float_denorm_mode_16_64 3
		.amdhsa_dx10_clamp 1
		.amdhsa_ieee_mode 1
		.amdhsa_fp16_overflow 0
		.amdhsa_tg_split 0
		.amdhsa_exception_fp_ieee_invalid_op 0
		.amdhsa_exception_fp_denorm_src 0
		.amdhsa_exception_fp_ieee_div_zero 0
		.amdhsa_exception_fp_ieee_overflow 0
		.amdhsa_exception_fp_ieee_underflow 0
		.amdhsa_exception_fp_ieee_inexact 0
		.amdhsa_exception_int_div_zero 0
	.end_amdhsa_kernel
	.section	.text._ZN5aiter35fused_qk_rmsnorm_group_quant_kernelItN4opus5fp4_tELi256ELi16ELi2ELb1ELb1ELb0ELb1ELb0ELb0EEEvPT0_PvPT_S7_S7_PKS6_S9_S9_S9_S9_ffiiiiiiiiiiiii,"axG",@progbits,_ZN5aiter35fused_qk_rmsnorm_group_quant_kernelItN4opus5fp4_tELi256ELi16ELi2ELb1ELb1ELb0ELb1ELb0ELb0EEEvPT0_PvPT_S7_S7_PKS6_S9_S9_S9_S9_ffiiiiiiiiiiiii,comdat
.Lfunc_end848:
	.size	_ZN5aiter35fused_qk_rmsnorm_group_quant_kernelItN4opus5fp4_tELi256ELi16ELi2ELb1ELb1ELb0ELb1ELb0ELb0EEEvPT0_PvPT_S7_S7_PKS6_S9_S9_S9_S9_ffiiiiiiiiiiiii, .Lfunc_end848-_ZN5aiter35fused_qk_rmsnorm_group_quant_kernelItN4opus5fp4_tELi256ELi16ELi2ELb1ELb1ELb0ELb1ELb0ELb0EEEvPT0_PvPT_S7_S7_PKS6_S9_S9_S9_S9_ffiiiiiiiiiiiii
                                        ; -- End function
	.section	.AMDGPU.csdata,"",@progbits
; Kernel info:
; codeLenInByte = 3440
; NumSgprs: 36
; NumVgprs: 90
; NumAgprs: 0
; TotalNumVgprs: 90
; ScratchSize: 0
; MemoryBound: 0
; FloatMode: 240
; IeeeMode: 1
; LDSByteSize: 32 bytes/workgroup (compile time only)
; SGPRBlocks: 4
; VGPRBlocks: 11
; NumSGPRsForWavesPerEU: 36
; NumVGPRsForWavesPerEU: 90
; AccumOffset: 92
; Occupancy: 5
; WaveLimiterHint : 0
; COMPUTE_PGM_RSRC2:SCRATCH_EN: 0
; COMPUTE_PGM_RSRC2:USER_SGPR: 6
; COMPUTE_PGM_RSRC2:TRAP_HANDLER: 0
; COMPUTE_PGM_RSRC2:TGID_X_EN: 1
; COMPUTE_PGM_RSRC2:TGID_Y_EN: 1
; COMPUTE_PGM_RSRC2:TGID_Z_EN: 0
; COMPUTE_PGM_RSRC2:TIDIG_COMP_CNT: 0
; COMPUTE_PGM_RSRC3_GFX90A:ACCUM_OFFSET: 22
; COMPUTE_PGM_RSRC3_GFX90A:TG_SPLIT: 0
	.section	.text._ZN5aiter35fused_qk_rmsnorm_group_quant_kernelIDF16_DB8_Li256ELi16ELi2ELb0ELb1ELb1ELb1ELb0ELb0EEEvPT0_PvPT_S6_S6_PKS5_S8_S8_S8_S8_ffiiiiiiiiiiiii,"axG",@progbits,_ZN5aiter35fused_qk_rmsnorm_group_quant_kernelIDF16_DB8_Li256ELi16ELi2ELb0ELb1ELb1ELb1ELb0ELb0EEEvPT0_PvPT_S6_S6_PKS5_S8_S8_S8_S8_ffiiiiiiiiiiiii,comdat
	.protected	_ZN5aiter35fused_qk_rmsnorm_group_quant_kernelIDF16_DB8_Li256ELi16ELi2ELb0ELb1ELb1ELb1ELb0ELb0EEEvPT0_PvPT_S6_S6_PKS5_S8_S8_S8_S8_ffiiiiiiiiiiiii ; -- Begin function _ZN5aiter35fused_qk_rmsnorm_group_quant_kernelIDF16_DB8_Li256ELi16ELi2ELb0ELb1ELb1ELb1ELb0ELb0EEEvPT0_PvPT_S6_S6_PKS5_S8_S8_S8_S8_ffiiiiiiiiiiiii
	.globl	_ZN5aiter35fused_qk_rmsnorm_group_quant_kernelIDF16_DB8_Li256ELi16ELi2ELb0ELb1ELb1ELb1ELb0ELb0EEEvPT0_PvPT_S6_S6_PKS5_S8_S8_S8_S8_ffiiiiiiiiiiiii
	.p2align	8
	.type	_ZN5aiter35fused_qk_rmsnorm_group_quant_kernelIDF16_DB8_Li256ELi16ELi2ELb0ELb1ELb1ELb1ELb0ELb0EEEvPT0_PvPT_S6_S6_PKS5_S8_S8_S8_S8_ffiiiiiiiiiiiii,@function
_ZN5aiter35fused_qk_rmsnorm_group_quant_kernelIDF16_DB8_Li256ELi16ELi2ELb0ELb1ELb1ELb1ELb0ELb0EEEvPT0_PvPT_S6_S6_PKS5_S8_S8_S8_S8_ffiiiiiiiiiiiii: ; @_ZN5aiter35fused_qk_rmsnorm_group_quant_kernelIDF16_DB8_Li256ELi16ELi2ELb0ELb1ELb1ELb1ELb0ELb0EEEvPT0_PvPT_S6_S6_PKS5_S8_S8_S8_S8_ffiiiiiiiiiiiii
; %bb.0:
	s_load_dwordx4 s[12:15], s[4:5], 0x50
	s_waitcnt lgkmcnt(0)
	s_cmp_ge_i32 s6, s14
	s_cbranch_scc1 .LBB849_12
; %bb.1:
	s_load_dwordx2 s[24:25], s[4:5], 0x30
	s_load_dwordx2 s[8:9], s[4:5], 0x48
	s_load_dwordx4 s[16:19], s[4:5], 0x60
	s_cmp_lg_u32 s7, 0
	s_cselect_b64 s[10:11], -1, 0
	s_cmp_eq_u32 s7, 0
	s_cselect_b64 vcc, -1, 0
	s_and_b64 s[0:1], vcc, exec
	s_waitcnt lgkmcnt(0)
	s_cselect_b32 s7, s15, s16
	s_add_i32 s0, s7, 1
	s_lshr_b32 s1, s0, 31
	s_add_i32 s0, s0, s1
	s_lshl_b32 s0, s0, 1
	v_lshlrev_b32_e32 v1, 4, v0
	s_and_b32 s22, s0, -4
	v_cmp_gt_i32_e64 s[2:3], s7, v1
	v_mov_b32_e32 v18, 0
	v_mov_b32_e32 v6, 0
	;; [unrolled: 1-line block ×17, first 2 shown]
	s_and_saveexec_b64 s[0:1], s[2:3]
	s_cbranch_execz .LBB849_3
; %bb.2:
	s_load_dwordx2 s[14:15], s[4:5], 0x28
	s_load_dwordx2 s[20:21], s[4:5], 0x40
	s_and_b64 s[26:27], vcc, exec
	s_cselect_b32 s17, s17, s18
	s_mov_b32 s30, s22
	s_waitcnt lgkmcnt(0)
	s_cselect_b32 s19, s15, s25
	s_cselect_b32 s23, s14, s24
	s_mul_hi_i32 s15, s17, s6
	s_mul_i32 s14, s17, s6
	s_lshl_b64 s[14:15], s[14:15], 1
	s_add_u32 s28, s23, s14
	s_addc_u32 s17, s19, s15
	s_and_b64 s[14:15], vcc, exec
	s_mov_b32 s23, 0x20000
	s_cselect_b32 s20, s20, s8
	s_cselect_b32 s14, s21, s9
	s_and_b32 s29, s17, 0xffff
	s_mov_b32 s31, s23
	v_lshlrev_b32_e32 v19, 5, v0
	s_and_b32 s21, s14, 0xffff
	buffer_load_dwordx4 v[14:17], v19, s[28:31], 0 offen
	buffer_load_dwordx4 v[10:13], v19, s[28:31], 16 offen
	;; [unrolled: 1-line block ×4, first 2 shown]
.LBB849_3:
	s_or_b64 exec, exec, s[0:1]
	v_mov_b32_e32 v19, 0
	v_mov_b32_e32 v22, 0
	;; [unrolled: 1-line block ×15, first 2 shown]
	s_and_saveexec_b64 s[0:1], s[2:3]
	s_cbranch_execz .LBB849_5
; %bb.4:
	s_waitcnt vmcnt(3)
	v_cvt_f32_f16_sdwa v19, v14 dst_sel:DWORD dst_unused:UNUSED_PAD src0_sel:WORD_1
	v_cvt_f32_f16_e32 v18, v14
	v_cvt_f32_f16_sdwa v23, v15 dst_sel:DWORD dst_unused:UNUSED_PAD src0_sel:WORD_1
	v_cvt_f32_f16_e32 v22, v15
	v_cvt_f32_f16_sdwa v25, v16 dst_sel:DWORD dst_unused:UNUSED_PAD src0_sel:WORD_1
	v_cvt_f32_f16_e32 v24, v16
	v_cvt_f32_f16_sdwa v33, v17 dst_sel:DWORD dst_unused:UNUSED_PAD src0_sel:WORD_1
	v_cvt_f32_f16_e32 v32, v17
	s_waitcnt vmcnt(2)
	v_cvt_f32_f16_sdwa v21, v10 dst_sel:DWORD dst_unused:UNUSED_PAD src0_sel:WORD_1
	v_cvt_f32_f16_e32 v20, v10
	v_cvt_f32_f16_sdwa v29, v11 dst_sel:DWORD dst_unused:UNUSED_PAD src0_sel:WORD_1
	v_cvt_f32_f16_e32 v28, v11
	;; [unrolled: 2-line block ×4, first 2 shown]
.LBB849_5:
	s_or_b64 exec, exec, s[0:1]
	s_waitcnt vmcnt(2)
	v_mul_f32_e32 v10, v19, v19
	v_fmac_f32_e32 v10, v18, v18
	v_fmac_f32_e32 v10, v22, v22
	;; [unrolled: 1-line block ×15, first 2 shown]
	v_and_b32_e32 v12, 63, v0
	v_cmp_eq_u32_e64 s[0:1], 63, v12
	v_mov_b32_dpp v11, v10 quad_perm:[1,0,3,2] row_mask:0xf bank_mask:0xf
	v_add_f32_e32 v10, v10, v11
	s_nop 1
	v_mov_b32_dpp v11, v10 quad_perm:[2,3,0,1] row_mask:0xf bank_mask:0xf
	v_add_f32_e32 v10, v10, v11
	s_nop 1
	v_mov_b32_dpp v11, v10 row_half_mirror row_mask:0xf bank_mask:0xf
	v_add_f32_e32 v10, v10, v11
	s_nop 1
	v_mov_b32_dpp v11, v10 row_mirror row_mask:0xf bank_mask:0xf
	v_add_f32_e32 v10, v10, v11
	s_nop 1
	v_mov_b32_dpp v11, v10 row_bcast:15 row_mask:0xf bank_mask:0xf
	v_add_f32_e32 v10, v10, v11
	s_nop 1
	v_mov_b32_dpp v11, v10 row_bcast:31 row_mask:0xf bank_mask:0xf
	s_and_saveexec_b64 s[14:15], s[0:1]
	s_cbranch_execz .LBB849_7
; %bb.6:
	v_add_f32_e32 v10, v10, v11
	v_lshrrev_b32_e32 v11, 4, v0
	v_and_b32_e32 v11, 60, v11
	ds_write_b32 v11, v10 offset:16
.LBB849_7:
	s_or_b64 exec, exec, s[14:15]
	v_and_b32_e32 v10, 3, v0
	v_lshlrev_b32_e32 v34, 2, v10
	s_waitcnt lgkmcnt(0)
	s_barrier
	ds_read_b32 v10, v34 offset:16
	s_load_dwordx2 s[14:15], s[4:5], 0x18
	s_waitcnt lgkmcnt(0)
	v_mov_b32_dpp v11, v10 quad_perm:[1,0,3,2] row_mask:0xf bank_mask:0xf
	v_add_f32_e32 v10, v10, v11
	s_nop 1
	v_mov_b32_dpp v11, v10 quad_perm:[2,3,0,1] row_mask:0xf bank_mask:0xf
	s_and_saveexec_b64 s[20:21], s[2:3]
	s_cbranch_execz .LBB849_9
; %bb.8:
	v_cvt_f32_u32_e32 v12, s7
	v_add_f32_e32 v10, v10, v11
	v_mov_b32_e32 v14, s13
	v_mov_b32_e32 v15, s12
	v_div_scale_f32 v11, s[26:27], v12, v12, v10
	v_rcp_f32_e32 v13, v11
	v_cndmask_b32_e32 v14, v14, v15, vcc
	s_mov_b32 s7, 0x800000
	v_fma_f32 v15, -v11, v13, 1.0
	v_fmac_f32_e32 v13, v15, v13
	v_div_scale_f32 v15, vcc, v10, v12, v10
	v_mul_f32_e32 v16, v15, v13
	v_fma_f32 v17, -v11, v16, v15
	v_fmac_f32_e32 v16, v17, v13
	v_fma_f32 v11, -v11, v16, v15
	v_div_fmas_f32 v11, v11, v13, v16
	v_div_fixup_f32 v10, v11, v12, v10
	v_add_f32_e32 v10, v14, v10
	v_mul_f32_e32 v11, 0x4b800000, v10
	v_cmp_gt_f32_e32 vcc, s7, v10
	v_cndmask_b32_e32 v10, v10, v11, vcc
	v_rsq_f32_e32 v10, v10
	v_mul_f32_e32 v11, 0x45800000, v10
	v_cndmask_b32_e32 v10, v10, v11, vcc
	v_mov_b32_e32 v11, v10
	;;#ASMSTART
	v_pk_mul_f32 v[12:13], v[18:19], v[10:11]
	;;#ASMEND
	s_waitcnt vmcnt(1)
	v_cvt_f32_f16_sdwa v19, v6 dst_sel:DWORD dst_unused:UNUSED_PAD src0_sel:WORD_1
	v_cvt_f32_f16_e32 v18, v6
	;;#ASMSTART
	v_pk_mul_f32 v[14:15], v[22:23], v[10:11]
	;;#ASMEND
	v_cvt_f32_f16_sdwa v23, v7 dst_sel:DWORD dst_unused:UNUSED_PAD src0_sel:WORD_1
	v_cvt_f32_f16_e32 v22, v7
	;;#ASMSTART
	v_pk_mul_f32 v[16:17], v[24:25], v[10:11]
	;;#ASMEND
	;;#ASMSTART
	v_pk_mul_f32 v[32:33], v[32:33], v[10:11]
	;;#ASMEND
	;; [unrolled: 3-line block ×6, first 2 shown]
	v_pk_add_f32 v[10:11], v[18:19], 1.0 op_sel_hi:[1,0]
	;;#ASMSTART
	v_pk_mul_f32 v[18:19], v[12:13], v[10:11]
	;;#ASMEND
	v_cvt_f32_f16_sdwa v13, v8 dst_sel:DWORD dst_unused:UNUSED_PAD src0_sel:WORD_1
	v_cvt_f32_f16_e32 v12, v8
	v_cvt_f32_f16_sdwa v27, v9 dst_sel:DWORD dst_unused:UNUSED_PAD src0_sel:WORD_1
	v_cvt_f32_f16_e32 v26, v9
	v_pk_add_f32 v[10:11], v[22:23], 1.0 op_sel_hi:[1,0]
	;;#ASMSTART
	v_pk_mul_f32 v[22:23], v[14:15], v[10:11]
	;;#ASMEND
	s_waitcnt vmcnt(0)
	v_cvt_f32_f16_sdwa v11, v2 dst_sel:DWORD dst_unused:UNUSED_PAD src0_sel:WORD_1
	v_cvt_f32_f16_e32 v10, v2
	v_pk_add_f32 v[8:9], v[12:13], 1.0 op_sel_hi:[1,0]
	;;#ASMSTART
	v_pk_mul_f32 v[24:25], v[16:17], v[8:9]
	;;#ASMEND
	v_pk_add_f32 v[8:9], v[26:27], 1.0 op_sel_hi:[1,0]
	v_cvt_f32_f16_sdwa v13, v3 dst_sel:DWORD dst_unused:UNUSED_PAD src0_sel:WORD_1
	v_cvt_f32_f16_e32 v12, v3
	;;#ASMSTART
	v_pk_mul_f32 v[32:33], v[32:33], v[8:9]
	;;#ASMEND
	v_cvt_f32_f16_sdwa v9, v4 dst_sel:DWORD dst_unused:UNUSED_PAD src0_sel:WORD_1
	v_cvt_f32_f16_e32 v8, v4
	v_pk_add_f32 v[2:3], v[10:11], 1.0 op_sel_hi:[1,0]
	v_cvt_f32_f16_sdwa v11, v5 dst_sel:DWORD dst_unused:UNUSED_PAD src0_sel:WORD_1
	v_cvt_f32_f16_e32 v10, v5
	;;#ASMSTART
	v_pk_mul_f32 v[20:21], v[20:21], v[2:3]
	;;#ASMEND
	v_pk_add_f32 v[2:3], v[12:13], 1.0 op_sel_hi:[1,0]
	;;#ASMSTART
	v_pk_mul_f32 v[28:29], v[28:29], v[2:3]
	;;#ASMEND
	v_pk_add_f32 v[2:3], v[8:9], 1.0 op_sel_hi:[1,0]
	;; [unrolled: 4-line block ×3, first 2 shown]
	;;#ASMSTART
	v_pk_mul_f32 v[26:27], v[6:7], v[2:3]
	;;#ASMEND
.LBB849_9:
	s_or_b64 exec, exec, s[20:21]
	s_load_dwordx2 s[26:27], s[4:5], 0x7c
	s_mov_b64 s[20:21], -1
	s_and_b64 vcc, exec, s[10:11]
	s_cbranch_vccnz .LBB849_13
; %bb.10:
	s_andn2_b64 vcc, exec, s[20:21]
	s_cbranch_vccz .LBB849_16
.LBB849_11:
	s_cmp_lt_i32 s16, 1
	s_cbranch_scc0 .LBB849_19
.LBB849_12:
	s_endpgm
.LBB849_13:
	s_and_saveexec_b64 s[10:11], s[2:3]
	s_cbranch_execz .LBB849_15
; %bb.14:
	s_waitcnt lgkmcnt(0)
	s_mul_hi_i32 s21, s27, s6
	s_mul_i32 s20, s27, s6
	s_waitcnt vmcnt(0)
	v_cvt_f16_f32_e32 v2, v18
	v_cvt_f16_f32_e32 v3, v22
	;; [unrolled: 1-line block ×8, first 2 shown]
	s_lshl_b64 s[20:21], s[20:21], 1
	s_add_u32 s20, s14, s20
	s_addc_u32 s7, s15, s21
	s_and_b32 s21, s7, 0xffff
	s_mov_b32 s23, 0x20000
	v_pack_b32_f16 v5, v5, v6
	v_pack_b32_f16 v4, v4, v7
	;; [unrolled: 1-line block ×4, first 2 shown]
	v_lshlrev_b32_e32 v6, 5, v0
	buffer_store_dwordx4 v[2:5], v6, s[20:23], 0 offen
	v_cvt_f16_f32_e32 v7, v27
	v_cvt_f16_f32_e32 v2, v20
	;; [unrolled: 1-line block ×8, first 2 shown]
	v_pack_b32_f16 v5, v5, v7
	v_pack_b32_f16 v4, v4, v8
	v_pack_b32_f16 v3, v3, v9
	v_pack_b32_f16 v2, v2, v10
	;;#ASMSTART
	s_nop 0
	;;#ASMEND
	buffer_store_dwordx4 v[2:5], v6, s[20:23], 16 offen
	;;#ASMSTART
	s_nop 0
	;;#ASMEND
.LBB849_15:
	s_or_b64 exec, exec, s[10:11]
	s_cbranch_execnz .LBB849_11
.LBB849_16:
	s_and_saveexec_b64 s[10:11], s[2:3]
	s_cbranch_execz .LBB849_18
; %bb.17:
	s_load_dwordx2 s[2:3], s[4:5], 0x10
	s_waitcnt lgkmcnt(0)
	s_mul_hi_i32 s21, s26, s6
	s_mul_i32 s20, s26, s6
	s_waitcnt vmcnt(0)
	v_cvt_f16_f32_e32 v2, v18
	v_cvt_f16_f32_e32 v3, v22
	;; [unrolled: 1-line block ×8, first 2 shown]
	s_lshl_b64 s[20:21], s[20:21], 1
	s_add_u32 s20, s2, s20
	s_addc_u32 s2, s3, s21
	s_mov_b32 s23, 0x20000
	s_and_b32 s21, s2, 0xffff
	v_pack_b32_f16 v5, v5, v6
	v_pack_b32_f16 v4, v4, v7
	;; [unrolled: 1-line block ×4, first 2 shown]
	v_lshlrev_b32_e32 v6, 5, v0
	buffer_store_dwordx4 v[2:5], v6, s[20:23], 0 offen
	v_cvt_f16_f32_e32 v7, v27
	v_cvt_f16_f32_e32 v2, v20
	;; [unrolled: 1-line block ×8, first 2 shown]
	v_pack_b32_f16 v5, v5, v7
	v_pack_b32_f16 v4, v4, v8
	;; [unrolled: 1-line block ×4, first 2 shown]
	;;#ASMSTART
	s_nop 0
	;;#ASMEND
	buffer_store_dwordx4 v[2:5], v6, s[20:23], 16 offen
	;;#ASMSTART
	s_nop 0
	;;#ASMEND
.LBB849_18:
	s_or_b64 exec, exec, s[10:11]
	s_cmp_lt_i32 s16, 1
	s_cbranch_scc1 .LBB849_12
.LBB849_19:
	s_load_dword s2, s[4:5], 0x94
	s_waitcnt lgkmcnt(0)
	s_cmp_lg_u32 s2, 1
	s_cbranch_scc1 .LBB849_12
; %bb.20:
	s_lshl_b32 s2, s16, 1
	s_add_i32 s2, s2, 2
	v_cmp_gt_u32_e32 vcc, s16, v1
	s_and_b32 s10, s2, -4
	v_mov_b32_e32 v18, 0
	v_lshlrev_b32_e32 v1, 5, v0
	v_mov_b32_e32 v14, 0
	v_mov_b32_e32 v15, 0
	v_mov_b32_e32 v16, 0
	v_mov_b32_e32 v17, 0
	v_mov_b32_e32 v10, 0
	v_mov_b32_e32 v11, 0
	v_mov_b32_e32 v12, 0
	v_mov_b32_e32 v13, 0
	s_waitcnt vmcnt(1)
	v_mov_b32_e32 v6, 0
	v_mov_b32_e32 v7, 0
	;; [unrolled: 1-line block ×4, first 2 shown]
	s_waitcnt vmcnt(0)
	v_mov_b32_e32 v2, 0
	v_mov_b32_e32 v3, 0
	;; [unrolled: 1-line block ×4, first 2 shown]
	s_barrier
	s_and_saveexec_b64 s[2:3], vcc
	s_cbranch_execz .LBB849_22
; %bb.21:
	s_mul_hi_i32 s5, s18, s6
	s_mul_i32 s4, s18, s6
	s_and_b32 s9, s9, 0xffff
	s_lshl_b64 s[4:5], s[4:5], 1
	s_add_u32 s20, s24, s4
	s_mov_b32 s11, 0x20000
	s_addc_u32 s4, s25, s5
	s_and_b32 s21, s4, 0xffff
	s_mov_b32 s22, s10
	s_mov_b32 s23, s11
	buffer_load_dwordx4 v[14:17], v1, s[20:23], 0 offen
	buffer_load_dwordx4 v[10:13], v1, s[20:23], 16 offen
	;; [unrolled: 1-line block ×4, first 2 shown]
.LBB849_22:
	s_or_b64 exec, exec, s[2:3]
	v_mov_b32_e32 v19, 0
	v_mov_b32_e32 v32, 0
	;; [unrolled: 1-line block ×15, first 2 shown]
	s_and_saveexec_b64 s[2:3], vcc
	s_cbranch_execz .LBB849_24
; %bb.23:
	s_waitcnt vmcnt(3)
	v_cvt_f32_f16_sdwa v19, v14 dst_sel:DWORD dst_unused:UNUSED_PAD src0_sel:WORD_1
	v_cvt_f32_f16_e32 v18, v14
	v_cvt_f32_f16_sdwa v33, v15 dst_sel:DWORD dst_unused:UNUSED_PAD src0_sel:WORD_1
	v_cvt_f32_f16_e32 v32, v15
	;; [unrolled: 2-line block ×4, first 2 shown]
	s_waitcnt vmcnt(2)
	v_cvt_f32_f16_sdwa v27, v10 dst_sel:DWORD dst_unused:UNUSED_PAD src0_sel:WORD_1
	v_cvt_f32_f16_e32 v26, v10
	v_cvt_f32_f16_sdwa v25, v11 dst_sel:DWORD dst_unused:UNUSED_PAD src0_sel:WORD_1
	v_cvt_f32_f16_e32 v24, v11
	;; [unrolled: 2-line block ×4, first 2 shown]
.LBB849_24:
	s_or_b64 exec, exec, s[2:3]
	s_waitcnt vmcnt(2)
	v_mul_f32_e32 v10, v19, v19
	v_fmac_f32_e32 v10, v18, v18
	v_fmac_f32_e32 v10, v32, v32
	;; [unrolled: 1-line block ×15, first 2 shown]
	s_nop 1
	v_mov_b32_dpp v11, v10 quad_perm:[1,0,3,2] row_mask:0xf bank_mask:0xf
	v_add_f32_e32 v10, v10, v11
	s_nop 1
	v_mov_b32_dpp v11, v10 quad_perm:[2,3,0,1] row_mask:0xf bank_mask:0xf
	v_add_f32_e32 v10, v10, v11
	s_nop 1
	v_mov_b32_dpp v11, v10 row_half_mirror row_mask:0xf bank_mask:0xf
	v_add_f32_e32 v10, v10, v11
	s_nop 1
	v_mov_b32_dpp v11, v10 row_mirror row_mask:0xf bank_mask:0xf
	v_add_f32_e32 v10, v10, v11
	s_nop 1
	v_mov_b32_dpp v11, v10 row_bcast:15 row_mask:0xf bank_mask:0xf
	v_add_f32_e32 v10, v10, v11
	s_nop 1
	v_mov_b32_dpp v11, v10 row_bcast:31 row_mask:0xf bank_mask:0xf
	s_and_saveexec_b64 s[2:3], s[0:1]
	s_cbranch_execz .LBB849_26
; %bb.25:
	v_lshrrev_b32_e32 v0, 4, v0
	v_add_f32_e32 v10, v10, v11
	v_and_b32_e32 v0, 60, v0
	ds_write_b32 v0, v10
.LBB849_26:
	s_or_b64 exec, exec, s[2:3]
	s_waitcnt lgkmcnt(0)
	s_barrier
	ds_read_b32 v0, v34
	s_waitcnt lgkmcnt(0)
	s_nop 0
	v_mov_b32_dpp v10, v0 quad_perm:[1,0,3,2] row_mask:0xf bank_mask:0xf
	v_add_f32_e32 v0, v0, v10
	s_nop 1
	v_mov_b32_dpp v10, v0 quad_perm:[2,3,0,1] row_mask:0xf bank_mask:0xf
	s_and_saveexec_b64 s[0:1], vcc
	s_cbranch_execz .LBB849_12
; %bb.27:
	v_cvt_f32_u32_e32 v11, s16
	v_add_f32_e32 v0, v0, v10
	s_mov_b32 s11, 0x20000
	v_div_scale_f32 v10, s[0:1], v11, v11, v0
	v_rcp_f32_e32 v12, v10
	v_div_scale_f32 v13, vcc, v0, v11, v0
	s_mov_b32 s0, 0x800000
	v_fma_f32 v14, -v10, v12, 1.0
	v_fmac_f32_e32 v12, v14, v12
	v_mul_f32_e32 v14, v13, v12
	v_fma_f32 v15, -v10, v14, v13
	v_fmac_f32_e32 v14, v15, v12
	v_fma_f32 v10, -v10, v14, v13
	v_div_fmas_f32 v10, v10, v12, v14
	v_div_fixup_f32 v0, v10, v11, v0
	v_add_f32_e32 v0, s13, v0
	v_mul_f32_e32 v10, 0x4b800000, v0
	v_cmp_gt_f32_e32 vcc, s0, v0
	v_cndmask_b32_e32 v0, v0, v10, vcc
	v_rsq_f32_e32 v0, v0
	s_mul_hi_i32 s1, s27, s6
	s_mul_i32 s0, s27, s6
	s_lshl_b64 s[0:1], s[0:1], 1
	v_mul_f32_e32 v10, 0x45800000, v0
	v_cndmask_b32_e32 v10, v0, v10, vcc
	v_mov_b32_e32 v11, v10
	;;#ASMSTART
	v_pk_mul_f32 v[12:13], v[18:19], v[10:11]
	;;#ASMEND
	;;#ASMSTART
	v_pk_mul_f32 v[14:15], v[32:33], v[10:11]
	;;#ASMEND
	;; [unrolled: 3-line block ×4, first 2 shown]
	s_waitcnt vmcnt(1)
	v_cvt_f32_f16_sdwa v29, v6 dst_sel:DWORD dst_unused:UNUSED_PAD src0_sel:WORD_1
	v_cvt_f32_f16_e32 v28, v6
	v_cvt_f32_f16_sdwa v31, v7 dst_sel:DWORD dst_unused:UNUSED_PAD src0_sel:WORD_1
	v_cvt_f32_f16_e32 v30, v7
	;;#ASMSTART
	v_pk_mul_f32 v[26:27], v[26:27], v[10:11]
	;;#ASMEND
	;;#ASMSTART
	v_pk_mul_f32 v[24:25], v[24:25], v[10:11]
	;;#ASMEND
	;; [unrolled: 3-line block ×4, first 2 shown]
	v_cvt_f32_f16_sdwa v21, v8 dst_sel:DWORD dst_unused:UNUSED_PAD src0_sel:WORD_1
	v_cvt_f32_f16_e32 v20, v8
	v_pk_add_f32 v[10:11], v[28:29], 1.0 op_sel_hi:[1,0]
	;;#ASMSTART
	v_pk_mul_f32 v[10:11], v[12:13], v[10:11]
	;;#ASMEND
	v_pk_add_f32 v[12:13], v[30:31], 1.0 op_sel_hi:[1,0]
	v_cvt_f32_f16_sdwa v29, v9 dst_sel:DWORD dst_unused:UNUSED_PAD src0_sel:WORD_1
	v_cvt_f32_f16_e32 v28, v9
	;;#ASMSTART
	v_pk_mul_f32 v[8:9], v[14:15], v[12:13]
	;;#ASMEND
	v_pk_add_f32 v[12:13], v[20:21], 1.0 op_sel_hi:[1,0]
	;;#ASMSTART
	v_pk_mul_f32 v[12:13], v[16:17], v[12:13]
	;;#ASMEND
	s_waitcnt vmcnt(0)
	v_cvt_f32_f16_sdwa v17, v2 dst_sel:DWORD dst_unused:UNUSED_PAD src0_sel:WORD_1
	v_cvt_f32_f16_e32 v16, v2
	v_cvt_f32_f16_sdwa v21, v3 dst_sel:DWORD dst_unused:UNUSED_PAD src0_sel:WORD_1
	v_cvt_f32_f16_e32 v20, v3
	v_pk_add_f32 v[14:15], v[28:29], 1.0 op_sel_hi:[1,0]
	;;#ASMSTART
	v_pk_mul_f32 v[2:3], v[18:19], v[14:15]
	;;#ASMEND
	v_cvt_f32_f16_sdwa v19, v4 dst_sel:DWORD dst_unused:UNUSED_PAD src0_sel:WORD_1
	v_cvt_f32_f16_e32 v18, v4
	v_pk_add_f32 v[14:15], v[16:17], 1.0 op_sel_hi:[1,0]
	v_pk_add_f32 v[16:17], v[20:21], 1.0 op_sel_hi:[1,0]
	v_cvt_f32_f16_sdwa v21, v5 dst_sel:DWORD dst_unused:UNUSED_PAD src0_sel:WORD_1
	v_cvt_f32_f16_e32 v20, v5
	v_pk_add_f32 v[4:5], v[18:19], 1.0 op_sel_hi:[1,0]
	;;#ASMSTART
	v_pk_mul_f32 v[14:15], v[26:27], v[14:15]
	;;#ASMEND
	;;#ASMSTART
	v_pk_mul_f32 v[16:17], v[24:25], v[16:17]
	;;#ASMEND
	;; [unrolled: 3-line block ×3, first 2 shown]
	v_pk_add_f32 v[4:5], v[20:21], 1.0 op_sel_hi:[1,0]
	;;#ASMSTART
	v_pk_mul_f32 v[6:7], v[6:7], v[4:5]
	;;#ASMEND
	v_cvt_f16_f32_e32 v0, v10
	v_cvt_f16_f32_e32 v4, v11
	;; [unrolled: 1-line block ×8, first 2 shown]
	s_add_u32 s8, s14, s0
	s_addc_u32 s0, s15, s1
	s_and_b32 s9, s0, 0xffff
	v_pack_b32_f16 v2, v0, v4
	v_pack_b32_f16 v3, v5, v8
	v_pack_b32_f16 v4, v9, v10
	v_pack_b32_f16 v5, v11, v12
	buffer_store_dwordx4 v[2:5], v1, s[8:11], 0 offen
	v_cvt_f16_f32_e32 v0, v14
	v_cvt_f16_f32_e32 v2, v15
	;; [unrolled: 1-line block ×8, first 2 shown]
	v_pack_b32_f16 v2, v0, v2
	v_pack_b32_f16 v3, v3, v4
	;; [unrolled: 1-line block ×4, first 2 shown]
	;;#ASMSTART
	s_nop 0
	;;#ASMEND
	buffer_store_dwordx4 v[2:5], v1, s[8:11], 16 offen
	;;#ASMSTART
	s_nop 0
	;;#ASMEND
	s_endpgm
	.section	.rodata,"a",@progbits
	.p2align	6, 0x0
	.amdhsa_kernel _ZN5aiter35fused_qk_rmsnorm_group_quant_kernelIDF16_DB8_Li256ELi16ELi2ELb0ELb1ELb1ELb1ELb0ELb0EEEvPT0_PvPT_S6_S6_PKS5_S8_S8_S8_S8_ffiiiiiiiiiiiii
		.amdhsa_group_segment_fixed_size 32
		.amdhsa_private_segment_fixed_size 0
		.amdhsa_kernarg_size 400
		.amdhsa_user_sgpr_count 6
		.amdhsa_user_sgpr_private_segment_buffer 1
		.amdhsa_user_sgpr_dispatch_ptr 0
		.amdhsa_user_sgpr_queue_ptr 0
		.amdhsa_user_sgpr_kernarg_segment_ptr 1
		.amdhsa_user_sgpr_dispatch_id 0
		.amdhsa_user_sgpr_flat_scratch_init 0
		.amdhsa_user_sgpr_kernarg_preload_length 0
		.amdhsa_user_sgpr_kernarg_preload_offset 0
		.amdhsa_user_sgpr_private_segment_size 0
		.amdhsa_uses_dynamic_stack 0
		.amdhsa_system_sgpr_private_segment_wavefront_offset 0
		.amdhsa_system_sgpr_workgroup_id_x 1
		.amdhsa_system_sgpr_workgroup_id_y 1
		.amdhsa_system_sgpr_workgroup_id_z 0
		.amdhsa_system_sgpr_workgroup_info 0
		.amdhsa_system_vgpr_workitem_id 0
		.amdhsa_next_free_vgpr 35
		.amdhsa_next_free_sgpr 32
		.amdhsa_accum_offset 36
		.amdhsa_reserve_vcc 1
		.amdhsa_reserve_flat_scratch 0
		.amdhsa_float_round_mode_32 0
		.amdhsa_float_round_mode_16_64 0
		.amdhsa_float_denorm_mode_32 3
		.amdhsa_float_denorm_mode_16_64 3
		.amdhsa_dx10_clamp 1
		.amdhsa_ieee_mode 1
		.amdhsa_fp16_overflow 0
		.amdhsa_tg_split 0
		.amdhsa_exception_fp_ieee_invalid_op 0
		.amdhsa_exception_fp_denorm_src 0
		.amdhsa_exception_fp_ieee_div_zero 0
		.amdhsa_exception_fp_ieee_overflow 0
		.amdhsa_exception_fp_ieee_underflow 0
		.amdhsa_exception_fp_ieee_inexact 0
		.amdhsa_exception_int_div_zero 0
	.end_amdhsa_kernel
	.section	.text._ZN5aiter35fused_qk_rmsnorm_group_quant_kernelIDF16_DB8_Li256ELi16ELi2ELb0ELb1ELb1ELb1ELb0ELb0EEEvPT0_PvPT_S6_S6_PKS5_S8_S8_S8_S8_ffiiiiiiiiiiiii,"axG",@progbits,_ZN5aiter35fused_qk_rmsnorm_group_quant_kernelIDF16_DB8_Li256ELi16ELi2ELb0ELb1ELb1ELb1ELb0ELb0EEEvPT0_PvPT_S6_S6_PKS5_S8_S8_S8_S8_ffiiiiiiiiiiiii,comdat
.Lfunc_end849:
	.size	_ZN5aiter35fused_qk_rmsnorm_group_quant_kernelIDF16_DB8_Li256ELi16ELi2ELb0ELb1ELb1ELb1ELb0ELb0EEEvPT0_PvPT_S6_S6_PKS5_S8_S8_S8_S8_ffiiiiiiiiiiiii, .Lfunc_end849-_ZN5aiter35fused_qk_rmsnorm_group_quant_kernelIDF16_DB8_Li256ELi16ELi2ELb0ELb1ELb1ELb1ELb0ELb0EEEvPT0_PvPT_S6_S6_PKS5_S8_S8_S8_S8_ffiiiiiiiiiiiii
                                        ; -- End function
	.section	.AMDGPU.csdata,"",@progbits
; Kernel info:
; codeLenInByte = 2968
; NumSgprs: 36
; NumVgprs: 35
; NumAgprs: 0
; TotalNumVgprs: 35
; ScratchSize: 0
; MemoryBound: 0
; FloatMode: 240
; IeeeMode: 1
; LDSByteSize: 32 bytes/workgroup (compile time only)
; SGPRBlocks: 4
; VGPRBlocks: 4
; NumSGPRsForWavesPerEU: 36
; NumVGPRsForWavesPerEU: 35
; AccumOffset: 36
; Occupancy: 8
; WaveLimiterHint : 0
; COMPUTE_PGM_RSRC2:SCRATCH_EN: 0
; COMPUTE_PGM_RSRC2:USER_SGPR: 6
; COMPUTE_PGM_RSRC2:TRAP_HANDLER: 0
; COMPUTE_PGM_RSRC2:TGID_X_EN: 1
; COMPUTE_PGM_RSRC2:TGID_Y_EN: 1
; COMPUTE_PGM_RSRC2:TGID_Z_EN: 0
; COMPUTE_PGM_RSRC2:TIDIG_COMP_CNT: 0
; COMPUTE_PGM_RSRC3_GFX90A:ACCUM_OFFSET: 8
; COMPUTE_PGM_RSRC3_GFX90A:TG_SPLIT: 0
	.section	.text._ZN5aiter35fused_qk_rmsnorm_group_quant_kernelItDB8_Li256ELi16ELi2ELb0ELb1ELb1ELb1ELb0ELb0EEEvPT0_PvPT_S6_S6_PKS5_S8_S8_S8_S8_ffiiiiiiiiiiiii,"axG",@progbits,_ZN5aiter35fused_qk_rmsnorm_group_quant_kernelItDB8_Li256ELi16ELi2ELb0ELb1ELb1ELb1ELb0ELb0EEEvPT0_PvPT_S6_S6_PKS5_S8_S8_S8_S8_ffiiiiiiiiiiiii,comdat
	.protected	_ZN5aiter35fused_qk_rmsnorm_group_quant_kernelItDB8_Li256ELi16ELi2ELb0ELb1ELb1ELb1ELb0ELb0EEEvPT0_PvPT_S6_S6_PKS5_S8_S8_S8_S8_ffiiiiiiiiiiiii ; -- Begin function _ZN5aiter35fused_qk_rmsnorm_group_quant_kernelItDB8_Li256ELi16ELi2ELb0ELb1ELb1ELb1ELb0ELb0EEEvPT0_PvPT_S6_S6_PKS5_S8_S8_S8_S8_ffiiiiiiiiiiiii
	.globl	_ZN5aiter35fused_qk_rmsnorm_group_quant_kernelItDB8_Li256ELi16ELi2ELb0ELb1ELb1ELb1ELb0ELb0EEEvPT0_PvPT_S6_S6_PKS5_S8_S8_S8_S8_ffiiiiiiiiiiiii
	.p2align	8
	.type	_ZN5aiter35fused_qk_rmsnorm_group_quant_kernelItDB8_Li256ELi16ELi2ELb0ELb1ELb1ELb1ELb0ELb0EEEvPT0_PvPT_S6_S6_PKS5_S8_S8_S8_S8_ffiiiiiiiiiiiii,@function
_ZN5aiter35fused_qk_rmsnorm_group_quant_kernelItDB8_Li256ELi16ELi2ELb0ELb1ELb1ELb1ELb0ELb0EEEvPT0_PvPT_S6_S6_PKS5_S8_S8_S8_S8_ffiiiiiiiiiiiii: ; @_ZN5aiter35fused_qk_rmsnorm_group_quant_kernelItDB8_Li256ELi16ELi2ELb0ELb1ELb1ELb1ELb0ELb0EEEvPT0_PvPT_S6_S6_PKS5_S8_S8_S8_S8_ffiiiiiiiiiiiii
; %bb.0:
	s_load_dwordx4 s[12:15], s[4:5], 0x50
	s_waitcnt lgkmcnt(0)
	s_cmp_ge_i32 s6, s14
	s_cbranch_scc1 .LBB850_12
; %bb.1:
	s_load_dwordx2 s[24:25], s[4:5], 0x30
	s_load_dwordx2 s[8:9], s[4:5], 0x48
	s_load_dwordx4 s[16:19], s[4:5], 0x60
	s_cmp_lg_u32 s7, 0
	s_cselect_b64 s[10:11], -1, 0
	s_cmp_eq_u32 s7, 0
	s_cselect_b64 vcc, -1, 0
	s_and_b64 s[0:1], vcc, exec
	s_waitcnt lgkmcnt(0)
	s_cselect_b32 s7, s15, s16
	s_add_i32 s0, s7, 1
	s_lshr_b32 s1, s0, 31
	s_add_i32 s0, s0, s1
	s_lshl_b32 s0, s0, 1
	v_lshlrev_b32_e32 v1, 4, v0
	s_and_b32 s22, s0, -4
	v_cmp_gt_i32_e64 s[2:3], s7, v1
	v_mov_b32_e32 v18, 0
	v_mov_b32_e32 v6, 0
	;; [unrolled: 1-line block ×17, first 2 shown]
	s_and_saveexec_b64 s[0:1], s[2:3]
	s_cbranch_execz .LBB850_3
; %bb.2:
	s_load_dwordx2 s[14:15], s[4:5], 0x28
	s_load_dwordx2 s[20:21], s[4:5], 0x40
	s_and_b64 s[26:27], vcc, exec
	s_cselect_b32 s17, s17, s18
	s_mov_b32 s30, s22
	s_waitcnt lgkmcnt(0)
	s_cselect_b32 s19, s15, s25
	s_cselect_b32 s23, s14, s24
	s_mul_hi_i32 s15, s17, s6
	s_mul_i32 s14, s17, s6
	s_lshl_b64 s[14:15], s[14:15], 1
	s_add_u32 s28, s23, s14
	s_addc_u32 s17, s19, s15
	s_and_b64 s[14:15], vcc, exec
	s_mov_b32 s23, 0x20000
	s_cselect_b32 s20, s20, s8
	s_cselect_b32 s14, s21, s9
	s_and_b32 s29, s17, 0xffff
	s_mov_b32 s31, s23
	v_lshlrev_b32_e32 v19, 5, v0
	s_and_b32 s21, s14, 0xffff
	buffer_load_dwordx4 v[14:17], v19, s[28:31], 0 offen
	buffer_load_dwordx4 v[10:13], v19, s[28:31], 16 offen
	;; [unrolled: 1-line block ×4, first 2 shown]
.LBB850_3:
	s_or_b64 exec, exec, s[0:1]
	v_mov_b32_e32 v19, 0
	v_mov_b32_e32 v20, 0
	;; [unrolled: 1-line block ×15, first 2 shown]
	s_and_saveexec_b64 s[0:1], s[2:3]
	s_cbranch_execz .LBB850_5
; %bb.4:
	s_waitcnt vmcnt(3)
	v_cvt_f32_u32_sdwa v18, v14 dst_sel:DWORD dst_unused:UNUSED_PAD src0_sel:WORD_0
	v_cvt_f32_u32_sdwa v19, v14 dst_sel:DWORD dst_unused:UNUSED_PAD src0_sel:WORD_1
	v_cvt_f32_u32_sdwa v20, v15 dst_sel:DWORD dst_unused:UNUSED_PAD src0_sel:WORD_0
	v_cvt_f32_u32_sdwa v21, v15 dst_sel:DWORD dst_unused:UNUSED_PAD src0_sel:WORD_1
	;; [unrolled: 2-line block ×4, first 2 shown]
	s_waitcnt vmcnt(2)
	v_cvt_f32_u32_sdwa v24, v10 dst_sel:DWORD dst_unused:UNUSED_PAD src0_sel:WORD_0
	v_cvt_f32_u32_sdwa v25, v10 dst_sel:DWORD dst_unused:UNUSED_PAD src0_sel:WORD_1
	v_cvt_f32_u32_sdwa v30, v11 dst_sel:DWORD dst_unused:UNUSED_PAD src0_sel:WORD_0
	v_cvt_f32_u32_sdwa v31, v11 dst_sel:DWORD dst_unused:UNUSED_PAD src0_sel:WORD_1
	;; [unrolled: 2-line block ×4, first 2 shown]
.LBB850_5:
	s_or_b64 exec, exec, s[0:1]
	s_waitcnt vmcnt(2)
	v_mul_f32_e32 v10, v19, v19
	v_fmac_f32_e32 v10, v18, v18
	v_fmac_f32_e32 v10, v20, v20
	v_fmac_f32_e32 v10, v21, v21
	v_fmac_f32_e32 v10, v22, v22
	v_fmac_f32_e32 v10, v23, v23
	v_fmac_f32_e32 v10, v26, v26
	v_fmac_f32_e32 v10, v27, v27
	v_fmac_f32_e32 v10, v24, v24
	v_fmac_f32_e32 v10, v25, v25
	v_fmac_f32_e32 v10, v30, v30
	v_fmac_f32_e32 v10, v31, v31
	v_fmac_f32_e32 v10, v32, v32
	v_fmac_f32_e32 v10, v33, v33
	v_fmac_f32_e32 v10, v28, v28
	v_fmac_f32_e32 v10, v29, v29
	v_and_b32_e32 v12, 63, v0
	v_cmp_eq_u32_e64 s[0:1], 63, v12
	v_mov_b32_dpp v11, v10 quad_perm:[1,0,3,2] row_mask:0xf bank_mask:0xf
	v_add_f32_e32 v10, v10, v11
	s_nop 1
	v_mov_b32_dpp v11, v10 quad_perm:[2,3,0,1] row_mask:0xf bank_mask:0xf
	v_add_f32_e32 v10, v10, v11
	s_nop 1
	v_mov_b32_dpp v11, v10 row_half_mirror row_mask:0xf bank_mask:0xf
	v_add_f32_e32 v10, v10, v11
	s_nop 1
	v_mov_b32_dpp v11, v10 row_mirror row_mask:0xf bank_mask:0xf
	v_add_f32_e32 v10, v10, v11
	s_nop 1
	v_mov_b32_dpp v11, v10 row_bcast:15 row_mask:0xf bank_mask:0xf
	v_add_f32_e32 v10, v10, v11
	s_nop 1
	v_mov_b32_dpp v11, v10 row_bcast:31 row_mask:0xf bank_mask:0xf
	s_and_saveexec_b64 s[14:15], s[0:1]
	s_cbranch_execz .LBB850_7
; %bb.6:
	v_add_f32_e32 v10, v10, v11
	v_lshrrev_b32_e32 v11, 4, v0
	v_and_b32_e32 v11, 60, v11
	ds_write_b32 v11, v10 offset:16
.LBB850_7:
	s_or_b64 exec, exec, s[14:15]
	v_and_b32_e32 v10, 3, v0
	v_lshlrev_b32_e32 v34, 2, v10
	s_waitcnt lgkmcnt(0)
	s_barrier
	ds_read_b32 v10, v34 offset:16
	s_load_dwordx2 s[14:15], s[4:5], 0x18
	s_waitcnt lgkmcnt(0)
	v_mov_b32_dpp v11, v10 quad_perm:[1,0,3,2] row_mask:0xf bank_mask:0xf
	v_add_f32_e32 v10, v10, v11
	s_nop 1
	v_mov_b32_dpp v11, v10 quad_perm:[2,3,0,1] row_mask:0xf bank_mask:0xf
	s_and_saveexec_b64 s[20:21], s[2:3]
	s_cbranch_execz .LBB850_9
; %bb.8:
	v_cvt_f32_u32_e32 v12, s7
	v_add_f32_e32 v10, v10, v11
	v_mov_b32_e32 v14, s13
	v_mov_b32_e32 v15, s12
	v_div_scale_f32 v11, s[26:27], v12, v12, v10
	v_rcp_f32_e32 v13, v11
	v_cndmask_b32_e32 v14, v14, v15, vcc
	s_mov_b32 s7, 0x800000
	v_fma_f32 v15, -v11, v13, 1.0
	v_fmac_f32_e32 v13, v15, v13
	v_div_scale_f32 v15, vcc, v10, v12, v10
	v_mul_f32_e32 v16, v15, v13
	v_fma_f32 v17, -v11, v16, v15
	v_fmac_f32_e32 v16, v17, v13
	v_fma_f32 v11, -v11, v16, v15
	v_div_fmas_f32 v11, v11, v13, v16
	v_div_fixup_f32 v10, v11, v12, v10
	v_add_f32_e32 v10, v14, v10
	v_mul_f32_e32 v11, 0x4b800000, v10
	v_cmp_gt_f32_e32 vcc, s7, v10
	v_cndmask_b32_e32 v10, v10, v11, vcc
	v_rsq_f32_e32 v10, v10
	v_mul_f32_e32 v11, 0x45800000, v10
	v_cndmask_b32_e32 v10, v10, v11, vcc
	v_mov_b32_e32 v11, v10
	;;#ASMSTART
	v_pk_mul_f32 v[12:13], v[18:19], v[10:11]
	;;#ASMEND
	s_waitcnt vmcnt(1)
	v_cvt_f32_u32_sdwa v19, v6 dst_sel:DWORD dst_unused:UNUSED_PAD src0_sel:WORD_1
	v_cvt_f32_u32_sdwa v18, v6 dst_sel:DWORD dst_unused:UNUSED_PAD src0_sel:WORD_0
	;;#ASMSTART
	v_pk_mul_f32 v[14:15], v[20:21], v[10:11]
	;;#ASMEND
	v_cvt_f32_u32_sdwa v21, v7 dst_sel:DWORD dst_unused:UNUSED_PAD src0_sel:WORD_1
	v_cvt_f32_u32_sdwa v20, v7 dst_sel:DWORD dst_unused:UNUSED_PAD src0_sel:WORD_0
	;;#ASMSTART
	v_pk_mul_f32 v[16:17], v[22:23], v[10:11]
	;;#ASMEND
	;;#ASMSTART
	v_pk_mul_f32 v[26:27], v[26:27], v[10:11]
	;;#ASMEND
	;;#ASMSTART
	v_pk_mul_f32 v[24:25], v[24:25], v[10:11]
	;;#ASMEND
	;;#ASMSTART
	v_pk_mul_f32 v[30:31], v[30:31], v[10:11]
	;;#ASMEND
	;;#ASMSTART
	v_pk_mul_f32 v[32:33], v[32:33], v[10:11]
	;;#ASMEND
	;;#ASMSTART
	v_pk_mul_f32 v[6:7], v[28:29], v[10:11]
	;;#ASMEND
	v_pk_add_f32 v[10:11], v[18:19], 1.0 op_sel_hi:[1,0]
	;;#ASMSTART
	v_pk_mul_f32 v[18:19], v[12:13], v[10:11]
	;;#ASMEND
	v_cvt_f32_u32_sdwa v13, v8 dst_sel:DWORD dst_unused:UNUSED_PAD src0_sel:WORD_1
	v_cvt_f32_u32_sdwa v12, v8 dst_sel:DWORD dst_unused:UNUSED_PAD src0_sel:WORD_0
	v_cvt_f32_u32_sdwa v29, v9 dst_sel:DWORD dst_unused:UNUSED_PAD src0_sel:WORD_1
	v_cvt_f32_u32_sdwa v28, v9 dst_sel:DWORD dst_unused:UNUSED_PAD src0_sel:WORD_0
	v_pk_add_f32 v[10:11], v[20:21], 1.0 op_sel_hi:[1,0]
	;;#ASMSTART
	v_pk_mul_f32 v[20:21], v[14:15], v[10:11]
	;;#ASMEND
	s_waitcnt vmcnt(0)
	v_cvt_f32_u32_sdwa v11, v2 dst_sel:DWORD dst_unused:UNUSED_PAD src0_sel:WORD_1
	v_cvt_f32_u32_sdwa v10, v2 dst_sel:DWORD dst_unused:UNUSED_PAD src0_sel:WORD_0
	v_pk_add_f32 v[8:9], v[12:13], 1.0 op_sel_hi:[1,0]
	;;#ASMSTART
	v_pk_mul_f32 v[22:23], v[16:17], v[8:9]
	;;#ASMEND
	v_pk_add_f32 v[8:9], v[28:29], 1.0 op_sel_hi:[1,0]
	v_cvt_f32_u32_sdwa v13, v3 dst_sel:DWORD dst_unused:UNUSED_PAD src0_sel:WORD_1
	v_cvt_f32_u32_sdwa v12, v3 dst_sel:DWORD dst_unused:UNUSED_PAD src0_sel:WORD_0
	;;#ASMSTART
	v_pk_mul_f32 v[26:27], v[26:27], v[8:9]
	;;#ASMEND
	v_cvt_f32_u32_sdwa v9, v4 dst_sel:DWORD dst_unused:UNUSED_PAD src0_sel:WORD_1
	v_cvt_f32_u32_sdwa v8, v4 dst_sel:DWORD dst_unused:UNUSED_PAD src0_sel:WORD_0
	v_pk_add_f32 v[2:3], v[10:11], 1.0 op_sel_hi:[1,0]
	v_cvt_f32_u32_sdwa v11, v5 dst_sel:DWORD dst_unused:UNUSED_PAD src0_sel:WORD_1
	v_cvt_f32_u32_sdwa v10, v5 dst_sel:DWORD dst_unused:UNUSED_PAD src0_sel:WORD_0
	;;#ASMSTART
	v_pk_mul_f32 v[24:25], v[24:25], v[2:3]
	;;#ASMEND
	v_pk_add_f32 v[2:3], v[12:13], 1.0 op_sel_hi:[1,0]
	;;#ASMSTART
	v_pk_mul_f32 v[30:31], v[30:31], v[2:3]
	;;#ASMEND
	v_pk_add_f32 v[2:3], v[8:9], 1.0 op_sel_hi:[1,0]
	;;#ASMSTART
	v_pk_mul_f32 v[32:33], v[32:33], v[2:3]
	;;#ASMEND
	v_pk_add_f32 v[2:3], v[10:11], 1.0 op_sel_hi:[1,0]
	;;#ASMSTART
	v_pk_mul_f32 v[28:29], v[6:7], v[2:3]
	;;#ASMEND
.LBB850_9:
	s_or_b64 exec, exec, s[20:21]
	s_load_dwordx2 s[26:27], s[4:5], 0x7c
	s_mov_b64 s[20:21], -1
	s_and_b64 vcc, exec, s[10:11]
	s_cbranch_vccnz .LBB850_13
; %bb.10:
	s_andn2_b64 vcc, exec, s[20:21]
	s_cbranch_vccz .LBB850_16
.LBB850_11:
	s_cmp_lt_i32 s16, 1
	s_cbranch_scc0 .LBB850_19
.LBB850_12:
	s_endpgm
.LBB850_13:
	s_and_saveexec_b64 s[10:11], s[2:3]
	s_cbranch_execz .LBB850_15
; %bb.14:
	s_waitcnt lgkmcnt(0)
	s_mul_hi_i32 s21, s27, s6
	s_mul_i32 s20, s27, s6
	s_lshl_b64 s[20:21], s[20:21], 1
	s_add_u32 s20, s14, s20
	s_addc_u32 s7, s15, s21
	s_and_b32 s21, s7, 0xffff
	s_mov_b32 s7, 0x7060302
	s_mov_b32 s23, 0x20000
	s_waitcnt vmcnt(0)
	v_perm_b32 v5, v27, v26, s7
	v_perm_b32 v4, v23, v22, s7
	;; [unrolled: 1-line block ×4, first 2 shown]
	v_lshlrev_b32_e32 v6, 5, v0
	buffer_store_dwordx4 v[2:5], v6, s[20:23], 0 offen
	;;#ASMSTART
	s_nop 0
	;;#ASMEND
	s_nop 0
	v_perm_b32 v5, v29, v28, s7
	v_perm_b32 v4, v33, v32, s7
	v_perm_b32 v3, v31, v30, s7
	v_perm_b32 v2, v25, v24, s7
	buffer_store_dwordx4 v[2:5], v6, s[20:23], 16 offen
	;;#ASMSTART
	s_nop 0
	;;#ASMEND
.LBB850_15:
	s_or_b64 exec, exec, s[10:11]
	s_cbranch_execnz .LBB850_11
.LBB850_16:
	s_and_saveexec_b64 s[10:11], s[2:3]
	s_cbranch_execz .LBB850_18
; %bb.17:
	s_load_dwordx2 s[2:3], s[4:5], 0x10
	s_waitcnt lgkmcnt(0)
	s_mul_hi_i32 s21, s26, s6
	s_mul_i32 s20, s26, s6
	s_lshl_b64 s[20:21], s[20:21], 1
	s_mov_b32 s23, 0x20000
	s_add_u32 s20, s2, s20
	s_addc_u32 s2, s3, s21
	s_and_b32 s21, s2, 0xffff
	s_mov_b32 s2, 0x7060302
	s_waitcnt vmcnt(0)
	v_perm_b32 v5, v27, v26, s2
	v_perm_b32 v4, v23, v22, s2
	;; [unrolled: 1-line block ×4, first 2 shown]
	v_lshlrev_b32_e32 v6, 5, v0
	buffer_store_dwordx4 v[2:5], v6, s[20:23], 0 offen
	;;#ASMSTART
	s_nop 0
	;;#ASMEND
	s_nop 0
	v_perm_b32 v5, v29, v28, s2
	v_perm_b32 v4, v33, v32, s2
	;; [unrolled: 1-line block ×4, first 2 shown]
	buffer_store_dwordx4 v[2:5], v6, s[20:23], 16 offen
	;;#ASMSTART
	s_nop 0
	;;#ASMEND
.LBB850_18:
	s_or_b64 exec, exec, s[10:11]
	s_cmp_lt_i32 s16, 1
	s_cbranch_scc1 .LBB850_12
.LBB850_19:
	s_load_dword s2, s[4:5], 0x94
	s_waitcnt lgkmcnt(0)
	s_cmp_lg_u32 s2, 1
	s_cbranch_scc1 .LBB850_12
; %bb.20:
	s_lshl_b32 s2, s16, 1
	s_add_i32 s2, s2, 2
	v_cmp_gt_u32_e32 vcc, s16, v1
	s_and_b32 s10, s2, -4
	v_mov_b32_e32 v18, 0
	v_lshlrev_b32_e32 v1, 5, v0
	v_mov_b32_e32 v14, 0
	v_mov_b32_e32 v15, 0
	;; [unrolled: 1-line block ×8, first 2 shown]
	s_waitcnt vmcnt(1)
	v_mov_b32_e32 v6, 0
	v_mov_b32_e32 v7, 0
	;; [unrolled: 1-line block ×4, first 2 shown]
	s_waitcnt vmcnt(0)
	v_mov_b32_e32 v2, 0
	v_mov_b32_e32 v3, 0
	v_mov_b32_e32 v4, 0
	v_mov_b32_e32 v5, 0
	s_barrier
	s_and_saveexec_b64 s[2:3], vcc
	s_cbranch_execz .LBB850_22
; %bb.21:
	s_mul_hi_i32 s5, s18, s6
	s_mul_i32 s4, s18, s6
	s_and_b32 s9, s9, 0xffff
	s_lshl_b64 s[4:5], s[4:5], 1
	s_add_u32 s20, s24, s4
	s_mov_b32 s11, 0x20000
	s_addc_u32 s4, s25, s5
	s_and_b32 s21, s4, 0xffff
	s_mov_b32 s22, s10
	s_mov_b32 s23, s11
	buffer_load_dwordx4 v[14:17], v1, s[20:23], 0 offen
	buffer_load_dwordx4 v[10:13], v1, s[20:23], 16 offen
	;; [unrolled: 1-line block ×4, first 2 shown]
.LBB850_22:
	s_or_b64 exec, exec, s[2:3]
	v_mov_b32_e32 v19, 0
	v_mov_b32_e32 v32, 0
	;; [unrolled: 1-line block ×15, first 2 shown]
	s_and_saveexec_b64 s[2:3], vcc
	s_cbranch_execz .LBB850_24
; %bb.23:
	s_waitcnt vmcnt(3)
	v_cvt_f32_u32_sdwa v18, v14 dst_sel:DWORD dst_unused:UNUSED_PAD src0_sel:WORD_0
	v_cvt_f32_u32_sdwa v19, v14 dst_sel:DWORD dst_unused:UNUSED_PAD src0_sel:WORD_1
	v_cvt_f32_u32_sdwa v32, v15 dst_sel:DWORD dst_unused:UNUSED_PAD src0_sel:WORD_0
	v_cvt_f32_u32_sdwa v33, v15 dst_sel:DWORD dst_unused:UNUSED_PAD src0_sel:WORD_1
	;; [unrolled: 2-line block ×4, first 2 shown]
	s_waitcnt vmcnt(2)
	v_cvt_f32_u32_sdwa v26, v10 dst_sel:DWORD dst_unused:UNUSED_PAD src0_sel:WORD_0
	v_cvt_f32_u32_sdwa v27, v10 dst_sel:DWORD dst_unused:UNUSED_PAD src0_sel:WORD_1
	v_cvt_f32_u32_sdwa v24, v11 dst_sel:DWORD dst_unused:UNUSED_PAD src0_sel:WORD_0
	v_cvt_f32_u32_sdwa v25, v11 dst_sel:DWORD dst_unused:UNUSED_PAD src0_sel:WORD_1
	;; [unrolled: 2-line block ×4, first 2 shown]
.LBB850_24:
	s_or_b64 exec, exec, s[2:3]
	s_waitcnt vmcnt(2)
	v_mul_f32_e32 v10, v19, v19
	v_fmac_f32_e32 v10, v18, v18
	v_fmac_f32_e32 v10, v32, v32
	;; [unrolled: 1-line block ×15, first 2 shown]
	s_nop 1
	v_mov_b32_dpp v11, v10 quad_perm:[1,0,3,2] row_mask:0xf bank_mask:0xf
	v_add_f32_e32 v10, v10, v11
	s_nop 1
	v_mov_b32_dpp v11, v10 quad_perm:[2,3,0,1] row_mask:0xf bank_mask:0xf
	v_add_f32_e32 v10, v10, v11
	s_nop 1
	v_mov_b32_dpp v11, v10 row_half_mirror row_mask:0xf bank_mask:0xf
	v_add_f32_e32 v10, v10, v11
	s_nop 1
	v_mov_b32_dpp v11, v10 row_mirror row_mask:0xf bank_mask:0xf
	v_add_f32_e32 v10, v10, v11
	s_nop 1
	v_mov_b32_dpp v11, v10 row_bcast:15 row_mask:0xf bank_mask:0xf
	v_add_f32_e32 v10, v10, v11
	s_nop 1
	v_mov_b32_dpp v11, v10 row_bcast:31 row_mask:0xf bank_mask:0xf
	s_and_saveexec_b64 s[2:3], s[0:1]
	s_cbranch_execz .LBB850_26
; %bb.25:
	v_lshrrev_b32_e32 v0, 4, v0
	v_add_f32_e32 v10, v10, v11
	v_and_b32_e32 v0, 60, v0
	ds_write_b32 v0, v10
.LBB850_26:
	s_or_b64 exec, exec, s[2:3]
	s_waitcnt lgkmcnt(0)
	s_barrier
	ds_read_b32 v0, v34
	s_waitcnt lgkmcnt(0)
	s_nop 0
	v_mov_b32_dpp v10, v0 quad_perm:[1,0,3,2] row_mask:0xf bank_mask:0xf
	v_add_f32_e32 v0, v0, v10
	s_nop 1
	v_mov_b32_dpp v10, v0 quad_perm:[2,3,0,1] row_mask:0xf bank_mask:0xf
	s_and_saveexec_b64 s[0:1], vcc
	s_cbranch_execz .LBB850_12
; %bb.27:
	v_cvt_f32_u32_e32 v11, s16
	v_add_f32_e32 v0, v0, v10
	s_mov_b32 s11, 0x20000
	v_div_scale_f32 v10, s[0:1], v11, v11, v0
	v_rcp_f32_e32 v12, v10
	v_div_scale_f32 v13, vcc, v0, v11, v0
	s_mov_b32 s0, 0x800000
	v_fma_f32 v14, -v10, v12, 1.0
	v_fmac_f32_e32 v12, v14, v12
	v_mul_f32_e32 v14, v13, v12
	v_fma_f32 v15, -v10, v14, v13
	v_fmac_f32_e32 v14, v15, v12
	v_fma_f32 v10, -v10, v14, v13
	v_div_fmas_f32 v10, v10, v12, v14
	v_div_fixup_f32 v0, v10, v11, v0
	v_add_f32_e32 v0, s13, v0
	v_mul_f32_e32 v10, 0x4b800000, v0
	v_cmp_gt_f32_e32 vcc, s0, v0
	v_cndmask_b32_e32 v0, v0, v10, vcc
	v_rsq_f32_e32 v0, v0
	s_mul_hi_i32 s1, s27, s6
	s_mul_i32 s0, s27, s6
	s_lshl_b64 s[0:1], s[0:1], 1
	v_mul_f32_e32 v10, 0x45800000, v0
	v_cndmask_b32_e32 v10, v0, v10, vcc
	v_mov_b32_e32 v11, v10
	;;#ASMSTART
	v_pk_mul_f32 v[12:13], v[18:19], v[10:11]
	;;#ASMEND
	;;#ASMSTART
	v_pk_mul_f32 v[14:15], v[32:33], v[10:11]
	;;#ASMEND
	;; [unrolled: 3-line block ×4, first 2 shown]
	s_waitcnt vmcnt(1)
	v_cvt_f32_u32_sdwa v29, v6 dst_sel:DWORD dst_unused:UNUSED_PAD src0_sel:WORD_1
	v_cvt_f32_u32_sdwa v28, v6 dst_sel:DWORD dst_unused:UNUSED_PAD src0_sel:WORD_0
	v_cvt_f32_u32_sdwa v31, v7 dst_sel:DWORD dst_unused:UNUSED_PAD src0_sel:WORD_1
	v_cvt_f32_u32_sdwa v30, v7 dst_sel:DWORD dst_unused:UNUSED_PAD src0_sel:WORD_0
	;;#ASMSTART
	v_pk_mul_f32 v[26:27], v[26:27], v[10:11]
	;;#ASMEND
	;;#ASMSTART
	v_pk_mul_f32 v[24:25], v[24:25], v[10:11]
	;;#ASMEND
	;;#ASMSTART
	v_pk_mul_f32 v[22:23], v[22:23], v[10:11]
	;;#ASMEND
	;;#ASMSTART
	v_pk_mul_f32 v[6:7], v[20:21], v[10:11]
	;;#ASMEND
	v_cvt_f32_u32_sdwa v21, v8 dst_sel:DWORD dst_unused:UNUSED_PAD src0_sel:WORD_1
	v_cvt_f32_u32_sdwa v20, v8 dst_sel:DWORD dst_unused:UNUSED_PAD src0_sel:WORD_0
	v_pk_add_f32 v[10:11], v[28:29], 1.0 op_sel_hi:[1,0]
	;;#ASMSTART
	v_pk_mul_f32 v[10:11], v[12:13], v[10:11]
	;;#ASMEND
	v_pk_add_f32 v[12:13], v[30:31], 1.0 op_sel_hi:[1,0]
	v_cvt_f32_u32_sdwa v29, v9 dst_sel:DWORD dst_unused:UNUSED_PAD src0_sel:WORD_1
	v_cvt_f32_u32_sdwa v28, v9 dst_sel:DWORD dst_unused:UNUSED_PAD src0_sel:WORD_0
	;;#ASMSTART
	v_pk_mul_f32 v[8:9], v[14:15], v[12:13]
	;;#ASMEND
	v_pk_add_f32 v[12:13], v[20:21], 1.0 op_sel_hi:[1,0]
	;;#ASMSTART
	v_pk_mul_f32 v[12:13], v[16:17], v[12:13]
	;;#ASMEND
	s_waitcnt vmcnt(0)
	v_cvt_f32_u32_sdwa v17, v2 dst_sel:DWORD dst_unused:UNUSED_PAD src0_sel:WORD_1
	v_cvt_f32_u32_sdwa v16, v2 dst_sel:DWORD dst_unused:UNUSED_PAD src0_sel:WORD_0
	v_cvt_f32_u32_sdwa v21, v3 dst_sel:DWORD dst_unused:UNUSED_PAD src0_sel:WORD_1
	v_cvt_f32_u32_sdwa v20, v3 dst_sel:DWORD dst_unused:UNUSED_PAD src0_sel:WORD_0
	v_pk_add_f32 v[14:15], v[28:29], 1.0 op_sel_hi:[1,0]
	;;#ASMSTART
	v_pk_mul_f32 v[14:15], v[18:19], v[14:15]
	;;#ASMEND
	v_pk_add_f32 v[2:3], v[16:17], 1.0 op_sel_hi:[1,0]
	v_cvt_f32_u32_sdwa v19, v4 dst_sel:DWORD dst_unused:UNUSED_PAD src0_sel:WORD_1
	v_cvt_f32_u32_sdwa v18, v4 dst_sel:DWORD dst_unused:UNUSED_PAD src0_sel:WORD_0
	;;#ASMSTART
	v_pk_mul_f32 v[16:17], v[26:27], v[2:3]
	;;#ASMEND
	v_pk_add_f32 v[2:3], v[20:21], 1.0 op_sel_hi:[1,0]
	v_cvt_f32_u32_sdwa v21, v5 dst_sel:DWORD dst_unused:UNUSED_PAD src0_sel:WORD_1
	v_cvt_f32_u32_sdwa v20, v5 dst_sel:DWORD dst_unused:UNUSED_PAD src0_sel:WORD_0
	s_add_u32 s8, s14, s0
	;;#ASMSTART
	v_pk_mul_f32 v[24:25], v[24:25], v[2:3]
	;;#ASMEND
	v_pk_add_f32 v[2:3], v[18:19], 1.0 op_sel_hi:[1,0]
	s_addc_u32 s0, s15, s1
	;;#ASMSTART
	v_pk_mul_f32 v[18:19], v[22:23], v[2:3]
	;;#ASMEND
	v_pk_add_f32 v[2:3], v[20:21], 1.0 op_sel_hi:[1,0]
	s_and_b32 s9, s0, 0xffff
	s_mov_b32 s0, 0x7060302
	;;#ASMSTART
	v_pk_mul_f32 v[6:7], v[6:7], v[2:3]
	;;#ASMEND
	v_perm_b32 v2, v11, v10, s0
	v_perm_b32 v3, v9, v8, s0
	;; [unrolled: 1-line block ×4, first 2 shown]
	buffer_store_dwordx4 v[2:5], v1, s[8:11], 0 offen
	;;#ASMSTART
	s_nop 0
	;;#ASMEND
	s_nop 0
	v_perm_b32 v2, v17, v16, s0
	v_perm_b32 v3, v25, v24, s0
	v_perm_b32 v4, v19, v18, s0
	v_perm_b32 v5, v7, v6, s0
	buffer_store_dwordx4 v[2:5], v1, s[8:11], 16 offen
	;;#ASMSTART
	s_nop 0
	;;#ASMEND
	s_endpgm
	.section	.rodata,"a",@progbits
	.p2align	6, 0x0
	.amdhsa_kernel _ZN5aiter35fused_qk_rmsnorm_group_quant_kernelItDB8_Li256ELi16ELi2ELb0ELb1ELb1ELb1ELb0ELb0EEEvPT0_PvPT_S6_S6_PKS5_S8_S8_S8_S8_ffiiiiiiiiiiiii
		.amdhsa_group_segment_fixed_size 32
		.amdhsa_private_segment_fixed_size 0
		.amdhsa_kernarg_size 400
		.amdhsa_user_sgpr_count 6
		.amdhsa_user_sgpr_private_segment_buffer 1
		.amdhsa_user_sgpr_dispatch_ptr 0
		.amdhsa_user_sgpr_queue_ptr 0
		.amdhsa_user_sgpr_kernarg_segment_ptr 1
		.amdhsa_user_sgpr_dispatch_id 0
		.amdhsa_user_sgpr_flat_scratch_init 0
		.amdhsa_user_sgpr_kernarg_preload_length 0
		.amdhsa_user_sgpr_kernarg_preload_offset 0
		.amdhsa_user_sgpr_private_segment_size 0
		.amdhsa_uses_dynamic_stack 0
		.amdhsa_system_sgpr_private_segment_wavefront_offset 0
		.amdhsa_system_sgpr_workgroup_id_x 1
		.amdhsa_system_sgpr_workgroup_id_y 1
		.amdhsa_system_sgpr_workgroup_id_z 0
		.amdhsa_system_sgpr_workgroup_info 0
		.amdhsa_system_vgpr_workitem_id 0
		.amdhsa_next_free_vgpr 35
		.amdhsa_next_free_sgpr 32
		.amdhsa_accum_offset 36
		.amdhsa_reserve_vcc 1
		.amdhsa_reserve_flat_scratch 0
		.amdhsa_float_round_mode_32 0
		.amdhsa_float_round_mode_16_64 0
		.amdhsa_float_denorm_mode_32 3
		.amdhsa_float_denorm_mode_16_64 3
		.amdhsa_dx10_clamp 1
		.amdhsa_ieee_mode 1
		.amdhsa_fp16_overflow 0
		.amdhsa_tg_split 0
		.amdhsa_exception_fp_ieee_invalid_op 0
		.amdhsa_exception_fp_denorm_src 0
		.amdhsa_exception_fp_ieee_div_zero 0
		.amdhsa_exception_fp_ieee_overflow 0
		.amdhsa_exception_fp_ieee_underflow 0
		.amdhsa_exception_fp_ieee_inexact 0
		.amdhsa_exception_int_div_zero 0
	.end_amdhsa_kernel
	.section	.text._ZN5aiter35fused_qk_rmsnorm_group_quant_kernelItDB8_Li256ELi16ELi2ELb0ELb1ELb1ELb1ELb0ELb0EEEvPT0_PvPT_S6_S6_PKS5_S8_S8_S8_S8_ffiiiiiiiiiiiii,"axG",@progbits,_ZN5aiter35fused_qk_rmsnorm_group_quant_kernelItDB8_Li256ELi16ELi2ELb0ELb1ELb1ELb1ELb0ELb0EEEvPT0_PvPT_S6_S6_PKS5_S8_S8_S8_S8_ffiiiiiiiiiiiii,comdat
.Lfunc_end850:
	.size	_ZN5aiter35fused_qk_rmsnorm_group_quant_kernelItDB8_Li256ELi16ELi2ELb0ELb1ELb1ELb1ELb0ELb0EEEvPT0_PvPT_S6_S6_PKS5_S8_S8_S8_S8_ffiiiiiiiiiiiii, .Lfunc_end850-_ZN5aiter35fused_qk_rmsnorm_group_quant_kernelItDB8_Li256ELi16ELi2ELb0ELb1ELb1ELb1ELb0ELb0EEEvPT0_PvPT_S6_S6_PKS5_S8_S8_S8_S8_ffiiiiiiiiiiiii
                                        ; -- End function
	.section	.AMDGPU.csdata,"",@progbits
; Kernel info:
; codeLenInByte = 2940
; NumSgprs: 36
; NumVgprs: 35
; NumAgprs: 0
; TotalNumVgprs: 35
; ScratchSize: 0
; MemoryBound: 0
; FloatMode: 240
; IeeeMode: 1
; LDSByteSize: 32 bytes/workgroup (compile time only)
; SGPRBlocks: 4
; VGPRBlocks: 4
; NumSGPRsForWavesPerEU: 36
; NumVGPRsForWavesPerEU: 35
; AccumOffset: 36
; Occupancy: 8
; WaveLimiterHint : 0
; COMPUTE_PGM_RSRC2:SCRATCH_EN: 0
; COMPUTE_PGM_RSRC2:USER_SGPR: 6
; COMPUTE_PGM_RSRC2:TRAP_HANDLER: 0
; COMPUTE_PGM_RSRC2:TGID_X_EN: 1
; COMPUTE_PGM_RSRC2:TGID_Y_EN: 1
; COMPUTE_PGM_RSRC2:TGID_Z_EN: 0
; COMPUTE_PGM_RSRC2:TIDIG_COMP_CNT: 0
; COMPUTE_PGM_RSRC3_GFX90A:ACCUM_OFFSET: 8
; COMPUTE_PGM_RSRC3_GFX90A:TG_SPLIT: 0
	.section	.text._ZN5aiter35fused_qk_rmsnorm_group_quant_kernelIDF16_N4opus5fp4_tELi256ELi16ELi2ELb0ELb1ELb1ELb1ELb0ELb0EEEvPT0_PvPT_S7_S7_PKS6_S9_S9_S9_S9_ffiiiiiiiiiiiii,"axG",@progbits,_ZN5aiter35fused_qk_rmsnorm_group_quant_kernelIDF16_N4opus5fp4_tELi256ELi16ELi2ELb0ELb1ELb1ELb1ELb0ELb0EEEvPT0_PvPT_S7_S7_PKS6_S9_S9_S9_S9_ffiiiiiiiiiiiii,comdat
	.protected	_ZN5aiter35fused_qk_rmsnorm_group_quant_kernelIDF16_N4opus5fp4_tELi256ELi16ELi2ELb0ELb1ELb1ELb1ELb0ELb0EEEvPT0_PvPT_S7_S7_PKS6_S9_S9_S9_S9_ffiiiiiiiiiiiii ; -- Begin function _ZN5aiter35fused_qk_rmsnorm_group_quant_kernelIDF16_N4opus5fp4_tELi256ELi16ELi2ELb0ELb1ELb1ELb1ELb0ELb0EEEvPT0_PvPT_S7_S7_PKS6_S9_S9_S9_S9_ffiiiiiiiiiiiii
	.globl	_ZN5aiter35fused_qk_rmsnorm_group_quant_kernelIDF16_N4opus5fp4_tELi256ELi16ELi2ELb0ELb1ELb1ELb1ELb0ELb0EEEvPT0_PvPT_S7_S7_PKS6_S9_S9_S9_S9_ffiiiiiiiiiiiii
	.p2align	8
	.type	_ZN5aiter35fused_qk_rmsnorm_group_quant_kernelIDF16_N4opus5fp4_tELi256ELi16ELi2ELb0ELb1ELb1ELb1ELb0ELb0EEEvPT0_PvPT_S7_S7_PKS6_S9_S9_S9_S9_ffiiiiiiiiiiiii,@function
_ZN5aiter35fused_qk_rmsnorm_group_quant_kernelIDF16_N4opus5fp4_tELi256ELi16ELi2ELb0ELb1ELb1ELb1ELb0ELb0EEEvPT0_PvPT_S7_S7_PKS6_S9_S9_S9_S9_ffiiiiiiiiiiiii: ; @_ZN5aiter35fused_qk_rmsnorm_group_quant_kernelIDF16_N4opus5fp4_tELi256ELi16ELi2ELb0ELb1ELb1ELb1ELb0ELb0EEEvPT0_PvPT_S7_S7_PKS6_S9_S9_S9_S9_ffiiiiiiiiiiiii
; %bb.0:
	s_load_dwordx4 s[12:15], s[4:5], 0x50
	s_waitcnt lgkmcnt(0)
	s_cmp_ge_i32 s6, s14
	s_cbranch_scc1 .LBB851_12
; %bb.1:
	s_load_dwordx2 s[24:25], s[4:5], 0x30
	s_load_dwordx2 s[8:9], s[4:5], 0x48
	s_load_dwordx4 s[16:19], s[4:5], 0x60
	s_cmp_lg_u32 s7, 0
	s_cselect_b64 s[10:11], -1, 0
	s_cmp_eq_u32 s7, 0
	s_cselect_b64 vcc, -1, 0
	s_and_b64 s[0:1], vcc, exec
	s_waitcnt lgkmcnt(0)
	s_cselect_b32 s7, s15, s16
	s_add_i32 s0, s7, 1
	s_lshr_b32 s1, s0, 31
	s_add_i32 s0, s0, s1
	s_lshl_b32 s0, s0, 1
	v_lshlrev_b32_e32 v1, 4, v0
	s_and_b32 s22, s0, -4
	v_cmp_gt_i32_e64 s[2:3], s7, v1
	v_mov_b32_e32 v18, 0
	v_mov_b32_e32 v6, 0
	v_mov_b32_e32 v7, 0
	v_mov_b32_e32 v8, 0
	v_mov_b32_e32 v9, 0
	v_mov_b32_e32 v2, 0
	v_mov_b32_e32 v3, 0
	v_mov_b32_e32 v4, 0
	v_mov_b32_e32 v5, 0
	v_mov_b32_e32 v14, 0
	v_mov_b32_e32 v15, 0
	v_mov_b32_e32 v16, 0
	v_mov_b32_e32 v17, 0
	v_mov_b32_e32 v10, 0
	v_mov_b32_e32 v11, 0
	v_mov_b32_e32 v12, 0
	v_mov_b32_e32 v13, 0
	s_and_saveexec_b64 s[0:1], s[2:3]
	s_cbranch_execz .LBB851_3
; %bb.2:
	s_load_dwordx2 s[14:15], s[4:5], 0x28
	s_load_dwordx2 s[20:21], s[4:5], 0x40
	s_and_b64 s[26:27], vcc, exec
	s_cselect_b32 s17, s17, s18
	s_mov_b32 s30, s22
	s_waitcnt lgkmcnt(0)
	s_cselect_b32 s19, s15, s25
	s_cselect_b32 s23, s14, s24
	s_mul_hi_i32 s15, s17, s6
	s_mul_i32 s14, s17, s6
	s_lshl_b64 s[14:15], s[14:15], 1
	s_add_u32 s28, s23, s14
	s_addc_u32 s17, s19, s15
	s_and_b64 s[14:15], vcc, exec
	s_mov_b32 s23, 0x20000
	s_cselect_b32 s20, s20, s8
	s_cselect_b32 s14, s21, s9
	s_and_b32 s29, s17, 0xffff
	s_mov_b32 s31, s23
	v_lshlrev_b32_e32 v19, 5, v0
	s_and_b32 s21, s14, 0xffff
	buffer_load_dwordx4 v[14:17], v19, s[28:31], 0 offen
	buffer_load_dwordx4 v[10:13], v19, s[28:31], 16 offen
	;; [unrolled: 1-line block ×4, first 2 shown]
.LBB851_3:
	s_or_b64 exec, exec, s[0:1]
	v_mov_b32_e32 v19, 0
	v_mov_b32_e32 v22, 0
	;; [unrolled: 1-line block ×15, first 2 shown]
	s_and_saveexec_b64 s[0:1], s[2:3]
	s_cbranch_execz .LBB851_5
; %bb.4:
	s_waitcnt vmcnt(3)
	v_cvt_f32_f16_sdwa v19, v14 dst_sel:DWORD dst_unused:UNUSED_PAD src0_sel:WORD_1
	v_cvt_f32_f16_e32 v18, v14
	v_cvt_f32_f16_sdwa v23, v15 dst_sel:DWORD dst_unused:UNUSED_PAD src0_sel:WORD_1
	v_cvt_f32_f16_e32 v22, v15
	;; [unrolled: 2-line block ×4, first 2 shown]
	s_waitcnt vmcnt(2)
	v_cvt_f32_f16_sdwa v21, v10 dst_sel:DWORD dst_unused:UNUSED_PAD src0_sel:WORD_1
	v_cvt_f32_f16_e32 v20, v10
	v_cvt_f32_f16_sdwa v29, v11 dst_sel:DWORD dst_unused:UNUSED_PAD src0_sel:WORD_1
	v_cvt_f32_f16_e32 v28, v11
	;; [unrolled: 2-line block ×4, first 2 shown]
.LBB851_5:
	s_or_b64 exec, exec, s[0:1]
	s_waitcnt vmcnt(2)
	v_mul_f32_e32 v10, v19, v19
	v_fmac_f32_e32 v10, v18, v18
	v_fmac_f32_e32 v10, v22, v22
	;; [unrolled: 1-line block ×15, first 2 shown]
	v_and_b32_e32 v12, 63, v0
	v_cmp_eq_u32_e64 s[0:1], 63, v12
	v_mov_b32_dpp v11, v10 quad_perm:[1,0,3,2] row_mask:0xf bank_mask:0xf
	v_add_f32_e32 v10, v10, v11
	s_nop 1
	v_mov_b32_dpp v11, v10 quad_perm:[2,3,0,1] row_mask:0xf bank_mask:0xf
	v_add_f32_e32 v10, v10, v11
	s_nop 1
	v_mov_b32_dpp v11, v10 row_half_mirror row_mask:0xf bank_mask:0xf
	v_add_f32_e32 v10, v10, v11
	s_nop 1
	v_mov_b32_dpp v11, v10 row_mirror row_mask:0xf bank_mask:0xf
	v_add_f32_e32 v10, v10, v11
	s_nop 1
	v_mov_b32_dpp v11, v10 row_bcast:15 row_mask:0xf bank_mask:0xf
	v_add_f32_e32 v10, v10, v11
	s_nop 1
	v_mov_b32_dpp v11, v10 row_bcast:31 row_mask:0xf bank_mask:0xf
	s_and_saveexec_b64 s[14:15], s[0:1]
	s_cbranch_execz .LBB851_7
; %bb.6:
	v_add_f32_e32 v10, v10, v11
	v_lshrrev_b32_e32 v11, 4, v0
	v_and_b32_e32 v11, 60, v11
	ds_write_b32 v11, v10 offset:16
.LBB851_7:
	s_or_b64 exec, exec, s[14:15]
	v_and_b32_e32 v10, 3, v0
	v_lshlrev_b32_e32 v34, 2, v10
	s_waitcnt lgkmcnt(0)
	s_barrier
	ds_read_b32 v10, v34 offset:16
	s_load_dwordx2 s[14:15], s[4:5], 0x18
	s_waitcnt lgkmcnt(0)
	v_mov_b32_dpp v11, v10 quad_perm:[1,0,3,2] row_mask:0xf bank_mask:0xf
	v_add_f32_e32 v10, v10, v11
	s_nop 1
	v_mov_b32_dpp v11, v10 quad_perm:[2,3,0,1] row_mask:0xf bank_mask:0xf
	s_and_saveexec_b64 s[20:21], s[2:3]
	s_cbranch_execz .LBB851_9
; %bb.8:
	v_cvt_f32_u32_e32 v12, s7
	v_add_f32_e32 v10, v10, v11
	v_mov_b32_e32 v14, s13
	v_mov_b32_e32 v15, s12
	v_div_scale_f32 v11, s[26:27], v12, v12, v10
	v_rcp_f32_e32 v13, v11
	v_cndmask_b32_e32 v14, v14, v15, vcc
	s_mov_b32 s7, 0x800000
	v_fma_f32 v15, -v11, v13, 1.0
	v_fmac_f32_e32 v13, v15, v13
	v_div_scale_f32 v15, vcc, v10, v12, v10
	v_mul_f32_e32 v16, v15, v13
	v_fma_f32 v17, -v11, v16, v15
	v_fmac_f32_e32 v16, v17, v13
	v_fma_f32 v11, -v11, v16, v15
	v_div_fmas_f32 v11, v11, v13, v16
	v_div_fixup_f32 v10, v11, v12, v10
	v_add_f32_e32 v10, v14, v10
	v_mul_f32_e32 v11, 0x4b800000, v10
	v_cmp_gt_f32_e32 vcc, s7, v10
	v_cndmask_b32_e32 v10, v10, v11, vcc
	v_rsq_f32_e32 v10, v10
	v_mul_f32_e32 v11, 0x45800000, v10
	v_cndmask_b32_e32 v10, v10, v11, vcc
	v_mov_b32_e32 v11, v10
	;;#ASMSTART
	v_pk_mul_f32 v[12:13], v[18:19], v[10:11]
	;;#ASMEND
	s_waitcnt vmcnt(1)
	v_cvt_f32_f16_sdwa v19, v6 dst_sel:DWORD dst_unused:UNUSED_PAD src0_sel:WORD_1
	v_cvt_f32_f16_e32 v18, v6
	;;#ASMSTART
	v_pk_mul_f32 v[14:15], v[22:23], v[10:11]
	;;#ASMEND
	v_cvt_f32_f16_sdwa v23, v7 dst_sel:DWORD dst_unused:UNUSED_PAD src0_sel:WORD_1
	v_cvt_f32_f16_e32 v22, v7
	;;#ASMSTART
	v_pk_mul_f32 v[16:17], v[24:25], v[10:11]
	;;#ASMEND
	;;#ASMSTART
	v_pk_mul_f32 v[32:33], v[32:33], v[10:11]
	;;#ASMEND
	;; [unrolled: 3-line block ×6, first 2 shown]
	v_pk_add_f32 v[10:11], v[18:19], 1.0 op_sel_hi:[1,0]
	;;#ASMSTART
	v_pk_mul_f32 v[18:19], v[12:13], v[10:11]
	;;#ASMEND
	v_cvt_f32_f16_sdwa v13, v8 dst_sel:DWORD dst_unused:UNUSED_PAD src0_sel:WORD_1
	v_cvt_f32_f16_e32 v12, v8
	v_cvt_f32_f16_sdwa v27, v9 dst_sel:DWORD dst_unused:UNUSED_PAD src0_sel:WORD_1
	v_cvt_f32_f16_e32 v26, v9
	v_pk_add_f32 v[10:11], v[22:23], 1.0 op_sel_hi:[1,0]
	;;#ASMSTART
	v_pk_mul_f32 v[22:23], v[14:15], v[10:11]
	;;#ASMEND
	s_waitcnt vmcnt(0)
	v_cvt_f32_f16_sdwa v11, v2 dst_sel:DWORD dst_unused:UNUSED_PAD src0_sel:WORD_1
	v_cvt_f32_f16_e32 v10, v2
	v_pk_add_f32 v[8:9], v[12:13], 1.0 op_sel_hi:[1,0]
	;;#ASMSTART
	v_pk_mul_f32 v[24:25], v[16:17], v[8:9]
	;;#ASMEND
	v_pk_add_f32 v[8:9], v[26:27], 1.0 op_sel_hi:[1,0]
	v_cvt_f32_f16_sdwa v13, v3 dst_sel:DWORD dst_unused:UNUSED_PAD src0_sel:WORD_1
	v_cvt_f32_f16_e32 v12, v3
	;;#ASMSTART
	v_pk_mul_f32 v[32:33], v[32:33], v[8:9]
	;;#ASMEND
	v_cvt_f32_f16_sdwa v9, v4 dst_sel:DWORD dst_unused:UNUSED_PAD src0_sel:WORD_1
	v_cvt_f32_f16_e32 v8, v4
	v_pk_add_f32 v[2:3], v[10:11], 1.0 op_sel_hi:[1,0]
	v_cvt_f32_f16_sdwa v11, v5 dst_sel:DWORD dst_unused:UNUSED_PAD src0_sel:WORD_1
	v_cvt_f32_f16_e32 v10, v5
	;;#ASMSTART
	v_pk_mul_f32 v[20:21], v[20:21], v[2:3]
	;;#ASMEND
	v_pk_add_f32 v[2:3], v[12:13], 1.0 op_sel_hi:[1,0]
	;;#ASMSTART
	v_pk_mul_f32 v[28:29], v[28:29], v[2:3]
	;;#ASMEND
	v_pk_add_f32 v[2:3], v[8:9], 1.0 op_sel_hi:[1,0]
	;;#ASMSTART
	v_pk_mul_f32 v[30:31], v[30:31], v[2:3]
	;;#ASMEND
	v_pk_add_f32 v[2:3], v[10:11], 1.0 op_sel_hi:[1,0]
	;;#ASMSTART
	v_pk_mul_f32 v[26:27], v[6:7], v[2:3]
	;;#ASMEND
.LBB851_9:
	s_or_b64 exec, exec, s[20:21]
	s_load_dwordx2 s[26:27], s[4:5], 0x7c
	s_mov_b64 s[20:21], -1
	s_and_b64 vcc, exec, s[10:11]
	s_cbranch_vccnz .LBB851_13
; %bb.10:
	s_andn2_b64 vcc, exec, s[20:21]
	s_cbranch_vccz .LBB851_16
.LBB851_11:
	s_cmp_lt_i32 s16, 1
	s_cbranch_scc0 .LBB851_19
.LBB851_12:
	s_endpgm
.LBB851_13:
	s_and_saveexec_b64 s[10:11], s[2:3]
	s_cbranch_execz .LBB851_15
; %bb.14:
	s_waitcnt lgkmcnt(0)
	s_mul_hi_i32 s21, s27, s6
	s_mul_i32 s20, s27, s6
	s_waitcnt vmcnt(0)
	v_cvt_f16_f32_e32 v2, v18
	v_cvt_f16_f32_e32 v3, v22
	;; [unrolled: 1-line block ×8, first 2 shown]
	s_lshl_b64 s[20:21], s[20:21], 1
	s_add_u32 s20, s14, s20
	s_addc_u32 s7, s15, s21
	s_and_b32 s21, s7, 0xffff
	s_mov_b32 s23, 0x20000
	v_pack_b32_f16 v5, v5, v6
	v_pack_b32_f16 v4, v4, v7
	v_pack_b32_f16 v3, v3, v8
	v_pack_b32_f16 v2, v2, v9
	v_lshlrev_b32_e32 v6, 5, v0
	buffer_store_dwordx4 v[2:5], v6, s[20:23], 0 offen
	v_cvt_f16_f32_e32 v7, v27
	v_cvt_f16_f32_e32 v2, v20
	;; [unrolled: 1-line block ×8, first 2 shown]
	v_pack_b32_f16 v5, v5, v7
	v_pack_b32_f16 v4, v4, v8
	;; [unrolled: 1-line block ×4, first 2 shown]
	;;#ASMSTART
	s_nop 0
	;;#ASMEND
	buffer_store_dwordx4 v[2:5], v6, s[20:23], 16 offen
	;;#ASMSTART
	s_nop 0
	;;#ASMEND
.LBB851_15:
	s_or_b64 exec, exec, s[10:11]
	s_cbranch_execnz .LBB851_11
.LBB851_16:
	s_and_saveexec_b64 s[10:11], s[2:3]
	s_cbranch_execz .LBB851_18
; %bb.17:
	s_load_dwordx2 s[2:3], s[4:5], 0x10
	s_waitcnt lgkmcnt(0)
	s_mul_hi_i32 s21, s26, s6
	s_mul_i32 s20, s26, s6
	s_waitcnt vmcnt(0)
	v_cvt_f16_f32_e32 v2, v18
	v_cvt_f16_f32_e32 v3, v22
	;; [unrolled: 1-line block ×8, first 2 shown]
	s_lshl_b64 s[20:21], s[20:21], 1
	s_add_u32 s20, s2, s20
	s_addc_u32 s2, s3, s21
	s_mov_b32 s23, 0x20000
	s_and_b32 s21, s2, 0xffff
	v_pack_b32_f16 v5, v5, v6
	v_pack_b32_f16 v4, v4, v7
	;; [unrolled: 1-line block ×4, first 2 shown]
	v_lshlrev_b32_e32 v6, 5, v0
	buffer_store_dwordx4 v[2:5], v6, s[20:23], 0 offen
	v_cvt_f16_f32_e32 v7, v27
	v_cvt_f16_f32_e32 v2, v20
	v_cvt_f16_f32_e32 v3, v28
	v_cvt_f16_f32_e32 v4, v30
	v_cvt_f16_f32_e32 v5, v26
	v_cvt_f16_f32_e32 v8, v31
	v_cvt_f16_f32_e32 v9, v29
	v_cvt_f16_f32_e32 v10, v21
	v_pack_b32_f16 v5, v5, v7
	v_pack_b32_f16 v4, v4, v8
	;; [unrolled: 1-line block ×4, first 2 shown]
	;;#ASMSTART
	s_nop 0
	;;#ASMEND
	buffer_store_dwordx4 v[2:5], v6, s[20:23], 16 offen
	;;#ASMSTART
	s_nop 0
	;;#ASMEND
.LBB851_18:
	s_or_b64 exec, exec, s[10:11]
	s_cmp_lt_i32 s16, 1
	s_cbranch_scc1 .LBB851_12
.LBB851_19:
	s_load_dword s2, s[4:5], 0x94
	s_waitcnt lgkmcnt(0)
	s_cmp_lg_u32 s2, 1
	s_cbranch_scc1 .LBB851_12
; %bb.20:
	s_lshl_b32 s2, s16, 1
	s_add_i32 s2, s2, 2
	v_cmp_gt_u32_e32 vcc, s16, v1
	s_and_b32 s10, s2, -4
	v_mov_b32_e32 v18, 0
	v_lshlrev_b32_e32 v1, 5, v0
	v_mov_b32_e32 v14, 0
	v_mov_b32_e32 v15, 0
	;; [unrolled: 1-line block ×8, first 2 shown]
	s_waitcnt vmcnt(1)
	v_mov_b32_e32 v6, 0
	v_mov_b32_e32 v7, 0
	;; [unrolled: 1-line block ×4, first 2 shown]
	s_waitcnt vmcnt(0)
	v_mov_b32_e32 v2, 0
	v_mov_b32_e32 v3, 0
	;; [unrolled: 1-line block ×4, first 2 shown]
	s_barrier
	s_and_saveexec_b64 s[2:3], vcc
	s_cbranch_execz .LBB851_22
; %bb.21:
	s_mul_hi_i32 s5, s18, s6
	s_mul_i32 s4, s18, s6
	s_and_b32 s9, s9, 0xffff
	s_lshl_b64 s[4:5], s[4:5], 1
	s_add_u32 s20, s24, s4
	s_mov_b32 s11, 0x20000
	s_addc_u32 s4, s25, s5
	s_and_b32 s21, s4, 0xffff
	s_mov_b32 s22, s10
	s_mov_b32 s23, s11
	buffer_load_dwordx4 v[14:17], v1, s[20:23], 0 offen
	buffer_load_dwordx4 v[10:13], v1, s[20:23], 16 offen
	;; [unrolled: 1-line block ×4, first 2 shown]
.LBB851_22:
	s_or_b64 exec, exec, s[2:3]
	v_mov_b32_e32 v19, 0
	v_mov_b32_e32 v32, 0
	;; [unrolled: 1-line block ×15, first 2 shown]
	s_and_saveexec_b64 s[2:3], vcc
	s_cbranch_execz .LBB851_24
; %bb.23:
	s_waitcnt vmcnt(3)
	v_cvt_f32_f16_sdwa v19, v14 dst_sel:DWORD dst_unused:UNUSED_PAD src0_sel:WORD_1
	v_cvt_f32_f16_e32 v18, v14
	v_cvt_f32_f16_sdwa v33, v15 dst_sel:DWORD dst_unused:UNUSED_PAD src0_sel:WORD_1
	v_cvt_f32_f16_e32 v32, v15
	;; [unrolled: 2-line block ×4, first 2 shown]
	s_waitcnt vmcnt(2)
	v_cvt_f32_f16_sdwa v27, v10 dst_sel:DWORD dst_unused:UNUSED_PAD src0_sel:WORD_1
	v_cvt_f32_f16_e32 v26, v10
	v_cvt_f32_f16_sdwa v25, v11 dst_sel:DWORD dst_unused:UNUSED_PAD src0_sel:WORD_1
	v_cvt_f32_f16_e32 v24, v11
	;; [unrolled: 2-line block ×4, first 2 shown]
.LBB851_24:
	s_or_b64 exec, exec, s[2:3]
	s_waitcnt vmcnt(2)
	v_mul_f32_e32 v10, v19, v19
	v_fmac_f32_e32 v10, v18, v18
	v_fmac_f32_e32 v10, v32, v32
	v_fmac_f32_e32 v10, v33, v33
	v_fmac_f32_e32 v10, v30, v30
	v_fmac_f32_e32 v10, v31, v31
	v_fmac_f32_e32 v10, v28, v28
	v_fmac_f32_e32 v10, v29, v29
	v_fmac_f32_e32 v10, v26, v26
	v_fmac_f32_e32 v10, v27, v27
	v_fmac_f32_e32 v10, v24, v24
	v_fmac_f32_e32 v10, v25, v25
	v_fmac_f32_e32 v10, v22, v22
	v_fmac_f32_e32 v10, v23, v23
	v_fmac_f32_e32 v10, v20, v20
	v_fmac_f32_e32 v10, v21, v21
	s_nop 1
	v_mov_b32_dpp v11, v10 quad_perm:[1,0,3,2] row_mask:0xf bank_mask:0xf
	v_add_f32_e32 v10, v10, v11
	s_nop 1
	v_mov_b32_dpp v11, v10 quad_perm:[2,3,0,1] row_mask:0xf bank_mask:0xf
	v_add_f32_e32 v10, v10, v11
	s_nop 1
	v_mov_b32_dpp v11, v10 row_half_mirror row_mask:0xf bank_mask:0xf
	v_add_f32_e32 v10, v10, v11
	s_nop 1
	v_mov_b32_dpp v11, v10 row_mirror row_mask:0xf bank_mask:0xf
	v_add_f32_e32 v10, v10, v11
	s_nop 1
	v_mov_b32_dpp v11, v10 row_bcast:15 row_mask:0xf bank_mask:0xf
	v_add_f32_e32 v10, v10, v11
	s_nop 1
	v_mov_b32_dpp v11, v10 row_bcast:31 row_mask:0xf bank_mask:0xf
	s_and_saveexec_b64 s[2:3], s[0:1]
	s_cbranch_execz .LBB851_26
; %bb.25:
	v_lshrrev_b32_e32 v0, 4, v0
	v_add_f32_e32 v10, v10, v11
	v_and_b32_e32 v0, 60, v0
	ds_write_b32 v0, v10
.LBB851_26:
	s_or_b64 exec, exec, s[2:3]
	s_waitcnt lgkmcnt(0)
	s_barrier
	ds_read_b32 v0, v34
	s_waitcnt lgkmcnt(0)
	s_nop 0
	v_mov_b32_dpp v10, v0 quad_perm:[1,0,3,2] row_mask:0xf bank_mask:0xf
	v_add_f32_e32 v0, v0, v10
	s_nop 1
	v_mov_b32_dpp v10, v0 quad_perm:[2,3,0,1] row_mask:0xf bank_mask:0xf
	s_and_saveexec_b64 s[0:1], vcc
	s_cbranch_execz .LBB851_12
; %bb.27:
	v_cvt_f32_u32_e32 v11, s16
	v_add_f32_e32 v0, v0, v10
	s_mov_b32 s11, 0x20000
	v_div_scale_f32 v10, s[0:1], v11, v11, v0
	v_rcp_f32_e32 v12, v10
	v_div_scale_f32 v13, vcc, v0, v11, v0
	s_mov_b32 s0, 0x800000
	v_fma_f32 v14, -v10, v12, 1.0
	v_fmac_f32_e32 v12, v14, v12
	v_mul_f32_e32 v14, v13, v12
	v_fma_f32 v15, -v10, v14, v13
	v_fmac_f32_e32 v14, v15, v12
	v_fma_f32 v10, -v10, v14, v13
	v_div_fmas_f32 v10, v10, v12, v14
	v_div_fixup_f32 v0, v10, v11, v0
	v_add_f32_e32 v0, s13, v0
	v_mul_f32_e32 v10, 0x4b800000, v0
	v_cmp_gt_f32_e32 vcc, s0, v0
	v_cndmask_b32_e32 v0, v0, v10, vcc
	v_rsq_f32_e32 v0, v0
	s_mul_hi_i32 s1, s27, s6
	s_mul_i32 s0, s27, s6
	s_lshl_b64 s[0:1], s[0:1], 1
	v_mul_f32_e32 v10, 0x45800000, v0
	v_cndmask_b32_e32 v10, v0, v10, vcc
	v_mov_b32_e32 v11, v10
	;;#ASMSTART
	v_pk_mul_f32 v[12:13], v[18:19], v[10:11]
	;;#ASMEND
	;;#ASMSTART
	v_pk_mul_f32 v[14:15], v[32:33], v[10:11]
	;;#ASMEND
	;; [unrolled: 3-line block ×4, first 2 shown]
	s_waitcnt vmcnt(1)
	v_cvt_f32_f16_sdwa v29, v6 dst_sel:DWORD dst_unused:UNUSED_PAD src0_sel:WORD_1
	v_cvt_f32_f16_e32 v28, v6
	v_cvt_f32_f16_sdwa v31, v7 dst_sel:DWORD dst_unused:UNUSED_PAD src0_sel:WORD_1
	v_cvt_f32_f16_e32 v30, v7
	;;#ASMSTART
	v_pk_mul_f32 v[26:27], v[26:27], v[10:11]
	;;#ASMEND
	;;#ASMSTART
	v_pk_mul_f32 v[24:25], v[24:25], v[10:11]
	;;#ASMEND
	;; [unrolled: 3-line block ×4, first 2 shown]
	v_cvt_f32_f16_sdwa v21, v8 dst_sel:DWORD dst_unused:UNUSED_PAD src0_sel:WORD_1
	v_cvt_f32_f16_e32 v20, v8
	v_pk_add_f32 v[10:11], v[28:29], 1.0 op_sel_hi:[1,0]
	;;#ASMSTART
	v_pk_mul_f32 v[10:11], v[12:13], v[10:11]
	;;#ASMEND
	v_pk_add_f32 v[12:13], v[30:31], 1.0 op_sel_hi:[1,0]
	v_cvt_f32_f16_sdwa v29, v9 dst_sel:DWORD dst_unused:UNUSED_PAD src0_sel:WORD_1
	v_cvt_f32_f16_e32 v28, v9
	;;#ASMSTART
	v_pk_mul_f32 v[8:9], v[14:15], v[12:13]
	;;#ASMEND
	v_pk_add_f32 v[12:13], v[20:21], 1.0 op_sel_hi:[1,0]
	;;#ASMSTART
	v_pk_mul_f32 v[12:13], v[16:17], v[12:13]
	;;#ASMEND
	s_waitcnt vmcnt(0)
	v_cvt_f32_f16_sdwa v17, v2 dst_sel:DWORD dst_unused:UNUSED_PAD src0_sel:WORD_1
	v_cvt_f32_f16_e32 v16, v2
	v_cvt_f32_f16_sdwa v21, v3 dst_sel:DWORD dst_unused:UNUSED_PAD src0_sel:WORD_1
	v_cvt_f32_f16_e32 v20, v3
	v_pk_add_f32 v[14:15], v[28:29], 1.0 op_sel_hi:[1,0]
	;;#ASMSTART
	v_pk_mul_f32 v[2:3], v[18:19], v[14:15]
	;;#ASMEND
	v_cvt_f32_f16_sdwa v19, v4 dst_sel:DWORD dst_unused:UNUSED_PAD src0_sel:WORD_1
	v_cvt_f32_f16_e32 v18, v4
	v_pk_add_f32 v[14:15], v[16:17], 1.0 op_sel_hi:[1,0]
	v_pk_add_f32 v[16:17], v[20:21], 1.0 op_sel_hi:[1,0]
	v_cvt_f32_f16_sdwa v21, v5 dst_sel:DWORD dst_unused:UNUSED_PAD src0_sel:WORD_1
	v_cvt_f32_f16_e32 v20, v5
	v_pk_add_f32 v[4:5], v[18:19], 1.0 op_sel_hi:[1,0]
	;;#ASMSTART
	v_pk_mul_f32 v[14:15], v[26:27], v[14:15]
	;;#ASMEND
	;;#ASMSTART
	v_pk_mul_f32 v[16:17], v[24:25], v[16:17]
	;;#ASMEND
	;; [unrolled: 3-line block ×3, first 2 shown]
	v_pk_add_f32 v[4:5], v[20:21], 1.0 op_sel_hi:[1,0]
	;;#ASMSTART
	v_pk_mul_f32 v[6:7], v[6:7], v[4:5]
	;;#ASMEND
	v_cvt_f16_f32_e32 v0, v10
	v_cvt_f16_f32_e32 v4, v11
	;; [unrolled: 1-line block ×8, first 2 shown]
	s_add_u32 s8, s14, s0
	s_addc_u32 s0, s15, s1
	s_and_b32 s9, s0, 0xffff
	v_pack_b32_f16 v2, v0, v4
	v_pack_b32_f16 v3, v5, v8
	;; [unrolled: 1-line block ×4, first 2 shown]
	buffer_store_dwordx4 v[2:5], v1, s[8:11], 0 offen
	v_cvt_f16_f32_e32 v0, v14
	v_cvt_f16_f32_e32 v2, v15
	;; [unrolled: 1-line block ×8, first 2 shown]
	v_pack_b32_f16 v2, v0, v2
	v_pack_b32_f16 v3, v3, v4
	;; [unrolled: 1-line block ×4, first 2 shown]
	;;#ASMSTART
	s_nop 0
	;;#ASMEND
	buffer_store_dwordx4 v[2:5], v1, s[8:11], 16 offen
	;;#ASMSTART
	s_nop 0
	;;#ASMEND
	s_endpgm
	.section	.rodata,"a",@progbits
	.p2align	6, 0x0
	.amdhsa_kernel _ZN5aiter35fused_qk_rmsnorm_group_quant_kernelIDF16_N4opus5fp4_tELi256ELi16ELi2ELb0ELb1ELb1ELb1ELb0ELb0EEEvPT0_PvPT_S7_S7_PKS6_S9_S9_S9_S9_ffiiiiiiiiiiiii
		.amdhsa_group_segment_fixed_size 32
		.amdhsa_private_segment_fixed_size 0
		.amdhsa_kernarg_size 400
		.amdhsa_user_sgpr_count 6
		.amdhsa_user_sgpr_private_segment_buffer 1
		.amdhsa_user_sgpr_dispatch_ptr 0
		.amdhsa_user_sgpr_queue_ptr 0
		.amdhsa_user_sgpr_kernarg_segment_ptr 1
		.amdhsa_user_sgpr_dispatch_id 0
		.amdhsa_user_sgpr_flat_scratch_init 0
		.amdhsa_user_sgpr_kernarg_preload_length 0
		.amdhsa_user_sgpr_kernarg_preload_offset 0
		.amdhsa_user_sgpr_private_segment_size 0
		.amdhsa_uses_dynamic_stack 0
		.amdhsa_system_sgpr_private_segment_wavefront_offset 0
		.amdhsa_system_sgpr_workgroup_id_x 1
		.amdhsa_system_sgpr_workgroup_id_y 1
		.amdhsa_system_sgpr_workgroup_id_z 0
		.amdhsa_system_sgpr_workgroup_info 0
		.amdhsa_system_vgpr_workitem_id 0
		.amdhsa_next_free_vgpr 35
		.amdhsa_next_free_sgpr 32
		.amdhsa_accum_offset 36
		.amdhsa_reserve_vcc 1
		.amdhsa_reserve_flat_scratch 0
		.amdhsa_float_round_mode_32 0
		.amdhsa_float_round_mode_16_64 0
		.amdhsa_float_denorm_mode_32 3
		.amdhsa_float_denorm_mode_16_64 3
		.amdhsa_dx10_clamp 1
		.amdhsa_ieee_mode 1
		.amdhsa_fp16_overflow 0
		.amdhsa_tg_split 0
		.amdhsa_exception_fp_ieee_invalid_op 0
		.amdhsa_exception_fp_denorm_src 0
		.amdhsa_exception_fp_ieee_div_zero 0
		.amdhsa_exception_fp_ieee_overflow 0
		.amdhsa_exception_fp_ieee_underflow 0
		.amdhsa_exception_fp_ieee_inexact 0
		.amdhsa_exception_int_div_zero 0
	.end_amdhsa_kernel
	.section	.text._ZN5aiter35fused_qk_rmsnorm_group_quant_kernelIDF16_N4opus5fp4_tELi256ELi16ELi2ELb0ELb1ELb1ELb1ELb0ELb0EEEvPT0_PvPT_S7_S7_PKS6_S9_S9_S9_S9_ffiiiiiiiiiiiii,"axG",@progbits,_ZN5aiter35fused_qk_rmsnorm_group_quant_kernelIDF16_N4opus5fp4_tELi256ELi16ELi2ELb0ELb1ELb1ELb1ELb0ELb0EEEvPT0_PvPT_S7_S7_PKS6_S9_S9_S9_S9_ffiiiiiiiiiiiii,comdat
.Lfunc_end851:
	.size	_ZN5aiter35fused_qk_rmsnorm_group_quant_kernelIDF16_N4opus5fp4_tELi256ELi16ELi2ELb0ELb1ELb1ELb1ELb0ELb0EEEvPT0_PvPT_S7_S7_PKS6_S9_S9_S9_S9_ffiiiiiiiiiiiii, .Lfunc_end851-_ZN5aiter35fused_qk_rmsnorm_group_quant_kernelIDF16_N4opus5fp4_tELi256ELi16ELi2ELb0ELb1ELb1ELb1ELb0ELb0EEEvPT0_PvPT_S7_S7_PKS6_S9_S9_S9_S9_ffiiiiiiiiiiiii
                                        ; -- End function
	.section	.AMDGPU.csdata,"",@progbits
; Kernel info:
; codeLenInByte = 2968
; NumSgprs: 36
; NumVgprs: 35
; NumAgprs: 0
; TotalNumVgprs: 35
; ScratchSize: 0
; MemoryBound: 0
; FloatMode: 240
; IeeeMode: 1
; LDSByteSize: 32 bytes/workgroup (compile time only)
; SGPRBlocks: 4
; VGPRBlocks: 4
; NumSGPRsForWavesPerEU: 36
; NumVGPRsForWavesPerEU: 35
; AccumOffset: 36
; Occupancy: 8
; WaveLimiterHint : 0
; COMPUTE_PGM_RSRC2:SCRATCH_EN: 0
; COMPUTE_PGM_RSRC2:USER_SGPR: 6
; COMPUTE_PGM_RSRC2:TRAP_HANDLER: 0
; COMPUTE_PGM_RSRC2:TGID_X_EN: 1
; COMPUTE_PGM_RSRC2:TGID_Y_EN: 1
; COMPUTE_PGM_RSRC2:TGID_Z_EN: 0
; COMPUTE_PGM_RSRC2:TIDIG_COMP_CNT: 0
; COMPUTE_PGM_RSRC3_GFX90A:ACCUM_OFFSET: 8
; COMPUTE_PGM_RSRC3_GFX90A:TG_SPLIT: 0
	.section	.text._ZN5aiter35fused_qk_rmsnorm_group_quant_kernelItN4opus5fp4_tELi256ELi16ELi2ELb0ELb1ELb1ELb1ELb0ELb0EEEvPT0_PvPT_S7_S7_PKS6_S9_S9_S9_S9_ffiiiiiiiiiiiii,"axG",@progbits,_ZN5aiter35fused_qk_rmsnorm_group_quant_kernelItN4opus5fp4_tELi256ELi16ELi2ELb0ELb1ELb1ELb1ELb0ELb0EEEvPT0_PvPT_S7_S7_PKS6_S9_S9_S9_S9_ffiiiiiiiiiiiii,comdat
	.protected	_ZN5aiter35fused_qk_rmsnorm_group_quant_kernelItN4opus5fp4_tELi256ELi16ELi2ELb0ELb1ELb1ELb1ELb0ELb0EEEvPT0_PvPT_S7_S7_PKS6_S9_S9_S9_S9_ffiiiiiiiiiiiii ; -- Begin function _ZN5aiter35fused_qk_rmsnorm_group_quant_kernelItN4opus5fp4_tELi256ELi16ELi2ELb0ELb1ELb1ELb1ELb0ELb0EEEvPT0_PvPT_S7_S7_PKS6_S9_S9_S9_S9_ffiiiiiiiiiiiii
	.globl	_ZN5aiter35fused_qk_rmsnorm_group_quant_kernelItN4opus5fp4_tELi256ELi16ELi2ELb0ELb1ELb1ELb1ELb0ELb0EEEvPT0_PvPT_S7_S7_PKS6_S9_S9_S9_S9_ffiiiiiiiiiiiii
	.p2align	8
	.type	_ZN5aiter35fused_qk_rmsnorm_group_quant_kernelItN4opus5fp4_tELi256ELi16ELi2ELb0ELb1ELb1ELb1ELb0ELb0EEEvPT0_PvPT_S7_S7_PKS6_S9_S9_S9_S9_ffiiiiiiiiiiiii,@function
_ZN5aiter35fused_qk_rmsnorm_group_quant_kernelItN4opus5fp4_tELi256ELi16ELi2ELb0ELb1ELb1ELb1ELb0ELb0EEEvPT0_PvPT_S7_S7_PKS6_S9_S9_S9_S9_ffiiiiiiiiiiiii: ; @_ZN5aiter35fused_qk_rmsnorm_group_quant_kernelItN4opus5fp4_tELi256ELi16ELi2ELb0ELb1ELb1ELb1ELb0ELb0EEEvPT0_PvPT_S7_S7_PKS6_S9_S9_S9_S9_ffiiiiiiiiiiiii
; %bb.0:
	s_load_dwordx4 s[12:15], s[4:5], 0x50
	s_waitcnt lgkmcnt(0)
	s_cmp_ge_i32 s6, s14
	s_cbranch_scc1 .LBB852_12
; %bb.1:
	s_load_dwordx2 s[24:25], s[4:5], 0x30
	s_load_dwordx2 s[8:9], s[4:5], 0x48
	s_load_dwordx4 s[16:19], s[4:5], 0x60
	s_cmp_lg_u32 s7, 0
	s_cselect_b64 s[10:11], -1, 0
	s_cmp_eq_u32 s7, 0
	s_cselect_b64 vcc, -1, 0
	s_and_b64 s[0:1], vcc, exec
	s_waitcnt lgkmcnt(0)
	s_cselect_b32 s7, s15, s16
	s_add_i32 s0, s7, 1
	s_lshr_b32 s1, s0, 31
	s_add_i32 s0, s0, s1
	s_lshl_b32 s0, s0, 1
	v_lshlrev_b32_e32 v1, 4, v0
	s_and_b32 s22, s0, -4
	v_cmp_gt_i32_e64 s[2:3], s7, v1
	v_mov_b32_e32 v18, 0
	v_mov_b32_e32 v6, 0
	;; [unrolled: 1-line block ×17, first 2 shown]
	s_and_saveexec_b64 s[0:1], s[2:3]
	s_cbranch_execz .LBB852_3
; %bb.2:
	s_load_dwordx2 s[14:15], s[4:5], 0x28
	s_load_dwordx2 s[20:21], s[4:5], 0x40
	s_and_b64 s[26:27], vcc, exec
	s_cselect_b32 s17, s17, s18
	s_mov_b32 s30, s22
	s_waitcnt lgkmcnt(0)
	s_cselect_b32 s19, s15, s25
	s_cselect_b32 s23, s14, s24
	s_mul_hi_i32 s15, s17, s6
	s_mul_i32 s14, s17, s6
	s_lshl_b64 s[14:15], s[14:15], 1
	s_add_u32 s28, s23, s14
	s_addc_u32 s17, s19, s15
	s_and_b64 s[14:15], vcc, exec
	s_mov_b32 s23, 0x20000
	s_cselect_b32 s20, s20, s8
	s_cselect_b32 s14, s21, s9
	s_and_b32 s29, s17, 0xffff
	s_mov_b32 s31, s23
	v_lshlrev_b32_e32 v19, 5, v0
	s_and_b32 s21, s14, 0xffff
	buffer_load_dwordx4 v[14:17], v19, s[28:31], 0 offen
	buffer_load_dwordx4 v[10:13], v19, s[28:31], 16 offen
	;; [unrolled: 1-line block ×4, first 2 shown]
.LBB852_3:
	s_or_b64 exec, exec, s[0:1]
	v_mov_b32_e32 v19, 0
	v_mov_b32_e32 v20, 0
	v_mov_b32_e32 v21, 0
	v_mov_b32_e32 v22, 0
	v_mov_b32_e32 v23, 0
	v_mov_b32_e32 v26, 0
	v_mov_b32_e32 v27, 0
	v_mov_b32_e32 v24, 0
	v_mov_b32_e32 v25, 0
	v_mov_b32_e32 v30, 0
	v_mov_b32_e32 v31, 0
	v_mov_b32_e32 v32, 0
	v_mov_b32_e32 v33, 0
	v_mov_b32_e32 v28, 0
	v_mov_b32_e32 v29, 0
	s_and_saveexec_b64 s[0:1], s[2:3]
	s_cbranch_execz .LBB852_5
; %bb.4:
	s_waitcnt vmcnt(3)
	v_cvt_f32_u32_sdwa v18, v14 dst_sel:DWORD dst_unused:UNUSED_PAD src0_sel:WORD_0
	v_cvt_f32_u32_sdwa v19, v14 dst_sel:DWORD dst_unused:UNUSED_PAD src0_sel:WORD_1
	v_cvt_f32_u32_sdwa v20, v15 dst_sel:DWORD dst_unused:UNUSED_PAD src0_sel:WORD_0
	v_cvt_f32_u32_sdwa v21, v15 dst_sel:DWORD dst_unused:UNUSED_PAD src0_sel:WORD_1
	;; [unrolled: 2-line block ×4, first 2 shown]
	s_waitcnt vmcnt(2)
	v_cvt_f32_u32_sdwa v24, v10 dst_sel:DWORD dst_unused:UNUSED_PAD src0_sel:WORD_0
	v_cvt_f32_u32_sdwa v25, v10 dst_sel:DWORD dst_unused:UNUSED_PAD src0_sel:WORD_1
	v_cvt_f32_u32_sdwa v30, v11 dst_sel:DWORD dst_unused:UNUSED_PAD src0_sel:WORD_0
	v_cvt_f32_u32_sdwa v31, v11 dst_sel:DWORD dst_unused:UNUSED_PAD src0_sel:WORD_1
	;; [unrolled: 2-line block ×4, first 2 shown]
.LBB852_5:
	s_or_b64 exec, exec, s[0:1]
	s_waitcnt vmcnt(2)
	v_mul_f32_e32 v10, v19, v19
	v_fmac_f32_e32 v10, v18, v18
	v_fmac_f32_e32 v10, v20, v20
	;; [unrolled: 1-line block ×15, first 2 shown]
	v_and_b32_e32 v12, 63, v0
	v_cmp_eq_u32_e64 s[0:1], 63, v12
	v_mov_b32_dpp v11, v10 quad_perm:[1,0,3,2] row_mask:0xf bank_mask:0xf
	v_add_f32_e32 v10, v10, v11
	s_nop 1
	v_mov_b32_dpp v11, v10 quad_perm:[2,3,0,1] row_mask:0xf bank_mask:0xf
	v_add_f32_e32 v10, v10, v11
	s_nop 1
	v_mov_b32_dpp v11, v10 row_half_mirror row_mask:0xf bank_mask:0xf
	v_add_f32_e32 v10, v10, v11
	s_nop 1
	v_mov_b32_dpp v11, v10 row_mirror row_mask:0xf bank_mask:0xf
	v_add_f32_e32 v10, v10, v11
	s_nop 1
	v_mov_b32_dpp v11, v10 row_bcast:15 row_mask:0xf bank_mask:0xf
	v_add_f32_e32 v10, v10, v11
	s_nop 1
	v_mov_b32_dpp v11, v10 row_bcast:31 row_mask:0xf bank_mask:0xf
	s_and_saveexec_b64 s[14:15], s[0:1]
	s_cbranch_execz .LBB852_7
; %bb.6:
	v_add_f32_e32 v10, v10, v11
	v_lshrrev_b32_e32 v11, 4, v0
	v_and_b32_e32 v11, 60, v11
	ds_write_b32 v11, v10 offset:16
.LBB852_7:
	s_or_b64 exec, exec, s[14:15]
	v_and_b32_e32 v10, 3, v0
	v_lshlrev_b32_e32 v34, 2, v10
	s_waitcnt lgkmcnt(0)
	s_barrier
	ds_read_b32 v10, v34 offset:16
	s_load_dwordx2 s[14:15], s[4:5], 0x18
	s_waitcnt lgkmcnt(0)
	v_mov_b32_dpp v11, v10 quad_perm:[1,0,3,2] row_mask:0xf bank_mask:0xf
	v_add_f32_e32 v10, v10, v11
	s_nop 1
	v_mov_b32_dpp v11, v10 quad_perm:[2,3,0,1] row_mask:0xf bank_mask:0xf
	s_and_saveexec_b64 s[20:21], s[2:3]
	s_cbranch_execz .LBB852_9
; %bb.8:
	v_cvt_f32_u32_e32 v12, s7
	v_add_f32_e32 v10, v10, v11
	v_mov_b32_e32 v14, s13
	v_mov_b32_e32 v15, s12
	v_div_scale_f32 v11, s[26:27], v12, v12, v10
	v_rcp_f32_e32 v13, v11
	v_cndmask_b32_e32 v14, v14, v15, vcc
	s_mov_b32 s7, 0x800000
	v_fma_f32 v15, -v11, v13, 1.0
	v_fmac_f32_e32 v13, v15, v13
	v_div_scale_f32 v15, vcc, v10, v12, v10
	v_mul_f32_e32 v16, v15, v13
	v_fma_f32 v17, -v11, v16, v15
	v_fmac_f32_e32 v16, v17, v13
	v_fma_f32 v11, -v11, v16, v15
	v_div_fmas_f32 v11, v11, v13, v16
	v_div_fixup_f32 v10, v11, v12, v10
	v_add_f32_e32 v10, v14, v10
	v_mul_f32_e32 v11, 0x4b800000, v10
	v_cmp_gt_f32_e32 vcc, s7, v10
	v_cndmask_b32_e32 v10, v10, v11, vcc
	v_rsq_f32_e32 v10, v10
	v_mul_f32_e32 v11, 0x45800000, v10
	v_cndmask_b32_e32 v10, v10, v11, vcc
	v_mov_b32_e32 v11, v10
	;;#ASMSTART
	v_pk_mul_f32 v[12:13], v[18:19], v[10:11]
	;;#ASMEND
	s_waitcnt vmcnt(1)
	v_cvt_f32_u32_sdwa v19, v6 dst_sel:DWORD dst_unused:UNUSED_PAD src0_sel:WORD_1
	v_cvt_f32_u32_sdwa v18, v6 dst_sel:DWORD dst_unused:UNUSED_PAD src0_sel:WORD_0
	;;#ASMSTART
	v_pk_mul_f32 v[14:15], v[20:21], v[10:11]
	;;#ASMEND
	v_cvt_f32_u32_sdwa v21, v7 dst_sel:DWORD dst_unused:UNUSED_PAD src0_sel:WORD_1
	v_cvt_f32_u32_sdwa v20, v7 dst_sel:DWORD dst_unused:UNUSED_PAD src0_sel:WORD_0
	;;#ASMSTART
	v_pk_mul_f32 v[16:17], v[22:23], v[10:11]
	;;#ASMEND
	;;#ASMSTART
	v_pk_mul_f32 v[26:27], v[26:27], v[10:11]
	;;#ASMEND
	;; [unrolled: 3-line block ×6, first 2 shown]
	v_pk_add_f32 v[10:11], v[18:19], 1.0 op_sel_hi:[1,0]
	;;#ASMSTART
	v_pk_mul_f32 v[18:19], v[12:13], v[10:11]
	;;#ASMEND
	v_cvt_f32_u32_sdwa v13, v8 dst_sel:DWORD dst_unused:UNUSED_PAD src0_sel:WORD_1
	v_cvt_f32_u32_sdwa v12, v8 dst_sel:DWORD dst_unused:UNUSED_PAD src0_sel:WORD_0
	v_cvt_f32_u32_sdwa v29, v9 dst_sel:DWORD dst_unused:UNUSED_PAD src0_sel:WORD_1
	v_cvt_f32_u32_sdwa v28, v9 dst_sel:DWORD dst_unused:UNUSED_PAD src0_sel:WORD_0
	v_pk_add_f32 v[10:11], v[20:21], 1.0 op_sel_hi:[1,0]
	;;#ASMSTART
	v_pk_mul_f32 v[20:21], v[14:15], v[10:11]
	;;#ASMEND
	s_waitcnt vmcnt(0)
	v_cvt_f32_u32_sdwa v11, v2 dst_sel:DWORD dst_unused:UNUSED_PAD src0_sel:WORD_1
	v_cvt_f32_u32_sdwa v10, v2 dst_sel:DWORD dst_unused:UNUSED_PAD src0_sel:WORD_0
	v_pk_add_f32 v[8:9], v[12:13], 1.0 op_sel_hi:[1,0]
	;;#ASMSTART
	v_pk_mul_f32 v[22:23], v[16:17], v[8:9]
	;;#ASMEND
	v_pk_add_f32 v[8:9], v[28:29], 1.0 op_sel_hi:[1,0]
	v_cvt_f32_u32_sdwa v13, v3 dst_sel:DWORD dst_unused:UNUSED_PAD src0_sel:WORD_1
	v_cvt_f32_u32_sdwa v12, v3 dst_sel:DWORD dst_unused:UNUSED_PAD src0_sel:WORD_0
	;;#ASMSTART
	v_pk_mul_f32 v[26:27], v[26:27], v[8:9]
	;;#ASMEND
	v_cvt_f32_u32_sdwa v9, v4 dst_sel:DWORD dst_unused:UNUSED_PAD src0_sel:WORD_1
	v_cvt_f32_u32_sdwa v8, v4 dst_sel:DWORD dst_unused:UNUSED_PAD src0_sel:WORD_0
	v_pk_add_f32 v[2:3], v[10:11], 1.0 op_sel_hi:[1,0]
	v_cvt_f32_u32_sdwa v11, v5 dst_sel:DWORD dst_unused:UNUSED_PAD src0_sel:WORD_1
	v_cvt_f32_u32_sdwa v10, v5 dst_sel:DWORD dst_unused:UNUSED_PAD src0_sel:WORD_0
	;;#ASMSTART
	v_pk_mul_f32 v[24:25], v[24:25], v[2:3]
	;;#ASMEND
	v_pk_add_f32 v[2:3], v[12:13], 1.0 op_sel_hi:[1,0]
	;;#ASMSTART
	v_pk_mul_f32 v[30:31], v[30:31], v[2:3]
	;;#ASMEND
	v_pk_add_f32 v[2:3], v[8:9], 1.0 op_sel_hi:[1,0]
	;; [unrolled: 4-line block ×3, first 2 shown]
	;;#ASMSTART
	v_pk_mul_f32 v[28:29], v[6:7], v[2:3]
	;;#ASMEND
.LBB852_9:
	s_or_b64 exec, exec, s[20:21]
	s_load_dwordx2 s[26:27], s[4:5], 0x7c
	s_mov_b64 s[20:21], -1
	s_and_b64 vcc, exec, s[10:11]
	s_cbranch_vccnz .LBB852_13
; %bb.10:
	s_andn2_b64 vcc, exec, s[20:21]
	s_cbranch_vccz .LBB852_16
.LBB852_11:
	s_cmp_lt_i32 s16, 1
	s_cbranch_scc0 .LBB852_19
.LBB852_12:
	s_endpgm
.LBB852_13:
	s_and_saveexec_b64 s[10:11], s[2:3]
	s_cbranch_execz .LBB852_15
; %bb.14:
	s_waitcnt lgkmcnt(0)
	s_mul_hi_i32 s21, s27, s6
	s_mul_i32 s20, s27, s6
	s_lshl_b64 s[20:21], s[20:21], 1
	s_add_u32 s20, s14, s20
	s_addc_u32 s7, s15, s21
	s_and_b32 s21, s7, 0xffff
	s_mov_b32 s7, 0x7060302
	s_mov_b32 s23, 0x20000
	s_waitcnt vmcnt(0)
	v_perm_b32 v5, v27, v26, s7
	v_perm_b32 v4, v23, v22, s7
	;; [unrolled: 1-line block ×4, first 2 shown]
	v_lshlrev_b32_e32 v6, 5, v0
	buffer_store_dwordx4 v[2:5], v6, s[20:23], 0 offen
	;;#ASMSTART
	s_nop 0
	;;#ASMEND
	s_nop 0
	v_perm_b32 v5, v29, v28, s7
	v_perm_b32 v4, v33, v32, s7
	;; [unrolled: 1-line block ×4, first 2 shown]
	buffer_store_dwordx4 v[2:5], v6, s[20:23], 16 offen
	;;#ASMSTART
	s_nop 0
	;;#ASMEND
.LBB852_15:
	s_or_b64 exec, exec, s[10:11]
	s_cbranch_execnz .LBB852_11
.LBB852_16:
	s_and_saveexec_b64 s[10:11], s[2:3]
	s_cbranch_execz .LBB852_18
; %bb.17:
	s_load_dwordx2 s[2:3], s[4:5], 0x10
	s_waitcnt lgkmcnt(0)
	s_mul_hi_i32 s21, s26, s6
	s_mul_i32 s20, s26, s6
	s_lshl_b64 s[20:21], s[20:21], 1
	s_mov_b32 s23, 0x20000
	s_add_u32 s20, s2, s20
	s_addc_u32 s2, s3, s21
	s_and_b32 s21, s2, 0xffff
	s_mov_b32 s2, 0x7060302
	s_waitcnt vmcnt(0)
	v_perm_b32 v5, v27, v26, s2
	v_perm_b32 v4, v23, v22, s2
	;; [unrolled: 1-line block ×4, first 2 shown]
	v_lshlrev_b32_e32 v6, 5, v0
	buffer_store_dwordx4 v[2:5], v6, s[20:23], 0 offen
	;;#ASMSTART
	s_nop 0
	;;#ASMEND
	s_nop 0
	v_perm_b32 v5, v29, v28, s2
	v_perm_b32 v4, v33, v32, s2
	;; [unrolled: 1-line block ×4, first 2 shown]
	buffer_store_dwordx4 v[2:5], v6, s[20:23], 16 offen
	;;#ASMSTART
	s_nop 0
	;;#ASMEND
.LBB852_18:
	s_or_b64 exec, exec, s[10:11]
	s_cmp_lt_i32 s16, 1
	s_cbranch_scc1 .LBB852_12
.LBB852_19:
	s_load_dword s2, s[4:5], 0x94
	s_waitcnt lgkmcnt(0)
	s_cmp_lg_u32 s2, 1
	s_cbranch_scc1 .LBB852_12
; %bb.20:
	s_lshl_b32 s2, s16, 1
	s_add_i32 s2, s2, 2
	v_cmp_gt_u32_e32 vcc, s16, v1
	s_and_b32 s10, s2, -4
	v_mov_b32_e32 v18, 0
	v_lshlrev_b32_e32 v1, 5, v0
	v_mov_b32_e32 v14, 0
	v_mov_b32_e32 v15, 0
	;; [unrolled: 1-line block ×8, first 2 shown]
	s_waitcnt vmcnt(1)
	v_mov_b32_e32 v6, 0
	v_mov_b32_e32 v7, 0
	v_mov_b32_e32 v8, 0
	v_mov_b32_e32 v9, 0
	s_waitcnt vmcnt(0)
	v_mov_b32_e32 v2, 0
	v_mov_b32_e32 v3, 0
	;; [unrolled: 1-line block ×4, first 2 shown]
	s_barrier
	s_and_saveexec_b64 s[2:3], vcc
	s_cbranch_execz .LBB852_22
; %bb.21:
	s_mul_hi_i32 s5, s18, s6
	s_mul_i32 s4, s18, s6
	s_and_b32 s9, s9, 0xffff
	s_lshl_b64 s[4:5], s[4:5], 1
	s_add_u32 s20, s24, s4
	s_mov_b32 s11, 0x20000
	s_addc_u32 s4, s25, s5
	s_and_b32 s21, s4, 0xffff
	s_mov_b32 s22, s10
	s_mov_b32 s23, s11
	buffer_load_dwordx4 v[14:17], v1, s[20:23], 0 offen
	buffer_load_dwordx4 v[10:13], v1, s[20:23], 16 offen
	;; [unrolled: 1-line block ×4, first 2 shown]
.LBB852_22:
	s_or_b64 exec, exec, s[2:3]
	v_mov_b32_e32 v19, 0
	v_mov_b32_e32 v32, 0
	;; [unrolled: 1-line block ×15, first 2 shown]
	s_and_saveexec_b64 s[2:3], vcc
	s_cbranch_execz .LBB852_24
; %bb.23:
	s_waitcnt vmcnt(3)
	v_cvt_f32_u32_sdwa v18, v14 dst_sel:DWORD dst_unused:UNUSED_PAD src0_sel:WORD_0
	v_cvt_f32_u32_sdwa v19, v14 dst_sel:DWORD dst_unused:UNUSED_PAD src0_sel:WORD_1
	v_cvt_f32_u32_sdwa v32, v15 dst_sel:DWORD dst_unused:UNUSED_PAD src0_sel:WORD_0
	v_cvt_f32_u32_sdwa v33, v15 dst_sel:DWORD dst_unused:UNUSED_PAD src0_sel:WORD_1
	;; [unrolled: 2-line block ×4, first 2 shown]
	s_waitcnt vmcnt(2)
	v_cvt_f32_u32_sdwa v26, v10 dst_sel:DWORD dst_unused:UNUSED_PAD src0_sel:WORD_0
	v_cvt_f32_u32_sdwa v27, v10 dst_sel:DWORD dst_unused:UNUSED_PAD src0_sel:WORD_1
	v_cvt_f32_u32_sdwa v24, v11 dst_sel:DWORD dst_unused:UNUSED_PAD src0_sel:WORD_0
	v_cvt_f32_u32_sdwa v25, v11 dst_sel:DWORD dst_unused:UNUSED_PAD src0_sel:WORD_1
	;; [unrolled: 2-line block ×4, first 2 shown]
.LBB852_24:
	s_or_b64 exec, exec, s[2:3]
	s_waitcnt vmcnt(2)
	v_mul_f32_e32 v10, v19, v19
	v_fmac_f32_e32 v10, v18, v18
	v_fmac_f32_e32 v10, v32, v32
	;; [unrolled: 1-line block ×15, first 2 shown]
	s_nop 1
	v_mov_b32_dpp v11, v10 quad_perm:[1,0,3,2] row_mask:0xf bank_mask:0xf
	v_add_f32_e32 v10, v10, v11
	s_nop 1
	v_mov_b32_dpp v11, v10 quad_perm:[2,3,0,1] row_mask:0xf bank_mask:0xf
	v_add_f32_e32 v10, v10, v11
	s_nop 1
	v_mov_b32_dpp v11, v10 row_half_mirror row_mask:0xf bank_mask:0xf
	v_add_f32_e32 v10, v10, v11
	s_nop 1
	v_mov_b32_dpp v11, v10 row_mirror row_mask:0xf bank_mask:0xf
	v_add_f32_e32 v10, v10, v11
	s_nop 1
	v_mov_b32_dpp v11, v10 row_bcast:15 row_mask:0xf bank_mask:0xf
	v_add_f32_e32 v10, v10, v11
	s_nop 1
	v_mov_b32_dpp v11, v10 row_bcast:31 row_mask:0xf bank_mask:0xf
	s_and_saveexec_b64 s[2:3], s[0:1]
	s_cbranch_execz .LBB852_26
; %bb.25:
	v_lshrrev_b32_e32 v0, 4, v0
	v_add_f32_e32 v10, v10, v11
	v_and_b32_e32 v0, 60, v0
	ds_write_b32 v0, v10
.LBB852_26:
	s_or_b64 exec, exec, s[2:3]
	s_waitcnt lgkmcnt(0)
	s_barrier
	ds_read_b32 v0, v34
	s_waitcnt lgkmcnt(0)
	s_nop 0
	v_mov_b32_dpp v10, v0 quad_perm:[1,0,3,2] row_mask:0xf bank_mask:0xf
	v_add_f32_e32 v0, v0, v10
	s_nop 1
	v_mov_b32_dpp v10, v0 quad_perm:[2,3,0,1] row_mask:0xf bank_mask:0xf
	s_and_saveexec_b64 s[0:1], vcc
	s_cbranch_execz .LBB852_12
; %bb.27:
	v_cvt_f32_u32_e32 v11, s16
	v_add_f32_e32 v0, v0, v10
	s_mov_b32 s11, 0x20000
	v_div_scale_f32 v10, s[0:1], v11, v11, v0
	v_rcp_f32_e32 v12, v10
	v_div_scale_f32 v13, vcc, v0, v11, v0
	s_mov_b32 s0, 0x800000
	v_fma_f32 v14, -v10, v12, 1.0
	v_fmac_f32_e32 v12, v14, v12
	v_mul_f32_e32 v14, v13, v12
	v_fma_f32 v15, -v10, v14, v13
	v_fmac_f32_e32 v14, v15, v12
	v_fma_f32 v10, -v10, v14, v13
	v_div_fmas_f32 v10, v10, v12, v14
	v_div_fixup_f32 v0, v10, v11, v0
	v_add_f32_e32 v0, s13, v0
	v_mul_f32_e32 v10, 0x4b800000, v0
	v_cmp_gt_f32_e32 vcc, s0, v0
	v_cndmask_b32_e32 v0, v0, v10, vcc
	v_rsq_f32_e32 v0, v0
	s_mul_hi_i32 s1, s27, s6
	s_mul_i32 s0, s27, s6
	s_lshl_b64 s[0:1], s[0:1], 1
	v_mul_f32_e32 v10, 0x45800000, v0
	v_cndmask_b32_e32 v10, v0, v10, vcc
	v_mov_b32_e32 v11, v10
	;;#ASMSTART
	v_pk_mul_f32 v[12:13], v[18:19], v[10:11]
	;;#ASMEND
	;;#ASMSTART
	v_pk_mul_f32 v[14:15], v[32:33], v[10:11]
	;;#ASMEND
	;; [unrolled: 3-line block ×4, first 2 shown]
	s_waitcnt vmcnt(1)
	v_cvt_f32_u32_sdwa v29, v6 dst_sel:DWORD dst_unused:UNUSED_PAD src0_sel:WORD_1
	v_cvt_f32_u32_sdwa v28, v6 dst_sel:DWORD dst_unused:UNUSED_PAD src0_sel:WORD_0
	v_cvt_f32_u32_sdwa v31, v7 dst_sel:DWORD dst_unused:UNUSED_PAD src0_sel:WORD_1
	v_cvt_f32_u32_sdwa v30, v7 dst_sel:DWORD dst_unused:UNUSED_PAD src0_sel:WORD_0
	;;#ASMSTART
	v_pk_mul_f32 v[26:27], v[26:27], v[10:11]
	;;#ASMEND
	;;#ASMSTART
	v_pk_mul_f32 v[24:25], v[24:25], v[10:11]
	;;#ASMEND
	;; [unrolled: 3-line block ×4, first 2 shown]
	v_cvt_f32_u32_sdwa v21, v8 dst_sel:DWORD dst_unused:UNUSED_PAD src0_sel:WORD_1
	v_cvt_f32_u32_sdwa v20, v8 dst_sel:DWORD dst_unused:UNUSED_PAD src0_sel:WORD_0
	v_pk_add_f32 v[10:11], v[28:29], 1.0 op_sel_hi:[1,0]
	;;#ASMSTART
	v_pk_mul_f32 v[10:11], v[12:13], v[10:11]
	;;#ASMEND
	v_pk_add_f32 v[12:13], v[30:31], 1.0 op_sel_hi:[1,0]
	v_cvt_f32_u32_sdwa v29, v9 dst_sel:DWORD dst_unused:UNUSED_PAD src0_sel:WORD_1
	v_cvt_f32_u32_sdwa v28, v9 dst_sel:DWORD dst_unused:UNUSED_PAD src0_sel:WORD_0
	;;#ASMSTART
	v_pk_mul_f32 v[8:9], v[14:15], v[12:13]
	;;#ASMEND
	v_pk_add_f32 v[12:13], v[20:21], 1.0 op_sel_hi:[1,0]
	;;#ASMSTART
	v_pk_mul_f32 v[12:13], v[16:17], v[12:13]
	;;#ASMEND
	s_waitcnt vmcnt(0)
	v_cvt_f32_u32_sdwa v17, v2 dst_sel:DWORD dst_unused:UNUSED_PAD src0_sel:WORD_1
	v_cvt_f32_u32_sdwa v16, v2 dst_sel:DWORD dst_unused:UNUSED_PAD src0_sel:WORD_0
	v_cvt_f32_u32_sdwa v21, v3 dst_sel:DWORD dst_unused:UNUSED_PAD src0_sel:WORD_1
	v_cvt_f32_u32_sdwa v20, v3 dst_sel:DWORD dst_unused:UNUSED_PAD src0_sel:WORD_0
	v_pk_add_f32 v[14:15], v[28:29], 1.0 op_sel_hi:[1,0]
	;;#ASMSTART
	v_pk_mul_f32 v[14:15], v[18:19], v[14:15]
	;;#ASMEND
	v_pk_add_f32 v[2:3], v[16:17], 1.0 op_sel_hi:[1,0]
	v_cvt_f32_u32_sdwa v19, v4 dst_sel:DWORD dst_unused:UNUSED_PAD src0_sel:WORD_1
	v_cvt_f32_u32_sdwa v18, v4 dst_sel:DWORD dst_unused:UNUSED_PAD src0_sel:WORD_0
	;;#ASMSTART
	v_pk_mul_f32 v[16:17], v[26:27], v[2:3]
	;;#ASMEND
	v_pk_add_f32 v[2:3], v[20:21], 1.0 op_sel_hi:[1,0]
	v_cvt_f32_u32_sdwa v21, v5 dst_sel:DWORD dst_unused:UNUSED_PAD src0_sel:WORD_1
	v_cvt_f32_u32_sdwa v20, v5 dst_sel:DWORD dst_unused:UNUSED_PAD src0_sel:WORD_0
	s_add_u32 s8, s14, s0
	;;#ASMSTART
	v_pk_mul_f32 v[24:25], v[24:25], v[2:3]
	;;#ASMEND
	v_pk_add_f32 v[2:3], v[18:19], 1.0 op_sel_hi:[1,0]
	s_addc_u32 s0, s15, s1
	;;#ASMSTART
	v_pk_mul_f32 v[18:19], v[22:23], v[2:3]
	;;#ASMEND
	v_pk_add_f32 v[2:3], v[20:21], 1.0 op_sel_hi:[1,0]
	s_and_b32 s9, s0, 0xffff
	s_mov_b32 s0, 0x7060302
	;;#ASMSTART
	v_pk_mul_f32 v[6:7], v[6:7], v[2:3]
	;;#ASMEND
	v_perm_b32 v2, v11, v10, s0
	v_perm_b32 v3, v9, v8, s0
	;; [unrolled: 1-line block ×4, first 2 shown]
	buffer_store_dwordx4 v[2:5], v1, s[8:11], 0 offen
	;;#ASMSTART
	s_nop 0
	;;#ASMEND
	s_nop 0
	v_perm_b32 v2, v17, v16, s0
	v_perm_b32 v3, v25, v24, s0
	;; [unrolled: 1-line block ×4, first 2 shown]
	buffer_store_dwordx4 v[2:5], v1, s[8:11], 16 offen
	;;#ASMSTART
	s_nop 0
	;;#ASMEND
	s_endpgm
	.section	.rodata,"a",@progbits
	.p2align	6, 0x0
	.amdhsa_kernel _ZN5aiter35fused_qk_rmsnorm_group_quant_kernelItN4opus5fp4_tELi256ELi16ELi2ELb0ELb1ELb1ELb1ELb0ELb0EEEvPT0_PvPT_S7_S7_PKS6_S9_S9_S9_S9_ffiiiiiiiiiiiii
		.amdhsa_group_segment_fixed_size 32
		.amdhsa_private_segment_fixed_size 0
		.amdhsa_kernarg_size 400
		.amdhsa_user_sgpr_count 6
		.amdhsa_user_sgpr_private_segment_buffer 1
		.amdhsa_user_sgpr_dispatch_ptr 0
		.amdhsa_user_sgpr_queue_ptr 0
		.amdhsa_user_sgpr_kernarg_segment_ptr 1
		.amdhsa_user_sgpr_dispatch_id 0
		.amdhsa_user_sgpr_flat_scratch_init 0
		.amdhsa_user_sgpr_kernarg_preload_length 0
		.amdhsa_user_sgpr_kernarg_preload_offset 0
		.amdhsa_user_sgpr_private_segment_size 0
		.amdhsa_uses_dynamic_stack 0
		.amdhsa_system_sgpr_private_segment_wavefront_offset 0
		.amdhsa_system_sgpr_workgroup_id_x 1
		.amdhsa_system_sgpr_workgroup_id_y 1
		.amdhsa_system_sgpr_workgroup_id_z 0
		.amdhsa_system_sgpr_workgroup_info 0
		.amdhsa_system_vgpr_workitem_id 0
		.amdhsa_next_free_vgpr 35
		.amdhsa_next_free_sgpr 32
		.amdhsa_accum_offset 36
		.amdhsa_reserve_vcc 1
		.amdhsa_reserve_flat_scratch 0
		.amdhsa_float_round_mode_32 0
		.amdhsa_float_round_mode_16_64 0
		.amdhsa_float_denorm_mode_32 3
		.amdhsa_float_denorm_mode_16_64 3
		.amdhsa_dx10_clamp 1
		.amdhsa_ieee_mode 1
		.amdhsa_fp16_overflow 0
		.amdhsa_tg_split 0
		.amdhsa_exception_fp_ieee_invalid_op 0
		.amdhsa_exception_fp_denorm_src 0
		.amdhsa_exception_fp_ieee_div_zero 0
		.amdhsa_exception_fp_ieee_overflow 0
		.amdhsa_exception_fp_ieee_underflow 0
		.amdhsa_exception_fp_ieee_inexact 0
		.amdhsa_exception_int_div_zero 0
	.end_amdhsa_kernel
	.section	.text._ZN5aiter35fused_qk_rmsnorm_group_quant_kernelItN4opus5fp4_tELi256ELi16ELi2ELb0ELb1ELb1ELb1ELb0ELb0EEEvPT0_PvPT_S7_S7_PKS6_S9_S9_S9_S9_ffiiiiiiiiiiiii,"axG",@progbits,_ZN5aiter35fused_qk_rmsnorm_group_quant_kernelItN4opus5fp4_tELi256ELi16ELi2ELb0ELb1ELb1ELb1ELb0ELb0EEEvPT0_PvPT_S7_S7_PKS6_S9_S9_S9_S9_ffiiiiiiiiiiiii,comdat
.Lfunc_end852:
	.size	_ZN5aiter35fused_qk_rmsnorm_group_quant_kernelItN4opus5fp4_tELi256ELi16ELi2ELb0ELb1ELb1ELb1ELb0ELb0EEEvPT0_PvPT_S7_S7_PKS6_S9_S9_S9_S9_ffiiiiiiiiiiiii, .Lfunc_end852-_ZN5aiter35fused_qk_rmsnorm_group_quant_kernelItN4opus5fp4_tELi256ELi16ELi2ELb0ELb1ELb1ELb1ELb0ELb0EEEvPT0_PvPT_S7_S7_PKS6_S9_S9_S9_S9_ffiiiiiiiiiiiii
                                        ; -- End function
	.section	.AMDGPU.csdata,"",@progbits
; Kernel info:
; codeLenInByte = 2940
; NumSgprs: 36
; NumVgprs: 35
; NumAgprs: 0
; TotalNumVgprs: 35
; ScratchSize: 0
; MemoryBound: 0
; FloatMode: 240
; IeeeMode: 1
; LDSByteSize: 32 bytes/workgroup (compile time only)
; SGPRBlocks: 4
; VGPRBlocks: 4
; NumSGPRsForWavesPerEU: 36
; NumVGPRsForWavesPerEU: 35
; AccumOffset: 36
; Occupancy: 8
; WaveLimiterHint : 0
; COMPUTE_PGM_RSRC2:SCRATCH_EN: 0
; COMPUTE_PGM_RSRC2:USER_SGPR: 6
; COMPUTE_PGM_RSRC2:TRAP_HANDLER: 0
; COMPUTE_PGM_RSRC2:TGID_X_EN: 1
; COMPUTE_PGM_RSRC2:TGID_Y_EN: 1
; COMPUTE_PGM_RSRC2:TGID_Z_EN: 0
; COMPUTE_PGM_RSRC2:TIDIG_COMP_CNT: 0
; COMPUTE_PGM_RSRC3_GFX90A:ACCUM_OFFSET: 8
; COMPUTE_PGM_RSRC3_GFX90A:TG_SPLIT: 0
	.section	.text._ZN5aiter35fused_qk_rmsnorm_group_quant_kernelIDF16_DB8_Li256ELi16ELi2ELb0ELb1ELb0ELb1ELb0ELb0EEEvPT0_PvPT_S6_S6_PKS5_S8_S8_S8_S8_ffiiiiiiiiiiiii,"axG",@progbits,_ZN5aiter35fused_qk_rmsnorm_group_quant_kernelIDF16_DB8_Li256ELi16ELi2ELb0ELb1ELb0ELb1ELb0ELb0EEEvPT0_PvPT_S6_S6_PKS5_S8_S8_S8_S8_ffiiiiiiiiiiiii,comdat
	.protected	_ZN5aiter35fused_qk_rmsnorm_group_quant_kernelIDF16_DB8_Li256ELi16ELi2ELb0ELb1ELb0ELb1ELb0ELb0EEEvPT0_PvPT_S6_S6_PKS5_S8_S8_S8_S8_ffiiiiiiiiiiiii ; -- Begin function _ZN5aiter35fused_qk_rmsnorm_group_quant_kernelIDF16_DB8_Li256ELi16ELi2ELb0ELb1ELb0ELb1ELb0ELb0EEEvPT0_PvPT_S6_S6_PKS5_S8_S8_S8_S8_ffiiiiiiiiiiiii
	.globl	_ZN5aiter35fused_qk_rmsnorm_group_quant_kernelIDF16_DB8_Li256ELi16ELi2ELb0ELb1ELb0ELb1ELb0ELb0EEEvPT0_PvPT_S6_S6_PKS5_S8_S8_S8_S8_ffiiiiiiiiiiiii
	.p2align	8
	.type	_ZN5aiter35fused_qk_rmsnorm_group_quant_kernelIDF16_DB8_Li256ELi16ELi2ELb0ELb1ELb0ELb1ELb0ELb0EEEvPT0_PvPT_S6_S6_PKS5_S8_S8_S8_S8_ffiiiiiiiiiiiii,@function
_ZN5aiter35fused_qk_rmsnorm_group_quant_kernelIDF16_DB8_Li256ELi16ELi2ELb0ELb1ELb0ELb1ELb0ELb0EEEvPT0_PvPT_S6_S6_PKS5_S8_S8_S8_S8_ffiiiiiiiiiiiii: ; @_ZN5aiter35fused_qk_rmsnorm_group_quant_kernelIDF16_DB8_Li256ELi16ELi2ELb0ELb1ELb0ELb1ELb0ELb0EEEvPT0_PvPT_S6_S6_PKS5_S8_S8_S8_S8_ffiiiiiiiiiiiii
; %bb.0:
	s_load_dwordx4 s[12:15], s[4:5], 0x50
	s_waitcnt lgkmcnt(0)
	s_cmp_ge_i32 s6, s14
	s_cbranch_scc1 .LBB853_12
; %bb.1:
	s_load_dwordx2 s[24:25], s[4:5], 0x30
	s_load_dwordx2 s[8:9], s[4:5], 0x48
	s_load_dwordx4 s[16:19], s[4:5], 0x60
	s_cmp_lg_u32 s7, 0
	s_cselect_b64 s[10:11], -1, 0
	s_cmp_eq_u32 s7, 0
	s_cselect_b64 vcc, -1, 0
	s_and_b64 s[0:1], vcc, exec
	s_waitcnt lgkmcnt(0)
	s_cselect_b32 s7, s15, s16
	s_add_i32 s0, s7, 1
	s_lshr_b32 s1, s0, 31
	s_add_i32 s0, s0, s1
	s_lshl_b32 s0, s0, 1
	v_lshlrev_b32_e32 v1, 4, v0
	s_and_b32 s22, s0, -4
	v_cmp_gt_i32_e64 s[2:3], s7, v1
	v_mov_b32_e32 v18, 0
	v_mov_b32_e32 v6, 0
	;; [unrolled: 1-line block ×17, first 2 shown]
	s_and_saveexec_b64 s[0:1], s[2:3]
	s_cbranch_execz .LBB853_3
; %bb.2:
	s_load_dwordx2 s[14:15], s[4:5], 0x28
	s_load_dwordx2 s[20:21], s[4:5], 0x40
	s_and_b64 s[26:27], vcc, exec
	s_cselect_b32 s17, s17, s18
	s_mov_b32 s30, s22
	s_waitcnt lgkmcnt(0)
	s_cselect_b32 s19, s15, s25
	s_cselect_b32 s23, s14, s24
	s_mul_hi_i32 s15, s17, s6
	s_mul_i32 s14, s17, s6
	s_lshl_b64 s[14:15], s[14:15], 1
	s_add_u32 s28, s23, s14
	s_addc_u32 s17, s19, s15
	s_and_b64 s[14:15], vcc, exec
	s_mov_b32 s23, 0x20000
	s_cselect_b32 s20, s20, s8
	s_cselect_b32 s14, s21, s9
	s_and_b32 s29, s17, 0xffff
	s_mov_b32 s31, s23
	v_lshlrev_b32_e32 v19, 5, v0
	s_and_b32 s21, s14, 0xffff
	buffer_load_dwordx4 v[14:17], v19, s[28:31], 0 offen
	buffer_load_dwordx4 v[10:13], v19, s[28:31], 16 offen
	buffer_load_dwordx4 v[6:9], v19, s[20:23], 0 offen
	buffer_load_dwordx4 v[2:5], v19, s[20:23], 16 offen
.LBB853_3:
	s_or_b64 exec, exec, s[0:1]
	v_mov_b32_e32 v19, 0
	v_mov_b32_e32 v20, 0
	;; [unrolled: 1-line block ×15, first 2 shown]
	s_and_saveexec_b64 s[0:1], s[2:3]
	s_cbranch_execz .LBB853_5
; %bb.4:
	s_waitcnt vmcnt(3)
	v_cvt_f32_f16_sdwa v19, v14 dst_sel:DWORD dst_unused:UNUSED_PAD src0_sel:WORD_1
	v_cvt_f32_f16_e32 v18, v14
	v_cvt_f32_f16_sdwa v21, v15 dst_sel:DWORD dst_unused:UNUSED_PAD src0_sel:WORD_1
	v_cvt_f32_f16_e32 v20, v15
	v_cvt_f32_f16_sdwa v23, v16 dst_sel:DWORD dst_unused:UNUSED_PAD src0_sel:WORD_1
	v_cvt_f32_f16_e32 v22, v16
	v_cvt_f32_f16_sdwa v27, v17 dst_sel:DWORD dst_unused:UNUSED_PAD src0_sel:WORD_1
	v_cvt_f32_f16_e32 v26, v17
	s_waitcnt vmcnt(2)
	v_cvt_f32_f16_sdwa v25, v10 dst_sel:DWORD dst_unused:UNUSED_PAD src0_sel:WORD_1
	v_cvt_f32_f16_e32 v24, v10
	v_cvt_f32_f16_sdwa v29, v11 dst_sel:DWORD dst_unused:UNUSED_PAD src0_sel:WORD_1
	v_cvt_f32_f16_e32 v28, v11
	v_cvt_f32_f16_sdwa v31, v12 dst_sel:DWORD dst_unused:UNUSED_PAD src0_sel:WORD_1
	v_cvt_f32_f16_e32 v30, v12
	v_cvt_f32_f16_sdwa v33, v13 dst_sel:DWORD dst_unused:UNUSED_PAD src0_sel:WORD_1
	v_cvt_f32_f16_e32 v32, v13
.LBB853_5:
	s_or_b64 exec, exec, s[0:1]
	s_waitcnt vmcnt(2)
	v_mul_f32_e32 v10, v19, v19
	v_fmac_f32_e32 v10, v18, v18
	v_fmac_f32_e32 v10, v20, v20
	;; [unrolled: 1-line block ×15, first 2 shown]
	v_and_b32_e32 v12, 63, v0
	v_cmp_eq_u32_e64 s[0:1], 63, v12
	v_mov_b32_dpp v11, v10 quad_perm:[1,0,3,2] row_mask:0xf bank_mask:0xf
	v_add_f32_e32 v10, v10, v11
	s_nop 1
	v_mov_b32_dpp v11, v10 quad_perm:[2,3,0,1] row_mask:0xf bank_mask:0xf
	v_add_f32_e32 v10, v10, v11
	s_nop 1
	v_mov_b32_dpp v11, v10 row_half_mirror row_mask:0xf bank_mask:0xf
	v_add_f32_e32 v10, v10, v11
	s_nop 1
	v_mov_b32_dpp v11, v10 row_mirror row_mask:0xf bank_mask:0xf
	v_add_f32_e32 v10, v10, v11
	s_nop 1
	v_mov_b32_dpp v11, v10 row_bcast:15 row_mask:0xf bank_mask:0xf
	v_add_f32_e32 v10, v10, v11
	s_nop 1
	v_mov_b32_dpp v11, v10 row_bcast:31 row_mask:0xf bank_mask:0xf
	s_and_saveexec_b64 s[14:15], s[0:1]
	s_cbranch_execz .LBB853_7
; %bb.6:
	v_add_f32_e32 v10, v10, v11
	v_lshrrev_b32_e32 v11, 4, v0
	v_and_b32_e32 v11, 60, v11
	ds_write_b32 v11, v10 offset:16
.LBB853_7:
	s_or_b64 exec, exec, s[14:15]
	v_and_b32_e32 v10, 3, v0
	v_lshlrev_b32_e32 v34, 2, v10
	s_waitcnt lgkmcnt(0)
	s_barrier
	ds_read_b32 v10, v34 offset:16
	s_load_dwordx2 s[14:15], s[4:5], 0x18
	s_waitcnt lgkmcnt(0)
	v_mov_b32_dpp v11, v10 quad_perm:[1,0,3,2] row_mask:0xf bank_mask:0xf
	v_add_f32_e32 v10, v10, v11
	s_nop 1
	v_mov_b32_dpp v11, v10 quad_perm:[2,3,0,1] row_mask:0xf bank_mask:0xf
	s_and_saveexec_b64 s[20:21], s[2:3]
	s_cbranch_execz .LBB853_9
; %bb.8:
	v_cvt_f32_u32_e32 v12, s7
	v_add_f32_e32 v10, v10, v11
	v_mov_b32_e32 v14, s13
	v_mov_b32_e32 v15, s12
	v_div_scale_f32 v11, s[26:27], v12, v12, v10
	v_rcp_f32_e32 v13, v11
	v_cndmask_b32_e32 v14, v14, v15, vcc
	s_mov_b32 s7, 0x800000
	v_fma_f32 v15, -v11, v13, 1.0
	v_fmac_f32_e32 v13, v15, v13
	v_div_scale_f32 v15, vcc, v10, v12, v10
	v_mul_f32_e32 v16, v15, v13
	v_fma_f32 v17, -v11, v16, v15
	v_fmac_f32_e32 v16, v17, v13
	v_fma_f32 v11, -v11, v16, v15
	v_div_fmas_f32 v11, v11, v13, v16
	v_div_fixup_f32 v10, v11, v12, v10
	v_add_f32_e32 v10, v14, v10
	v_mul_f32_e32 v11, 0x4b800000, v10
	v_cmp_gt_f32_e32 vcc, s7, v10
	v_cndmask_b32_e32 v10, v10, v11, vcc
	v_rsq_f32_e32 v10, v10
	v_mul_f32_e32 v11, 0x45800000, v10
	v_cndmask_b32_e32 v10, v10, v11, vcc
	v_mov_b32_e32 v11, v10
	;;#ASMSTART
	v_pk_mul_f32 v[12:13], v[18:19], v[10:11]
	;;#ASMEND
	;;#ASMSTART
	v_pk_mul_f32 v[14:15], v[20:21], v[10:11]
	;;#ASMEND
	;;#ASMSTART
	v_pk_mul_f32 v[16:17], v[22:23], v[10:11]
	;;#ASMEND
	;;#ASMSTART
	v_pk_mul_f32 v[26:27], v[26:27], v[10:11]
	;;#ASMEND
	;;#ASMSTART
	v_pk_mul_f32 v[24:25], v[24:25], v[10:11]
	;;#ASMEND
	;;#ASMSTART
	v_pk_mul_f32 v[28:29], v[28:29], v[10:11]
	;;#ASMEND
	;;#ASMSTART
	v_pk_mul_f32 v[30:31], v[30:31], v[10:11]
	;;#ASMEND
	;;#ASMSTART
	v_pk_mul_f32 v[10:11], v[32:33], v[10:11]
	;;#ASMEND
	s_waitcnt vmcnt(1)
	v_cvt_f32_f16_sdwa v19, v6 dst_sel:DWORD dst_unused:UNUSED_PAD src0_sel:WORD_1
	v_cvt_f32_f16_e32 v18, v6
	v_cvt_f32_f16_sdwa v21, v7 dst_sel:DWORD dst_unused:UNUSED_PAD src0_sel:WORD_1
	v_cvt_f32_f16_e32 v20, v7
	;; [unrolled: 2-line block ×4, first 2 shown]
	;;#ASMSTART
	v_pk_mul_f32 v[18:19], v[12:13], v[18:19]
	;;#ASMEND
	;;#ASMSTART
	v_pk_mul_f32 v[20:21], v[14:15], v[20:21]
	;;#ASMEND
	;; [unrolled: 3-line block ×4, first 2 shown]
	s_waitcnt vmcnt(0)
	v_cvt_f32_f16_sdwa v7, v2 dst_sel:DWORD dst_unused:UNUSED_PAD src0_sel:WORD_1
	v_cvt_f32_f16_e32 v6, v2
	v_cvt_f32_f16_sdwa v9, v3 dst_sel:DWORD dst_unused:UNUSED_PAD src0_sel:WORD_1
	v_cvt_f32_f16_e32 v8, v3
	;; [unrolled: 2-line block ×4, first 2 shown]
	;;#ASMSTART
	v_pk_mul_f32 v[24:25], v[24:25], v[6:7]
	;;#ASMEND
	;;#ASMSTART
	v_pk_mul_f32 v[28:29], v[28:29], v[8:9]
	;;#ASMEND
	;; [unrolled: 3-line block ×4, first 2 shown]
.LBB853_9:
	s_or_b64 exec, exec, s[20:21]
	s_load_dwordx2 s[26:27], s[4:5], 0x7c
	s_mov_b64 s[20:21], -1
	s_and_b64 vcc, exec, s[10:11]
	s_cbranch_vccnz .LBB853_13
; %bb.10:
	s_andn2_b64 vcc, exec, s[20:21]
	s_cbranch_vccz .LBB853_16
.LBB853_11:
	s_cmp_lt_i32 s16, 1
	s_cbranch_scc0 .LBB853_19
.LBB853_12:
	s_endpgm
.LBB853_13:
	s_and_saveexec_b64 s[10:11], s[2:3]
	s_cbranch_execz .LBB853_15
; %bb.14:
	s_waitcnt lgkmcnt(0)
	s_mul_hi_i32 s21, s27, s6
	s_mul_i32 s20, s27, s6
	s_waitcnt vmcnt(0)
	v_cvt_f16_f32_e32 v2, v18
	v_cvt_f16_f32_e32 v3, v20
	;; [unrolled: 1-line block ×8, first 2 shown]
	s_lshl_b64 s[20:21], s[20:21], 1
	s_add_u32 s20, s14, s20
	s_addc_u32 s7, s15, s21
	s_and_b32 s21, s7, 0xffff
	s_mov_b32 s23, 0x20000
	v_pack_b32_f16 v5, v5, v6
	v_pack_b32_f16 v4, v4, v7
	;; [unrolled: 1-line block ×4, first 2 shown]
	v_lshlrev_b32_e32 v6, 5, v0
	buffer_store_dwordx4 v[2:5], v6, s[20:23], 0 offen
	v_cvt_f16_f32_e32 v7, v33
	v_cvt_f16_f32_e32 v2, v24
	;; [unrolled: 1-line block ×8, first 2 shown]
	v_pack_b32_f16 v5, v5, v7
	v_pack_b32_f16 v4, v4, v8
	;; [unrolled: 1-line block ×4, first 2 shown]
	;;#ASMSTART
	s_nop 0
	;;#ASMEND
	buffer_store_dwordx4 v[2:5], v6, s[20:23], 16 offen
	;;#ASMSTART
	s_nop 0
	;;#ASMEND
.LBB853_15:
	s_or_b64 exec, exec, s[10:11]
	s_cbranch_execnz .LBB853_11
.LBB853_16:
	s_and_saveexec_b64 s[10:11], s[2:3]
	s_cbranch_execz .LBB853_18
; %bb.17:
	s_load_dwordx2 s[2:3], s[4:5], 0x10
	s_waitcnt lgkmcnt(0)
	s_mul_hi_i32 s21, s26, s6
	s_mul_i32 s20, s26, s6
	s_waitcnt vmcnt(0)
	v_cvt_f16_f32_e32 v2, v18
	v_cvt_f16_f32_e32 v3, v20
	;; [unrolled: 1-line block ×8, first 2 shown]
	s_lshl_b64 s[20:21], s[20:21], 1
	s_add_u32 s20, s2, s20
	s_addc_u32 s2, s3, s21
	s_mov_b32 s23, 0x20000
	s_and_b32 s21, s2, 0xffff
	v_pack_b32_f16 v5, v5, v6
	v_pack_b32_f16 v4, v4, v7
	;; [unrolled: 1-line block ×4, first 2 shown]
	v_lshlrev_b32_e32 v6, 5, v0
	buffer_store_dwordx4 v[2:5], v6, s[20:23], 0 offen
	v_cvt_f16_f32_e32 v7, v33
	v_cvt_f16_f32_e32 v2, v24
	;; [unrolled: 1-line block ×8, first 2 shown]
	v_pack_b32_f16 v5, v5, v7
	v_pack_b32_f16 v4, v4, v8
	;; [unrolled: 1-line block ×4, first 2 shown]
	;;#ASMSTART
	s_nop 0
	;;#ASMEND
	buffer_store_dwordx4 v[2:5], v6, s[20:23], 16 offen
	;;#ASMSTART
	s_nop 0
	;;#ASMEND
.LBB853_18:
	s_or_b64 exec, exec, s[10:11]
	s_cmp_lt_i32 s16, 1
	s_cbranch_scc1 .LBB853_12
.LBB853_19:
	s_load_dword s2, s[4:5], 0x94
	s_waitcnt lgkmcnt(0)
	s_cmp_lg_u32 s2, 1
	s_cbranch_scc1 .LBB853_12
; %bb.20:
	s_lshl_b32 s2, s16, 1
	s_add_i32 s2, s2, 2
	v_cmp_gt_u32_e32 vcc, s16, v1
	s_and_b32 s10, s2, -4
	v_mov_b32_e32 v18, 0
	v_lshlrev_b32_e32 v1, 5, v0
	v_mov_b32_e32 v14, 0
	v_mov_b32_e32 v15, 0
	;; [unrolled: 1-line block ×8, first 2 shown]
	s_waitcnt vmcnt(1)
	v_mov_b32_e32 v6, 0
	v_mov_b32_e32 v7, 0
	;; [unrolled: 1-line block ×4, first 2 shown]
	s_waitcnt vmcnt(0)
	v_mov_b32_e32 v2, 0
	v_mov_b32_e32 v3, 0
	;; [unrolled: 1-line block ×4, first 2 shown]
	s_barrier
	s_and_saveexec_b64 s[2:3], vcc
	s_cbranch_execz .LBB853_22
; %bb.21:
	s_mul_hi_i32 s5, s18, s6
	s_mul_i32 s4, s18, s6
	s_and_b32 s9, s9, 0xffff
	s_lshl_b64 s[4:5], s[4:5], 1
	s_add_u32 s20, s24, s4
	s_mov_b32 s11, 0x20000
	s_addc_u32 s4, s25, s5
	s_and_b32 s21, s4, 0xffff
	s_mov_b32 s22, s10
	s_mov_b32 s23, s11
	buffer_load_dwordx4 v[14:17], v1, s[20:23], 0 offen
	buffer_load_dwordx4 v[10:13], v1, s[20:23], 16 offen
	;; [unrolled: 1-line block ×4, first 2 shown]
.LBB853_22:
	s_or_b64 exec, exec, s[2:3]
	v_mov_b32_e32 v19, 0
	v_mov_b32_e32 v32, 0
	;; [unrolled: 1-line block ×15, first 2 shown]
	s_and_saveexec_b64 s[2:3], vcc
	s_cbranch_execz .LBB853_24
; %bb.23:
	s_waitcnt vmcnt(3)
	v_cvt_f32_f16_sdwa v19, v14 dst_sel:DWORD dst_unused:UNUSED_PAD src0_sel:WORD_1
	v_cvt_f32_f16_e32 v18, v14
	v_cvt_f32_f16_sdwa v33, v15 dst_sel:DWORD dst_unused:UNUSED_PAD src0_sel:WORD_1
	v_cvt_f32_f16_e32 v32, v15
	;; [unrolled: 2-line block ×4, first 2 shown]
	s_waitcnt vmcnt(2)
	v_cvt_f32_f16_sdwa v27, v10 dst_sel:DWORD dst_unused:UNUSED_PAD src0_sel:WORD_1
	v_cvt_f32_f16_e32 v26, v10
	v_cvt_f32_f16_sdwa v25, v11 dst_sel:DWORD dst_unused:UNUSED_PAD src0_sel:WORD_1
	v_cvt_f32_f16_e32 v24, v11
	;; [unrolled: 2-line block ×4, first 2 shown]
.LBB853_24:
	s_or_b64 exec, exec, s[2:3]
	s_waitcnt vmcnt(2)
	v_mul_f32_e32 v10, v19, v19
	v_fmac_f32_e32 v10, v18, v18
	v_fmac_f32_e32 v10, v32, v32
	;; [unrolled: 1-line block ×15, first 2 shown]
	s_nop 1
	v_mov_b32_dpp v11, v10 quad_perm:[1,0,3,2] row_mask:0xf bank_mask:0xf
	v_add_f32_e32 v10, v10, v11
	s_nop 1
	v_mov_b32_dpp v11, v10 quad_perm:[2,3,0,1] row_mask:0xf bank_mask:0xf
	v_add_f32_e32 v10, v10, v11
	s_nop 1
	v_mov_b32_dpp v11, v10 row_half_mirror row_mask:0xf bank_mask:0xf
	v_add_f32_e32 v10, v10, v11
	s_nop 1
	v_mov_b32_dpp v11, v10 row_mirror row_mask:0xf bank_mask:0xf
	v_add_f32_e32 v10, v10, v11
	s_nop 1
	v_mov_b32_dpp v11, v10 row_bcast:15 row_mask:0xf bank_mask:0xf
	v_add_f32_e32 v10, v10, v11
	s_nop 1
	v_mov_b32_dpp v11, v10 row_bcast:31 row_mask:0xf bank_mask:0xf
	s_and_saveexec_b64 s[2:3], s[0:1]
	s_cbranch_execz .LBB853_26
; %bb.25:
	v_lshrrev_b32_e32 v0, 4, v0
	v_add_f32_e32 v10, v10, v11
	v_and_b32_e32 v0, 60, v0
	ds_write_b32 v0, v10
.LBB853_26:
	s_or_b64 exec, exec, s[2:3]
	s_waitcnt lgkmcnt(0)
	s_barrier
	ds_read_b32 v0, v34
	s_waitcnt lgkmcnt(0)
	s_nop 0
	v_mov_b32_dpp v10, v0 quad_perm:[1,0,3,2] row_mask:0xf bank_mask:0xf
	v_add_f32_e32 v0, v0, v10
	s_nop 1
	v_mov_b32_dpp v10, v0 quad_perm:[2,3,0,1] row_mask:0xf bank_mask:0xf
	s_and_saveexec_b64 s[0:1], vcc
	s_cbranch_execz .LBB853_12
; %bb.27:
	v_cvt_f32_u32_e32 v11, s16
	v_add_f32_e32 v0, v0, v10
	s_mov_b32 s11, 0x20000
	v_div_scale_f32 v10, s[0:1], v11, v11, v0
	v_rcp_f32_e32 v12, v10
	v_div_scale_f32 v13, vcc, v0, v11, v0
	s_mov_b32 s0, 0x800000
	v_fma_f32 v14, -v10, v12, 1.0
	v_fmac_f32_e32 v12, v14, v12
	v_mul_f32_e32 v14, v13, v12
	v_fma_f32 v15, -v10, v14, v13
	v_fmac_f32_e32 v14, v15, v12
	v_fma_f32 v10, -v10, v14, v13
	v_div_fmas_f32 v10, v10, v12, v14
	v_div_fixup_f32 v0, v10, v11, v0
	v_add_f32_e32 v0, s13, v0
	v_mul_f32_e32 v10, 0x4b800000, v0
	v_cmp_gt_f32_e32 vcc, s0, v0
	v_cndmask_b32_e32 v0, v0, v10, vcc
	v_rsq_f32_e32 v0, v0
	s_mul_hi_i32 s1, s27, s6
	s_mul_i32 s0, s27, s6
	s_lshl_b64 s[0:1], s[0:1], 1
	v_mul_f32_e32 v10, 0x45800000, v0
	v_cndmask_b32_e32 v10, v0, v10, vcc
	v_mov_b32_e32 v11, v10
	;;#ASMSTART
	v_pk_mul_f32 v[12:13], v[18:19], v[10:11]
	;;#ASMEND
	;;#ASMSTART
	v_pk_mul_f32 v[14:15], v[32:33], v[10:11]
	;;#ASMEND
	;; [unrolled: 3-line block ×8, first 2 shown]
	s_waitcnt vmcnt(1)
	v_cvt_f32_f16_sdwa v21, v6 dst_sel:DWORD dst_unused:UNUSED_PAD src0_sel:WORD_1
	v_cvt_f32_f16_e32 v20, v6
	v_cvt_f32_f16_sdwa v29, v7 dst_sel:DWORD dst_unused:UNUSED_PAD src0_sel:WORD_1
	v_cvt_f32_f16_e32 v28, v7
	;; [unrolled: 2-line block ×4, first 2 shown]
	;;#ASMSTART
	v_pk_mul_f32 v[8:9], v[12:13], v[20:21]
	;;#ASMEND
	;;#ASMSTART
	v_pk_mul_f32 v[12:13], v[14:15], v[28:29]
	;;#ASMEND
	;; [unrolled: 3-line block ×4, first 2 shown]
	s_waitcnt vmcnt(0)
	v_cvt_f32_f16_sdwa v17, v2 dst_sel:DWORD dst_unused:UNUSED_PAD src0_sel:WORD_1
	v_cvt_f32_f16_e32 v16, v2
	v_cvt_f32_f16_sdwa v19, v3 dst_sel:DWORD dst_unused:UNUSED_PAD src0_sel:WORD_1
	v_cvt_f32_f16_e32 v18, v3
	;; [unrolled: 2-line block ×4, first 2 shown]
	;;#ASMSTART
	v_pk_mul_f32 v[16:17], v[26:27], v[16:17]
	;;#ASMEND
	;;#ASMSTART
	v_pk_mul_f32 v[18:19], v[24:25], v[18:19]
	;;#ASMEND
	;; [unrolled: 3-line block ×3, first 2 shown]
	v_cvt_f16_f32_e32 v0, v8
	v_cvt_f16_f32_e32 v2, v9
	;; [unrolled: 1-line block ×8, first 2 shown]
	s_add_u32 s8, s14, s0
	s_addc_u32 s0, s15, s1
	s_and_b32 s9, s0, 0xffff
	v_pack_b32_f16 v2, v0, v2
	v_pack_b32_f16 v3, v3, v4
	;; [unrolled: 1-line block ×4, first 2 shown]
	;;#ASMSTART
	v_pk_mul_f32 v[10:11], v[10:11], v[20:21]
	;;#ASMEND
	buffer_store_dwordx4 v[2:5], v1, s[8:11], 0 offen
	v_cvt_f16_f32_e32 v0, v16
	v_cvt_f16_f32_e32 v2, v17
	;; [unrolled: 1-line block ×8, first 2 shown]
	v_pack_b32_f16 v2, v0, v2
	v_pack_b32_f16 v3, v3, v4
	;; [unrolled: 1-line block ×4, first 2 shown]
	;;#ASMSTART
	s_nop 0
	;;#ASMEND
	buffer_store_dwordx4 v[2:5], v1, s[8:11], 16 offen
	;;#ASMSTART
	s_nop 0
	;;#ASMEND
	s_endpgm
	.section	.rodata,"a",@progbits
	.p2align	6, 0x0
	.amdhsa_kernel _ZN5aiter35fused_qk_rmsnorm_group_quant_kernelIDF16_DB8_Li256ELi16ELi2ELb0ELb1ELb0ELb1ELb0ELb0EEEvPT0_PvPT_S6_S6_PKS5_S8_S8_S8_S8_ffiiiiiiiiiiiii
		.amdhsa_group_segment_fixed_size 32
		.amdhsa_private_segment_fixed_size 0
		.amdhsa_kernarg_size 400
		.amdhsa_user_sgpr_count 6
		.amdhsa_user_sgpr_private_segment_buffer 1
		.amdhsa_user_sgpr_dispatch_ptr 0
		.amdhsa_user_sgpr_queue_ptr 0
		.amdhsa_user_sgpr_kernarg_segment_ptr 1
		.amdhsa_user_sgpr_dispatch_id 0
		.amdhsa_user_sgpr_flat_scratch_init 0
		.amdhsa_user_sgpr_kernarg_preload_length 0
		.amdhsa_user_sgpr_kernarg_preload_offset 0
		.amdhsa_user_sgpr_private_segment_size 0
		.amdhsa_uses_dynamic_stack 0
		.amdhsa_system_sgpr_private_segment_wavefront_offset 0
		.amdhsa_system_sgpr_workgroup_id_x 1
		.amdhsa_system_sgpr_workgroup_id_y 1
		.amdhsa_system_sgpr_workgroup_id_z 0
		.amdhsa_system_sgpr_workgroup_info 0
		.amdhsa_system_vgpr_workitem_id 0
		.amdhsa_next_free_vgpr 35
		.amdhsa_next_free_sgpr 32
		.amdhsa_accum_offset 36
		.amdhsa_reserve_vcc 1
		.amdhsa_reserve_flat_scratch 0
		.amdhsa_float_round_mode_32 0
		.amdhsa_float_round_mode_16_64 0
		.amdhsa_float_denorm_mode_32 3
		.amdhsa_float_denorm_mode_16_64 3
		.amdhsa_dx10_clamp 1
		.amdhsa_ieee_mode 1
		.amdhsa_fp16_overflow 0
		.amdhsa_tg_split 0
		.amdhsa_exception_fp_ieee_invalid_op 0
		.amdhsa_exception_fp_denorm_src 0
		.amdhsa_exception_fp_ieee_div_zero 0
		.amdhsa_exception_fp_ieee_overflow 0
		.amdhsa_exception_fp_ieee_underflow 0
		.amdhsa_exception_fp_ieee_inexact 0
		.amdhsa_exception_int_div_zero 0
	.end_amdhsa_kernel
	.section	.text._ZN5aiter35fused_qk_rmsnorm_group_quant_kernelIDF16_DB8_Li256ELi16ELi2ELb0ELb1ELb0ELb1ELb0ELb0EEEvPT0_PvPT_S6_S6_PKS5_S8_S8_S8_S8_ffiiiiiiiiiiiii,"axG",@progbits,_ZN5aiter35fused_qk_rmsnorm_group_quant_kernelIDF16_DB8_Li256ELi16ELi2ELb0ELb1ELb0ELb1ELb0ELb0EEEvPT0_PvPT_S6_S6_PKS5_S8_S8_S8_S8_ffiiiiiiiiiiiii,comdat
.Lfunc_end853:
	.size	_ZN5aiter35fused_qk_rmsnorm_group_quant_kernelIDF16_DB8_Li256ELi16ELi2ELb0ELb1ELb0ELb1ELb0ELb0EEEvPT0_PvPT_S6_S6_PKS5_S8_S8_S8_S8_ffiiiiiiiiiiiii, .Lfunc_end853-_ZN5aiter35fused_qk_rmsnorm_group_quant_kernelIDF16_DB8_Li256ELi16ELi2ELb0ELb1ELb0ELb1ELb0ELb0EEEvPT0_PvPT_S6_S6_PKS5_S8_S8_S8_S8_ffiiiiiiiiiiiii
                                        ; -- End function
	.section	.AMDGPU.csdata,"",@progbits
; Kernel info:
; codeLenInByte = 2840
; NumSgprs: 36
; NumVgprs: 35
; NumAgprs: 0
; TotalNumVgprs: 35
; ScratchSize: 0
; MemoryBound: 0
; FloatMode: 240
; IeeeMode: 1
; LDSByteSize: 32 bytes/workgroup (compile time only)
; SGPRBlocks: 4
; VGPRBlocks: 4
; NumSGPRsForWavesPerEU: 36
; NumVGPRsForWavesPerEU: 35
; AccumOffset: 36
; Occupancy: 8
; WaveLimiterHint : 0
; COMPUTE_PGM_RSRC2:SCRATCH_EN: 0
; COMPUTE_PGM_RSRC2:USER_SGPR: 6
; COMPUTE_PGM_RSRC2:TRAP_HANDLER: 0
; COMPUTE_PGM_RSRC2:TGID_X_EN: 1
; COMPUTE_PGM_RSRC2:TGID_Y_EN: 1
; COMPUTE_PGM_RSRC2:TGID_Z_EN: 0
; COMPUTE_PGM_RSRC2:TIDIG_COMP_CNT: 0
; COMPUTE_PGM_RSRC3_GFX90A:ACCUM_OFFSET: 8
; COMPUTE_PGM_RSRC3_GFX90A:TG_SPLIT: 0
	.section	.text._ZN5aiter35fused_qk_rmsnorm_group_quant_kernelItDB8_Li256ELi16ELi2ELb0ELb1ELb0ELb1ELb0ELb0EEEvPT0_PvPT_S6_S6_PKS5_S8_S8_S8_S8_ffiiiiiiiiiiiii,"axG",@progbits,_ZN5aiter35fused_qk_rmsnorm_group_quant_kernelItDB8_Li256ELi16ELi2ELb0ELb1ELb0ELb1ELb0ELb0EEEvPT0_PvPT_S6_S6_PKS5_S8_S8_S8_S8_ffiiiiiiiiiiiii,comdat
	.protected	_ZN5aiter35fused_qk_rmsnorm_group_quant_kernelItDB8_Li256ELi16ELi2ELb0ELb1ELb0ELb1ELb0ELb0EEEvPT0_PvPT_S6_S6_PKS5_S8_S8_S8_S8_ffiiiiiiiiiiiii ; -- Begin function _ZN5aiter35fused_qk_rmsnorm_group_quant_kernelItDB8_Li256ELi16ELi2ELb0ELb1ELb0ELb1ELb0ELb0EEEvPT0_PvPT_S6_S6_PKS5_S8_S8_S8_S8_ffiiiiiiiiiiiii
	.globl	_ZN5aiter35fused_qk_rmsnorm_group_quant_kernelItDB8_Li256ELi16ELi2ELb0ELb1ELb0ELb1ELb0ELb0EEEvPT0_PvPT_S6_S6_PKS5_S8_S8_S8_S8_ffiiiiiiiiiiiii
	.p2align	8
	.type	_ZN5aiter35fused_qk_rmsnorm_group_quant_kernelItDB8_Li256ELi16ELi2ELb0ELb1ELb0ELb1ELb0ELb0EEEvPT0_PvPT_S6_S6_PKS5_S8_S8_S8_S8_ffiiiiiiiiiiiii,@function
_ZN5aiter35fused_qk_rmsnorm_group_quant_kernelItDB8_Li256ELi16ELi2ELb0ELb1ELb0ELb1ELb0ELb0EEEvPT0_PvPT_S6_S6_PKS5_S8_S8_S8_S8_ffiiiiiiiiiiiii: ; @_ZN5aiter35fused_qk_rmsnorm_group_quant_kernelItDB8_Li256ELi16ELi2ELb0ELb1ELb0ELb1ELb0ELb0EEEvPT0_PvPT_S6_S6_PKS5_S8_S8_S8_S8_ffiiiiiiiiiiiii
; %bb.0:
	s_load_dwordx4 s[12:15], s[4:5], 0x50
	s_waitcnt lgkmcnt(0)
	s_cmp_ge_i32 s6, s14
	s_cbranch_scc1 .LBB854_12
; %bb.1:
	s_load_dwordx2 s[24:25], s[4:5], 0x30
	s_load_dwordx2 s[8:9], s[4:5], 0x48
	s_load_dwordx4 s[16:19], s[4:5], 0x60
	s_cmp_lg_u32 s7, 0
	s_cselect_b64 s[10:11], -1, 0
	s_cmp_eq_u32 s7, 0
	s_cselect_b64 vcc, -1, 0
	s_and_b64 s[0:1], vcc, exec
	s_waitcnt lgkmcnt(0)
	s_cselect_b32 s7, s15, s16
	s_add_i32 s0, s7, 1
	s_lshr_b32 s1, s0, 31
	s_add_i32 s0, s0, s1
	s_lshl_b32 s0, s0, 1
	v_lshlrev_b32_e32 v1, 4, v0
	s_and_b32 s22, s0, -4
	v_cmp_gt_i32_e64 s[2:3], s7, v1
	v_mov_b32_e32 v18, 0
	v_mov_b32_e32 v6, 0
	;; [unrolled: 1-line block ×17, first 2 shown]
	s_and_saveexec_b64 s[0:1], s[2:3]
	s_cbranch_execz .LBB854_3
; %bb.2:
	s_load_dwordx2 s[14:15], s[4:5], 0x28
	s_load_dwordx2 s[20:21], s[4:5], 0x40
	s_and_b64 s[26:27], vcc, exec
	s_cselect_b32 s17, s17, s18
	s_mov_b32 s30, s22
	s_waitcnt lgkmcnt(0)
	s_cselect_b32 s19, s15, s25
	s_cselect_b32 s23, s14, s24
	s_mul_hi_i32 s15, s17, s6
	s_mul_i32 s14, s17, s6
	s_lshl_b64 s[14:15], s[14:15], 1
	s_add_u32 s28, s23, s14
	s_addc_u32 s17, s19, s15
	s_and_b64 s[14:15], vcc, exec
	s_mov_b32 s23, 0x20000
	s_cselect_b32 s20, s20, s8
	s_cselect_b32 s14, s21, s9
	s_and_b32 s29, s17, 0xffff
	s_mov_b32 s31, s23
	v_lshlrev_b32_e32 v19, 5, v0
	s_and_b32 s21, s14, 0xffff
	buffer_load_dwordx4 v[14:17], v19, s[28:31], 0 offen
	buffer_load_dwordx4 v[10:13], v19, s[28:31], 16 offen
	;; [unrolled: 1-line block ×4, first 2 shown]
.LBB854_3:
	s_or_b64 exec, exec, s[0:1]
	v_mov_b32_e32 v19, 0
	v_mov_b32_e32 v20, 0
	;; [unrolled: 1-line block ×15, first 2 shown]
	s_and_saveexec_b64 s[0:1], s[2:3]
	s_cbranch_execz .LBB854_5
; %bb.4:
	s_waitcnt vmcnt(3)
	v_cvt_f32_u32_sdwa v18, v14 dst_sel:DWORD dst_unused:UNUSED_PAD src0_sel:WORD_0
	v_cvt_f32_u32_sdwa v19, v14 dst_sel:DWORD dst_unused:UNUSED_PAD src0_sel:WORD_1
	v_cvt_f32_u32_sdwa v20, v15 dst_sel:DWORD dst_unused:UNUSED_PAD src0_sel:WORD_0
	v_cvt_f32_u32_sdwa v21, v15 dst_sel:DWORD dst_unused:UNUSED_PAD src0_sel:WORD_1
	v_cvt_f32_u32_sdwa v22, v16 dst_sel:DWORD dst_unused:UNUSED_PAD src0_sel:WORD_0
	v_cvt_f32_u32_sdwa v23, v16 dst_sel:DWORD dst_unused:UNUSED_PAD src0_sel:WORD_1
	v_cvt_f32_u32_sdwa v24, v17 dst_sel:DWORD dst_unused:UNUSED_PAD src0_sel:WORD_0
	v_cvt_f32_u32_sdwa v25, v17 dst_sel:DWORD dst_unused:UNUSED_PAD src0_sel:WORD_1
	s_waitcnt vmcnt(2)
	v_cvt_f32_u32_sdwa v26, v10 dst_sel:DWORD dst_unused:UNUSED_PAD src0_sel:WORD_0
	v_cvt_f32_u32_sdwa v27, v10 dst_sel:DWORD dst_unused:UNUSED_PAD src0_sel:WORD_1
	v_cvt_f32_u32_sdwa v28, v11 dst_sel:DWORD dst_unused:UNUSED_PAD src0_sel:WORD_0
	v_cvt_f32_u32_sdwa v29, v11 dst_sel:DWORD dst_unused:UNUSED_PAD src0_sel:WORD_1
	;; [unrolled: 2-line block ×4, first 2 shown]
.LBB854_5:
	s_or_b64 exec, exec, s[0:1]
	s_waitcnt vmcnt(2)
	v_mul_f32_e32 v10, v19, v19
	v_fmac_f32_e32 v10, v18, v18
	v_fmac_f32_e32 v10, v20, v20
	v_fmac_f32_e32 v10, v21, v21
	v_fmac_f32_e32 v10, v22, v22
	v_fmac_f32_e32 v10, v23, v23
	v_fmac_f32_e32 v10, v24, v24
	v_fmac_f32_e32 v10, v25, v25
	v_fmac_f32_e32 v10, v26, v26
	v_fmac_f32_e32 v10, v27, v27
	v_fmac_f32_e32 v10, v28, v28
	v_fmac_f32_e32 v10, v29, v29
	v_fmac_f32_e32 v10, v30, v30
	v_fmac_f32_e32 v10, v31, v31
	v_fmac_f32_e32 v10, v32, v32
	v_fmac_f32_e32 v10, v33, v33
	v_and_b32_e32 v12, 63, v0
	v_cmp_eq_u32_e64 s[0:1], 63, v12
	v_mov_b32_dpp v11, v10 quad_perm:[1,0,3,2] row_mask:0xf bank_mask:0xf
	v_add_f32_e32 v10, v10, v11
	s_nop 1
	v_mov_b32_dpp v11, v10 quad_perm:[2,3,0,1] row_mask:0xf bank_mask:0xf
	v_add_f32_e32 v10, v10, v11
	s_nop 1
	v_mov_b32_dpp v11, v10 row_half_mirror row_mask:0xf bank_mask:0xf
	v_add_f32_e32 v10, v10, v11
	s_nop 1
	v_mov_b32_dpp v11, v10 row_mirror row_mask:0xf bank_mask:0xf
	v_add_f32_e32 v10, v10, v11
	s_nop 1
	v_mov_b32_dpp v11, v10 row_bcast:15 row_mask:0xf bank_mask:0xf
	v_add_f32_e32 v10, v10, v11
	s_nop 1
	v_mov_b32_dpp v11, v10 row_bcast:31 row_mask:0xf bank_mask:0xf
	s_and_saveexec_b64 s[14:15], s[0:1]
	s_cbranch_execz .LBB854_7
; %bb.6:
	v_add_f32_e32 v10, v10, v11
	v_lshrrev_b32_e32 v11, 4, v0
	v_and_b32_e32 v11, 60, v11
	ds_write_b32 v11, v10 offset:16
.LBB854_7:
	s_or_b64 exec, exec, s[14:15]
	v_and_b32_e32 v10, 3, v0
	v_lshlrev_b32_e32 v34, 2, v10
	s_waitcnt lgkmcnt(0)
	s_barrier
	ds_read_b32 v10, v34 offset:16
	s_load_dwordx2 s[14:15], s[4:5], 0x18
	s_waitcnt lgkmcnt(0)
	v_mov_b32_dpp v11, v10 quad_perm:[1,0,3,2] row_mask:0xf bank_mask:0xf
	v_add_f32_e32 v10, v10, v11
	s_nop 1
	v_mov_b32_dpp v11, v10 quad_perm:[2,3,0,1] row_mask:0xf bank_mask:0xf
	s_and_saveexec_b64 s[20:21], s[2:3]
	s_cbranch_execz .LBB854_9
; %bb.8:
	v_cvt_f32_u32_e32 v12, s7
	v_add_f32_e32 v10, v10, v11
	v_mov_b32_e32 v14, s13
	v_mov_b32_e32 v15, s12
	v_div_scale_f32 v11, s[26:27], v12, v12, v10
	v_rcp_f32_e32 v13, v11
	v_cndmask_b32_e32 v14, v14, v15, vcc
	s_mov_b32 s7, 0x800000
	v_fma_f32 v15, -v11, v13, 1.0
	v_fmac_f32_e32 v13, v15, v13
	v_div_scale_f32 v15, vcc, v10, v12, v10
	v_mul_f32_e32 v16, v15, v13
	v_fma_f32 v17, -v11, v16, v15
	v_fmac_f32_e32 v16, v17, v13
	v_fma_f32 v11, -v11, v16, v15
	v_div_fmas_f32 v11, v11, v13, v16
	v_div_fixup_f32 v10, v11, v12, v10
	v_add_f32_e32 v10, v14, v10
	v_mul_f32_e32 v11, 0x4b800000, v10
	v_cmp_gt_f32_e32 vcc, s7, v10
	v_cndmask_b32_e32 v10, v10, v11, vcc
	v_rsq_f32_e32 v10, v10
	v_mul_f32_e32 v11, 0x45800000, v10
	v_cndmask_b32_e32 v10, v10, v11, vcc
	v_mov_b32_e32 v11, v10
	;;#ASMSTART
	v_pk_mul_f32 v[12:13], v[18:19], v[10:11]
	;;#ASMEND
	;;#ASMSTART
	v_pk_mul_f32 v[14:15], v[20:21], v[10:11]
	;;#ASMEND
	;; [unrolled: 3-line block ×8, first 2 shown]
	s_waitcnt vmcnt(1)
	v_cvt_f32_u32_sdwa v19, v6 dst_sel:DWORD dst_unused:UNUSED_PAD src0_sel:WORD_1
	v_cvt_f32_u32_sdwa v18, v6 dst_sel:DWORD dst_unused:UNUSED_PAD src0_sel:WORD_0
	v_cvt_f32_u32_sdwa v21, v7 dst_sel:DWORD dst_unused:UNUSED_PAD src0_sel:WORD_1
	v_cvt_f32_u32_sdwa v20, v7 dst_sel:DWORD dst_unused:UNUSED_PAD src0_sel:WORD_0
	;; [unrolled: 2-line block ×4, first 2 shown]
	;;#ASMSTART
	v_pk_mul_f32 v[18:19], v[12:13], v[18:19]
	;;#ASMEND
	;;#ASMSTART
	v_pk_mul_f32 v[20:21], v[14:15], v[20:21]
	;;#ASMEND
	;; [unrolled: 3-line block ×4, first 2 shown]
	s_waitcnt vmcnt(0)
	v_cvt_f32_u32_sdwa v7, v2 dst_sel:DWORD dst_unused:UNUSED_PAD src0_sel:WORD_1
	v_cvt_f32_u32_sdwa v6, v2 dst_sel:DWORD dst_unused:UNUSED_PAD src0_sel:WORD_0
	v_cvt_f32_u32_sdwa v9, v3 dst_sel:DWORD dst_unused:UNUSED_PAD src0_sel:WORD_1
	v_cvt_f32_u32_sdwa v8, v3 dst_sel:DWORD dst_unused:UNUSED_PAD src0_sel:WORD_0
	v_cvt_f32_u32_sdwa v3, v4 dst_sel:DWORD dst_unused:UNUSED_PAD src0_sel:WORD_1
	v_cvt_f32_u32_sdwa v2, v4 dst_sel:DWORD dst_unused:UNUSED_PAD src0_sel:WORD_0
	v_cvt_f32_u32_sdwa v13, v5 dst_sel:DWORD dst_unused:UNUSED_PAD src0_sel:WORD_1
	v_cvt_f32_u32_sdwa v12, v5 dst_sel:DWORD dst_unused:UNUSED_PAD src0_sel:WORD_0
	;;#ASMSTART
	v_pk_mul_f32 v[26:27], v[26:27], v[6:7]
	;;#ASMEND
	;;#ASMSTART
	v_pk_mul_f32 v[28:29], v[28:29], v[8:9]
	;;#ASMEND
	;;#ASMSTART
	v_pk_mul_f32 v[30:31], v[30:31], v[2:3]
	;;#ASMEND
	;;#ASMSTART
	v_pk_mul_f32 v[32:33], v[10:11], v[12:13]
	;;#ASMEND
.LBB854_9:
	s_or_b64 exec, exec, s[20:21]
	s_load_dwordx2 s[26:27], s[4:5], 0x7c
	s_mov_b64 s[20:21], -1
	s_and_b64 vcc, exec, s[10:11]
	s_cbranch_vccnz .LBB854_13
; %bb.10:
	s_andn2_b64 vcc, exec, s[20:21]
	s_cbranch_vccz .LBB854_16
.LBB854_11:
	s_cmp_lt_i32 s16, 1
	s_cbranch_scc0 .LBB854_19
.LBB854_12:
	s_endpgm
.LBB854_13:
	s_and_saveexec_b64 s[10:11], s[2:3]
	s_cbranch_execz .LBB854_15
; %bb.14:
	s_waitcnt lgkmcnt(0)
	s_mul_hi_i32 s21, s27, s6
	s_mul_i32 s20, s27, s6
	s_lshl_b64 s[20:21], s[20:21], 1
	s_add_u32 s20, s14, s20
	s_addc_u32 s7, s15, s21
	s_and_b32 s21, s7, 0xffff
	s_mov_b32 s7, 0x7060302
	s_mov_b32 s23, 0x20000
	s_waitcnt vmcnt(0)
	v_perm_b32 v5, v25, v24, s7
	v_perm_b32 v4, v23, v22, s7
	;; [unrolled: 1-line block ×4, first 2 shown]
	v_lshlrev_b32_e32 v6, 5, v0
	buffer_store_dwordx4 v[2:5], v6, s[20:23], 0 offen
	;;#ASMSTART
	s_nop 0
	;;#ASMEND
	s_nop 0
	v_perm_b32 v5, v33, v32, s7
	v_perm_b32 v4, v31, v30, s7
	;; [unrolled: 1-line block ×4, first 2 shown]
	buffer_store_dwordx4 v[2:5], v6, s[20:23], 16 offen
	;;#ASMSTART
	s_nop 0
	;;#ASMEND
.LBB854_15:
	s_or_b64 exec, exec, s[10:11]
	s_cbranch_execnz .LBB854_11
.LBB854_16:
	s_and_saveexec_b64 s[10:11], s[2:3]
	s_cbranch_execz .LBB854_18
; %bb.17:
	s_load_dwordx2 s[2:3], s[4:5], 0x10
	s_waitcnt lgkmcnt(0)
	s_mul_hi_i32 s21, s26, s6
	s_mul_i32 s20, s26, s6
	s_lshl_b64 s[20:21], s[20:21], 1
	s_mov_b32 s23, 0x20000
	s_add_u32 s20, s2, s20
	s_addc_u32 s2, s3, s21
	s_and_b32 s21, s2, 0xffff
	s_mov_b32 s2, 0x7060302
	s_waitcnt vmcnt(0)
	v_perm_b32 v5, v25, v24, s2
	v_perm_b32 v4, v23, v22, s2
	;; [unrolled: 1-line block ×4, first 2 shown]
	v_lshlrev_b32_e32 v6, 5, v0
	buffer_store_dwordx4 v[2:5], v6, s[20:23], 0 offen
	;;#ASMSTART
	s_nop 0
	;;#ASMEND
	s_nop 0
	v_perm_b32 v5, v33, v32, s2
	v_perm_b32 v4, v31, v30, s2
	;; [unrolled: 1-line block ×4, first 2 shown]
	buffer_store_dwordx4 v[2:5], v6, s[20:23], 16 offen
	;;#ASMSTART
	s_nop 0
	;;#ASMEND
.LBB854_18:
	s_or_b64 exec, exec, s[10:11]
	s_cmp_lt_i32 s16, 1
	s_cbranch_scc1 .LBB854_12
.LBB854_19:
	s_load_dword s2, s[4:5], 0x94
	s_waitcnt lgkmcnt(0)
	s_cmp_lg_u32 s2, 1
	s_cbranch_scc1 .LBB854_12
; %bb.20:
	s_lshl_b32 s2, s16, 1
	s_add_i32 s2, s2, 2
	v_cmp_gt_u32_e32 vcc, s16, v1
	s_and_b32 s10, s2, -4
	v_mov_b32_e32 v18, 0
	v_lshlrev_b32_e32 v1, 5, v0
	v_mov_b32_e32 v14, 0
	v_mov_b32_e32 v15, 0
	;; [unrolled: 1-line block ×8, first 2 shown]
	s_waitcnt vmcnt(1)
	v_mov_b32_e32 v6, 0
	v_mov_b32_e32 v7, 0
	;; [unrolled: 1-line block ×4, first 2 shown]
	s_waitcnt vmcnt(0)
	v_mov_b32_e32 v2, 0
	v_mov_b32_e32 v3, 0
	;; [unrolled: 1-line block ×4, first 2 shown]
	s_barrier
	s_and_saveexec_b64 s[2:3], vcc
	s_cbranch_execz .LBB854_22
; %bb.21:
	s_mul_hi_i32 s5, s18, s6
	s_mul_i32 s4, s18, s6
	s_and_b32 s9, s9, 0xffff
	s_lshl_b64 s[4:5], s[4:5], 1
	s_add_u32 s20, s24, s4
	s_mov_b32 s11, 0x20000
	s_addc_u32 s4, s25, s5
	s_and_b32 s21, s4, 0xffff
	s_mov_b32 s22, s10
	s_mov_b32 s23, s11
	buffer_load_dwordx4 v[14:17], v1, s[20:23], 0 offen
	buffer_load_dwordx4 v[10:13], v1, s[20:23], 16 offen
	;; [unrolled: 1-line block ×4, first 2 shown]
.LBB854_22:
	s_or_b64 exec, exec, s[2:3]
	v_mov_b32_e32 v19, 0
	v_mov_b32_e32 v32, 0
	v_mov_b32_e32 v33, 0
	v_mov_b32_e32 v30, 0
	v_mov_b32_e32 v31, 0
	v_mov_b32_e32 v28, 0
	v_mov_b32_e32 v29, 0
	v_mov_b32_e32 v26, 0
	v_mov_b32_e32 v27, 0
	v_mov_b32_e32 v24, 0
	v_mov_b32_e32 v25, 0
	v_mov_b32_e32 v22, 0
	v_mov_b32_e32 v23, 0
	v_mov_b32_e32 v20, 0
	v_mov_b32_e32 v21, 0
	s_and_saveexec_b64 s[2:3], vcc
	s_cbranch_execz .LBB854_24
; %bb.23:
	s_waitcnt vmcnt(3)
	v_cvt_f32_u32_sdwa v18, v14 dst_sel:DWORD dst_unused:UNUSED_PAD src0_sel:WORD_0
	v_cvt_f32_u32_sdwa v19, v14 dst_sel:DWORD dst_unused:UNUSED_PAD src0_sel:WORD_1
	v_cvt_f32_u32_sdwa v32, v15 dst_sel:DWORD dst_unused:UNUSED_PAD src0_sel:WORD_0
	v_cvt_f32_u32_sdwa v33, v15 dst_sel:DWORD dst_unused:UNUSED_PAD src0_sel:WORD_1
	;; [unrolled: 2-line block ×4, first 2 shown]
	s_waitcnt vmcnt(2)
	v_cvt_f32_u32_sdwa v26, v10 dst_sel:DWORD dst_unused:UNUSED_PAD src0_sel:WORD_0
	v_cvt_f32_u32_sdwa v27, v10 dst_sel:DWORD dst_unused:UNUSED_PAD src0_sel:WORD_1
	v_cvt_f32_u32_sdwa v24, v11 dst_sel:DWORD dst_unused:UNUSED_PAD src0_sel:WORD_0
	v_cvt_f32_u32_sdwa v25, v11 dst_sel:DWORD dst_unused:UNUSED_PAD src0_sel:WORD_1
	;; [unrolled: 2-line block ×4, first 2 shown]
.LBB854_24:
	s_or_b64 exec, exec, s[2:3]
	s_waitcnt vmcnt(2)
	v_mul_f32_e32 v10, v19, v19
	v_fmac_f32_e32 v10, v18, v18
	v_fmac_f32_e32 v10, v32, v32
	;; [unrolled: 1-line block ×15, first 2 shown]
	s_nop 1
	v_mov_b32_dpp v11, v10 quad_perm:[1,0,3,2] row_mask:0xf bank_mask:0xf
	v_add_f32_e32 v10, v10, v11
	s_nop 1
	v_mov_b32_dpp v11, v10 quad_perm:[2,3,0,1] row_mask:0xf bank_mask:0xf
	v_add_f32_e32 v10, v10, v11
	s_nop 1
	v_mov_b32_dpp v11, v10 row_half_mirror row_mask:0xf bank_mask:0xf
	v_add_f32_e32 v10, v10, v11
	s_nop 1
	v_mov_b32_dpp v11, v10 row_mirror row_mask:0xf bank_mask:0xf
	v_add_f32_e32 v10, v10, v11
	s_nop 1
	v_mov_b32_dpp v11, v10 row_bcast:15 row_mask:0xf bank_mask:0xf
	v_add_f32_e32 v10, v10, v11
	s_nop 1
	v_mov_b32_dpp v11, v10 row_bcast:31 row_mask:0xf bank_mask:0xf
	s_and_saveexec_b64 s[2:3], s[0:1]
	s_cbranch_execz .LBB854_26
; %bb.25:
	v_lshrrev_b32_e32 v0, 4, v0
	v_add_f32_e32 v10, v10, v11
	v_and_b32_e32 v0, 60, v0
	ds_write_b32 v0, v10
.LBB854_26:
	s_or_b64 exec, exec, s[2:3]
	s_waitcnt lgkmcnt(0)
	s_barrier
	ds_read_b32 v0, v34
	s_waitcnt lgkmcnt(0)
	s_nop 0
	v_mov_b32_dpp v10, v0 quad_perm:[1,0,3,2] row_mask:0xf bank_mask:0xf
	v_add_f32_e32 v0, v0, v10
	s_nop 1
	v_mov_b32_dpp v10, v0 quad_perm:[2,3,0,1] row_mask:0xf bank_mask:0xf
	s_and_saveexec_b64 s[0:1], vcc
	s_cbranch_execz .LBB854_12
; %bb.27:
	v_cvt_f32_u32_e32 v11, s16
	v_add_f32_e32 v0, v0, v10
	s_mov_b32 s11, 0x20000
	v_div_scale_f32 v10, s[0:1], v11, v11, v0
	v_rcp_f32_e32 v12, v10
	v_div_scale_f32 v13, vcc, v0, v11, v0
	s_mov_b32 s0, 0x800000
	v_fma_f32 v14, -v10, v12, 1.0
	v_fmac_f32_e32 v12, v14, v12
	v_mul_f32_e32 v14, v13, v12
	v_fma_f32 v15, -v10, v14, v13
	v_fmac_f32_e32 v14, v15, v12
	v_fma_f32 v10, -v10, v14, v13
	v_div_fmas_f32 v10, v10, v12, v14
	v_div_fixup_f32 v0, v10, v11, v0
	v_add_f32_e32 v0, s13, v0
	v_mul_f32_e32 v10, 0x4b800000, v0
	v_cmp_gt_f32_e32 vcc, s0, v0
	v_cndmask_b32_e32 v0, v0, v10, vcc
	v_rsq_f32_e32 v0, v0
	s_mul_hi_i32 s1, s27, s6
	s_mul_i32 s0, s27, s6
	s_lshl_b64 s[0:1], s[0:1], 1
	v_mul_f32_e32 v10, 0x45800000, v0
	v_cndmask_b32_e32 v10, v0, v10, vcc
	v_mov_b32_e32 v11, v10
	s_add_u32 s8, s14, s0
	;;#ASMSTART
	v_pk_mul_f32 v[12:13], v[18:19], v[10:11]
	;;#ASMEND
	;;#ASMSTART
	v_pk_mul_f32 v[14:15], v[32:33], v[10:11]
	;;#ASMEND
	;; [unrolled: 3-line block ×8, first 2 shown]
	s_waitcnt vmcnt(1)
	v_cvt_f32_u32_sdwa v21, v6 dst_sel:DWORD dst_unused:UNUSED_PAD src0_sel:WORD_1
	v_cvt_f32_u32_sdwa v20, v6 dst_sel:DWORD dst_unused:UNUSED_PAD src0_sel:WORD_0
	v_cvt_f32_u32_sdwa v29, v7 dst_sel:DWORD dst_unused:UNUSED_PAD src0_sel:WORD_1
	v_cvt_f32_u32_sdwa v28, v7 dst_sel:DWORD dst_unused:UNUSED_PAD src0_sel:WORD_0
	;; [unrolled: 2-line block ×3, first 2 shown]
	s_addc_u32 s0, s15, s1
	v_cvt_f32_u32_sdwa v31, v9 dst_sel:DWORD dst_unused:UNUSED_PAD src0_sel:WORD_1
	v_cvt_f32_u32_sdwa v30, v9 dst_sel:DWORD dst_unused:UNUSED_PAD src0_sel:WORD_0
	;;#ASMSTART
	v_pk_mul_f32 v[8:9], v[12:13], v[20:21]
	;;#ASMEND
	;;#ASMSTART
	v_pk_mul_f32 v[12:13], v[14:15], v[28:29]
	;;#ASMEND
	;; [unrolled: 3-line block ×4, first 2 shown]
	s_waitcnt vmcnt(0)
	v_cvt_f32_u32_sdwa v17, v2 dst_sel:DWORD dst_unused:UNUSED_PAD src0_sel:WORD_1
	v_cvt_f32_u32_sdwa v16, v2 dst_sel:DWORD dst_unused:UNUSED_PAD src0_sel:WORD_0
	v_cvt_f32_u32_sdwa v19, v3 dst_sel:DWORD dst_unused:UNUSED_PAD src0_sel:WORD_1
	v_cvt_f32_u32_sdwa v18, v3 dst_sel:DWORD dst_unused:UNUSED_PAD src0_sel:WORD_0
	;; [unrolled: 2-line block ×3, first 2 shown]
	s_and_b32 s9, s0, 0xffff
	s_mov_b32 s0, 0x7060302
	v_cvt_f32_u32_sdwa v21, v5 dst_sel:DWORD dst_unused:UNUSED_PAD src0_sel:WORD_1
	v_cvt_f32_u32_sdwa v20, v5 dst_sel:DWORD dst_unused:UNUSED_PAD src0_sel:WORD_0
	;;#ASMSTART
	v_pk_mul_f32 v[16:17], v[26:27], v[16:17]
	;;#ASMEND
	;;#ASMSTART
	v_pk_mul_f32 v[18:19], v[24:25], v[18:19]
	;;#ASMEND
	;; [unrolled: 3-line block ×3, first 2 shown]
	v_perm_b32 v2, v9, v8, s0
	v_perm_b32 v3, v13, v12, s0
	;; [unrolled: 1-line block ×4, first 2 shown]
	;;#ASMSTART
	v_pk_mul_f32 v[10:11], v[10:11], v[20:21]
	;;#ASMEND
	buffer_store_dwordx4 v[2:5], v1, s[8:11], 0 offen
	;;#ASMSTART
	s_nop 0
	;;#ASMEND
	s_nop 0
	v_perm_b32 v2, v17, v16, s0
	v_perm_b32 v3, v19, v18, s0
	;; [unrolled: 1-line block ×4, first 2 shown]
	buffer_store_dwordx4 v[2:5], v1, s[8:11], 16 offen
	;;#ASMSTART
	s_nop 0
	;;#ASMEND
	s_endpgm
	.section	.rodata,"a",@progbits
	.p2align	6, 0x0
	.amdhsa_kernel _ZN5aiter35fused_qk_rmsnorm_group_quant_kernelItDB8_Li256ELi16ELi2ELb0ELb1ELb0ELb1ELb0ELb0EEEvPT0_PvPT_S6_S6_PKS5_S8_S8_S8_S8_ffiiiiiiiiiiiii
		.amdhsa_group_segment_fixed_size 32
		.amdhsa_private_segment_fixed_size 0
		.amdhsa_kernarg_size 400
		.amdhsa_user_sgpr_count 6
		.amdhsa_user_sgpr_private_segment_buffer 1
		.amdhsa_user_sgpr_dispatch_ptr 0
		.amdhsa_user_sgpr_queue_ptr 0
		.amdhsa_user_sgpr_kernarg_segment_ptr 1
		.amdhsa_user_sgpr_dispatch_id 0
		.amdhsa_user_sgpr_flat_scratch_init 0
		.amdhsa_user_sgpr_kernarg_preload_length 0
		.amdhsa_user_sgpr_kernarg_preload_offset 0
		.amdhsa_user_sgpr_private_segment_size 0
		.amdhsa_uses_dynamic_stack 0
		.amdhsa_system_sgpr_private_segment_wavefront_offset 0
		.amdhsa_system_sgpr_workgroup_id_x 1
		.amdhsa_system_sgpr_workgroup_id_y 1
		.amdhsa_system_sgpr_workgroup_id_z 0
		.amdhsa_system_sgpr_workgroup_info 0
		.amdhsa_system_vgpr_workitem_id 0
		.amdhsa_next_free_vgpr 35
		.amdhsa_next_free_sgpr 32
		.amdhsa_accum_offset 36
		.amdhsa_reserve_vcc 1
		.amdhsa_reserve_flat_scratch 0
		.amdhsa_float_round_mode_32 0
		.amdhsa_float_round_mode_16_64 0
		.amdhsa_float_denorm_mode_32 3
		.amdhsa_float_denorm_mode_16_64 3
		.amdhsa_dx10_clamp 1
		.amdhsa_ieee_mode 1
		.amdhsa_fp16_overflow 0
		.amdhsa_tg_split 0
		.amdhsa_exception_fp_ieee_invalid_op 0
		.amdhsa_exception_fp_denorm_src 0
		.amdhsa_exception_fp_ieee_div_zero 0
		.amdhsa_exception_fp_ieee_overflow 0
		.amdhsa_exception_fp_ieee_underflow 0
		.amdhsa_exception_fp_ieee_inexact 0
		.amdhsa_exception_int_div_zero 0
	.end_amdhsa_kernel
	.section	.text._ZN5aiter35fused_qk_rmsnorm_group_quant_kernelItDB8_Li256ELi16ELi2ELb0ELb1ELb0ELb1ELb0ELb0EEEvPT0_PvPT_S6_S6_PKS5_S8_S8_S8_S8_ffiiiiiiiiiiiii,"axG",@progbits,_ZN5aiter35fused_qk_rmsnorm_group_quant_kernelItDB8_Li256ELi16ELi2ELb0ELb1ELb0ELb1ELb0ELb0EEEvPT0_PvPT_S6_S6_PKS5_S8_S8_S8_S8_ffiiiiiiiiiiiii,comdat
.Lfunc_end854:
	.size	_ZN5aiter35fused_qk_rmsnorm_group_quant_kernelItDB8_Li256ELi16ELi2ELb0ELb1ELb0ELb1ELb0ELb0EEEvPT0_PvPT_S6_S6_PKS5_S8_S8_S8_S8_ffiiiiiiiiiiiii, .Lfunc_end854-_ZN5aiter35fused_qk_rmsnorm_group_quant_kernelItDB8_Li256ELi16ELi2ELb0ELb1ELb0ELb1ELb0ELb0EEEvPT0_PvPT_S6_S6_PKS5_S8_S8_S8_S8_ffiiiiiiiiiiiii
                                        ; -- End function
	.section	.AMDGPU.csdata,"",@progbits
; Kernel info:
; codeLenInByte = 2812
; NumSgprs: 36
; NumVgprs: 35
; NumAgprs: 0
; TotalNumVgprs: 35
; ScratchSize: 0
; MemoryBound: 0
; FloatMode: 240
; IeeeMode: 1
; LDSByteSize: 32 bytes/workgroup (compile time only)
; SGPRBlocks: 4
; VGPRBlocks: 4
; NumSGPRsForWavesPerEU: 36
; NumVGPRsForWavesPerEU: 35
; AccumOffset: 36
; Occupancy: 8
; WaveLimiterHint : 0
; COMPUTE_PGM_RSRC2:SCRATCH_EN: 0
; COMPUTE_PGM_RSRC2:USER_SGPR: 6
; COMPUTE_PGM_RSRC2:TRAP_HANDLER: 0
; COMPUTE_PGM_RSRC2:TGID_X_EN: 1
; COMPUTE_PGM_RSRC2:TGID_Y_EN: 1
; COMPUTE_PGM_RSRC2:TGID_Z_EN: 0
; COMPUTE_PGM_RSRC2:TIDIG_COMP_CNT: 0
; COMPUTE_PGM_RSRC3_GFX90A:ACCUM_OFFSET: 8
; COMPUTE_PGM_RSRC3_GFX90A:TG_SPLIT: 0
	.section	.text._ZN5aiter35fused_qk_rmsnorm_group_quant_kernelIDF16_N4opus5fp4_tELi256ELi16ELi2ELb0ELb1ELb0ELb1ELb0ELb0EEEvPT0_PvPT_S7_S7_PKS6_S9_S9_S9_S9_ffiiiiiiiiiiiii,"axG",@progbits,_ZN5aiter35fused_qk_rmsnorm_group_quant_kernelIDF16_N4opus5fp4_tELi256ELi16ELi2ELb0ELb1ELb0ELb1ELb0ELb0EEEvPT0_PvPT_S7_S7_PKS6_S9_S9_S9_S9_ffiiiiiiiiiiiii,comdat
	.protected	_ZN5aiter35fused_qk_rmsnorm_group_quant_kernelIDF16_N4opus5fp4_tELi256ELi16ELi2ELb0ELb1ELb0ELb1ELb0ELb0EEEvPT0_PvPT_S7_S7_PKS6_S9_S9_S9_S9_ffiiiiiiiiiiiii ; -- Begin function _ZN5aiter35fused_qk_rmsnorm_group_quant_kernelIDF16_N4opus5fp4_tELi256ELi16ELi2ELb0ELb1ELb0ELb1ELb0ELb0EEEvPT0_PvPT_S7_S7_PKS6_S9_S9_S9_S9_ffiiiiiiiiiiiii
	.globl	_ZN5aiter35fused_qk_rmsnorm_group_quant_kernelIDF16_N4opus5fp4_tELi256ELi16ELi2ELb0ELb1ELb0ELb1ELb0ELb0EEEvPT0_PvPT_S7_S7_PKS6_S9_S9_S9_S9_ffiiiiiiiiiiiii
	.p2align	8
	.type	_ZN5aiter35fused_qk_rmsnorm_group_quant_kernelIDF16_N4opus5fp4_tELi256ELi16ELi2ELb0ELb1ELb0ELb1ELb0ELb0EEEvPT0_PvPT_S7_S7_PKS6_S9_S9_S9_S9_ffiiiiiiiiiiiii,@function
_ZN5aiter35fused_qk_rmsnorm_group_quant_kernelIDF16_N4opus5fp4_tELi256ELi16ELi2ELb0ELb1ELb0ELb1ELb0ELb0EEEvPT0_PvPT_S7_S7_PKS6_S9_S9_S9_S9_ffiiiiiiiiiiiii: ; @_ZN5aiter35fused_qk_rmsnorm_group_quant_kernelIDF16_N4opus5fp4_tELi256ELi16ELi2ELb0ELb1ELb0ELb1ELb0ELb0EEEvPT0_PvPT_S7_S7_PKS6_S9_S9_S9_S9_ffiiiiiiiiiiiii
; %bb.0:
	s_load_dwordx4 s[12:15], s[4:5], 0x50
	s_waitcnt lgkmcnt(0)
	s_cmp_ge_i32 s6, s14
	s_cbranch_scc1 .LBB855_12
; %bb.1:
	s_load_dwordx2 s[24:25], s[4:5], 0x30
	s_load_dwordx2 s[8:9], s[4:5], 0x48
	s_load_dwordx4 s[16:19], s[4:5], 0x60
	s_cmp_lg_u32 s7, 0
	s_cselect_b64 s[10:11], -1, 0
	s_cmp_eq_u32 s7, 0
	s_cselect_b64 vcc, -1, 0
	s_and_b64 s[0:1], vcc, exec
	s_waitcnt lgkmcnt(0)
	s_cselect_b32 s7, s15, s16
	s_add_i32 s0, s7, 1
	s_lshr_b32 s1, s0, 31
	s_add_i32 s0, s0, s1
	s_lshl_b32 s0, s0, 1
	v_lshlrev_b32_e32 v1, 4, v0
	s_and_b32 s22, s0, -4
	v_cmp_gt_i32_e64 s[2:3], s7, v1
	v_mov_b32_e32 v18, 0
	v_mov_b32_e32 v6, 0
	;; [unrolled: 1-line block ×17, first 2 shown]
	s_and_saveexec_b64 s[0:1], s[2:3]
	s_cbranch_execz .LBB855_3
; %bb.2:
	s_load_dwordx2 s[14:15], s[4:5], 0x28
	s_load_dwordx2 s[20:21], s[4:5], 0x40
	s_and_b64 s[26:27], vcc, exec
	s_cselect_b32 s17, s17, s18
	s_mov_b32 s30, s22
	s_waitcnt lgkmcnt(0)
	s_cselect_b32 s19, s15, s25
	s_cselect_b32 s23, s14, s24
	s_mul_hi_i32 s15, s17, s6
	s_mul_i32 s14, s17, s6
	s_lshl_b64 s[14:15], s[14:15], 1
	s_add_u32 s28, s23, s14
	s_addc_u32 s17, s19, s15
	s_and_b64 s[14:15], vcc, exec
	s_mov_b32 s23, 0x20000
	s_cselect_b32 s20, s20, s8
	s_cselect_b32 s14, s21, s9
	s_and_b32 s29, s17, 0xffff
	s_mov_b32 s31, s23
	v_lshlrev_b32_e32 v19, 5, v0
	s_and_b32 s21, s14, 0xffff
	buffer_load_dwordx4 v[14:17], v19, s[28:31], 0 offen
	buffer_load_dwordx4 v[10:13], v19, s[28:31], 16 offen
	;; [unrolled: 1-line block ×4, first 2 shown]
.LBB855_3:
	s_or_b64 exec, exec, s[0:1]
	v_mov_b32_e32 v19, 0
	v_mov_b32_e32 v20, 0
	;; [unrolled: 1-line block ×15, first 2 shown]
	s_and_saveexec_b64 s[0:1], s[2:3]
	s_cbranch_execz .LBB855_5
; %bb.4:
	s_waitcnt vmcnt(3)
	v_cvt_f32_f16_sdwa v19, v14 dst_sel:DWORD dst_unused:UNUSED_PAD src0_sel:WORD_1
	v_cvt_f32_f16_e32 v18, v14
	v_cvt_f32_f16_sdwa v21, v15 dst_sel:DWORD dst_unused:UNUSED_PAD src0_sel:WORD_1
	v_cvt_f32_f16_e32 v20, v15
	v_cvt_f32_f16_sdwa v23, v16 dst_sel:DWORD dst_unused:UNUSED_PAD src0_sel:WORD_1
	v_cvt_f32_f16_e32 v22, v16
	v_cvt_f32_f16_sdwa v27, v17 dst_sel:DWORD dst_unused:UNUSED_PAD src0_sel:WORD_1
	v_cvt_f32_f16_e32 v26, v17
	s_waitcnt vmcnt(2)
	v_cvt_f32_f16_sdwa v25, v10 dst_sel:DWORD dst_unused:UNUSED_PAD src0_sel:WORD_1
	v_cvt_f32_f16_e32 v24, v10
	v_cvt_f32_f16_sdwa v29, v11 dst_sel:DWORD dst_unused:UNUSED_PAD src0_sel:WORD_1
	v_cvt_f32_f16_e32 v28, v11
	;; [unrolled: 2-line block ×4, first 2 shown]
.LBB855_5:
	s_or_b64 exec, exec, s[0:1]
	s_waitcnt vmcnt(2)
	v_mul_f32_e32 v10, v19, v19
	v_fmac_f32_e32 v10, v18, v18
	v_fmac_f32_e32 v10, v20, v20
	;; [unrolled: 1-line block ×15, first 2 shown]
	v_and_b32_e32 v12, 63, v0
	v_cmp_eq_u32_e64 s[0:1], 63, v12
	v_mov_b32_dpp v11, v10 quad_perm:[1,0,3,2] row_mask:0xf bank_mask:0xf
	v_add_f32_e32 v10, v10, v11
	s_nop 1
	v_mov_b32_dpp v11, v10 quad_perm:[2,3,0,1] row_mask:0xf bank_mask:0xf
	v_add_f32_e32 v10, v10, v11
	s_nop 1
	v_mov_b32_dpp v11, v10 row_half_mirror row_mask:0xf bank_mask:0xf
	v_add_f32_e32 v10, v10, v11
	s_nop 1
	v_mov_b32_dpp v11, v10 row_mirror row_mask:0xf bank_mask:0xf
	v_add_f32_e32 v10, v10, v11
	s_nop 1
	v_mov_b32_dpp v11, v10 row_bcast:15 row_mask:0xf bank_mask:0xf
	v_add_f32_e32 v10, v10, v11
	s_nop 1
	v_mov_b32_dpp v11, v10 row_bcast:31 row_mask:0xf bank_mask:0xf
	s_and_saveexec_b64 s[14:15], s[0:1]
	s_cbranch_execz .LBB855_7
; %bb.6:
	v_add_f32_e32 v10, v10, v11
	v_lshrrev_b32_e32 v11, 4, v0
	v_and_b32_e32 v11, 60, v11
	ds_write_b32 v11, v10 offset:16
.LBB855_7:
	s_or_b64 exec, exec, s[14:15]
	v_and_b32_e32 v10, 3, v0
	v_lshlrev_b32_e32 v34, 2, v10
	s_waitcnt lgkmcnt(0)
	s_barrier
	ds_read_b32 v10, v34 offset:16
	s_load_dwordx2 s[14:15], s[4:5], 0x18
	s_waitcnt lgkmcnt(0)
	v_mov_b32_dpp v11, v10 quad_perm:[1,0,3,2] row_mask:0xf bank_mask:0xf
	v_add_f32_e32 v10, v10, v11
	s_nop 1
	v_mov_b32_dpp v11, v10 quad_perm:[2,3,0,1] row_mask:0xf bank_mask:0xf
	s_and_saveexec_b64 s[20:21], s[2:3]
	s_cbranch_execz .LBB855_9
; %bb.8:
	v_cvt_f32_u32_e32 v12, s7
	v_add_f32_e32 v10, v10, v11
	v_mov_b32_e32 v14, s13
	v_mov_b32_e32 v15, s12
	v_div_scale_f32 v11, s[26:27], v12, v12, v10
	v_rcp_f32_e32 v13, v11
	v_cndmask_b32_e32 v14, v14, v15, vcc
	s_mov_b32 s7, 0x800000
	v_fma_f32 v15, -v11, v13, 1.0
	v_fmac_f32_e32 v13, v15, v13
	v_div_scale_f32 v15, vcc, v10, v12, v10
	v_mul_f32_e32 v16, v15, v13
	v_fma_f32 v17, -v11, v16, v15
	v_fmac_f32_e32 v16, v17, v13
	v_fma_f32 v11, -v11, v16, v15
	v_div_fmas_f32 v11, v11, v13, v16
	v_div_fixup_f32 v10, v11, v12, v10
	v_add_f32_e32 v10, v14, v10
	v_mul_f32_e32 v11, 0x4b800000, v10
	v_cmp_gt_f32_e32 vcc, s7, v10
	v_cndmask_b32_e32 v10, v10, v11, vcc
	v_rsq_f32_e32 v10, v10
	v_mul_f32_e32 v11, 0x45800000, v10
	v_cndmask_b32_e32 v10, v10, v11, vcc
	v_mov_b32_e32 v11, v10
	;;#ASMSTART
	v_pk_mul_f32 v[12:13], v[18:19], v[10:11]
	;;#ASMEND
	;;#ASMSTART
	v_pk_mul_f32 v[14:15], v[20:21], v[10:11]
	;;#ASMEND
	;;#ASMSTART
	v_pk_mul_f32 v[16:17], v[22:23], v[10:11]
	;;#ASMEND
	;;#ASMSTART
	v_pk_mul_f32 v[26:27], v[26:27], v[10:11]
	;;#ASMEND
	;;#ASMSTART
	v_pk_mul_f32 v[24:25], v[24:25], v[10:11]
	;;#ASMEND
	;;#ASMSTART
	v_pk_mul_f32 v[28:29], v[28:29], v[10:11]
	;;#ASMEND
	;;#ASMSTART
	v_pk_mul_f32 v[30:31], v[30:31], v[10:11]
	;;#ASMEND
	;;#ASMSTART
	v_pk_mul_f32 v[10:11], v[32:33], v[10:11]
	;;#ASMEND
	s_waitcnt vmcnt(1)
	v_cvt_f32_f16_sdwa v19, v6 dst_sel:DWORD dst_unused:UNUSED_PAD src0_sel:WORD_1
	v_cvt_f32_f16_e32 v18, v6
	v_cvt_f32_f16_sdwa v21, v7 dst_sel:DWORD dst_unused:UNUSED_PAD src0_sel:WORD_1
	v_cvt_f32_f16_e32 v20, v7
	;; [unrolled: 2-line block ×4, first 2 shown]
	;;#ASMSTART
	v_pk_mul_f32 v[18:19], v[12:13], v[18:19]
	;;#ASMEND
	;;#ASMSTART
	v_pk_mul_f32 v[20:21], v[14:15], v[20:21]
	;;#ASMEND
	;; [unrolled: 3-line block ×4, first 2 shown]
	s_waitcnt vmcnt(0)
	v_cvt_f32_f16_sdwa v7, v2 dst_sel:DWORD dst_unused:UNUSED_PAD src0_sel:WORD_1
	v_cvt_f32_f16_e32 v6, v2
	v_cvt_f32_f16_sdwa v9, v3 dst_sel:DWORD dst_unused:UNUSED_PAD src0_sel:WORD_1
	v_cvt_f32_f16_e32 v8, v3
	;; [unrolled: 2-line block ×4, first 2 shown]
	;;#ASMSTART
	v_pk_mul_f32 v[24:25], v[24:25], v[6:7]
	;;#ASMEND
	;;#ASMSTART
	v_pk_mul_f32 v[28:29], v[28:29], v[8:9]
	;;#ASMEND
	;;#ASMSTART
	v_pk_mul_f32 v[30:31], v[30:31], v[2:3]
	;;#ASMEND
	;;#ASMSTART
	v_pk_mul_f32 v[32:33], v[10:11], v[12:13]
	;;#ASMEND
.LBB855_9:
	s_or_b64 exec, exec, s[20:21]
	s_load_dwordx2 s[26:27], s[4:5], 0x7c
	s_mov_b64 s[20:21], -1
	s_and_b64 vcc, exec, s[10:11]
	s_cbranch_vccnz .LBB855_13
; %bb.10:
	s_andn2_b64 vcc, exec, s[20:21]
	s_cbranch_vccz .LBB855_16
.LBB855_11:
	s_cmp_lt_i32 s16, 1
	s_cbranch_scc0 .LBB855_19
.LBB855_12:
	s_endpgm
.LBB855_13:
	s_and_saveexec_b64 s[10:11], s[2:3]
	s_cbranch_execz .LBB855_15
; %bb.14:
	s_waitcnt lgkmcnt(0)
	s_mul_hi_i32 s21, s27, s6
	s_mul_i32 s20, s27, s6
	s_waitcnt vmcnt(0)
	v_cvt_f16_f32_e32 v2, v18
	v_cvt_f16_f32_e32 v3, v20
	v_cvt_f16_f32_e32 v4, v22
	v_cvt_f16_f32_e32 v5, v26
	v_cvt_f16_f32_e32 v6, v27
	v_cvt_f16_f32_e32 v7, v23
	v_cvt_f16_f32_e32 v8, v21
	v_cvt_f16_f32_e32 v9, v19
	s_lshl_b64 s[20:21], s[20:21], 1
	s_add_u32 s20, s14, s20
	s_addc_u32 s7, s15, s21
	s_and_b32 s21, s7, 0xffff
	s_mov_b32 s23, 0x20000
	v_pack_b32_f16 v5, v5, v6
	v_pack_b32_f16 v4, v4, v7
	;; [unrolled: 1-line block ×4, first 2 shown]
	v_lshlrev_b32_e32 v6, 5, v0
	buffer_store_dwordx4 v[2:5], v6, s[20:23], 0 offen
	v_cvt_f16_f32_e32 v7, v33
	v_cvt_f16_f32_e32 v2, v24
	;; [unrolled: 1-line block ×8, first 2 shown]
	v_pack_b32_f16 v5, v5, v7
	v_pack_b32_f16 v4, v4, v8
	v_pack_b32_f16 v3, v3, v9
	v_pack_b32_f16 v2, v2, v10
	;;#ASMSTART
	s_nop 0
	;;#ASMEND
	buffer_store_dwordx4 v[2:5], v6, s[20:23], 16 offen
	;;#ASMSTART
	s_nop 0
	;;#ASMEND
.LBB855_15:
	s_or_b64 exec, exec, s[10:11]
	s_cbranch_execnz .LBB855_11
.LBB855_16:
	s_and_saveexec_b64 s[10:11], s[2:3]
	s_cbranch_execz .LBB855_18
; %bb.17:
	s_load_dwordx2 s[2:3], s[4:5], 0x10
	s_waitcnt lgkmcnt(0)
	s_mul_hi_i32 s21, s26, s6
	s_mul_i32 s20, s26, s6
	s_waitcnt vmcnt(0)
	v_cvt_f16_f32_e32 v2, v18
	v_cvt_f16_f32_e32 v3, v20
	;; [unrolled: 1-line block ×8, first 2 shown]
	s_lshl_b64 s[20:21], s[20:21], 1
	s_add_u32 s20, s2, s20
	s_addc_u32 s2, s3, s21
	s_mov_b32 s23, 0x20000
	s_and_b32 s21, s2, 0xffff
	v_pack_b32_f16 v5, v5, v6
	v_pack_b32_f16 v4, v4, v7
	;; [unrolled: 1-line block ×4, first 2 shown]
	v_lshlrev_b32_e32 v6, 5, v0
	buffer_store_dwordx4 v[2:5], v6, s[20:23], 0 offen
	v_cvt_f16_f32_e32 v7, v33
	v_cvt_f16_f32_e32 v2, v24
	;; [unrolled: 1-line block ×8, first 2 shown]
	v_pack_b32_f16 v5, v5, v7
	v_pack_b32_f16 v4, v4, v8
	;; [unrolled: 1-line block ×4, first 2 shown]
	;;#ASMSTART
	s_nop 0
	;;#ASMEND
	buffer_store_dwordx4 v[2:5], v6, s[20:23], 16 offen
	;;#ASMSTART
	s_nop 0
	;;#ASMEND
.LBB855_18:
	s_or_b64 exec, exec, s[10:11]
	s_cmp_lt_i32 s16, 1
	s_cbranch_scc1 .LBB855_12
.LBB855_19:
	s_load_dword s2, s[4:5], 0x94
	s_waitcnt lgkmcnt(0)
	s_cmp_lg_u32 s2, 1
	s_cbranch_scc1 .LBB855_12
; %bb.20:
	s_lshl_b32 s2, s16, 1
	s_add_i32 s2, s2, 2
	v_cmp_gt_u32_e32 vcc, s16, v1
	s_and_b32 s10, s2, -4
	v_mov_b32_e32 v18, 0
	v_lshlrev_b32_e32 v1, 5, v0
	v_mov_b32_e32 v14, 0
	v_mov_b32_e32 v15, 0
	;; [unrolled: 1-line block ×8, first 2 shown]
	s_waitcnt vmcnt(1)
	v_mov_b32_e32 v6, 0
	v_mov_b32_e32 v7, 0
	;; [unrolled: 1-line block ×4, first 2 shown]
	s_waitcnt vmcnt(0)
	v_mov_b32_e32 v2, 0
	v_mov_b32_e32 v3, 0
	;; [unrolled: 1-line block ×4, first 2 shown]
	s_barrier
	s_and_saveexec_b64 s[2:3], vcc
	s_cbranch_execz .LBB855_22
; %bb.21:
	s_mul_hi_i32 s5, s18, s6
	s_mul_i32 s4, s18, s6
	s_and_b32 s9, s9, 0xffff
	s_lshl_b64 s[4:5], s[4:5], 1
	s_add_u32 s20, s24, s4
	s_mov_b32 s11, 0x20000
	s_addc_u32 s4, s25, s5
	s_and_b32 s21, s4, 0xffff
	s_mov_b32 s22, s10
	s_mov_b32 s23, s11
	buffer_load_dwordx4 v[14:17], v1, s[20:23], 0 offen
	buffer_load_dwordx4 v[10:13], v1, s[20:23], 16 offen
	;; [unrolled: 1-line block ×4, first 2 shown]
.LBB855_22:
	s_or_b64 exec, exec, s[2:3]
	v_mov_b32_e32 v19, 0
	v_mov_b32_e32 v32, 0
	;; [unrolled: 1-line block ×15, first 2 shown]
	s_and_saveexec_b64 s[2:3], vcc
	s_cbranch_execz .LBB855_24
; %bb.23:
	s_waitcnt vmcnt(3)
	v_cvt_f32_f16_sdwa v19, v14 dst_sel:DWORD dst_unused:UNUSED_PAD src0_sel:WORD_1
	v_cvt_f32_f16_e32 v18, v14
	v_cvt_f32_f16_sdwa v33, v15 dst_sel:DWORD dst_unused:UNUSED_PAD src0_sel:WORD_1
	v_cvt_f32_f16_e32 v32, v15
	;; [unrolled: 2-line block ×4, first 2 shown]
	s_waitcnt vmcnt(2)
	v_cvt_f32_f16_sdwa v27, v10 dst_sel:DWORD dst_unused:UNUSED_PAD src0_sel:WORD_1
	v_cvt_f32_f16_e32 v26, v10
	v_cvt_f32_f16_sdwa v25, v11 dst_sel:DWORD dst_unused:UNUSED_PAD src0_sel:WORD_1
	v_cvt_f32_f16_e32 v24, v11
	v_cvt_f32_f16_sdwa v23, v12 dst_sel:DWORD dst_unused:UNUSED_PAD src0_sel:WORD_1
	v_cvt_f32_f16_e32 v22, v12
	v_cvt_f32_f16_sdwa v21, v13 dst_sel:DWORD dst_unused:UNUSED_PAD src0_sel:WORD_1
	v_cvt_f32_f16_e32 v20, v13
.LBB855_24:
	s_or_b64 exec, exec, s[2:3]
	s_waitcnt vmcnt(2)
	v_mul_f32_e32 v10, v19, v19
	v_fmac_f32_e32 v10, v18, v18
	v_fmac_f32_e32 v10, v32, v32
	v_fmac_f32_e32 v10, v33, v33
	v_fmac_f32_e32 v10, v30, v30
	v_fmac_f32_e32 v10, v31, v31
	v_fmac_f32_e32 v10, v28, v28
	v_fmac_f32_e32 v10, v29, v29
	v_fmac_f32_e32 v10, v26, v26
	v_fmac_f32_e32 v10, v27, v27
	v_fmac_f32_e32 v10, v24, v24
	v_fmac_f32_e32 v10, v25, v25
	v_fmac_f32_e32 v10, v22, v22
	v_fmac_f32_e32 v10, v23, v23
	v_fmac_f32_e32 v10, v20, v20
	v_fmac_f32_e32 v10, v21, v21
	s_nop 1
	v_mov_b32_dpp v11, v10 quad_perm:[1,0,3,2] row_mask:0xf bank_mask:0xf
	v_add_f32_e32 v10, v10, v11
	s_nop 1
	v_mov_b32_dpp v11, v10 quad_perm:[2,3,0,1] row_mask:0xf bank_mask:0xf
	v_add_f32_e32 v10, v10, v11
	s_nop 1
	v_mov_b32_dpp v11, v10 row_half_mirror row_mask:0xf bank_mask:0xf
	v_add_f32_e32 v10, v10, v11
	s_nop 1
	v_mov_b32_dpp v11, v10 row_mirror row_mask:0xf bank_mask:0xf
	v_add_f32_e32 v10, v10, v11
	s_nop 1
	v_mov_b32_dpp v11, v10 row_bcast:15 row_mask:0xf bank_mask:0xf
	v_add_f32_e32 v10, v10, v11
	s_nop 1
	v_mov_b32_dpp v11, v10 row_bcast:31 row_mask:0xf bank_mask:0xf
	s_and_saveexec_b64 s[2:3], s[0:1]
	s_cbranch_execz .LBB855_26
; %bb.25:
	v_lshrrev_b32_e32 v0, 4, v0
	v_add_f32_e32 v10, v10, v11
	v_and_b32_e32 v0, 60, v0
	ds_write_b32 v0, v10
.LBB855_26:
	s_or_b64 exec, exec, s[2:3]
	s_waitcnt lgkmcnt(0)
	s_barrier
	ds_read_b32 v0, v34
	s_waitcnt lgkmcnt(0)
	s_nop 0
	v_mov_b32_dpp v10, v0 quad_perm:[1,0,3,2] row_mask:0xf bank_mask:0xf
	v_add_f32_e32 v0, v0, v10
	s_nop 1
	v_mov_b32_dpp v10, v0 quad_perm:[2,3,0,1] row_mask:0xf bank_mask:0xf
	s_and_saveexec_b64 s[0:1], vcc
	s_cbranch_execz .LBB855_12
; %bb.27:
	v_cvt_f32_u32_e32 v11, s16
	v_add_f32_e32 v0, v0, v10
	s_mov_b32 s11, 0x20000
	v_div_scale_f32 v10, s[0:1], v11, v11, v0
	v_rcp_f32_e32 v12, v10
	v_div_scale_f32 v13, vcc, v0, v11, v0
	s_mov_b32 s0, 0x800000
	v_fma_f32 v14, -v10, v12, 1.0
	v_fmac_f32_e32 v12, v14, v12
	v_mul_f32_e32 v14, v13, v12
	v_fma_f32 v15, -v10, v14, v13
	v_fmac_f32_e32 v14, v15, v12
	v_fma_f32 v10, -v10, v14, v13
	v_div_fmas_f32 v10, v10, v12, v14
	v_div_fixup_f32 v0, v10, v11, v0
	v_add_f32_e32 v0, s13, v0
	v_mul_f32_e32 v10, 0x4b800000, v0
	v_cmp_gt_f32_e32 vcc, s0, v0
	v_cndmask_b32_e32 v0, v0, v10, vcc
	v_rsq_f32_e32 v0, v0
	s_mul_hi_i32 s1, s27, s6
	s_mul_i32 s0, s27, s6
	s_lshl_b64 s[0:1], s[0:1], 1
	v_mul_f32_e32 v10, 0x45800000, v0
	v_cndmask_b32_e32 v10, v0, v10, vcc
	v_mov_b32_e32 v11, v10
	;;#ASMSTART
	v_pk_mul_f32 v[12:13], v[18:19], v[10:11]
	;;#ASMEND
	;;#ASMSTART
	v_pk_mul_f32 v[14:15], v[32:33], v[10:11]
	;;#ASMEND
	;; [unrolled: 3-line block ×8, first 2 shown]
	s_waitcnt vmcnt(1)
	v_cvt_f32_f16_sdwa v21, v6 dst_sel:DWORD dst_unused:UNUSED_PAD src0_sel:WORD_1
	v_cvt_f32_f16_e32 v20, v6
	v_cvt_f32_f16_sdwa v29, v7 dst_sel:DWORD dst_unused:UNUSED_PAD src0_sel:WORD_1
	v_cvt_f32_f16_e32 v28, v7
	;; [unrolled: 2-line block ×4, first 2 shown]
	;;#ASMSTART
	v_pk_mul_f32 v[8:9], v[12:13], v[20:21]
	;;#ASMEND
	;;#ASMSTART
	v_pk_mul_f32 v[12:13], v[14:15], v[28:29]
	;;#ASMEND
	;;#ASMSTART
	v_pk_mul_f32 v[6:7], v[16:17], v[6:7]
	;;#ASMEND
	;;#ASMSTART
	v_pk_mul_f32 v[14:15], v[18:19], v[30:31]
	;;#ASMEND
	s_waitcnt vmcnt(0)
	v_cvt_f32_f16_sdwa v17, v2 dst_sel:DWORD dst_unused:UNUSED_PAD src0_sel:WORD_1
	v_cvt_f32_f16_e32 v16, v2
	v_cvt_f32_f16_sdwa v19, v3 dst_sel:DWORD dst_unused:UNUSED_PAD src0_sel:WORD_1
	v_cvt_f32_f16_e32 v18, v3
	;; [unrolled: 2-line block ×4, first 2 shown]
	;;#ASMSTART
	v_pk_mul_f32 v[16:17], v[26:27], v[16:17]
	;;#ASMEND
	;;#ASMSTART
	v_pk_mul_f32 v[18:19], v[24:25], v[18:19]
	;;#ASMEND
	;; [unrolled: 3-line block ×3, first 2 shown]
	v_cvt_f16_f32_e32 v0, v8
	v_cvt_f16_f32_e32 v2, v9
	v_cvt_f16_f32_e32 v3, v12
	v_cvt_f16_f32_e32 v4, v13
	v_cvt_f16_f32_e32 v5, v6
	v_cvt_f16_f32_e32 v6, v7
	v_cvt_f16_f32_e32 v7, v14
	v_cvt_f16_f32_e32 v8, v15
	s_add_u32 s8, s14, s0
	s_addc_u32 s0, s15, s1
	s_and_b32 s9, s0, 0xffff
	v_pack_b32_f16 v2, v0, v2
	v_pack_b32_f16 v3, v3, v4
	;; [unrolled: 1-line block ×4, first 2 shown]
	;;#ASMSTART
	v_pk_mul_f32 v[10:11], v[10:11], v[20:21]
	;;#ASMEND
	buffer_store_dwordx4 v[2:5], v1, s[8:11], 0 offen
	v_cvt_f16_f32_e32 v0, v16
	v_cvt_f16_f32_e32 v2, v17
	;; [unrolled: 1-line block ×8, first 2 shown]
	v_pack_b32_f16 v2, v0, v2
	v_pack_b32_f16 v3, v3, v4
	v_pack_b32_f16 v4, v5, v6
	v_pack_b32_f16 v5, v7, v8
	;;#ASMSTART
	s_nop 0
	;;#ASMEND
	buffer_store_dwordx4 v[2:5], v1, s[8:11], 16 offen
	;;#ASMSTART
	s_nop 0
	;;#ASMEND
	s_endpgm
	.section	.rodata,"a",@progbits
	.p2align	6, 0x0
	.amdhsa_kernel _ZN5aiter35fused_qk_rmsnorm_group_quant_kernelIDF16_N4opus5fp4_tELi256ELi16ELi2ELb0ELb1ELb0ELb1ELb0ELb0EEEvPT0_PvPT_S7_S7_PKS6_S9_S9_S9_S9_ffiiiiiiiiiiiii
		.amdhsa_group_segment_fixed_size 32
		.amdhsa_private_segment_fixed_size 0
		.amdhsa_kernarg_size 400
		.amdhsa_user_sgpr_count 6
		.amdhsa_user_sgpr_private_segment_buffer 1
		.amdhsa_user_sgpr_dispatch_ptr 0
		.amdhsa_user_sgpr_queue_ptr 0
		.amdhsa_user_sgpr_kernarg_segment_ptr 1
		.amdhsa_user_sgpr_dispatch_id 0
		.amdhsa_user_sgpr_flat_scratch_init 0
		.amdhsa_user_sgpr_kernarg_preload_length 0
		.amdhsa_user_sgpr_kernarg_preload_offset 0
		.amdhsa_user_sgpr_private_segment_size 0
		.amdhsa_uses_dynamic_stack 0
		.amdhsa_system_sgpr_private_segment_wavefront_offset 0
		.amdhsa_system_sgpr_workgroup_id_x 1
		.amdhsa_system_sgpr_workgroup_id_y 1
		.amdhsa_system_sgpr_workgroup_id_z 0
		.amdhsa_system_sgpr_workgroup_info 0
		.amdhsa_system_vgpr_workitem_id 0
		.amdhsa_next_free_vgpr 35
		.amdhsa_next_free_sgpr 32
		.amdhsa_accum_offset 36
		.amdhsa_reserve_vcc 1
		.amdhsa_reserve_flat_scratch 0
		.amdhsa_float_round_mode_32 0
		.amdhsa_float_round_mode_16_64 0
		.amdhsa_float_denorm_mode_32 3
		.amdhsa_float_denorm_mode_16_64 3
		.amdhsa_dx10_clamp 1
		.amdhsa_ieee_mode 1
		.amdhsa_fp16_overflow 0
		.amdhsa_tg_split 0
		.amdhsa_exception_fp_ieee_invalid_op 0
		.amdhsa_exception_fp_denorm_src 0
		.amdhsa_exception_fp_ieee_div_zero 0
		.amdhsa_exception_fp_ieee_overflow 0
		.amdhsa_exception_fp_ieee_underflow 0
		.amdhsa_exception_fp_ieee_inexact 0
		.amdhsa_exception_int_div_zero 0
	.end_amdhsa_kernel
	.section	.text._ZN5aiter35fused_qk_rmsnorm_group_quant_kernelIDF16_N4opus5fp4_tELi256ELi16ELi2ELb0ELb1ELb0ELb1ELb0ELb0EEEvPT0_PvPT_S7_S7_PKS6_S9_S9_S9_S9_ffiiiiiiiiiiiii,"axG",@progbits,_ZN5aiter35fused_qk_rmsnorm_group_quant_kernelIDF16_N4opus5fp4_tELi256ELi16ELi2ELb0ELb1ELb0ELb1ELb0ELb0EEEvPT0_PvPT_S7_S7_PKS6_S9_S9_S9_S9_ffiiiiiiiiiiiii,comdat
.Lfunc_end855:
	.size	_ZN5aiter35fused_qk_rmsnorm_group_quant_kernelIDF16_N4opus5fp4_tELi256ELi16ELi2ELb0ELb1ELb0ELb1ELb0ELb0EEEvPT0_PvPT_S7_S7_PKS6_S9_S9_S9_S9_ffiiiiiiiiiiiii, .Lfunc_end855-_ZN5aiter35fused_qk_rmsnorm_group_quant_kernelIDF16_N4opus5fp4_tELi256ELi16ELi2ELb0ELb1ELb0ELb1ELb0ELb0EEEvPT0_PvPT_S7_S7_PKS6_S9_S9_S9_S9_ffiiiiiiiiiiiii
                                        ; -- End function
	.section	.AMDGPU.csdata,"",@progbits
; Kernel info:
; codeLenInByte = 2840
; NumSgprs: 36
; NumVgprs: 35
; NumAgprs: 0
; TotalNumVgprs: 35
; ScratchSize: 0
; MemoryBound: 0
; FloatMode: 240
; IeeeMode: 1
; LDSByteSize: 32 bytes/workgroup (compile time only)
; SGPRBlocks: 4
; VGPRBlocks: 4
; NumSGPRsForWavesPerEU: 36
; NumVGPRsForWavesPerEU: 35
; AccumOffset: 36
; Occupancy: 8
; WaveLimiterHint : 0
; COMPUTE_PGM_RSRC2:SCRATCH_EN: 0
; COMPUTE_PGM_RSRC2:USER_SGPR: 6
; COMPUTE_PGM_RSRC2:TRAP_HANDLER: 0
; COMPUTE_PGM_RSRC2:TGID_X_EN: 1
; COMPUTE_PGM_RSRC2:TGID_Y_EN: 1
; COMPUTE_PGM_RSRC2:TGID_Z_EN: 0
; COMPUTE_PGM_RSRC2:TIDIG_COMP_CNT: 0
; COMPUTE_PGM_RSRC3_GFX90A:ACCUM_OFFSET: 8
; COMPUTE_PGM_RSRC3_GFX90A:TG_SPLIT: 0
	.section	.text._ZN5aiter35fused_qk_rmsnorm_group_quant_kernelItN4opus5fp4_tELi256ELi16ELi2ELb0ELb1ELb0ELb1ELb0ELb0EEEvPT0_PvPT_S7_S7_PKS6_S9_S9_S9_S9_ffiiiiiiiiiiiii,"axG",@progbits,_ZN5aiter35fused_qk_rmsnorm_group_quant_kernelItN4opus5fp4_tELi256ELi16ELi2ELb0ELb1ELb0ELb1ELb0ELb0EEEvPT0_PvPT_S7_S7_PKS6_S9_S9_S9_S9_ffiiiiiiiiiiiii,comdat
	.protected	_ZN5aiter35fused_qk_rmsnorm_group_quant_kernelItN4opus5fp4_tELi256ELi16ELi2ELb0ELb1ELb0ELb1ELb0ELb0EEEvPT0_PvPT_S7_S7_PKS6_S9_S9_S9_S9_ffiiiiiiiiiiiii ; -- Begin function _ZN5aiter35fused_qk_rmsnorm_group_quant_kernelItN4opus5fp4_tELi256ELi16ELi2ELb0ELb1ELb0ELb1ELb0ELb0EEEvPT0_PvPT_S7_S7_PKS6_S9_S9_S9_S9_ffiiiiiiiiiiiii
	.globl	_ZN5aiter35fused_qk_rmsnorm_group_quant_kernelItN4opus5fp4_tELi256ELi16ELi2ELb0ELb1ELb0ELb1ELb0ELb0EEEvPT0_PvPT_S7_S7_PKS6_S9_S9_S9_S9_ffiiiiiiiiiiiii
	.p2align	8
	.type	_ZN5aiter35fused_qk_rmsnorm_group_quant_kernelItN4opus5fp4_tELi256ELi16ELi2ELb0ELb1ELb0ELb1ELb0ELb0EEEvPT0_PvPT_S7_S7_PKS6_S9_S9_S9_S9_ffiiiiiiiiiiiii,@function
_ZN5aiter35fused_qk_rmsnorm_group_quant_kernelItN4opus5fp4_tELi256ELi16ELi2ELb0ELb1ELb0ELb1ELb0ELb0EEEvPT0_PvPT_S7_S7_PKS6_S9_S9_S9_S9_ffiiiiiiiiiiiii: ; @_ZN5aiter35fused_qk_rmsnorm_group_quant_kernelItN4opus5fp4_tELi256ELi16ELi2ELb0ELb1ELb0ELb1ELb0ELb0EEEvPT0_PvPT_S7_S7_PKS6_S9_S9_S9_S9_ffiiiiiiiiiiiii
; %bb.0:
	s_load_dwordx4 s[12:15], s[4:5], 0x50
	s_waitcnt lgkmcnt(0)
	s_cmp_ge_i32 s6, s14
	s_cbranch_scc1 .LBB856_12
; %bb.1:
	s_load_dwordx2 s[24:25], s[4:5], 0x30
	s_load_dwordx2 s[8:9], s[4:5], 0x48
	s_load_dwordx4 s[16:19], s[4:5], 0x60
	s_cmp_lg_u32 s7, 0
	s_cselect_b64 s[10:11], -1, 0
	s_cmp_eq_u32 s7, 0
	s_cselect_b64 vcc, -1, 0
	s_and_b64 s[0:1], vcc, exec
	s_waitcnt lgkmcnt(0)
	s_cselect_b32 s7, s15, s16
	s_add_i32 s0, s7, 1
	s_lshr_b32 s1, s0, 31
	s_add_i32 s0, s0, s1
	s_lshl_b32 s0, s0, 1
	v_lshlrev_b32_e32 v1, 4, v0
	s_and_b32 s22, s0, -4
	v_cmp_gt_i32_e64 s[2:3], s7, v1
	v_mov_b32_e32 v18, 0
	v_mov_b32_e32 v6, 0
	;; [unrolled: 1-line block ×17, first 2 shown]
	s_and_saveexec_b64 s[0:1], s[2:3]
	s_cbranch_execz .LBB856_3
; %bb.2:
	s_load_dwordx2 s[14:15], s[4:5], 0x28
	s_load_dwordx2 s[20:21], s[4:5], 0x40
	s_and_b64 s[26:27], vcc, exec
	s_cselect_b32 s17, s17, s18
	s_mov_b32 s30, s22
	s_waitcnt lgkmcnt(0)
	s_cselect_b32 s19, s15, s25
	s_cselect_b32 s23, s14, s24
	s_mul_hi_i32 s15, s17, s6
	s_mul_i32 s14, s17, s6
	s_lshl_b64 s[14:15], s[14:15], 1
	s_add_u32 s28, s23, s14
	s_addc_u32 s17, s19, s15
	s_and_b64 s[14:15], vcc, exec
	s_mov_b32 s23, 0x20000
	s_cselect_b32 s20, s20, s8
	s_cselect_b32 s14, s21, s9
	s_and_b32 s29, s17, 0xffff
	s_mov_b32 s31, s23
	v_lshlrev_b32_e32 v19, 5, v0
	s_and_b32 s21, s14, 0xffff
	buffer_load_dwordx4 v[14:17], v19, s[28:31], 0 offen
	buffer_load_dwordx4 v[10:13], v19, s[28:31], 16 offen
	;; [unrolled: 1-line block ×4, first 2 shown]
.LBB856_3:
	s_or_b64 exec, exec, s[0:1]
	v_mov_b32_e32 v19, 0
	v_mov_b32_e32 v20, 0
	;; [unrolled: 1-line block ×15, first 2 shown]
	s_and_saveexec_b64 s[0:1], s[2:3]
	s_cbranch_execz .LBB856_5
; %bb.4:
	s_waitcnt vmcnt(3)
	v_cvt_f32_u32_sdwa v18, v14 dst_sel:DWORD dst_unused:UNUSED_PAD src0_sel:WORD_0
	v_cvt_f32_u32_sdwa v19, v14 dst_sel:DWORD dst_unused:UNUSED_PAD src0_sel:WORD_1
	v_cvt_f32_u32_sdwa v20, v15 dst_sel:DWORD dst_unused:UNUSED_PAD src0_sel:WORD_0
	v_cvt_f32_u32_sdwa v21, v15 dst_sel:DWORD dst_unused:UNUSED_PAD src0_sel:WORD_1
	;; [unrolled: 2-line block ×4, first 2 shown]
	s_waitcnt vmcnt(2)
	v_cvt_f32_u32_sdwa v26, v10 dst_sel:DWORD dst_unused:UNUSED_PAD src0_sel:WORD_0
	v_cvt_f32_u32_sdwa v27, v10 dst_sel:DWORD dst_unused:UNUSED_PAD src0_sel:WORD_1
	v_cvt_f32_u32_sdwa v28, v11 dst_sel:DWORD dst_unused:UNUSED_PAD src0_sel:WORD_0
	v_cvt_f32_u32_sdwa v29, v11 dst_sel:DWORD dst_unused:UNUSED_PAD src0_sel:WORD_1
	;; [unrolled: 2-line block ×4, first 2 shown]
.LBB856_5:
	s_or_b64 exec, exec, s[0:1]
	s_waitcnt vmcnt(2)
	v_mul_f32_e32 v10, v19, v19
	v_fmac_f32_e32 v10, v18, v18
	v_fmac_f32_e32 v10, v20, v20
	;; [unrolled: 1-line block ×15, first 2 shown]
	v_and_b32_e32 v12, 63, v0
	v_cmp_eq_u32_e64 s[0:1], 63, v12
	v_mov_b32_dpp v11, v10 quad_perm:[1,0,3,2] row_mask:0xf bank_mask:0xf
	v_add_f32_e32 v10, v10, v11
	s_nop 1
	v_mov_b32_dpp v11, v10 quad_perm:[2,3,0,1] row_mask:0xf bank_mask:0xf
	v_add_f32_e32 v10, v10, v11
	s_nop 1
	v_mov_b32_dpp v11, v10 row_half_mirror row_mask:0xf bank_mask:0xf
	v_add_f32_e32 v10, v10, v11
	s_nop 1
	v_mov_b32_dpp v11, v10 row_mirror row_mask:0xf bank_mask:0xf
	v_add_f32_e32 v10, v10, v11
	s_nop 1
	v_mov_b32_dpp v11, v10 row_bcast:15 row_mask:0xf bank_mask:0xf
	v_add_f32_e32 v10, v10, v11
	s_nop 1
	v_mov_b32_dpp v11, v10 row_bcast:31 row_mask:0xf bank_mask:0xf
	s_and_saveexec_b64 s[14:15], s[0:1]
	s_cbranch_execz .LBB856_7
; %bb.6:
	v_add_f32_e32 v10, v10, v11
	v_lshrrev_b32_e32 v11, 4, v0
	v_and_b32_e32 v11, 60, v11
	ds_write_b32 v11, v10 offset:16
.LBB856_7:
	s_or_b64 exec, exec, s[14:15]
	v_and_b32_e32 v10, 3, v0
	v_lshlrev_b32_e32 v34, 2, v10
	s_waitcnt lgkmcnt(0)
	s_barrier
	ds_read_b32 v10, v34 offset:16
	s_load_dwordx2 s[14:15], s[4:5], 0x18
	s_waitcnt lgkmcnt(0)
	v_mov_b32_dpp v11, v10 quad_perm:[1,0,3,2] row_mask:0xf bank_mask:0xf
	v_add_f32_e32 v10, v10, v11
	s_nop 1
	v_mov_b32_dpp v11, v10 quad_perm:[2,3,0,1] row_mask:0xf bank_mask:0xf
	s_and_saveexec_b64 s[20:21], s[2:3]
	s_cbranch_execz .LBB856_9
; %bb.8:
	v_cvt_f32_u32_e32 v12, s7
	v_add_f32_e32 v10, v10, v11
	v_mov_b32_e32 v14, s13
	v_mov_b32_e32 v15, s12
	v_div_scale_f32 v11, s[26:27], v12, v12, v10
	v_rcp_f32_e32 v13, v11
	v_cndmask_b32_e32 v14, v14, v15, vcc
	s_mov_b32 s7, 0x800000
	v_fma_f32 v15, -v11, v13, 1.0
	v_fmac_f32_e32 v13, v15, v13
	v_div_scale_f32 v15, vcc, v10, v12, v10
	v_mul_f32_e32 v16, v15, v13
	v_fma_f32 v17, -v11, v16, v15
	v_fmac_f32_e32 v16, v17, v13
	v_fma_f32 v11, -v11, v16, v15
	v_div_fmas_f32 v11, v11, v13, v16
	v_div_fixup_f32 v10, v11, v12, v10
	v_add_f32_e32 v10, v14, v10
	v_mul_f32_e32 v11, 0x4b800000, v10
	v_cmp_gt_f32_e32 vcc, s7, v10
	v_cndmask_b32_e32 v10, v10, v11, vcc
	v_rsq_f32_e32 v10, v10
	v_mul_f32_e32 v11, 0x45800000, v10
	v_cndmask_b32_e32 v10, v10, v11, vcc
	v_mov_b32_e32 v11, v10
	;;#ASMSTART
	v_pk_mul_f32 v[12:13], v[18:19], v[10:11]
	;;#ASMEND
	;;#ASMSTART
	v_pk_mul_f32 v[14:15], v[20:21], v[10:11]
	;;#ASMEND
	;; [unrolled: 3-line block ×8, first 2 shown]
	s_waitcnt vmcnt(1)
	v_cvt_f32_u32_sdwa v19, v6 dst_sel:DWORD dst_unused:UNUSED_PAD src0_sel:WORD_1
	v_cvt_f32_u32_sdwa v18, v6 dst_sel:DWORD dst_unused:UNUSED_PAD src0_sel:WORD_0
	v_cvt_f32_u32_sdwa v21, v7 dst_sel:DWORD dst_unused:UNUSED_PAD src0_sel:WORD_1
	v_cvt_f32_u32_sdwa v20, v7 dst_sel:DWORD dst_unused:UNUSED_PAD src0_sel:WORD_0
	;; [unrolled: 2-line block ×4, first 2 shown]
	;;#ASMSTART
	v_pk_mul_f32 v[18:19], v[12:13], v[18:19]
	;;#ASMEND
	;;#ASMSTART
	v_pk_mul_f32 v[20:21], v[14:15], v[20:21]
	;;#ASMEND
	;; [unrolled: 3-line block ×4, first 2 shown]
	s_waitcnt vmcnt(0)
	v_cvt_f32_u32_sdwa v7, v2 dst_sel:DWORD dst_unused:UNUSED_PAD src0_sel:WORD_1
	v_cvt_f32_u32_sdwa v6, v2 dst_sel:DWORD dst_unused:UNUSED_PAD src0_sel:WORD_0
	v_cvt_f32_u32_sdwa v9, v3 dst_sel:DWORD dst_unused:UNUSED_PAD src0_sel:WORD_1
	v_cvt_f32_u32_sdwa v8, v3 dst_sel:DWORD dst_unused:UNUSED_PAD src0_sel:WORD_0
	;; [unrolled: 2-line block ×4, first 2 shown]
	;;#ASMSTART
	v_pk_mul_f32 v[26:27], v[26:27], v[6:7]
	;;#ASMEND
	;;#ASMSTART
	v_pk_mul_f32 v[28:29], v[28:29], v[8:9]
	;;#ASMEND
	;; [unrolled: 3-line block ×4, first 2 shown]
.LBB856_9:
	s_or_b64 exec, exec, s[20:21]
	s_load_dwordx2 s[26:27], s[4:5], 0x7c
	s_mov_b64 s[20:21], -1
	s_and_b64 vcc, exec, s[10:11]
	s_cbranch_vccnz .LBB856_13
; %bb.10:
	s_andn2_b64 vcc, exec, s[20:21]
	s_cbranch_vccz .LBB856_16
.LBB856_11:
	s_cmp_lt_i32 s16, 1
	s_cbranch_scc0 .LBB856_19
.LBB856_12:
	s_endpgm
.LBB856_13:
	s_and_saveexec_b64 s[10:11], s[2:3]
	s_cbranch_execz .LBB856_15
; %bb.14:
	s_waitcnt lgkmcnt(0)
	s_mul_hi_i32 s21, s27, s6
	s_mul_i32 s20, s27, s6
	s_lshl_b64 s[20:21], s[20:21], 1
	s_add_u32 s20, s14, s20
	s_addc_u32 s7, s15, s21
	s_and_b32 s21, s7, 0xffff
	s_mov_b32 s7, 0x7060302
	s_mov_b32 s23, 0x20000
	s_waitcnt vmcnt(0)
	v_perm_b32 v5, v25, v24, s7
	v_perm_b32 v4, v23, v22, s7
	;; [unrolled: 1-line block ×4, first 2 shown]
	v_lshlrev_b32_e32 v6, 5, v0
	buffer_store_dwordx4 v[2:5], v6, s[20:23], 0 offen
	;;#ASMSTART
	s_nop 0
	;;#ASMEND
	s_nop 0
	v_perm_b32 v5, v33, v32, s7
	v_perm_b32 v4, v31, v30, s7
	;; [unrolled: 1-line block ×4, first 2 shown]
	buffer_store_dwordx4 v[2:5], v6, s[20:23], 16 offen
	;;#ASMSTART
	s_nop 0
	;;#ASMEND
.LBB856_15:
	s_or_b64 exec, exec, s[10:11]
	s_cbranch_execnz .LBB856_11
.LBB856_16:
	s_and_saveexec_b64 s[10:11], s[2:3]
	s_cbranch_execz .LBB856_18
; %bb.17:
	s_load_dwordx2 s[2:3], s[4:5], 0x10
	s_waitcnt lgkmcnt(0)
	s_mul_hi_i32 s21, s26, s6
	s_mul_i32 s20, s26, s6
	s_lshl_b64 s[20:21], s[20:21], 1
	s_mov_b32 s23, 0x20000
	s_add_u32 s20, s2, s20
	s_addc_u32 s2, s3, s21
	s_and_b32 s21, s2, 0xffff
	s_mov_b32 s2, 0x7060302
	s_waitcnt vmcnt(0)
	v_perm_b32 v5, v25, v24, s2
	v_perm_b32 v4, v23, v22, s2
	;; [unrolled: 1-line block ×4, first 2 shown]
	v_lshlrev_b32_e32 v6, 5, v0
	buffer_store_dwordx4 v[2:5], v6, s[20:23], 0 offen
	;;#ASMSTART
	s_nop 0
	;;#ASMEND
	s_nop 0
	v_perm_b32 v5, v33, v32, s2
	v_perm_b32 v4, v31, v30, s2
	;; [unrolled: 1-line block ×4, first 2 shown]
	buffer_store_dwordx4 v[2:5], v6, s[20:23], 16 offen
	;;#ASMSTART
	s_nop 0
	;;#ASMEND
.LBB856_18:
	s_or_b64 exec, exec, s[10:11]
	s_cmp_lt_i32 s16, 1
	s_cbranch_scc1 .LBB856_12
.LBB856_19:
	s_load_dword s2, s[4:5], 0x94
	s_waitcnt lgkmcnt(0)
	s_cmp_lg_u32 s2, 1
	s_cbranch_scc1 .LBB856_12
; %bb.20:
	s_lshl_b32 s2, s16, 1
	s_add_i32 s2, s2, 2
	v_cmp_gt_u32_e32 vcc, s16, v1
	s_and_b32 s10, s2, -4
	v_mov_b32_e32 v18, 0
	v_lshlrev_b32_e32 v1, 5, v0
	v_mov_b32_e32 v14, 0
	v_mov_b32_e32 v15, 0
	;; [unrolled: 1-line block ×8, first 2 shown]
	s_waitcnt vmcnt(1)
	v_mov_b32_e32 v6, 0
	v_mov_b32_e32 v7, 0
	;; [unrolled: 1-line block ×4, first 2 shown]
	s_waitcnt vmcnt(0)
	v_mov_b32_e32 v2, 0
	v_mov_b32_e32 v3, 0
	;; [unrolled: 1-line block ×4, first 2 shown]
	s_barrier
	s_and_saveexec_b64 s[2:3], vcc
	s_cbranch_execz .LBB856_22
; %bb.21:
	s_mul_hi_i32 s5, s18, s6
	s_mul_i32 s4, s18, s6
	s_and_b32 s9, s9, 0xffff
	s_lshl_b64 s[4:5], s[4:5], 1
	s_add_u32 s20, s24, s4
	s_mov_b32 s11, 0x20000
	s_addc_u32 s4, s25, s5
	s_and_b32 s21, s4, 0xffff
	s_mov_b32 s22, s10
	s_mov_b32 s23, s11
	buffer_load_dwordx4 v[14:17], v1, s[20:23], 0 offen
	buffer_load_dwordx4 v[10:13], v1, s[20:23], 16 offen
	;; [unrolled: 1-line block ×4, first 2 shown]
.LBB856_22:
	s_or_b64 exec, exec, s[2:3]
	v_mov_b32_e32 v19, 0
	v_mov_b32_e32 v32, 0
	;; [unrolled: 1-line block ×15, first 2 shown]
	s_and_saveexec_b64 s[2:3], vcc
	s_cbranch_execz .LBB856_24
; %bb.23:
	s_waitcnt vmcnt(3)
	v_cvt_f32_u32_sdwa v18, v14 dst_sel:DWORD dst_unused:UNUSED_PAD src0_sel:WORD_0
	v_cvt_f32_u32_sdwa v19, v14 dst_sel:DWORD dst_unused:UNUSED_PAD src0_sel:WORD_1
	v_cvt_f32_u32_sdwa v32, v15 dst_sel:DWORD dst_unused:UNUSED_PAD src0_sel:WORD_0
	v_cvt_f32_u32_sdwa v33, v15 dst_sel:DWORD dst_unused:UNUSED_PAD src0_sel:WORD_1
	;; [unrolled: 2-line block ×4, first 2 shown]
	s_waitcnt vmcnt(2)
	v_cvt_f32_u32_sdwa v26, v10 dst_sel:DWORD dst_unused:UNUSED_PAD src0_sel:WORD_0
	v_cvt_f32_u32_sdwa v27, v10 dst_sel:DWORD dst_unused:UNUSED_PAD src0_sel:WORD_1
	v_cvt_f32_u32_sdwa v24, v11 dst_sel:DWORD dst_unused:UNUSED_PAD src0_sel:WORD_0
	v_cvt_f32_u32_sdwa v25, v11 dst_sel:DWORD dst_unused:UNUSED_PAD src0_sel:WORD_1
	;; [unrolled: 2-line block ×4, first 2 shown]
.LBB856_24:
	s_or_b64 exec, exec, s[2:3]
	s_waitcnt vmcnt(2)
	v_mul_f32_e32 v10, v19, v19
	v_fmac_f32_e32 v10, v18, v18
	v_fmac_f32_e32 v10, v32, v32
	;; [unrolled: 1-line block ×15, first 2 shown]
	s_nop 1
	v_mov_b32_dpp v11, v10 quad_perm:[1,0,3,2] row_mask:0xf bank_mask:0xf
	v_add_f32_e32 v10, v10, v11
	s_nop 1
	v_mov_b32_dpp v11, v10 quad_perm:[2,3,0,1] row_mask:0xf bank_mask:0xf
	v_add_f32_e32 v10, v10, v11
	s_nop 1
	v_mov_b32_dpp v11, v10 row_half_mirror row_mask:0xf bank_mask:0xf
	v_add_f32_e32 v10, v10, v11
	s_nop 1
	v_mov_b32_dpp v11, v10 row_mirror row_mask:0xf bank_mask:0xf
	v_add_f32_e32 v10, v10, v11
	s_nop 1
	v_mov_b32_dpp v11, v10 row_bcast:15 row_mask:0xf bank_mask:0xf
	v_add_f32_e32 v10, v10, v11
	s_nop 1
	v_mov_b32_dpp v11, v10 row_bcast:31 row_mask:0xf bank_mask:0xf
	s_and_saveexec_b64 s[2:3], s[0:1]
	s_cbranch_execz .LBB856_26
; %bb.25:
	v_lshrrev_b32_e32 v0, 4, v0
	v_add_f32_e32 v10, v10, v11
	v_and_b32_e32 v0, 60, v0
	ds_write_b32 v0, v10
.LBB856_26:
	s_or_b64 exec, exec, s[2:3]
	s_waitcnt lgkmcnt(0)
	s_barrier
	ds_read_b32 v0, v34
	s_waitcnt lgkmcnt(0)
	s_nop 0
	v_mov_b32_dpp v10, v0 quad_perm:[1,0,3,2] row_mask:0xf bank_mask:0xf
	v_add_f32_e32 v0, v0, v10
	s_nop 1
	v_mov_b32_dpp v10, v0 quad_perm:[2,3,0,1] row_mask:0xf bank_mask:0xf
	s_and_saveexec_b64 s[0:1], vcc
	s_cbranch_execz .LBB856_12
; %bb.27:
	v_cvt_f32_u32_e32 v11, s16
	v_add_f32_e32 v0, v0, v10
	s_mov_b32 s11, 0x20000
	v_div_scale_f32 v10, s[0:1], v11, v11, v0
	v_rcp_f32_e32 v12, v10
	v_div_scale_f32 v13, vcc, v0, v11, v0
	s_mov_b32 s0, 0x800000
	v_fma_f32 v14, -v10, v12, 1.0
	v_fmac_f32_e32 v12, v14, v12
	v_mul_f32_e32 v14, v13, v12
	v_fma_f32 v15, -v10, v14, v13
	v_fmac_f32_e32 v14, v15, v12
	v_fma_f32 v10, -v10, v14, v13
	v_div_fmas_f32 v10, v10, v12, v14
	v_div_fixup_f32 v0, v10, v11, v0
	v_add_f32_e32 v0, s13, v0
	v_mul_f32_e32 v10, 0x4b800000, v0
	v_cmp_gt_f32_e32 vcc, s0, v0
	v_cndmask_b32_e32 v0, v0, v10, vcc
	v_rsq_f32_e32 v0, v0
	s_mul_hi_i32 s1, s27, s6
	s_mul_i32 s0, s27, s6
	s_lshl_b64 s[0:1], s[0:1], 1
	v_mul_f32_e32 v10, 0x45800000, v0
	v_cndmask_b32_e32 v10, v0, v10, vcc
	v_mov_b32_e32 v11, v10
	s_add_u32 s8, s14, s0
	;;#ASMSTART
	v_pk_mul_f32 v[12:13], v[18:19], v[10:11]
	;;#ASMEND
	;;#ASMSTART
	v_pk_mul_f32 v[14:15], v[32:33], v[10:11]
	;;#ASMEND
	;; [unrolled: 3-line block ×8, first 2 shown]
	s_waitcnt vmcnt(1)
	v_cvt_f32_u32_sdwa v21, v6 dst_sel:DWORD dst_unused:UNUSED_PAD src0_sel:WORD_1
	v_cvt_f32_u32_sdwa v20, v6 dst_sel:DWORD dst_unused:UNUSED_PAD src0_sel:WORD_0
	v_cvt_f32_u32_sdwa v29, v7 dst_sel:DWORD dst_unused:UNUSED_PAD src0_sel:WORD_1
	v_cvt_f32_u32_sdwa v28, v7 dst_sel:DWORD dst_unused:UNUSED_PAD src0_sel:WORD_0
	;; [unrolled: 2-line block ×3, first 2 shown]
	s_addc_u32 s0, s15, s1
	v_cvt_f32_u32_sdwa v31, v9 dst_sel:DWORD dst_unused:UNUSED_PAD src0_sel:WORD_1
	v_cvt_f32_u32_sdwa v30, v9 dst_sel:DWORD dst_unused:UNUSED_PAD src0_sel:WORD_0
	;;#ASMSTART
	v_pk_mul_f32 v[8:9], v[12:13], v[20:21]
	;;#ASMEND
	;;#ASMSTART
	v_pk_mul_f32 v[12:13], v[14:15], v[28:29]
	;;#ASMEND
	;; [unrolled: 3-line block ×4, first 2 shown]
	s_waitcnt vmcnt(0)
	v_cvt_f32_u32_sdwa v17, v2 dst_sel:DWORD dst_unused:UNUSED_PAD src0_sel:WORD_1
	v_cvt_f32_u32_sdwa v16, v2 dst_sel:DWORD dst_unused:UNUSED_PAD src0_sel:WORD_0
	v_cvt_f32_u32_sdwa v19, v3 dst_sel:DWORD dst_unused:UNUSED_PAD src0_sel:WORD_1
	v_cvt_f32_u32_sdwa v18, v3 dst_sel:DWORD dst_unused:UNUSED_PAD src0_sel:WORD_0
	;; [unrolled: 2-line block ×3, first 2 shown]
	s_and_b32 s9, s0, 0xffff
	s_mov_b32 s0, 0x7060302
	v_cvt_f32_u32_sdwa v21, v5 dst_sel:DWORD dst_unused:UNUSED_PAD src0_sel:WORD_1
	v_cvt_f32_u32_sdwa v20, v5 dst_sel:DWORD dst_unused:UNUSED_PAD src0_sel:WORD_0
	;;#ASMSTART
	v_pk_mul_f32 v[16:17], v[26:27], v[16:17]
	;;#ASMEND
	;;#ASMSTART
	v_pk_mul_f32 v[18:19], v[24:25], v[18:19]
	;;#ASMEND
	;; [unrolled: 3-line block ×3, first 2 shown]
	v_perm_b32 v2, v9, v8, s0
	v_perm_b32 v3, v13, v12, s0
	;; [unrolled: 1-line block ×4, first 2 shown]
	;;#ASMSTART
	v_pk_mul_f32 v[10:11], v[10:11], v[20:21]
	;;#ASMEND
	buffer_store_dwordx4 v[2:5], v1, s[8:11], 0 offen
	;;#ASMSTART
	s_nop 0
	;;#ASMEND
	s_nop 0
	v_perm_b32 v2, v17, v16, s0
	v_perm_b32 v3, v19, v18, s0
	;; [unrolled: 1-line block ×4, first 2 shown]
	buffer_store_dwordx4 v[2:5], v1, s[8:11], 16 offen
	;;#ASMSTART
	s_nop 0
	;;#ASMEND
	s_endpgm
	.section	.rodata,"a",@progbits
	.p2align	6, 0x0
	.amdhsa_kernel _ZN5aiter35fused_qk_rmsnorm_group_quant_kernelItN4opus5fp4_tELi256ELi16ELi2ELb0ELb1ELb0ELb1ELb0ELb0EEEvPT0_PvPT_S7_S7_PKS6_S9_S9_S9_S9_ffiiiiiiiiiiiii
		.amdhsa_group_segment_fixed_size 32
		.amdhsa_private_segment_fixed_size 0
		.amdhsa_kernarg_size 400
		.amdhsa_user_sgpr_count 6
		.amdhsa_user_sgpr_private_segment_buffer 1
		.amdhsa_user_sgpr_dispatch_ptr 0
		.amdhsa_user_sgpr_queue_ptr 0
		.amdhsa_user_sgpr_kernarg_segment_ptr 1
		.amdhsa_user_sgpr_dispatch_id 0
		.amdhsa_user_sgpr_flat_scratch_init 0
		.amdhsa_user_sgpr_kernarg_preload_length 0
		.amdhsa_user_sgpr_kernarg_preload_offset 0
		.amdhsa_user_sgpr_private_segment_size 0
		.amdhsa_uses_dynamic_stack 0
		.amdhsa_system_sgpr_private_segment_wavefront_offset 0
		.amdhsa_system_sgpr_workgroup_id_x 1
		.amdhsa_system_sgpr_workgroup_id_y 1
		.amdhsa_system_sgpr_workgroup_id_z 0
		.amdhsa_system_sgpr_workgroup_info 0
		.amdhsa_system_vgpr_workitem_id 0
		.amdhsa_next_free_vgpr 35
		.amdhsa_next_free_sgpr 32
		.amdhsa_accum_offset 36
		.amdhsa_reserve_vcc 1
		.amdhsa_reserve_flat_scratch 0
		.amdhsa_float_round_mode_32 0
		.amdhsa_float_round_mode_16_64 0
		.amdhsa_float_denorm_mode_32 3
		.amdhsa_float_denorm_mode_16_64 3
		.amdhsa_dx10_clamp 1
		.amdhsa_ieee_mode 1
		.amdhsa_fp16_overflow 0
		.amdhsa_tg_split 0
		.amdhsa_exception_fp_ieee_invalid_op 0
		.amdhsa_exception_fp_denorm_src 0
		.amdhsa_exception_fp_ieee_div_zero 0
		.amdhsa_exception_fp_ieee_overflow 0
		.amdhsa_exception_fp_ieee_underflow 0
		.amdhsa_exception_fp_ieee_inexact 0
		.amdhsa_exception_int_div_zero 0
	.end_amdhsa_kernel
	.section	.text._ZN5aiter35fused_qk_rmsnorm_group_quant_kernelItN4opus5fp4_tELi256ELi16ELi2ELb0ELb1ELb0ELb1ELb0ELb0EEEvPT0_PvPT_S7_S7_PKS6_S9_S9_S9_S9_ffiiiiiiiiiiiii,"axG",@progbits,_ZN5aiter35fused_qk_rmsnorm_group_quant_kernelItN4opus5fp4_tELi256ELi16ELi2ELb0ELb1ELb0ELb1ELb0ELb0EEEvPT0_PvPT_S7_S7_PKS6_S9_S9_S9_S9_ffiiiiiiiiiiiii,comdat
.Lfunc_end856:
	.size	_ZN5aiter35fused_qk_rmsnorm_group_quant_kernelItN4opus5fp4_tELi256ELi16ELi2ELb0ELb1ELb0ELb1ELb0ELb0EEEvPT0_PvPT_S7_S7_PKS6_S9_S9_S9_S9_ffiiiiiiiiiiiii, .Lfunc_end856-_ZN5aiter35fused_qk_rmsnorm_group_quant_kernelItN4opus5fp4_tELi256ELi16ELi2ELb0ELb1ELb0ELb1ELb0ELb0EEEvPT0_PvPT_S7_S7_PKS6_S9_S9_S9_S9_ffiiiiiiiiiiiii
                                        ; -- End function
	.section	.AMDGPU.csdata,"",@progbits
; Kernel info:
; codeLenInByte = 2812
; NumSgprs: 36
; NumVgprs: 35
; NumAgprs: 0
; TotalNumVgprs: 35
; ScratchSize: 0
; MemoryBound: 0
; FloatMode: 240
; IeeeMode: 1
; LDSByteSize: 32 bytes/workgroup (compile time only)
; SGPRBlocks: 4
; VGPRBlocks: 4
; NumSGPRsForWavesPerEU: 36
; NumVGPRsForWavesPerEU: 35
; AccumOffset: 36
; Occupancy: 8
; WaveLimiterHint : 0
; COMPUTE_PGM_RSRC2:SCRATCH_EN: 0
; COMPUTE_PGM_RSRC2:USER_SGPR: 6
; COMPUTE_PGM_RSRC2:TRAP_HANDLER: 0
; COMPUTE_PGM_RSRC2:TGID_X_EN: 1
; COMPUTE_PGM_RSRC2:TGID_Y_EN: 1
; COMPUTE_PGM_RSRC2:TGID_Z_EN: 0
; COMPUTE_PGM_RSRC2:TIDIG_COMP_CNT: 0
; COMPUTE_PGM_RSRC3_GFX90A:ACCUM_OFFSET: 8
; COMPUTE_PGM_RSRC3_GFX90A:TG_SPLIT: 0
	.section	.text._ZN5aiter35fused_qk_rmsnorm_group_quant_kernelIDF16_DB8_Li256ELi16ELi2ELb1ELb1ELb1ELb0ELb0ELb0EEEvPT0_PvPT_S6_S6_PKS5_S8_S8_S8_S8_ffiiiiiiiiiiiii,"axG",@progbits,_ZN5aiter35fused_qk_rmsnorm_group_quant_kernelIDF16_DB8_Li256ELi16ELi2ELb1ELb1ELb1ELb0ELb0ELb0EEEvPT0_PvPT_S6_S6_PKS5_S8_S8_S8_S8_ffiiiiiiiiiiiii,comdat
	.protected	_ZN5aiter35fused_qk_rmsnorm_group_quant_kernelIDF16_DB8_Li256ELi16ELi2ELb1ELb1ELb1ELb0ELb0ELb0EEEvPT0_PvPT_S6_S6_PKS5_S8_S8_S8_S8_ffiiiiiiiiiiiii ; -- Begin function _ZN5aiter35fused_qk_rmsnorm_group_quant_kernelIDF16_DB8_Li256ELi16ELi2ELb1ELb1ELb1ELb0ELb0ELb0EEEvPT0_PvPT_S6_S6_PKS5_S8_S8_S8_S8_ffiiiiiiiiiiiii
	.globl	_ZN5aiter35fused_qk_rmsnorm_group_quant_kernelIDF16_DB8_Li256ELi16ELi2ELb1ELb1ELb1ELb0ELb0ELb0EEEvPT0_PvPT_S6_S6_PKS5_S8_S8_S8_S8_ffiiiiiiiiiiiii
	.p2align	8
	.type	_ZN5aiter35fused_qk_rmsnorm_group_quant_kernelIDF16_DB8_Li256ELi16ELi2ELb1ELb1ELb1ELb0ELb0ELb0EEEvPT0_PvPT_S6_S6_PKS5_S8_S8_S8_S8_ffiiiiiiiiiiiii,@function
_ZN5aiter35fused_qk_rmsnorm_group_quant_kernelIDF16_DB8_Li256ELi16ELi2ELb1ELb1ELb1ELb0ELb0ELb0EEEvPT0_PvPT_S6_S6_PKS5_S8_S8_S8_S8_ffiiiiiiiiiiiii: ; @_ZN5aiter35fused_qk_rmsnorm_group_quant_kernelIDF16_DB8_Li256ELi16ELi2ELb1ELb1ELb1ELb0ELb0ELb0EEEvPT0_PvPT_S6_S6_PKS5_S8_S8_S8_S8_ffiiiiiiiiiiiii
; %bb.0:
	s_load_dwordx8 s[20:27], s[4:5], 0x50
	s_waitcnt lgkmcnt(0)
	s_cmp_ge_i32 s6, s22
	s_cbranch_scc1 .LBB857_17
; %bb.1:
	s_cmp_lg_u32 s7, 0
	s_cselect_b64 s[10:11], -1, 0
	s_cmp_eq_u32 s7, 0
	s_cselect_b64 s[8:9], -1, 0
	s_and_b64 s[0:1], s[8:9], exec
	s_load_dwordx2 s[28:29], s[4:5], 0x48
	s_load_dwordx2 s[34:35], s[4:5], 0x30
	s_load_dwordx8 s[12:19], s[4:5], 0x70
	s_cselect_b32 s7, s23, s24
	s_add_i32 s0, s7, 1
	s_lshr_b32 s1, s0, 31
	s_add_i32 s0, s0, s1
	s_lshl_b32 s0, s0, 1
	v_lshlrev_b32_e32 v1, 4, v0
	s_and_b32 s38, s0, -4
	v_cmp_gt_i32_e64 s[0:1], s7, v1
	v_mov_b32_e32 v76, 0
	v_mov_b32_e32 v77, 0
	v_mov_b32_e32 v78, 0
	v_mov_b32_e32 v79, 0
	v_mov_b32_e32 v72, 0
	v_mov_b32_e32 v73, 0
	v_mov_b32_e32 v74, 0
	v_mov_b32_e32 v75, 0
	v_mov_b32_e32 v80, 0
	v_mov_b32_e32 v81, 0
	v_mov_b32_e32 v82, 0
	v_mov_b32_e32 v83, 0
	v_mov_b32_e32 v84, 0
	v_mov_b32_e32 v85, 0
	v_mov_b32_e32 v86, 0
	v_mov_b32_e32 v87, 0
	s_and_saveexec_b64 s[2:3], s[0:1]
	s_cbranch_execz .LBB857_3
; %bb.2:
	s_waitcnt lgkmcnt(0)
	s_load_dwordx2 s[18:19], s[4:5], 0x28
	s_load_dwordx2 s[30:31], s[4:5], 0x40
	s_and_b64 s[36:37], s[8:9], exec
	s_cselect_b32 s22, s25, s26
	s_mov_b32 s39, 0x20000
	s_waitcnt lgkmcnt(0)
	s_cselect_b32 s25, s19, s35
	s_cselect_b32 s33, s18, s34
	s_mul_hi_i32 s19, s22, s6
	s_mul_i32 s18, s22, s6
	s_lshl_b64 s[18:19], s[18:19], 1
	s_add_u32 s40, s33, s18
	s_addc_u32 s22, s25, s19
	s_and_b64 s[18:19], s[8:9], exec
	s_cselect_b32 s36, s30, s28
	s_cselect_b32 s18, s31, s29
	s_and_b32 s41, s22, 0xffff
	s_mov_b32 s42, s38
	s_mov_b32 s43, s39
	v_lshlrev_b32_e32 v2, 5, v0
	s_and_b32 s37, s18, 0xffff
	buffer_load_dwordx4 v[80:83], v2, s[40:43], 0 offen
	buffer_load_dwordx4 v[84:87], v2, s[40:43], 16 offen
	;; [unrolled: 1-line block ×4, first 2 shown]
.LBB857_3:
	s_or_b64 exec, exec, s[2:3]
	s_and_b64 vcc, exec, s[10:11]
	s_cbranch_vccz .LBB857_7
; %bb.4:
	v_mov_b32_e32 v89, 0
	v_mov_b32_e32 v88, 0
	;; [unrolled: 1-line block ×16, first 2 shown]
	s_and_saveexec_b64 s[2:3], s[0:1]
	s_cbranch_execz .LBB857_6
; %bb.5:
	s_waitcnt vmcnt(3)
	v_cvt_f32_f16_sdwa v49, v80 dst_sel:DWORD dst_unused:UNUSED_PAD src0_sel:WORD_1
	v_cvt_f32_f16_e32 v48, v80
	v_cvt_f32_f16_sdwa v35, v81 dst_sel:DWORD dst_unused:UNUSED_PAD src0_sel:WORD_1
	v_cvt_f32_f16_e32 v34, v81
	;; [unrolled: 2-line block ×4, first 2 shown]
	s_waitcnt vmcnt(2)
	v_cvt_f32_f16_sdwa v65, v84 dst_sel:DWORD dst_unused:UNUSED_PAD src0_sel:WORD_1
	v_cvt_f32_f16_e32 v64, v84
	v_cvt_f32_f16_sdwa v19, v85 dst_sel:DWORD dst_unused:UNUSED_PAD src0_sel:WORD_1
	v_cvt_f32_f16_e32 v18, v85
	;; [unrolled: 2-line block ×4, first 2 shown]
.LBB857_6:
	s_or_b64 exec, exec, s[2:3]
	s_cbranch_execz .LBB857_8
	s_branch .LBB857_11
.LBB857_7:
                                        ; implicit-def: $vgpr32_vgpr33_vgpr34_vgpr35_vgpr36_vgpr37_vgpr38_vgpr39_vgpr40_vgpr41_vgpr42_vgpr43_vgpr44_vgpr45_vgpr46_vgpr47
                                        ; implicit-def: $vgpr48_vgpr49_vgpr50_vgpr51_vgpr52_vgpr53_vgpr54_vgpr55_vgpr56_vgpr57_vgpr58_vgpr59_vgpr60_vgpr61_vgpr62_vgpr63
                                        ; implicit-def: $vgpr18_vgpr19_vgpr20_vgpr21_vgpr22_vgpr23_vgpr24_vgpr25_vgpr26_vgpr27_vgpr28_vgpr29_vgpr30_vgpr31_vgpr32_vgpr33
                                        ; implicit-def: $vgpr50_vgpr51_vgpr52_vgpr53_vgpr54_vgpr55_vgpr56_vgpr57_vgpr58_vgpr59_vgpr60_vgpr61_vgpr62_vgpr63_vgpr64_vgpr65
                                        ; implicit-def: $vgpr89
                                        ; implicit-def: $vgpr8_vgpr9_vgpr10_vgpr11_vgpr12_vgpr13_vgpr14_vgpr15_vgpr16_vgpr17_vgpr18_vgpr19_vgpr20_vgpr21_vgpr22_vgpr23
                                        ; implicit-def: $vgpr56_vgpr57_vgpr58_vgpr59_vgpr60_vgpr61_vgpr62_vgpr63_vgpr64_vgpr65_vgpr66_vgpr67_vgpr68_vgpr69_vgpr70_vgpr71
                                        ; implicit-def: $vgpr2_vgpr3_vgpr4_vgpr5_vgpr6_vgpr7_vgpr8_vgpr9_vgpr10_vgpr11_vgpr12_vgpr13_vgpr14_vgpr15_vgpr16_vgpr17
.LBB857_8:
	v_mov_b32_e32 v89, 0
	v_mov_b32_e32 v88, 0
	;; [unrolled: 1-line block ×16, first 2 shown]
	s_and_saveexec_b64 s[2:3], s[0:1]
	s_cbranch_execz .LBB857_10
; %bb.9:
	s_waitcnt lgkmcnt(0)
	s_load_dwordx2 s[18:19], s[4:5], 0x38
	s_mul_hi_i32 s31, s27, s6
	s_mul_i32 s30, s27, s6
	s_lshl_b64 s[30:31], s[30:31], 1
	s_mov_b32 s39, 0x20000
	s_waitcnt lgkmcnt(0)
	s_add_u32 s36, s18, s30
	s_addc_u32 s18, s19, s31
	s_and_b32 s37, s18, 0xffff
	v_lshlrev_b32_e32 v38, 5, v0
	buffer_load_dwordx4 v[6:9], v38, s[36:39], 16 offen
	buffer_load_dwordx4 v[10:13], v38, s[36:39], 0 offen
	s_waitcnt vmcnt(5)
	v_cvt_f32_f16_sdwa v23, v82 dst_sel:DWORD dst_unused:UNUSED_PAD src0_sel:WORD_1
	v_cvt_f32_f16_e32 v22, v82
	v_cvt_f32_f16_sdwa v25, v83 dst_sel:DWORD dst_unused:UNUSED_PAD src0_sel:WORD_1
	v_cvt_f32_f16_e32 v24, v83
	;; [unrolled: 2-line block ×4, first 2 shown]
	s_load_dwordx2 s[18:19], s[4:5], 0x20
	s_waitcnt vmcnt(4)
	v_cvt_f32_f16_sdwa v3, v84 dst_sel:DWORD dst_unused:UNUSED_PAD src0_sel:WORD_1
	v_cvt_f32_f16_e32 v2, v84
	v_cvt_f32_f16_sdwa v5, v85 dst_sel:DWORD dst_unused:UNUSED_PAD src0_sel:WORD_1
	v_cvt_f32_f16_e32 v4, v85
	;; [unrolled: 2-line block ×4, first 2 shown]
	s_mul_hi_i32 s31, s17, s6
	s_mul_i32 s30, s17, s6
	s_lshl_b64 s[30:31], s[30:31], 1
	s_waitcnt lgkmcnt(0)
	s_add_u32 s36, s18, s30
	s_addc_u32 s17, s19, s31
	s_and_b32 s37, s17, 0xffff
	s_waitcnt vmcnt(1)
	v_cvt_f32_f16_e32 v26, v6
	v_cvt_f32_f16_sdwa v27, v6 dst_sel:DWORD dst_unused:UNUSED_PAD src0_sel:WORD_1
	v_cvt_f32_f16_e32 v28, v7
	v_cvt_f32_f16_sdwa v29, v7 dst_sel:DWORD dst_unused:UNUSED_PAD src0_sel:WORD_1
	;; [unrolled: 2-line block ×4, first 2 shown]
	s_waitcnt vmcnt(0)
	v_cvt_f32_f16_e32 v6, v12
	v_cvt_f32_f16_sdwa v7, v12 dst_sel:DWORD dst_unused:UNUSED_PAD src0_sel:WORD_1
	v_cvt_f32_f16_e32 v8, v13
	v_cvt_f32_f16_sdwa v9, v13 dst_sel:DWORD dst_unused:UNUSED_PAD src0_sel:WORD_1
	;; [unrolled: 2-line block ×4, first 2 shown]
	v_pk_add_f32 v[54:55], v[22:23], v[6:7]
	v_pk_add_f32 v[24:25], v[24:25], v[8:9]
	v_cvt_f16_f32_e32 v6, v55
	v_cvt_f16_f32_e32 v7, v25
	;; [unrolled: 1-line block ×4, first 2 shown]
	v_pk_add_f32 v[34:35], v[20:21], v[10:11]
	v_pk_add_f32 v[48:49], v[18:19], v[36:37]
	v_pack_b32_f16 v9, v8, v7
	v_pack_b32_f16 v8, v12, v6
	v_cvt_f16_f32_e32 v6, v35
	v_cvt_f16_f32_e32 v7, v34
	;; [unrolled: 1-line block ×3, first 2 shown]
	v_pk_add_f32 v[88:89], v[16:17], v[32:33]
	v_pk_add_f32 v[14:15], v[14:15], v[30:31]
	v_pack_b32_f16 v7, v7, v6
	v_cvt_f16_f32_e32 v6, v49
	v_pk_add_f32 v[18:19], v[4:5], v[28:29]
	v_pk_add_f32 v[64:65], v[2:3], v[26:27]
	v_cvt_f16_f32_e32 v4, v18
	v_pack_b32_f16 v6, v10, v6
	buffer_store_dwordx4 v[6:9], v38, s[36:39], 0 offen
	v_cvt_f16_f32_e32 v5, v19
	v_cvt_f16_f32_e32 v6, v14
	;; [unrolled: 1-line block ×7, first 2 shown]
	v_pack_b32_f16 v7, v7, v8
	v_pack_b32_f16 v6, v6, v9
	;; [unrolled: 1-line block ×4, first 2 shown]
	;;#ASMSTART
	s_nop 0
	;;#ASMEND
	buffer_store_dwordx4 v[4:7], v38, s[36:39], 16 offen
	;;#ASMSTART
	s_nop 0
	;;#ASMEND
.LBB857_10:
	s_or_b64 exec, exec, s[2:3]
.LBB857_11:
	v_mul_f32_e32 v2, v49, v49
	v_fmac_f32_e32 v2, v48, v48
	v_fmac_f32_e32 v2, v34, v34
	;; [unrolled: 1-line block ×15, first 2 shown]
	s_nop 1
	v_mov_b32_dpp v3, v2 quad_perm:[1,0,3,2] row_mask:0xf bank_mask:0xf
	v_add_f32_e32 v2, v2, v3
	s_nop 1
	v_mov_b32_dpp v3, v2 quad_perm:[2,3,0,1] row_mask:0xf bank_mask:0xf
	v_add_f32_e32 v2, v2, v3
	s_nop 1
	v_mov_b32_dpp v3, v2 row_half_mirror row_mask:0xf bank_mask:0xf
	v_add_f32_e32 v2, v2, v3
	s_nop 1
	v_mov_b32_dpp v3, v2 row_mirror row_mask:0xf bank_mask:0xf
	v_add_f32_e32 v2, v2, v3
	s_nop 1
	v_mov_b32_dpp v3, v2 row_bcast:15 row_mask:0xf bank_mask:0xf
	v_add_f32_e32 v2, v2, v3
	v_and_b32_e32 v3, 63, v0
	v_cmp_eq_u32_e64 s[2:3], 63, v3
	s_nop 0
	v_mov_b32_dpp v3, v2 row_bcast:31 row_mask:0xf bank_mask:0xf
	s_waitcnt lgkmcnt(0)
	s_and_saveexec_b64 s[18:19], s[2:3]
	s_cbranch_execz .LBB857_13
; %bb.12:
	v_add_f32_e32 v2, v2, v3
	v_lshrrev_b32_e32 v3, 4, v0
	v_and_b32_e32 v3, 60, v3
	ds_write_b32 v3, v2 offset:16
.LBB857_13:
	s_or_b64 exec, exec, s[18:19]
	v_and_b32_e32 v2, 3, v0
	v_lshlrev_b32_e32 v36, 2, v2
	s_waitcnt lgkmcnt(0)
	s_barrier
	ds_read_b32 v2, v36 offset:16
	s_load_dwordx2 s[18:19], s[4:5], 0x18
	s_waitcnt lgkmcnt(0)
	v_mov_b32_dpp v3, v2 quad_perm:[1,0,3,2] row_mask:0xf bank_mask:0xf
	v_add_f32_e32 v2, v2, v3
	s_nop 1
	v_mov_b32_dpp v3, v2 quad_perm:[2,3,0,1] row_mask:0xf bank_mask:0xf
	s_and_saveexec_b64 s[30:31], s[0:1]
	s_cbranch_execnz .LBB857_18
; %bb.14:
	s_or_b64 exec, exec, s[30:31]
	s_mov_b64 s[8:9], -1
	s_and_b64 vcc, exec, s[10:11]
	s_cbranch_vccnz .LBB857_19
.LBB857_15:
	s_andn2_b64 vcc, exec, s[8:9]
	s_cbranch_vccz .LBB857_22
.LBB857_16:
	s_cmp_lt_i32 s24, 1
	s_cbranch_scc0 .LBB857_31
.LBB857_17:
	s_endpgm
.LBB857_18:
	v_add_f32_e32 v2, v2, v3
	v_cvt_f32_u32_e32 v3, s7
	s_mov_b32 s7, 0x800000
	s_waitcnt vmcnt(1)
	v_cvt_f32_f16_sdwa v17, v76 dst_sel:DWORD dst_unused:UNUSED_PAD src0_sel:WORD_1
	v_cvt_f32_f16_e32 v16, v76
	v_div_scale_f32 v4, s[36:37], v3, v3, v2
	v_rcp_f32_e32 v5, v4
	v_pk_add_f32 v[16:17], v[16:17], 1.0 op_sel_hi:[1,0]
	v_cvt_f32_f16_sdwa v21, v79 dst_sel:DWORD dst_unused:UNUSED_PAD src0_sel:WORD_1
	v_cvt_f32_f16_e32 v20, v79
	v_fma_f32 v6, -v4, v5, 1.0
	v_fmac_f32_e32 v5, v6, v5
	v_div_scale_f32 v6, vcc, v2, v3, v2
	v_mul_f32_e32 v7, v6, v5
	v_fma_f32 v8, -v4, v7, v6
	v_fmac_f32_e32 v7, v8, v5
	v_fma_f32 v4, -v4, v7, v6
	v_div_fmas_f32 v4, v4, v5, v7
	v_div_fixup_f32 v2, v4, v3, v2
	v_mov_b32_e32 v3, s21
	v_mov_b32_e32 v4, s20
	v_cndmask_b32_e64 v3, v3, v4, s[8:9]
	v_add_f32_e32 v2, v3, v2
	v_mul_f32_e32 v3, 0x4b800000, v2
	v_cmp_gt_f32_e32 vcc, s7, v2
	v_cndmask_b32_e32 v2, v2, v3, vcc
	v_rsq_f32_e32 v2, v2
	s_waitcnt vmcnt(0)
	v_cvt_f32_f16_sdwa v23, v74 dst_sel:DWORD dst_unused:UNUSED_PAD src0_sel:WORD_1
	v_cvt_f32_f16_e32 v22, v74
	v_mul_f32_e32 v3, 0x45800000, v2
	v_cndmask_b32_e32 v2, v2, v3, vcc
	v_mov_b32_e32 v3, v2
	;;#ASMSTART
	v_pk_mul_f32 v[4:5], v[48:49], v[2:3]
	;;#ASMEND
	;;#ASMSTART
	v_pk_mul_f32 v[6:7], v[34:35], v[2:3]
	;;#ASMEND
	;;#ASMSTART
	v_pk_mul_f32 v[8:9], v[54:55], v[2:3]
	;;#ASMEND
	;;#ASMSTART
	v_pk_mul_f32 v[10:11], v[24:25], v[2:3]
	;;#ASMEND
	;;#ASMSTART
	v_pk_mul_f32 v[12:13], v[64:65], v[2:3]
	;;#ASMEND
	;;#ASMSTART
	v_pk_mul_f32 v[18:19], v[18:19], v[2:3]
	;;#ASMEND
	;;#ASMSTART
	v_pk_mul_f32 v[14:15], v[14:15], v[2:3]
	;;#ASMEND
	;;#ASMSTART
	v_pk_mul_f32 v[2:3], v[88:89], v[2:3]
	;;#ASMEND
	;;#ASMSTART
	v_pk_mul_f32 v[48:49], v[4:5], v[16:17]
	;;#ASMEND
	v_cvt_f32_f16_sdwa v5, v77 dst_sel:DWORD dst_unused:UNUSED_PAD src0_sel:WORD_1
	v_cvt_f32_f16_e32 v4, v77
	v_cvt_f32_f16_sdwa v17, v78 dst_sel:DWORD dst_unused:UNUSED_PAD src0_sel:WORD_1
	v_cvt_f32_f16_e32 v16, v78
	v_cvt_f32_f16_sdwa v25, v75 dst_sel:DWORD dst_unused:UNUSED_PAD src0_sel:WORD_1
	v_pk_add_f32 v[4:5], v[4:5], 1.0 op_sel_hi:[1,0]
	;;#ASMSTART
	v_pk_mul_f32 v[34:35], v[6:7], v[4:5]
	;;#ASMEND
	v_pk_add_f32 v[4:5], v[16:17], 1.0 op_sel_hi:[1,0]
	v_pk_add_f32 v[6:7], v[20:21], 1.0 op_sel_hi:[1,0]
	v_cvt_f32_f16_sdwa v17, v72 dst_sel:DWORD dst_unused:UNUSED_PAD src0_sel:WORD_1
	v_cvt_f32_f16_e32 v16, v72
	v_cvt_f32_f16_sdwa v21, v73 dst_sel:DWORD dst_unused:UNUSED_PAD src0_sel:WORD_1
	v_cvt_f32_f16_e32 v20, v73
	v_cvt_f32_f16_e32 v24, v75
	v_pk_add_f32 v[16:17], v[16:17], 1.0 op_sel_hi:[1,0]
	v_pk_add_f32 v[22:23], v[22:23], 1.0 op_sel_hi:[1,0]
	;; [unrolled: 1-line block ×4, first 2 shown]
	;;#ASMSTART
	v_pk_mul_f32 v[54:55], v[8:9], v[4:5]
	;;#ASMEND
	;;#ASMSTART
	v_pk_mul_f32 v[24:25], v[10:11], v[6:7]
	;;#ASMEND
	;; [unrolled: 3-line block ×6, first 2 shown]
	s_or_b64 exec, exec, s[30:31]
	s_mov_b64 s[8:9], -1
	s_and_b64 vcc, exec, s[10:11]
	s_cbranch_vccz .LBB857_15
.LBB857_19:
	s_and_saveexec_b64 s[8:9], s[0:1]
	s_cbranch_execz .LBB857_21
; %bb.20:
	v_cvt_f16_f32_e32 v2, v54
	v_cvt_f16_f32_e32 v3, v24
	;; [unrolled: 1-line block ×4, first 2 shown]
	s_mul_hi_i32 s11, s16, s6
	s_mul_i32 s10, s16, s6
	v_pack_b32_f16 v5, v3, v4
	v_pack_b32_f16 v4, v2, v6
	v_cvt_f16_f32_e32 v2, v34
	v_cvt_f16_f32_e32 v3, v35
	;; [unrolled: 1-line block ×3, first 2 shown]
	s_lshl_b64 s[10:11], s[10:11], 1
	s_add_u32 s36, s18, s10
	v_pack_b32_f16 v3, v2, v3
	v_cvt_f16_f32_e32 v2, v48
	s_addc_u32 s7, s19, s11
	s_and_b32 s37, s7, 0xffff
	s_mov_b32 s39, 0x20000
	v_pack_b32_f16 v2, v2, v6
	v_lshlrev_b32_e32 v6, 5, v0
	buffer_store_dwordx4 v[2:5], v6, s[36:39], 0 offen
	v_cvt_f16_f32_e32 v7, v15
	v_cvt_f16_f32_e32 v2, v14
	;; [unrolled: 1-line block ×4, first 2 shown]
	;;#ASMSTART
	s_nop 0
	;;#ASMEND
	v_pack_b32_f16 v5, v3, v4
	v_pack_b32_f16 v4, v2, v7
	v_cvt_f16_f32_e32 v2, v18
	v_cvt_f16_f32_e32 v3, v19
	;; [unrolled: 1-line block ×3, first 2 shown]
	v_pack_b32_f16 v3, v2, v3
	v_cvt_f16_f32_e32 v2, v64
	v_pack_b32_f16 v2, v2, v7
	buffer_store_dwordx4 v[2:5], v6, s[36:39], 16 offen
	;;#ASMSTART
	s_nop 0
	;;#ASMEND
.LBB857_21:
	s_or_b64 exec, exec, s[8:9]
	s_cbranch_execnz .LBB857_16
.LBB857_22:
	v_mov_b32_e32 v2, 0
	s_and_saveexec_b64 s[8:9], s[0:1]
	s_cbranch_execz .LBB857_24
; %bb.23:
	v_cvt_f16_f32_e32 v2, v54
	v_cvt_f16_f32_e32 v3, v24
	;; [unrolled: 1-line block ×4, first 2 shown]
	s_load_dwordx2 s[10:11], s[4:5], 0x10
	s_mul_hi_i32 s31, s15, s6
	v_pack_b32_f16 v5, v3, v4
	v_pack_b32_f16 v4, v2, v6
	v_cvt_f16_f32_e32 v2, v34
	v_cvt_f16_f32_e32 v3, v35
	;; [unrolled: 1-line block ×3, first 2 shown]
	s_mul_i32 s30, s15, s6
	s_lshl_b64 s[30:31], s[30:31], 1
	v_pack_b32_f16 v3, v2, v3
	v_cvt_f16_f32_e32 v2, v48
	s_waitcnt lgkmcnt(0)
	s_add_u32 s36, s10, s30
	s_addc_u32 s7, s11, s31
	s_and_b32 s37, s7, 0xffff
	v_pack_b32_f16 v2, v2, v6
	s_mov_b32 s39, 0x20000
	v_lshlrev_b32_e32 v6, 5, v0
	buffer_store_dwordx4 v[2:5], v6, s[36:39], 0 offen
	v_cvt_f16_f32_e32 v7, v15
	v_cvt_f16_f32_e32 v2, v14
	;; [unrolled: 1-line block ×4, first 2 shown]
	;;#ASMSTART
	s_nop 0
	;;#ASMEND
	v_pack_b32_f16 v5, v3, v4
	v_pack_b32_f16 v4, v2, v7
	v_cvt_f16_f32_e32 v2, v18
	v_cvt_f16_f32_e32 v3, v19
	;; [unrolled: 1-line block ×3, first 2 shown]
	v_pack_b32_f16 v3, v2, v3
	v_cvt_f16_f32_e32 v2, v64
	v_pack_b32_f16 v2, v2, v7
	buffer_store_dwordx4 v[2:5], v6, s[36:39], 16 offen
	;;#ASMSTART
	s_nop 0
	;;#ASMEND
	s_nop 0
	v_mov_b32_e32 v2, 0x2edbe6ff
.LBB857_24:
	s_or_b64 exec, exec, s[8:9]
	s_and_saveexec_b64 s[8:9], s[0:1]
	s_cbranch_execz .LBB857_26
; %bb.25:
	v_and_b32_e32 v3, 0x7fffffff, v48
	v_and_b32_e32 v4, 0x7fffffff, v49
	;;#ASMSTART
	v_max3_f32 v2, v2, v3, v4

	;;#ASMEND
	v_and_b32_e32 v3, 0x7fffffff, v34
	v_and_b32_e32 v4, 0x7fffffff, v35
	;;#ASMSTART
	v_max3_f32 v2, v2, v3, v4

	;;#ASMEND
	;; [unrolled: 6-line block ×8, first 2 shown]
.LBB857_26:
	s_or_b64 exec, exec, s[8:9]
	;;#ASMSTART
	v_max_f32 v3, v2, v2 quad_perm:[1,0,3,2] row_mask:0xf bank_mask:0xf bound_ctrl:1
	;;#ASMEND
	v_mul_f32_e32 v2, 0x3b124925, v3
	v_and_b32_e32 v3, 1, v0
	v_cmp_eq_u32_e32 vcc, 0, v3
	v_cmp_gt_i32_e64 s[8:9], s23, v1
	s_and_b64 s[10:11], vcc, s[8:9]
	s_and_saveexec_b64 s[8:9], s[10:11]
	s_cbranch_execz .LBB857_28
; %bb.27:
	s_load_dwordx2 s[10:11], s[4:5], 0x8
	v_lshrrev_b32_e32 v3, 1, v0
	s_mul_hi_i32 s31, s13, s6
	s_mul_i32 s30, s13, s6
	v_mad_i64_i32 v[4:5], s[14:15], s14, v3, 0
	s_lshl_b64 s[14:15], s[30:31], 2
	s_waitcnt lgkmcnt(0)
	s_add_u32 s7, s10, s14
	s_addc_u32 s10, s11, s15
	v_lshlrev_b64 v[4:5], 2, v[4:5]
	v_mov_b32_e32 v3, s10
	v_add_co_u32_e32 v4, vcc, s7, v4
	v_addc_co_u32_e32 v5, vcc, v3, v5, vcc
	global_store_dword v[4:5], v2, off
.LBB857_28:
	s_or_b64 exec, exec, s[8:9]
	;;#ASMSTART
	v_rcp_f32 v2, v2
	;;#ASMEND
	s_and_saveexec_b64 s[14:15], s[0:1]
	s_cbranch_execz .LBB857_30
; %bb.29:
	v_mov_b32_e32 v3, v2
	;;#ASMSTART
	v_pk_mul_f32 v[4:5], v[48:49], v[2:3]
	;;#ASMEND
	v_mov_b32_e32 v10, 0xc3e00000
	v_mov_b32_e32 v11, 0x43e00000
	;;#ASMSTART
	v_med3_f32 v4, v4, v10, v11
v_med3_f32 v5, v5, v10, v11
v_cvt_pk_fp8_f32 v6, v4, v5
	;;#ASMEND
	;;#ASMSTART
	v_pk_mul_f32 v[4:5], v[34:35], v[2:3]
	;;#ASMEND
	;;#ASMSTART
	v_med3_f32 v4, v4, v10, v11
v_med3_f32 v5, v5, v10, v11
v_cvt_pk_fp8_f32 v7, v4, v5
	;;#ASMEND
	;;#ASMSTART
	v_pk_mul_f32 v[4:5], v[54:55], v[2:3]
	;;#ASMEND
	;; [unrolled: 8-line block ×3, first 2 shown]
	;;#ASMSTART
	v_med3_f32 v4, v4, v10, v11
v_med3_f32 v5, v5, v10, v11
v_cvt_pk_fp8_f32 v9, v4, v5
	;;#ASMEND
	s_mov_b32 s0, 0x5040100
	v_perm_b32 v4, v7, v6, s0
	s_mov_b32 s0, 0x1060504
	v_perm_b32 v4, v4, v7, s0
	s_load_dwordx2 s[0:1], s[4:5], 0x0
	s_mov_b32 s7, 0x1000504
	;;#ASMSTART
	v_pk_mul_f32 v[6:7], v[64:65], v[2:3]
	;;#ASMEND
	v_perm_b32 v5, v8, v9, s7
	s_mul_i32 s8, s12, s6
	;;#ASMSTART
	v_med3_f32 v6, v6, v10, v11
v_med3_f32 v7, v7, v10, v11
v_cvt_pk_fp8_f32 v8, v6, v7
	;;#ASMEND
	s_mul_hi_i32 s9, s12, s6
	s_waitcnt lgkmcnt(0)
	s_add_u32 s8, s0, s8
	;;#ASMSTART
	v_pk_mul_f32 v[6:7], v[18:19], v[2:3]
	;;#ASMEND
	s_addc_u32 s0, s1, s9
	s_add_i32 s1, s23, 3
	;;#ASMSTART
	v_med3_f32 v6, v6, v10, v11
v_med3_f32 v7, v7, v10, v11
v_cvt_pk_fp8_f32 v9, v6, v7
	;;#ASMEND
	s_ashr_i32 s9, s1, 31
	v_perm_b32 v6, v8, v9, s7
	;;#ASMSTART
	v_pk_mul_f32 v[8:9], v[14:15], v[2:3]
	;;#ASMEND
	v_mov_b32_e32 v7, v9
	s_lshr_b32 s9, s9, 30
	;;#ASMSTART
	v_med3_f32 v8, v8, v10, v11
v_med3_f32 v7, v7, v10, v11
v_cvt_pk_fp8_f32 v9, v8, v7
	;;#ASMEND
	;;#ASMSTART
	v_pk_mul_f32 v[2:3], v[88:89], v[2:3]
	;;#ASMEND
	s_add_i32 s1, s1, s9
	;;#ASMSTART
	v_med3_f32 v2, v2, v10, v11
v_med3_f32 v3, v3, v10, v11
v_cvt_pk_fp8_f32 v7, v2, v3
	;;#ASMEND
	s_and_b32 s10, s1, -4
	s_and_b32 s9, s0, 0xffff
	s_mov_b32 s11, 0x20000
	v_perm_b32 v7, v9, v7, s7
	buffer_store_dwordx4 v[4:7], v1, s[8:11], 0 offen
	;;#ASMSTART
	s_nop 0
	;;#ASMEND
.LBB857_30:
	s_or_b64 exec, exec, s[14:15]
	s_cmp_lt_i32 s24, 1
	s_cbranch_scc1 .LBB857_17
.LBB857_31:
	s_load_dword s0, s[4:5], 0x94
	s_waitcnt lgkmcnt(0)
	s_cmp_lg_u32 s0, 1
	s_cbranch_scc1 .LBB857_17
; %bb.32:
	s_lshl_b32 s0, s24, 1
	s_add_i32 s0, s0, 2
	v_cmp_gt_u32_e32 vcc, s24, v1
	s_and_b32 s30, s0, -4
	v_mov_b32_e32 v18, 0
	v_lshlrev_b32_e32 v1, 5, v0
	v_mov_b32_e32 v14, 0
	v_mov_b32_e32 v15, 0
	;; [unrolled: 1-line block ×16, first 2 shown]
	s_barrier
	s_and_saveexec_b64 s[0:1], vcc
	s_cbranch_execz .LBB857_34
; %bb.33:
	s_mul_hi_i32 s5, s26, s6
	s_mul_i32 s4, s26, s6
	s_and_b32 s29, s29, 0xffff
	s_lshl_b64 s[4:5], s[4:5], 1
	s_add_u32 s8, s34, s4
	s_mov_b32 s31, 0x20000
	s_addc_u32 s4, s35, s5
	s_and_b32 s9, s4, 0xffff
	s_mov_b32 s10, s30
	s_mov_b32 s11, s31
	buffer_load_dwordx4 v[14:17], v1, s[8:11], 0 offen
	buffer_load_dwordx4 v[10:13], v1, s[8:11], 16 offen
	;; [unrolled: 1-line block ×4, first 2 shown]
.LBB857_34:
	s_or_b64 exec, exec, s[0:1]
	v_mov_b32_e32 v19, 0
	v_mov_b32_e32 v32, 0
	;; [unrolled: 1-line block ×15, first 2 shown]
	s_and_saveexec_b64 s[0:1], vcc
	s_cbranch_execz .LBB857_36
; %bb.35:
	s_waitcnt vmcnt(3)
	v_cvt_f32_f16_sdwa v19, v14 dst_sel:DWORD dst_unused:UNUSED_PAD src0_sel:WORD_1
	v_cvt_f32_f16_e32 v18, v14
	v_cvt_f32_f16_sdwa v33, v15 dst_sel:DWORD dst_unused:UNUSED_PAD src0_sel:WORD_1
	v_cvt_f32_f16_e32 v32, v15
	;; [unrolled: 2-line block ×4, first 2 shown]
	s_waitcnt vmcnt(2)
	v_cvt_f32_f16_sdwa v27, v10 dst_sel:DWORD dst_unused:UNUSED_PAD src0_sel:WORD_1
	v_cvt_f32_f16_e32 v26, v10
	v_cvt_f32_f16_sdwa v25, v11 dst_sel:DWORD dst_unused:UNUSED_PAD src0_sel:WORD_1
	v_cvt_f32_f16_e32 v24, v11
	;; [unrolled: 2-line block ×4, first 2 shown]
.LBB857_36:
	s_or_b64 exec, exec, s[0:1]
	s_waitcnt vmcnt(2)
	v_mul_f32_e32 v10, v19, v19
	v_fmac_f32_e32 v10, v18, v18
	v_fmac_f32_e32 v10, v32, v32
	;; [unrolled: 1-line block ×15, first 2 shown]
	s_nop 1
	v_mov_b32_dpp v11, v10 quad_perm:[1,0,3,2] row_mask:0xf bank_mask:0xf
	v_add_f32_e32 v10, v10, v11
	s_nop 1
	v_mov_b32_dpp v11, v10 quad_perm:[2,3,0,1] row_mask:0xf bank_mask:0xf
	v_add_f32_e32 v10, v10, v11
	s_nop 1
	v_mov_b32_dpp v11, v10 row_half_mirror row_mask:0xf bank_mask:0xf
	v_add_f32_e32 v10, v10, v11
	s_nop 1
	v_mov_b32_dpp v11, v10 row_mirror row_mask:0xf bank_mask:0xf
	v_add_f32_e32 v10, v10, v11
	s_nop 1
	v_mov_b32_dpp v11, v10 row_bcast:15 row_mask:0xf bank_mask:0xf
	v_add_f32_e32 v10, v10, v11
	s_nop 1
	v_mov_b32_dpp v11, v10 row_bcast:31 row_mask:0xf bank_mask:0xf
	s_and_saveexec_b64 s[0:1], s[2:3]
	s_cbranch_execz .LBB857_38
; %bb.37:
	v_lshrrev_b32_e32 v0, 4, v0
	v_add_f32_e32 v10, v10, v11
	v_and_b32_e32 v0, 60, v0
	ds_write_b32 v0, v10
.LBB857_38:
	s_or_b64 exec, exec, s[0:1]
	s_waitcnt lgkmcnt(0)
	s_barrier
	ds_read_b32 v0, v36
	s_waitcnt lgkmcnt(0)
	s_nop 0
	v_mov_b32_dpp v10, v0 quad_perm:[1,0,3,2] row_mask:0xf bank_mask:0xf
	v_add_f32_e32 v0, v0, v10
	s_nop 1
	v_mov_b32_dpp v10, v0 quad_perm:[2,3,0,1] row_mask:0xf bank_mask:0xf
	s_and_saveexec_b64 s[0:1], vcc
	s_cbranch_execz .LBB857_17
; %bb.39:
	v_cvt_f32_u32_e32 v11, s24
	v_add_f32_e32 v0, v0, v10
	s_mov_b32 s31, 0x20000
	v_div_scale_f32 v10, s[0:1], v11, v11, v0
	v_rcp_f32_e32 v12, v10
	v_div_scale_f32 v13, vcc, v0, v11, v0
	s_mov_b32 s0, 0x800000
	v_fma_f32 v14, -v10, v12, 1.0
	v_fmac_f32_e32 v12, v14, v12
	v_mul_f32_e32 v14, v13, v12
	v_fma_f32 v15, -v10, v14, v13
	v_fmac_f32_e32 v14, v15, v12
	v_fma_f32 v10, -v10, v14, v13
	v_div_fmas_f32 v10, v10, v12, v14
	v_div_fixup_f32 v0, v10, v11, v0
	v_add_f32_e32 v0, s21, v0
	v_mul_f32_e32 v10, 0x4b800000, v0
	v_cmp_gt_f32_e32 vcc, s0, v0
	v_cndmask_b32_e32 v0, v0, v10, vcc
	v_rsq_f32_e32 v0, v0
	s_mul_hi_i32 s1, s16, s6
	s_mul_i32 s0, s16, s6
	s_lshl_b64 s[0:1], s[0:1], 1
	v_mul_f32_e32 v10, 0x45800000, v0
	v_cndmask_b32_e32 v10, v0, v10, vcc
	v_mov_b32_e32 v11, v10
	;;#ASMSTART
	v_pk_mul_f32 v[12:13], v[18:19], v[10:11]
	;;#ASMEND
	;;#ASMSTART
	v_pk_mul_f32 v[14:15], v[32:33], v[10:11]
	;;#ASMEND
	;; [unrolled: 3-line block ×4, first 2 shown]
	s_waitcnt vmcnt(1)
	v_cvt_f32_f16_sdwa v29, v6 dst_sel:DWORD dst_unused:UNUSED_PAD src0_sel:WORD_1
	v_cvt_f32_f16_e32 v28, v6
	v_cvt_f32_f16_sdwa v31, v7 dst_sel:DWORD dst_unused:UNUSED_PAD src0_sel:WORD_1
	v_cvt_f32_f16_e32 v30, v7
	;;#ASMSTART
	v_pk_mul_f32 v[26:27], v[26:27], v[10:11]
	;;#ASMEND
	;;#ASMSTART
	v_pk_mul_f32 v[24:25], v[24:25], v[10:11]
	;;#ASMEND
	;; [unrolled: 3-line block ×4, first 2 shown]
	v_cvt_f32_f16_sdwa v21, v8 dst_sel:DWORD dst_unused:UNUSED_PAD src0_sel:WORD_1
	v_cvt_f32_f16_e32 v20, v8
	v_pk_add_f32 v[10:11], v[28:29], 1.0 op_sel_hi:[1,0]
	;;#ASMSTART
	v_pk_mul_f32 v[10:11], v[12:13], v[10:11]
	;;#ASMEND
	v_pk_add_f32 v[12:13], v[30:31], 1.0 op_sel_hi:[1,0]
	v_cvt_f32_f16_sdwa v29, v9 dst_sel:DWORD dst_unused:UNUSED_PAD src0_sel:WORD_1
	v_cvt_f32_f16_e32 v28, v9
	;;#ASMSTART
	v_pk_mul_f32 v[8:9], v[14:15], v[12:13]
	;;#ASMEND
	v_pk_add_f32 v[12:13], v[20:21], 1.0 op_sel_hi:[1,0]
	;;#ASMSTART
	v_pk_mul_f32 v[12:13], v[16:17], v[12:13]
	;;#ASMEND
	s_waitcnt vmcnt(0)
	v_cvt_f32_f16_sdwa v17, v2 dst_sel:DWORD dst_unused:UNUSED_PAD src0_sel:WORD_1
	v_cvt_f32_f16_e32 v16, v2
	v_cvt_f32_f16_sdwa v21, v3 dst_sel:DWORD dst_unused:UNUSED_PAD src0_sel:WORD_1
	v_cvt_f32_f16_e32 v20, v3
	v_pk_add_f32 v[14:15], v[28:29], 1.0 op_sel_hi:[1,0]
	;;#ASMSTART
	v_pk_mul_f32 v[2:3], v[18:19], v[14:15]
	;;#ASMEND
	v_cvt_f32_f16_sdwa v19, v4 dst_sel:DWORD dst_unused:UNUSED_PAD src0_sel:WORD_1
	v_cvt_f32_f16_e32 v18, v4
	v_pk_add_f32 v[14:15], v[16:17], 1.0 op_sel_hi:[1,0]
	v_pk_add_f32 v[16:17], v[20:21], 1.0 op_sel_hi:[1,0]
	v_cvt_f32_f16_sdwa v21, v5 dst_sel:DWORD dst_unused:UNUSED_PAD src0_sel:WORD_1
	v_cvt_f32_f16_e32 v20, v5
	v_pk_add_f32 v[4:5], v[18:19], 1.0 op_sel_hi:[1,0]
	;;#ASMSTART
	v_pk_mul_f32 v[14:15], v[26:27], v[14:15]
	;;#ASMEND
	;;#ASMSTART
	v_pk_mul_f32 v[16:17], v[24:25], v[16:17]
	;;#ASMEND
	;; [unrolled: 3-line block ×3, first 2 shown]
	v_pk_add_f32 v[4:5], v[20:21], 1.0 op_sel_hi:[1,0]
	;;#ASMSTART
	v_pk_mul_f32 v[6:7], v[6:7], v[4:5]
	;;#ASMEND
	v_cvt_f16_f32_e32 v0, v10
	v_cvt_f16_f32_e32 v4, v11
	;; [unrolled: 1-line block ×8, first 2 shown]
	s_add_u32 s28, s18, s0
	s_addc_u32 s0, s19, s1
	s_and_b32 s29, s0, 0xffff
	v_pack_b32_f16 v2, v0, v4
	v_pack_b32_f16 v3, v5, v8
	;; [unrolled: 1-line block ×4, first 2 shown]
	buffer_store_dwordx4 v[2:5], v1, s[28:31], 0 offen
	v_cvt_f16_f32_e32 v0, v14
	v_cvt_f16_f32_e32 v2, v15
	;; [unrolled: 1-line block ×8, first 2 shown]
	v_pack_b32_f16 v2, v0, v2
	v_pack_b32_f16 v3, v3, v4
	;; [unrolled: 1-line block ×4, first 2 shown]
	;;#ASMSTART
	s_nop 0
	;;#ASMEND
	buffer_store_dwordx4 v[2:5], v1, s[28:31], 16 offen
	;;#ASMSTART
	s_nop 0
	;;#ASMEND
	s_endpgm
	.section	.rodata,"a",@progbits
	.p2align	6, 0x0
	.amdhsa_kernel _ZN5aiter35fused_qk_rmsnorm_group_quant_kernelIDF16_DB8_Li256ELi16ELi2ELb1ELb1ELb1ELb0ELb0ELb0EEEvPT0_PvPT_S6_S6_PKS5_S8_S8_S8_S8_ffiiiiiiiiiiiii
		.amdhsa_group_segment_fixed_size 32
		.amdhsa_private_segment_fixed_size 0
		.amdhsa_kernarg_size 400
		.amdhsa_user_sgpr_count 6
		.amdhsa_user_sgpr_private_segment_buffer 1
		.amdhsa_user_sgpr_dispatch_ptr 0
		.amdhsa_user_sgpr_queue_ptr 0
		.amdhsa_user_sgpr_kernarg_segment_ptr 1
		.amdhsa_user_sgpr_dispatch_id 0
		.amdhsa_user_sgpr_flat_scratch_init 0
		.amdhsa_user_sgpr_kernarg_preload_length 0
		.amdhsa_user_sgpr_kernarg_preload_offset 0
		.amdhsa_user_sgpr_private_segment_size 0
		.amdhsa_uses_dynamic_stack 0
		.amdhsa_system_sgpr_private_segment_wavefront_offset 0
		.amdhsa_system_sgpr_workgroup_id_x 1
		.amdhsa_system_sgpr_workgroup_id_y 1
		.amdhsa_system_sgpr_workgroup_id_z 0
		.amdhsa_system_sgpr_workgroup_info 0
		.amdhsa_system_vgpr_workitem_id 0
		.amdhsa_next_free_vgpr 90
		.amdhsa_next_free_sgpr 44
		.amdhsa_accum_offset 92
		.amdhsa_reserve_vcc 1
		.amdhsa_reserve_flat_scratch 0
		.amdhsa_float_round_mode_32 0
		.amdhsa_float_round_mode_16_64 0
		.amdhsa_float_denorm_mode_32 3
		.amdhsa_float_denorm_mode_16_64 3
		.amdhsa_dx10_clamp 1
		.amdhsa_ieee_mode 1
		.amdhsa_fp16_overflow 0
		.amdhsa_tg_split 0
		.amdhsa_exception_fp_ieee_invalid_op 0
		.amdhsa_exception_fp_denorm_src 0
		.amdhsa_exception_fp_ieee_div_zero 0
		.amdhsa_exception_fp_ieee_overflow 0
		.amdhsa_exception_fp_ieee_underflow 0
		.amdhsa_exception_fp_ieee_inexact 0
		.amdhsa_exception_int_div_zero 0
	.end_amdhsa_kernel
	.section	.text._ZN5aiter35fused_qk_rmsnorm_group_quant_kernelIDF16_DB8_Li256ELi16ELi2ELb1ELb1ELb1ELb0ELb0ELb0EEEvPT0_PvPT_S6_S6_PKS5_S8_S8_S8_S8_ffiiiiiiiiiiiii,"axG",@progbits,_ZN5aiter35fused_qk_rmsnorm_group_quant_kernelIDF16_DB8_Li256ELi16ELi2ELb1ELb1ELb1ELb0ELb0ELb0EEEvPT0_PvPT_S6_S6_PKS5_S8_S8_S8_S8_ffiiiiiiiiiiiii,comdat
.Lfunc_end857:
	.size	_ZN5aiter35fused_qk_rmsnorm_group_quant_kernelIDF16_DB8_Li256ELi16ELi2ELb1ELb1ELb1ELb0ELb0ELb0EEEvPT0_PvPT_S6_S6_PKS5_S8_S8_S8_S8_ffiiiiiiiiiiiii, .Lfunc_end857-_ZN5aiter35fused_qk_rmsnorm_group_quant_kernelIDF16_DB8_Li256ELi16ELi2ELb1ELb1ELb1ELb0ELb0ELb0EEEvPT0_PvPT_S6_S6_PKS5_S8_S8_S8_S8_ffiiiiiiiiiiiii
                                        ; -- End function
	.section	.AMDGPU.csdata,"",@progbits
; Kernel info:
; codeLenInByte = 4384
; NumSgprs: 48
; NumVgprs: 90
; NumAgprs: 0
; TotalNumVgprs: 90
; ScratchSize: 0
; MemoryBound: 0
; FloatMode: 240
; IeeeMode: 1
; LDSByteSize: 32 bytes/workgroup (compile time only)
; SGPRBlocks: 5
; VGPRBlocks: 11
; NumSGPRsForWavesPerEU: 48
; NumVGPRsForWavesPerEU: 90
; AccumOffset: 92
; Occupancy: 5
; WaveLimiterHint : 0
; COMPUTE_PGM_RSRC2:SCRATCH_EN: 0
; COMPUTE_PGM_RSRC2:USER_SGPR: 6
; COMPUTE_PGM_RSRC2:TRAP_HANDLER: 0
; COMPUTE_PGM_RSRC2:TGID_X_EN: 1
; COMPUTE_PGM_RSRC2:TGID_Y_EN: 1
; COMPUTE_PGM_RSRC2:TGID_Z_EN: 0
; COMPUTE_PGM_RSRC2:TIDIG_COMP_CNT: 0
; COMPUTE_PGM_RSRC3_GFX90A:ACCUM_OFFSET: 22
; COMPUTE_PGM_RSRC3_GFX90A:TG_SPLIT: 0
	.section	.text._ZN5aiter35fused_qk_rmsnorm_group_quant_kernelItDB8_Li256ELi16ELi2ELb1ELb1ELb1ELb0ELb0ELb0EEEvPT0_PvPT_S6_S6_PKS5_S8_S8_S8_S8_ffiiiiiiiiiiiii,"axG",@progbits,_ZN5aiter35fused_qk_rmsnorm_group_quant_kernelItDB8_Li256ELi16ELi2ELb1ELb1ELb1ELb0ELb0ELb0EEEvPT0_PvPT_S6_S6_PKS5_S8_S8_S8_S8_ffiiiiiiiiiiiii,comdat
	.protected	_ZN5aiter35fused_qk_rmsnorm_group_quant_kernelItDB8_Li256ELi16ELi2ELb1ELb1ELb1ELb0ELb0ELb0EEEvPT0_PvPT_S6_S6_PKS5_S8_S8_S8_S8_ffiiiiiiiiiiiii ; -- Begin function _ZN5aiter35fused_qk_rmsnorm_group_quant_kernelItDB8_Li256ELi16ELi2ELb1ELb1ELb1ELb0ELb0ELb0EEEvPT0_PvPT_S6_S6_PKS5_S8_S8_S8_S8_ffiiiiiiiiiiiii
	.globl	_ZN5aiter35fused_qk_rmsnorm_group_quant_kernelItDB8_Li256ELi16ELi2ELb1ELb1ELb1ELb0ELb0ELb0EEEvPT0_PvPT_S6_S6_PKS5_S8_S8_S8_S8_ffiiiiiiiiiiiii
	.p2align	8
	.type	_ZN5aiter35fused_qk_rmsnorm_group_quant_kernelItDB8_Li256ELi16ELi2ELb1ELb1ELb1ELb0ELb0ELb0EEEvPT0_PvPT_S6_S6_PKS5_S8_S8_S8_S8_ffiiiiiiiiiiiii,@function
_ZN5aiter35fused_qk_rmsnorm_group_quant_kernelItDB8_Li256ELi16ELi2ELb1ELb1ELb1ELb0ELb0ELb0EEEvPT0_PvPT_S6_S6_PKS5_S8_S8_S8_S8_ffiiiiiiiiiiiii: ; @_ZN5aiter35fused_qk_rmsnorm_group_quant_kernelItDB8_Li256ELi16ELi2ELb1ELb1ELb1ELb0ELb0ELb0EEEvPT0_PvPT_S6_S6_PKS5_S8_S8_S8_S8_ffiiiiiiiiiiiii
; %bb.0:
	s_load_dwordx8 s[20:27], s[4:5], 0x50
	s_waitcnt lgkmcnt(0)
	s_cmp_ge_i32 s6, s22
	s_cbranch_scc1 .LBB858_17
; %bb.1:
	s_cmp_lg_u32 s7, 0
	s_cselect_b64 s[10:11], -1, 0
	s_cmp_eq_u32 s7, 0
	s_cselect_b64 s[8:9], -1, 0
	s_and_b64 s[0:1], s[8:9], exec
	s_load_dwordx2 s[28:29], s[4:5], 0x48
	s_load_dwordx2 s[34:35], s[4:5], 0x30
	s_load_dwordx8 s[12:19], s[4:5], 0x70
	s_cselect_b32 s7, s23, s24
	s_add_i32 s0, s7, 1
	s_lshr_b32 s1, s0, 31
	s_add_i32 s0, s0, s1
	s_lshl_b32 s0, s0, 1
	v_lshlrev_b32_e32 v1, 4, v0
	s_and_b32 s38, s0, -4
	v_cmp_gt_i32_e64 s[0:1], s7, v1
	v_mov_b32_e32 v74, 0
	v_mov_b32_e32 v75, 0
	;; [unrolled: 1-line block ×16, first 2 shown]
	s_and_saveexec_b64 s[2:3], s[0:1]
	s_cbranch_execz .LBB858_3
; %bb.2:
	s_waitcnt lgkmcnt(0)
	s_load_dwordx2 s[18:19], s[4:5], 0x28
	s_load_dwordx2 s[30:31], s[4:5], 0x40
	s_and_b64 s[36:37], s[8:9], exec
	s_cselect_b32 s22, s25, s26
	s_mov_b32 s39, 0x20000
	s_waitcnt lgkmcnt(0)
	s_cselect_b32 s25, s19, s35
	s_cselect_b32 s33, s18, s34
	s_mul_hi_i32 s19, s22, s6
	s_mul_i32 s18, s22, s6
	s_lshl_b64 s[18:19], s[18:19], 1
	s_add_u32 s40, s33, s18
	s_addc_u32 s22, s25, s19
	s_and_b64 s[18:19], s[8:9], exec
	s_cselect_b32 s36, s30, s28
	s_cselect_b32 s18, s31, s29
	s_and_b32 s41, s22, 0xffff
	s_mov_b32 s42, s38
	s_mov_b32 s43, s39
	v_lshlrev_b32_e32 v2, 5, v0
	s_and_b32 s37, s18, 0xffff
	buffer_load_dwordx4 v[78:81], v2, s[40:43], 0 offen
	buffer_load_dwordx4 v[82:85], v2, s[40:43], 16 offen
	;; [unrolled: 1-line block ×4, first 2 shown]
.LBB858_3:
	s_or_b64 exec, exec, s[2:3]
	s_and_b64 vcc, exec, s[10:11]
	s_cbranch_vccz .LBB858_7
; %bb.4:
	v_mov_b32_e32 v87, 0
	v_mov_b32_e32 v86, 0
	;; [unrolled: 1-line block ×16, first 2 shown]
	s_and_saveexec_b64 s[2:3], s[0:1]
	s_cbranch_execz .LBB858_6
; %bb.5:
	s_waitcnt vmcnt(3)
	v_cvt_f32_u32_sdwa v52, v78 dst_sel:DWORD dst_unused:UNUSED_PAD src0_sel:WORD_0
	v_cvt_f32_u32_sdwa v53, v78 dst_sel:DWORD dst_unused:UNUSED_PAD src0_sel:WORD_1
	v_cvt_f32_u32_sdwa v34, v79 dst_sel:DWORD dst_unused:UNUSED_PAD src0_sel:WORD_0
	v_cvt_f32_u32_sdwa v35, v79 dst_sel:DWORD dst_unused:UNUSED_PAD src0_sel:WORD_1
	v_cvt_f32_u32_sdwa v58, v80 dst_sel:DWORD dst_unused:UNUSED_PAD src0_sel:WORD_0
	v_cvt_f32_u32_sdwa v59, v80 dst_sel:DWORD dst_unused:UNUSED_PAD src0_sel:WORD_1
	v_cvt_f32_u32_sdwa v24, v81 dst_sel:DWORD dst_unused:UNUSED_PAD src0_sel:WORD_0
	v_cvt_f32_u32_sdwa v25, v81 dst_sel:DWORD dst_unused:UNUSED_PAD src0_sel:WORD_1
	s_waitcnt vmcnt(2)
	v_cvt_f32_u32_sdwa v44, v82 dst_sel:DWORD dst_unused:UNUSED_PAD src0_sel:WORD_0
	v_cvt_f32_u32_sdwa v45, v82 dst_sel:DWORD dst_unused:UNUSED_PAD src0_sel:WORD_1
	v_cvt_f32_u32_sdwa v18, v83 dst_sel:DWORD dst_unused:UNUSED_PAD src0_sel:WORD_0
	v_cvt_f32_u32_sdwa v19, v83 dst_sel:DWORD dst_unused:UNUSED_PAD src0_sel:WORD_1
	;; [unrolled: 2-line block ×4, first 2 shown]
.LBB858_6:
	s_or_b64 exec, exec, s[2:3]
	s_cbranch_execz .LBB858_8
	s_branch .LBB858_11
.LBB858_7:
                                        ; implicit-def: $vgpr32_vgpr33_vgpr34_vgpr35_vgpr36_vgpr37_vgpr38_vgpr39_vgpr40_vgpr41_vgpr42_vgpr43_vgpr44_vgpr45_vgpr46_vgpr47
                                        ; implicit-def: $vgpr18_vgpr19_vgpr20_vgpr21_vgpr22_vgpr23_vgpr24_vgpr25_vgpr26_vgpr27_vgpr28_vgpr29_vgpr30_vgpr31_vgpr32_vgpr33
                                        ; implicit-def: $vgpr52_vgpr53_vgpr54_vgpr55_vgpr56_vgpr57_vgpr58_vgpr59_vgpr60_vgpr61_vgpr62_vgpr63_vgpr64_vgpr65_vgpr66_vgpr67
                                        ; implicit-def: $vgpr87
                                        ; implicit-def: $vgpr54_vgpr55_vgpr56_vgpr57_vgpr58_vgpr59_vgpr60_vgpr61_vgpr62_vgpr63_vgpr64_vgpr65_vgpr66_vgpr67_vgpr68_vgpr69
                                        ; implicit-def: $vgpr8_vgpr9_vgpr10_vgpr11_vgpr12_vgpr13_vgpr14_vgpr15_vgpr16_vgpr17_vgpr18_vgpr19_vgpr20_vgpr21_vgpr22_vgpr23
                                        ; implicit-def: $vgpr36_vgpr37_vgpr38_vgpr39_vgpr40_vgpr41_vgpr42_vgpr43_vgpr44_vgpr45_vgpr46_vgpr47_vgpr48_vgpr49_vgpr50_vgpr51
                                        ; implicit-def: $vgpr2_vgpr3_vgpr4_vgpr5_vgpr6_vgpr7_vgpr8_vgpr9_vgpr10_vgpr11_vgpr12_vgpr13_vgpr14_vgpr15_vgpr16_vgpr17
.LBB858_8:
	v_mov_b32_e32 v87, 0
	v_mov_b32_e32 v86, 0
	;; [unrolled: 1-line block ×16, first 2 shown]
	s_and_saveexec_b64 s[2:3], s[0:1]
	s_cbranch_execz .LBB858_10
; %bb.9:
	s_waitcnt lgkmcnt(0)
	s_load_dwordx2 s[18:19], s[4:5], 0x38
	s_mul_hi_i32 s31, s27, s6
	s_mul_i32 s30, s27, s6
	s_lshl_b64 s[30:31], s[30:31], 1
	s_mov_b32 s39, 0x20000
	s_waitcnt lgkmcnt(0)
	s_add_u32 s36, s18, s30
	s_addc_u32 s18, s19, s31
	s_and_b32 s37, s18, 0xffff
	v_lshlrev_b32_e32 v38, 5, v0
	buffer_load_dwordx4 v[4:7], v38, s[36:39], 16 offen
	buffer_load_dwordx4 v[8:11], v38, s[36:39], 0 offen
	s_load_dwordx2 s[18:19], s[4:5], 0x20
	s_waitcnt vmcnt(5)
	v_cvt_f32_u32_sdwa v19, v78 dst_sel:DWORD dst_unused:UNUSED_PAD src0_sel:WORD_1
	v_cvt_f32_u32_sdwa v18, v78 dst_sel:DWORD dst_unused:UNUSED_PAD src0_sel:WORD_0
	v_cvt_f32_u32_sdwa v21, v79 dst_sel:DWORD dst_unused:UNUSED_PAD src0_sel:WORD_1
	v_cvt_f32_u32_sdwa v20, v79 dst_sel:DWORD dst_unused:UNUSED_PAD src0_sel:WORD_0
	;; [unrolled: 2-line block ×4, first 2 shown]
	s_waitcnt vmcnt(4)
	v_cvt_f32_u32_sdwa v3, v82 dst_sel:DWORD dst_unused:UNUSED_PAD src0_sel:WORD_1
	v_cvt_f32_u32_sdwa v2, v82 dst_sel:DWORD dst_unused:UNUSED_PAD src0_sel:WORD_0
	v_cvt_f32_u32_sdwa v13, v83 dst_sel:DWORD dst_unused:UNUSED_PAD src0_sel:WORD_1
	v_cvt_f32_u32_sdwa v12, v83 dst_sel:DWORD dst_unused:UNUSED_PAD src0_sel:WORD_0
	v_cvt_f32_u32_sdwa v15, v84 dst_sel:DWORD dst_unused:UNUSED_PAD src0_sel:WORD_1
	v_cvt_f32_u32_sdwa v14, v84 dst_sel:DWORD dst_unused:UNUSED_PAD src0_sel:WORD_0
	v_cvt_f32_u32_sdwa v16, v85 dst_sel:DWORD dst_unused:UNUSED_PAD src0_sel:WORD_0
	v_cvt_f32_u32_sdwa v17, v85 dst_sel:DWORD dst_unused:UNUSED_PAD src0_sel:WORD_1
	s_mul_hi_i32 s31, s17, s6
	s_mul_i32 s30, s17, s6
	s_lshl_b64 s[30:31], s[30:31], 1
	s_waitcnt lgkmcnt(0)
	s_add_u32 s36, s18, s30
	s_mov_b32 s17, 0x7060302
	s_addc_u32 s18, s19, s31
	s_and_b32 s37, s18, 0xffff
	s_waitcnt vmcnt(1)
	v_cvt_f32_u32_sdwa v27, v4 dst_sel:DWORD dst_unused:UNUSED_PAD src0_sel:WORD_1
	v_cvt_f32_u32_sdwa v26, v4 dst_sel:DWORD dst_unused:UNUSED_PAD src0_sel:WORD_0
	v_cvt_f32_u32_sdwa v29, v5 dst_sel:DWORD dst_unused:UNUSED_PAD src0_sel:WORD_1
	v_cvt_f32_u32_sdwa v28, v5 dst_sel:DWORD dst_unused:UNUSED_PAD src0_sel:WORD_0
	;; [unrolled: 2-line block ×3, first 2 shown]
	v_cvt_f32_u32_sdwa v32, v7 dst_sel:DWORD dst_unused:UNUSED_PAD src0_sel:WORD_0
	v_cvt_f32_u32_sdwa v33, v7 dst_sel:DWORD dst_unused:UNUSED_PAD src0_sel:WORD_1
	s_waitcnt vmcnt(0)
	v_cvt_f32_u32_sdwa v37, v8 dst_sel:DWORD dst_unused:UNUSED_PAD src0_sel:WORD_1
	v_cvt_f32_u32_sdwa v36, v8 dst_sel:DWORD dst_unused:UNUSED_PAD src0_sel:WORD_0
	v_cvt_f32_u32_sdwa v5, v10 dst_sel:DWORD dst_unused:UNUSED_PAD src0_sel:WORD_1
	v_cvt_f32_u32_sdwa v4, v10 dst_sel:DWORD dst_unused:UNUSED_PAD src0_sel:WORD_0
	v_cvt_f32_u32_sdwa v7, v11 dst_sel:DWORD dst_unused:UNUSED_PAD src0_sel:WORD_1
	v_cvt_f32_u32_sdwa v6, v11 dst_sel:DWORD dst_unused:UNUSED_PAD src0_sel:WORD_0
	v_cvt_f32_u32_sdwa v11, v9 dst_sel:DWORD dst_unused:UNUSED_PAD src0_sel:WORD_1
	v_cvt_f32_u32_sdwa v10, v9 dst_sel:DWORD dst_unused:UNUSED_PAD src0_sel:WORD_0
	v_pk_add_f32 v[58:59], v[22:23], v[4:5]
	v_pk_add_f32 v[24:25], v[24:25], v[6:7]
	;; [unrolled: 1-line block ×4, first 2 shown]
	v_perm_b32 v7, v25, v24, s17
	v_perm_b32 v6, v59, v58, s17
	v_perm_b32 v5, v35, v34, s17
	v_perm_b32 v4, v53, v52, s17
	v_pk_add_f32 v[86:87], v[16:17], v[32:33]
	v_pk_add_f32 v[14:15], v[14:15], v[30:31]
	v_pk_add_f32 v[18:19], v[12:13], v[28:29]
	v_pk_add_f32 v[44:45], v[2:3], v[26:27]
	buffer_store_dwordx4 v[4:7], v38, s[36:39], 0 offen
	;;#ASMSTART
	s_nop 0
	;;#ASMEND
	s_nop 0
	v_perm_b32 v7, v87, v86, s17
	v_perm_b32 v6, v15, v14, s17
	;; [unrolled: 1-line block ×4, first 2 shown]
	buffer_store_dwordx4 v[4:7], v38, s[36:39], 16 offen
	;;#ASMSTART
	s_nop 0
	;;#ASMEND
.LBB858_10:
	s_or_b64 exec, exec, s[2:3]
.LBB858_11:
	v_mul_f32_e32 v2, v53, v53
	v_fmac_f32_e32 v2, v52, v52
	v_fmac_f32_e32 v2, v34, v34
	;; [unrolled: 1-line block ×15, first 2 shown]
	s_nop 1
	v_mov_b32_dpp v3, v2 quad_perm:[1,0,3,2] row_mask:0xf bank_mask:0xf
	v_add_f32_e32 v2, v2, v3
	s_nop 1
	v_mov_b32_dpp v3, v2 quad_perm:[2,3,0,1] row_mask:0xf bank_mask:0xf
	v_add_f32_e32 v2, v2, v3
	s_nop 1
	v_mov_b32_dpp v3, v2 row_half_mirror row_mask:0xf bank_mask:0xf
	v_add_f32_e32 v2, v2, v3
	s_nop 1
	v_mov_b32_dpp v3, v2 row_mirror row_mask:0xf bank_mask:0xf
	v_add_f32_e32 v2, v2, v3
	s_nop 1
	v_mov_b32_dpp v3, v2 row_bcast:15 row_mask:0xf bank_mask:0xf
	v_add_f32_e32 v2, v2, v3
	v_and_b32_e32 v3, 63, v0
	v_cmp_eq_u32_e64 s[2:3], 63, v3
	s_nop 0
	v_mov_b32_dpp v3, v2 row_bcast:31 row_mask:0xf bank_mask:0xf
	s_waitcnt lgkmcnt(0)
	s_and_saveexec_b64 s[18:19], s[2:3]
	s_cbranch_execz .LBB858_13
; %bb.12:
	v_add_f32_e32 v2, v2, v3
	v_lshrrev_b32_e32 v3, 4, v0
	v_and_b32_e32 v3, 60, v3
	ds_write_b32 v3, v2 offset:16
.LBB858_13:
	s_or_b64 exec, exec, s[18:19]
	v_and_b32_e32 v2, 3, v0
	v_lshlrev_b32_e32 v36, 2, v2
	s_waitcnt lgkmcnt(0)
	s_barrier
	ds_read_b32 v2, v36 offset:16
	s_load_dwordx2 s[18:19], s[4:5], 0x18
	s_waitcnt lgkmcnt(0)
	v_mov_b32_dpp v3, v2 quad_perm:[1,0,3,2] row_mask:0xf bank_mask:0xf
	v_add_f32_e32 v2, v2, v3
	s_nop 1
	v_mov_b32_dpp v3, v2 quad_perm:[2,3,0,1] row_mask:0xf bank_mask:0xf
	s_and_saveexec_b64 s[30:31], s[0:1]
	s_cbranch_execnz .LBB858_18
; %bb.14:
	s_or_b64 exec, exec, s[30:31]
	s_mov_b64 s[8:9], -1
	s_and_b64 vcc, exec, s[10:11]
	s_cbranch_vccnz .LBB858_19
.LBB858_15:
	s_andn2_b64 vcc, exec, s[8:9]
	s_cbranch_vccz .LBB858_22
.LBB858_16:
	s_cmp_lt_i32 s24, 1
	s_cbranch_scc0 .LBB858_31
.LBB858_17:
	s_endpgm
.LBB858_18:
	v_add_f32_e32 v2, v2, v3
	v_cvt_f32_u32_e32 v3, s7
	s_mov_b32 s7, 0x800000
	s_waitcnt vmcnt(1)
	v_cvt_f32_u32_sdwa v17, v74 dst_sel:DWORD dst_unused:UNUSED_PAD src0_sel:WORD_1
	v_cvt_f32_u32_sdwa v16, v74 dst_sel:DWORD dst_unused:UNUSED_PAD src0_sel:WORD_0
	v_div_scale_f32 v4, s[36:37], v3, v3, v2
	v_rcp_f32_e32 v5, v4
	v_pk_add_f32 v[16:17], v[16:17], 1.0 op_sel_hi:[1,0]
	v_cvt_f32_u32_sdwa v21, v77 dst_sel:DWORD dst_unused:UNUSED_PAD src0_sel:WORD_1
	v_cvt_f32_u32_sdwa v20, v77 dst_sel:DWORD dst_unused:UNUSED_PAD src0_sel:WORD_0
	v_fma_f32 v6, -v4, v5, 1.0
	v_fmac_f32_e32 v5, v6, v5
	v_div_scale_f32 v6, vcc, v2, v3, v2
	v_mul_f32_e32 v7, v6, v5
	v_fma_f32 v8, -v4, v7, v6
	v_fmac_f32_e32 v7, v8, v5
	v_fma_f32 v4, -v4, v7, v6
	v_div_fmas_f32 v4, v4, v5, v7
	v_div_fixup_f32 v2, v4, v3, v2
	v_mov_b32_e32 v3, s21
	v_mov_b32_e32 v4, s20
	v_cndmask_b32_e64 v3, v3, v4, s[8:9]
	v_add_f32_e32 v2, v3, v2
	v_mul_f32_e32 v3, 0x4b800000, v2
	v_cmp_gt_f32_e32 vcc, s7, v2
	v_cndmask_b32_e32 v2, v2, v3, vcc
	v_rsq_f32_e32 v2, v2
	s_waitcnt vmcnt(0)
	v_cvt_f32_u32_sdwa v23, v72 dst_sel:DWORD dst_unused:UNUSED_PAD src0_sel:WORD_1
	v_cvt_f32_u32_sdwa v22, v72 dst_sel:DWORD dst_unused:UNUSED_PAD src0_sel:WORD_0
	v_mul_f32_e32 v3, 0x45800000, v2
	v_cndmask_b32_e32 v2, v2, v3, vcc
	v_mov_b32_e32 v3, v2
	;;#ASMSTART
	v_pk_mul_f32 v[4:5], v[52:53], v[2:3]
	;;#ASMEND
	;;#ASMSTART
	v_pk_mul_f32 v[6:7], v[34:35], v[2:3]
	;;#ASMEND
	;; [unrolled: 3-line block ×9, first 2 shown]
	v_cvt_f32_u32_sdwa v5, v75 dst_sel:DWORD dst_unused:UNUSED_PAD src0_sel:WORD_1
	v_cvt_f32_u32_sdwa v4, v75 dst_sel:DWORD dst_unused:UNUSED_PAD src0_sel:WORD_0
	v_cvt_f32_u32_sdwa v17, v76 dst_sel:DWORD dst_unused:UNUSED_PAD src0_sel:WORD_1
	v_cvt_f32_u32_sdwa v16, v76 dst_sel:DWORD dst_unused:UNUSED_PAD src0_sel:WORD_0
	v_cvt_f32_u32_sdwa v25, v73 dst_sel:DWORD dst_unused:UNUSED_PAD src0_sel:WORD_1
	v_pk_add_f32 v[4:5], v[4:5], 1.0 op_sel_hi:[1,0]
	;;#ASMSTART
	v_pk_mul_f32 v[34:35], v[6:7], v[4:5]
	;;#ASMEND
	v_pk_add_f32 v[4:5], v[16:17], 1.0 op_sel_hi:[1,0]
	v_pk_add_f32 v[6:7], v[20:21], 1.0 op_sel_hi:[1,0]
	v_cvt_f32_u32_sdwa v17, v70 dst_sel:DWORD dst_unused:UNUSED_PAD src0_sel:WORD_1
	v_cvt_f32_u32_sdwa v16, v70 dst_sel:DWORD dst_unused:UNUSED_PAD src0_sel:WORD_0
	v_cvt_f32_u32_sdwa v21, v71 dst_sel:DWORD dst_unused:UNUSED_PAD src0_sel:WORD_1
	v_cvt_f32_u32_sdwa v20, v71 dst_sel:DWORD dst_unused:UNUSED_PAD src0_sel:WORD_0
	v_cvt_f32_u32_sdwa v24, v73 dst_sel:DWORD dst_unused:UNUSED_PAD src0_sel:WORD_0
	v_pk_add_f32 v[16:17], v[16:17], 1.0 op_sel_hi:[1,0]
	v_pk_add_f32 v[22:23], v[22:23], 1.0 op_sel_hi:[1,0]
	;; [unrolled: 1-line block ×4, first 2 shown]
	;;#ASMSTART
	v_pk_mul_f32 v[58:59], v[8:9], v[4:5]
	;;#ASMEND
	;;#ASMSTART
	v_pk_mul_f32 v[24:25], v[10:11], v[6:7]
	;;#ASMEND
	;; [unrolled: 3-line block ×6, first 2 shown]
	s_or_b64 exec, exec, s[30:31]
	s_mov_b64 s[8:9], -1
	s_and_b64 vcc, exec, s[10:11]
	s_cbranch_vccz .LBB858_15
.LBB858_19:
	s_and_saveexec_b64 s[8:9], s[0:1]
	s_cbranch_execz .LBB858_21
; %bb.20:
	s_mul_hi_i32 s11, s16, s6
	s_mul_i32 s10, s16, s6
	s_lshl_b64 s[10:11], s[10:11], 1
	s_add_u32 s36, s18, s10
	s_addc_u32 s7, s19, s11
	s_and_b32 s37, s7, 0xffff
	s_mov_b32 s7, 0x7060302
	s_mov_b32 s39, 0x20000
	v_perm_b32 v5, v25, v24, s7
	v_perm_b32 v4, v59, v58, s7
	;; [unrolled: 1-line block ×4, first 2 shown]
	v_lshlrev_b32_e32 v6, 5, v0
	buffer_store_dwordx4 v[2:5], v6, s[36:39], 0 offen
	;;#ASMSTART
	s_nop 0
	;;#ASMEND
	s_nop 0
	v_perm_b32 v5, v87, v86, s7
	v_perm_b32 v4, v15, v14, s7
	;; [unrolled: 1-line block ×4, first 2 shown]
	buffer_store_dwordx4 v[2:5], v6, s[36:39], 16 offen
	;;#ASMSTART
	s_nop 0
	;;#ASMEND
.LBB858_21:
	s_or_b64 exec, exec, s[8:9]
	s_cbranch_execnz .LBB858_16
.LBB858_22:
	v_mov_b32_e32 v2, 0
	s_and_saveexec_b64 s[8:9], s[0:1]
	s_cbranch_execz .LBB858_24
; %bb.23:
	s_load_dwordx2 s[10:11], s[4:5], 0x10
	s_mul_hi_i32 s31, s15, s6
	s_mul_i32 s30, s15, s6
	s_lshl_b64 s[30:31], s[30:31], 1
	s_mov_b32 s39, 0x20000
	s_waitcnt lgkmcnt(0)
	s_add_u32 s36, s10, s30
	s_addc_u32 s7, s11, s31
	s_and_b32 s37, s7, 0xffff
	s_mov_b32 s7, 0x7060302
	v_perm_b32 v5, v25, v24, s7
	v_perm_b32 v4, v59, v58, s7
	;; [unrolled: 1-line block ×4, first 2 shown]
	v_lshlrev_b32_e32 v6, 5, v0
	buffer_store_dwordx4 v[2:5], v6, s[36:39], 0 offen
	;;#ASMSTART
	s_nop 0
	;;#ASMEND
	s_nop 0
	v_perm_b32 v5, v87, v86, s7
	v_perm_b32 v4, v15, v14, s7
	;; [unrolled: 1-line block ×4, first 2 shown]
	buffer_store_dwordx4 v[2:5], v6, s[36:39], 16 offen
	;;#ASMSTART
	s_nop 0
	;;#ASMEND
	s_nop 0
	v_mov_b32_e32 v2, 0x2edbe6ff
.LBB858_24:
	s_or_b64 exec, exec, s[8:9]
	s_and_saveexec_b64 s[8:9], s[0:1]
	s_cbranch_execz .LBB858_26
; %bb.25:
	v_and_b32_e32 v3, 0x7fffffff, v52
	v_and_b32_e32 v4, 0x7fffffff, v53
	;;#ASMSTART
	v_max3_f32 v2, v2, v3, v4

	;;#ASMEND
	v_and_b32_e32 v3, 0x7fffffff, v34
	v_and_b32_e32 v4, 0x7fffffff, v35
	;;#ASMSTART
	v_max3_f32 v2, v2, v3, v4

	;;#ASMEND
	;; [unrolled: 6-line block ×8, first 2 shown]
.LBB858_26:
	s_or_b64 exec, exec, s[8:9]
	;;#ASMSTART
	v_max_f32 v3, v2, v2 quad_perm:[1,0,3,2] row_mask:0xf bank_mask:0xf bound_ctrl:1
	;;#ASMEND
	v_mul_f32_e32 v2, 0x3b124925, v3
	v_and_b32_e32 v3, 1, v0
	v_cmp_eq_u32_e32 vcc, 0, v3
	v_cmp_gt_i32_e64 s[8:9], s23, v1
	s_and_b64 s[10:11], vcc, s[8:9]
	s_and_saveexec_b64 s[8:9], s[10:11]
	s_cbranch_execz .LBB858_28
; %bb.27:
	s_load_dwordx2 s[10:11], s[4:5], 0x8
	v_lshrrev_b32_e32 v3, 1, v0
	s_mul_hi_i32 s31, s13, s6
	s_mul_i32 s30, s13, s6
	v_mad_i64_i32 v[4:5], s[14:15], s14, v3, 0
	s_lshl_b64 s[14:15], s[30:31], 2
	s_waitcnt lgkmcnt(0)
	s_add_u32 s7, s10, s14
	s_addc_u32 s10, s11, s15
	v_lshlrev_b64 v[4:5], 2, v[4:5]
	v_mov_b32_e32 v3, s10
	v_add_co_u32_e32 v4, vcc, s7, v4
	v_addc_co_u32_e32 v5, vcc, v3, v5, vcc
	global_store_dword v[4:5], v2, off
.LBB858_28:
	s_or_b64 exec, exec, s[8:9]
	;;#ASMSTART
	v_rcp_f32 v2, v2
	;;#ASMEND
	s_and_saveexec_b64 s[14:15], s[0:1]
	s_cbranch_execz .LBB858_30
; %bb.29:
	v_mov_b32_e32 v3, v2
	;;#ASMSTART
	v_pk_mul_f32 v[4:5], v[52:53], v[2:3]
	;;#ASMEND
	v_mov_b32_e32 v10, 0xc3e00000
	v_mov_b32_e32 v11, 0x43e00000
	;;#ASMSTART
	v_med3_f32 v4, v4, v10, v11
v_med3_f32 v5, v5, v10, v11
v_cvt_pk_fp8_f32 v6, v4, v5
	;;#ASMEND
	;;#ASMSTART
	v_pk_mul_f32 v[4:5], v[34:35], v[2:3]
	;;#ASMEND
	;;#ASMSTART
	v_med3_f32 v4, v4, v10, v11
v_med3_f32 v5, v5, v10, v11
v_cvt_pk_fp8_f32 v7, v4, v5
	;;#ASMEND
	;;#ASMSTART
	v_pk_mul_f32 v[4:5], v[58:59], v[2:3]
	;;#ASMEND
	;; [unrolled: 8-line block ×3, first 2 shown]
	;;#ASMSTART
	v_med3_f32 v4, v4, v10, v11
v_med3_f32 v5, v5, v10, v11
v_cvt_pk_fp8_f32 v9, v4, v5
	;;#ASMEND
	s_mov_b32 s0, 0x5040100
	v_perm_b32 v4, v7, v6, s0
	s_mov_b32 s0, 0x1060504
	v_perm_b32 v4, v4, v7, s0
	s_load_dwordx2 s[0:1], s[4:5], 0x0
	s_mov_b32 s7, 0x1000504
	;;#ASMSTART
	v_pk_mul_f32 v[6:7], v[44:45], v[2:3]
	;;#ASMEND
	v_perm_b32 v5, v8, v9, s7
	s_mul_i32 s8, s12, s6
	;;#ASMSTART
	v_med3_f32 v6, v6, v10, v11
v_med3_f32 v7, v7, v10, v11
v_cvt_pk_fp8_f32 v8, v6, v7
	;;#ASMEND
	s_mul_hi_i32 s9, s12, s6
	s_waitcnt lgkmcnt(0)
	s_add_u32 s8, s0, s8
	;;#ASMSTART
	v_pk_mul_f32 v[6:7], v[18:19], v[2:3]
	;;#ASMEND
	s_addc_u32 s0, s1, s9
	s_add_i32 s1, s23, 3
	;;#ASMSTART
	v_med3_f32 v6, v6, v10, v11
v_med3_f32 v7, v7, v10, v11
v_cvt_pk_fp8_f32 v9, v6, v7
	;;#ASMEND
	s_ashr_i32 s9, s1, 31
	v_perm_b32 v6, v8, v9, s7
	;;#ASMSTART
	v_pk_mul_f32 v[8:9], v[14:15], v[2:3]
	;;#ASMEND
	v_mov_b32_e32 v7, v9
	s_lshr_b32 s9, s9, 30
	;;#ASMSTART
	v_med3_f32 v8, v8, v10, v11
v_med3_f32 v7, v7, v10, v11
v_cvt_pk_fp8_f32 v9, v8, v7
	;;#ASMEND
	;;#ASMSTART
	v_pk_mul_f32 v[2:3], v[86:87], v[2:3]
	;;#ASMEND
	s_add_i32 s1, s1, s9
	;;#ASMSTART
	v_med3_f32 v2, v2, v10, v11
v_med3_f32 v3, v3, v10, v11
v_cvt_pk_fp8_f32 v7, v2, v3
	;;#ASMEND
	s_and_b32 s10, s1, -4
	s_and_b32 s9, s0, 0xffff
	s_mov_b32 s11, 0x20000
	v_perm_b32 v7, v9, v7, s7
	buffer_store_dwordx4 v[4:7], v1, s[8:11], 0 offen
	;;#ASMSTART
	s_nop 0
	;;#ASMEND
.LBB858_30:
	s_or_b64 exec, exec, s[14:15]
	s_cmp_lt_i32 s24, 1
	s_cbranch_scc1 .LBB858_17
.LBB858_31:
	s_load_dword s0, s[4:5], 0x94
	s_waitcnt lgkmcnt(0)
	s_cmp_lg_u32 s0, 1
	s_cbranch_scc1 .LBB858_17
; %bb.32:
	s_lshl_b32 s0, s24, 1
	s_add_i32 s0, s0, 2
	v_cmp_gt_u32_e32 vcc, s24, v1
	s_and_b32 s30, s0, -4
	v_mov_b32_e32 v18, 0
	v_lshlrev_b32_e32 v1, 5, v0
	v_mov_b32_e32 v14, 0
	v_mov_b32_e32 v15, 0
	;; [unrolled: 1-line block ×16, first 2 shown]
	s_barrier
	s_and_saveexec_b64 s[0:1], vcc
	s_cbranch_execz .LBB858_34
; %bb.33:
	s_mul_hi_i32 s5, s26, s6
	s_mul_i32 s4, s26, s6
	s_and_b32 s29, s29, 0xffff
	s_lshl_b64 s[4:5], s[4:5], 1
	s_add_u32 s8, s34, s4
	s_mov_b32 s31, 0x20000
	s_addc_u32 s4, s35, s5
	s_and_b32 s9, s4, 0xffff
	s_mov_b32 s10, s30
	s_mov_b32 s11, s31
	buffer_load_dwordx4 v[14:17], v1, s[8:11], 0 offen
	buffer_load_dwordx4 v[10:13], v1, s[8:11], 16 offen
	;; [unrolled: 1-line block ×4, first 2 shown]
.LBB858_34:
	s_or_b64 exec, exec, s[0:1]
	v_mov_b32_e32 v19, 0
	v_mov_b32_e32 v32, 0
	;; [unrolled: 1-line block ×15, first 2 shown]
	s_and_saveexec_b64 s[0:1], vcc
	s_cbranch_execz .LBB858_36
; %bb.35:
	s_waitcnt vmcnt(3)
	v_cvt_f32_u32_sdwa v18, v14 dst_sel:DWORD dst_unused:UNUSED_PAD src0_sel:WORD_0
	v_cvt_f32_u32_sdwa v19, v14 dst_sel:DWORD dst_unused:UNUSED_PAD src0_sel:WORD_1
	v_cvt_f32_u32_sdwa v32, v15 dst_sel:DWORD dst_unused:UNUSED_PAD src0_sel:WORD_0
	v_cvt_f32_u32_sdwa v33, v15 dst_sel:DWORD dst_unused:UNUSED_PAD src0_sel:WORD_1
	v_cvt_f32_u32_sdwa v30, v16 dst_sel:DWORD dst_unused:UNUSED_PAD src0_sel:WORD_0
	v_cvt_f32_u32_sdwa v31, v16 dst_sel:DWORD dst_unused:UNUSED_PAD src0_sel:WORD_1
	v_cvt_f32_u32_sdwa v28, v17 dst_sel:DWORD dst_unused:UNUSED_PAD src0_sel:WORD_0
	v_cvt_f32_u32_sdwa v29, v17 dst_sel:DWORD dst_unused:UNUSED_PAD src0_sel:WORD_1
	s_waitcnt vmcnt(2)
	v_cvt_f32_u32_sdwa v26, v10 dst_sel:DWORD dst_unused:UNUSED_PAD src0_sel:WORD_0
	v_cvt_f32_u32_sdwa v27, v10 dst_sel:DWORD dst_unused:UNUSED_PAD src0_sel:WORD_1
	v_cvt_f32_u32_sdwa v24, v11 dst_sel:DWORD dst_unused:UNUSED_PAD src0_sel:WORD_0
	v_cvt_f32_u32_sdwa v25, v11 dst_sel:DWORD dst_unused:UNUSED_PAD src0_sel:WORD_1
	;; [unrolled: 2-line block ×4, first 2 shown]
.LBB858_36:
	s_or_b64 exec, exec, s[0:1]
	s_waitcnt vmcnt(2)
	v_mul_f32_e32 v10, v19, v19
	v_fmac_f32_e32 v10, v18, v18
	v_fmac_f32_e32 v10, v32, v32
	;; [unrolled: 1-line block ×15, first 2 shown]
	s_nop 1
	v_mov_b32_dpp v11, v10 quad_perm:[1,0,3,2] row_mask:0xf bank_mask:0xf
	v_add_f32_e32 v10, v10, v11
	s_nop 1
	v_mov_b32_dpp v11, v10 quad_perm:[2,3,0,1] row_mask:0xf bank_mask:0xf
	v_add_f32_e32 v10, v10, v11
	s_nop 1
	v_mov_b32_dpp v11, v10 row_half_mirror row_mask:0xf bank_mask:0xf
	v_add_f32_e32 v10, v10, v11
	s_nop 1
	v_mov_b32_dpp v11, v10 row_mirror row_mask:0xf bank_mask:0xf
	v_add_f32_e32 v10, v10, v11
	s_nop 1
	v_mov_b32_dpp v11, v10 row_bcast:15 row_mask:0xf bank_mask:0xf
	v_add_f32_e32 v10, v10, v11
	s_nop 1
	v_mov_b32_dpp v11, v10 row_bcast:31 row_mask:0xf bank_mask:0xf
	s_and_saveexec_b64 s[0:1], s[2:3]
	s_cbranch_execz .LBB858_38
; %bb.37:
	v_lshrrev_b32_e32 v0, 4, v0
	v_add_f32_e32 v10, v10, v11
	v_and_b32_e32 v0, 60, v0
	ds_write_b32 v0, v10
.LBB858_38:
	s_or_b64 exec, exec, s[0:1]
	s_waitcnt lgkmcnt(0)
	s_barrier
	ds_read_b32 v0, v36
	s_waitcnt lgkmcnt(0)
	s_nop 0
	v_mov_b32_dpp v10, v0 quad_perm:[1,0,3,2] row_mask:0xf bank_mask:0xf
	v_add_f32_e32 v0, v0, v10
	s_nop 1
	v_mov_b32_dpp v10, v0 quad_perm:[2,3,0,1] row_mask:0xf bank_mask:0xf
	s_and_saveexec_b64 s[0:1], vcc
	s_cbranch_execz .LBB858_17
; %bb.39:
	v_cvt_f32_u32_e32 v11, s24
	v_add_f32_e32 v0, v0, v10
	s_mov_b32 s31, 0x20000
	v_div_scale_f32 v10, s[0:1], v11, v11, v0
	v_rcp_f32_e32 v12, v10
	v_div_scale_f32 v13, vcc, v0, v11, v0
	s_mov_b32 s0, 0x800000
	v_fma_f32 v14, -v10, v12, 1.0
	v_fmac_f32_e32 v12, v14, v12
	v_mul_f32_e32 v14, v13, v12
	v_fma_f32 v15, -v10, v14, v13
	v_fmac_f32_e32 v14, v15, v12
	v_fma_f32 v10, -v10, v14, v13
	v_div_fmas_f32 v10, v10, v12, v14
	v_div_fixup_f32 v0, v10, v11, v0
	v_add_f32_e32 v0, s21, v0
	v_mul_f32_e32 v10, 0x4b800000, v0
	v_cmp_gt_f32_e32 vcc, s0, v0
	v_cndmask_b32_e32 v0, v0, v10, vcc
	v_rsq_f32_e32 v0, v0
	s_mul_hi_i32 s1, s16, s6
	s_mul_i32 s0, s16, s6
	s_lshl_b64 s[0:1], s[0:1], 1
	v_mul_f32_e32 v10, 0x45800000, v0
	v_cndmask_b32_e32 v10, v0, v10, vcc
	v_mov_b32_e32 v11, v10
	;;#ASMSTART
	v_pk_mul_f32 v[12:13], v[18:19], v[10:11]
	;;#ASMEND
	;;#ASMSTART
	v_pk_mul_f32 v[14:15], v[32:33], v[10:11]
	;;#ASMEND
	;;#ASMSTART
	v_pk_mul_f32 v[16:17], v[30:31], v[10:11]
	;;#ASMEND
	;;#ASMSTART
	v_pk_mul_f32 v[18:19], v[28:29], v[10:11]
	;;#ASMEND
	s_waitcnt vmcnt(1)
	v_cvt_f32_u32_sdwa v29, v6 dst_sel:DWORD dst_unused:UNUSED_PAD src0_sel:WORD_1
	v_cvt_f32_u32_sdwa v28, v6 dst_sel:DWORD dst_unused:UNUSED_PAD src0_sel:WORD_0
	v_cvt_f32_u32_sdwa v31, v7 dst_sel:DWORD dst_unused:UNUSED_PAD src0_sel:WORD_1
	v_cvt_f32_u32_sdwa v30, v7 dst_sel:DWORD dst_unused:UNUSED_PAD src0_sel:WORD_0
	;;#ASMSTART
	v_pk_mul_f32 v[26:27], v[26:27], v[10:11]
	;;#ASMEND
	;;#ASMSTART
	v_pk_mul_f32 v[24:25], v[24:25], v[10:11]
	;;#ASMEND
	;; [unrolled: 3-line block ×4, first 2 shown]
	v_cvt_f32_u32_sdwa v21, v8 dst_sel:DWORD dst_unused:UNUSED_PAD src0_sel:WORD_1
	v_cvt_f32_u32_sdwa v20, v8 dst_sel:DWORD dst_unused:UNUSED_PAD src0_sel:WORD_0
	v_pk_add_f32 v[10:11], v[28:29], 1.0 op_sel_hi:[1,0]
	;;#ASMSTART
	v_pk_mul_f32 v[10:11], v[12:13], v[10:11]
	;;#ASMEND
	v_pk_add_f32 v[12:13], v[30:31], 1.0 op_sel_hi:[1,0]
	v_cvt_f32_u32_sdwa v29, v9 dst_sel:DWORD dst_unused:UNUSED_PAD src0_sel:WORD_1
	v_cvt_f32_u32_sdwa v28, v9 dst_sel:DWORD dst_unused:UNUSED_PAD src0_sel:WORD_0
	;;#ASMSTART
	v_pk_mul_f32 v[8:9], v[14:15], v[12:13]
	;;#ASMEND
	v_pk_add_f32 v[12:13], v[20:21], 1.0 op_sel_hi:[1,0]
	;;#ASMSTART
	v_pk_mul_f32 v[12:13], v[16:17], v[12:13]
	;;#ASMEND
	s_waitcnt vmcnt(0)
	v_cvt_f32_u32_sdwa v17, v2 dst_sel:DWORD dst_unused:UNUSED_PAD src0_sel:WORD_1
	v_cvt_f32_u32_sdwa v16, v2 dst_sel:DWORD dst_unused:UNUSED_PAD src0_sel:WORD_0
	v_cvt_f32_u32_sdwa v21, v3 dst_sel:DWORD dst_unused:UNUSED_PAD src0_sel:WORD_1
	v_cvt_f32_u32_sdwa v20, v3 dst_sel:DWORD dst_unused:UNUSED_PAD src0_sel:WORD_0
	v_pk_add_f32 v[14:15], v[28:29], 1.0 op_sel_hi:[1,0]
	;;#ASMSTART
	v_pk_mul_f32 v[14:15], v[18:19], v[14:15]
	;;#ASMEND
	v_pk_add_f32 v[2:3], v[16:17], 1.0 op_sel_hi:[1,0]
	v_cvt_f32_u32_sdwa v19, v4 dst_sel:DWORD dst_unused:UNUSED_PAD src0_sel:WORD_1
	v_cvt_f32_u32_sdwa v18, v4 dst_sel:DWORD dst_unused:UNUSED_PAD src0_sel:WORD_0
	;;#ASMSTART
	v_pk_mul_f32 v[16:17], v[26:27], v[2:3]
	;;#ASMEND
	v_pk_add_f32 v[2:3], v[20:21], 1.0 op_sel_hi:[1,0]
	v_cvt_f32_u32_sdwa v21, v5 dst_sel:DWORD dst_unused:UNUSED_PAD src0_sel:WORD_1
	v_cvt_f32_u32_sdwa v20, v5 dst_sel:DWORD dst_unused:UNUSED_PAD src0_sel:WORD_0
	s_add_u32 s28, s18, s0
	;;#ASMSTART
	v_pk_mul_f32 v[24:25], v[24:25], v[2:3]
	;;#ASMEND
	v_pk_add_f32 v[2:3], v[18:19], 1.0 op_sel_hi:[1,0]
	s_addc_u32 s0, s19, s1
	;;#ASMSTART
	v_pk_mul_f32 v[18:19], v[22:23], v[2:3]
	;;#ASMEND
	v_pk_add_f32 v[2:3], v[20:21], 1.0 op_sel_hi:[1,0]
	s_and_b32 s29, s0, 0xffff
	s_mov_b32 s0, 0x7060302
	;;#ASMSTART
	v_pk_mul_f32 v[6:7], v[6:7], v[2:3]
	;;#ASMEND
	v_perm_b32 v2, v11, v10, s0
	v_perm_b32 v3, v9, v8, s0
	;; [unrolled: 1-line block ×4, first 2 shown]
	buffer_store_dwordx4 v[2:5], v1, s[28:31], 0 offen
	;;#ASMSTART
	s_nop 0
	;;#ASMEND
	s_nop 0
	v_perm_b32 v2, v17, v16, s0
	v_perm_b32 v3, v25, v24, s0
	;; [unrolled: 1-line block ×4, first 2 shown]
	buffer_store_dwordx4 v[2:5], v1, s[28:31], 16 offen
	;;#ASMSTART
	s_nop 0
	;;#ASMEND
	s_endpgm
	.section	.rodata,"a",@progbits
	.p2align	6, 0x0
	.amdhsa_kernel _ZN5aiter35fused_qk_rmsnorm_group_quant_kernelItDB8_Li256ELi16ELi2ELb1ELb1ELb1ELb0ELb0ELb0EEEvPT0_PvPT_S6_S6_PKS5_S8_S8_S8_S8_ffiiiiiiiiiiiii
		.amdhsa_group_segment_fixed_size 32
		.amdhsa_private_segment_fixed_size 0
		.amdhsa_kernarg_size 400
		.amdhsa_user_sgpr_count 6
		.amdhsa_user_sgpr_private_segment_buffer 1
		.amdhsa_user_sgpr_dispatch_ptr 0
		.amdhsa_user_sgpr_queue_ptr 0
		.amdhsa_user_sgpr_kernarg_segment_ptr 1
		.amdhsa_user_sgpr_dispatch_id 0
		.amdhsa_user_sgpr_flat_scratch_init 0
		.amdhsa_user_sgpr_kernarg_preload_length 0
		.amdhsa_user_sgpr_kernarg_preload_offset 0
		.amdhsa_user_sgpr_private_segment_size 0
		.amdhsa_uses_dynamic_stack 0
		.amdhsa_system_sgpr_private_segment_wavefront_offset 0
		.amdhsa_system_sgpr_workgroup_id_x 1
		.amdhsa_system_sgpr_workgroup_id_y 1
		.amdhsa_system_sgpr_workgroup_id_z 0
		.amdhsa_system_sgpr_workgroup_info 0
		.amdhsa_system_vgpr_workitem_id 0
		.amdhsa_next_free_vgpr 88
		.amdhsa_next_free_sgpr 44
		.amdhsa_accum_offset 88
		.amdhsa_reserve_vcc 1
		.amdhsa_reserve_flat_scratch 0
		.amdhsa_float_round_mode_32 0
		.amdhsa_float_round_mode_16_64 0
		.amdhsa_float_denorm_mode_32 3
		.amdhsa_float_denorm_mode_16_64 3
		.amdhsa_dx10_clamp 1
		.amdhsa_ieee_mode 1
		.amdhsa_fp16_overflow 0
		.amdhsa_tg_split 0
		.amdhsa_exception_fp_ieee_invalid_op 0
		.amdhsa_exception_fp_denorm_src 0
		.amdhsa_exception_fp_ieee_div_zero 0
		.amdhsa_exception_fp_ieee_overflow 0
		.amdhsa_exception_fp_ieee_underflow 0
		.amdhsa_exception_fp_ieee_inexact 0
		.amdhsa_exception_int_div_zero 0
	.end_amdhsa_kernel
	.section	.text._ZN5aiter35fused_qk_rmsnorm_group_quant_kernelItDB8_Li256ELi16ELi2ELb1ELb1ELb1ELb0ELb0ELb0EEEvPT0_PvPT_S6_S6_PKS5_S8_S8_S8_S8_ffiiiiiiiiiiiii,"axG",@progbits,_ZN5aiter35fused_qk_rmsnorm_group_quant_kernelItDB8_Li256ELi16ELi2ELb1ELb1ELb1ELb0ELb0ELb0EEEvPT0_PvPT_S6_S6_PKS5_S8_S8_S8_S8_ffiiiiiiiiiiiii,comdat
.Lfunc_end858:
	.size	_ZN5aiter35fused_qk_rmsnorm_group_quant_kernelItDB8_Li256ELi16ELi2ELb1ELb1ELb1ELb0ELb0ELb0EEEvPT0_PvPT_S6_S6_PKS5_S8_S8_S8_S8_ffiiiiiiiiiiiii, .Lfunc_end858-_ZN5aiter35fused_qk_rmsnorm_group_quant_kernelItDB8_Li256ELi16ELi2ELb1ELb1ELb1ELb0ELb0ELb0EEEvPT0_PvPT_S6_S6_PKS5_S8_S8_S8_S8_ffiiiiiiiiiiiii
                                        ; -- End function
	.section	.AMDGPU.csdata,"",@progbits
; Kernel info:
; codeLenInByte = 4368
; NumSgprs: 48
; NumVgprs: 88
; NumAgprs: 0
; TotalNumVgprs: 88
; ScratchSize: 0
; MemoryBound: 0
; FloatMode: 240
; IeeeMode: 1
; LDSByteSize: 32 bytes/workgroup (compile time only)
; SGPRBlocks: 5
; VGPRBlocks: 10
; NumSGPRsForWavesPerEU: 48
; NumVGPRsForWavesPerEU: 88
; AccumOffset: 88
; Occupancy: 5
; WaveLimiterHint : 0
; COMPUTE_PGM_RSRC2:SCRATCH_EN: 0
; COMPUTE_PGM_RSRC2:USER_SGPR: 6
; COMPUTE_PGM_RSRC2:TRAP_HANDLER: 0
; COMPUTE_PGM_RSRC2:TGID_X_EN: 1
; COMPUTE_PGM_RSRC2:TGID_Y_EN: 1
; COMPUTE_PGM_RSRC2:TGID_Z_EN: 0
; COMPUTE_PGM_RSRC2:TIDIG_COMP_CNT: 0
; COMPUTE_PGM_RSRC3_GFX90A:ACCUM_OFFSET: 21
; COMPUTE_PGM_RSRC3_GFX90A:TG_SPLIT: 0
	.section	.text._ZN5aiter35fused_qk_rmsnorm_group_quant_kernelIDF16_N4opus5fp4_tELi256ELi16ELi2ELb1ELb1ELb1ELb0ELb0ELb0EEEvPT0_PvPT_S7_S7_PKS6_S9_S9_S9_S9_ffiiiiiiiiiiiii,"axG",@progbits,_ZN5aiter35fused_qk_rmsnorm_group_quant_kernelIDF16_N4opus5fp4_tELi256ELi16ELi2ELb1ELb1ELb1ELb0ELb0ELb0EEEvPT0_PvPT_S7_S7_PKS6_S9_S9_S9_S9_ffiiiiiiiiiiiii,comdat
	.protected	_ZN5aiter35fused_qk_rmsnorm_group_quant_kernelIDF16_N4opus5fp4_tELi256ELi16ELi2ELb1ELb1ELb1ELb0ELb0ELb0EEEvPT0_PvPT_S7_S7_PKS6_S9_S9_S9_S9_ffiiiiiiiiiiiii ; -- Begin function _ZN5aiter35fused_qk_rmsnorm_group_quant_kernelIDF16_N4opus5fp4_tELi256ELi16ELi2ELb1ELb1ELb1ELb0ELb0ELb0EEEvPT0_PvPT_S7_S7_PKS6_S9_S9_S9_S9_ffiiiiiiiiiiiii
	.globl	_ZN5aiter35fused_qk_rmsnorm_group_quant_kernelIDF16_N4opus5fp4_tELi256ELi16ELi2ELb1ELb1ELb1ELb0ELb0ELb0EEEvPT0_PvPT_S7_S7_PKS6_S9_S9_S9_S9_ffiiiiiiiiiiiii
	.p2align	8
	.type	_ZN5aiter35fused_qk_rmsnorm_group_quant_kernelIDF16_N4opus5fp4_tELi256ELi16ELi2ELb1ELb1ELb1ELb0ELb0ELb0EEEvPT0_PvPT_S7_S7_PKS6_S9_S9_S9_S9_ffiiiiiiiiiiiii,@function
_ZN5aiter35fused_qk_rmsnorm_group_quant_kernelIDF16_N4opus5fp4_tELi256ELi16ELi2ELb1ELb1ELb1ELb0ELb0ELb0EEEvPT0_PvPT_S7_S7_PKS6_S9_S9_S9_S9_ffiiiiiiiiiiiii: ; @_ZN5aiter35fused_qk_rmsnorm_group_quant_kernelIDF16_N4opus5fp4_tELi256ELi16ELi2ELb1ELb1ELb1ELb0ELb0ELb0EEEvPT0_PvPT_S7_S7_PKS6_S9_S9_S9_S9_ffiiiiiiiiiiiii
; %bb.0:
	s_load_dwordx8 s[20:27], s[4:5], 0x50
	s_waitcnt lgkmcnt(0)
	s_cmp_ge_i32 s6, s22
	s_cbranch_scc1 .LBB859_17
; %bb.1:
	s_cmp_lg_u32 s7, 0
	s_cselect_b64 s[30:31], -1, 0
	s_cmp_eq_u32 s7, 0
	s_cselect_b64 s[8:9], -1, 0
	s_and_b64 s[0:1], s[8:9], exec
	s_load_dwordx2 s[28:29], s[4:5], 0x48
	s_load_dwordx2 s[10:11], s[4:5], 0x30
	s_load_dwordx8 s[12:19], s[4:5], 0x70
	s_cselect_b32 s7, s23, s24
	s_add_i32 s0, s7, 1
	s_lshr_b32 s1, s0, 31
	s_add_i32 s0, s0, s1
	s_lshl_b32 s0, s0, 1
	v_lshlrev_b32_e32 v1, 4, v0
	s_and_b32 s38, s0, -4
	v_cmp_gt_i32_e64 s[0:1], s7, v1
	v_mov_b32_e32 v6, 0
	v_mov_b32_e32 v7, 0
	;; [unrolled: 1-line block ×16, first 2 shown]
	s_and_saveexec_b64 s[2:3], s[0:1]
	s_cbranch_execz .LBB859_3
; %bb.2:
	s_waitcnt lgkmcnt(0)
	s_load_dwordx2 s[18:19], s[4:5], 0x28
	s_load_dwordx2 s[34:35], s[4:5], 0x40
	s_and_b64 s[36:37], s[8:9], exec
	s_cselect_b32 s22, s25, s26
	s_mov_b32 s39, 0x20000
	s_waitcnt lgkmcnt(0)
	s_cselect_b32 s25, s19, s11
	s_cselect_b32 s33, s18, s10
	s_mul_hi_i32 s19, s22, s6
	s_mul_i32 s18, s22, s6
	s_lshl_b64 s[18:19], s[18:19], 1
	s_add_u32 s40, s33, s18
	s_addc_u32 s22, s25, s19
	s_and_b64 s[18:19], s[8:9], exec
	s_cselect_b32 s36, s34, s28
	s_cselect_b32 s18, s35, s29
	s_and_b32 s41, s22, 0xffff
	s_mov_b32 s42, s38
	s_mov_b32 s43, s39
	v_lshlrev_b32_e32 v18, 5, v0
	s_and_b32 s37, s18, 0xffff
	buffer_load_dwordx4 v[10:13], v18, s[40:43], 0 offen
	buffer_load_dwordx4 v[14:17], v18, s[40:43], 16 offen
	buffer_load_dwordx4 v[6:9], v18, s[36:39], 0 offen
	buffer_load_dwordx4 v[2:5], v18, s[36:39], 16 offen
.LBB859_3:
	s_or_b64 exec, exec, s[2:3]
	s_and_b64 vcc, exec, s[30:31]
	s_cbranch_vccz .LBB859_7
; %bb.4:
	v_mov_b32_e32 v19, 0
	v_mov_b32_e32 v18, 0
	;; [unrolled: 1-line block ×16, first 2 shown]
	s_and_saveexec_b64 s[2:3], s[0:1]
	s_cbranch_execz .LBB859_6
; %bb.5:
	s_waitcnt vmcnt(3)
	v_cvt_f32_f16_sdwa v29, v10 dst_sel:DWORD dst_unused:UNUSED_PAD src0_sel:WORD_1
	v_cvt_f32_f16_e32 v28, v10
	v_cvt_f32_f16_sdwa v33, v11 dst_sel:DWORD dst_unused:UNUSED_PAD src0_sel:WORD_1
	v_cvt_f32_f16_e32 v32, v11
	;; [unrolled: 2-line block ×4, first 2 shown]
	s_waitcnt vmcnt(2)
	v_cvt_f32_f16_sdwa v23, v14 dst_sel:DWORD dst_unused:UNUSED_PAD src0_sel:WORD_1
	v_cvt_f32_f16_e32 v22, v14
	v_cvt_f32_f16_sdwa v25, v15 dst_sel:DWORD dst_unused:UNUSED_PAD src0_sel:WORD_1
	v_cvt_f32_f16_e32 v24, v15
	;; [unrolled: 2-line block ×4, first 2 shown]
.LBB859_6:
	s_or_b64 exec, exec, s[2:3]
	s_cbranch_execz .LBB859_8
	s_branch .LBB859_11
.LBB859_7:
                                        ; implicit-def: $vgpr19
                                        ; implicit-def: $vgpr21
                                        ; implicit-def: $vgpr25
                                        ; implicit-def: $vgpr23
                                        ; implicit-def: $vgpr31
                                        ; implicit-def: $vgpr27
                                        ; implicit-def: $vgpr33
                                        ; implicit-def: $vgpr29
.LBB859_8:
	v_mov_b32_e32 v19, 0
	v_mov_b32_e32 v18, 0
	;; [unrolled: 1-line block ×16, first 2 shown]
	s_and_saveexec_b64 s[2:3], s[0:1]
	s_cbranch_execz .LBB859_10
; %bb.9:
	s_waitcnt lgkmcnt(0)
	s_load_dwordx2 s[18:19], s[4:5], 0x38
	s_mul_hi_i32 s35, s27, s6
	s_mul_i32 s34, s27, s6
	s_lshl_b64 s[34:35], s[34:35], 1
	s_mov_b32 s39, 0x20000
	s_waitcnt lgkmcnt(0)
	s_add_u32 s36, s18, s34
	s_addc_u32 s18, s19, s35
	s_and_b32 s37, s18, 0xffff
	v_lshlrev_b32_e32 v48, 5, v0
	buffer_load_dwordx4 v[18:21], v48, s[36:39], 16 offen
	buffer_load_dwordx4 v[22:25], v48, s[36:39], 0 offen
	s_waitcnt vmcnt(4)
	v_cvt_f32_f16_sdwa v27, v14 dst_sel:DWORD dst_unused:UNUSED_PAD src0_sel:WORD_1
	v_cvt_f32_f16_e32 v26, v14
	v_cvt_f32_f16_sdwa v29, v15 dst_sel:DWORD dst_unused:UNUSED_PAD src0_sel:WORD_1
	v_cvt_f32_f16_e32 v28, v15
	;; [unrolled: 2-line block ×8, first 2 shown]
	s_load_dwordx2 s[18:19], s[4:5], 0x20
	s_mul_hi_i32 s35, s17, s6
	s_mul_i32 s34, s17, s6
	s_lshl_b64 s[34:35], s[34:35], 1
	s_waitcnt lgkmcnt(0)
	s_add_u32 s36, s18, s34
	s_addc_u32 s17, s19, s35
	s_and_b32 s37, s17, 0xffff
	s_waitcnt vmcnt(1)
	v_cvt_f32_f16_e32 v12, v18
	v_cvt_f32_f16_sdwa v13, v18 dst_sel:DWORD dst_unused:UNUSED_PAD src0_sel:WORD_1
	v_cvt_f32_f16_e32 v18, v19
	v_cvt_f32_f16_sdwa v19, v19 dst_sel:DWORD dst_unused:UNUSED_PAD src0_sel:WORD_1
	;; [unrolled: 2-line block ×4, first 2 shown]
	s_waitcnt vmcnt(0)
	v_cvt_f32_f16_e32 v40, v22
	v_cvt_f32_f16_sdwa v41, v22 dst_sel:DWORD dst_unused:UNUSED_PAD src0_sel:WORD_1
	v_cvt_f32_f16_e32 v42, v23
	v_cvt_f32_f16_sdwa v43, v23 dst_sel:DWORD dst_unused:UNUSED_PAD src0_sel:WORD_1
	;; [unrolled: 2-line block ×4, first 2 shown]
	v_pk_add_f32 v[22:23], v[26:27], v[12:13]
	v_pk_add_f32 v[24:25], v[28:29], v[18:19]
	;; [unrolled: 1-line block ×8, first 2 shown]
	v_cvt_f16_f32_e32 v10, v29
	v_cvt_f16_f32_e32 v14, v28
	;; [unrolled: 1-line block ×16, first 2 shown]
	v_pack_b32_f16 v13, v17, v13
	v_pack_b32_f16 v12, v16, v12
	;; [unrolled: 1-line block ×8, first 2 shown]
	buffer_store_dwordx4 v[10:13], v48, s[36:39], 0 offen
	;;#ASMSTART
	s_nop 0
	;;#ASMEND
	buffer_store_dwordx4 v[14:17], v48, s[36:39], 16 offen
	;;#ASMSTART
	s_nop 0
	;;#ASMEND
.LBB859_10:
	s_or_b64 exec, exec, s[2:3]
.LBB859_11:
	s_waitcnt vmcnt(3)
	v_mul_f32_e32 v10, v29, v29
	v_fmac_f32_e32 v10, v28, v28
	v_fmac_f32_e32 v10, v32, v32
	;; [unrolled: 1-line block ×15, first 2 shown]
	v_and_b32_e32 v12, 63, v0
	v_cmp_eq_u32_e64 s[2:3], 63, v12
	v_mov_b32_dpp v11, v10 quad_perm:[1,0,3,2] row_mask:0xf bank_mask:0xf
	v_add_f32_e32 v10, v10, v11
	s_nop 1
	v_mov_b32_dpp v11, v10 quad_perm:[2,3,0,1] row_mask:0xf bank_mask:0xf
	v_add_f32_e32 v10, v10, v11
	s_nop 1
	v_mov_b32_dpp v11, v10 row_half_mirror row_mask:0xf bank_mask:0xf
	v_add_f32_e32 v10, v10, v11
	s_nop 1
	v_mov_b32_dpp v11, v10 row_mirror row_mask:0xf bank_mask:0xf
	v_add_f32_e32 v10, v10, v11
	s_nop 1
	v_mov_b32_dpp v11, v10 row_bcast:15 row_mask:0xf bank_mask:0xf
	v_add_f32_e32 v10, v10, v11
	s_nop 1
	v_mov_b32_dpp v11, v10 row_bcast:31 row_mask:0xf bank_mask:0xf
	s_waitcnt lgkmcnt(0)
	s_and_saveexec_b64 s[18:19], s[2:3]
	s_cbranch_execz .LBB859_13
; %bb.12:
	v_add_f32_e32 v10, v10, v11
	v_lshrrev_b32_e32 v11, 4, v0
	v_and_b32_e32 v11, 60, v11
	ds_write_b32 v11, v10 offset:16
.LBB859_13:
	s_or_b64 exec, exec, s[18:19]
	v_and_b32_e32 v10, 3, v0
	v_lshlrev_b32_e32 v34, 2, v10
	s_waitcnt lgkmcnt(0)
	s_barrier
	ds_read_b32 v10, v34 offset:16
	s_load_dwordx2 s[18:19], s[4:5], 0x18
	s_waitcnt lgkmcnt(0)
	v_mov_b32_dpp v11, v10 quad_perm:[1,0,3,2] row_mask:0xf bank_mask:0xf
	v_add_f32_e32 v10, v10, v11
	s_nop 1
	v_mov_b32_dpp v11, v10 quad_perm:[2,3,0,1] row_mask:0xf bank_mask:0xf
	s_and_saveexec_b64 s[34:35], s[0:1]
	s_cbranch_execnz .LBB859_18
; %bb.14:
	s_or_b64 exec, exec, s[34:35]
	s_mov_b64 s[8:9], -1
	s_and_b64 vcc, exec, s[30:31]
	s_cbranch_vccnz .LBB859_19
.LBB859_15:
	s_andn2_b64 vcc, exec, s[8:9]
	s_cbranch_vccz .LBB859_22
.LBB859_16:
	s_cmp_lt_i32 s24, 1
	s_cbranch_scc0 .LBB859_31
.LBB859_17:
	s_endpgm
.LBB859_18:
	v_cvt_f32_u32_e32 v12, s7
	v_add_f32_e32 v10, v10, v11
	s_waitcnt vmcnt(2)
	v_mov_b32_e32 v14, s21
	v_mov_b32_e32 v15, s20
	v_div_scale_f32 v11, s[36:37], v12, v12, v10
	v_rcp_f32_e32 v13, v11
	v_cndmask_b32_e64 v14, v14, v15, s[8:9]
	s_mov_b32 s7, 0x800000
	v_fma_f32 v15, -v11, v13, 1.0
	v_fmac_f32_e32 v13, v15, v13
	v_div_scale_f32 v15, vcc, v10, v12, v10
	v_mul_f32_e32 v16, v15, v13
	v_fma_f32 v17, -v11, v16, v15
	v_fmac_f32_e32 v16, v17, v13
	v_fma_f32 v11, -v11, v16, v15
	v_div_fmas_f32 v11, v11, v13, v16
	v_div_fixup_f32 v10, v11, v12, v10
	v_add_f32_e32 v10, v14, v10
	v_mul_f32_e32 v11, 0x4b800000, v10
	v_cmp_gt_f32_e32 vcc, s7, v10
	v_cndmask_b32_e32 v10, v10, v11, vcc
	v_rsq_f32_e32 v10, v10
	v_mul_f32_e32 v11, 0x45800000, v10
	v_cndmask_b32_e32 v10, v10, v11, vcc
	v_mov_b32_e32 v11, v10
	;;#ASMSTART
	v_pk_mul_f32 v[12:13], v[28:29], v[10:11]
	;;#ASMEND
	;;#ASMSTART
	v_pk_mul_f32 v[14:15], v[32:33], v[10:11]
	;;#ASMEND
	;; [unrolled: 3-line block ×3, first 2 shown]
	s_waitcnt vmcnt(1)
	v_cvt_f32_f16_sdwa v27, v6 dst_sel:DWORD dst_unused:UNUSED_PAD src0_sel:WORD_1
	v_cvt_f32_f16_e32 v26, v6
	v_cvt_f32_f16_sdwa v33, v7 dst_sel:DWORD dst_unused:UNUSED_PAD src0_sel:WORD_1
	v_cvt_f32_f16_e32 v32, v7
	;;#ASMSTART
	v_pk_mul_f32 v[30:31], v[30:31], v[10:11]
	;;#ASMEND
	;;#ASMSTART
	v_pk_mul_f32 v[22:23], v[22:23], v[10:11]
	;;#ASMEND
	;; [unrolled: 3-line block ×5, first 2 shown]
	v_pk_add_f32 v[10:11], v[26:27], 1.0 op_sel_hi:[1,0]
	;;#ASMSTART
	v_pk_mul_f32 v[28:29], v[12:13], v[10:11]
	;;#ASMEND
	v_cvt_f32_f16_sdwa v13, v8 dst_sel:DWORD dst_unused:UNUSED_PAD src0_sel:WORD_1
	v_cvt_f32_f16_e32 v12, v8
	v_cvt_f32_f16_sdwa v19, v9 dst_sel:DWORD dst_unused:UNUSED_PAD src0_sel:WORD_1
	v_cvt_f32_f16_e32 v18, v9
	v_pk_add_f32 v[10:11], v[32:33], 1.0 op_sel_hi:[1,0]
	;;#ASMSTART
	v_pk_mul_f32 v[32:33], v[14:15], v[10:11]
	;;#ASMEND
	s_waitcnt vmcnt(0)
	v_cvt_f32_f16_sdwa v11, v2 dst_sel:DWORD dst_unused:UNUSED_PAD src0_sel:WORD_1
	v_cvt_f32_f16_e32 v10, v2
	v_pk_add_f32 v[8:9], v[12:13], 1.0 op_sel_hi:[1,0]
	;;#ASMSTART
	v_pk_mul_f32 v[26:27], v[16:17], v[8:9]
	;;#ASMEND
	v_pk_add_f32 v[8:9], v[18:19], 1.0 op_sel_hi:[1,0]
	v_cvt_f32_f16_sdwa v13, v3 dst_sel:DWORD dst_unused:UNUSED_PAD src0_sel:WORD_1
	v_cvt_f32_f16_e32 v12, v3
	;;#ASMSTART
	v_pk_mul_f32 v[30:31], v[30:31], v[8:9]
	;;#ASMEND
	v_cvt_f32_f16_sdwa v9, v4 dst_sel:DWORD dst_unused:UNUSED_PAD src0_sel:WORD_1
	v_cvt_f32_f16_e32 v8, v4
	v_pk_add_f32 v[2:3], v[10:11], 1.0 op_sel_hi:[1,0]
	v_cvt_f32_f16_sdwa v11, v5 dst_sel:DWORD dst_unused:UNUSED_PAD src0_sel:WORD_1
	v_cvt_f32_f16_e32 v10, v5
	;;#ASMSTART
	v_pk_mul_f32 v[22:23], v[22:23], v[2:3]
	;;#ASMEND
	v_pk_add_f32 v[2:3], v[12:13], 1.0 op_sel_hi:[1,0]
	;;#ASMSTART
	v_pk_mul_f32 v[24:25], v[24:25], v[2:3]
	;;#ASMEND
	v_pk_add_f32 v[2:3], v[8:9], 1.0 op_sel_hi:[1,0]
	;; [unrolled: 4-line block ×3, first 2 shown]
	;;#ASMSTART
	v_pk_mul_f32 v[18:19], v[6:7], v[2:3]
	;;#ASMEND
	s_or_b64 exec, exec, s[34:35]
	s_mov_b64 s[8:9], -1
	s_and_b64 vcc, exec, s[30:31]
	s_cbranch_vccz .LBB859_15
.LBB859_19:
	s_and_saveexec_b64 s[8:9], s[0:1]
	s_cbranch_execz .LBB859_21
; %bb.20:
	s_mul_hi_i32 s31, s16, s6
	s_mul_i32 s30, s16, s6
	s_waitcnt vmcnt(0)
	v_cvt_f16_f32_e32 v2, v28
	v_cvt_f16_f32_e32 v3, v32
	;; [unrolled: 1-line block ×8, first 2 shown]
	s_lshl_b64 s[30:31], s[30:31], 1
	s_add_u32 s36, s18, s30
	s_addc_u32 s7, s19, s31
	s_and_b32 s37, s7, 0xffff
	s_mov_b32 s39, 0x20000
	v_pack_b32_f16 v5, v5, v6
	v_pack_b32_f16 v4, v4, v7
	;; [unrolled: 1-line block ×4, first 2 shown]
	v_lshlrev_b32_e32 v6, 5, v0
	buffer_store_dwordx4 v[2:5], v6, s[36:39], 0 offen
	v_cvt_f16_f32_e32 v7, v19
	v_cvt_f16_f32_e32 v2, v22
	;; [unrolled: 1-line block ×8, first 2 shown]
	v_pack_b32_f16 v5, v5, v7
	v_pack_b32_f16 v4, v4, v8
	;; [unrolled: 1-line block ×4, first 2 shown]
	;;#ASMSTART
	s_nop 0
	;;#ASMEND
	buffer_store_dwordx4 v[2:5], v6, s[36:39], 16 offen
	;;#ASMSTART
	s_nop 0
	;;#ASMEND
.LBB859_21:
	s_or_b64 exec, exec, s[8:9]
	s_cbranch_execnz .LBB859_16
.LBB859_22:
	s_waitcnt vmcnt(0)
	v_mov_b32_e32 v2, 0
	s_and_saveexec_b64 s[8:9], s[0:1]
	s_cbranch_execz .LBB859_24
; %bb.23:
	s_load_dwordx2 s[30:31], s[4:5], 0x10
	s_mul_hi_i32 s35, s15, s6
	s_mul_i32 s34, s15, s6
	v_cvt_f16_f32_e32 v2, v28
	v_cvt_f16_f32_e32 v3, v32
	;; [unrolled: 1-line block ×8, first 2 shown]
	s_lshl_b64 s[34:35], s[34:35], 1
	s_waitcnt lgkmcnt(0)
	s_add_u32 s36, s30, s34
	s_addc_u32 s7, s31, s35
	s_mov_b32 s39, 0x20000
	s_and_b32 s37, s7, 0xffff
	v_pack_b32_f16 v5, v5, v6
	v_pack_b32_f16 v4, v4, v7
	;; [unrolled: 1-line block ×4, first 2 shown]
	v_lshlrev_b32_e32 v6, 5, v0
	buffer_store_dwordx4 v[2:5], v6, s[36:39], 0 offen
	v_cvt_f16_f32_e32 v7, v19
	v_cvt_f16_f32_e32 v2, v22
	;; [unrolled: 1-line block ×8, first 2 shown]
	v_pack_b32_f16 v5, v5, v7
	v_pack_b32_f16 v4, v4, v8
	;; [unrolled: 1-line block ×4, first 2 shown]
	;;#ASMSTART
	s_nop 0
	;;#ASMEND
	buffer_store_dwordx4 v[2:5], v6, s[36:39], 16 offen
	;;#ASMSTART
	s_nop 0
	;;#ASMEND
	s_nop 0
	v_mov_b32_e32 v2, 0x2edbe6ff
.LBB859_24:
	s_or_b64 exec, exec, s[8:9]
	s_and_saveexec_b64 s[8:9], s[0:1]
	s_cbranch_execz .LBB859_26
; %bb.25:
	v_and_b32_e32 v3, 0x7fffffff, v28
	v_and_b32_e32 v4, 0x7fffffff, v29
	;;#ASMSTART
	v_max3_f32 v2, v2, v3, v4

	;;#ASMEND
	v_and_b32_e32 v3, 0x7fffffff, v32
	v_and_b32_e32 v4, 0x7fffffff, v33
	;;#ASMSTART
	v_max3_f32 v2, v2, v3, v4

	;;#ASMEND
	;; [unrolled: 6-line block ×8, first 2 shown]
.LBB859_26:
	s_or_b64 exec, exec, s[8:9]
	;;#ASMSTART
	v_max_f32 v3, v2, v2 quad_perm:[1,0,3,2] row_mask:0xf bank_mask:0xf bound_ctrl:1
	;;#ASMEND
	v_and_b32_e32 v2, 1, v0
	v_cmp_eq_u32_e32 vcc, 0, v2
	v_cmp_gt_i32_e64 s[8:9], s23, v1
	s_and_b64 s[30:31], vcc, s[8:9]
	s_and_saveexec_b64 s[8:9], s[30:31]
	s_cbranch_execz .LBB859_28
; %bb.27:
	s_load_dwordx2 s[30:31], s[4:5], 0x8
	v_mul_f32_e32 v2, 0x3e2aaaab, v3
	v_lshrrev_b32_e32 v3, 23, v2
	v_and_b32_e32 v4, 0x7f800000, v2
	v_and_b32_e32 v2, 0x7fffff, v2
	v_cmp_ne_u32_e32 vcc, 0, v2
	s_mul_hi_i32 s15, s13, s6
	s_mul_i32 s13, s13, s6
	s_mov_b32 s7, 0x7f800000
	v_addc_co_u32_e32 v2, vcc, 0, v3, vcc
	s_waitcnt lgkmcnt(0)
	s_add_u32 s30, s30, s13
	v_cmp_ne_u32_e32 vcc, s7, v4
	s_addc_u32 s31, s31, s15
	v_lshrrev_b32_e32 v5, 1, v0
	v_cndmask_b32_e32 v4, -1, v2, vcc
	v_pk_mov_b32 v[2:3], s[30:31], s[30:31] op_sel:[0,1]
	v_mad_i64_i32 v[2:3], s[14:15], s14, v5, v[2:3]
	global_store_byte v[2:3], v4, off
.LBB859_28:
	s_or_b64 exec, exec, s[8:9]
	s_and_saveexec_b64 s[8:9], s[0:1]
	s_cbranch_execz .LBB859_30
; %bb.29:
	s_load_dwordx2 s[0:1], s[4:5], 0x0
	s_mul_hi_i32 s7, s12, s6
	s_mul_i32 s12, s12, s6
	v_mov_b32_e32 v2, 0
	v_lshlrev_b32_e32 v4, 3, v0
	s_waitcnt lgkmcnt(0)
	s_add_u32 s12, s0, s12
	s_addc_u32 s0, s1, s7
	s_lshr_b32 s1, s23, 31
	s_add_i32 s1, s23, s1
	s_ashr_i32 s1, s1, 1
	s_add_i32 s1, s1, 3
	s_ashr_i32 s7, s1, 31
	s_lshr_b32 s7, s7, 30
	s_add_i32 s1, s1, s7
	s_and_b32 s14, s1, -4
	s_and_b32 s13, s0, 0xffff
	s_mov_b32 s15, 0x20000
	v_mov_b32_e32 v3, v2
	buffer_store_dwordx2 v[2:3], v4, s[12:15], 0 offen
	;;#ASMSTART
	s_nop 0
	;;#ASMEND
.LBB859_30:
	s_or_b64 exec, exec, s[8:9]
	s_cmp_lt_i32 s24, 1
	s_cbranch_scc1 .LBB859_17
.LBB859_31:
	s_load_dword s0, s[4:5], 0x94
	s_waitcnt lgkmcnt(0)
	s_cmp_lg_u32 s0, 1
	s_cbranch_scc1 .LBB859_17
; %bb.32:
	s_lshl_b32 s0, s24, 1
	s_add_i32 s0, s0, 2
	v_cmp_gt_u32_e32 vcc, s24, v1
	s_and_b32 s30, s0, -4
	v_mov_b32_e32 v18, 0
	v_lshlrev_b32_e32 v1, 5, v0
	s_waitcnt vmcnt(2)
	v_mov_b32_e32 v14, 0
	v_mov_b32_e32 v15, 0
	;; [unrolled: 1-line block ×8, first 2 shown]
	s_waitcnt vmcnt(1)
	v_mov_b32_e32 v6, 0
	v_mov_b32_e32 v7, 0
	;; [unrolled: 1-line block ×4, first 2 shown]
	s_waitcnt vmcnt(0)
	v_mov_b32_e32 v2, 0
	v_mov_b32_e32 v3, 0
	;; [unrolled: 1-line block ×4, first 2 shown]
	s_barrier
	s_and_saveexec_b64 s[0:1], vcc
	s_cbranch_execz .LBB859_34
; %bb.33:
	s_mul_hi_i32 s5, s26, s6
	s_mul_i32 s4, s26, s6
	s_and_b32 s29, s29, 0xffff
	s_lshl_b64 s[4:5], s[4:5], 1
	s_add_u32 s8, s10, s4
	s_mov_b32 s31, 0x20000
	s_addc_u32 s4, s11, s5
	s_and_b32 s9, s4, 0xffff
	s_mov_b32 s10, s30
	s_mov_b32 s11, s31
	buffer_load_dwordx4 v[14:17], v1, s[8:11], 0 offen
	buffer_load_dwordx4 v[10:13], v1, s[8:11], 16 offen
	;; [unrolled: 1-line block ×4, first 2 shown]
.LBB859_34:
	s_or_b64 exec, exec, s[0:1]
	v_mov_b32_e32 v19, 0
	v_mov_b32_e32 v32, 0
	v_mov_b32_e32 v33, 0
	v_mov_b32_e32 v30, 0
	v_mov_b32_e32 v31, 0
	v_mov_b32_e32 v28, 0
	v_mov_b32_e32 v29, 0
	v_mov_b32_e32 v26, 0
	v_mov_b32_e32 v27, 0
	v_mov_b32_e32 v24, 0
	v_mov_b32_e32 v25, 0
	v_mov_b32_e32 v22, 0
	v_mov_b32_e32 v23, 0
	v_mov_b32_e32 v20, 0
	v_mov_b32_e32 v21, 0
	s_and_saveexec_b64 s[0:1], vcc
	s_cbranch_execz .LBB859_36
; %bb.35:
	s_waitcnt vmcnt(3)
	v_cvt_f32_f16_sdwa v19, v14 dst_sel:DWORD dst_unused:UNUSED_PAD src0_sel:WORD_1
	v_cvt_f32_f16_e32 v18, v14
	v_cvt_f32_f16_sdwa v33, v15 dst_sel:DWORD dst_unused:UNUSED_PAD src0_sel:WORD_1
	v_cvt_f32_f16_e32 v32, v15
	;; [unrolled: 2-line block ×4, first 2 shown]
	s_waitcnt vmcnt(2)
	v_cvt_f32_f16_sdwa v27, v10 dst_sel:DWORD dst_unused:UNUSED_PAD src0_sel:WORD_1
	v_cvt_f32_f16_e32 v26, v10
	v_cvt_f32_f16_sdwa v25, v11 dst_sel:DWORD dst_unused:UNUSED_PAD src0_sel:WORD_1
	v_cvt_f32_f16_e32 v24, v11
	v_cvt_f32_f16_sdwa v23, v12 dst_sel:DWORD dst_unused:UNUSED_PAD src0_sel:WORD_1
	v_cvt_f32_f16_e32 v22, v12
	v_cvt_f32_f16_sdwa v21, v13 dst_sel:DWORD dst_unused:UNUSED_PAD src0_sel:WORD_1
	v_cvt_f32_f16_e32 v20, v13
.LBB859_36:
	s_or_b64 exec, exec, s[0:1]
	s_waitcnt vmcnt(2)
	v_mul_f32_e32 v10, v19, v19
	v_fmac_f32_e32 v10, v18, v18
	v_fmac_f32_e32 v10, v32, v32
	;; [unrolled: 1-line block ×15, first 2 shown]
	s_nop 1
	v_mov_b32_dpp v11, v10 quad_perm:[1,0,3,2] row_mask:0xf bank_mask:0xf
	v_add_f32_e32 v10, v10, v11
	s_nop 1
	v_mov_b32_dpp v11, v10 quad_perm:[2,3,0,1] row_mask:0xf bank_mask:0xf
	v_add_f32_e32 v10, v10, v11
	s_nop 1
	v_mov_b32_dpp v11, v10 row_half_mirror row_mask:0xf bank_mask:0xf
	v_add_f32_e32 v10, v10, v11
	s_nop 1
	v_mov_b32_dpp v11, v10 row_mirror row_mask:0xf bank_mask:0xf
	v_add_f32_e32 v10, v10, v11
	s_nop 1
	v_mov_b32_dpp v11, v10 row_bcast:15 row_mask:0xf bank_mask:0xf
	v_add_f32_e32 v10, v10, v11
	s_nop 1
	v_mov_b32_dpp v11, v10 row_bcast:31 row_mask:0xf bank_mask:0xf
	s_and_saveexec_b64 s[0:1], s[2:3]
	s_cbranch_execz .LBB859_38
; %bb.37:
	v_lshrrev_b32_e32 v0, 4, v0
	v_add_f32_e32 v10, v10, v11
	v_and_b32_e32 v0, 60, v0
	ds_write_b32 v0, v10
.LBB859_38:
	s_or_b64 exec, exec, s[0:1]
	s_waitcnt lgkmcnt(0)
	s_barrier
	ds_read_b32 v0, v34
	s_waitcnt lgkmcnt(0)
	s_nop 0
	v_mov_b32_dpp v10, v0 quad_perm:[1,0,3,2] row_mask:0xf bank_mask:0xf
	v_add_f32_e32 v0, v0, v10
	s_nop 1
	v_mov_b32_dpp v10, v0 quad_perm:[2,3,0,1] row_mask:0xf bank_mask:0xf
	s_and_saveexec_b64 s[0:1], vcc
	s_cbranch_execz .LBB859_17
; %bb.39:
	v_cvt_f32_u32_e32 v11, s24
	v_add_f32_e32 v0, v0, v10
	s_mov_b32 s31, 0x20000
	v_div_scale_f32 v10, s[0:1], v11, v11, v0
	v_rcp_f32_e32 v12, v10
	v_div_scale_f32 v13, vcc, v0, v11, v0
	s_mov_b32 s0, 0x800000
	v_fma_f32 v14, -v10, v12, 1.0
	v_fmac_f32_e32 v12, v14, v12
	v_mul_f32_e32 v14, v13, v12
	v_fma_f32 v15, -v10, v14, v13
	v_fmac_f32_e32 v14, v15, v12
	v_fma_f32 v10, -v10, v14, v13
	v_div_fmas_f32 v10, v10, v12, v14
	v_div_fixup_f32 v0, v10, v11, v0
	v_add_f32_e32 v0, s21, v0
	v_mul_f32_e32 v10, 0x4b800000, v0
	v_cmp_gt_f32_e32 vcc, s0, v0
	v_cndmask_b32_e32 v0, v0, v10, vcc
	v_rsq_f32_e32 v0, v0
	s_mul_hi_i32 s1, s16, s6
	s_mul_i32 s0, s16, s6
	s_lshl_b64 s[0:1], s[0:1], 1
	v_mul_f32_e32 v10, 0x45800000, v0
	v_cndmask_b32_e32 v10, v0, v10, vcc
	v_mov_b32_e32 v11, v10
	;;#ASMSTART
	v_pk_mul_f32 v[12:13], v[18:19], v[10:11]
	;;#ASMEND
	;;#ASMSTART
	v_pk_mul_f32 v[14:15], v[32:33], v[10:11]
	;;#ASMEND
	;; [unrolled: 3-line block ×4, first 2 shown]
	s_waitcnt vmcnt(1)
	v_cvt_f32_f16_sdwa v29, v6 dst_sel:DWORD dst_unused:UNUSED_PAD src0_sel:WORD_1
	v_cvt_f32_f16_e32 v28, v6
	v_cvt_f32_f16_sdwa v31, v7 dst_sel:DWORD dst_unused:UNUSED_PAD src0_sel:WORD_1
	v_cvt_f32_f16_e32 v30, v7
	;;#ASMSTART
	v_pk_mul_f32 v[26:27], v[26:27], v[10:11]
	;;#ASMEND
	;;#ASMSTART
	v_pk_mul_f32 v[24:25], v[24:25], v[10:11]
	;;#ASMEND
	;; [unrolled: 3-line block ×4, first 2 shown]
	v_cvt_f32_f16_sdwa v21, v8 dst_sel:DWORD dst_unused:UNUSED_PAD src0_sel:WORD_1
	v_cvt_f32_f16_e32 v20, v8
	v_pk_add_f32 v[10:11], v[28:29], 1.0 op_sel_hi:[1,0]
	;;#ASMSTART
	v_pk_mul_f32 v[10:11], v[12:13], v[10:11]
	;;#ASMEND
	v_pk_add_f32 v[12:13], v[30:31], 1.0 op_sel_hi:[1,0]
	v_cvt_f32_f16_sdwa v29, v9 dst_sel:DWORD dst_unused:UNUSED_PAD src0_sel:WORD_1
	v_cvt_f32_f16_e32 v28, v9
	;;#ASMSTART
	v_pk_mul_f32 v[8:9], v[14:15], v[12:13]
	;;#ASMEND
	v_pk_add_f32 v[12:13], v[20:21], 1.0 op_sel_hi:[1,0]
	;;#ASMSTART
	v_pk_mul_f32 v[12:13], v[16:17], v[12:13]
	;;#ASMEND
	s_waitcnt vmcnt(0)
	v_cvt_f32_f16_sdwa v17, v2 dst_sel:DWORD dst_unused:UNUSED_PAD src0_sel:WORD_1
	v_cvt_f32_f16_e32 v16, v2
	v_cvt_f32_f16_sdwa v21, v3 dst_sel:DWORD dst_unused:UNUSED_PAD src0_sel:WORD_1
	v_cvt_f32_f16_e32 v20, v3
	v_pk_add_f32 v[14:15], v[28:29], 1.0 op_sel_hi:[1,0]
	;;#ASMSTART
	v_pk_mul_f32 v[2:3], v[18:19], v[14:15]
	;;#ASMEND
	v_cvt_f32_f16_sdwa v19, v4 dst_sel:DWORD dst_unused:UNUSED_PAD src0_sel:WORD_1
	v_cvt_f32_f16_e32 v18, v4
	v_pk_add_f32 v[14:15], v[16:17], 1.0 op_sel_hi:[1,0]
	v_pk_add_f32 v[16:17], v[20:21], 1.0 op_sel_hi:[1,0]
	v_cvt_f32_f16_sdwa v21, v5 dst_sel:DWORD dst_unused:UNUSED_PAD src0_sel:WORD_1
	v_cvt_f32_f16_e32 v20, v5
	v_pk_add_f32 v[4:5], v[18:19], 1.0 op_sel_hi:[1,0]
	;;#ASMSTART
	v_pk_mul_f32 v[14:15], v[26:27], v[14:15]
	;;#ASMEND
	;;#ASMSTART
	v_pk_mul_f32 v[16:17], v[24:25], v[16:17]
	;;#ASMEND
	;;#ASMSTART
	v_pk_mul_f32 v[18:19], v[22:23], v[4:5]
	;;#ASMEND
	v_pk_add_f32 v[4:5], v[20:21], 1.0 op_sel_hi:[1,0]
	;;#ASMSTART
	v_pk_mul_f32 v[6:7], v[6:7], v[4:5]
	;;#ASMEND
	v_cvt_f16_f32_e32 v0, v10
	v_cvt_f16_f32_e32 v4, v11
	;; [unrolled: 1-line block ×8, first 2 shown]
	s_add_u32 s28, s18, s0
	s_addc_u32 s0, s19, s1
	s_and_b32 s29, s0, 0xffff
	v_pack_b32_f16 v2, v0, v4
	v_pack_b32_f16 v3, v5, v8
	;; [unrolled: 1-line block ×4, first 2 shown]
	buffer_store_dwordx4 v[2:5], v1, s[28:31], 0 offen
	v_cvt_f16_f32_e32 v0, v14
	v_cvt_f16_f32_e32 v2, v15
	;; [unrolled: 1-line block ×8, first 2 shown]
	v_pack_b32_f16 v2, v0, v2
	v_pack_b32_f16 v3, v3, v4
	;; [unrolled: 1-line block ×4, first 2 shown]
	;;#ASMSTART
	s_nop 0
	;;#ASMEND
	buffer_store_dwordx4 v[2:5], v1, s[28:31], 16 offen
	;;#ASMSTART
	s_nop 0
	;;#ASMEND
	s_endpgm
	.section	.rodata,"a",@progbits
	.p2align	6, 0x0
	.amdhsa_kernel _ZN5aiter35fused_qk_rmsnorm_group_quant_kernelIDF16_N4opus5fp4_tELi256ELi16ELi2ELb1ELb1ELb1ELb0ELb0ELb0EEEvPT0_PvPT_S7_S7_PKS6_S9_S9_S9_S9_ffiiiiiiiiiiiii
		.amdhsa_group_segment_fixed_size 32
		.amdhsa_private_segment_fixed_size 0
		.amdhsa_kernarg_size 400
		.amdhsa_user_sgpr_count 6
		.amdhsa_user_sgpr_private_segment_buffer 1
		.amdhsa_user_sgpr_dispatch_ptr 0
		.amdhsa_user_sgpr_queue_ptr 0
		.amdhsa_user_sgpr_kernarg_segment_ptr 1
		.amdhsa_user_sgpr_dispatch_id 0
		.amdhsa_user_sgpr_flat_scratch_init 0
		.amdhsa_user_sgpr_kernarg_preload_length 0
		.amdhsa_user_sgpr_kernarg_preload_offset 0
		.amdhsa_user_sgpr_private_segment_size 0
		.amdhsa_uses_dynamic_stack 0
		.amdhsa_system_sgpr_private_segment_wavefront_offset 0
		.amdhsa_system_sgpr_workgroup_id_x 1
		.amdhsa_system_sgpr_workgroup_id_y 1
		.amdhsa_system_sgpr_workgroup_id_z 0
		.amdhsa_system_sgpr_workgroup_info 0
		.amdhsa_system_vgpr_workitem_id 0
		.amdhsa_next_free_vgpr 49
		.amdhsa_next_free_sgpr 44
		.amdhsa_accum_offset 52
		.amdhsa_reserve_vcc 1
		.amdhsa_reserve_flat_scratch 0
		.amdhsa_float_round_mode_32 0
		.amdhsa_float_round_mode_16_64 0
		.amdhsa_float_denorm_mode_32 3
		.amdhsa_float_denorm_mode_16_64 3
		.amdhsa_dx10_clamp 1
		.amdhsa_ieee_mode 1
		.amdhsa_fp16_overflow 0
		.amdhsa_tg_split 0
		.amdhsa_exception_fp_ieee_invalid_op 0
		.amdhsa_exception_fp_denorm_src 0
		.amdhsa_exception_fp_ieee_div_zero 0
		.amdhsa_exception_fp_ieee_overflow 0
		.amdhsa_exception_fp_ieee_underflow 0
		.amdhsa_exception_fp_ieee_inexact 0
		.amdhsa_exception_int_div_zero 0
	.end_amdhsa_kernel
	.section	.text._ZN5aiter35fused_qk_rmsnorm_group_quant_kernelIDF16_N4opus5fp4_tELi256ELi16ELi2ELb1ELb1ELb1ELb0ELb0ELb0EEEvPT0_PvPT_S7_S7_PKS6_S9_S9_S9_S9_ffiiiiiiiiiiiii,"axG",@progbits,_ZN5aiter35fused_qk_rmsnorm_group_quant_kernelIDF16_N4opus5fp4_tELi256ELi16ELi2ELb1ELb1ELb1ELb0ELb0ELb0EEEvPT0_PvPT_S7_S7_PKS6_S9_S9_S9_S9_ffiiiiiiiiiiiii,comdat
.Lfunc_end859:
	.size	_ZN5aiter35fused_qk_rmsnorm_group_quant_kernelIDF16_N4opus5fp4_tELi256ELi16ELi2ELb1ELb1ELb1ELb0ELb0ELb0EEEvPT0_PvPT_S7_S7_PKS6_S9_S9_S9_S9_ffiiiiiiiiiiiii, .Lfunc_end859-_ZN5aiter35fused_qk_rmsnorm_group_quant_kernelIDF16_N4opus5fp4_tELi256ELi16ELi2ELb1ELb1ELb1ELb0ELb0ELb0EEEvPT0_PvPT_S7_S7_PKS6_S9_S9_S9_S9_ffiiiiiiiiiiiii
                                        ; -- End function
	.section	.AMDGPU.csdata,"",@progbits
; Kernel info:
; codeLenInByte = 4104
; NumSgprs: 48
; NumVgprs: 49
; NumAgprs: 0
; TotalNumVgprs: 49
; ScratchSize: 0
; MemoryBound: 0
; FloatMode: 240
; IeeeMode: 1
; LDSByteSize: 32 bytes/workgroup (compile time only)
; SGPRBlocks: 5
; VGPRBlocks: 6
; NumSGPRsForWavesPerEU: 48
; NumVGPRsForWavesPerEU: 49
; AccumOffset: 52
; Occupancy: 8
; WaveLimiterHint : 0
; COMPUTE_PGM_RSRC2:SCRATCH_EN: 0
; COMPUTE_PGM_RSRC2:USER_SGPR: 6
; COMPUTE_PGM_RSRC2:TRAP_HANDLER: 0
; COMPUTE_PGM_RSRC2:TGID_X_EN: 1
; COMPUTE_PGM_RSRC2:TGID_Y_EN: 1
; COMPUTE_PGM_RSRC2:TGID_Z_EN: 0
; COMPUTE_PGM_RSRC2:TIDIG_COMP_CNT: 0
; COMPUTE_PGM_RSRC3_GFX90A:ACCUM_OFFSET: 12
; COMPUTE_PGM_RSRC3_GFX90A:TG_SPLIT: 0
	.section	.text._ZN5aiter35fused_qk_rmsnorm_group_quant_kernelItN4opus5fp4_tELi256ELi16ELi2ELb1ELb1ELb1ELb0ELb0ELb0EEEvPT0_PvPT_S7_S7_PKS6_S9_S9_S9_S9_ffiiiiiiiiiiiii,"axG",@progbits,_ZN5aiter35fused_qk_rmsnorm_group_quant_kernelItN4opus5fp4_tELi256ELi16ELi2ELb1ELb1ELb1ELb0ELb0ELb0EEEvPT0_PvPT_S7_S7_PKS6_S9_S9_S9_S9_ffiiiiiiiiiiiii,comdat
	.protected	_ZN5aiter35fused_qk_rmsnorm_group_quant_kernelItN4opus5fp4_tELi256ELi16ELi2ELb1ELb1ELb1ELb0ELb0ELb0EEEvPT0_PvPT_S7_S7_PKS6_S9_S9_S9_S9_ffiiiiiiiiiiiii ; -- Begin function _ZN5aiter35fused_qk_rmsnorm_group_quant_kernelItN4opus5fp4_tELi256ELi16ELi2ELb1ELb1ELb1ELb0ELb0ELb0EEEvPT0_PvPT_S7_S7_PKS6_S9_S9_S9_S9_ffiiiiiiiiiiiii
	.globl	_ZN5aiter35fused_qk_rmsnorm_group_quant_kernelItN4opus5fp4_tELi256ELi16ELi2ELb1ELb1ELb1ELb0ELb0ELb0EEEvPT0_PvPT_S7_S7_PKS6_S9_S9_S9_S9_ffiiiiiiiiiiiii
	.p2align	8
	.type	_ZN5aiter35fused_qk_rmsnorm_group_quant_kernelItN4opus5fp4_tELi256ELi16ELi2ELb1ELb1ELb1ELb0ELb0ELb0EEEvPT0_PvPT_S7_S7_PKS6_S9_S9_S9_S9_ffiiiiiiiiiiiii,@function
_ZN5aiter35fused_qk_rmsnorm_group_quant_kernelItN4opus5fp4_tELi256ELi16ELi2ELb1ELb1ELb1ELb0ELb0ELb0EEEvPT0_PvPT_S7_S7_PKS6_S9_S9_S9_S9_ffiiiiiiiiiiiii: ; @_ZN5aiter35fused_qk_rmsnorm_group_quant_kernelItN4opus5fp4_tELi256ELi16ELi2ELb1ELb1ELb1ELb0ELb0ELb0EEEvPT0_PvPT_S7_S7_PKS6_S9_S9_S9_S9_ffiiiiiiiiiiiii
; %bb.0:
	s_load_dwordx8 s[20:27], s[4:5], 0x50
	s_waitcnt lgkmcnt(0)
	s_cmp_ge_i32 s6, s22
	s_cbranch_scc1 .LBB860_17
; %bb.1:
	s_load_dwordx2 s[28:29], s[4:5], 0x48
	s_load_dwordx2 s[10:11], s[4:5], 0x30
	s_load_dwordx8 s[12:19], s[4:5], 0x70
	s_cmp_lg_u32 s7, 0
	s_waitcnt lgkmcnt(0)
	s_cselect_b64 s[18:19], -1, 0
	s_cmp_eq_u32 s7, 0
	s_cselect_b64 s[8:9], -1, 0
	s_and_b64 s[0:1], s[8:9], exec
	s_cselect_b32 s7, s23, s24
	s_add_i32 s0, s7, 1
	s_lshr_b32 s1, s0, 31
	s_add_i32 s0, s0, s1
	s_lshl_b32 s0, s0, 1
	v_lshlrev_b32_e32 v1, 4, v0
	s_and_b32 s38, s0, -4
	v_cmp_gt_i32_e64 s[0:1], s7, v1
	v_mov_b32_e32 v62, 0
	v_mov_b32_e32 v63, 0
	;; [unrolled: 1-line block ×16, first 2 shown]
	s_and_saveexec_b64 s[2:3], s[0:1]
	s_cbranch_execz .LBB860_3
; %bb.2:
	s_load_dwordx2 s[30:31], s[4:5], 0x28
	s_load_dwordx2 s[34:35], s[4:5], 0x40
	s_and_b64 s[36:37], s[8:9], exec
	s_cselect_b32 s22, s25, s26
	s_mov_b32 s39, 0x20000
	s_waitcnt lgkmcnt(0)
	s_cselect_b32 s25, s31, s11
	s_cselect_b32 s33, s30, s10
	s_mul_hi_i32 s31, s22, s6
	s_mul_i32 s30, s22, s6
	s_lshl_b64 s[30:31], s[30:31], 1
	s_add_u32 s40, s33, s30
	s_addc_u32 s22, s25, s31
	s_and_b64 s[30:31], s[8:9], exec
	s_cselect_b32 s36, s34, s28
	s_cselect_b32 s25, s35, s29
	s_and_b32 s41, s22, 0xffff
	s_mov_b32 s42, s38
	s_mov_b32 s43, s39
	v_lshlrev_b32_e32 v2, 5, v0
	s_and_b32 s37, s25, 0xffff
	buffer_load_dwordx4 v[66:69], v2, s[40:43], 0 offen
	buffer_load_dwordx4 v[70:73], v2, s[40:43], 16 offen
	;; [unrolled: 1-line block ×4, first 2 shown]
.LBB860_3:
	s_or_b64 exec, exec, s[2:3]
	s_and_b64 vcc, exec, s[18:19]
	s_cbranch_vccz .LBB860_7
; %bb.4:
	v_mov_b32_e32 v75, 0
	v_mov_b32_e32 v74, 0
	;; [unrolled: 1-line block ×16, first 2 shown]
	s_and_saveexec_b64 s[2:3], s[0:1]
	s_cbranch_execz .LBB860_6
; %bb.5:
	s_waitcnt vmcnt(3)
	v_cvt_f32_u32_sdwa v2, v66 dst_sel:DWORD dst_unused:UNUSED_PAD src0_sel:WORD_0
	v_cvt_f32_u32_sdwa v3, v66 dst_sel:DWORD dst_unused:UNUSED_PAD src0_sel:WORD_1
	v_cvt_f32_u32_sdwa v6, v67 dst_sel:DWORD dst_unused:UNUSED_PAD src0_sel:WORD_0
	v_cvt_f32_u32_sdwa v7, v67 dst_sel:DWORD dst_unused:UNUSED_PAD src0_sel:WORD_1
	;; [unrolled: 2-line block ×4, first 2 shown]
	s_waitcnt vmcnt(2)
	v_cvt_f32_u32_sdwa v50, v70 dst_sel:DWORD dst_unused:UNUSED_PAD src0_sel:WORD_0
	v_cvt_f32_u32_sdwa v51, v70 dst_sel:DWORD dst_unused:UNUSED_PAD src0_sel:WORD_1
	v_cvt_f32_u32_sdwa v24, v71 dst_sel:DWORD dst_unused:UNUSED_PAD src0_sel:WORD_0
	v_cvt_f32_u32_sdwa v25, v71 dst_sel:DWORD dst_unused:UNUSED_PAD src0_sel:WORD_1
	;; [unrolled: 2-line block ×4, first 2 shown]
.LBB860_6:
	s_or_b64 exec, exec, s[2:3]
	s_cbranch_execz .LBB860_8
	s_branch .LBB860_11
.LBB860_7:
                                        ; implicit-def: $vgpr2_vgpr3_vgpr4_vgpr5_vgpr6_vgpr7_vgpr8_vgpr9_vgpr10_vgpr11_vgpr12_vgpr13_vgpr14_vgpr15_vgpr16_vgpr17
                                        ; implicit-def: $vgpr36_vgpr37_vgpr38_vgpr39_vgpr40_vgpr41_vgpr42_vgpr43_vgpr44_vgpr45_vgpr46_vgpr47_vgpr48_vgpr49_vgpr50_vgpr51
                                        ; implicit-def: $vgpr4_vgpr5_vgpr6_vgpr7_vgpr8_vgpr9_vgpr10_vgpr11_vgpr12_vgpr13_vgpr14_vgpr15_vgpr16_vgpr17_vgpr18_vgpr19
                                        ; implicit-def: $vgpr24_vgpr25_vgpr26_vgpr27_vgpr28_vgpr29_vgpr30_vgpr31_vgpr32_vgpr33_vgpr34_vgpr35_vgpr36_vgpr37_vgpr38_vgpr39
                                        ; implicit-def: $vgpr75
                                        ; implicit-def: $vgpr42_vgpr43_vgpr44_vgpr45_vgpr46_vgpr47_vgpr48_vgpr49_vgpr50_vgpr51_vgpr52_vgpr53_vgpr54_vgpr55_vgpr56_vgpr57
                                        ; implicit-def: $vgpr14_vgpr15_vgpr16_vgpr17_vgpr18_vgpr19_vgpr20_vgpr21_vgpr22_vgpr23_vgpr24_vgpr25_vgpr26_vgpr27_vgpr28_vgpr29
                                        ; implicit-def: $vgpr8_vgpr9_vgpr10_vgpr11_vgpr12_vgpr13_vgpr14_vgpr15_vgpr16_vgpr17_vgpr18_vgpr19_vgpr20_vgpr21_vgpr22_vgpr23
.LBB860_8:
	v_mov_b32_e32 v75, 0
	v_mov_b32_e32 v74, 0
	;; [unrolled: 1-line block ×16, first 2 shown]
	s_and_saveexec_b64 s[2:3], s[0:1]
	s_cbranch_execz .LBB860_10
; %bb.9:
	s_load_dwordx2 s[30:31], s[4:5], 0x38
	s_mul_hi_i32 s35, s27, s6
	s_mul_i32 s34, s27, s6
	s_lshl_b64 s[34:35], s[34:35], 1
	s_mov_b32 s39, 0x20000
	s_waitcnt lgkmcnt(0)
	s_add_u32 s36, s30, s34
	s_addc_u32 s22, s31, s35
	s_and_b32 s37, s22, 0xffff
	v_lshlrev_b32_e32 v38, 5, v0
	buffer_load_dwordx4 v[6:9], v38, s[36:39], 16 offen
	buffer_load_dwordx4 v[10:13], v38, s[36:39], 0 offen
	s_load_dwordx2 s[30:31], s[4:5], 0x20
	s_waitcnt vmcnt(5)
	v_cvt_f32_u32_sdwa v3, v66 dst_sel:DWORD dst_unused:UNUSED_PAD src0_sel:WORD_1
	v_cvt_f32_u32_sdwa v2, v66 dst_sel:DWORD dst_unused:UNUSED_PAD src0_sel:WORD_0
	v_cvt_f32_u32_sdwa v21, v67 dst_sel:DWORD dst_unused:UNUSED_PAD src0_sel:WORD_1
	v_cvt_f32_u32_sdwa v20, v67 dst_sel:DWORD dst_unused:UNUSED_PAD src0_sel:WORD_0
	;; [unrolled: 2-line block ×4, first 2 shown]
	s_waitcnt vmcnt(4)
	v_cvt_f32_u32_sdwa v5, v70 dst_sel:DWORD dst_unused:UNUSED_PAD src0_sel:WORD_1
	v_cvt_f32_u32_sdwa v4, v70 dst_sel:DWORD dst_unused:UNUSED_PAD src0_sel:WORD_0
	v_cvt_f32_u32_sdwa v15, v71 dst_sel:DWORD dst_unused:UNUSED_PAD src0_sel:WORD_1
	v_cvt_f32_u32_sdwa v14, v71 dst_sel:DWORD dst_unused:UNUSED_PAD src0_sel:WORD_0
	;; [unrolled: 2-line block ×3, first 2 shown]
	v_cvt_f32_u32_sdwa v18, v73 dst_sel:DWORD dst_unused:UNUSED_PAD src0_sel:WORD_0
	v_cvt_f32_u32_sdwa v19, v73 dst_sel:DWORD dst_unused:UNUSED_PAD src0_sel:WORD_1
	s_mul_hi_i32 s35, s17, s6
	s_mul_i32 s34, s17, s6
	s_lshl_b64 s[34:35], s[34:35], 1
	s_waitcnt lgkmcnt(0)
	s_add_u32 s36, s30, s34
	s_mov_b32 s17, 0x7060302
	s_addc_u32 s22, s31, s35
	s_and_b32 s37, s22, 0xffff
	s_waitcnt vmcnt(1)
	v_cvt_f32_u32_sdwa v27, v6 dst_sel:DWORD dst_unused:UNUSED_PAD src0_sel:WORD_1
	v_cvt_f32_u32_sdwa v26, v6 dst_sel:DWORD dst_unused:UNUSED_PAD src0_sel:WORD_0
	v_cvt_f32_u32_sdwa v29, v7 dst_sel:DWORD dst_unused:UNUSED_PAD src0_sel:WORD_1
	v_cvt_f32_u32_sdwa v28, v7 dst_sel:DWORD dst_unused:UNUSED_PAD src0_sel:WORD_0
	;; [unrolled: 2-line block ×3, first 2 shown]
	v_cvt_f32_u32_sdwa v34, v9 dst_sel:DWORD dst_unused:UNUSED_PAD src0_sel:WORD_0
	v_cvt_f32_u32_sdwa v35, v9 dst_sel:DWORD dst_unused:UNUSED_PAD src0_sel:WORD_1
	s_waitcnt vmcnt(0)
	v_cvt_f32_u32_sdwa v37, v10 dst_sel:DWORD dst_unused:UNUSED_PAD src0_sel:WORD_1
	v_cvt_f32_u32_sdwa v36, v10 dst_sel:DWORD dst_unused:UNUSED_PAD src0_sel:WORD_0
	v_cvt_f32_u32_sdwa v7, v12 dst_sel:DWORD dst_unused:UNUSED_PAD src0_sel:WORD_1
	v_cvt_f32_u32_sdwa v6, v12 dst_sel:DWORD dst_unused:UNUSED_PAD src0_sel:WORD_0
	;; [unrolled: 2-line block ×4, first 2 shown]
	v_pk_add_f32 v[40:41], v[22:23], v[6:7]
	v_pk_add_f32 v[30:31], v[24:25], v[8:9]
	;; [unrolled: 1-line block ×4, first 2 shown]
	v_perm_b32 v11, v31, v30, s17
	v_perm_b32 v10, v41, v40, s17
	;; [unrolled: 1-line block ×4, first 2 shown]
	v_pk_add_f32 v[74:75], v[18:19], v[34:35]
	v_pk_add_f32 v[20:21], v[16:17], v[32:33]
	;; [unrolled: 1-line block ×4, first 2 shown]
	buffer_store_dwordx4 v[8:11], v38, s[36:39], 0 offen
	;;#ASMSTART
	s_nop 0
	;;#ASMEND
	s_nop 0
	v_perm_b32 v11, v75, v74, s17
	v_perm_b32 v10, v21, v20, s17
	;; [unrolled: 1-line block ×4, first 2 shown]
	buffer_store_dwordx4 v[8:11], v38, s[36:39], 16 offen
	;;#ASMSTART
	s_nop 0
	;;#ASMEND
.LBB860_10:
	s_or_b64 exec, exec, s[2:3]
.LBB860_11:
	v_mul_f32_e32 v4, v3, v3
	v_fmac_f32_e32 v4, v2, v2
	v_fmac_f32_e32 v4, v6, v6
	;; [unrolled: 1-line block ×15, first 2 shown]
	s_nop 1
	v_mov_b32_dpp v5, v4 quad_perm:[1,0,3,2] row_mask:0xf bank_mask:0xf
	v_add_f32_e32 v4, v4, v5
	s_nop 1
	v_mov_b32_dpp v5, v4 quad_perm:[2,3,0,1] row_mask:0xf bank_mask:0xf
	v_add_f32_e32 v4, v4, v5
	s_nop 1
	v_mov_b32_dpp v5, v4 row_half_mirror row_mask:0xf bank_mask:0xf
	v_add_f32_e32 v4, v4, v5
	s_nop 1
	v_mov_b32_dpp v5, v4 row_mirror row_mask:0xf bank_mask:0xf
	v_add_f32_e32 v4, v4, v5
	s_nop 1
	v_mov_b32_dpp v5, v4 row_bcast:15 row_mask:0xf bank_mask:0xf
	v_add_f32_e32 v4, v4, v5
	v_and_b32_e32 v5, 63, v0
	v_cmp_eq_u32_e64 s[2:3], 63, v5
	s_nop 0
	v_mov_b32_dpp v5, v4 row_bcast:31 row_mask:0xf bank_mask:0xf
	s_and_saveexec_b64 s[30:31], s[2:3]
	s_cbranch_execz .LBB860_13
; %bb.12:
	v_add_f32_e32 v4, v4, v5
	v_lshrrev_b32_e32 v5, 4, v0
	v_and_b32_e32 v5, 60, v5
	ds_write_b32 v5, v4 offset:16
.LBB860_13:
	s_or_b64 exec, exec, s[30:31]
	v_and_b32_e32 v4, 3, v0
	v_lshlrev_b32_e32 v34, 2, v4
	s_waitcnt lgkmcnt(0)
	s_barrier
	ds_read_b32 v4, v34 offset:16
	s_load_dwordx2 s[34:35], s[4:5], 0x18
	s_waitcnt lgkmcnt(0)
	v_mov_b32_dpp v5, v4 quad_perm:[1,0,3,2] row_mask:0xf bank_mask:0xf
	v_add_f32_e32 v4, v4, v5
	s_nop 1
	v_mov_b32_dpp v5, v4 quad_perm:[2,3,0,1] row_mask:0xf bank_mask:0xf
	s_and_saveexec_b64 s[30:31], s[0:1]
	s_cbranch_execnz .LBB860_18
; %bb.14:
	s_or_b64 exec, exec, s[30:31]
	s_mov_b64 s[8:9], -1
	s_and_b64 vcc, exec, s[18:19]
	s_cbranch_vccnz .LBB860_19
.LBB860_15:
	s_andn2_b64 vcc, exec, s[8:9]
	s_cbranch_vccz .LBB860_22
.LBB860_16:
	s_cmp_lt_i32 s24, 1
	s_cbranch_scc0 .LBB860_31
.LBB860_17:
	s_endpgm
.LBB860_18:
	v_add_f32_e32 v4, v4, v5
	v_cvt_f32_u32_e32 v5, s7
	s_mov_b32 s7, 0x800000
	s_waitcnt vmcnt(1)
	v_cvt_f32_u32_sdwa v15, v62 dst_sel:DWORD dst_unused:UNUSED_PAD src0_sel:WORD_1
	v_cvt_f32_u32_sdwa v14, v62 dst_sel:DWORD dst_unused:UNUSED_PAD src0_sel:WORD_0
	v_div_scale_f32 v8, s[36:37], v5, v5, v4
	v_rcp_f32_e32 v9, v8
	v_pk_add_f32 v[14:15], v[14:15], 1.0 op_sel_hi:[1,0]
	v_cvt_f32_u32_sdwa v23, v65 dst_sel:DWORD dst_unused:UNUSED_PAD src0_sel:WORD_1
	v_cvt_f32_u32_sdwa v22, v65 dst_sel:DWORD dst_unused:UNUSED_PAD src0_sel:WORD_0
	v_fma_f32 v10, -v8, v9, 1.0
	v_fmac_f32_e32 v9, v10, v9
	v_div_scale_f32 v10, vcc, v4, v5, v4
	v_mul_f32_e32 v11, v10, v9
	v_fma_f32 v12, -v8, v11, v10
	v_fmac_f32_e32 v11, v12, v9
	v_fma_f32 v8, -v8, v11, v10
	v_div_fmas_f32 v8, v8, v9, v11
	v_div_fixup_f32 v4, v8, v5, v4
	v_mov_b32_e32 v5, s21
	v_mov_b32_e32 v8, s20
	v_cndmask_b32_e64 v5, v5, v8, s[8:9]
	v_add_f32_e32 v4, v5, v4
	v_mul_f32_e32 v5, 0x4b800000, v4
	v_cmp_gt_f32_e32 vcc, s7, v4
	v_cndmask_b32_e32 v4, v4, v5, vcc
	v_rsq_f32_e32 v4, v4
	s_waitcnt vmcnt(0)
	v_cvt_f32_u32_sdwa v27, v60 dst_sel:DWORD dst_unused:UNUSED_PAD src0_sel:WORD_1
	v_cvt_f32_u32_sdwa v26, v60 dst_sel:DWORD dst_unused:UNUSED_PAD src0_sel:WORD_0
	v_cvt_f32_u32_sdwa v29, v61 dst_sel:DWORD dst_unused:UNUSED_PAD src0_sel:WORD_1
	v_mul_f32_e32 v5, 0x45800000, v4
	v_cndmask_b32_e32 v4, v4, v5, vcc
	v_mov_b32_e32 v5, v4
	;;#ASMSTART
	v_pk_mul_f32 v[2:3], v[2:3], v[4:5]
	;;#ASMEND
	;;#ASMSTART
	v_pk_mul_f32 v[6:7], v[6:7], v[4:5]
	;;#ASMEND
	;; [unrolled: 3-line block ×9, first 2 shown]
	v_cvt_f32_u32_sdwa v15, v63 dst_sel:DWORD dst_unused:UNUSED_PAD src0_sel:WORD_1
	v_cvt_f32_u32_sdwa v14, v63 dst_sel:DWORD dst_unused:UNUSED_PAD src0_sel:WORD_0
	v_cvt_f32_u32_sdwa v21, v64 dst_sel:DWORD dst_unused:UNUSED_PAD src0_sel:WORD_1
	v_cvt_f32_u32_sdwa v20, v64 dst_sel:DWORD dst_unused:UNUSED_PAD src0_sel:WORD_0
	v_cvt_f32_u32_sdwa v25, v59 dst_sel:DWORD dst_unused:UNUSED_PAD src0_sel:WORD_1
	v_pk_add_f32 v[14:15], v[14:15], 1.0 op_sel_hi:[1,0]
	v_cvt_f32_u32_sdwa v24, v59 dst_sel:DWORD dst_unused:UNUSED_PAD src0_sel:WORD_0
	;;#ASMSTART
	v_pk_mul_f32 v[6:7], v[6:7], v[14:15]
	;;#ASMEND
	v_pk_add_f32 v[14:15], v[20:21], 1.0 op_sel_hi:[1,0]
	v_pk_add_f32 v[20:21], v[22:23], 1.0 op_sel_hi:[1,0]
	v_cvt_f32_u32_sdwa v23, v58 dst_sel:DWORD dst_unused:UNUSED_PAD src0_sel:WORD_1
	v_cvt_f32_u32_sdwa v22, v58 dst_sel:DWORD dst_unused:UNUSED_PAD src0_sel:WORD_0
	v_cvt_f32_u32_sdwa v28, v61 dst_sel:DWORD dst_unused:UNUSED_PAD src0_sel:WORD_0
	v_pk_add_f32 v[24:25], v[24:25], 1.0 op_sel_hi:[1,0]
	v_pk_add_f32 v[26:27], v[26:27], 1.0 op_sel_hi:[1,0]
	v_pk_add_f32 v[22:23], v[22:23], 1.0 op_sel_hi:[1,0]
	v_pk_add_f32 v[28:29], v[28:29], 1.0 op_sel_hi:[1,0]
	;;#ASMSTART
	v_pk_mul_f32 v[40:41], v[8:9], v[14:15]
	;;#ASMEND
	;;#ASMSTART
	v_pk_mul_f32 v[30:31], v[10:11], v[20:21]
	;;#ASMEND
	;; [unrolled: 3-line block ×6, first 2 shown]
	s_or_b64 exec, exec, s[30:31]
	s_mov_b64 s[8:9], -1
	s_and_b64 vcc, exec, s[18:19]
	s_cbranch_vccz .LBB860_15
.LBB860_19:
	s_and_saveexec_b64 s[8:9], s[0:1]
	s_cbranch_execz .LBB860_21
; %bb.20:
	s_mul_hi_i32 s19, s16, s6
	s_mul_i32 s18, s16, s6
	s_lshl_b64 s[18:19], s[18:19], 1
	s_add_u32 s36, s34, s18
	s_addc_u32 s7, s35, s19
	s_and_b32 s37, s7, 0xffff
	s_mov_b32 s7, 0x7060302
	s_mov_b32 s39, 0x20000
	v_perm_b32 v11, v31, v30, s7
	v_perm_b32 v10, v41, v40, s7
	;; [unrolled: 1-line block ×4, first 2 shown]
	v_lshlrev_b32_e32 v4, 5, v0
	buffer_store_dwordx4 v[8:11], v4, s[36:39], 0 offen
	;;#ASMSTART
	s_nop 0
	;;#ASMEND
	s_nop 0
	v_perm_b32 v11, v75, v74, s7
	v_perm_b32 v10, v21, v20, s7
	;; [unrolled: 1-line block ×4, first 2 shown]
	buffer_store_dwordx4 v[8:11], v4, s[36:39], 16 offen
	;;#ASMSTART
	s_nop 0
	;;#ASMEND
.LBB860_21:
	s_or_b64 exec, exec, s[8:9]
	s_cbranch_execnz .LBB860_16
.LBB860_22:
	v_mov_b32_e32 v4, 0
	s_and_saveexec_b64 s[8:9], s[0:1]
	s_cbranch_execz .LBB860_24
; %bb.23:
	s_load_dwordx2 s[18:19], s[4:5], 0x10
	s_mul_hi_i32 s31, s15, s6
	s_mul_i32 s30, s15, s6
	s_lshl_b64 s[30:31], s[30:31], 1
	s_mov_b32 s39, 0x20000
	s_waitcnt lgkmcnt(0)
	s_add_u32 s36, s18, s30
	s_addc_u32 s7, s19, s31
	s_and_b32 s37, s7, 0xffff
	s_mov_b32 s7, 0x7060302
	v_perm_b32 v11, v31, v30, s7
	v_perm_b32 v10, v41, v40, s7
	;; [unrolled: 1-line block ×4, first 2 shown]
	v_lshlrev_b32_e32 v4, 5, v0
	buffer_store_dwordx4 v[8:11], v4, s[36:39], 0 offen
	;;#ASMSTART
	s_nop 0
	;;#ASMEND
	s_nop 0
	v_perm_b32 v11, v75, v74, s7
	v_perm_b32 v10, v21, v20, s7
	;; [unrolled: 1-line block ×4, first 2 shown]
	buffer_store_dwordx4 v[8:11], v4, s[36:39], 16 offen
	v_mov_b32_e32 v4, 0x2edbe6ff
	;;#ASMSTART
	s_nop 0
	;;#ASMEND
.LBB860_24:
	s_or_b64 exec, exec, s[8:9]
	s_and_saveexec_b64 s[8:9], s[0:1]
	s_cbranch_execz .LBB860_26
; %bb.25:
	v_and_b32_e32 v2, 0x7fffffff, v2
	v_and_b32_e32 v3, 0x7fffffff, v3
	;;#ASMSTART
	v_max3_f32 v2, v4, v2, v3

	;;#ASMEND
	v_and_b32_e32 v5, 0x7fffffff, v6
	v_and_b32_e32 v6, 0x7fffffff, v7
	;;#ASMSTART
	v_max3_f32 v2, v2, v5, v6

	;;#ASMEND
	;; [unrolled: 6-line block ×8, first 2 shown]
.LBB860_26:
	s_or_b64 exec, exec, s[8:9]
	v_and_b32_e32 v3, 1, v0
	v_cmp_eq_u32_e32 vcc, 0, v3
	v_cmp_gt_i32_e64 s[8:9], s23, v1
	s_and_b64 s[18:19], vcc, s[8:9]
	;;#ASMSTART
	v_max_f32 v2, v4, v4 quad_perm:[1,0,3,2] row_mask:0xf bank_mask:0xf bound_ctrl:1
	;;#ASMEND
	s_and_saveexec_b64 s[8:9], s[18:19]
	s_cbranch_execz .LBB860_28
; %bb.27:
	s_load_dwordx2 s[18:19], s[4:5], 0x8
	v_mul_f32_e32 v2, 0x3e2aaaab, v2
	v_lshrrev_b32_e32 v3, 23, v2
	v_and_b32_e32 v4, 0x7f800000, v2
	v_and_b32_e32 v2, 0x7fffff, v2
	v_cmp_ne_u32_e32 vcc, 0, v2
	s_mul_hi_i32 s15, s13, s6
	s_mul_i32 s13, s13, s6
	s_mov_b32 s7, 0x7f800000
	v_addc_co_u32_e32 v2, vcc, 0, v3, vcc
	s_waitcnt lgkmcnt(0)
	s_add_u32 s18, s18, s13
	v_cmp_ne_u32_e32 vcc, s7, v4
	s_addc_u32 s19, s19, s15
	v_lshrrev_b32_e32 v5, 1, v0
	v_cndmask_b32_e32 v4, -1, v2, vcc
	v_pk_mov_b32 v[2:3], s[18:19], s[18:19] op_sel:[0,1]
	v_mad_i64_i32 v[2:3], s[14:15], s14, v5, v[2:3]
	global_store_byte v[2:3], v4, off
.LBB860_28:
	s_or_b64 exec, exec, s[8:9]
	s_and_saveexec_b64 s[8:9], s[0:1]
	s_cbranch_execz .LBB860_30
; %bb.29:
	s_load_dwordx2 s[0:1], s[4:5], 0x0
	s_mul_hi_i32 s7, s12, s6
	s_mul_i32 s12, s12, s6
	v_mov_b32_e32 v2, 0
	v_lshlrev_b32_e32 v4, 3, v0
	s_waitcnt lgkmcnt(0)
	s_add_u32 s12, s0, s12
	s_addc_u32 s0, s1, s7
	s_lshr_b32 s1, s23, 31
	s_add_i32 s1, s23, s1
	s_ashr_i32 s1, s1, 1
	s_add_i32 s1, s1, 3
	s_ashr_i32 s7, s1, 31
	s_lshr_b32 s7, s7, 30
	s_add_i32 s1, s1, s7
	s_and_b32 s14, s1, -4
	s_and_b32 s13, s0, 0xffff
	s_mov_b32 s15, 0x20000
	v_mov_b32_e32 v3, v2
	buffer_store_dwordx2 v[2:3], v4, s[12:15], 0 offen
	;;#ASMSTART
	s_nop 0
	;;#ASMEND
.LBB860_30:
	s_or_b64 exec, exec, s[8:9]
	s_cmp_lt_i32 s24, 1
	s_cbranch_scc1 .LBB860_17
.LBB860_31:
	s_load_dword s0, s[4:5], 0x94
	s_waitcnt lgkmcnt(0)
	s_cmp_lg_u32 s0, 1
	s_cbranch_scc1 .LBB860_17
; %bb.32:
	s_lshl_b32 s0, s24, 1
	s_add_i32 s0, s0, 2
	v_cmp_gt_u32_e32 vcc, s24, v1
	s_and_b32 s30, s0, -4
	v_mov_b32_e32 v18, 0
	v_lshlrev_b32_e32 v1, 5, v0
	v_mov_b32_e32 v14, 0
	v_mov_b32_e32 v15, 0
	;; [unrolled: 1-line block ×16, first 2 shown]
	s_barrier
	s_and_saveexec_b64 s[0:1], vcc
	s_cbranch_execz .LBB860_34
; %bb.33:
	s_mul_hi_i32 s5, s26, s6
	s_mul_i32 s4, s26, s6
	s_and_b32 s29, s29, 0xffff
	s_lshl_b64 s[4:5], s[4:5], 1
	s_add_u32 s8, s10, s4
	s_mov_b32 s31, 0x20000
	s_addc_u32 s4, s11, s5
	s_and_b32 s9, s4, 0xffff
	s_mov_b32 s10, s30
	s_mov_b32 s11, s31
	buffer_load_dwordx4 v[14:17], v1, s[8:11], 0 offen
	buffer_load_dwordx4 v[10:13], v1, s[8:11], 16 offen
	;; [unrolled: 1-line block ×4, first 2 shown]
.LBB860_34:
	s_or_b64 exec, exec, s[0:1]
	v_mov_b32_e32 v19, 0
	v_mov_b32_e32 v32, 0
	;; [unrolled: 1-line block ×15, first 2 shown]
	s_and_saveexec_b64 s[0:1], vcc
	s_cbranch_execz .LBB860_36
; %bb.35:
	s_waitcnt vmcnt(3)
	v_cvt_f32_u32_sdwa v18, v14 dst_sel:DWORD dst_unused:UNUSED_PAD src0_sel:WORD_0
	v_cvt_f32_u32_sdwa v19, v14 dst_sel:DWORD dst_unused:UNUSED_PAD src0_sel:WORD_1
	v_cvt_f32_u32_sdwa v32, v15 dst_sel:DWORD dst_unused:UNUSED_PAD src0_sel:WORD_0
	v_cvt_f32_u32_sdwa v33, v15 dst_sel:DWORD dst_unused:UNUSED_PAD src0_sel:WORD_1
	v_cvt_f32_u32_sdwa v30, v16 dst_sel:DWORD dst_unused:UNUSED_PAD src0_sel:WORD_0
	v_cvt_f32_u32_sdwa v31, v16 dst_sel:DWORD dst_unused:UNUSED_PAD src0_sel:WORD_1
	v_cvt_f32_u32_sdwa v28, v17 dst_sel:DWORD dst_unused:UNUSED_PAD src0_sel:WORD_0
	v_cvt_f32_u32_sdwa v29, v17 dst_sel:DWORD dst_unused:UNUSED_PAD src0_sel:WORD_1
	s_waitcnt vmcnt(2)
	v_cvt_f32_u32_sdwa v26, v10 dst_sel:DWORD dst_unused:UNUSED_PAD src0_sel:WORD_0
	v_cvt_f32_u32_sdwa v27, v10 dst_sel:DWORD dst_unused:UNUSED_PAD src0_sel:WORD_1
	v_cvt_f32_u32_sdwa v24, v11 dst_sel:DWORD dst_unused:UNUSED_PAD src0_sel:WORD_0
	v_cvt_f32_u32_sdwa v25, v11 dst_sel:DWORD dst_unused:UNUSED_PAD src0_sel:WORD_1
	;; [unrolled: 2-line block ×4, first 2 shown]
.LBB860_36:
	s_or_b64 exec, exec, s[0:1]
	s_waitcnt vmcnt(2)
	v_mul_f32_e32 v10, v19, v19
	v_fmac_f32_e32 v10, v18, v18
	v_fmac_f32_e32 v10, v32, v32
	;; [unrolled: 1-line block ×15, first 2 shown]
	s_nop 1
	v_mov_b32_dpp v11, v10 quad_perm:[1,0,3,2] row_mask:0xf bank_mask:0xf
	v_add_f32_e32 v10, v10, v11
	s_nop 1
	v_mov_b32_dpp v11, v10 quad_perm:[2,3,0,1] row_mask:0xf bank_mask:0xf
	v_add_f32_e32 v10, v10, v11
	s_nop 1
	v_mov_b32_dpp v11, v10 row_half_mirror row_mask:0xf bank_mask:0xf
	v_add_f32_e32 v10, v10, v11
	s_nop 1
	v_mov_b32_dpp v11, v10 row_mirror row_mask:0xf bank_mask:0xf
	v_add_f32_e32 v10, v10, v11
	s_nop 1
	v_mov_b32_dpp v11, v10 row_bcast:15 row_mask:0xf bank_mask:0xf
	v_add_f32_e32 v10, v10, v11
	s_nop 1
	v_mov_b32_dpp v11, v10 row_bcast:31 row_mask:0xf bank_mask:0xf
	s_and_saveexec_b64 s[0:1], s[2:3]
	s_cbranch_execz .LBB860_38
; %bb.37:
	v_lshrrev_b32_e32 v0, 4, v0
	v_add_f32_e32 v10, v10, v11
	v_and_b32_e32 v0, 60, v0
	ds_write_b32 v0, v10
.LBB860_38:
	s_or_b64 exec, exec, s[0:1]
	s_waitcnt lgkmcnt(0)
	s_barrier
	ds_read_b32 v0, v34
	s_waitcnt lgkmcnt(0)
	s_nop 0
	v_mov_b32_dpp v10, v0 quad_perm:[1,0,3,2] row_mask:0xf bank_mask:0xf
	v_add_f32_e32 v0, v0, v10
	s_nop 1
	v_mov_b32_dpp v10, v0 quad_perm:[2,3,0,1] row_mask:0xf bank_mask:0xf
	s_and_saveexec_b64 s[0:1], vcc
	s_cbranch_execz .LBB860_17
; %bb.39:
	v_cvt_f32_u32_e32 v11, s24
	v_add_f32_e32 v0, v0, v10
	s_mov_b32 s31, 0x20000
	v_div_scale_f32 v10, s[0:1], v11, v11, v0
	v_rcp_f32_e32 v12, v10
	v_div_scale_f32 v13, vcc, v0, v11, v0
	s_mov_b32 s0, 0x800000
	v_fma_f32 v14, -v10, v12, 1.0
	v_fmac_f32_e32 v12, v14, v12
	v_mul_f32_e32 v14, v13, v12
	v_fma_f32 v15, -v10, v14, v13
	v_fmac_f32_e32 v14, v15, v12
	v_fma_f32 v10, -v10, v14, v13
	v_div_fmas_f32 v10, v10, v12, v14
	v_div_fixup_f32 v0, v10, v11, v0
	v_add_f32_e32 v0, s21, v0
	v_mul_f32_e32 v10, 0x4b800000, v0
	v_cmp_gt_f32_e32 vcc, s0, v0
	v_cndmask_b32_e32 v0, v0, v10, vcc
	v_rsq_f32_e32 v0, v0
	s_mul_hi_i32 s1, s16, s6
	s_mul_i32 s0, s16, s6
	s_lshl_b64 s[0:1], s[0:1], 1
	v_mul_f32_e32 v10, 0x45800000, v0
	v_cndmask_b32_e32 v10, v0, v10, vcc
	v_mov_b32_e32 v11, v10
	;;#ASMSTART
	v_pk_mul_f32 v[12:13], v[18:19], v[10:11]
	;;#ASMEND
	;;#ASMSTART
	v_pk_mul_f32 v[14:15], v[32:33], v[10:11]
	;;#ASMEND
	;; [unrolled: 3-line block ×4, first 2 shown]
	s_waitcnt vmcnt(1)
	v_cvt_f32_u32_sdwa v29, v6 dst_sel:DWORD dst_unused:UNUSED_PAD src0_sel:WORD_1
	v_cvt_f32_u32_sdwa v28, v6 dst_sel:DWORD dst_unused:UNUSED_PAD src0_sel:WORD_0
	v_cvt_f32_u32_sdwa v31, v7 dst_sel:DWORD dst_unused:UNUSED_PAD src0_sel:WORD_1
	v_cvt_f32_u32_sdwa v30, v7 dst_sel:DWORD dst_unused:UNUSED_PAD src0_sel:WORD_0
	;;#ASMSTART
	v_pk_mul_f32 v[26:27], v[26:27], v[10:11]
	;;#ASMEND
	;;#ASMSTART
	v_pk_mul_f32 v[24:25], v[24:25], v[10:11]
	;;#ASMEND
	;; [unrolled: 3-line block ×4, first 2 shown]
	v_cvt_f32_u32_sdwa v21, v8 dst_sel:DWORD dst_unused:UNUSED_PAD src0_sel:WORD_1
	v_cvt_f32_u32_sdwa v20, v8 dst_sel:DWORD dst_unused:UNUSED_PAD src0_sel:WORD_0
	v_pk_add_f32 v[10:11], v[28:29], 1.0 op_sel_hi:[1,0]
	;;#ASMSTART
	v_pk_mul_f32 v[10:11], v[12:13], v[10:11]
	;;#ASMEND
	v_pk_add_f32 v[12:13], v[30:31], 1.0 op_sel_hi:[1,0]
	v_cvt_f32_u32_sdwa v29, v9 dst_sel:DWORD dst_unused:UNUSED_PAD src0_sel:WORD_1
	v_cvt_f32_u32_sdwa v28, v9 dst_sel:DWORD dst_unused:UNUSED_PAD src0_sel:WORD_0
	;;#ASMSTART
	v_pk_mul_f32 v[8:9], v[14:15], v[12:13]
	;;#ASMEND
	v_pk_add_f32 v[12:13], v[20:21], 1.0 op_sel_hi:[1,0]
	;;#ASMSTART
	v_pk_mul_f32 v[12:13], v[16:17], v[12:13]
	;;#ASMEND
	s_waitcnt vmcnt(0)
	v_cvt_f32_u32_sdwa v17, v2 dst_sel:DWORD dst_unused:UNUSED_PAD src0_sel:WORD_1
	v_cvt_f32_u32_sdwa v16, v2 dst_sel:DWORD dst_unused:UNUSED_PAD src0_sel:WORD_0
	v_cvt_f32_u32_sdwa v21, v3 dst_sel:DWORD dst_unused:UNUSED_PAD src0_sel:WORD_1
	v_cvt_f32_u32_sdwa v20, v3 dst_sel:DWORD dst_unused:UNUSED_PAD src0_sel:WORD_0
	v_pk_add_f32 v[14:15], v[28:29], 1.0 op_sel_hi:[1,0]
	;;#ASMSTART
	v_pk_mul_f32 v[14:15], v[18:19], v[14:15]
	;;#ASMEND
	v_pk_add_f32 v[2:3], v[16:17], 1.0 op_sel_hi:[1,0]
	v_cvt_f32_u32_sdwa v19, v4 dst_sel:DWORD dst_unused:UNUSED_PAD src0_sel:WORD_1
	v_cvt_f32_u32_sdwa v18, v4 dst_sel:DWORD dst_unused:UNUSED_PAD src0_sel:WORD_0
	;;#ASMSTART
	v_pk_mul_f32 v[16:17], v[26:27], v[2:3]
	;;#ASMEND
	v_pk_add_f32 v[2:3], v[20:21], 1.0 op_sel_hi:[1,0]
	v_cvt_f32_u32_sdwa v21, v5 dst_sel:DWORD dst_unused:UNUSED_PAD src0_sel:WORD_1
	v_cvt_f32_u32_sdwa v20, v5 dst_sel:DWORD dst_unused:UNUSED_PAD src0_sel:WORD_0
	s_add_u32 s28, s34, s0
	;;#ASMSTART
	v_pk_mul_f32 v[24:25], v[24:25], v[2:3]
	;;#ASMEND
	v_pk_add_f32 v[2:3], v[18:19], 1.0 op_sel_hi:[1,0]
	s_addc_u32 s0, s35, s1
	;;#ASMSTART
	v_pk_mul_f32 v[18:19], v[22:23], v[2:3]
	;;#ASMEND
	v_pk_add_f32 v[2:3], v[20:21], 1.0 op_sel_hi:[1,0]
	s_and_b32 s29, s0, 0xffff
	s_mov_b32 s0, 0x7060302
	;;#ASMSTART
	v_pk_mul_f32 v[6:7], v[6:7], v[2:3]
	;;#ASMEND
	v_perm_b32 v2, v11, v10, s0
	v_perm_b32 v3, v9, v8, s0
	;; [unrolled: 1-line block ×4, first 2 shown]
	buffer_store_dwordx4 v[2:5], v1, s[28:31], 0 offen
	;;#ASMSTART
	s_nop 0
	;;#ASMEND
	s_nop 0
	v_perm_b32 v2, v17, v16, s0
	v_perm_b32 v3, v25, v24, s0
	;; [unrolled: 1-line block ×4, first 2 shown]
	buffer_store_dwordx4 v[2:5], v1, s[28:31], 16 offen
	;;#ASMSTART
	s_nop 0
	;;#ASMEND
	s_endpgm
	.section	.rodata,"a",@progbits
	.p2align	6, 0x0
	.amdhsa_kernel _ZN5aiter35fused_qk_rmsnorm_group_quant_kernelItN4opus5fp4_tELi256ELi16ELi2ELb1ELb1ELb1ELb0ELb0ELb0EEEvPT0_PvPT_S7_S7_PKS6_S9_S9_S9_S9_ffiiiiiiiiiiiii
		.amdhsa_group_segment_fixed_size 32
		.amdhsa_private_segment_fixed_size 0
		.amdhsa_kernarg_size 400
		.amdhsa_user_sgpr_count 6
		.amdhsa_user_sgpr_private_segment_buffer 1
		.amdhsa_user_sgpr_dispatch_ptr 0
		.amdhsa_user_sgpr_queue_ptr 0
		.amdhsa_user_sgpr_kernarg_segment_ptr 1
		.amdhsa_user_sgpr_dispatch_id 0
		.amdhsa_user_sgpr_flat_scratch_init 0
		.amdhsa_user_sgpr_kernarg_preload_length 0
		.amdhsa_user_sgpr_kernarg_preload_offset 0
		.amdhsa_user_sgpr_private_segment_size 0
		.amdhsa_uses_dynamic_stack 0
		.amdhsa_system_sgpr_private_segment_wavefront_offset 0
		.amdhsa_system_sgpr_workgroup_id_x 1
		.amdhsa_system_sgpr_workgroup_id_y 1
		.amdhsa_system_sgpr_workgroup_id_z 0
		.amdhsa_system_sgpr_workgroup_info 0
		.amdhsa_system_vgpr_workitem_id 0
		.amdhsa_next_free_vgpr 76
		.amdhsa_next_free_sgpr 44
		.amdhsa_accum_offset 76
		.amdhsa_reserve_vcc 1
		.amdhsa_reserve_flat_scratch 0
		.amdhsa_float_round_mode_32 0
		.amdhsa_float_round_mode_16_64 0
		.amdhsa_float_denorm_mode_32 3
		.amdhsa_float_denorm_mode_16_64 3
		.amdhsa_dx10_clamp 1
		.amdhsa_ieee_mode 1
		.amdhsa_fp16_overflow 0
		.amdhsa_tg_split 0
		.amdhsa_exception_fp_ieee_invalid_op 0
		.amdhsa_exception_fp_denorm_src 0
		.amdhsa_exception_fp_ieee_div_zero 0
		.amdhsa_exception_fp_ieee_overflow 0
		.amdhsa_exception_fp_ieee_underflow 0
		.amdhsa_exception_fp_ieee_inexact 0
		.amdhsa_exception_int_div_zero 0
	.end_amdhsa_kernel
	.section	.text._ZN5aiter35fused_qk_rmsnorm_group_quant_kernelItN4opus5fp4_tELi256ELi16ELi2ELb1ELb1ELb1ELb0ELb0ELb0EEEvPT0_PvPT_S7_S7_PKS6_S9_S9_S9_S9_ffiiiiiiiiiiiii,"axG",@progbits,_ZN5aiter35fused_qk_rmsnorm_group_quant_kernelItN4opus5fp4_tELi256ELi16ELi2ELb1ELb1ELb1ELb0ELb0ELb0EEEvPT0_PvPT_S7_S7_PKS6_S9_S9_S9_S9_ffiiiiiiiiiiiii,comdat
.Lfunc_end860:
	.size	_ZN5aiter35fused_qk_rmsnorm_group_quant_kernelItN4opus5fp4_tELi256ELi16ELi2ELb1ELb1ELb1ELb0ELb0ELb0EEEvPT0_PvPT_S7_S7_PKS6_S9_S9_S9_S9_ffiiiiiiiiiiiii, .Lfunc_end860-_ZN5aiter35fused_qk_rmsnorm_group_quant_kernelItN4opus5fp4_tELi256ELi16ELi2ELb1ELb1ELb1ELb0ELb0ELb0EEEvPT0_PvPT_S7_S7_PKS6_S9_S9_S9_S9_ffiiiiiiiiiiiii
                                        ; -- End function
	.section	.AMDGPU.csdata,"",@progbits
; Kernel info:
; codeLenInByte = 4056
; NumSgprs: 48
; NumVgprs: 76
; NumAgprs: 0
; TotalNumVgprs: 76
; ScratchSize: 0
; MemoryBound: 0
; FloatMode: 240
; IeeeMode: 1
; LDSByteSize: 32 bytes/workgroup (compile time only)
; SGPRBlocks: 5
; VGPRBlocks: 9
; NumSGPRsForWavesPerEU: 48
; NumVGPRsForWavesPerEU: 76
; AccumOffset: 76
; Occupancy: 6
; WaveLimiterHint : 0
; COMPUTE_PGM_RSRC2:SCRATCH_EN: 0
; COMPUTE_PGM_RSRC2:USER_SGPR: 6
; COMPUTE_PGM_RSRC2:TRAP_HANDLER: 0
; COMPUTE_PGM_RSRC2:TGID_X_EN: 1
; COMPUTE_PGM_RSRC2:TGID_Y_EN: 1
; COMPUTE_PGM_RSRC2:TGID_Z_EN: 0
; COMPUTE_PGM_RSRC2:TIDIG_COMP_CNT: 0
; COMPUTE_PGM_RSRC3_GFX90A:ACCUM_OFFSET: 18
; COMPUTE_PGM_RSRC3_GFX90A:TG_SPLIT: 0
	.section	.text._ZN5aiter35fused_qk_rmsnorm_group_quant_kernelIDF16_DB8_Li256ELi16ELi2ELb1ELb1ELb0ELb0ELb0ELb0EEEvPT0_PvPT_S6_S6_PKS5_S8_S8_S8_S8_ffiiiiiiiiiiiii,"axG",@progbits,_ZN5aiter35fused_qk_rmsnorm_group_quant_kernelIDF16_DB8_Li256ELi16ELi2ELb1ELb1ELb0ELb0ELb0ELb0EEEvPT0_PvPT_S6_S6_PKS5_S8_S8_S8_S8_ffiiiiiiiiiiiii,comdat
	.protected	_ZN5aiter35fused_qk_rmsnorm_group_quant_kernelIDF16_DB8_Li256ELi16ELi2ELb1ELb1ELb0ELb0ELb0ELb0EEEvPT0_PvPT_S6_S6_PKS5_S8_S8_S8_S8_ffiiiiiiiiiiiii ; -- Begin function _ZN5aiter35fused_qk_rmsnorm_group_quant_kernelIDF16_DB8_Li256ELi16ELi2ELb1ELb1ELb0ELb0ELb0ELb0EEEvPT0_PvPT_S6_S6_PKS5_S8_S8_S8_S8_ffiiiiiiiiiiiii
	.globl	_ZN5aiter35fused_qk_rmsnorm_group_quant_kernelIDF16_DB8_Li256ELi16ELi2ELb1ELb1ELb0ELb0ELb0ELb0EEEvPT0_PvPT_S6_S6_PKS5_S8_S8_S8_S8_ffiiiiiiiiiiiii
	.p2align	8
	.type	_ZN5aiter35fused_qk_rmsnorm_group_quant_kernelIDF16_DB8_Li256ELi16ELi2ELb1ELb1ELb0ELb0ELb0ELb0EEEvPT0_PvPT_S6_S6_PKS5_S8_S8_S8_S8_ffiiiiiiiiiiiii,@function
_ZN5aiter35fused_qk_rmsnorm_group_quant_kernelIDF16_DB8_Li256ELi16ELi2ELb1ELb1ELb0ELb0ELb0ELb0EEEvPT0_PvPT_S6_S6_PKS5_S8_S8_S8_S8_ffiiiiiiiiiiiii: ; @_ZN5aiter35fused_qk_rmsnorm_group_quant_kernelIDF16_DB8_Li256ELi16ELi2ELb1ELb1ELb0ELb0ELb0ELb0EEEvPT0_PvPT_S6_S6_PKS5_S8_S8_S8_S8_ffiiiiiiiiiiiii
; %bb.0:
	s_load_dwordx8 s[20:27], s[4:5], 0x50
	s_waitcnt lgkmcnt(0)
	s_cmp_ge_i32 s6, s22
	s_cbranch_scc1 .LBB861_17
; %bb.1:
	s_cmp_lg_u32 s7, 0
	s_cselect_b64 s[10:11], -1, 0
	s_cmp_eq_u32 s7, 0
	s_cselect_b64 s[8:9], -1, 0
	s_and_b64 s[0:1], s[8:9], exec
	s_load_dwordx2 s[28:29], s[4:5], 0x48
	s_load_dwordx2 s[34:35], s[4:5], 0x30
	s_load_dwordx8 s[12:19], s[4:5], 0x70
	s_cselect_b32 s7, s23, s24
	s_add_i32 s0, s7, 1
	s_lshr_b32 s1, s0, 31
	s_add_i32 s0, s0, s1
	s_lshl_b32 s0, s0, 1
	v_lshlrev_b32_e32 v1, 4, v0
	s_and_b32 s38, s0, -4
	v_cmp_gt_i32_e64 s[0:1], s7, v1
	v_mov_b32_e32 v80, 0
	v_mov_b32_e32 v81, 0
	;; [unrolled: 1-line block ×16, first 2 shown]
	s_and_saveexec_b64 s[2:3], s[0:1]
	s_cbranch_execz .LBB861_3
; %bb.2:
	s_waitcnt lgkmcnt(0)
	s_load_dwordx2 s[18:19], s[4:5], 0x28
	s_load_dwordx2 s[30:31], s[4:5], 0x40
	s_and_b64 s[36:37], s[8:9], exec
	s_cselect_b32 s22, s25, s26
	s_mov_b32 s39, 0x20000
	s_waitcnt lgkmcnt(0)
	s_cselect_b32 s25, s19, s35
	s_cselect_b32 s33, s18, s34
	s_mul_hi_i32 s19, s22, s6
	s_mul_i32 s18, s22, s6
	s_lshl_b64 s[18:19], s[18:19], 1
	s_add_u32 s40, s33, s18
	s_addc_u32 s22, s25, s19
	s_and_b64 s[18:19], s[8:9], exec
	s_cselect_b32 s36, s30, s28
	s_cselect_b32 s18, s31, s29
	s_and_b32 s41, s22, 0xffff
	s_mov_b32 s42, s38
	s_mov_b32 s43, s39
	v_lshlrev_b32_e32 v2, 5, v0
	s_and_b32 s37, s18, 0xffff
	buffer_load_dwordx4 v[84:87], v2, s[40:43], 0 offen
	buffer_load_dwordx4 v[88:91], v2, s[40:43], 16 offen
	;; [unrolled: 1-line block ×4, first 2 shown]
.LBB861_3:
	s_or_b64 exec, exec, s[2:3]
	s_and_b64 vcc, exec, s[10:11]
	s_cbranch_vccz .LBB861_7
; %bb.4:
	v_mov_b32_e32 v93, 0
	v_mov_b32_e32 v92, 0
	v_mov_b32_e32 v15, 0
	v_mov_b32_e32 v14, 0
	v_mov_b32_e32 v41, 0
	v_mov_b32_e32 v40, 0
	v_mov_b32_e32 v69, 0
	v_mov_b32_e32 v68, 0
	v_mov_b32_e32 v19, 0
	v_mov_b32_e32 v18, 0
	v_mov_b32_e32 v47, 0
	v_mov_b32_e32 v46, 0
	v_mov_b32_e32 v29, 0
	v_mov_b32_e32 v28, 0
	v_mov_b32_e32 v59, 0
	v_mov_b32_e32 v58, 0
	s_and_saveexec_b64 s[2:3], s[0:1]
	s_cbranch_execz .LBB861_6
; %bb.5:
	s_waitcnt vmcnt(3)
	v_cvt_f32_f16_sdwa v59, v84 dst_sel:DWORD dst_unused:UNUSED_PAD src0_sel:WORD_1
	v_cvt_f32_f16_e32 v58, v84
	v_cvt_f32_f16_sdwa v29, v85 dst_sel:DWORD dst_unused:UNUSED_PAD src0_sel:WORD_1
	v_cvt_f32_f16_e32 v28, v85
	;; [unrolled: 2-line block ×4, first 2 shown]
	s_waitcnt vmcnt(2)
	v_cvt_f32_f16_sdwa v69, v88 dst_sel:DWORD dst_unused:UNUSED_PAD src0_sel:WORD_1
	v_cvt_f32_f16_e32 v68, v88
	v_cvt_f32_f16_sdwa v41, v89 dst_sel:DWORD dst_unused:UNUSED_PAD src0_sel:WORD_1
	v_cvt_f32_f16_e32 v40, v89
	;; [unrolled: 2-line block ×4, first 2 shown]
.LBB861_6:
	s_or_b64 exec, exec, s[2:3]
	s_cbranch_execz .LBB861_8
	s_branch .LBB861_11
.LBB861_7:
                                        ; implicit-def: $vgpr26_vgpr27_vgpr28_vgpr29_vgpr30_vgpr31_vgpr32_vgpr33_vgpr34_vgpr35_vgpr36_vgpr37_vgpr38_vgpr39_vgpr40_vgpr41
                                        ; implicit-def: $vgpr58_vgpr59_vgpr60_vgpr61_vgpr62_vgpr63_vgpr64_vgpr65_vgpr66_vgpr67_vgpr68_vgpr69_vgpr70_vgpr71_vgpr72_vgpr73
                                        ; implicit-def: $vgpr42_vgpr43_vgpr44_vgpr45_vgpr46_vgpr47_vgpr48_vgpr49_vgpr50_vgpr51_vgpr52_vgpr53_vgpr54_vgpr55_vgpr56_vgpr57
                                        ; implicit-def: $vgpr12_vgpr13_vgpr14_vgpr15_vgpr16_vgpr17_vgpr18_vgpr19_vgpr20_vgpr21_vgpr22_vgpr23_vgpr24_vgpr25_vgpr26_vgpr27
                                        ; implicit-def: $vgpr93
                                        ; implicit-def: $vgpr60_vgpr61_vgpr62_vgpr63_vgpr64_vgpr65_vgpr66_vgpr67_vgpr68_vgpr69_vgpr70_vgpr71_vgpr72_vgpr73_vgpr74_vgpr75
                                        ; implicit-def: $vgpr30_vgpr31_vgpr32_vgpr33_vgpr34_vgpr35_vgpr36_vgpr37_vgpr38_vgpr39_vgpr40_vgpr41_vgpr42_vgpr43_vgpr44_vgpr45
                                        ; implicit-def: $vgpr2_vgpr3_vgpr4_vgpr5_vgpr6_vgpr7_vgpr8_vgpr9_vgpr10_vgpr11_vgpr12_vgpr13_vgpr14_vgpr15_vgpr16_vgpr17
.LBB861_8:
	v_mov_b32_e32 v93, 0
	v_mov_b32_e32 v92, 0
	;; [unrolled: 1-line block ×16, first 2 shown]
	s_and_saveexec_b64 s[2:3], s[0:1]
	s_cbranch_execz .LBB861_10
; %bb.9:
	s_waitcnt lgkmcnt(0)
	s_load_dwordx2 s[18:19], s[4:5], 0x38
	s_mul_hi_i32 s31, s27, s6
	s_mul_i32 s30, s27, s6
	s_lshl_b64 s[30:31], s[30:31], 1
	s_mov_b32 s39, 0x20000
	s_waitcnt lgkmcnt(0)
	s_add_u32 s36, s18, s30
	s_addc_u32 s18, s19, s31
	s_and_b32 s37, s18, 0xffff
	v_lshlrev_b32_e32 v38, 5, v0
	buffer_load_dwordx4 v[6:9], v38, s[36:39], 16 offen
	buffer_load_dwordx4 v[10:13], v38, s[36:39], 0 offen
	s_waitcnt vmcnt(5)
	v_cvt_f32_f16_sdwa v19, v86 dst_sel:DWORD dst_unused:UNUSED_PAD src0_sel:WORD_1
	v_cvt_f32_f16_e32 v18, v86
	v_cvt_f32_f16_sdwa v25, v87 dst_sel:DWORD dst_unused:UNUSED_PAD src0_sel:WORD_1
	v_cvt_f32_f16_e32 v24, v87
	;; [unrolled: 2-line block ×4, first 2 shown]
	s_load_dwordx2 s[18:19], s[4:5], 0x20
	s_waitcnt vmcnt(4)
	v_cvt_f32_f16_sdwa v3, v88 dst_sel:DWORD dst_unused:UNUSED_PAD src0_sel:WORD_1
	v_cvt_f32_f16_e32 v2, v88
	v_cvt_f32_f16_sdwa v5, v89 dst_sel:DWORD dst_unused:UNUSED_PAD src0_sel:WORD_1
	v_cvt_f32_f16_e32 v4, v89
	;; [unrolled: 2-line block ×4, first 2 shown]
	s_mul_hi_i32 s31, s17, s6
	s_mul_i32 s30, s17, s6
	s_lshl_b64 s[30:31], s[30:31], 1
	s_waitcnt lgkmcnt(0)
	s_add_u32 s36, s18, s30
	s_addc_u32 s17, s19, s31
	s_and_b32 s37, s17, 0xffff
	s_waitcnt vmcnt(1)
	v_cvt_f32_f16_e32 v26, v6
	v_cvt_f32_f16_sdwa v27, v6 dst_sel:DWORD dst_unused:UNUSED_PAD src0_sel:WORD_1
	v_cvt_f32_f16_e32 v30, v7
	v_cvt_f32_f16_sdwa v31, v7 dst_sel:DWORD dst_unused:UNUSED_PAD src0_sel:WORD_1
	;; [unrolled: 2-line block ×4, first 2 shown]
	s_waitcnt vmcnt(0)
	v_cvt_f32_f16_e32 v6, v12
	v_cvt_f32_f16_sdwa v7, v12 dst_sel:DWORD dst_unused:UNUSED_PAD src0_sel:WORD_1
	v_cvt_f32_f16_e32 v8, v13
	v_cvt_f32_f16_sdwa v9, v13 dst_sel:DWORD dst_unused:UNUSED_PAD src0_sel:WORD_1
	;; [unrolled: 2-line block ×4, first 2 shown]
	v_pk_add_f32 v[46:47], v[18:19], v[6:7]
	v_pk_add_f32 v[18:19], v[24:25], v[8:9]
	v_cvt_f16_f32_e32 v6, v47
	v_cvt_f16_f32_e32 v7, v19
	;; [unrolled: 1-line block ×4, first 2 shown]
	v_pk_add_f32 v[28:29], v[22:23], v[10:11]
	v_pk_add_f32 v[58:59], v[20:21], v[36:37]
	v_pack_b32_f16 v9, v8, v7
	v_pack_b32_f16 v8, v12, v6
	v_cvt_f16_f32_e32 v6, v29
	v_cvt_f16_f32_e32 v7, v28
	;; [unrolled: 1-line block ×3, first 2 shown]
	v_pk_add_f32 v[92:93], v[16:17], v[34:35]
	v_pk_add_f32 v[14:15], v[14:15], v[32:33]
	v_pack_b32_f16 v7, v7, v6
	v_cvt_f16_f32_e32 v6, v59
	v_pk_add_f32 v[40:41], v[4:5], v[30:31]
	v_pk_add_f32 v[68:69], v[2:3], v[26:27]
	v_cvt_f16_f32_e32 v4, v40
	v_pack_b32_f16 v6, v10, v6
	buffer_store_dwordx4 v[6:9], v38, s[36:39], 0 offen
	v_cvt_f16_f32_e32 v5, v41
	v_cvt_f16_f32_e32 v6, v14
	;; [unrolled: 1-line block ×7, first 2 shown]
	v_pack_b32_f16 v7, v7, v8
	v_pack_b32_f16 v6, v6, v9
	;; [unrolled: 1-line block ×4, first 2 shown]
	;;#ASMSTART
	s_nop 0
	;;#ASMEND
	buffer_store_dwordx4 v[4:7], v38, s[36:39], 16 offen
	;;#ASMSTART
	s_nop 0
	;;#ASMEND
.LBB861_10:
	s_or_b64 exec, exec, s[2:3]
.LBB861_11:
	v_mul_f32_e32 v2, v59, v59
	v_fmac_f32_e32 v2, v58, v58
	v_fmac_f32_e32 v2, v28, v28
	;; [unrolled: 1-line block ×15, first 2 shown]
	s_nop 1
	v_mov_b32_dpp v3, v2 quad_perm:[1,0,3,2] row_mask:0xf bank_mask:0xf
	v_add_f32_e32 v2, v2, v3
	s_nop 1
	v_mov_b32_dpp v3, v2 quad_perm:[2,3,0,1] row_mask:0xf bank_mask:0xf
	v_add_f32_e32 v2, v2, v3
	s_nop 1
	v_mov_b32_dpp v3, v2 row_half_mirror row_mask:0xf bank_mask:0xf
	v_add_f32_e32 v2, v2, v3
	s_nop 1
	v_mov_b32_dpp v3, v2 row_mirror row_mask:0xf bank_mask:0xf
	v_add_f32_e32 v2, v2, v3
	s_nop 1
	v_mov_b32_dpp v3, v2 row_bcast:15 row_mask:0xf bank_mask:0xf
	v_add_f32_e32 v2, v2, v3
	v_and_b32_e32 v3, 63, v0
	v_cmp_eq_u32_e64 s[2:3], 63, v3
	s_nop 0
	v_mov_b32_dpp v3, v2 row_bcast:31 row_mask:0xf bank_mask:0xf
	s_waitcnt lgkmcnt(0)
	s_and_saveexec_b64 s[18:19], s[2:3]
	s_cbranch_execz .LBB861_13
; %bb.12:
	v_add_f32_e32 v2, v2, v3
	v_lshrrev_b32_e32 v3, 4, v0
	v_and_b32_e32 v3, 60, v3
	ds_write_b32 v3, v2 offset:16
.LBB861_13:
	s_or_b64 exec, exec, s[18:19]
	v_and_b32_e32 v2, 3, v0
	v_lshlrev_b32_e32 v34, 2, v2
	s_waitcnt lgkmcnt(0)
	s_barrier
	ds_read_b32 v2, v34 offset:16
	s_load_dwordx2 s[18:19], s[4:5], 0x18
	s_waitcnt lgkmcnt(0)
	v_mov_b32_dpp v3, v2 quad_perm:[1,0,3,2] row_mask:0xf bank_mask:0xf
	v_add_f32_e32 v2, v2, v3
	s_nop 1
	v_mov_b32_dpp v3, v2 quad_perm:[2,3,0,1] row_mask:0xf bank_mask:0xf
	s_and_saveexec_b64 s[30:31], s[0:1]
	s_cbranch_execnz .LBB861_18
; %bb.14:
	s_or_b64 exec, exec, s[30:31]
	s_mov_b64 s[8:9], -1
	s_and_b64 vcc, exec, s[10:11]
	s_cbranch_vccnz .LBB861_19
.LBB861_15:
	s_andn2_b64 vcc, exec, s[8:9]
	s_cbranch_vccz .LBB861_22
.LBB861_16:
	s_cmp_lt_i32 s24, 1
	s_cbranch_scc0 .LBB861_31
.LBB861_17:
	s_endpgm
.LBB861_18:
	v_add_f32_e32 v2, v2, v3
	v_cvt_f32_u32_e32 v3, s7
	s_mov_b32 s7, 0x800000
	s_waitcnt vmcnt(1)
	v_cvt_f32_f16_sdwa v21, v81 dst_sel:DWORD dst_unused:UNUSED_PAD src0_sel:WORD_1
	v_cvt_f32_f16_e32 v20, v81
	v_div_scale_f32 v4, s[36:37], v3, v3, v2
	v_rcp_f32_e32 v5, v4
	s_waitcnt vmcnt(0)
	v_cvt_f32_f16_sdwa v23, v77 dst_sel:DWORD dst_unused:UNUSED_PAD src0_sel:WORD_1
	v_cvt_f32_f16_e32 v22, v77
	v_cvt_f32_f16_sdwa v25, v78 dst_sel:DWORD dst_unused:UNUSED_PAD src0_sel:WORD_1
	v_fma_f32 v6, -v4, v5, 1.0
	v_fmac_f32_e32 v5, v6, v5
	v_div_scale_f32 v6, vcc, v2, v3, v2
	v_mul_f32_e32 v7, v6, v5
	v_fma_f32 v8, -v4, v7, v6
	v_fmac_f32_e32 v7, v8, v5
	v_fma_f32 v4, -v4, v7, v6
	v_div_fmas_f32 v4, v4, v5, v7
	v_div_fixup_f32 v2, v4, v3, v2
	v_mov_b32_e32 v3, s21
	v_mov_b32_e32 v4, s20
	v_cndmask_b32_e64 v3, v3, v4, s[8:9]
	v_add_f32_e32 v2, v3, v2
	v_mul_f32_e32 v3, 0x4b800000, v2
	v_cmp_gt_f32_e32 vcc, s7, v2
	v_cndmask_b32_e32 v2, v2, v3, vcc
	v_rsq_f32_e32 v2, v2
	v_cvt_f32_f16_e32 v24, v78
	v_cvt_f32_f16_sdwa v27, v79 dst_sel:DWORD dst_unused:UNUSED_PAD src0_sel:WORD_1
	v_cvt_f32_f16_e32 v26, v79
	v_mul_f32_e32 v3, 0x45800000, v2
	v_cndmask_b32_e32 v2, v2, v3, vcc
	v_mov_b32_e32 v3, v2
	;;#ASMSTART
	v_pk_mul_f32 v[4:5], v[58:59], v[2:3]
	;;#ASMEND
	;;#ASMSTART
	v_pk_mul_f32 v[6:7], v[28:29], v[2:3]
	;;#ASMEND
	;; [unrolled: 3-line block ×6, first 2 shown]
	v_cvt_f32_f16_sdwa v19, v80 dst_sel:DWORD dst_unused:UNUSED_PAD src0_sel:WORD_1
	v_cvt_f32_f16_e32 v18, v80
	;;#ASMSTART
	v_pk_mul_f32 v[14:15], v[14:15], v[2:3]
	;;#ASMEND
	;;#ASMSTART
	v_pk_mul_f32 v[2:3], v[92:93], v[2:3]
	;;#ASMEND
	;; [unrolled: 3-line block ×4, first 2 shown]
	v_cvt_f32_f16_sdwa v5, v82 dst_sel:DWORD dst_unused:UNUSED_PAD src0_sel:WORD_1
	v_cvt_f32_f16_e32 v4, v82
	v_cvt_f32_f16_sdwa v7, v83 dst_sel:DWORD dst_unused:UNUSED_PAD src0_sel:WORD_1
	v_cvt_f32_f16_e32 v6, v83
	;; [unrolled: 2-line block ×3, first 2 shown]
	;;#ASMSTART
	v_pk_mul_f32 v[46:47], v[8:9], v[4:5]
	;;#ASMEND
	;;#ASMSTART
	v_pk_mul_f32 v[18:19], v[10:11], v[6:7]
	;;#ASMEND
	;; [unrolled: 3-line block ×6, first 2 shown]
	s_or_b64 exec, exec, s[30:31]
	s_mov_b64 s[8:9], -1
	s_and_b64 vcc, exec, s[10:11]
	s_cbranch_vccz .LBB861_15
.LBB861_19:
	s_and_saveexec_b64 s[8:9], s[0:1]
	s_cbranch_execz .LBB861_21
; %bb.20:
	v_cvt_f16_f32_e32 v2, v46
	v_cvt_f16_f32_e32 v3, v18
	;; [unrolled: 1-line block ×4, first 2 shown]
	s_mul_hi_i32 s11, s16, s6
	s_mul_i32 s10, s16, s6
	v_pack_b32_f16 v5, v3, v4
	v_pack_b32_f16 v4, v2, v6
	v_cvt_f16_f32_e32 v2, v28
	v_cvt_f16_f32_e32 v3, v29
	;; [unrolled: 1-line block ×3, first 2 shown]
	s_lshl_b64 s[10:11], s[10:11], 1
	s_add_u32 s36, s18, s10
	v_pack_b32_f16 v3, v2, v3
	v_cvt_f16_f32_e32 v2, v58
	s_addc_u32 s7, s19, s11
	s_and_b32 s37, s7, 0xffff
	s_mov_b32 s39, 0x20000
	v_pack_b32_f16 v2, v2, v6
	v_lshlrev_b32_e32 v6, 5, v0
	buffer_store_dwordx4 v[2:5], v6, s[36:39], 0 offen
	v_cvt_f16_f32_e32 v7, v15
	v_cvt_f16_f32_e32 v2, v14
	;; [unrolled: 1-line block ×4, first 2 shown]
	;;#ASMSTART
	s_nop 0
	;;#ASMEND
	v_pack_b32_f16 v5, v3, v4
	v_pack_b32_f16 v4, v2, v7
	v_cvt_f16_f32_e32 v2, v40
	v_cvt_f16_f32_e32 v3, v41
	;; [unrolled: 1-line block ×3, first 2 shown]
	v_pack_b32_f16 v3, v2, v3
	v_cvt_f16_f32_e32 v2, v68
	v_pack_b32_f16 v2, v2, v7
	buffer_store_dwordx4 v[2:5], v6, s[36:39], 16 offen
	;;#ASMSTART
	s_nop 0
	;;#ASMEND
.LBB861_21:
	s_or_b64 exec, exec, s[8:9]
	s_cbranch_execnz .LBB861_16
.LBB861_22:
	v_mov_b32_e32 v2, 0
	s_and_saveexec_b64 s[8:9], s[0:1]
	s_cbranch_execz .LBB861_24
; %bb.23:
	v_cvt_f16_f32_e32 v2, v46
	v_cvt_f16_f32_e32 v3, v18
	;; [unrolled: 1-line block ×4, first 2 shown]
	s_load_dwordx2 s[10:11], s[4:5], 0x10
	s_mul_hi_i32 s31, s15, s6
	v_pack_b32_f16 v5, v3, v4
	v_pack_b32_f16 v4, v2, v6
	v_cvt_f16_f32_e32 v2, v28
	v_cvt_f16_f32_e32 v3, v29
	;; [unrolled: 1-line block ×3, first 2 shown]
	s_mul_i32 s30, s15, s6
	s_lshl_b64 s[30:31], s[30:31], 1
	v_pack_b32_f16 v3, v2, v3
	v_cvt_f16_f32_e32 v2, v58
	s_waitcnt lgkmcnt(0)
	s_add_u32 s36, s10, s30
	s_addc_u32 s7, s11, s31
	s_and_b32 s37, s7, 0xffff
	v_pack_b32_f16 v2, v2, v6
	s_mov_b32 s39, 0x20000
	v_lshlrev_b32_e32 v6, 5, v0
	buffer_store_dwordx4 v[2:5], v6, s[36:39], 0 offen
	v_cvt_f16_f32_e32 v7, v15
	v_cvt_f16_f32_e32 v2, v14
	;; [unrolled: 1-line block ×4, first 2 shown]
	;;#ASMSTART
	s_nop 0
	;;#ASMEND
	v_pack_b32_f16 v5, v3, v4
	v_pack_b32_f16 v4, v2, v7
	v_cvt_f16_f32_e32 v2, v40
	v_cvt_f16_f32_e32 v3, v41
	;; [unrolled: 1-line block ×3, first 2 shown]
	v_pack_b32_f16 v3, v2, v3
	v_cvt_f16_f32_e32 v2, v68
	v_pack_b32_f16 v2, v2, v7
	buffer_store_dwordx4 v[2:5], v6, s[36:39], 16 offen
	;;#ASMSTART
	s_nop 0
	;;#ASMEND
	s_nop 0
	v_mov_b32_e32 v2, 0x2edbe6ff
.LBB861_24:
	s_or_b64 exec, exec, s[8:9]
	s_and_saveexec_b64 s[8:9], s[0:1]
	s_cbranch_execz .LBB861_26
; %bb.25:
	v_and_b32_e32 v3, 0x7fffffff, v58
	v_and_b32_e32 v4, 0x7fffffff, v59
	;;#ASMSTART
	v_max3_f32 v2, v2, v3, v4

	;;#ASMEND
	v_and_b32_e32 v3, 0x7fffffff, v28
	v_and_b32_e32 v4, 0x7fffffff, v29
	;;#ASMSTART
	v_max3_f32 v2, v2, v3, v4

	;;#ASMEND
	;; [unrolled: 6-line block ×8, first 2 shown]
.LBB861_26:
	s_or_b64 exec, exec, s[8:9]
	;;#ASMSTART
	v_max_f32 v3, v2, v2 quad_perm:[1,0,3,2] row_mask:0xf bank_mask:0xf bound_ctrl:1
	;;#ASMEND
	v_mul_f32_e32 v2, 0x3b124925, v3
	v_and_b32_e32 v3, 1, v0
	v_cmp_eq_u32_e32 vcc, 0, v3
	v_cmp_gt_i32_e64 s[8:9], s23, v1
	s_and_b64 s[10:11], vcc, s[8:9]
	s_and_saveexec_b64 s[8:9], s[10:11]
	s_cbranch_execz .LBB861_28
; %bb.27:
	s_load_dwordx2 s[10:11], s[4:5], 0x8
	v_lshrrev_b32_e32 v3, 1, v0
	s_mul_hi_i32 s31, s13, s6
	s_mul_i32 s30, s13, s6
	v_mad_i64_i32 v[4:5], s[14:15], s14, v3, 0
	s_lshl_b64 s[14:15], s[30:31], 2
	s_waitcnt lgkmcnt(0)
	s_add_u32 s7, s10, s14
	s_addc_u32 s10, s11, s15
	v_lshlrev_b64 v[4:5], 2, v[4:5]
	v_mov_b32_e32 v3, s10
	v_add_co_u32_e32 v4, vcc, s7, v4
	v_addc_co_u32_e32 v5, vcc, v3, v5, vcc
	global_store_dword v[4:5], v2, off
.LBB861_28:
	s_or_b64 exec, exec, s[8:9]
	;;#ASMSTART
	v_rcp_f32 v2, v2
	;;#ASMEND
	s_and_saveexec_b64 s[14:15], s[0:1]
	s_cbranch_execz .LBB861_30
; %bb.29:
	v_mov_b32_e32 v3, v2
	;;#ASMSTART
	v_pk_mul_f32 v[4:5], v[58:59], v[2:3]
	;;#ASMEND
	v_mov_b32_e32 v10, 0xc3e00000
	v_mov_b32_e32 v11, 0x43e00000
	;;#ASMSTART
	v_med3_f32 v4, v4, v10, v11
v_med3_f32 v5, v5, v10, v11
v_cvt_pk_fp8_f32 v6, v4, v5
	;;#ASMEND
	;;#ASMSTART
	v_pk_mul_f32 v[4:5], v[28:29], v[2:3]
	;;#ASMEND
	;;#ASMSTART
	v_med3_f32 v4, v4, v10, v11
v_med3_f32 v5, v5, v10, v11
v_cvt_pk_fp8_f32 v7, v4, v5
	;;#ASMEND
	;;#ASMSTART
	v_pk_mul_f32 v[4:5], v[46:47], v[2:3]
	;;#ASMEND
	;; [unrolled: 8-line block ×3, first 2 shown]
	;;#ASMSTART
	v_med3_f32 v4, v4, v10, v11
v_med3_f32 v5, v5, v10, v11
v_cvt_pk_fp8_f32 v9, v4, v5
	;;#ASMEND
	s_mov_b32 s0, 0x5040100
	v_perm_b32 v4, v7, v6, s0
	s_mov_b32 s0, 0x1060504
	v_perm_b32 v4, v4, v7, s0
	s_load_dwordx2 s[0:1], s[4:5], 0x0
	s_mov_b32 s7, 0x1000504
	;;#ASMSTART
	v_pk_mul_f32 v[6:7], v[68:69], v[2:3]
	;;#ASMEND
	v_perm_b32 v5, v8, v9, s7
	s_mul_i32 s8, s12, s6
	;;#ASMSTART
	v_med3_f32 v6, v6, v10, v11
v_med3_f32 v7, v7, v10, v11
v_cvt_pk_fp8_f32 v8, v6, v7
	;;#ASMEND
	s_mul_hi_i32 s9, s12, s6
	s_waitcnt lgkmcnt(0)
	s_add_u32 s8, s0, s8
	;;#ASMSTART
	v_pk_mul_f32 v[6:7], v[40:41], v[2:3]
	;;#ASMEND
	s_addc_u32 s0, s1, s9
	s_add_i32 s1, s23, 3
	;;#ASMSTART
	v_med3_f32 v6, v6, v10, v11
v_med3_f32 v7, v7, v10, v11
v_cvt_pk_fp8_f32 v9, v6, v7
	;;#ASMEND
	s_ashr_i32 s9, s1, 31
	v_perm_b32 v6, v8, v9, s7
	;;#ASMSTART
	v_pk_mul_f32 v[8:9], v[14:15], v[2:3]
	;;#ASMEND
	v_mov_b32_e32 v7, v9
	s_lshr_b32 s9, s9, 30
	;;#ASMSTART
	v_med3_f32 v8, v8, v10, v11
v_med3_f32 v7, v7, v10, v11
v_cvt_pk_fp8_f32 v9, v8, v7
	;;#ASMEND
	;;#ASMSTART
	v_pk_mul_f32 v[2:3], v[92:93], v[2:3]
	;;#ASMEND
	s_add_i32 s1, s1, s9
	;;#ASMSTART
	v_med3_f32 v2, v2, v10, v11
v_med3_f32 v3, v3, v10, v11
v_cvt_pk_fp8_f32 v7, v2, v3
	;;#ASMEND
	s_and_b32 s10, s1, -4
	s_and_b32 s9, s0, 0xffff
	s_mov_b32 s11, 0x20000
	v_perm_b32 v7, v9, v7, s7
	buffer_store_dwordx4 v[4:7], v1, s[8:11], 0 offen
	;;#ASMSTART
	s_nop 0
	;;#ASMEND
.LBB861_30:
	s_or_b64 exec, exec, s[14:15]
	s_cmp_lt_i32 s24, 1
	s_cbranch_scc1 .LBB861_17
.LBB861_31:
	s_load_dword s0, s[4:5], 0x94
	s_waitcnt lgkmcnt(0)
	s_cmp_lg_u32 s0, 1
	s_cbranch_scc1 .LBB861_17
; %bb.32:
	s_lshl_b32 s0, s24, 1
	s_add_i32 s0, s0, 2
	v_cmp_gt_u32_e32 vcc, s24, v1
	s_and_b32 s30, s0, -4
	v_mov_b32_e32 v18, 0
	v_lshlrev_b32_e32 v1, 5, v0
	v_mov_b32_e32 v14, 0
	v_mov_b32_e32 v15, 0
	;; [unrolled: 1-line block ×16, first 2 shown]
	s_barrier
	s_and_saveexec_b64 s[0:1], vcc
	s_cbranch_execz .LBB861_34
; %bb.33:
	s_mul_hi_i32 s5, s26, s6
	s_mul_i32 s4, s26, s6
	s_and_b32 s29, s29, 0xffff
	s_lshl_b64 s[4:5], s[4:5], 1
	s_add_u32 s8, s34, s4
	s_mov_b32 s31, 0x20000
	s_addc_u32 s4, s35, s5
	s_and_b32 s9, s4, 0xffff
	s_mov_b32 s10, s30
	s_mov_b32 s11, s31
	buffer_load_dwordx4 v[14:17], v1, s[8:11], 0 offen
	buffer_load_dwordx4 v[10:13], v1, s[8:11], 16 offen
	;; [unrolled: 1-line block ×4, first 2 shown]
.LBB861_34:
	s_or_b64 exec, exec, s[0:1]
	v_mov_b32_e32 v19, 0
	v_mov_b32_e32 v32, 0
	;; [unrolled: 1-line block ×15, first 2 shown]
	s_and_saveexec_b64 s[0:1], vcc
	s_cbranch_execz .LBB861_36
; %bb.35:
	s_waitcnt vmcnt(3)
	v_cvt_f32_f16_sdwa v19, v14 dst_sel:DWORD dst_unused:UNUSED_PAD src0_sel:WORD_1
	v_cvt_f32_f16_e32 v18, v14
	v_cvt_f32_f16_sdwa v33, v15 dst_sel:DWORD dst_unused:UNUSED_PAD src0_sel:WORD_1
	v_cvt_f32_f16_e32 v32, v15
	;; [unrolled: 2-line block ×4, first 2 shown]
	s_waitcnt vmcnt(2)
	v_cvt_f32_f16_sdwa v27, v10 dst_sel:DWORD dst_unused:UNUSED_PAD src0_sel:WORD_1
	v_cvt_f32_f16_e32 v26, v10
	v_cvt_f32_f16_sdwa v25, v11 dst_sel:DWORD dst_unused:UNUSED_PAD src0_sel:WORD_1
	v_cvt_f32_f16_e32 v24, v11
	;; [unrolled: 2-line block ×4, first 2 shown]
.LBB861_36:
	s_or_b64 exec, exec, s[0:1]
	s_waitcnt vmcnt(2)
	v_mul_f32_e32 v10, v19, v19
	v_fmac_f32_e32 v10, v18, v18
	v_fmac_f32_e32 v10, v32, v32
	;; [unrolled: 1-line block ×15, first 2 shown]
	s_nop 1
	v_mov_b32_dpp v11, v10 quad_perm:[1,0,3,2] row_mask:0xf bank_mask:0xf
	v_add_f32_e32 v10, v10, v11
	s_nop 1
	v_mov_b32_dpp v11, v10 quad_perm:[2,3,0,1] row_mask:0xf bank_mask:0xf
	v_add_f32_e32 v10, v10, v11
	s_nop 1
	v_mov_b32_dpp v11, v10 row_half_mirror row_mask:0xf bank_mask:0xf
	v_add_f32_e32 v10, v10, v11
	s_nop 1
	v_mov_b32_dpp v11, v10 row_mirror row_mask:0xf bank_mask:0xf
	v_add_f32_e32 v10, v10, v11
	s_nop 1
	v_mov_b32_dpp v11, v10 row_bcast:15 row_mask:0xf bank_mask:0xf
	v_add_f32_e32 v10, v10, v11
	s_nop 1
	v_mov_b32_dpp v11, v10 row_bcast:31 row_mask:0xf bank_mask:0xf
	s_and_saveexec_b64 s[0:1], s[2:3]
	s_cbranch_execz .LBB861_38
; %bb.37:
	v_lshrrev_b32_e32 v0, 4, v0
	v_add_f32_e32 v10, v10, v11
	v_and_b32_e32 v0, 60, v0
	ds_write_b32 v0, v10
.LBB861_38:
	s_or_b64 exec, exec, s[0:1]
	s_waitcnt lgkmcnt(0)
	s_barrier
	ds_read_b32 v0, v34
	s_waitcnt lgkmcnt(0)
	s_nop 0
	v_mov_b32_dpp v10, v0 quad_perm:[1,0,3,2] row_mask:0xf bank_mask:0xf
	v_add_f32_e32 v0, v0, v10
	s_nop 1
	v_mov_b32_dpp v10, v0 quad_perm:[2,3,0,1] row_mask:0xf bank_mask:0xf
	s_and_saveexec_b64 s[0:1], vcc
	s_cbranch_execz .LBB861_17
; %bb.39:
	v_cvt_f32_u32_e32 v11, s24
	v_add_f32_e32 v0, v0, v10
	s_mov_b32 s31, 0x20000
	v_div_scale_f32 v10, s[0:1], v11, v11, v0
	v_rcp_f32_e32 v12, v10
	v_div_scale_f32 v13, vcc, v0, v11, v0
	s_mov_b32 s0, 0x800000
	v_fma_f32 v14, -v10, v12, 1.0
	v_fmac_f32_e32 v12, v14, v12
	v_mul_f32_e32 v14, v13, v12
	v_fma_f32 v15, -v10, v14, v13
	v_fmac_f32_e32 v14, v15, v12
	v_fma_f32 v10, -v10, v14, v13
	v_div_fmas_f32 v10, v10, v12, v14
	v_div_fixup_f32 v0, v10, v11, v0
	v_add_f32_e32 v0, s21, v0
	v_mul_f32_e32 v10, 0x4b800000, v0
	v_cmp_gt_f32_e32 vcc, s0, v0
	v_cndmask_b32_e32 v0, v0, v10, vcc
	v_rsq_f32_e32 v0, v0
	s_mul_hi_i32 s1, s16, s6
	s_mul_i32 s0, s16, s6
	s_lshl_b64 s[0:1], s[0:1], 1
	v_mul_f32_e32 v10, 0x45800000, v0
	v_cndmask_b32_e32 v10, v0, v10, vcc
	v_mov_b32_e32 v11, v10
	;;#ASMSTART
	v_pk_mul_f32 v[12:13], v[18:19], v[10:11]
	;;#ASMEND
	;;#ASMSTART
	v_pk_mul_f32 v[14:15], v[32:33], v[10:11]
	;;#ASMEND
	;;#ASMSTART
	v_pk_mul_f32 v[16:17], v[30:31], v[10:11]
	;;#ASMEND
	;;#ASMSTART
	v_pk_mul_f32 v[18:19], v[28:29], v[10:11]
	;;#ASMEND
	;;#ASMSTART
	v_pk_mul_f32 v[26:27], v[26:27], v[10:11]
	;;#ASMEND
	;;#ASMSTART
	v_pk_mul_f32 v[24:25], v[24:25], v[10:11]
	;;#ASMEND
	;;#ASMSTART
	v_pk_mul_f32 v[22:23], v[22:23], v[10:11]
	;;#ASMEND
	;;#ASMSTART
	v_pk_mul_f32 v[10:11], v[20:21], v[10:11]
	;;#ASMEND
	s_waitcnt vmcnt(1)
	v_cvt_f32_f16_sdwa v21, v6 dst_sel:DWORD dst_unused:UNUSED_PAD src0_sel:WORD_1
	v_cvt_f32_f16_e32 v20, v6
	v_cvt_f32_f16_sdwa v29, v7 dst_sel:DWORD dst_unused:UNUSED_PAD src0_sel:WORD_1
	v_cvt_f32_f16_e32 v28, v7
	;; [unrolled: 2-line block ×4, first 2 shown]
	;;#ASMSTART
	v_pk_mul_f32 v[8:9], v[12:13], v[20:21]
	;;#ASMEND
	;;#ASMSTART
	v_pk_mul_f32 v[12:13], v[14:15], v[28:29]
	;;#ASMEND
	;; [unrolled: 3-line block ×4, first 2 shown]
	s_waitcnt vmcnt(0)
	v_cvt_f32_f16_sdwa v17, v2 dst_sel:DWORD dst_unused:UNUSED_PAD src0_sel:WORD_1
	v_cvt_f32_f16_e32 v16, v2
	v_cvt_f32_f16_sdwa v19, v3 dst_sel:DWORD dst_unused:UNUSED_PAD src0_sel:WORD_1
	v_cvt_f32_f16_e32 v18, v3
	;; [unrolled: 2-line block ×4, first 2 shown]
	;;#ASMSTART
	v_pk_mul_f32 v[16:17], v[26:27], v[16:17]
	;;#ASMEND
	;;#ASMSTART
	v_pk_mul_f32 v[18:19], v[24:25], v[18:19]
	;;#ASMEND
	;; [unrolled: 3-line block ×3, first 2 shown]
	v_cvt_f16_f32_e32 v0, v8
	v_cvt_f16_f32_e32 v2, v9
	;; [unrolled: 1-line block ×8, first 2 shown]
	s_add_u32 s28, s18, s0
	s_addc_u32 s0, s19, s1
	s_and_b32 s29, s0, 0xffff
	v_pack_b32_f16 v2, v0, v2
	v_pack_b32_f16 v3, v3, v4
	;; [unrolled: 1-line block ×4, first 2 shown]
	;;#ASMSTART
	v_pk_mul_f32 v[10:11], v[10:11], v[20:21]
	;;#ASMEND
	buffer_store_dwordx4 v[2:5], v1, s[28:31], 0 offen
	v_cvt_f16_f32_e32 v0, v16
	v_cvt_f16_f32_e32 v2, v17
	;; [unrolled: 1-line block ×8, first 2 shown]
	v_pack_b32_f16 v2, v0, v2
	v_pack_b32_f16 v3, v3, v4
	;; [unrolled: 1-line block ×4, first 2 shown]
	;;#ASMSTART
	s_nop 0
	;;#ASMEND
	buffer_store_dwordx4 v[2:5], v1, s[28:31], 16 offen
	;;#ASMSTART
	s_nop 0
	;;#ASMEND
	s_endpgm
	.section	.rodata,"a",@progbits
	.p2align	6, 0x0
	.amdhsa_kernel _ZN5aiter35fused_qk_rmsnorm_group_quant_kernelIDF16_DB8_Li256ELi16ELi2ELb1ELb1ELb0ELb0ELb0ELb0EEEvPT0_PvPT_S6_S6_PKS5_S8_S8_S8_S8_ffiiiiiiiiiiiii
		.amdhsa_group_segment_fixed_size 32
		.amdhsa_private_segment_fixed_size 0
		.amdhsa_kernarg_size 400
		.amdhsa_user_sgpr_count 6
		.amdhsa_user_sgpr_private_segment_buffer 1
		.amdhsa_user_sgpr_dispatch_ptr 0
		.amdhsa_user_sgpr_queue_ptr 0
		.amdhsa_user_sgpr_kernarg_segment_ptr 1
		.amdhsa_user_sgpr_dispatch_id 0
		.amdhsa_user_sgpr_flat_scratch_init 0
		.amdhsa_user_sgpr_kernarg_preload_length 0
		.amdhsa_user_sgpr_kernarg_preload_offset 0
		.amdhsa_user_sgpr_private_segment_size 0
		.amdhsa_uses_dynamic_stack 0
		.amdhsa_system_sgpr_private_segment_wavefront_offset 0
		.amdhsa_system_sgpr_workgroup_id_x 1
		.amdhsa_system_sgpr_workgroup_id_y 1
		.amdhsa_system_sgpr_workgroup_id_z 0
		.amdhsa_system_sgpr_workgroup_info 0
		.amdhsa_system_vgpr_workitem_id 0
		.amdhsa_next_free_vgpr 94
		.amdhsa_next_free_sgpr 44
		.amdhsa_accum_offset 96
		.amdhsa_reserve_vcc 1
		.amdhsa_reserve_flat_scratch 0
		.amdhsa_float_round_mode_32 0
		.amdhsa_float_round_mode_16_64 0
		.amdhsa_float_denorm_mode_32 3
		.amdhsa_float_denorm_mode_16_64 3
		.amdhsa_dx10_clamp 1
		.amdhsa_ieee_mode 1
		.amdhsa_fp16_overflow 0
		.amdhsa_tg_split 0
		.amdhsa_exception_fp_ieee_invalid_op 0
		.amdhsa_exception_fp_denorm_src 0
		.amdhsa_exception_fp_ieee_div_zero 0
		.amdhsa_exception_fp_ieee_overflow 0
		.amdhsa_exception_fp_ieee_underflow 0
		.amdhsa_exception_fp_ieee_inexact 0
		.amdhsa_exception_int_div_zero 0
	.end_amdhsa_kernel
	.section	.text._ZN5aiter35fused_qk_rmsnorm_group_quant_kernelIDF16_DB8_Li256ELi16ELi2ELb1ELb1ELb0ELb0ELb0ELb0EEEvPT0_PvPT_S6_S6_PKS5_S8_S8_S8_S8_ffiiiiiiiiiiiii,"axG",@progbits,_ZN5aiter35fused_qk_rmsnorm_group_quant_kernelIDF16_DB8_Li256ELi16ELi2ELb1ELb1ELb0ELb0ELb0ELb0EEEvPT0_PvPT_S6_S6_PKS5_S8_S8_S8_S8_ffiiiiiiiiiiiii,comdat
.Lfunc_end861:
	.size	_ZN5aiter35fused_qk_rmsnorm_group_quant_kernelIDF16_DB8_Li256ELi16ELi2ELb1ELb1ELb0ELb0ELb0ELb0EEEvPT0_PvPT_S6_S6_PKS5_S8_S8_S8_S8_ffiiiiiiiiiiiii, .Lfunc_end861-_ZN5aiter35fused_qk_rmsnorm_group_quant_kernelIDF16_DB8_Li256ELi16ELi2ELb1ELb1ELb0ELb0ELb0ELb0EEEvPT0_PvPT_S6_S6_PKS5_S8_S8_S8_S8_ffiiiiiiiiiiiii
                                        ; -- End function
	.section	.AMDGPU.csdata,"",@progbits
; Kernel info:
; codeLenInByte = 4256
; NumSgprs: 48
; NumVgprs: 94
; NumAgprs: 0
; TotalNumVgprs: 94
; ScratchSize: 0
; MemoryBound: 0
; FloatMode: 240
; IeeeMode: 1
; LDSByteSize: 32 bytes/workgroup (compile time only)
; SGPRBlocks: 5
; VGPRBlocks: 11
; NumSGPRsForWavesPerEU: 48
; NumVGPRsForWavesPerEU: 94
; AccumOffset: 96
; Occupancy: 5
; WaveLimiterHint : 0
; COMPUTE_PGM_RSRC2:SCRATCH_EN: 0
; COMPUTE_PGM_RSRC2:USER_SGPR: 6
; COMPUTE_PGM_RSRC2:TRAP_HANDLER: 0
; COMPUTE_PGM_RSRC2:TGID_X_EN: 1
; COMPUTE_PGM_RSRC2:TGID_Y_EN: 1
; COMPUTE_PGM_RSRC2:TGID_Z_EN: 0
; COMPUTE_PGM_RSRC2:TIDIG_COMP_CNT: 0
; COMPUTE_PGM_RSRC3_GFX90A:ACCUM_OFFSET: 23
; COMPUTE_PGM_RSRC3_GFX90A:TG_SPLIT: 0
	.section	.text._ZN5aiter35fused_qk_rmsnorm_group_quant_kernelItDB8_Li256ELi16ELi2ELb1ELb1ELb0ELb0ELb0ELb0EEEvPT0_PvPT_S6_S6_PKS5_S8_S8_S8_S8_ffiiiiiiiiiiiii,"axG",@progbits,_ZN5aiter35fused_qk_rmsnorm_group_quant_kernelItDB8_Li256ELi16ELi2ELb1ELb1ELb0ELb0ELb0ELb0EEEvPT0_PvPT_S6_S6_PKS5_S8_S8_S8_S8_ffiiiiiiiiiiiii,comdat
	.protected	_ZN5aiter35fused_qk_rmsnorm_group_quant_kernelItDB8_Li256ELi16ELi2ELb1ELb1ELb0ELb0ELb0ELb0EEEvPT0_PvPT_S6_S6_PKS5_S8_S8_S8_S8_ffiiiiiiiiiiiii ; -- Begin function _ZN5aiter35fused_qk_rmsnorm_group_quant_kernelItDB8_Li256ELi16ELi2ELb1ELb1ELb0ELb0ELb0ELb0EEEvPT0_PvPT_S6_S6_PKS5_S8_S8_S8_S8_ffiiiiiiiiiiiii
	.globl	_ZN5aiter35fused_qk_rmsnorm_group_quant_kernelItDB8_Li256ELi16ELi2ELb1ELb1ELb0ELb0ELb0ELb0EEEvPT0_PvPT_S6_S6_PKS5_S8_S8_S8_S8_ffiiiiiiiiiiiii
	.p2align	8
	.type	_ZN5aiter35fused_qk_rmsnorm_group_quant_kernelItDB8_Li256ELi16ELi2ELb1ELb1ELb0ELb0ELb0ELb0EEEvPT0_PvPT_S6_S6_PKS5_S8_S8_S8_S8_ffiiiiiiiiiiiii,@function
_ZN5aiter35fused_qk_rmsnorm_group_quant_kernelItDB8_Li256ELi16ELi2ELb1ELb1ELb0ELb0ELb0ELb0EEEvPT0_PvPT_S6_S6_PKS5_S8_S8_S8_S8_ffiiiiiiiiiiiii: ; @_ZN5aiter35fused_qk_rmsnorm_group_quant_kernelItDB8_Li256ELi16ELi2ELb1ELb1ELb0ELb0ELb0ELb0EEEvPT0_PvPT_S6_S6_PKS5_S8_S8_S8_S8_ffiiiiiiiiiiiii
; %bb.0:
	s_load_dwordx8 s[20:27], s[4:5], 0x50
	s_waitcnt lgkmcnt(0)
	s_cmp_ge_i32 s6, s22
	s_cbranch_scc1 .LBB862_17
; %bb.1:
	s_cmp_lg_u32 s7, 0
	s_cselect_b64 s[10:11], -1, 0
	s_cmp_eq_u32 s7, 0
	s_cselect_b64 s[8:9], -1, 0
	s_and_b64 s[0:1], s[8:9], exec
	s_load_dwordx2 s[28:29], s[4:5], 0x48
	s_load_dwordx2 s[34:35], s[4:5], 0x30
	s_load_dwordx8 s[12:19], s[4:5], 0x70
	s_cselect_b32 s7, s23, s24
	s_add_i32 s0, s7, 1
	s_lshr_b32 s1, s0, 31
	s_add_i32 s0, s0, s1
	s_lshl_b32 s0, s0, 1
	v_lshlrev_b32_e32 v1, 4, v0
	s_and_b32 s38, s0, -4
	v_cmp_gt_i32_e64 s[0:1], s7, v1
	v_mov_b32_e32 v82, 0
	v_mov_b32_e32 v83, 0
	;; [unrolled: 1-line block ×16, first 2 shown]
	s_and_saveexec_b64 s[2:3], s[0:1]
	s_cbranch_execz .LBB862_3
; %bb.2:
	s_waitcnt lgkmcnt(0)
	s_load_dwordx2 s[18:19], s[4:5], 0x28
	s_load_dwordx2 s[30:31], s[4:5], 0x40
	s_and_b64 s[36:37], s[8:9], exec
	s_cselect_b32 s22, s25, s26
	s_mov_b32 s39, 0x20000
	s_waitcnt lgkmcnt(0)
	s_cselect_b32 s25, s19, s35
	s_cselect_b32 s33, s18, s34
	s_mul_hi_i32 s19, s22, s6
	s_mul_i32 s18, s22, s6
	s_lshl_b64 s[18:19], s[18:19], 1
	s_add_u32 s40, s33, s18
	s_addc_u32 s22, s25, s19
	s_and_b64 s[18:19], s[8:9], exec
	s_cselect_b32 s36, s30, s28
	s_cselect_b32 s18, s31, s29
	s_and_b32 s41, s22, 0xffff
	s_mov_b32 s42, s38
	s_mov_b32 s43, s39
	v_lshlrev_b32_e32 v2, 5, v0
	s_and_b32 s37, s18, 0xffff
	buffer_load_dwordx4 v[86:89], v2, s[40:43], 0 offen
	buffer_load_dwordx4 v[90:93], v2, s[40:43], 16 offen
	;; [unrolled: 1-line block ×4, first 2 shown]
.LBB862_3:
	s_or_b64 exec, exec, s[2:3]
	s_and_b64 vcc, exec, s[10:11]
	s_cbranch_vccz .LBB862_7
; %bb.4:
	v_mov_b32_e32 v95, 0
	v_mov_b32_e32 v94, 0
	;; [unrolled: 1-line block ×16, first 2 shown]
	s_and_saveexec_b64 s[2:3], s[0:1]
	s_cbranch_execz .LBB862_6
; %bb.5:
	s_waitcnt vmcnt(3)
	v_cvt_f32_u32_sdwa v62, v86 dst_sel:DWORD dst_unused:UNUSED_PAD src0_sel:WORD_0
	v_cvt_f32_u32_sdwa v63, v86 dst_sel:DWORD dst_unused:UNUSED_PAD src0_sel:WORD_1
	v_cvt_f32_u32_sdwa v24, v87 dst_sel:DWORD dst_unused:UNUSED_PAD src0_sel:WORD_0
	v_cvt_f32_u32_sdwa v25, v87 dst_sel:DWORD dst_unused:UNUSED_PAD src0_sel:WORD_1
	;; [unrolled: 2-line block ×4, first 2 shown]
	s_waitcnt vmcnt(2)
	v_cvt_f32_u32_sdwa v42, v90 dst_sel:DWORD dst_unused:UNUSED_PAD src0_sel:WORD_0
	v_cvt_f32_u32_sdwa v43, v90 dst_sel:DWORD dst_unused:UNUSED_PAD src0_sel:WORD_1
	v_cvt_f32_u32_sdwa v18, v91 dst_sel:DWORD dst_unused:UNUSED_PAD src0_sel:WORD_0
	v_cvt_f32_u32_sdwa v19, v91 dst_sel:DWORD dst_unused:UNUSED_PAD src0_sel:WORD_1
	;; [unrolled: 2-line block ×4, first 2 shown]
.LBB862_6:
	s_or_b64 exec, exec, s[2:3]
	s_cbranch_execz .LBB862_8
	s_branch .LBB862_11
.LBB862_7:
                                        ; implicit-def: $vgpr22_vgpr23_vgpr24_vgpr25_vgpr26_vgpr27_vgpr28_vgpr29_vgpr30_vgpr31_vgpr32_vgpr33_vgpr34_vgpr35_vgpr36_vgpr37
                                        ; implicit-def: $vgpr46_vgpr47_vgpr48_vgpr49_vgpr50_vgpr51_vgpr52_vgpr53_vgpr54_vgpr55_vgpr56_vgpr57_vgpr58_vgpr59_vgpr60_vgpr61
                                        ; implicit-def: $vgpr26_vgpr27_vgpr28_vgpr29_vgpr30_vgpr31_vgpr32_vgpr33_vgpr34_vgpr35_vgpr36_vgpr37_vgpr38_vgpr39_vgpr40_vgpr41
                                        ; implicit-def: $vgpr8_vgpr9_vgpr10_vgpr11_vgpr12_vgpr13_vgpr14_vgpr15_vgpr16_vgpr17_vgpr18_vgpr19_vgpr20_vgpr21_vgpr22_vgpr23
                                        ; implicit-def: $vgpr95
                                        ; implicit-def: $vgpr62_vgpr63_vgpr64_vgpr65_vgpr66_vgpr67_vgpr68_vgpr69_vgpr70_vgpr71_vgpr72_vgpr73_vgpr74_vgpr75_vgpr76_vgpr77
                                        ; implicit-def: $vgpr34_vgpr35_vgpr36_vgpr37_vgpr38_vgpr39_vgpr40_vgpr41_vgpr42_vgpr43_vgpr44_vgpr45_vgpr46_vgpr47_vgpr48_vgpr49
                                        ; implicit-def: $vgpr2_vgpr3_vgpr4_vgpr5_vgpr6_vgpr7_vgpr8_vgpr9_vgpr10_vgpr11_vgpr12_vgpr13_vgpr14_vgpr15_vgpr16_vgpr17
.LBB862_8:
	v_mov_b32_e32 v95, 0
	v_mov_b32_e32 v94, 0
	;; [unrolled: 1-line block ×16, first 2 shown]
	s_and_saveexec_b64 s[2:3], s[0:1]
	s_cbranch_execz .LBB862_10
; %bb.9:
	s_waitcnt lgkmcnt(0)
	s_load_dwordx2 s[18:19], s[4:5], 0x38
	s_mul_hi_i32 s31, s27, s6
	s_mul_i32 s30, s27, s6
	s_lshl_b64 s[30:31], s[30:31], 1
	s_mov_b32 s39, 0x20000
	s_waitcnt lgkmcnt(0)
	s_add_u32 s36, s18, s30
	s_addc_u32 s18, s19, s31
	s_and_b32 s37, s18, 0xffff
	v_lshlrev_b32_e32 v38, 5, v0
	buffer_load_dwordx4 v[4:7], v38, s[36:39], 16 offen
	buffer_load_dwordx4 v[8:11], v38, s[36:39], 0 offen
	s_load_dwordx2 s[18:19], s[4:5], 0x20
	s_waitcnt vmcnt(5)
	v_cvt_f32_u32_sdwa v19, v86 dst_sel:DWORD dst_unused:UNUSED_PAD src0_sel:WORD_1
	v_cvt_f32_u32_sdwa v18, v86 dst_sel:DWORD dst_unused:UNUSED_PAD src0_sel:WORD_0
	v_cvt_f32_u32_sdwa v21, v87 dst_sel:DWORD dst_unused:UNUSED_PAD src0_sel:WORD_1
	v_cvt_f32_u32_sdwa v20, v87 dst_sel:DWORD dst_unused:UNUSED_PAD src0_sel:WORD_0
	v_cvt_f32_u32_sdwa v23, v88 dst_sel:DWORD dst_unused:UNUSED_PAD src0_sel:WORD_1
	v_cvt_f32_u32_sdwa v22, v88 dst_sel:DWORD dst_unused:UNUSED_PAD src0_sel:WORD_0
	v_cvt_f32_u32_sdwa v25, v89 dst_sel:DWORD dst_unused:UNUSED_PAD src0_sel:WORD_1
	v_cvt_f32_u32_sdwa v24, v89 dst_sel:DWORD dst_unused:UNUSED_PAD src0_sel:WORD_0
	s_waitcnt vmcnt(4)
	v_cvt_f32_u32_sdwa v3, v90 dst_sel:DWORD dst_unused:UNUSED_PAD src0_sel:WORD_1
	v_cvt_f32_u32_sdwa v2, v90 dst_sel:DWORD dst_unused:UNUSED_PAD src0_sel:WORD_0
	v_cvt_f32_u32_sdwa v13, v91 dst_sel:DWORD dst_unused:UNUSED_PAD src0_sel:WORD_1
	v_cvt_f32_u32_sdwa v12, v91 dst_sel:DWORD dst_unused:UNUSED_PAD src0_sel:WORD_0
	v_cvt_f32_u32_sdwa v15, v92 dst_sel:DWORD dst_unused:UNUSED_PAD src0_sel:WORD_1
	v_cvt_f32_u32_sdwa v14, v92 dst_sel:DWORD dst_unused:UNUSED_PAD src0_sel:WORD_0
	v_cvt_f32_u32_sdwa v16, v93 dst_sel:DWORD dst_unused:UNUSED_PAD src0_sel:WORD_0
	v_cvt_f32_u32_sdwa v17, v93 dst_sel:DWORD dst_unused:UNUSED_PAD src0_sel:WORD_1
	s_mul_hi_i32 s31, s17, s6
	s_mul_i32 s30, s17, s6
	s_lshl_b64 s[30:31], s[30:31], 1
	s_waitcnt lgkmcnt(0)
	s_add_u32 s36, s18, s30
	s_mov_b32 s17, 0x7060302
	s_addc_u32 s18, s19, s31
	s_and_b32 s37, s18, 0xffff
	s_waitcnt vmcnt(1)
	v_cvt_f32_u32_sdwa v27, v4 dst_sel:DWORD dst_unused:UNUSED_PAD src0_sel:WORD_1
	v_cvt_f32_u32_sdwa v26, v4 dst_sel:DWORD dst_unused:UNUSED_PAD src0_sel:WORD_0
	v_cvt_f32_u32_sdwa v29, v5 dst_sel:DWORD dst_unused:UNUSED_PAD src0_sel:WORD_1
	v_cvt_f32_u32_sdwa v28, v5 dst_sel:DWORD dst_unused:UNUSED_PAD src0_sel:WORD_0
	v_cvt_f32_u32_sdwa v31, v6 dst_sel:DWORD dst_unused:UNUSED_PAD src0_sel:WORD_1
	v_cvt_f32_u32_sdwa v30, v6 dst_sel:DWORD dst_unused:UNUSED_PAD src0_sel:WORD_0
	v_cvt_f32_u32_sdwa v34, v7 dst_sel:DWORD dst_unused:UNUSED_PAD src0_sel:WORD_0
	v_cvt_f32_u32_sdwa v35, v7 dst_sel:DWORD dst_unused:UNUSED_PAD src0_sel:WORD_1
	s_waitcnt vmcnt(0)
	v_cvt_f32_u32_sdwa v37, v8 dst_sel:DWORD dst_unused:UNUSED_PAD src0_sel:WORD_1
	v_cvt_f32_u32_sdwa v36, v8 dst_sel:DWORD dst_unused:UNUSED_PAD src0_sel:WORD_0
	v_cvt_f32_u32_sdwa v5, v10 dst_sel:DWORD dst_unused:UNUSED_PAD src0_sel:WORD_1
	v_cvt_f32_u32_sdwa v4, v10 dst_sel:DWORD dst_unused:UNUSED_PAD src0_sel:WORD_0
	v_cvt_f32_u32_sdwa v7, v11 dst_sel:DWORD dst_unused:UNUSED_PAD src0_sel:WORD_1
	v_cvt_f32_u32_sdwa v6, v11 dst_sel:DWORD dst_unused:UNUSED_PAD src0_sel:WORD_0
	v_cvt_f32_u32_sdwa v11, v9 dst_sel:DWORD dst_unused:UNUSED_PAD src0_sel:WORD_1
	v_cvt_f32_u32_sdwa v10, v9 dst_sel:DWORD dst_unused:UNUSED_PAD src0_sel:WORD_0
	v_pk_add_f32 v[50:51], v[22:23], v[4:5]
	v_pk_add_f32 v[32:33], v[24:25], v[6:7]
	;; [unrolled: 1-line block ×4, first 2 shown]
	v_perm_b32 v7, v33, v32, s17
	v_perm_b32 v6, v51, v50, s17
	;; [unrolled: 1-line block ×4, first 2 shown]
	v_pk_add_f32 v[94:95], v[16:17], v[34:35]
	v_pk_add_f32 v[14:15], v[14:15], v[30:31]
	;; [unrolled: 1-line block ×4, first 2 shown]
	buffer_store_dwordx4 v[4:7], v38, s[36:39], 0 offen
	;;#ASMSTART
	s_nop 0
	;;#ASMEND
	s_nop 0
	v_perm_b32 v7, v95, v94, s17
	v_perm_b32 v6, v15, v14, s17
	;; [unrolled: 1-line block ×4, first 2 shown]
	buffer_store_dwordx4 v[4:7], v38, s[36:39], 16 offen
	;;#ASMSTART
	s_nop 0
	;;#ASMEND
.LBB862_10:
	s_or_b64 exec, exec, s[2:3]
.LBB862_11:
	v_mul_f32_e32 v2, v63, v63
	v_fmac_f32_e32 v2, v62, v62
	v_fmac_f32_e32 v2, v24, v24
	;; [unrolled: 1-line block ×15, first 2 shown]
	s_nop 1
	v_mov_b32_dpp v3, v2 quad_perm:[1,0,3,2] row_mask:0xf bank_mask:0xf
	v_add_f32_e32 v2, v2, v3
	s_nop 1
	v_mov_b32_dpp v3, v2 quad_perm:[2,3,0,1] row_mask:0xf bank_mask:0xf
	v_add_f32_e32 v2, v2, v3
	s_nop 1
	v_mov_b32_dpp v3, v2 row_half_mirror row_mask:0xf bank_mask:0xf
	v_add_f32_e32 v2, v2, v3
	s_nop 1
	v_mov_b32_dpp v3, v2 row_mirror row_mask:0xf bank_mask:0xf
	v_add_f32_e32 v2, v2, v3
	s_nop 1
	v_mov_b32_dpp v3, v2 row_bcast:15 row_mask:0xf bank_mask:0xf
	v_add_f32_e32 v2, v2, v3
	v_and_b32_e32 v3, 63, v0
	v_cmp_eq_u32_e64 s[2:3], 63, v3
	s_nop 0
	v_mov_b32_dpp v3, v2 row_bcast:31 row_mask:0xf bank_mask:0xf
	s_waitcnt lgkmcnt(0)
	s_and_saveexec_b64 s[18:19], s[2:3]
	s_cbranch_execz .LBB862_13
; %bb.12:
	v_add_f32_e32 v2, v2, v3
	v_lshrrev_b32_e32 v3, 4, v0
	v_and_b32_e32 v3, 60, v3
	ds_write_b32 v3, v2 offset:16
.LBB862_13:
	s_or_b64 exec, exec, s[18:19]
	v_and_b32_e32 v2, 3, v0
	v_lshlrev_b32_e32 v34, 2, v2
	s_waitcnt lgkmcnt(0)
	s_barrier
	ds_read_b32 v2, v34 offset:16
	s_load_dwordx2 s[18:19], s[4:5], 0x18
	s_waitcnt lgkmcnt(0)
	v_mov_b32_dpp v3, v2 quad_perm:[1,0,3,2] row_mask:0xf bank_mask:0xf
	v_add_f32_e32 v2, v2, v3
	s_nop 1
	v_mov_b32_dpp v3, v2 quad_perm:[2,3,0,1] row_mask:0xf bank_mask:0xf
	s_and_saveexec_b64 s[30:31], s[0:1]
	s_cbranch_execnz .LBB862_18
; %bb.14:
	s_or_b64 exec, exec, s[30:31]
	s_mov_b64 s[8:9], -1
	s_and_b64 vcc, exec, s[10:11]
	s_cbranch_vccnz .LBB862_19
.LBB862_15:
	s_andn2_b64 vcc, exec, s[8:9]
	s_cbranch_vccz .LBB862_22
.LBB862_16:
	s_cmp_lt_i32 s24, 1
	s_cbranch_scc0 .LBB862_31
.LBB862_17:
	s_endpgm
.LBB862_18:
	v_add_f32_e32 v2, v2, v3
	v_cvt_f32_u32_e32 v3, s7
	s_mov_b32 s7, 0x800000
	s_waitcnt vmcnt(1)
	v_cvt_f32_u32_sdwa v21, v83 dst_sel:DWORD dst_unused:UNUSED_PAD src0_sel:WORD_1
	v_cvt_f32_u32_sdwa v20, v83 dst_sel:DWORD dst_unused:UNUSED_PAD src0_sel:WORD_0
	v_div_scale_f32 v4, s[36:37], v3, v3, v2
	v_rcp_f32_e32 v5, v4
	s_waitcnt vmcnt(0)
	v_cvt_f32_u32_sdwa v23, v80 dst_sel:DWORD dst_unused:UNUSED_PAD src0_sel:WORD_1
	v_cvt_f32_u32_sdwa v22, v80 dst_sel:DWORD dst_unused:UNUSED_PAD src0_sel:WORD_0
	v_cvt_f32_u32_sdwa v27, v81 dst_sel:DWORD dst_unused:UNUSED_PAD src0_sel:WORD_1
	v_fma_f32 v6, -v4, v5, 1.0
	v_fmac_f32_e32 v5, v6, v5
	v_div_scale_f32 v6, vcc, v2, v3, v2
	v_mul_f32_e32 v7, v6, v5
	v_fma_f32 v8, -v4, v7, v6
	v_fmac_f32_e32 v7, v8, v5
	v_fma_f32 v4, -v4, v7, v6
	v_div_fmas_f32 v4, v4, v5, v7
	v_div_fixup_f32 v2, v4, v3, v2
	v_mov_b32_e32 v3, s21
	v_mov_b32_e32 v4, s20
	v_cndmask_b32_e64 v3, v3, v4, s[8:9]
	v_add_f32_e32 v2, v3, v2
	v_mul_f32_e32 v3, 0x4b800000, v2
	v_cmp_gt_f32_e32 vcc, s7, v2
	v_cndmask_b32_e32 v2, v2, v3, vcc
	v_rsq_f32_e32 v2, v2
	v_cvt_f32_u32_sdwa v26, v81 dst_sel:DWORD dst_unused:UNUSED_PAD src0_sel:WORD_0
	v_mul_f32_e32 v3, 0x45800000, v2
	v_cndmask_b32_e32 v2, v2, v3, vcc
	v_mov_b32_e32 v3, v2
	;;#ASMSTART
	v_pk_mul_f32 v[4:5], v[62:63], v[2:3]
	;;#ASMEND
	;;#ASMSTART
	v_pk_mul_f32 v[6:7], v[24:25], v[2:3]
	;;#ASMEND
	;; [unrolled: 3-line block ×6, first 2 shown]
	v_cvt_f32_u32_sdwa v19, v82 dst_sel:DWORD dst_unused:UNUSED_PAD src0_sel:WORD_1
	v_cvt_f32_u32_sdwa v18, v82 dst_sel:DWORD dst_unused:UNUSED_PAD src0_sel:WORD_0
	;;#ASMSTART
	v_pk_mul_f32 v[14:15], v[14:15], v[2:3]
	;;#ASMEND
	;;#ASMSTART
	v_pk_mul_f32 v[2:3], v[94:95], v[2:3]
	;;#ASMEND
	;; [unrolled: 3-line block ×3, first 2 shown]
	v_cvt_f32_u32_sdwa v19, v78 dst_sel:DWORD dst_unused:UNUSED_PAD src0_sel:WORD_1
	v_cvt_f32_u32_sdwa v18, v78 dst_sel:DWORD dst_unused:UNUSED_PAD src0_sel:WORD_0
	;;#ASMSTART
	v_pk_mul_f32 v[24:25], v[6:7], v[20:21]
	;;#ASMEND
	v_cvt_f32_u32_sdwa v5, v84 dst_sel:DWORD dst_unused:UNUSED_PAD src0_sel:WORD_1
	v_cvt_f32_u32_sdwa v4, v84 dst_sel:DWORD dst_unused:UNUSED_PAD src0_sel:WORD_0
	v_cvt_f32_u32_sdwa v7, v85 dst_sel:DWORD dst_unused:UNUSED_PAD src0_sel:WORD_1
	v_cvt_f32_u32_sdwa v6, v85 dst_sel:DWORD dst_unused:UNUSED_PAD src0_sel:WORD_0
	;; [unrolled: 2-line block ×3, first 2 shown]
	;;#ASMSTART
	v_pk_mul_f32 v[50:51], v[8:9], v[4:5]
	;;#ASMEND
	;;#ASMSTART
	v_pk_mul_f32 v[32:33], v[10:11], v[6:7]
	;;#ASMEND
	;; [unrolled: 3-line block ×6, first 2 shown]
	s_or_b64 exec, exec, s[30:31]
	s_mov_b64 s[8:9], -1
	s_and_b64 vcc, exec, s[10:11]
	s_cbranch_vccz .LBB862_15
.LBB862_19:
	s_and_saveexec_b64 s[8:9], s[0:1]
	s_cbranch_execz .LBB862_21
; %bb.20:
	s_mul_hi_i32 s11, s16, s6
	s_mul_i32 s10, s16, s6
	s_lshl_b64 s[10:11], s[10:11], 1
	s_add_u32 s36, s18, s10
	s_addc_u32 s7, s19, s11
	s_and_b32 s37, s7, 0xffff
	s_mov_b32 s7, 0x7060302
	s_mov_b32 s39, 0x20000
	v_perm_b32 v5, v33, v32, s7
	v_perm_b32 v4, v51, v50, s7
	;; [unrolled: 1-line block ×4, first 2 shown]
	v_lshlrev_b32_e32 v6, 5, v0
	buffer_store_dwordx4 v[2:5], v6, s[36:39], 0 offen
	;;#ASMSTART
	s_nop 0
	;;#ASMEND
	s_nop 0
	v_perm_b32 v5, v95, v94, s7
	v_perm_b32 v4, v15, v14, s7
	;; [unrolled: 1-line block ×4, first 2 shown]
	buffer_store_dwordx4 v[2:5], v6, s[36:39], 16 offen
	;;#ASMSTART
	s_nop 0
	;;#ASMEND
.LBB862_21:
	s_or_b64 exec, exec, s[8:9]
	s_cbranch_execnz .LBB862_16
.LBB862_22:
	v_mov_b32_e32 v2, 0
	s_and_saveexec_b64 s[8:9], s[0:1]
	s_cbranch_execz .LBB862_24
; %bb.23:
	s_load_dwordx2 s[10:11], s[4:5], 0x10
	s_mul_hi_i32 s31, s15, s6
	s_mul_i32 s30, s15, s6
	s_lshl_b64 s[30:31], s[30:31], 1
	s_mov_b32 s39, 0x20000
	s_waitcnt lgkmcnt(0)
	s_add_u32 s36, s10, s30
	s_addc_u32 s7, s11, s31
	s_and_b32 s37, s7, 0xffff
	s_mov_b32 s7, 0x7060302
	v_perm_b32 v5, v33, v32, s7
	v_perm_b32 v4, v51, v50, s7
	;; [unrolled: 1-line block ×4, first 2 shown]
	v_lshlrev_b32_e32 v6, 5, v0
	buffer_store_dwordx4 v[2:5], v6, s[36:39], 0 offen
	;;#ASMSTART
	s_nop 0
	;;#ASMEND
	s_nop 0
	v_perm_b32 v5, v95, v94, s7
	v_perm_b32 v4, v15, v14, s7
	;; [unrolled: 1-line block ×4, first 2 shown]
	buffer_store_dwordx4 v[2:5], v6, s[36:39], 16 offen
	;;#ASMSTART
	s_nop 0
	;;#ASMEND
	s_nop 0
	v_mov_b32_e32 v2, 0x2edbe6ff
.LBB862_24:
	s_or_b64 exec, exec, s[8:9]
	s_and_saveexec_b64 s[8:9], s[0:1]
	s_cbranch_execz .LBB862_26
; %bb.25:
	v_and_b32_e32 v3, 0x7fffffff, v62
	v_and_b32_e32 v4, 0x7fffffff, v63
	;;#ASMSTART
	v_max3_f32 v2, v2, v3, v4

	;;#ASMEND
	v_and_b32_e32 v3, 0x7fffffff, v24
	v_and_b32_e32 v4, 0x7fffffff, v25
	;;#ASMSTART
	v_max3_f32 v2, v2, v3, v4

	;;#ASMEND
	;; [unrolled: 6-line block ×8, first 2 shown]
.LBB862_26:
	s_or_b64 exec, exec, s[8:9]
	;;#ASMSTART
	v_max_f32 v3, v2, v2 quad_perm:[1,0,3,2] row_mask:0xf bank_mask:0xf bound_ctrl:1
	;;#ASMEND
	v_mul_f32_e32 v2, 0x3b124925, v3
	v_and_b32_e32 v3, 1, v0
	v_cmp_eq_u32_e32 vcc, 0, v3
	v_cmp_gt_i32_e64 s[8:9], s23, v1
	s_and_b64 s[10:11], vcc, s[8:9]
	s_and_saveexec_b64 s[8:9], s[10:11]
	s_cbranch_execz .LBB862_28
; %bb.27:
	s_load_dwordx2 s[10:11], s[4:5], 0x8
	v_lshrrev_b32_e32 v3, 1, v0
	s_mul_hi_i32 s31, s13, s6
	s_mul_i32 s30, s13, s6
	v_mad_i64_i32 v[4:5], s[14:15], s14, v3, 0
	s_lshl_b64 s[14:15], s[30:31], 2
	s_waitcnt lgkmcnt(0)
	s_add_u32 s7, s10, s14
	s_addc_u32 s10, s11, s15
	v_lshlrev_b64 v[4:5], 2, v[4:5]
	v_mov_b32_e32 v3, s10
	v_add_co_u32_e32 v4, vcc, s7, v4
	v_addc_co_u32_e32 v5, vcc, v3, v5, vcc
	global_store_dword v[4:5], v2, off
.LBB862_28:
	s_or_b64 exec, exec, s[8:9]
	;;#ASMSTART
	v_rcp_f32 v2, v2
	;;#ASMEND
	s_and_saveexec_b64 s[14:15], s[0:1]
	s_cbranch_execz .LBB862_30
; %bb.29:
	v_mov_b32_e32 v3, v2
	;;#ASMSTART
	v_pk_mul_f32 v[4:5], v[62:63], v[2:3]
	;;#ASMEND
	v_mov_b32_e32 v10, 0xc3e00000
	v_mov_b32_e32 v11, 0x43e00000
	;;#ASMSTART
	v_med3_f32 v4, v4, v10, v11
v_med3_f32 v5, v5, v10, v11
v_cvt_pk_fp8_f32 v6, v4, v5
	;;#ASMEND
	;;#ASMSTART
	v_pk_mul_f32 v[4:5], v[24:25], v[2:3]
	;;#ASMEND
	;;#ASMSTART
	v_med3_f32 v4, v4, v10, v11
v_med3_f32 v5, v5, v10, v11
v_cvt_pk_fp8_f32 v7, v4, v5
	;;#ASMEND
	;;#ASMSTART
	v_pk_mul_f32 v[4:5], v[50:51], v[2:3]
	;;#ASMEND
	;; [unrolled: 8-line block ×3, first 2 shown]
	;;#ASMSTART
	v_med3_f32 v4, v4, v10, v11
v_med3_f32 v5, v5, v10, v11
v_cvt_pk_fp8_f32 v9, v4, v5
	;;#ASMEND
	s_mov_b32 s0, 0x5040100
	v_perm_b32 v4, v7, v6, s0
	s_mov_b32 s0, 0x1060504
	v_perm_b32 v4, v4, v7, s0
	s_load_dwordx2 s[0:1], s[4:5], 0x0
	s_mov_b32 s7, 0x1000504
	;;#ASMSTART
	v_pk_mul_f32 v[6:7], v[42:43], v[2:3]
	;;#ASMEND
	v_perm_b32 v5, v8, v9, s7
	s_mul_i32 s8, s12, s6
	;;#ASMSTART
	v_med3_f32 v6, v6, v10, v11
v_med3_f32 v7, v7, v10, v11
v_cvt_pk_fp8_f32 v8, v6, v7
	;;#ASMEND
	s_mul_hi_i32 s9, s12, s6
	s_waitcnt lgkmcnt(0)
	s_add_u32 s8, s0, s8
	;;#ASMSTART
	v_pk_mul_f32 v[6:7], v[18:19], v[2:3]
	;;#ASMEND
	s_addc_u32 s0, s1, s9
	s_add_i32 s1, s23, 3
	;;#ASMSTART
	v_med3_f32 v6, v6, v10, v11
v_med3_f32 v7, v7, v10, v11
v_cvt_pk_fp8_f32 v9, v6, v7
	;;#ASMEND
	s_ashr_i32 s9, s1, 31
	v_perm_b32 v6, v8, v9, s7
	;;#ASMSTART
	v_pk_mul_f32 v[8:9], v[14:15], v[2:3]
	;;#ASMEND
	v_mov_b32_e32 v7, v9
	s_lshr_b32 s9, s9, 30
	;;#ASMSTART
	v_med3_f32 v8, v8, v10, v11
v_med3_f32 v7, v7, v10, v11
v_cvt_pk_fp8_f32 v9, v8, v7
	;;#ASMEND
	;;#ASMSTART
	v_pk_mul_f32 v[2:3], v[94:95], v[2:3]
	;;#ASMEND
	s_add_i32 s1, s1, s9
	;;#ASMSTART
	v_med3_f32 v2, v2, v10, v11
v_med3_f32 v3, v3, v10, v11
v_cvt_pk_fp8_f32 v7, v2, v3
	;;#ASMEND
	s_and_b32 s10, s1, -4
	s_and_b32 s9, s0, 0xffff
	s_mov_b32 s11, 0x20000
	v_perm_b32 v7, v9, v7, s7
	buffer_store_dwordx4 v[4:7], v1, s[8:11], 0 offen
	;;#ASMSTART
	s_nop 0
	;;#ASMEND
.LBB862_30:
	s_or_b64 exec, exec, s[14:15]
	s_cmp_lt_i32 s24, 1
	s_cbranch_scc1 .LBB862_17
.LBB862_31:
	s_load_dword s0, s[4:5], 0x94
	s_waitcnt lgkmcnt(0)
	s_cmp_lg_u32 s0, 1
	s_cbranch_scc1 .LBB862_17
; %bb.32:
	s_lshl_b32 s0, s24, 1
	s_add_i32 s0, s0, 2
	v_cmp_gt_u32_e32 vcc, s24, v1
	s_and_b32 s30, s0, -4
	v_mov_b32_e32 v18, 0
	v_lshlrev_b32_e32 v1, 5, v0
	v_mov_b32_e32 v14, 0
	v_mov_b32_e32 v15, 0
	;; [unrolled: 1-line block ×16, first 2 shown]
	s_barrier
	s_and_saveexec_b64 s[0:1], vcc
	s_cbranch_execz .LBB862_34
; %bb.33:
	s_mul_hi_i32 s5, s26, s6
	s_mul_i32 s4, s26, s6
	s_and_b32 s29, s29, 0xffff
	s_lshl_b64 s[4:5], s[4:5], 1
	s_add_u32 s8, s34, s4
	s_mov_b32 s31, 0x20000
	s_addc_u32 s4, s35, s5
	s_and_b32 s9, s4, 0xffff
	s_mov_b32 s10, s30
	s_mov_b32 s11, s31
	buffer_load_dwordx4 v[14:17], v1, s[8:11], 0 offen
	buffer_load_dwordx4 v[10:13], v1, s[8:11], 16 offen
	;; [unrolled: 1-line block ×4, first 2 shown]
.LBB862_34:
	s_or_b64 exec, exec, s[0:1]
	v_mov_b32_e32 v19, 0
	v_mov_b32_e32 v32, 0
	;; [unrolled: 1-line block ×15, first 2 shown]
	s_and_saveexec_b64 s[0:1], vcc
	s_cbranch_execz .LBB862_36
; %bb.35:
	s_waitcnt vmcnt(3)
	v_cvt_f32_u32_sdwa v18, v14 dst_sel:DWORD dst_unused:UNUSED_PAD src0_sel:WORD_0
	v_cvt_f32_u32_sdwa v19, v14 dst_sel:DWORD dst_unused:UNUSED_PAD src0_sel:WORD_1
	v_cvt_f32_u32_sdwa v32, v15 dst_sel:DWORD dst_unused:UNUSED_PAD src0_sel:WORD_0
	v_cvt_f32_u32_sdwa v33, v15 dst_sel:DWORD dst_unused:UNUSED_PAD src0_sel:WORD_1
	v_cvt_f32_u32_sdwa v30, v16 dst_sel:DWORD dst_unused:UNUSED_PAD src0_sel:WORD_0
	v_cvt_f32_u32_sdwa v31, v16 dst_sel:DWORD dst_unused:UNUSED_PAD src0_sel:WORD_1
	v_cvt_f32_u32_sdwa v28, v17 dst_sel:DWORD dst_unused:UNUSED_PAD src0_sel:WORD_0
	v_cvt_f32_u32_sdwa v29, v17 dst_sel:DWORD dst_unused:UNUSED_PAD src0_sel:WORD_1
	s_waitcnt vmcnt(2)
	v_cvt_f32_u32_sdwa v26, v10 dst_sel:DWORD dst_unused:UNUSED_PAD src0_sel:WORD_0
	v_cvt_f32_u32_sdwa v27, v10 dst_sel:DWORD dst_unused:UNUSED_PAD src0_sel:WORD_1
	v_cvt_f32_u32_sdwa v24, v11 dst_sel:DWORD dst_unused:UNUSED_PAD src0_sel:WORD_0
	v_cvt_f32_u32_sdwa v25, v11 dst_sel:DWORD dst_unused:UNUSED_PAD src0_sel:WORD_1
	;; [unrolled: 2-line block ×4, first 2 shown]
.LBB862_36:
	s_or_b64 exec, exec, s[0:1]
	s_waitcnt vmcnt(2)
	v_mul_f32_e32 v10, v19, v19
	v_fmac_f32_e32 v10, v18, v18
	v_fmac_f32_e32 v10, v32, v32
	;; [unrolled: 1-line block ×15, first 2 shown]
	s_nop 1
	v_mov_b32_dpp v11, v10 quad_perm:[1,0,3,2] row_mask:0xf bank_mask:0xf
	v_add_f32_e32 v10, v10, v11
	s_nop 1
	v_mov_b32_dpp v11, v10 quad_perm:[2,3,0,1] row_mask:0xf bank_mask:0xf
	v_add_f32_e32 v10, v10, v11
	s_nop 1
	v_mov_b32_dpp v11, v10 row_half_mirror row_mask:0xf bank_mask:0xf
	v_add_f32_e32 v10, v10, v11
	s_nop 1
	v_mov_b32_dpp v11, v10 row_mirror row_mask:0xf bank_mask:0xf
	v_add_f32_e32 v10, v10, v11
	s_nop 1
	v_mov_b32_dpp v11, v10 row_bcast:15 row_mask:0xf bank_mask:0xf
	v_add_f32_e32 v10, v10, v11
	s_nop 1
	v_mov_b32_dpp v11, v10 row_bcast:31 row_mask:0xf bank_mask:0xf
	s_and_saveexec_b64 s[0:1], s[2:3]
	s_cbranch_execz .LBB862_38
; %bb.37:
	v_lshrrev_b32_e32 v0, 4, v0
	v_add_f32_e32 v10, v10, v11
	v_and_b32_e32 v0, 60, v0
	ds_write_b32 v0, v10
.LBB862_38:
	s_or_b64 exec, exec, s[0:1]
	s_waitcnt lgkmcnt(0)
	s_barrier
	ds_read_b32 v0, v34
	s_waitcnt lgkmcnt(0)
	s_nop 0
	v_mov_b32_dpp v10, v0 quad_perm:[1,0,3,2] row_mask:0xf bank_mask:0xf
	v_add_f32_e32 v0, v0, v10
	s_nop 1
	v_mov_b32_dpp v10, v0 quad_perm:[2,3,0,1] row_mask:0xf bank_mask:0xf
	s_and_saveexec_b64 s[0:1], vcc
	s_cbranch_execz .LBB862_17
; %bb.39:
	v_cvt_f32_u32_e32 v11, s24
	v_add_f32_e32 v0, v0, v10
	s_mov_b32 s31, 0x20000
	v_div_scale_f32 v10, s[0:1], v11, v11, v0
	v_rcp_f32_e32 v12, v10
	v_div_scale_f32 v13, vcc, v0, v11, v0
	s_mov_b32 s0, 0x800000
	v_fma_f32 v14, -v10, v12, 1.0
	v_fmac_f32_e32 v12, v14, v12
	v_mul_f32_e32 v14, v13, v12
	v_fma_f32 v15, -v10, v14, v13
	v_fmac_f32_e32 v14, v15, v12
	v_fma_f32 v10, -v10, v14, v13
	v_div_fmas_f32 v10, v10, v12, v14
	v_div_fixup_f32 v0, v10, v11, v0
	v_add_f32_e32 v0, s21, v0
	v_mul_f32_e32 v10, 0x4b800000, v0
	v_cmp_gt_f32_e32 vcc, s0, v0
	v_cndmask_b32_e32 v0, v0, v10, vcc
	v_rsq_f32_e32 v0, v0
	s_mul_hi_i32 s1, s16, s6
	s_mul_i32 s0, s16, s6
	s_lshl_b64 s[0:1], s[0:1], 1
	v_mul_f32_e32 v10, 0x45800000, v0
	v_cndmask_b32_e32 v10, v0, v10, vcc
	v_mov_b32_e32 v11, v10
	s_add_u32 s28, s18, s0
	;;#ASMSTART
	v_pk_mul_f32 v[12:13], v[18:19], v[10:11]
	;;#ASMEND
	;;#ASMSTART
	v_pk_mul_f32 v[14:15], v[32:33], v[10:11]
	;;#ASMEND
	;; [unrolled: 3-line block ×8, first 2 shown]
	s_waitcnt vmcnt(1)
	v_cvt_f32_u32_sdwa v21, v6 dst_sel:DWORD dst_unused:UNUSED_PAD src0_sel:WORD_1
	v_cvt_f32_u32_sdwa v20, v6 dst_sel:DWORD dst_unused:UNUSED_PAD src0_sel:WORD_0
	v_cvt_f32_u32_sdwa v29, v7 dst_sel:DWORD dst_unused:UNUSED_PAD src0_sel:WORD_1
	v_cvt_f32_u32_sdwa v28, v7 dst_sel:DWORD dst_unused:UNUSED_PAD src0_sel:WORD_0
	;; [unrolled: 2-line block ×3, first 2 shown]
	s_addc_u32 s0, s19, s1
	v_cvt_f32_u32_sdwa v31, v9 dst_sel:DWORD dst_unused:UNUSED_PAD src0_sel:WORD_1
	v_cvt_f32_u32_sdwa v30, v9 dst_sel:DWORD dst_unused:UNUSED_PAD src0_sel:WORD_0
	;;#ASMSTART
	v_pk_mul_f32 v[8:9], v[12:13], v[20:21]
	;;#ASMEND
	;;#ASMSTART
	v_pk_mul_f32 v[12:13], v[14:15], v[28:29]
	;;#ASMEND
	;; [unrolled: 3-line block ×4, first 2 shown]
	s_waitcnt vmcnt(0)
	v_cvt_f32_u32_sdwa v17, v2 dst_sel:DWORD dst_unused:UNUSED_PAD src0_sel:WORD_1
	v_cvt_f32_u32_sdwa v16, v2 dst_sel:DWORD dst_unused:UNUSED_PAD src0_sel:WORD_0
	v_cvt_f32_u32_sdwa v19, v3 dst_sel:DWORD dst_unused:UNUSED_PAD src0_sel:WORD_1
	v_cvt_f32_u32_sdwa v18, v3 dst_sel:DWORD dst_unused:UNUSED_PAD src0_sel:WORD_0
	;; [unrolled: 2-line block ×3, first 2 shown]
	s_and_b32 s29, s0, 0xffff
	s_mov_b32 s0, 0x7060302
	v_cvt_f32_u32_sdwa v21, v5 dst_sel:DWORD dst_unused:UNUSED_PAD src0_sel:WORD_1
	v_cvt_f32_u32_sdwa v20, v5 dst_sel:DWORD dst_unused:UNUSED_PAD src0_sel:WORD_0
	;;#ASMSTART
	v_pk_mul_f32 v[16:17], v[26:27], v[16:17]
	;;#ASMEND
	;;#ASMSTART
	v_pk_mul_f32 v[18:19], v[24:25], v[18:19]
	;;#ASMEND
	;; [unrolled: 3-line block ×3, first 2 shown]
	v_perm_b32 v2, v9, v8, s0
	v_perm_b32 v3, v13, v12, s0
	;; [unrolled: 1-line block ×4, first 2 shown]
	;;#ASMSTART
	v_pk_mul_f32 v[10:11], v[10:11], v[20:21]
	;;#ASMEND
	buffer_store_dwordx4 v[2:5], v1, s[28:31], 0 offen
	;;#ASMSTART
	s_nop 0
	;;#ASMEND
	s_nop 0
	v_perm_b32 v2, v17, v16, s0
	v_perm_b32 v3, v19, v18, s0
	;; [unrolled: 1-line block ×4, first 2 shown]
	buffer_store_dwordx4 v[2:5], v1, s[28:31], 16 offen
	;;#ASMSTART
	s_nop 0
	;;#ASMEND
	s_endpgm
	.section	.rodata,"a",@progbits
	.p2align	6, 0x0
	.amdhsa_kernel _ZN5aiter35fused_qk_rmsnorm_group_quant_kernelItDB8_Li256ELi16ELi2ELb1ELb1ELb0ELb0ELb0ELb0EEEvPT0_PvPT_S6_S6_PKS5_S8_S8_S8_S8_ffiiiiiiiiiiiii
		.amdhsa_group_segment_fixed_size 32
		.amdhsa_private_segment_fixed_size 0
		.amdhsa_kernarg_size 400
		.amdhsa_user_sgpr_count 6
		.amdhsa_user_sgpr_private_segment_buffer 1
		.amdhsa_user_sgpr_dispatch_ptr 0
		.amdhsa_user_sgpr_queue_ptr 0
		.amdhsa_user_sgpr_kernarg_segment_ptr 1
		.amdhsa_user_sgpr_dispatch_id 0
		.amdhsa_user_sgpr_flat_scratch_init 0
		.amdhsa_user_sgpr_kernarg_preload_length 0
		.amdhsa_user_sgpr_kernarg_preload_offset 0
		.amdhsa_user_sgpr_private_segment_size 0
		.amdhsa_uses_dynamic_stack 0
		.amdhsa_system_sgpr_private_segment_wavefront_offset 0
		.amdhsa_system_sgpr_workgroup_id_x 1
		.amdhsa_system_sgpr_workgroup_id_y 1
		.amdhsa_system_sgpr_workgroup_id_z 0
		.amdhsa_system_sgpr_workgroup_info 0
		.amdhsa_system_vgpr_workitem_id 0
		.amdhsa_next_free_vgpr 96
		.amdhsa_next_free_sgpr 44
		.amdhsa_accum_offset 96
		.amdhsa_reserve_vcc 1
		.amdhsa_reserve_flat_scratch 0
		.amdhsa_float_round_mode_32 0
		.amdhsa_float_round_mode_16_64 0
		.amdhsa_float_denorm_mode_32 3
		.amdhsa_float_denorm_mode_16_64 3
		.amdhsa_dx10_clamp 1
		.amdhsa_ieee_mode 1
		.amdhsa_fp16_overflow 0
		.amdhsa_tg_split 0
		.amdhsa_exception_fp_ieee_invalid_op 0
		.amdhsa_exception_fp_denorm_src 0
		.amdhsa_exception_fp_ieee_div_zero 0
		.amdhsa_exception_fp_ieee_overflow 0
		.amdhsa_exception_fp_ieee_underflow 0
		.amdhsa_exception_fp_ieee_inexact 0
		.amdhsa_exception_int_div_zero 0
	.end_amdhsa_kernel
	.section	.text._ZN5aiter35fused_qk_rmsnorm_group_quant_kernelItDB8_Li256ELi16ELi2ELb1ELb1ELb0ELb0ELb0ELb0EEEvPT0_PvPT_S6_S6_PKS5_S8_S8_S8_S8_ffiiiiiiiiiiiii,"axG",@progbits,_ZN5aiter35fused_qk_rmsnorm_group_quant_kernelItDB8_Li256ELi16ELi2ELb1ELb1ELb0ELb0ELb0ELb0EEEvPT0_PvPT_S6_S6_PKS5_S8_S8_S8_S8_ffiiiiiiiiiiiii,comdat
.Lfunc_end862:
	.size	_ZN5aiter35fused_qk_rmsnorm_group_quant_kernelItDB8_Li256ELi16ELi2ELb1ELb1ELb0ELb0ELb0ELb0EEEvPT0_PvPT_S6_S6_PKS5_S8_S8_S8_S8_ffiiiiiiiiiiiii, .Lfunc_end862-_ZN5aiter35fused_qk_rmsnorm_group_quant_kernelItDB8_Li256ELi16ELi2ELb1ELb1ELb0ELb0ELb0ELb0EEEvPT0_PvPT_S6_S6_PKS5_S8_S8_S8_S8_ffiiiiiiiiiiiii
                                        ; -- End function
	.section	.AMDGPU.csdata,"",@progbits
; Kernel info:
; codeLenInByte = 4240
; NumSgprs: 48
; NumVgprs: 96
; NumAgprs: 0
; TotalNumVgprs: 96
; ScratchSize: 0
; MemoryBound: 0
; FloatMode: 240
; IeeeMode: 1
; LDSByteSize: 32 bytes/workgroup (compile time only)
; SGPRBlocks: 5
; VGPRBlocks: 11
; NumSGPRsForWavesPerEU: 48
; NumVGPRsForWavesPerEU: 96
; AccumOffset: 96
; Occupancy: 5
; WaveLimiterHint : 0
; COMPUTE_PGM_RSRC2:SCRATCH_EN: 0
; COMPUTE_PGM_RSRC2:USER_SGPR: 6
; COMPUTE_PGM_RSRC2:TRAP_HANDLER: 0
; COMPUTE_PGM_RSRC2:TGID_X_EN: 1
; COMPUTE_PGM_RSRC2:TGID_Y_EN: 1
; COMPUTE_PGM_RSRC2:TGID_Z_EN: 0
; COMPUTE_PGM_RSRC2:TIDIG_COMP_CNT: 0
; COMPUTE_PGM_RSRC3_GFX90A:ACCUM_OFFSET: 23
; COMPUTE_PGM_RSRC3_GFX90A:TG_SPLIT: 0
	.section	.text._ZN5aiter35fused_qk_rmsnorm_group_quant_kernelIDF16_N4opus5fp4_tELi256ELi16ELi2ELb1ELb1ELb0ELb0ELb0ELb0EEEvPT0_PvPT_S7_S7_PKS6_S9_S9_S9_S9_ffiiiiiiiiiiiii,"axG",@progbits,_ZN5aiter35fused_qk_rmsnorm_group_quant_kernelIDF16_N4opus5fp4_tELi256ELi16ELi2ELb1ELb1ELb0ELb0ELb0ELb0EEEvPT0_PvPT_S7_S7_PKS6_S9_S9_S9_S9_ffiiiiiiiiiiiii,comdat
	.protected	_ZN5aiter35fused_qk_rmsnorm_group_quant_kernelIDF16_N4opus5fp4_tELi256ELi16ELi2ELb1ELb1ELb0ELb0ELb0ELb0EEEvPT0_PvPT_S7_S7_PKS6_S9_S9_S9_S9_ffiiiiiiiiiiiii ; -- Begin function _ZN5aiter35fused_qk_rmsnorm_group_quant_kernelIDF16_N4opus5fp4_tELi256ELi16ELi2ELb1ELb1ELb0ELb0ELb0ELb0EEEvPT0_PvPT_S7_S7_PKS6_S9_S9_S9_S9_ffiiiiiiiiiiiii
	.globl	_ZN5aiter35fused_qk_rmsnorm_group_quant_kernelIDF16_N4opus5fp4_tELi256ELi16ELi2ELb1ELb1ELb0ELb0ELb0ELb0EEEvPT0_PvPT_S7_S7_PKS6_S9_S9_S9_S9_ffiiiiiiiiiiiii
	.p2align	8
	.type	_ZN5aiter35fused_qk_rmsnorm_group_quant_kernelIDF16_N4opus5fp4_tELi256ELi16ELi2ELb1ELb1ELb0ELb0ELb0ELb0EEEvPT0_PvPT_S7_S7_PKS6_S9_S9_S9_S9_ffiiiiiiiiiiiii,@function
_ZN5aiter35fused_qk_rmsnorm_group_quant_kernelIDF16_N4opus5fp4_tELi256ELi16ELi2ELb1ELb1ELb0ELb0ELb0ELb0EEEvPT0_PvPT_S7_S7_PKS6_S9_S9_S9_S9_ffiiiiiiiiiiiii: ; @_ZN5aiter35fused_qk_rmsnorm_group_quant_kernelIDF16_N4opus5fp4_tELi256ELi16ELi2ELb1ELb1ELb0ELb0ELb0ELb0EEEvPT0_PvPT_S7_S7_PKS6_S9_S9_S9_S9_ffiiiiiiiiiiiii
; %bb.0:
	s_load_dwordx8 s[20:27], s[4:5], 0x50
	s_waitcnt lgkmcnt(0)
	s_cmp_ge_i32 s6, s22
	s_cbranch_scc1 .LBB863_17
; %bb.1:
	s_cmp_lg_u32 s7, 0
	s_cselect_b64 s[30:31], -1, 0
	s_cmp_eq_u32 s7, 0
	s_cselect_b64 s[8:9], -1, 0
	s_and_b64 s[0:1], s[8:9], exec
	s_load_dwordx2 s[28:29], s[4:5], 0x48
	s_load_dwordx2 s[10:11], s[4:5], 0x30
	s_load_dwordx8 s[12:19], s[4:5], 0x70
	s_cselect_b32 s7, s23, s24
	s_add_i32 s0, s7, 1
	s_lshr_b32 s1, s0, 31
	s_add_i32 s0, s0, s1
	s_lshl_b32 s0, s0, 1
	v_lshlrev_b32_e32 v1, 4, v0
	s_and_b32 s38, s0, -4
	v_cmp_gt_i32_e64 s[0:1], s7, v1
	v_mov_b32_e32 v6, 0
	v_mov_b32_e32 v7, 0
	;; [unrolled: 1-line block ×16, first 2 shown]
	s_and_saveexec_b64 s[2:3], s[0:1]
	s_cbranch_execz .LBB863_3
; %bb.2:
	s_waitcnt lgkmcnt(0)
	s_load_dwordx2 s[18:19], s[4:5], 0x28
	s_load_dwordx2 s[34:35], s[4:5], 0x40
	s_and_b64 s[36:37], s[8:9], exec
	s_cselect_b32 s22, s25, s26
	s_mov_b32 s39, 0x20000
	s_waitcnt lgkmcnt(0)
	s_cselect_b32 s25, s19, s11
	s_cselect_b32 s33, s18, s10
	s_mul_hi_i32 s19, s22, s6
	s_mul_i32 s18, s22, s6
	s_lshl_b64 s[18:19], s[18:19], 1
	s_add_u32 s40, s33, s18
	s_addc_u32 s22, s25, s19
	s_and_b64 s[18:19], s[8:9], exec
	s_cselect_b32 s36, s34, s28
	s_cselect_b32 s18, s35, s29
	s_and_b32 s41, s22, 0xffff
	s_mov_b32 s42, s38
	s_mov_b32 s43, s39
	v_lshlrev_b32_e32 v18, 5, v0
	s_and_b32 s37, s18, 0xffff
	buffer_load_dwordx4 v[10:13], v18, s[40:43], 0 offen
	buffer_load_dwordx4 v[14:17], v18, s[40:43], 16 offen
	;; [unrolled: 1-line block ×4, first 2 shown]
.LBB863_3:
	s_or_b64 exec, exec, s[2:3]
	s_and_b64 vcc, exec, s[30:31]
	s_cbranch_vccz .LBB863_7
; %bb.4:
	v_mov_b32_e32 v19, 0
	v_mov_b32_e32 v18, 0
	;; [unrolled: 1-line block ×16, first 2 shown]
	s_and_saveexec_b64 s[2:3], s[0:1]
	s_cbranch_execz .LBB863_6
; %bb.5:
	s_waitcnt vmcnt(3)
	v_cvt_f32_f16_sdwa v33, v10 dst_sel:DWORD dst_unused:UNUSED_PAD src0_sel:WORD_1
	v_cvt_f32_f16_e32 v32, v10
	v_cvt_f32_f16_sdwa v31, v11 dst_sel:DWORD dst_unused:UNUSED_PAD src0_sel:WORD_1
	v_cvt_f32_f16_e32 v30, v11
	;; [unrolled: 2-line block ×4, first 2 shown]
	s_waitcnt vmcnt(2)
	v_cvt_f32_f16_sdwa v27, v14 dst_sel:DWORD dst_unused:UNUSED_PAD src0_sel:WORD_1
	v_cvt_f32_f16_e32 v26, v14
	v_cvt_f32_f16_sdwa v23, v15 dst_sel:DWORD dst_unused:UNUSED_PAD src0_sel:WORD_1
	v_cvt_f32_f16_e32 v22, v15
	;; [unrolled: 2-line block ×4, first 2 shown]
.LBB863_6:
	s_or_b64 exec, exec, s[2:3]
	s_cbranch_execz .LBB863_8
	s_branch .LBB863_11
.LBB863_7:
                                        ; implicit-def: $vgpr19
                                        ; implicit-def: $vgpr21
                                        ; implicit-def: $vgpr23
                                        ; implicit-def: $vgpr27
                                        ; implicit-def: $vgpr25
                                        ; implicit-def: $vgpr29
                                        ; implicit-def: $vgpr31
                                        ; implicit-def: $vgpr33
.LBB863_8:
	v_mov_b32_e32 v19, 0
	v_mov_b32_e32 v18, 0
	;; [unrolled: 1-line block ×16, first 2 shown]
	s_and_saveexec_b64 s[2:3], s[0:1]
	s_cbranch_execz .LBB863_10
; %bb.9:
	s_waitcnt lgkmcnt(0)
	s_load_dwordx2 s[18:19], s[4:5], 0x38
	s_mul_hi_i32 s35, s27, s6
	s_mul_i32 s34, s27, s6
	s_lshl_b64 s[34:35], s[34:35], 1
	s_mov_b32 s39, 0x20000
	s_waitcnt lgkmcnt(0)
	s_add_u32 s36, s18, s34
	s_addc_u32 s18, s19, s35
	s_and_b32 s37, s18, 0xffff
	v_lshlrev_b32_e32 v46, 5, v0
	buffer_load_dwordx4 v[18:21], v46, s[36:39], 16 offen
	buffer_load_dwordx4 v[22:25], v46, s[36:39], 0 offen
	s_waitcnt vmcnt(4)
	v_cvt_f32_f16_sdwa v27, v14 dst_sel:DWORD dst_unused:UNUSED_PAD src0_sel:WORD_1
	v_cvt_f32_f16_e32 v26, v14
	v_cvt_f32_f16_sdwa v29, v15 dst_sel:DWORD dst_unused:UNUSED_PAD src0_sel:WORD_1
	v_cvt_f32_f16_e32 v28, v15
	;; [unrolled: 2-line block ×8, first 2 shown]
	s_load_dwordx2 s[18:19], s[4:5], 0x20
	s_mul_hi_i32 s35, s17, s6
	s_mul_i32 s34, s17, s6
	s_lshl_b64 s[34:35], s[34:35], 1
	s_waitcnt lgkmcnt(0)
	s_add_u32 s36, s18, s34
	s_addc_u32 s17, s19, s35
	s_and_b32 s37, s17, 0xffff
	s_waitcnt vmcnt(1)
	v_cvt_f32_f16_e32 v12, v18
	v_cvt_f32_f16_sdwa v13, v18 dst_sel:DWORD dst_unused:UNUSED_PAD src0_sel:WORD_1
	v_cvt_f32_f16_e32 v18, v19
	v_cvt_f32_f16_sdwa v19, v19 dst_sel:DWORD dst_unused:UNUSED_PAD src0_sel:WORD_1
	;; [unrolled: 2-line block ×4, first 2 shown]
	s_waitcnt vmcnt(0)
	v_cvt_f32_f16_e32 v40, v22
	v_cvt_f32_f16_sdwa v41, v22 dst_sel:DWORD dst_unused:UNUSED_PAD src0_sel:WORD_1
	v_cvt_f32_f16_e32 v42, v23
	v_cvt_f32_f16_sdwa v43, v23 dst_sel:DWORD dst_unused:UNUSED_PAD src0_sel:WORD_1
	;; [unrolled: 2-line block ×4, first 2 shown]
	v_pk_add_f32 v[26:27], v[26:27], v[12:13]
	v_pk_add_f32 v[22:23], v[28:29], v[18:19]
	v_pk_add_f32 v[20:21], v[14:15], v[32:33]
	v_pk_add_f32 v[18:19], v[30:31], v[38:39]
	v_pk_add_f32 v[32:33], v[16:17], v[40:41]
	v_pk_add_f32 v[30:31], v[34:35], v[42:43]
	v_pk_add_f32 v[28:29], v[10:11], v[44:45]
	v_pk_add_f32 v[24:25], v[36:37], v[24:25]
	v_cvt_f16_f32_e32 v10, v33
	v_cvt_f16_f32_e32 v14, v32
	;; [unrolled: 1-line block ×16, first 2 shown]
	v_pack_b32_f16 v13, v17, v13
	v_pack_b32_f16 v12, v16, v12
	;; [unrolled: 1-line block ×8, first 2 shown]
	buffer_store_dwordx4 v[10:13], v46, s[36:39], 0 offen
	;;#ASMSTART
	s_nop 0
	;;#ASMEND
	buffer_store_dwordx4 v[14:17], v46, s[36:39], 16 offen
	;;#ASMSTART
	s_nop 0
	;;#ASMEND
.LBB863_10:
	s_or_b64 exec, exec, s[2:3]
.LBB863_11:
	s_waitcnt vmcnt(3)
	v_mul_f32_e32 v10, v33, v33
	v_fmac_f32_e32 v10, v32, v32
	v_fmac_f32_e32 v10, v30, v30
	;; [unrolled: 1-line block ×15, first 2 shown]
	v_and_b32_e32 v12, 63, v0
	v_cmp_eq_u32_e64 s[2:3], 63, v12
	v_mov_b32_dpp v11, v10 quad_perm:[1,0,3,2] row_mask:0xf bank_mask:0xf
	v_add_f32_e32 v10, v10, v11
	s_nop 1
	v_mov_b32_dpp v11, v10 quad_perm:[2,3,0,1] row_mask:0xf bank_mask:0xf
	v_add_f32_e32 v10, v10, v11
	s_nop 1
	v_mov_b32_dpp v11, v10 row_half_mirror row_mask:0xf bank_mask:0xf
	v_add_f32_e32 v10, v10, v11
	s_nop 1
	v_mov_b32_dpp v11, v10 row_mirror row_mask:0xf bank_mask:0xf
	v_add_f32_e32 v10, v10, v11
	s_nop 1
	v_mov_b32_dpp v11, v10 row_bcast:15 row_mask:0xf bank_mask:0xf
	v_add_f32_e32 v10, v10, v11
	s_nop 1
	v_mov_b32_dpp v11, v10 row_bcast:31 row_mask:0xf bank_mask:0xf
	s_waitcnt lgkmcnt(0)
	s_and_saveexec_b64 s[18:19], s[2:3]
	s_cbranch_execz .LBB863_13
; %bb.12:
	v_add_f32_e32 v10, v10, v11
	v_lshrrev_b32_e32 v11, 4, v0
	v_and_b32_e32 v11, 60, v11
	ds_write_b32 v11, v10 offset:16
.LBB863_13:
	s_or_b64 exec, exec, s[18:19]
	v_and_b32_e32 v10, 3, v0
	v_lshlrev_b32_e32 v34, 2, v10
	s_waitcnt lgkmcnt(0)
	s_barrier
	ds_read_b32 v10, v34 offset:16
	s_load_dwordx2 s[18:19], s[4:5], 0x18
	s_waitcnt lgkmcnt(0)
	v_mov_b32_dpp v11, v10 quad_perm:[1,0,3,2] row_mask:0xf bank_mask:0xf
	v_add_f32_e32 v10, v10, v11
	s_nop 1
	v_mov_b32_dpp v11, v10 quad_perm:[2,3,0,1] row_mask:0xf bank_mask:0xf
	s_and_saveexec_b64 s[34:35], s[0:1]
	s_cbranch_execnz .LBB863_18
; %bb.14:
	s_or_b64 exec, exec, s[34:35]
	s_mov_b64 s[8:9], -1
	s_and_b64 vcc, exec, s[30:31]
	s_cbranch_vccnz .LBB863_19
.LBB863_15:
	s_andn2_b64 vcc, exec, s[8:9]
	s_cbranch_vccz .LBB863_22
.LBB863_16:
	s_cmp_lt_i32 s24, 1
	s_cbranch_scc0 .LBB863_31
.LBB863_17:
	s_endpgm
.LBB863_18:
	v_cvt_f32_u32_e32 v12, s7
	v_add_f32_e32 v10, v10, v11
	s_waitcnt vmcnt(2)
	v_mov_b32_e32 v14, s21
	v_mov_b32_e32 v15, s20
	v_div_scale_f32 v11, s[36:37], v12, v12, v10
	v_rcp_f32_e32 v13, v11
	v_cndmask_b32_e64 v14, v14, v15, s[8:9]
	s_mov_b32 s7, 0x800000
	s_waitcnt vmcnt(1)
	v_cvt_f32_f16_sdwa v37, v9 dst_sel:DWORD dst_unused:UNUSED_PAD src0_sel:WORD_1
	v_fma_f32 v15, -v11, v13, 1.0
	v_fmac_f32_e32 v13, v15, v13
	v_div_scale_f32 v15, vcc, v10, v12, v10
	v_mul_f32_e32 v16, v15, v13
	v_fma_f32 v17, -v11, v16, v15
	v_fmac_f32_e32 v16, v17, v13
	v_fma_f32 v11, -v11, v16, v15
	v_div_fmas_f32 v11, v11, v13, v16
	v_div_fixup_f32 v10, v11, v12, v10
	v_add_f32_e32 v10, v14, v10
	v_mul_f32_e32 v11, 0x4b800000, v10
	v_cmp_gt_f32_e32 vcc, s7, v10
	v_cndmask_b32_e32 v10, v10, v11, vcc
	v_rsq_f32_e32 v10, v10
	v_cvt_f32_f16_e32 v36, v9
	s_waitcnt vmcnt(0)
	v_cvt_f32_f16_sdwa v9, v3 dst_sel:DWORD dst_unused:UNUSED_PAD src0_sel:WORD_1
	v_mul_f32_e32 v11, 0x45800000, v10
	v_cndmask_b32_e32 v10, v10, v11, vcc
	v_mov_b32_e32 v11, v10
	;;#ASMSTART
	v_pk_mul_f32 v[12:13], v[32:33], v[10:11]
	;;#ASMEND
	;;#ASMSTART
	v_pk_mul_f32 v[14:15], v[30:31], v[10:11]
	;;#ASMEND
	;;#ASMSTART
	v_pk_mul_f32 v[16:17], v[28:29], v[10:11]
	;;#ASMEND
	;;#ASMSTART
	v_pk_mul_f32 v[24:25], v[24:25], v[10:11]
	;;#ASMEND
	;;#ASMSTART
	v_pk_mul_f32 v[26:27], v[26:27], v[10:11]
	;;#ASMEND
	;;#ASMSTART
	v_pk_mul_f32 v[22:23], v[22:23], v[10:11]
	;;#ASMEND
	;;#ASMSTART
	v_pk_mul_f32 v[20:21], v[20:21], v[10:11]
	;;#ASMEND
	;;#ASMSTART
	v_pk_mul_f32 v[10:11], v[18:19], v[10:11]
	;;#ASMEND
	v_cvt_f32_f16_sdwa v19, v6 dst_sel:DWORD dst_unused:UNUSED_PAD src0_sel:WORD_1
	v_cvt_f32_f16_e32 v18, v6
	v_cvt_f32_f16_sdwa v29, v7 dst_sel:DWORD dst_unused:UNUSED_PAD src0_sel:WORD_1
	v_cvt_f32_f16_e32 v28, v7
	;; [unrolled: 2-line block ×3, first 2 shown]
	;;#ASMSTART
	v_pk_mul_f32 v[32:33], v[12:13], v[18:19]
	;;#ASMEND
	;;#ASMSTART
	v_pk_mul_f32 v[30:31], v[14:15], v[28:29]
	;;#ASMEND
	;; [unrolled: 3-line block ×4, first 2 shown]
	v_cvt_f32_f16_sdwa v7, v2 dst_sel:DWORD dst_unused:UNUSED_PAD src0_sel:WORD_1
	v_cvt_f32_f16_e32 v6, v2
	v_cvt_f32_f16_e32 v8, v3
	v_cvt_f32_f16_sdwa v3, v4 dst_sel:DWORD dst_unused:UNUSED_PAD src0_sel:WORD_1
	v_cvt_f32_f16_e32 v2, v4
	v_cvt_f32_f16_sdwa v13, v5 dst_sel:DWORD dst_unused:UNUSED_PAD src0_sel:WORD_1
	v_cvt_f32_f16_e32 v12, v5
	;;#ASMSTART
	v_pk_mul_f32 v[26:27], v[26:27], v[6:7]
	;;#ASMEND
	;;#ASMSTART
	v_pk_mul_f32 v[22:23], v[22:23], v[8:9]
	;;#ASMEND
	;; [unrolled: 3-line block ×4, first 2 shown]
	s_or_b64 exec, exec, s[34:35]
	s_mov_b64 s[8:9], -1
	s_and_b64 vcc, exec, s[30:31]
	s_cbranch_vccz .LBB863_15
.LBB863_19:
	s_and_saveexec_b64 s[8:9], s[0:1]
	s_cbranch_execz .LBB863_21
; %bb.20:
	s_mul_hi_i32 s31, s16, s6
	s_mul_i32 s30, s16, s6
	s_waitcnt vmcnt(0)
	v_cvt_f16_f32_e32 v2, v32
	v_cvt_f16_f32_e32 v3, v30
	;; [unrolled: 1-line block ×8, first 2 shown]
	s_lshl_b64 s[30:31], s[30:31], 1
	s_add_u32 s36, s18, s30
	s_addc_u32 s7, s19, s31
	s_and_b32 s37, s7, 0xffff
	s_mov_b32 s39, 0x20000
	v_pack_b32_f16 v5, v5, v6
	v_pack_b32_f16 v4, v4, v7
	v_pack_b32_f16 v3, v3, v8
	v_pack_b32_f16 v2, v2, v9
	v_lshlrev_b32_e32 v6, 5, v0
	buffer_store_dwordx4 v[2:5], v6, s[36:39], 0 offen
	v_cvt_f16_f32_e32 v7, v19
	v_cvt_f16_f32_e32 v2, v26
	v_cvt_f16_f32_e32 v3, v22
	v_cvt_f16_f32_e32 v4, v20
	v_cvt_f16_f32_e32 v5, v18
	v_cvt_f16_f32_e32 v8, v21
	v_cvt_f16_f32_e32 v9, v23
	v_cvt_f16_f32_e32 v10, v27
	v_pack_b32_f16 v5, v5, v7
	v_pack_b32_f16 v4, v4, v8
	;; [unrolled: 1-line block ×4, first 2 shown]
	;;#ASMSTART
	s_nop 0
	;;#ASMEND
	buffer_store_dwordx4 v[2:5], v6, s[36:39], 16 offen
	;;#ASMSTART
	s_nop 0
	;;#ASMEND
.LBB863_21:
	s_or_b64 exec, exec, s[8:9]
	s_cbranch_execnz .LBB863_16
.LBB863_22:
	s_waitcnt vmcnt(0)
	v_mov_b32_e32 v2, 0
	s_and_saveexec_b64 s[8:9], s[0:1]
	s_cbranch_execz .LBB863_24
; %bb.23:
	s_load_dwordx2 s[30:31], s[4:5], 0x10
	s_mul_hi_i32 s35, s15, s6
	s_mul_i32 s34, s15, s6
	v_cvt_f16_f32_e32 v2, v32
	v_cvt_f16_f32_e32 v3, v30
	v_cvt_f16_f32_e32 v4, v28
	v_cvt_f16_f32_e32 v5, v24
	v_cvt_f16_f32_e32 v6, v25
	v_cvt_f16_f32_e32 v7, v29
	v_cvt_f16_f32_e32 v8, v31
	v_cvt_f16_f32_e32 v9, v33
	s_lshl_b64 s[34:35], s[34:35], 1
	s_waitcnt lgkmcnt(0)
	s_add_u32 s36, s30, s34
	s_addc_u32 s7, s31, s35
	s_mov_b32 s39, 0x20000
	s_and_b32 s37, s7, 0xffff
	v_pack_b32_f16 v5, v5, v6
	v_pack_b32_f16 v4, v4, v7
	v_pack_b32_f16 v3, v3, v8
	v_pack_b32_f16 v2, v2, v9
	v_lshlrev_b32_e32 v6, 5, v0
	buffer_store_dwordx4 v[2:5], v6, s[36:39], 0 offen
	v_cvt_f16_f32_e32 v7, v19
	v_cvt_f16_f32_e32 v2, v26
	;; [unrolled: 1-line block ×8, first 2 shown]
	v_pack_b32_f16 v5, v5, v7
	v_pack_b32_f16 v4, v4, v8
	v_pack_b32_f16 v3, v3, v9
	v_pack_b32_f16 v2, v2, v10
	;;#ASMSTART
	s_nop 0
	;;#ASMEND
	buffer_store_dwordx4 v[2:5], v6, s[36:39], 16 offen
	;;#ASMSTART
	s_nop 0
	;;#ASMEND
	s_nop 0
	v_mov_b32_e32 v2, 0x2edbe6ff
.LBB863_24:
	s_or_b64 exec, exec, s[8:9]
	s_and_saveexec_b64 s[8:9], s[0:1]
	s_cbranch_execz .LBB863_26
; %bb.25:
	v_and_b32_e32 v3, 0x7fffffff, v32
	v_and_b32_e32 v4, 0x7fffffff, v33
	;;#ASMSTART
	v_max3_f32 v2, v2, v3, v4

	;;#ASMEND
	v_and_b32_e32 v3, 0x7fffffff, v30
	v_and_b32_e32 v4, 0x7fffffff, v31
	;;#ASMSTART
	v_max3_f32 v2, v2, v3, v4

	;;#ASMEND
	;; [unrolled: 6-line block ×8, first 2 shown]
.LBB863_26:
	s_or_b64 exec, exec, s[8:9]
	;;#ASMSTART
	v_max_f32 v3, v2, v2 quad_perm:[1,0,3,2] row_mask:0xf bank_mask:0xf bound_ctrl:1
	;;#ASMEND
	v_and_b32_e32 v2, 1, v0
	v_cmp_eq_u32_e32 vcc, 0, v2
	v_cmp_gt_i32_e64 s[8:9], s23, v1
	s_and_b64 s[30:31], vcc, s[8:9]
	s_and_saveexec_b64 s[8:9], s[30:31]
	s_cbranch_execz .LBB863_28
; %bb.27:
	s_load_dwordx2 s[30:31], s[4:5], 0x8
	v_mul_f32_e32 v2, 0x3e2aaaab, v3
	v_lshrrev_b32_e32 v3, 23, v2
	v_and_b32_e32 v4, 0x7f800000, v2
	v_and_b32_e32 v2, 0x7fffff, v2
	v_cmp_ne_u32_e32 vcc, 0, v2
	s_mul_hi_i32 s15, s13, s6
	s_mul_i32 s13, s13, s6
	s_mov_b32 s7, 0x7f800000
	v_addc_co_u32_e32 v2, vcc, 0, v3, vcc
	s_waitcnt lgkmcnt(0)
	s_add_u32 s30, s30, s13
	v_cmp_ne_u32_e32 vcc, s7, v4
	s_addc_u32 s31, s31, s15
	v_lshrrev_b32_e32 v5, 1, v0
	v_cndmask_b32_e32 v4, -1, v2, vcc
	v_pk_mov_b32 v[2:3], s[30:31], s[30:31] op_sel:[0,1]
	v_mad_i64_i32 v[2:3], s[14:15], s14, v5, v[2:3]
	global_store_byte v[2:3], v4, off
.LBB863_28:
	s_or_b64 exec, exec, s[8:9]
	s_and_saveexec_b64 s[8:9], s[0:1]
	s_cbranch_execz .LBB863_30
; %bb.29:
	s_load_dwordx2 s[0:1], s[4:5], 0x0
	s_mul_hi_i32 s7, s12, s6
	s_mul_i32 s12, s12, s6
	v_mov_b32_e32 v2, 0
	v_lshlrev_b32_e32 v4, 3, v0
	s_waitcnt lgkmcnt(0)
	s_add_u32 s12, s0, s12
	s_addc_u32 s0, s1, s7
	s_lshr_b32 s1, s23, 31
	s_add_i32 s1, s23, s1
	s_ashr_i32 s1, s1, 1
	s_add_i32 s1, s1, 3
	s_ashr_i32 s7, s1, 31
	s_lshr_b32 s7, s7, 30
	s_add_i32 s1, s1, s7
	s_and_b32 s14, s1, -4
	s_and_b32 s13, s0, 0xffff
	s_mov_b32 s15, 0x20000
	v_mov_b32_e32 v3, v2
	buffer_store_dwordx2 v[2:3], v4, s[12:15], 0 offen
	;;#ASMSTART
	s_nop 0
	;;#ASMEND
.LBB863_30:
	s_or_b64 exec, exec, s[8:9]
	s_cmp_lt_i32 s24, 1
	s_cbranch_scc1 .LBB863_17
.LBB863_31:
	s_load_dword s0, s[4:5], 0x94
	s_waitcnt lgkmcnt(0)
	s_cmp_lg_u32 s0, 1
	s_cbranch_scc1 .LBB863_17
; %bb.32:
	s_lshl_b32 s0, s24, 1
	s_add_i32 s0, s0, 2
	v_cmp_gt_u32_e32 vcc, s24, v1
	s_and_b32 s30, s0, -4
	v_mov_b32_e32 v18, 0
	v_lshlrev_b32_e32 v1, 5, v0
	s_waitcnt vmcnt(2)
	v_mov_b32_e32 v14, 0
	v_mov_b32_e32 v15, 0
	;; [unrolled: 1-line block ×8, first 2 shown]
	s_waitcnt vmcnt(1)
	v_mov_b32_e32 v6, 0
	v_mov_b32_e32 v7, 0
	;; [unrolled: 1-line block ×4, first 2 shown]
	s_waitcnt vmcnt(0)
	v_mov_b32_e32 v2, 0
	v_mov_b32_e32 v3, 0
	;; [unrolled: 1-line block ×4, first 2 shown]
	s_barrier
	s_and_saveexec_b64 s[0:1], vcc
	s_cbranch_execz .LBB863_34
; %bb.33:
	s_mul_hi_i32 s5, s26, s6
	s_mul_i32 s4, s26, s6
	s_and_b32 s29, s29, 0xffff
	s_lshl_b64 s[4:5], s[4:5], 1
	s_add_u32 s8, s10, s4
	s_mov_b32 s31, 0x20000
	s_addc_u32 s4, s11, s5
	s_and_b32 s9, s4, 0xffff
	s_mov_b32 s10, s30
	s_mov_b32 s11, s31
	buffer_load_dwordx4 v[14:17], v1, s[8:11], 0 offen
	buffer_load_dwordx4 v[10:13], v1, s[8:11], 16 offen
	;; [unrolled: 1-line block ×4, first 2 shown]
.LBB863_34:
	s_or_b64 exec, exec, s[0:1]
	v_mov_b32_e32 v19, 0
	v_mov_b32_e32 v32, 0
	;; [unrolled: 1-line block ×15, first 2 shown]
	s_and_saveexec_b64 s[0:1], vcc
	s_cbranch_execz .LBB863_36
; %bb.35:
	s_waitcnt vmcnt(3)
	v_cvt_f32_f16_sdwa v19, v14 dst_sel:DWORD dst_unused:UNUSED_PAD src0_sel:WORD_1
	v_cvt_f32_f16_e32 v18, v14
	v_cvt_f32_f16_sdwa v33, v15 dst_sel:DWORD dst_unused:UNUSED_PAD src0_sel:WORD_1
	v_cvt_f32_f16_e32 v32, v15
	;; [unrolled: 2-line block ×4, first 2 shown]
	s_waitcnt vmcnt(2)
	v_cvt_f32_f16_sdwa v27, v10 dst_sel:DWORD dst_unused:UNUSED_PAD src0_sel:WORD_1
	v_cvt_f32_f16_e32 v26, v10
	v_cvt_f32_f16_sdwa v25, v11 dst_sel:DWORD dst_unused:UNUSED_PAD src0_sel:WORD_1
	v_cvt_f32_f16_e32 v24, v11
	;; [unrolled: 2-line block ×4, first 2 shown]
.LBB863_36:
	s_or_b64 exec, exec, s[0:1]
	s_waitcnt vmcnt(2)
	v_mul_f32_e32 v10, v19, v19
	v_fmac_f32_e32 v10, v18, v18
	v_fmac_f32_e32 v10, v32, v32
	;; [unrolled: 1-line block ×15, first 2 shown]
	s_nop 1
	v_mov_b32_dpp v11, v10 quad_perm:[1,0,3,2] row_mask:0xf bank_mask:0xf
	v_add_f32_e32 v10, v10, v11
	s_nop 1
	v_mov_b32_dpp v11, v10 quad_perm:[2,3,0,1] row_mask:0xf bank_mask:0xf
	v_add_f32_e32 v10, v10, v11
	s_nop 1
	v_mov_b32_dpp v11, v10 row_half_mirror row_mask:0xf bank_mask:0xf
	v_add_f32_e32 v10, v10, v11
	s_nop 1
	v_mov_b32_dpp v11, v10 row_mirror row_mask:0xf bank_mask:0xf
	v_add_f32_e32 v10, v10, v11
	s_nop 1
	v_mov_b32_dpp v11, v10 row_bcast:15 row_mask:0xf bank_mask:0xf
	v_add_f32_e32 v10, v10, v11
	s_nop 1
	v_mov_b32_dpp v11, v10 row_bcast:31 row_mask:0xf bank_mask:0xf
	s_and_saveexec_b64 s[0:1], s[2:3]
	s_cbranch_execz .LBB863_38
; %bb.37:
	v_lshrrev_b32_e32 v0, 4, v0
	v_add_f32_e32 v10, v10, v11
	v_and_b32_e32 v0, 60, v0
	ds_write_b32 v0, v10
.LBB863_38:
	s_or_b64 exec, exec, s[0:1]
	s_waitcnt lgkmcnt(0)
	s_barrier
	ds_read_b32 v0, v34
	s_waitcnt lgkmcnt(0)
	s_nop 0
	v_mov_b32_dpp v10, v0 quad_perm:[1,0,3,2] row_mask:0xf bank_mask:0xf
	v_add_f32_e32 v0, v0, v10
	s_nop 1
	v_mov_b32_dpp v10, v0 quad_perm:[2,3,0,1] row_mask:0xf bank_mask:0xf
	s_and_saveexec_b64 s[0:1], vcc
	s_cbranch_execz .LBB863_17
; %bb.39:
	v_cvt_f32_u32_e32 v11, s24
	v_add_f32_e32 v0, v0, v10
	s_mov_b32 s31, 0x20000
	v_div_scale_f32 v10, s[0:1], v11, v11, v0
	v_rcp_f32_e32 v12, v10
	v_div_scale_f32 v13, vcc, v0, v11, v0
	s_mov_b32 s0, 0x800000
	v_fma_f32 v14, -v10, v12, 1.0
	v_fmac_f32_e32 v12, v14, v12
	v_mul_f32_e32 v14, v13, v12
	v_fma_f32 v15, -v10, v14, v13
	v_fmac_f32_e32 v14, v15, v12
	v_fma_f32 v10, -v10, v14, v13
	v_div_fmas_f32 v10, v10, v12, v14
	v_div_fixup_f32 v0, v10, v11, v0
	v_add_f32_e32 v0, s21, v0
	v_mul_f32_e32 v10, 0x4b800000, v0
	v_cmp_gt_f32_e32 vcc, s0, v0
	v_cndmask_b32_e32 v0, v0, v10, vcc
	v_rsq_f32_e32 v0, v0
	s_mul_hi_i32 s1, s16, s6
	s_mul_i32 s0, s16, s6
	s_lshl_b64 s[0:1], s[0:1], 1
	v_mul_f32_e32 v10, 0x45800000, v0
	v_cndmask_b32_e32 v10, v0, v10, vcc
	v_mov_b32_e32 v11, v10
	;;#ASMSTART
	v_pk_mul_f32 v[12:13], v[18:19], v[10:11]
	;;#ASMEND
	;;#ASMSTART
	v_pk_mul_f32 v[14:15], v[32:33], v[10:11]
	;;#ASMEND
	;; [unrolled: 3-line block ×8, first 2 shown]
	s_waitcnt vmcnt(1)
	v_cvt_f32_f16_sdwa v21, v6 dst_sel:DWORD dst_unused:UNUSED_PAD src0_sel:WORD_1
	v_cvt_f32_f16_e32 v20, v6
	v_cvt_f32_f16_sdwa v29, v7 dst_sel:DWORD dst_unused:UNUSED_PAD src0_sel:WORD_1
	v_cvt_f32_f16_e32 v28, v7
	;; [unrolled: 2-line block ×4, first 2 shown]
	;;#ASMSTART
	v_pk_mul_f32 v[8:9], v[12:13], v[20:21]
	;;#ASMEND
	;;#ASMSTART
	v_pk_mul_f32 v[12:13], v[14:15], v[28:29]
	;;#ASMEND
	;; [unrolled: 3-line block ×4, first 2 shown]
	s_waitcnt vmcnt(0)
	v_cvt_f32_f16_sdwa v17, v2 dst_sel:DWORD dst_unused:UNUSED_PAD src0_sel:WORD_1
	v_cvt_f32_f16_e32 v16, v2
	v_cvt_f32_f16_sdwa v19, v3 dst_sel:DWORD dst_unused:UNUSED_PAD src0_sel:WORD_1
	v_cvt_f32_f16_e32 v18, v3
	;; [unrolled: 2-line block ×4, first 2 shown]
	;;#ASMSTART
	v_pk_mul_f32 v[16:17], v[26:27], v[16:17]
	;;#ASMEND
	;;#ASMSTART
	v_pk_mul_f32 v[18:19], v[24:25], v[18:19]
	;;#ASMEND
	;; [unrolled: 3-line block ×3, first 2 shown]
	v_cvt_f16_f32_e32 v0, v8
	v_cvt_f16_f32_e32 v2, v9
	;; [unrolled: 1-line block ×8, first 2 shown]
	s_add_u32 s28, s18, s0
	s_addc_u32 s0, s19, s1
	s_and_b32 s29, s0, 0xffff
	v_pack_b32_f16 v2, v0, v2
	v_pack_b32_f16 v3, v3, v4
	;; [unrolled: 1-line block ×4, first 2 shown]
	;;#ASMSTART
	v_pk_mul_f32 v[10:11], v[10:11], v[20:21]
	;;#ASMEND
	buffer_store_dwordx4 v[2:5], v1, s[28:31], 0 offen
	v_cvt_f16_f32_e32 v0, v16
	v_cvt_f16_f32_e32 v2, v17
	;; [unrolled: 1-line block ×8, first 2 shown]
	v_pack_b32_f16 v2, v0, v2
	v_pack_b32_f16 v3, v3, v4
	;; [unrolled: 1-line block ×4, first 2 shown]
	;;#ASMSTART
	s_nop 0
	;;#ASMEND
	buffer_store_dwordx4 v[2:5], v1, s[28:31], 16 offen
	;;#ASMSTART
	s_nop 0
	;;#ASMEND
	s_endpgm
	.section	.rodata,"a",@progbits
	.p2align	6, 0x0
	.amdhsa_kernel _ZN5aiter35fused_qk_rmsnorm_group_quant_kernelIDF16_N4opus5fp4_tELi256ELi16ELi2ELb1ELb1ELb0ELb0ELb0ELb0EEEvPT0_PvPT_S7_S7_PKS6_S9_S9_S9_S9_ffiiiiiiiiiiiii
		.amdhsa_group_segment_fixed_size 32
		.amdhsa_private_segment_fixed_size 0
		.amdhsa_kernarg_size 400
		.amdhsa_user_sgpr_count 6
		.amdhsa_user_sgpr_private_segment_buffer 1
		.amdhsa_user_sgpr_dispatch_ptr 0
		.amdhsa_user_sgpr_queue_ptr 0
		.amdhsa_user_sgpr_kernarg_segment_ptr 1
		.amdhsa_user_sgpr_dispatch_id 0
		.amdhsa_user_sgpr_flat_scratch_init 0
		.amdhsa_user_sgpr_kernarg_preload_length 0
		.amdhsa_user_sgpr_kernarg_preload_offset 0
		.amdhsa_user_sgpr_private_segment_size 0
		.amdhsa_uses_dynamic_stack 0
		.amdhsa_system_sgpr_private_segment_wavefront_offset 0
		.amdhsa_system_sgpr_workgroup_id_x 1
		.amdhsa_system_sgpr_workgroup_id_y 1
		.amdhsa_system_sgpr_workgroup_id_z 0
		.amdhsa_system_sgpr_workgroup_info 0
		.amdhsa_system_vgpr_workitem_id 0
		.amdhsa_next_free_vgpr 47
		.amdhsa_next_free_sgpr 44
		.amdhsa_accum_offset 48
		.amdhsa_reserve_vcc 1
		.amdhsa_reserve_flat_scratch 0
		.amdhsa_float_round_mode_32 0
		.amdhsa_float_round_mode_16_64 0
		.amdhsa_float_denorm_mode_32 3
		.amdhsa_float_denorm_mode_16_64 3
		.amdhsa_dx10_clamp 1
		.amdhsa_ieee_mode 1
		.amdhsa_fp16_overflow 0
		.amdhsa_tg_split 0
		.amdhsa_exception_fp_ieee_invalid_op 0
		.amdhsa_exception_fp_denorm_src 0
		.amdhsa_exception_fp_ieee_div_zero 0
		.amdhsa_exception_fp_ieee_overflow 0
		.amdhsa_exception_fp_ieee_underflow 0
		.amdhsa_exception_fp_ieee_inexact 0
		.amdhsa_exception_int_div_zero 0
	.end_amdhsa_kernel
	.section	.text._ZN5aiter35fused_qk_rmsnorm_group_quant_kernelIDF16_N4opus5fp4_tELi256ELi16ELi2ELb1ELb1ELb0ELb0ELb0ELb0EEEvPT0_PvPT_S7_S7_PKS6_S9_S9_S9_S9_ffiiiiiiiiiiiii,"axG",@progbits,_ZN5aiter35fused_qk_rmsnorm_group_quant_kernelIDF16_N4opus5fp4_tELi256ELi16ELi2ELb1ELb1ELb0ELb0ELb0ELb0EEEvPT0_PvPT_S7_S7_PKS6_S9_S9_S9_S9_ffiiiiiiiiiiiii,comdat
.Lfunc_end863:
	.size	_ZN5aiter35fused_qk_rmsnorm_group_quant_kernelIDF16_N4opus5fp4_tELi256ELi16ELi2ELb1ELb1ELb0ELb0ELb0ELb0EEEvPT0_PvPT_S7_S7_PKS6_S9_S9_S9_S9_ffiiiiiiiiiiiii, .Lfunc_end863-_ZN5aiter35fused_qk_rmsnorm_group_quant_kernelIDF16_N4opus5fp4_tELi256ELi16ELi2ELb1ELb1ELb0ELb0ELb0ELb0EEEvPT0_PvPT_S7_S7_PKS6_S9_S9_S9_S9_ffiiiiiiiiiiiii
                                        ; -- End function
	.section	.AMDGPU.csdata,"",@progbits
; Kernel info:
; codeLenInByte = 3976
; NumSgprs: 48
; NumVgprs: 47
; NumAgprs: 0
; TotalNumVgprs: 47
; ScratchSize: 0
; MemoryBound: 0
; FloatMode: 240
; IeeeMode: 1
; LDSByteSize: 32 bytes/workgroup (compile time only)
; SGPRBlocks: 5
; VGPRBlocks: 5
; NumSGPRsForWavesPerEU: 48
; NumVGPRsForWavesPerEU: 47
; AccumOffset: 48
; Occupancy: 8
; WaveLimiterHint : 0
; COMPUTE_PGM_RSRC2:SCRATCH_EN: 0
; COMPUTE_PGM_RSRC2:USER_SGPR: 6
; COMPUTE_PGM_RSRC2:TRAP_HANDLER: 0
; COMPUTE_PGM_RSRC2:TGID_X_EN: 1
; COMPUTE_PGM_RSRC2:TGID_Y_EN: 1
; COMPUTE_PGM_RSRC2:TGID_Z_EN: 0
; COMPUTE_PGM_RSRC2:TIDIG_COMP_CNT: 0
; COMPUTE_PGM_RSRC3_GFX90A:ACCUM_OFFSET: 11
; COMPUTE_PGM_RSRC3_GFX90A:TG_SPLIT: 0
	.section	.text._ZN5aiter35fused_qk_rmsnorm_group_quant_kernelItN4opus5fp4_tELi256ELi16ELi2ELb1ELb1ELb0ELb0ELb0ELb0EEEvPT0_PvPT_S7_S7_PKS6_S9_S9_S9_S9_ffiiiiiiiiiiiii,"axG",@progbits,_ZN5aiter35fused_qk_rmsnorm_group_quant_kernelItN4opus5fp4_tELi256ELi16ELi2ELb1ELb1ELb0ELb0ELb0ELb0EEEvPT0_PvPT_S7_S7_PKS6_S9_S9_S9_S9_ffiiiiiiiiiiiii,comdat
	.protected	_ZN5aiter35fused_qk_rmsnorm_group_quant_kernelItN4opus5fp4_tELi256ELi16ELi2ELb1ELb1ELb0ELb0ELb0ELb0EEEvPT0_PvPT_S7_S7_PKS6_S9_S9_S9_S9_ffiiiiiiiiiiiii ; -- Begin function _ZN5aiter35fused_qk_rmsnorm_group_quant_kernelItN4opus5fp4_tELi256ELi16ELi2ELb1ELb1ELb0ELb0ELb0ELb0EEEvPT0_PvPT_S7_S7_PKS6_S9_S9_S9_S9_ffiiiiiiiiiiiii
	.globl	_ZN5aiter35fused_qk_rmsnorm_group_quant_kernelItN4opus5fp4_tELi256ELi16ELi2ELb1ELb1ELb0ELb0ELb0ELb0EEEvPT0_PvPT_S7_S7_PKS6_S9_S9_S9_S9_ffiiiiiiiiiiiii
	.p2align	8
	.type	_ZN5aiter35fused_qk_rmsnorm_group_quant_kernelItN4opus5fp4_tELi256ELi16ELi2ELb1ELb1ELb0ELb0ELb0ELb0EEEvPT0_PvPT_S7_S7_PKS6_S9_S9_S9_S9_ffiiiiiiiiiiiii,@function
_ZN5aiter35fused_qk_rmsnorm_group_quant_kernelItN4opus5fp4_tELi256ELi16ELi2ELb1ELb1ELb0ELb0ELb0ELb0EEEvPT0_PvPT_S7_S7_PKS6_S9_S9_S9_S9_ffiiiiiiiiiiiii: ; @_ZN5aiter35fused_qk_rmsnorm_group_quant_kernelItN4opus5fp4_tELi256ELi16ELi2ELb1ELb1ELb0ELb0ELb0ELb0EEEvPT0_PvPT_S7_S7_PKS6_S9_S9_S9_S9_ffiiiiiiiiiiiii
; %bb.0:
	s_load_dwordx8 s[20:27], s[4:5], 0x50
	s_waitcnt lgkmcnt(0)
	s_cmp_ge_i32 s6, s22
	s_cbranch_scc1 .LBB864_17
; %bb.1:
	s_load_dwordx2 s[28:29], s[4:5], 0x48
	s_load_dwordx2 s[10:11], s[4:5], 0x30
	s_load_dwordx8 s[12:19], s[4:5], 0x70
	s_cmp_lg_u32 s7, 0
	s_waitcnt lgkmcnt(0)
	s_cselect_b64 s[18:19], -1, 0
	s_cmp_eq_u32 s7, 0
	s_cselect_b64 s[8:9], -1, 0
	s_and_b64 s[0:1], s[8:9], exec
	s_cselect_b32 s7, s23, s24
	s_add_i32 s0, s7, 1
	s_lshr_b32 s1, s0, 31
	s_add_i32 s0, s0, s1
	s_lshl_b32 s0, s0, 1
	v_lshlrev_b32_e32 v1, 4, v0
	s_and_b32 s38, s0, -4
	v_cmp_gt_i32_e64 s[0:1], s7, v1
	v_mov_b32_e32 v80, 0
	v_mov_b32_e32 v81, 0
	v_mov_b32_e32 v82, 0
	v_mov_b32_e32 v83, 0
	v_mov_b32_e32 v76, 0
	v_mov_b32_e32 v77, 0
	v_mov_b32_e32 v78, 0
	v_mov_b32_e32 v79, 0
	v_mov_b32_e32 v84, 0
	v_mov_b32_e32 v85, 0
	v_mov_b32_e32 v86, 0
	v_mov_b32_e32 v87, 0
	v_mov_b32_e32 v88, 0
	v_mov_b32_e32 v89, 0
	v_mov_b32_e32 v90, 0
	v_mov_b32_e32 v91, 0
	s_and_saveexec_b64 s[2:3], s[0:1]
	s_cbranch_execz .LBB864_3
; %bb.2:
	s_load_dwordx2 s[30:31], s[4:5], 0x28
	s_load_dwordx2 s[34:35], s[4:5], 0x40
	s_and_b64 s[36:37], s[8:9], exec
	s_cselect_b32 s22, s25, s26
	s_mov_b32 s39, 0x20000
	s_waitcnt lgkmcnt(0)
	s_cselect_b32 s25, s31, s11
	s_cselect_b32 s33, s30, s10
	s_mul_hi_i32 s31, s22, s6
	s_mul_i32 s30, s22, s6
	s_lshl_b64 s[30:31], s[30:31], 1
	s_add_u32 s40, s33, s30
	s_addc_u32 s22, s25, s31
	s_and_b64 s[30:31], s[8:9], exec
	s_cselect_b32 s36, s34, s28
	s_cselect_b32 s25, s35, s29
	s_and_b32 s41, s22, 0xffff
	s_mov_b32 s42, s38
	s_mov_b32 s43, s39
	v_lshlrev_b32_e32 v2, 5, v0
	s_and_b32 s37, s25, 0xffff
	buffer_load_dwordx4 v[84:87], v2, s[40:43], 0 offen
	buffer_load_dwordx4 v[88:91], v2, s[40:43], 16 offen
	;; [unrolled: 1-line block ×4, first 2 shown]
.LBB864_3:
	s_or_b64 exec, exec, s[2:3]
	s_and_b64 vcc, exec, s[18:19]
	s_cbranch_vccz .LBB864_7
; %bb.4:
	v_mov_b32_e32 v93, 0
	v_mov_b32_e32 v92, 0
	;; [unrolled: 1-line block ×16, first 2 shown]
	s_and_saveexec_b64 s[2:3], s[0:1]
	s_cbranch_execz .LBB864_6
; %bb.5:
	s_waitcnt vmcnt(3)
	v_cvt_f32_u32_sdwa v32, v84 dst_sel:DWORD dst_unused:UNUSED_PAD src0_sel:WORD_0
	v_cvt_f32_u32_sdwa v33, v84 dst_sel:DWORD dst_unused:UNUSED_PAD src0_sel:WORD_1
	v_cvt_f32_u32_sdwa v18, v85 dst_sel:DWORD dst_unused:UNUSED_PAD src0_sel:WORD_0
	v_cvt_f32_u32_sdwa v19, v85 dst_sel:DWORD dst_unused:UNUSED_PAD src0_sel:WORD_1
	;; [unrolled: 2-line block ×4, first 2 shown]
	s_waitcnt vmcnt(2)
	v_cvt_f32_u32_sdwa v68, v88 dst_sel:DWORD dst_unused:UNUSED_PAD src0_sel:WORD_0
	v_cvt_f32_u32_sdwa v69, v88 dst_sel:DWORD dst_unused:UNUSED_PAD src0_sel:WORD_1
	v_cvt_f32_u32_sdwa v62, v89 dst_sel:DWORD dst_unused:UNUSED_PAD src0_sel:WORD_0
	v_cvt_f32_u32_sdwa v63, v89 dst_sel:DWORD dst_unused:UNUSED_PAD src0_sel:WORD_1
	;; [unrolled: 2-line block ×4, first 2 shown]
.LBB864_6:
	s_or_b64 exec, exec, s[2:3]
	s_cbranch_execz .LBB864_8
	s_branch .LBB864_11
.LBB864_7:
                                        ; implicit-def: $vgpr32_vgpr33_vgpr34_vgpr35_vgpr36_vgpr37_vgpr38_vgpr39_vgpr40_vgpr41_vgpr42_vgpr43_vgpr44_vgpr45_vgpr46_vgpr47
                                        ; implicit-def: $vgpr46_vgpr47_vgpr48_vgpr49_vgpr50_vgpr51_vgpr52_vgpr53_vgpr54_vgpr55_vgpr56_vgpr57_vgpr58_vgpr59_vgpr60_vgpr61
                                        ; implicit-def: $vgpr16_vgpr17_vgpr18_vgpr19_vgpr20_vgpr21_vgpr22_vgpr23_vgpr24_vgpr25_vgpr26_vgpr27_vgpr28_vgpr29_vgpr30_vgpr31
                                        ; implicit-def: $vgpr93
                                        ; implicit-def: $vgpr2_vgpr3_vgpr4_vgpr5_vgpr6_vgpr7_vgpr8_vgpr9_vgpr10_vgpr11_vgpr12_vgpr13_vgpr14_vgpr15_vgpr16_vgpr17
                                        ; implicit-def: $vgpr60_vgpr61_vgpr62_vgpr63_vgpr64_vgpr65_vgpr66_vgpr67_vgpr68_vgpr69_vgpr70_vgpr71_vgpr72_vgpr73_vgpr74_vgpr75
                                        ; implicit-def: $vgpr34_vgpr35_vgpr36_vgpr37_vgpr38_vgpr39_vgpr40_vgpr41_vgpr42_vgpr43_vgpr44_vgpr45_vgpr46_vgpr47_vgpr48_vgpr49
                                        ; implicit-def: $vgpr52_vgpr53_vgpr54_vgpr55_vgpr56_vgpr57_vgpr58_vgpr59_vgpr60_vgpr61_vgpr62_vgpr63_vgpr64_vgpr65_vgpr66_vgpr67
.LBB864_8:
	v_mov_b32_e32 v93, 0
	v_mov_b32_e32 v92, 0
	v_mov_b32_e32 v15, 0
	v_mov_b32_e32 v14, 0
	v_mov_b32_e32 v63, 0
	v_mov_b32_e32 v62, 0
	v_mov_b32_e32 v69, 0
	v_mov_b32_e32 v68, 0
	v_mov_b32_e32 v41, 0
	v_mov_b32_e32 v40, 0
	v_mov_b32_e32 v51, 0
	v_mov_b32_e32 v50, 0
	v_mov_b32_e32 v19, 0
	v_mov_b32_e32 v18, 0
	v_mov_b32_e32 v33, 0
	v_mov_b32_e32 v32, 0
	s_and_saveexec_b64 s[2:3], s[0:1]
	s_cbranch_execz .LBB864_10
; %bb.9:
	s_load_dwordx2 s[30:31], s[4:5], 0x38
	s_mul_hi_i32 s35, s27, s6
	s_mul_i32 s34, s27, s6
	s_lshl_b64 s[34:35], s[34:35], 1
	s_mov_b32 s39, 0x20000
	s_waitcnt lgkmcnt(0)
	s_add_u32 s36, s30, s34
	s_addc_u32 s22, s31, s35
	s_and_b32 s37, s22, 0xffff
	v_lshlrev_b32_e32 v36, 5, v0
	buffer_load_dwordx4 v[4:7], v36, s[36:39], 16 offen
	buffer_load_dwordx4 v[8:11], v36, s[36:39], 0 offen
	s_load_dwordx2 s[30:31], s[4:5], 0x20
	s_waitcnt vmcnt(5)
	v_cvt_f32_u32_sdwa v21, v84 dst_sel:DWORD dst_unused:UNUSED_PAD src0_sel:WORD_1
	v_cvt_f32_u32_sdwa v20, v84 dst_sel:DWORD dst_unused:UNUSED_PAD src0_sel:WORD_0
	v_cvt_f32_u32_sdwa v19, v85 dst_sel:DWORD dst_unused:UNUSED_PAD src0_sel:WORD_1
	v_cvt_f32_u32_sdwa v18, v85 dst_sel:DWORD dst_unused:UNUSED_PAD src0_sel:WORD_0
	;; [unrolled: 2-line block ×4, first 2 shown]
	s_waitcnt vmcnt(4)
	v_cvt_f32_u32_sdwa v3, v88 dst_sel:DWORD dst_unused:UNUSED_PAD src0_sel:WORD_1
	v_cvt_f32_u32_sdwa v2, v88 dst_sel:DWORD dst_unused:UNUSED_PAD src0_sel:WORD_0
	v_cvt_f32_u32_sdwa v13, v89 dst_sel:DWORD dst_unused:UNUSED_PAD src0_sel:WORD_1
	v_cvt_f32_u32_sdwa v12, v89 dst_sel:DWORD dst_unused:UNUSED_PAD src0_sel:WORD_0
	;; [unrolled: 2-line block ×3, first 2 shown]
	v_cvt_f32_u32_sdwa v16, v91 dst_sel:DWORD dst_unused:UNUSED_PAD src0_sel:WORD_0
	v_cvt_f32_u32_sdwa v17, v91 dst_sel:DWORD dst_unused:UNUSED_PAD src0_sel:WORD_1
	s_mul_hi_i32 s35, s17, s6
	s_mul_i32 s34, s17, s6
	s_lshl_b64 s[34:35], s[34:35], 1
	s_waitcnt lgkmcnt(0)
	s_add_u32 s36, s30, s34
	s_mov_b32 s17, 0x7060302
	s_addc_u32 s22, s31, s35
	s_and_b32 s37, s22, 0xffff
	s_waitcnt vmcnt(1)
	v_cvt_f32_u32_sdwa v27, v4 dst_sel:DWORD dst_unused:UNUSED_PAD src0_sel:WORD_1
	v_cvt_f32_u32_sdwa v26, v4 dst_sel:DWORD dst_unused:UNUSED_PAD src0_sel:WORD_0
	v_cvt_f32_u32_sdwa v29, v5 dst_sel:DWORD dst_unused:UNUSED_PAD src0_sel:WORD_1
	v_cvt_f32_u32_sdwa v28, v5 dst_sel:DWORD dst_unused:UNUSED_PAD src0_sel:WORD_0
	;; [unrolled: 2-line block ×3, first 2 shown]
	v_cvt_f32_u32_sdwa v34, v7 dst_sel:DWORD dst_unused:UNUSED_PAD src0_sel:WORD_0
	v_cvt_f32_u32_sdwa v35, v7 dst_sel:DWORD dst_unused:UNUSED_PAD src0_sel:WORD_1
	s_waitcnt vmcnt(0)
	v_cvt_f32_u32_sdwa v33, v8 dst_sel:DWORD dst_unused:UNUSED_PAD src0_sel:WORD_1
	v_cvt_f32_u32_sdwa v32, v8 dst_sel:DWORD dst_unused:UNUSED_PAD src0_sel:WORD_0
	v_cvt_f32_u32_sdwa v5, v10 dst_sel:DWORD dst_unused:UNUSED_PAD src0_sel:WORD_1
	v_cvt_f32_u32_sdwa v4, v10 dst_sel:DWORD dst_unused:UNUSED_PAD src0_sel:WORD_0
	;; [unrolled: 2-line block ×4, first 2 shown]
	v_pk_add_f32 v[50:51], v[22:23], v[4:5]
	v_pk_add_f32 v[40:41], v[24:25], v[6:7]
	;; [unrolled: 1-line block ×4, first 2 shown]
	v_perm_b32 v7, v41, v40, s17
	v_perm_b32 v6, v51, v50, s17
	;; [unrolled: 1-line block ×4, first 2 shown]
	v_pk_add_f32 v[92:93], v[16:17], v[34:35]
	v_pk_add_f32 v[14:15], v[14:15], v[30:31]
	;; [unrolled: 1-line block ×4, first 2 shown]
	buffer_store_dwordx4 v[4:7], v36, s[36:39], 0 offen
	;;#ASMSTART
	s_nop 0
	;;#ASMEND
	s_nop 0
	v_perm_b32 v7, v93, v92, s17
	v_perm_b32 v6, v15, v14, s17
	;; [unrolled: 1-line block ×4, first 2 shown]
	buffer_store_dwordx4 v[4:7], v36, s[36:39], 16 offen
	;;#ASMSTART
	s_nop 0
	;;#ASMEND
.LBB864_10:
	s_or_b64 exec, exec, s[2:3]
.LBB864_11:
	v_mul_f32_e32 v2, v33, v33
	v_fmac_f32_e32 v2, v32, v32
	v_fmac_f32_e32 v2, v18, v18
	;; [unrolled: 1-line block ×15, first 2 shown]
	s_nop 1
	v_mov_b32_dpp v3, v2 quad_perm:[1,0,3,2] row_mask:0xf bank_mask:0xf
	v_add_f32_e32 v2, v2, v3
	s_nop 1
	v_mov_b32_dpp v3, v2 quad_perm:[2,3,0,1] row_mask:0xf bank_mask:0xf
	v_add_f32_e32 v2, v2, v3
	s_nop 1
	v_mov_b32_dpp v3, v2 row_half_mirror row_mask:0xf bank_mask:0xf
	v_add_f32_e32 v2, v2, v3
	s_nop 1
	v_mov_b32_dpp v3, v2 row_mirror row_mask:0xf bank_mask:0xf
	v_add_f32_e32 v2, v2, v3
	s_nop 1
	v_mov_b32_dpp v3, v2 row_bcast:15 row_mask:0xf bank_mask:0xf
	v_add_f32_e32 v2, v2, v3
	v_and_b32_e32 v3, 63, v0
	v_cmp_eq_u32_e64 s[2:3], 63, v3
	s_nop 0
	v_mov_b32_dpp v3, v2 row_bcast:31 row_mask:0xf bank_mask:0xf
	s_and_saveexec_b64 s[30:31], s[2:3]
	s_cbranch_execz .LBB864_13
; %bb.12:
	v_add_f32_e32 v2, v2, v3
	v_lshrrev_b32_e32 v3, 4, v0
	v_and_b32_e32 v3, 60, v3
	ds_write_b32 v3, v2 offset:16
.LBB864_13:
	s_or_b64 exec, exec, s[30:31]
	v_and_b32_e32 v2, 3, v0
	v_lshlrev_b32_e32 v34, 2, v2
	s_waitcnt lgkmcnt(0)
	s_barrier
	ds_read_b32 v2, v34 offset:16
	s_load_dwordx2 s[34:35], s[4:5], 0x18
	s_waitcnt lgkmcnt(0)
	v_mov_b32_dpp v3, v2 quad_perm:[1,0,3,2] row_mask:0xf bank_mask:0xf
	v_add_f32_e32 v2, v2, v3
	s_nop 1
	v_mov_b32_dpp v3, v2 quad_perm:[2,3,0,1] row_mask:0xf bank_mask:0xf
	s_and_saveexec_b64 s[30:31], s[0:1]
	s_cbranch_execnz .LBB864_18
; %bb.14:
	s_or_b64 exec, exec, s[30:31]
	s_mov_b64 s[8:9], -1
	s_and_b64 vcc, exec, s[18:19]
	s_cbranch_vccnz .LBB864_19
.LBB864_15:
	s_andn2_b64 vcc, exec, s[8:9]
	s_cbranch_vccz .LBB864_22
.LBB864_16:
	s_cmp_lt_i32 s24, 1
	s_cbranch_scc0 .LBB864_31
.LBB864_17:
	s_endpgm
.LBB864_18:
	v_add_f32_e32 v2, v2, v3
	v_cvt_f32_u32_e32 v3, s7
	s_mov_b32 s7, 0x800000
	s_waitcnt vmcnt(1)
	v_cvt_f32_u32_sdwa v21, v81 dst_sel:DWORD dst_unused:UNUSED_PAD src0_sel:WORD_1
	v_cvt_f32_u32_sdwa v20, v81 dst_sel:DWORD dst_unused:UNUSED_PAD src0_sel:WORD_0
	v_div_scale_f32 v4, s[36:37], v3, v3, v2
	v_rcp_f32_e32 v5, v4
	s_waitcnt vmcnt(0)
	v_cvt_f32_u32_sdwa v23, v77 dst_sel:DWORD dst_unused:UNUSED_PAD src0_sel:WORD_1
	v_cvt_f32_u32_sdwa v22, v77 dst_sel:DWORD dst_unused:UNUSED_PAD src0_sel:WORD_0
	v_cvt_f32_u32_sdwa v25, v78 dst_sel:DWORD dst_unused:UNUSED_PAD src0_sel:WORD_1
	v_fma_f32 v6, -v4, v5, 1.0
	v_fmac_f32_e32 v5, v6, v5
	v_div_scale_f32 v6, vcc, v2, v3, v2
	v_mul_f32_e32 v7, v6, v5
	v_fma_f32 v8, -v4, v7, v6
	v_fmac_f32_e32 v7, v8, v5
	v_fma_f32 v4, -v4, v7, v6
	v_div_fmas_f32 v4, v4, v5, v7
	v_div_fixup_f32 v2, v4, v3, v2
	v_mov_b32_e32 v3, s21
	v_mov_b32_e32 v4, s20
	v_cndmask_b32_e64 v3, v3, v4, s[8:9]
	v_add_f32_e32 v2, v3, v2
	v_mul_f32_e32 v3, 0x4b800000, v2
	v_cmp_gt_f32_e32 vcc, s7, v2
	v_cndmask_b32_e32 v2, v2, v3, vcc
	v_rsq_f32_e32 v2, v2
	v_cvt_f32_u32_sdwa v24, v78 dst_sel:DWORD dst_unused:UNUSED_PAD src0_sel:WORD_0
	v_cvt_f32_u32_sdwa v27, v79 dst_sel:DWORD dst_unused:UNUSED_PAD src0_sel:WORD_1
	v_cvt_f32_u32_sdwa v26, v79 dst_sel:DWORD dst_unused:UNUSED_PAD src0_sel:WORD_0
	v_mul_f32_e32 v3, 0x45800000, v2
	v_cndmask_b32_e32 v2, v2, v3, vcc
	v_mov_b32_e32 v3, v2
	;;#ASMSTART
	v_pk_mul_f32 v[4:5], v[32:33], v[2:3]
	;;#ASMEND
	;;#ASMSTART
	v_pk_mul_f32 v[6:7], v[18:19], v[2:3]
	;;#ASMEND
	;; [unrolled: 3-line block ×6, first 2 shown]
	v_cvt_f32_u32_sdwa v19, v80 dst_sel:DWORD dst_unused:UNUSED_PAD src0_sel:WORD_1
	v_cvt_f32_u32_sdwa v18, v80 dst_sel:DWORD dst_unused:UNUSED_PAD src0_sel:WORD_0
	;;#ASMSTART
	v_pk_mul_f32 v[14:15], v[14:15], v[2:3]
	;;#ASMEND
	;;#ASMSTART
	v_pk_mul_f32 v[2:3], v[92:93], v[2:3]
	;;#ASMEND
	;; [unrolled: 3-line block ×4, first 2 shown]
	v_cvt_f32_u32_sdwa v5, v82 dst_sel:DWORD dst_unused:UNUSED_PAD src0_sel:WORD_1
	v_cvt_f32_u32_sdwa v4, v82 dst_sel:DWORD dst_unused:UNUSED_PAD src0_sel:WORD_0
	v_cvt_f32_u32_sdwa v7, v83 dst_sel:DWORD dst_unused:UNUSED_PAD src0_sel:WORD_1
	v_cvt_f32_u32_sdwa v6, v83 dst_sel:DWORD dst_unused:UNUSED_PAD src0_sel:WORD_0
	;; [unrolled: 2-line block ×3, first 2 shown]
	;;#ASMSTART
	v_pk_mul_f32 v[50:51], v[8:9], v[4:5]
	;;#ASMEND
	;;#ASMSTART
	v_pk_mul_f32 v[40:41], v[10:11], v[6:7]
	;;#ASMEND
	;; [unrolled: 3-line block ×6, first 2 shown]
	s_or_b64 exec, exec, s[30:31]
	s_mov_b64 s[8:9], -1
	s_and_b64 vcc, exec, s[18:19]
	s_cbranch_vccz .LBB864_15
.LBB864_19:
	s_and_saveexec_b64 s[8:9], s[0:1]
	s_cbranch_execz .LBB864_21
; %bb.20:
	s_mul_hi_i32 s19, s16, s6
	s_mul_i32 s18, s16, s6
	s_lshl_b64 s[18:19], s[18:19], 1
	s_add_u32 s36, s34, s18
	s_addc_u32 s7, s35, s19
	s_and_b32 s37, s7, 0xffff
	s_mov_b32 s7, 0x7060302
	s_mov_b32 s39, 0x20000
	v_perm_b32 v5, v41, v40, s7
	v_perm_b32 v4, v51, v50, s7
	;; [unrolled: 1-line block ×4, first 2 shown]
	v_lshlrev_b32_e32 v6, 5, v0
	buffer_store_dwordx4 v[2:5], v6, s[36:39], 0 offen
	;;#ASMSTART
	s_nop 0
	;;#ASMEND
	s_nop 0
	v_perm_b32 v5, v93, v92, s7
	v_perm_b32 v4, v15, v14, s7
	;; [unrolled: 1-line block ×4, first 2 shown]
	buffer_store_dwordx4 v[2:5], v6, s[36:39], 16 offen
	;;#ASMSTART
	s_nop 0
	;;#ASMEND
.LBB864_21:
	s_or_b64 exec, exec, s[8:9]
	s_cbranch_execnz .LBB864_16
.LBB864_22:
	v_mov_b32_e32 v2, 0
	s_and_saveexec_b64 s[8:9], s[0:1]
	s_cbranch_execz .LBB864_24
; %bb.23:
	s_load_dwordx2 s[18:19], s[4:5], 0x10
	s_mul_hi_i32 s31, s15, s6
	s_mul_i32 s30, s15, s6
	s_lshl_b64 s[30:31], s[30:31], 1
	s_mov_b32 s39, 0x20000
	s_waitcnt lgkmcnt(0)
	s_add_u32 s36, s18, s30
	s_addc_u32 s7, s19, s31
	s_and_b32 s37, s7, 0xffff
	s_mov_b32 s7, 0x7060302
	v_perm_b32 v5, v41, v40, s7
	v_perm_b32 v4, v51, v50, s7
	;; [unrolled: 1-line block ×4, first 2 shown]
	v_lshlrev_b32_e32 v6, 5, v0
	buffer_store_dwordx4 v[2:5], v6, s[36:39], 0 offen
	;;#ASMSTART
	s_nop 0
	;;#ASMEND
	s_nop 0
	v_perm_b32 v5, v93, v92, s7
	v_perm_b32 v4, v15, v14, s7
	;; [unrolled: 1-line block ×4, first 2 shown]
	buffer_store_dwordx4 v[2:5], v6, s[36:39], 16 offen
	;;#ASMSTART
	s_nop 0
	;;#ASMEND
	s_nop 0
	v_mov_b32_e32 v2, 0x2edbe6ff
.LBB864_24:
	s_or_b64 exec, exec, s[8:9]
	s_and_saveexec_b64 s[8:9], s[0:1]
	s_cbranch_execz .LBB864_26
; %bb.25:
	v_and_b32_e32 v3, 0x7fffffff, v32
	v_and_b32_e32 v4, 0x7fffffff, v33
	;;#ASMSTART
	v_max3_f32 v2, v2, v3, v4

	;;#ASMEND
	v_and_b32_e32 v5, 0x7fffffff, v18
	v_and_b32_e32 v6, 0x7fffffff, v19
	;;#ASMSTART
	v_max3_f32 v2, v2, v5, v6

	;;#ASMEND
	;; [unrolled: 6-line block ×8, first 2 shown]
.LBB864_26:
	s_or_b64 exec, exec, s[8:9]
	;;#ASMSTART
	v_max_f32 v3, v2, v2 quad_perm:[1,0,3,2] row_mask:0xf bank_mask:0xf bound_ctrl:1
	;;#ASMEND
	v_and_b32_e32 v2, 1, v0
	v_cmp_eq_u32_e32 vcc, 0, v2
	v_cmp_gt_i32_e64 s[8:9], s23, v1
	s_and_b64 s[18:19], vcc, s[8:9]
	s_and_saveexec_b64 s[8:9], s[18:19]
	s_cbranch_execz .LBB864_28
; %bb.27:
	s_load_dwordx2 s[18:19], s[4:5], 0x8
	v_mul_f32_e32 v2, 0x3e2aaaab, v3
	v_lshrrev_b32_e32 v3, 23, v2
	v_and_b32_e32 v4, 0x7f800000, v2
	v_and_b32_e32 v2, 0x7fffff, v2
	v_cmp_ne_u32_e32 vcc, 0, v2
	s_mul_hi_i32 s15, s13, s6
	s_mul_i32 s13, s13, s6
	s_mov_b32 s7, 0x7f800000
	v_addc_co_u32_e32 v2, vcc, 0, v3, vcc
	s_waitcnt lgkmcnt(0)
	s_add_u32 s18, s18, s13
	v_cmp_ne_u32_e32 vcc, s7, v4
	s_addc_u32 s19, s19, s15
	v_lshrrev_b32_e32 v5, 1, v0
	v_cndmask_b32_e32 v4, -1, v2, vcc
	v_pk_mov_b32 v[2:3], s[18:19], s[18:19] op_sel:[0,1]
	v_mad_i64_i32 v[2:3], s[14:15], s14, v5, v[2:3]
	global_store_byte v[2:3], v4, off
.LBB864_28:
	s_or_b64 exec, exec, s[8:9]
	s_and_saveexec_b64 s[8:9], s[0:1]
	s_cbranch_execz .LBB864_30
; %bb.29:
	s_load_dwordx2 s[0:1], s[4:5], 0x0
	s_mul_hi_i32 s7, s12, s6
	s_mul_i32 s12, s12, s6
	v_mov_b32_e32 v2, 0
	v_lshlrev_b32_e32 v4, 3, v0
	s_waitcnt lgkmcnt(0)
	s_add_u32 s12, s0, s12
	s_addc_u32 s0, s1, s7
	s_lshr_b32 s1, s23, 31
	s_add_i32 s1, s23, s1
	s_ashr_i32 s1, s1, 1
	s_add_i32 s1, s1, 3
	s_ashr_i32 s7, s1, 31
	s_lshr_b32 s7, s7, 30
	s_add_i32 s1, s1, s7
	s_and_b32 s14, s1, -4
	s_and_b32 s13, s0, 0xffff
	s_mov_b32 s15, 0x20000
	v_mov_b32_e32 v3, v2
	buffer_store_dwordx2 v[2:3], v4, s[12:15], 0 offen
	;;#ASMSTART
	s_nop 0
	;;#ASMEND
.LBB864_30:
	s_or_b64 exec, exec, s[8:9]
	s_cmp_lt_i32 s24, 1
	s_cbranch_scc1 .LBB864_17
.LBB864_31:
	s_load_dword s0, s[4:5], 0x94
	s_waitcnt lgkmcnt(0)
	s_cmp_lg_u32 s0, 1
	s_cbranch_scc1 .LBB864_17
; %bb.32:
	s_lshl_b32 s0, s24, 1
	s_add_i32 s0, s0, 2
	v_cmp_gt_u32_e32 vcc, s24, v1
	s_and_b32 s30, s0, -4
	v_mov_b32_e32 v18, 0
	v_lshlrev_b32_e32 v1, 5, v0
	v_mov_b32_e32 v14, 0
	v_mov_b32_e32 v15, 0
	;; [unrolled: 1-line block ×16, first 2 shown]
	s_barrier
	s_and_saveexec_b64 s[0:1], vcc
	s_cbranch_execz .LBB864_34
; %bb.33:
	s_mul_hi_i32 s5, s26, s6
	s_mul_i32 s4, s26, s6
	s_and_b32 s29, s29, 0xffff
	s_lshl_b64 s[4:5], s[4:5], 1
	s_add_u32 s8, s10, s4
	s_mov_b32 s31, 0x20000
	s_addc_u32 s4, s11, s5
	s_and_b32 s9, s4, 0xffff
	s_mov_b32 s10, s30
	s_mov_b32 s11, s31
	buffer_load_dwordx4 v[14:17], v1, s[8:11], 0 offen
	buffer_load_dwordx4 v[10:13], v1, s[8:11], 16 offen
	;; [unrolled: 1-line block ×4, first 2 shown]
.LBB864_34:
	s_or_b64 exec, exec, s[0:1]
	v_mov_b32_e32 v19, 0
	v_mov_b32_e32 v32, 0
	;; [unrolled: 1-line block ×15, first 2 shown]
	s_and_saveexec_b64 s[0:1], vcc
	s_cbranch_execz .LBB864_36
; %bb.35:
	s_waitcnt vmcnt(3)
	v_cvt_f32_u32_sdwa v18, v14 dst_sel:DWORD dst_unused:UNUSED_PAD src0_sel:WORD_0
	v_cvt_f32_u32_sdwa v19, v14 dst_sel:DWORD dst_unused:UNUSED_PAD src0_sel:WORD_1
	v_cvt_f32_u32_sdwa v32, v15 dst_sel:DWORD dst_unused:UNUSED_PAD src0_sel:WORD_0
	v_cvt_f32_u32_sdwa v33, v15 dst_sel:DWORD dst_unused:UNUSED_PAD src0_sel:WORD_1
	;; [unrolled: 2-line block ×4, first 2 shown]
	s_waitcnt vmcnt(2)
	v_cvt_f32_u32_sdwa v26, v10 dst_sel:DWORD dst_unused:UNUSED_PAD src0_sel:WORD_0
	v_cvt_f32_u32_sdwa v27, v10 dst_sel:DWORD dst_unused:UNUSED_PAD src0_sel:WORD_1
	v_cvt_f32_u32_sdwa v24, v11 dst_sel:DWORD dst_unused:UNUSED_PAD src0_sel:WORD_0
	v_cvt_f32_u32_sdwa v25, v11 dst_sel:DWORD dst_unused:UNUSED_PAD src0_sel:WORD_1
	;; [unrolled: 2-line block ×4, first 2 shown]
.LBB864_36:
	s_or_b64 exec, exec, s[0:1]
	s_waitcnt vmcnt(2)
	v_mul_f32_e32 v10, v19, v19
	v_fmac_f32_e32 v10, v18, v18
	v_fmac_f32_e32 v10, v32, v32
	;; [unrolled: 1-line block ×15, first 2 shown]
	s_nop 1
	v_mov_b32_dpp v11, v10 quad_perm:[1,0,3,2] row_mask:0xf bank_mask:0xf
	v_add_f32_e32 v10, v10, v11
	s_nop 1
	v_mov_b32_dpp v11, v10 quad_perm:[2,3,0,1] row_mask:0xf bank_mask:0xf
	v_add_f32_e32 v10, v10, v11
	s_nop 1
	v_mov_b32_dpp v11, v10 row_half_mirror row_mask:0xf bank_mask:0xf
	v_add_f32_e32 v10, v10, v11
	s_nop 1
	v_mov_b32_dpp v11, v10 row_mirror row_mask:0xf bank_mask:0xf
	v_add_f32_e32 v10, v10, v11
	s_nop 1
	v_mov_b32_dpp v11, v10 row_bcast:15 row_mask:0xf bank_mask:0xf
	v_add_f32_e32 v10, v10, v11
	s_nop 1
	v_mov_b32_dpp v11, v10 row_bcast:31 row_mask:0xf bank_mask:0xf
	s_and_saveexec_b64 s[0:1], s[2:3]
	s_cbranch_execz .LBB864_38
; %bb.37:
	v_lshrrev_b32_e32 v0, 4, v0
	v_add_f32_e32 v10, v10, v11
	v_and_b32_e32 v0, 60, v0
	ds_write_b32 v0, v10
.LBB864_38:
	s_or_b64 exec, exec, s[0:1]
	s_waitcnt lgkmcnt(0)
	s_barrier
	ds_read_b32 v0, v34
	s_waitcnt lgkmcnt(0)
	s_nop 0
	v_mov_b32_dpp v10, v0 quad_perm:[1,0,3,2] row_mask:0xf bank_mask:0xf
	v_add_f32_e32 v0, v0, v10
	s_nop 1
	v_mov_b32_dpp v10, v0 quad_perm:[2,3,0,1] row_mask:0xf bank_mask:0xf
	s_and_saveexec_b64 s[0:1], vcc
	s_cbranch_execz .LBB864_17
; %bb.39:
	v_cvt_f32_u32_e32 v11, s24
	v_add_f32_e32 v0, v0, v10
	s_mov_b32 s31, 0x20000
	v_div_scale_f32 v10, s[0:1], v11, v11, v0
	v_rcp_f32_e32 v12, v10
	v_div_scale_f32 v13, vcc, v0, v11, v0
	s_mov_b32 s0, 0x800000
	v_fma_f32 v14, -v10, v12, 1.0
	v_fmac_f32_e32 v12, v14, v12
	v_mul_f32_e32 v14, v13, v12
	v_fma_f32 v15, -v10, v14, v13
	v_fmac_f32_e32 v14, v15, v12
	v_fma_f32 v10, -v10, v14, v13
	v_div_fmas_f32 v10, v10, v12, v14
	v_div_fixup_f32 v0, v10, v11, v0
	v_add_f32_e32 v0, s21, v0
	v_mul_f32_e32 v10, 0x4b800000, v0
	v_cmp_gt_f32_e32 vcc, s0, v0
	v_cndmask_b32_e32 v0, v0, v10, vcc
	v_rsq_f32_e32 v0, v0
	s_mul_hi_i32 s1, s16, s6
	s_mul_i32 s0, s16, s6
	s_lshl_b64 s[0:1], s[0:1], 1
	v_mul_f32_e32 v10, 0x45800000, v0
	v_cndmask_b32_e32 v10, v0, v10, vcc
	v_mov_b32_e32 v11, v10
	s_add_u32 s28, s34, s0
	;;#ASMSTART
	v_pk_mul_f32 v[12:13], v[18:19], v[10:11]
	;;#ASMEND
	;;#ASMSTART
	v_pk_mul_f32 v[14:15], v[32:33], v[10:11]
	;;#ASMEND
	;; [unrolled: 3-line block ×8, first 2 shown]
	s_waitcnt vmcnt(1)
	v_cvt_f32_u32_sdwa v21, v6 dst_sel:DWORD dst_unused:UNUSED_PAD src0_sel:WORD_1
	v_cvt_f32_u32_sdwa v20, v6 dst_sel:DWORD dst_unused:UNUSED_PAD src0_sel:WORD_0
	v_cvt_f32_u32_sdwa v29, v7 dst_sel:DWORD dst_unused:UNUSED_PAD src0_sel:WORD_1
	v_cvt_f32_u32_sdwa v28, v7 dst_sel:DWORD dst_unused:UNUSED_PAD src0_sel:WORD_0
	;; [unrolled: 2-line block ×3, first 2 shown]
	s_addc_u32 s0, s35, s1
	v_cvt_f32_u32_sdwa v31, v9 dst_sel:DWORD dst_unused:UNUSED_PAD src0_sel:WORD_1
	v_cvt_f32_u32_sdwa v30, v9 dst_sel:DWORD dst_unused:UNUSED_PAD src0_sel:WORD_0
	;;#ASMSTART
	v_pk_mul_f32 v[8:9], v[12:13], v[20:21]
	;;#ASMEND
	;;#ASMSTART
	v_pk_mul_f32 v[12:13], v[14:15], v[28:29]
	;;#ASMEND
	;; [unrolled: 3-line block ×4, first 2 shown]
	s_waitcnt vmcnt(0)
	v_cvt_f32_u32_sdwa v17, v2 dst_sel:DWORD dst_unused:UNUSED_PAD src0_sel:WORD_1
	v_cvt_f32_u32_sdwa v16, v2 dst_sel:DWORD dst_unused:UNUSED_PAD src0_sel:WORD_0
	v_cvt_f32_u32_sdwa v19, v3 dst_sel:DWORD dst_unused:UNUSED_PAD src0_sel:WORD_1
	v_cvt_f32_u32_sdwa v18, v3 dst_sel:DWORD dst_unused:UNUSED_PAD src0_sel:WORD_0
	;; [unrolled: 2-line block ×3, first 2 shown]
	s_and_b32 s29, s0, 0xffff
	s_mov_b32 s0, 0x7060302
	v_cvt_f32_u32_sdwa v21, v5 dst_sel:DWORD dst_unused:UNUSED_PAD src0_sel:WORD_1
	v_cvt_f32_u32_sdwa v20, v5 dst_sel:DWORD dst_unused:UNUSED_PAD src0_sel:WORD_0
	;;#ASMSTART
	v_pk_mul_f32 v[16:17], v[26:27], v[16:17]
	;;#ASMEND
	;;#ASMSTART
	v_pk_mul_f32 v[18:19], v[24:25], v[18:19]
	;;#ASMEND
	;; [unrolled: 3-line block ×3, first 2 shown]
	v_perm_b32 v2, v9, v8, s0
	v_perm_b32 v3, v13, v12, s0
	;; [unrolled: 1-line block ×4, first 2 shown]
	;;#ASMSTART
	v_pk_mul_f32 v[10:11], v[10:11], v[20:21]
	;;#ASMEND
	buffer_store_dwordx4 v[2:5], v1, s[28:31], 0 offen
	;;#ASMSTART
	s_nop 0
	;;#ASMEND
	s_nop 0
	v_perm_b32 v2, v17, v16, s0
	v_perm_b32 v3, v19, v18, s0
	;; [unrolled: 1-line block ×4, first 2 shown]
	buffer_store_dwordx4 v[2:5], v1, s[28:31], 16 offen
	;;#ASMSTART
	s_nop 0
	;;#ASMEND
	s_endpgm
	.section	.rodata,"a",@progbits
	.p2align	6, 0x0
	.amdhsa_kernel _ZN5aiter35fused_qk_rmsnorm_group_quant_kernelItN4opus5fp4_tELi256ELi16ELi2ELb1ELb1ELb0ELb0ELb0ELb0EEEvPT0_PvPT_S7_S7_PKS6_S9_S9_S9_S9_ffiiiiiiiiiiiii
		.amdhsa_group_segment_fixed_size 32
		.amdhsa_private_segment_fixed_size 0
		.amdhsa_kernarg_size 400
		.amdhsa_user_sgpr_count 6
		.amdhsa_user_sgpr_private_segment_buffer 1
		.amdhsa_user_sgpr_dispatch_ptr 0
		.amdhsa_user_sgpr_queue_ptr 0
		.amdhsa_user_sgpr_kernarg_segment_ptr 1
		.amdhsa_user_sgpr_dispatch_id 0
		.amdhsa_user_sgpr_flat_scratch_init 0
		.amdhsa_user_sgpr_kernarg_preload_length 0
		.amdhsa_user_sgpr_kernarg_preload_offset 0
		.amdhsa_user_sgpr_private_segment_size 0
		.amdhsa_uses_dynamic_stack 0
		.amdhsa_system_sgpr_private_segment_wavefront_offset 0
		.amdhsa_system_sgpr_workgroup_id_x 1
		.amdhsa_system_sgpr_workgroup_id_y 1
		.amdhsa_system_sgpr_workgroup_id_z 0
		.amdhsa_system_sgpr_workgroup_info 0
		.amdhsa_system_vgpr_workitem_id 0
		.amdhsa_next_free_vgpr 94
		.amdhsa_next_free_sgpr 44
		.amdhsa_accum_offset 96
		.amdhsa_reserve_vcc 1
		.amdhsa_reserve_flat_scratch 0
		.amdhsa_float_round_mode_32 0
		.amdhsa_float_round_mode_16_64 0
		.amdhsa_float_denorm_mode_32 3
		.amdhsa_float_denorm_mode_16_64 3
		.amdhsa_dx10_clamp 1
		.amdhsa_ieee_mode 1
		.amdhsa_fp16_overflow 0
		.amdhsa_tg_split 0
		.amdhsa_exception_fp_ieee_invalid_op 0
		.amdhsa_exception_fp_denorm_src 0
		.amdhsa_exception_fp_ieee_div_zero 0
		.amdhsa_exception_fp_ieee_overflow 0
		.amdhsa_exception_fp_ieee_underflow 0
		.amdhsa_exception_fp_ieee_inexact 0
		.amdhsa_exception_int_div_zero 0
	.end_amdhsa_kernel
	.section	.text._ZN5aiter35fused_qk_rmsnorm_group_quant_kernelItN4opus5fp4_tELi256ELi16ELi2ELb1ELb1ELb0ELb0ELb0ELb0EEEvPT0_PvPT_S7_S7_PKS6_S9_S9_S9_S9_ffiiiiiiiiiiiii,"axG",@progbits,_ZN5aiter35fused_qk_rmsnorm_group_quant_kernelItN4opus5fp4_tELi256ELi16ELi2ELb1ELb1ELb0ELb0ELb0ELb0EEEvPT0_PvPT_S7_S7_PKS6_S9_S9_S9_S9_ffiiiiiiiiiiiii,comdat
.Lfunc_end864:
	.size	_ZN5aiter35fused_qk_rmsnorm_group_quant_kernelItN4opus5fp4_tELi256ELi16ELi2ELb1ELb1ELb0ELb0ELb0ELb0EEEvPT0_PvPT_S7_S7_PKS6_S9_S9_S9_S9_ffiiiiiiiiiiiii, .Lfunc_end864-_ZN5aiter35fused_qk_rmsnorm_group_quant_kernelItN4opus5fp4_tELi256ELi16ELi2ELb1ELb1ELb0ELb0ELb0ELb0EEEvPT0_PvPT_S7_S7_PKS6_S9_S9_S9_S9_ffiiiiiiiiiiiii
                                        ; -- End function
	.section	.AMDGPU.csdata,"",@progbits
; Kernel info:
; codeLenInByte = 3932
; NumSgprs: 48
; NumVgprs: 94
; NumAgprs: 0
; TotalNumVgprs: 94
; ScratchSize: 0
; MemoryBound: 0
; FloatMode: 240
; IeeeMode: 1
; LDSByteSize: 32 bytes/workgroup (compile time only)
; SGPRBlocks: 5
; VGPRBlocks: 11
; NumSGPRsForWavesPerEU: 48
; NumVGPRsForWavesPerEU: 94
; AccumOffset: 96
; Occupancy: 5
; WaveLimiterHint : 0
; COMPUTE_PGM_RSRC2:SCRATCH_EN: 0
; COMPUTE_PGM_RSRC2:USER_SGPR: 6
; COMPUTE_PGM_RSRC2:TRAP_HANDLER: 0
; COMPUTE_PGM_RSRC2:TGID_X_EN: 1
; COMPUTE_PGM_RSRC2:TGID_Y_EN: 1
; COMPUTE_PGM_RSRC2:TGID_Z_EN: 0
; COMPUTE_PGM_RSRC2:TIDIG_COMP_CNT: 0
; COMPUTE_PGM_RSRC3_GFX90A:ACCUM_OFFSET: 23
; COMPUTE_PGM_RSRC3_GFX90A:TG_SPLIT: 0
	.section	.text._ZN5aiter35fused_qk_rmsnorm_group_quant_kernelIDF16_DB8_Li256ELi16ELi2ELb1ELb0ELb1ELb0ELb0ELb0EEEvPT0_PvPT_S6_S6_PKS5_S8_S8_S8_S8_ffiiiiiiiiiiiii,"axG",@progbits,_ZN5aiter35fused_qk_rmsnorm_group_quant_kernelIDF16_DB8_Li256ELi16ELi2ELb1ELb0ELb1ELb0ELb0ELb0EEEvPT0_PvPT_S6_S6_PKS5_S8_S8_S8_S8_ffiiiiiiiiiiiii,comdat
	.protected	_ZN5aiter35fused_qk_rmsnorm_group_quant_kernelIDF16_DB8_Li256ELi16ELi2ELb1ELb0ELb1ELb0ELb0ELb0EEEvPT0_PvPT_S6_S6_PKS5_S8_S8_S8_S8_ffiiiiiiiiiiiii ; -- Begin function _ZN5aiter35fused_qk_rmsnorm_group_quant_kernelIDF16_DB8_Li256ELi16ELi2ELb1ELb0ELb1ELb0ELb0ELb0EEEvPT0_PvPT_S6_S6_PKS5_S8_S8_S8_S8_ffiiiiiiiiiiiii
	.globl	_ZN5aiter35fused_qk_rmsnorm_group_quant_kernelIDF16_DB8_Li256ELi16ELi2ELb1ELb0ELb1ELb0ELb0ELb0EEEvPT0_PvPT_S6_S6_PKS5_S8_S8_S8_S8_ffiiiiiiiiiiiii
	.p2align	8
	.type	_ZN5aiter35fused_qk_rmsnorm_group_quant_kernelIDF16_DB8_Li256ELi16ELi2ELb1ELb0ELb1ELb0ELb0ELb0EEEvPT0_PvPT_S6_S6_PKS5_S8_S8_S8_S8_ffiiiiiiiiiiiii,@function
_ZN5aiter35fused_qk_rmsnorm_group_quant_kernelIDF16_DB8_Li256ELi16ELi2ELb1ELb0ELb1ELb0ELb0ELb0EEEvPT0_PvPT_S6_S6_PKS5_S8_S8_S8_S8_ffiiiiiiiiiiiii: ; @_ZN5aiter35fused_qk_rmsnorm_group_quant_kernelIDF16_DB8_Li256ELi16ELi2ELb1ELb0ELb1ELb0ELb0ELb0EEEvPT0_PvPT_S6_S6_PKS5_S8_S8_S8_S8_ffiiiiiiiiiiiii
; %bb.0:
	s_load_dwordx8 s[12:19], s[4:5], 0x50
	s_waitcnt lgkmcnt(0)
	s_cmp_ge_i32 s6, s14
	s_cbranch_scc1 .LBB865_17
; %bb.1:
	s_cmp_lg_u32 s7, 0
	s_cselect_b64 s[10:11], -1, 0
	s_cmp_eq_u32 s7, 0
	s_cselect_b64 s[8:9], -1, 0
	s_and_b64 s[0:1], s[8:9], exec
	s_load_dwordx2 s[20:21], s[4:5], 0x48
	s_load_dwordx2 s[36:37], s[4:5], 0x30
	s_load_dwordx4 s[24:27], s[4:5], 0x70
	s_cselect_b32 s7, s15, s16
	s_add_i32 s0, s7, 1
	s_lshr_b32 s1, s0, 31
	s_add_i32 s0, s0, s1
	s_lshl_b32 s0, s0, 1
	v_lshlrev_b32_e32 v1, 4, v0
	s_and_b32 s30, s0, -4
	v_cmp_gt_i32_e64 s[0:1], s7, v1
	v_mov_b32_e32 v76, 0
	v_mov_b32_e32 v77, 0
	;; [unrolled: 1-line block ×16, first 2 shown]
	s_and_saveexec_b64 s[2:3], s[0:1]
	s_cbranch_execz .LBB865_3
; %bb.2:
	s_load_dwordx2 s[22:23], s[4:5], 0x28
	s_load_dwordx2 s[28:29], s[4:5], 0x40
	s_and_b64 s[34:35], s[8:9], exec
	s_cselect_b32 s14, s17, s18
	s_mov_b32 s31, 0x20000
	s_waitcnt lgkmcnt(0)
	s_cselect_b32 s17, s23, s37
	s_cselect_b32 s27, s22, s36
	s_mul_hi_i32 s23, s14, s6
	s_mul_i32 s22, s14, s6
	s_lshl_b64 s[22:23], s[22:23], 1
	s_add_u32 s40, s27, s22
	s_addc_u32 s14, s17, s23
	s_and_b64 s[22:23], s[8:9], exec
	s_cselect_b32 s28, s28, s20
	s_cselect_b32 s17, s29, s21
	s_and_b32 s41, s14, 0xffff
	s_mov_b32 s42, s30
	s_mov_b32 s43, s31
	v_lshlrev_b32_e32 v2, 5, v0
	s_and_b32 s29, s17, 0xffff
	buffer_load_dwordx4 v[80:83], v2, s[40:43], 0 offen
	buffer_load_dwordx4 v[84:87], v2, s[40:43], 16 offen
	;; [unrolled: 1-line block ×4, first 2 shown]
.LBB865_3:
	s_or_b64 exec, exec, s[2:3]
	s_load_dwordx2 s[34:35], s[4:5], 0x80
	s_and_b64 vcc, exec, s[10:11]
	s_cbranch_vccz .LBB865_7
; %bb.4:
	v_mov_b32_e32 v89, 0
	v_mov_b32_e32 v88, 0
	;; [unrolled: 1-line block ×16, first 2 shown]
	s_and_saveexec_b64 s[2:3], s[0:1]
	s_cbranch_execz .LBB865_6
; %bb.5:
	s_waitcnt vmcnt(3)
	v_cvt_f32_f16_sdwa v49, v80 dst_sel:DWORD dst_unused:UNUSED_PAD src0_sel:WORD_1
	v_cvt_f32_f16_e32 v48, v80
	v_cvt_f32_f16_sdwa v35, v81 dst_sel:DWORD dst_unused:UNUSED_PAD src0_sel:WORD_1
	v_cvt_f32_f16_e32 v34, v81
	;; [unrolled: 2-line block ×4, first 2 shown]
	s_waitcnt vmcnt(2)
	v_cvt_f32_f16_sdwa v65, v84 dst_sel:DWORD dst_unused:UNUSED_PAD src0_sel:WORD_1
	v_cvt_f32_f16_e32 v64, v84
	v_cvt_f32_f16_sdwa v19, v85 dst_sel:DWORD dst_unused:UNUSED_PAD src0_sel:WORD_1
	v_cvt_f32_f16_e32 v18, v85
	;; [unrolled: 2-line block ×4, first 2 shown]
.LBB865_6:
	s_or_b64 exec, exec, s[2:3]
	s_cbranch_execz .LBB865_8
	s_branch .LBB865_11
.LBB865_7:
                                        ; implicit-def: $vgpr32_vgpr33_vgpr34_vgpr35_vgpr36_vgpr37_vgpr38_vgpr39_vgpr40_vgpr41_vgpr42_vgpr43_vgpr44_vgpr45_vgpr46_vgpr47
                                        ; implicit-def: $vgpr48_vgpr49_vgpr50_vgpr51_vgpr52_vgpr53_vgpr54_vgpr55_vgpr56_vgpr57_vgpr58_vgpr59_vgpr60_vgpr61_vgpr62_vgpr63
                                        ; implicit-def: $vgpr18_vgpr19_vgpr20_vgpr21_vgpr22_vgpr23_vgpr24_vgpr25_vgpr26_vgpr27_vgpr28_vgpr29_vgpr30_vgpr31_vgpr32_vgpr33
                                        ; implicit-def: $vgpr50_vgpr51_vgpr52_vgpr53_vgpr54_vgpr55_vgpr56_vgpr57_vgpr58_vgpr59_vgpr60_vgpr61_vgpr62_vgpr63_vgpr64_vgpr65
                                        ; implicit-def: $vgpr89
                                        ; implicit-def: $vgpr8_vgpr9_vgpr10_vgpr11_vgpr12_vgpr13_vgpr14_vgpr15_vgpr16_vgpr17_vgpr18_vgpr19_vgpr20_vgpr21_vgpr22_vgpr23
                                        ; implicit-def: $vgpr56_vgpr57_vgpr58_vgpr59_vgpr60_vgpr61_vgpr62_vgpr63_vgpr64_vgpr65_vgpr66_vgpr67_vgpr68_vgpr69_vgpr70_vgpr71
                                        ; implicit-def: $vgpr2_vgpr3_vgpr4_vgpr5_vgpr6_vgpr7_vgpr8_vgpr9_vgpr10_vgpr11_vgpr12_vgpr13_vgpr14_vgpr15_vgpr16_vgpr17
.LBB865_8:
	v_mov_b32_e32 v89, 0
	v_mov_b32_e32 v88, 0
	;; [unrolled: 1-line block ×16, first 2 shown]
	s_and_saveexec_b64 s[2:3], s[0:1]
	s_cbranch_execz .LBB865_10
; %bb.9:
	s_load_dwordx2 s[22:23], s[4:5], 0x38
	s_mul_hi_i32 s29, s19, s6
	s_mul_i32 s28, s19, s6
	s_lshl_b64 s[28:29], s[28:29], 1
	s_mov_b32 s31, 0x20000
	s_waitcnt lgkmcnt(0)
	s_add_u32 s28, s22, s28
	s_addc_u32 s14, s23, s29
	s_and_b32 s29, s14, 0xffff
	v_lshlrev_b32_e32 v38, 5, v0
	buffer_load_dwordx4 v[6:9], v38, s[28:31], 16 offen
	buffer_load_dwordx4 v[10:13], v38, s[28:31], 0 offen
	s_waitcnt vmcnt(5)
	v_cvt_f32_f16_sdwa v23, v82 dst_sel:DWORD dst_unused:UNUSED_PAD src0_sel:WORD_1
	v_cvt_f32_f16_e32 v22, v82
	v_cvt_f32_f16_sdwa v25, v83 dst_sel:DWORD dst_unused:UNUSED_PAD src0_sel:WORD_1
	v_cvt_f32_f16_e32 v24, v83
	;; [unrolled: 2-line block ×4, first 2 shown]
	s_load_dwordx2 s[22:23], s[4:5], 0x20
	s_waitcnt vmcnt(4)
	v_cvt_f32_f16_sdwa v3, v84 dst_sel:DWORD dst_unused:UNUSED_PAD src0_sel:WORD_1
	v_cvt_f32_f16_e32 v2, v84
	v_cvt_f32_f16_sdwa v5, v85 dst_sel:DWORD dst_unused:UNUSED_PAD src0_sel:WORD_1
	v_cvt_f32_f16_e32 v4, v85
	v_cvt_f32_f16_sdwa v15, v86 dst_sel:DWORD dst_unused:UNUSED_PAD src0_sel:WORD_1
	v_cvt_f32_f16_e32 v14, v86
	v_cvt_f32_f16_sdwa v17, v87 dst_sel:DWORD dst_unused:UNUSED_PAD src0_sel:WORD_1
	v_cvt_f32_f16_e32 v16, v87
	s_mul_hi_i32 s29, s35, s6
	s_mul_i32 s28, s35, s6
	s_lshl_b64 s[28:29], s[28:29], 1
	s_waitcnt lgkmcnt(0)
	s_add_u32 s28, s22, s28
	s_addc_u32 s14, s23, s29
	s_and_b32 s29, s14, 0xffff
	s_waitcnt vmcnt(1)
	v_cvt_f32_f16_e32 v26, v6
	v_cvt_f32_f16_sdwa v27, v6 dst_sel:DWORD dst_unused:UNUSED_PAD src0_sel:WORD_1
	v_cvt_f32_f16_e32 v28, v7
	v_cvt_f32_f16_sdwa v29, v7 dst_sel:DWORD dst_unused:UNUSED_PAD src0_sel:WORD_1
	;; [unrolled: 2-line block ×4, first 2 shown]
	s_waitcnt vmcnt(0)
	v_cvt_f32_f16_e32 v6, v12
	v_cvt_f32_f16_sdwa v7, v12 dst_sel:DWORD dst_unused:UNUSED_PAD src0_sel:WORD_1
	v_cvt_f32_f16_e32 v8, v13
	v_cvt_f32_f16_sdwa v9, v13 dst_sel:DWORD dst_unused:UNUSED_PAD src0_sel:WORD_1
	;; [unrolled: 2-line block ×4, first 2 shown]
	v_pk_add_f32 v[54:55], v[22:23], v[6:7]
	v_pk_add_f32 v[24:25], v[24:25], v[8:9]
	v_cvt_f16_f32_e32 v6, v55
	v_cvt_f16_f32_e32 v7, v25
	;; [unrolled: 1-line block ×4, first 2 shown]
	v_pk_add_f32 v[34:35], v[20:21], v[10:11]
	v_pk_add_f32 v[48:49], v[18:19], v[36:37]
	v_pack_b32_f16 v9, v8, v7
	v_pack_b32_f16 v8, v12, v6
	v_cvt_f16_f32_e32 v6, v35
	v_cvt_f16_f32_e32 v7, v34
	v_cvt_f16_f32_e32 v10, v48
	v_pk_add_f32 v[88:89], v[16:17], v[32:33]
	v_pk_add_f32 v[14:15], v[14:15], v[30:31]
	v_pack_b32_f16 v7, v7, v6
	v_cvt_f16_f32_e32 v6, v49
	v_pk_add_f32 v[18:19], v[4:5], v[28:29]
	v_pk_add_f32 v[64:65], v[2:3], v[26:27]
	v_cvt_f16_f32_e32 v4, v18
	v_pack_b32_f16 v6, v10, v6
	buffer_store_dwordx4 v[6:9], v38, s[28:31], 0 offen
	v_cvt_f16_f32_e32 v5, v19
	v_cvt_f16_f32_e32 v6, v14
	;; [unrolled: 1-line block ×7, first 2 shown]
	v_pack_b32_f16 v7, v7, v8
	v_pack_b32_f16 v6, v6, v9
	;; [unrolled: 1-line block ×4, first 2 shown]
	;;#ASMSTART
	s_nop 0
	;;#ASMEND
	buffer_store_dwordx4 v[4:7], v38, s[28:31], 16 offen
	;;#ASMSTART
	s_nop 0
	;;#ASMEND
.LBB865_10:
	s_or_b64 exec, exec, s[2:3]
.LBB865_11:
	v_mul_f32_e32 v2, v49, v49
	v_fmac_f32_e32 v2, v48, v48
	v_fmac_f32_e32 v2, v34, v34
	;; [unrolled: 1-line block ×15, first 2 shown]
	s_nop 1
	v_mov_b32_dpp v3, v2 quad_perm:[1,0,3,2] row_mask:0xf bank_mask:0xf
	v_add_f32_e32 v2, v2, v3
	s_nop 1
	v_mov_b32_dpp v3, v2 quad_perm:[2,3,0,1] row_mask:0xf bank_mask:0xf
	v_add_f32_e32 v2, v2, v3
	s_nop 1
	v_mov_b32_dpp v3, v2 row_half_mirror row_mask:0xf bank_mask:0xf
	v_add_f32_e32 v2, v2, v3
	s_nop 1
	v_mov_b32_dpp v3, v2 row_mirror row_mask:0xf bank_mask:0xf
	v_add_f32_e32 v2, v2, v3
	s_nop 1
	v_mov_b32_dpp v3, v2 row_bcast:15 row_mask:0xf bank_mask:0xf
	v_add_f32_e32 v2, v2, v3
	v_and_b32_e32 v3, 63, v0
	v_cmp_eq_u32_e64 s[2:3], 63, v3
	s_nop 0
	v_mov_b32_dpp v3, v2 row_bcast:31 row_mask:0xf bank_mask:0xf
	s_and_saveexec_b64 s[22:23], s[2:3]
	s_cbranch_execz .LBB865_13
; %bb.12:
	v_add_f32_e32 v2, v2, v3
	v_lshrrev_b32_e32 v3, 4, v0
	v_and_b32_e32 v3, 60, v3
	ds_write_b32 v3, v2 offset:16
.LBB865_13:
	s_or_b64 exec, exec, s[22:23]
	v_and_b32_e32 v2, 3, v0
	v_lshlrev_b32_e32 v36, 2, v2
	s_waitcnt lgkmcnt(0)
	s_barrier
	ds_read_b32 v2, v36 offset:16
	s_load_dwordx2 s[38:39], s[4:5], 0x18
	s_waitcnt lgkmcnt(0)
	v_mov_b32_dpp v3, v2 quad_perm:[1,0,3,2] row_mask:0xf bank_mask:0xf
	v_add_f32_e32 v2, v2, v3
	s_nop 1
	v_mov_b32_dpp v3, v2 quad_perm:[2,3,0,1] row_mask:0xf bank_mask:0xf
	s_and_saveexec_b64 s[22:23], s[0:1]
	s_cbranch_execnz .LBB865_18
; %bb.14:
	s_or_b64 exec, exec, s[22:23]
	s_mov_b64 s[8:9], -1
	s_and_b64 vcc, exec, s[10:11]
	s_cbranch_vccnz .LBB865_19
.LBB865_15:
	s_andn2_b64 vcc, exec, s[8:9]
	s_cbranch_vccz .LBB865_22
.LBB865_16:
	s_cmp_lt_i32 s16, 1
	s_cbranch_scc0 .LBB865_29
.LBB865_17:
	s_endpgm
.LBB865_18:
	v_add_f32_e32 v2, v2, v3
	v_cvt_f32_u32_e32 v3, s7
	s_mov_b32 s7, 0x800000
	s_waitcnt vmcnt(1)
	v_cvt_f32_f16_sdwa v17, v76 dst_sel:DWORD dst_unused:UNUSED_PAD src0_sel:WORD_1
	v_cvt_f32_f16_e32 v16, v76
	v_div_scale_f32 v4, s[28:29], v3, v3, v2
	v_rcp_f32_e32 v5, v4
	v_pk_add_f32 v[16:17], v[16:17], 1.0 op_sel_hi:[1,0]
	v_cvt_f32_f16_sdwa v21, v79 dst_sel:DWORD dst_unused:UNUSED_PAD src0_sel:WORD_1
	v_cvt_f32_f16_e32 v20, v79
	v_fma_f32 v6, -v4, v5, 1.0
	v_fmac_f32_e32 v5, v6, v5
	v_div_scale_f32 v6, vcc, v2, v3, v2
	v_mul_f32_e32 v7, v6, v5
	v_fma_f32 v8, -v4, v7, v6
	v_fmac_f32_e32 v7, v8, v5
	v_fma_f32 v4, -v4, v7, v6
	v_div_fmas_f32 v4, v4, v5, v7
	v_div_fixup_f32 v2, v4, v3, v2
	v_mov_b32_e32 v3, s13
	v_mov_b32_e32 v4, s12
	v_cndmask_b32_e64 v3, v3, v4, s[8:9]
	v_add_f32_e32 v2, v3, v2
	v_mul_f32_e32 v3, 0x4b800000, v2
	v_cmp_gt_f32_e32 vcc, s7, v2
	v_cndmask_b32_e32 v2, v2, v3, vcc
	v_rsq_f32_e32 v2, v2
	s_waitcnt vmcnt(0)
	v_cvt_f32_f16_sdwa v23, v74 dst_sel:DWORD dst_unused:UNUSED_PAD src0_sel:WORD_1
	v_cvt_f32_f16_e32 v22, v74
	v_mul_f32_e32 v3, 0x45800000, v2
	v_cndmask_b32_e32 v2, v2, v3, vcc
	v_mov_b32_e32 v3, v2
	;;#ASMSTART
	v_pk_mul_f32 v[4:5], v[48:49], v[2:3]
	;;#ASMEND
	;;#ASMSTART
	v_pk_mul_f32 v[6:7], v[34:35], v[2:3]
	;;#ASMEND
	;; [unrolled: 3-line block ×9, first 2 shown]
	v_cvt_f32_f16_sdwa v5, v77 dst_sel:DWORD dst_unused:UNUSED_PAD src0_sel:WORD_1
	v_cvt_f32_f16_e32 v4, v77
	v_cvt_f32_f16_sdwa v17, v78 dst_sel:DWORD dst_unused:UNUSED_PAD src0_sel:WORD_1
	v_cvt_f32_f16_e32 v16, v78
	v_cvt_f32_f16_sdwa v25, v75 dst_sel:DWORD dst_unused:UNUSED_PAD src0_sel:WORD_1
	v_pk_add_f32 v[4:5], v[4:5], 1.0 op_sel_hi:[1,0]
	;;#ASMSTART
	v_pk_mul_f32 v[34:35], v[6:7], v[4:5]
	;;#ASMEND
	v_pk_add_f32 v[4:5], v[16:17], 1.0 op_sel_hi:[1,0]
	v_pk_add_f32 v[6:7], v[20:21], 1.0 op_sel_hi:[1,0]
	v_cvt_f32_f16_sdwa v17, v72 dst_sel:DWORD dst_unused:UNUSED_PAD src0_sel:WORD_1
	v_cvt_f32_f16_e32 v16, v72
	v_cvt_f32_f16_sdwa v21, v73 dst_sel:DWORD dst_unused:UNUSED_PAD src0_sel:WORD_1
	v_cvt_f32_f16_e32 v20, v73
	v_cvt_f32_f16_e32 v24, v75
	v_pk_add_f32 v[16:17], v[16:17], 1.0 op_sel_hi:[1,0]
	v_pk_add_f32 v[22:23], v[22:23], 1.0 op_sel_hi:[1,0]
	;; [unrolled: 1-line block ×4, first 2 shown]
	;;#ASMSTART
	v_pk_mul_f32 v[54:55], v[8:9], v[4:5]
	;;#ASMEND
	;;#ASMSTART
	v_pk_mul_f32 v[24:25], v[10:11], v[6:7]
	;;#ASMEND
	;; [unrolled: 3-line block ×6, first 2 shown]
	s_or_b64 exec, exec, s[22:23]
	s_mov_b64 s[8:9], -1
	s_and_b64 vcc, exec, s[10:11]
	s_cbranch_vccz .LBB865_15
.LBB865_19:
	s_and_saveexec_b64 s[8:9], s[0:1]
	s_cbranch_execz .LBB865_21
; %bb.20:
	v_cvt_f16_f32_e32 v2, v54
	v_cvt_f16_f32_e32 v3, v24
	;; [unrolled: 1-line block ×4, first 2 shown]
	s_mul_hi_i32 s11, s34, s6
	s_mul_i32 s10, s34, s6
	v_pack_b32_f16 v5, v3, v4
	v_pack_b32_f16 v4, v2, v6
	v_cvt_f16_f32_e32 v2, v34
	v_cvt_f16_f32_e32 v3, v35
	;; [unrolled: 1-line block ×3, first 2 shown]
	s_lshl_b64 s[10:11], s[10:11], 1
	s_add_u32 s28, s38, s10
	v_pack_b32_f16 v3, v2, v3
	v_cvt_f16_f32_e32 v2, v48
	s_addc_u32 s7, s39, s11
	s_and_b32 s29, s7, 0xffff
	s_mov_b32 s31, 0x20000
	v_pack_b32_f16 v2, v2, v6
	v_lshlrev_b32_e32 v6, 5, v0
	buffer_store_dwordx4 v[2:5], v6, s[28:31], 0 offen
	v_cvt_f16_f32_e32 v7, v15
	v_cvt_f16_f32_e32 v2, v14
	;; [unrolled: 1-line block ×4, first 2 shown]
	;;#ASMSTART
	s_nop 0
	;;#ASMEND
	v_pack_b32_f16 v5, v3, v4
	v_pack_b32_f16 v4, v2, v7
	v_cvt_f16_f32_e32 v2, v18
	v_cvt_f16_f32_e32 v3, v19
	v_cvt_f16_f32_e32 v7, v65
	v_pack_b32_f16 v3, v2, v3
	v_cvt_f16_f32_e32 v2, v64
	v_pack_b32_f16 v2, v2, v7
	buffer_store_dwordx4 v[2:5], v6, s[28:31], 16 offen
	;;#ASMSTART
	s_nop 0
	;;#ASMEND
.LBB865_21:
	s_or_b64 exec, exec, s[8:9]
	s_cbranch_execnz .LBB865_16
.LBB865_22:
	v_mov_b32_e32 v2, 0
	s_and_saveexec_b64 s[8:9], s[0:1]
	s_cbranch_execz .LBB865_24
; %bb.23:
	v_and_b32_e32 v2, 0x7fffffff, v48
	v_and_b32_e32 v3, 0x7fffffff, v49
	v_mov_b32_e32 v4, 0x2edbe6ff
	;;#ASMSTART
	v_max3_f32 v2, v4, v2, v3

	;;#ASMEND
	v_and_b32_e32 v3, 0x7fffffff, v34
	v_and_b32_e32 v4, 0x7fffffff, v35
	;;#ASMSTART
	v_max3_f32 v2, v2, v3, v4

	;;#ASMEND
	v_and_b32_e32 v3, 0x7fffffff, v54
	v_and_b32_e32 v4, 0x7fffffff, v55
	;; [unrolled: 6-line block ×7, first 2 shown]
	;;#ASMSTART
	v_max3_f32 v2, v2, v3, v4

	;;#ASMEND
.LBB865_24:
	s_or_b64 exec, exec, s[8:9]
	;;#ASMSTART
	v_max_f32 v3, v2, v2 quad_perm:[1,0,3,2] row_mask:0xf bank_mask:0xf bound_ctrl:1
	;;#ASMEND
	v_mul_f32_e32 v2, 0x3b124925, v3
	v_and_b32_e32 v3, 1, v0
	v_cmp_eq_u32_e32 vcc, 0, v3
	v_cmp_gt_i32_e64 s[8:9], s15, v1
	s_and_b64 s[10:11], vcc, s[8:9]
	s_and_saveexec_b64 s[8:9], s[10:11]
	s_cbranch_execz .LBB865_26
; %bb.25:
	s_load_dwordx2 s[10:11], s[4:5], 0x8
	s_mul_hi_i32 s23, s25, s6
	s_mul_i32 s22, s25, s6
	v_lshrrev_b32_e32 v3, 1, v0
	s_lshl_b64 s[22:23], s[22:23], 2
	v_mad_i64_i32 v[4:5], s[26:27], s26, v3, 0
	s_waitcnt lgkmcnt(0)
	s_add_u32 s7, s10, s22
	s_addc_u32 s10, s11, s23
	v_lshlrev_b64 v[4:5], 2, v[4:5]
	v_mov_b32_e32 v3, s10
	v_add_co_u32_e32 v4, vcc, s7, v4
	v_addc_co_u32_e32 v5, vcc, v3, v5, vcc
	global_store_dword v[4:5], v2, off
.LBB865_26:
	s_or_b64 exec, exec, s[8:9]
	;;#ASMSTART
	v_rcp_f32 v2, v2
	;;#ASMEND
	s_and_saveexec_b64 s[22:23], s[0:1]
	s_cbranch_execz .LBB865_28
; %bb.27:
	v_mov_b32_e32 v3, v2
	;;#ASMSTART
	v_pk_mul_f32 v[4:5], v[48:49], v[2:3]
	;;#ASMEND
	v_mov_b32_e32 v10, 0xc3e00000
	v_mov_b32_e32 v11, 0x43e00000
	;;#ASMSTART
	v_med3_f32 v4, v4, v10, v11
v_med3_f32 v5, v5, v10, v11
v_cvt_pk_fp8_f32 v6, v4, v5
	;;#ASMEND
	;;#ASMSTART
	v_pk_mul_f32 v[4:5], v[34:35], v[2:3]
	;;#ASMEND
	;;#ASMSTART
	v_med3_f32 v4, v4, v10, v11
v_med3_f32 v5, v5, v10, v11
v_cvt_pk_fp8_f32 v7, v4, v5
	;;#ASMEND
	;;#ASMSTART
	v_pk_mul_f32 v[4:5], v[54:55], v[2:3]
	;;#ASMEND
	;; [unrolled: 8-line block ×3, first 2 shown]
	;;#ASMSTART
	v_med3_f32 v4, v4, v10, v11
v_med3_f32 v5, v5, v10, v11
v_cvt_pk_fp8_f32 v9, v4, v5
	;;#ASMEND
	s_mov_b32 s0, 0x5040100
	v_perm_b32 v4, v7, v6, s0
	s_mov_b32 s0, 0x1060504
	v_perm_b32 v4, v4, v7, s0
	s_load_dwordx2 s[0:1], s[4:5], 0x0
	s_mov_b32 s7, 0x1000504
	;;#ASMSTART
	v_pk_mul_f32 v[6:7], v[64:65], v[2:3]
	;;#ASMEND
	v_perm_b32 v5, v8, v9, s7
	s_mul_i32 s8, s24, s6
	;;#ASMSTART
	v_med3_f32 v6, v6, v10, v11
v_med3_f32 v7, v7, v10, v11
v_cvt_pk_fp8_f32 v8, v6, v7
	;;#ASMEND
	s_mul_hi_i32 s9, s24, s6
	s_waitcnt lgkmcnt(0)
	s_add_u32 s8, s0, s8
	;;#ASMSTART
	v_pk_mul_f32 v[6:7], v[18:19], v[2:3]
	;;#ASMEND
	s_addc_u32 s0, s1, s9
	s_add_i32 s1, s15, 3
	;;#ASMSTART
	v_med3_f32 v6, v6, v10, v11
v_med3_f32 v7, v7, v10, v11
v_cvt_pk_fp8_f32 v9, v6, v7
	;;#ASMEND
	s_ashr_i32 s9, s1, 31
	v_perm_b32 v6, v8, v9, s7
	;;#ASMSTART
	v_pk_mul_f32 v[8:9], v[14:15], v[2:3]
	;;#ASMEND
	v_mov_b32_e32 v7, v9
	s_lshr_b32 s9, s9, 30
	;;#ASMSTART
	v_med3_f32 v8, v8, v10, v11
v_med3_f32 v7, v7, v10, v11
v_cvt_pk_fp8_f32 v9, v8, v7
	;;#ASMEND
	;;#ASMSTART
	v_pk_mul_f32 v[2:3], v[88:89], v[2:3]
	;;#ASMEND
	s_add_i32 s1, s1, s9
	;;#ASMSTART
	v_med3_f32 v2, v2, v10, v11
v_med3_f32 v3, v3, v10, v11
v_cvt_pk_fp8_f32 v7, v2, v3
	;;#ASMEND
	s_and_b32 s10, s1, -4
	s_and_b32 s9, s0, 0xffff
	s_mov_b32 s11, 0x20000
	v_perm_b32 v7, v9, v7, s7
	buffer_store_dwordx4 v[4:7], v1, s[8:11], 0 offen
	;;#ASMSTART
	s_nop 0
	;;#ASMEND
.LBB865_28:
	s_or_b64 exec, exec, s[22:23]
	s_cmp_lt_i32 s16, 1
	s_cbranch_scc1 .LBB865_17
.LBB865_29:
	s_load_dword s0, s[4:5], 0x94
	s_waitcnt lgkmcnt(0)
	s_cmp_lg_u32 s0, 1
	s_cbranch_scc1 .LBB865_17
; %bb.30:
	s_lshl_b32 s0, s16, 1
	s_add_i32 s0, s0, 2
	v_cmp_gt_u32_e32 vcc, s16, v1
	s_and_b32 s22, s0, -4
	v_mov_b32_e32 v18, 0
	v_lshlrev_b32_e32 v1, 5, v0
	v_mov_b32_e32 v14, 0
	v_mov_b32_e32 v15, 0
	;; [unrolled: 1-line block ×16, first 2 shown]
	s_barrier
	s_and_saveexec_b64 s[0:1], vcc
	s_cbranch_execz .LBB865_32
; %bb.31:
	s_mul_hi_i32 s5, s18, s6
	s_mul_i32 s4, s18, s6
	s_and_b32 s21, s21, 0xffff
	s_lshl_b64 s[4:5], s[4:5], 1
	s_add_u32 s8, s36, s4
	s_mov_b32 s23, 0x20000
	s_addc_u32 s4, s37, s5
	s_and_b32 s9, s4, 0xffff
	s_mov_b32 s10, s22
	s_mov_b32 s11, s23
	buffer_load_dwordx4 v[14:17], v1, s[8:11], 0 offen
	buffer_load_dwordx4 v[10:13], v1, s[8:11], 16 offen
	;; [unrolled: 1-line block ×4, first 2 shown]
.LBB865_32:
	s_or_b64 exec, exec, s[0:1]
	v_mov_b32_e32 v19, 0
	v_mov_b32_e32 v32, 0
	;; [unrolled: 1-line block ×15, first 2 shown]
	s_and_saveexec_b64 s[0:1], vcc
	s_cbranch_execz .LBB865_34
; %bb.33:
	s_waitcnt vmcnt(3)
	v_cvt_f32_f16_sdwa v19, v14 dst_sel:DWORD dst_unused:UNUSED_PAD src0_sel:WORD_1
	v_cvt_f32_f16_e32 v18, v14
	v_cvt_f32_f16_sdwa v33, v15 dst_sel:DWORD dst_unused:UNUSED_PAD src0_sel:WORD_1
	v_cvt_f32_f16_e32 v32, v15
	;; [unrolled: 2-line block ×4, first 2 shown]
	s_waitcnt vmcnt(2)
	v_cvt_f32_f16_sdwa v27, v10 dst_sel:DWORD dst_unused:UNUSED_PAD src0_sel:WORD_1
	v_cvt_f32_f16_e32 v26, v10
	v_cvt_f32_f16_sdwa v25, v11 dst_sel:DWORD dst_unused:UNUSED_PAD src0_sel:WORD_1
	v_cvt_f32_f16_e32 v24, v11
	;; [unrolled: 2-line block ×4, first 2 shown]
.LBB865_34:
	s_or_b64 exec, exec, s[0:1]
	s_waitcnt vmcnt(2)
	v_mul_f32_e32 v10, v19, v19
	v_fmac_f32_e32 v10, v18, v18
	v_fmac_f32_e32 v10, v32, v32
	;; [unrolled: 1-line block ×15, first 2 shown]
	s_nop 1
	v_mov_b32_dpp v11, v10 quad_perm:[1,0,3,2] row_mask:0xf bank_mask:0xf
	v_add_f32_e32 v10, v10, v11
	s_nop 1
	v_mov_b32_dpp v11, v10 quad_perm:[2,3,0,1] row_mask:0xf bank_mask:0xf
	v_add_f32_e32 v10, v10, v11
	s_nop 1
	v_mov_b32_dpp v11, v10 row_half_mirror row_mask:0xf bank_mask:0xf
	v_add_f32_e32 v10, v10, v11
	s_nop 1
	v_mov_b32_dpp v11, v10 row_mirror row_mask:0xf bank_mask:0xf
	v_add_f32_e32 v10, v10, v11
	s_nop 1
	v_mov_b32_dpp v11, v10 row_bcast:15 row_mask:0xf bank_mask:0xf
	v_add_f32_e32 v10, v10, v11
	s_nop 1
	v_mov_b32_dpp v11, v10 row_bcast:31 row_mask:0xf bank_mask:0xf
	s_and_saveexec_b64 s[0:1], s[2:3]
	s_cbranch_execz .LBB865_36
; %bb.35:
	v_lshrrev_b32_e32 v0, 4, v0
	v_add_f32_e32 v10, v10, v11
	v_and_b32_e32 v0, 60, v0
	ds_write_b32 v0, v10
.LBB865_36:
	s_or_b64 exec, exec, s[0:1]
	s_waitcnt lgkmcnt(0)
	s_barrier
	ds_read_b32 v0, v36
	s_waitcnt lgkmcnt(0)
	s_nop 0
	v_mov_b32_dpp v10, v0 quad_perm:[1,0,3,2] row_mask:0xf bank_mask:0xf
	v_add_f32_e32 v0, v0, v10
	s_nop 1
	v_mov_b32_dpp v10, v0 quad_perm:[2,3,0,1] row_mask:0xf bank_mask:0xf
	s_and_saveexec_b64 s[0:1], vcc
	s_cbranch_execz .LBB865_17
; %bb.37:
	v_cvt_f32_u32_e32 v11, s16
	v_add_f32_e32 v0, v0, v10
	s_mov_b32 s23, 0x20000
	v_div_scale_f32 v10, s[0:1], v11, v11, v0
	v_rcp_f32_e32 v12, v10
	v_div_scale_f32 v13, vcc, v0, v11, v0
	s_mov_b32 s0, 0x800000
	v_fma_f32 v14, -v10, v12, 1.0
	v_fmac_f32_e32 v12, v14, v12
	v_mul_f32_e32 v14, v13, v12
	v_fma_f32 v15, -v10, v14, v13
	v_fmac_f32_e32 v14, v15, v12
	v_fma_f32 v10, -v10, v14, v13
	v_div_fmas_f32 v10, v10, v12, v14
	v_div_fixup_f32 v0, v10, v11, v0
	v_add_f32_e32 v0, s13, v0
	v_mul_f32_e32 v10, 0x4b800000, v0
	v_cmp_gt_f32_e32 vcc, s0, v0
	v_cndmask_b32_e32 v0, v0, v10, vcc
	v_rsq_f32_e32 v0, v0
	s_mul_hi_i32 s1, s34, s6
	s_mul_i32 s0, s34, s6
	s_lshl_b64 s[0:1], s[0:1], 1
	v_mul_f32_e32 v10, 0x45800000, v0
	v_cndmask_b32_e32 v10, v0, v10, vcc
	v_mov_b32_e32 v11, v10
	;;#ASMSTART
	v_pk_mul_f32 v[12:13], v[18:19], v[10:11]
	;;#ASMEND
	;;#ASMSTART
	v_pk_mul_f32 v[14:15], v[32:33], v[10:11]
	;;#ASMEND
	;; [unrolled: 3-line block ×4, first 2 shown]
	s_waitcnt vmcnt(1)
	v_cvt_f32_f16_sdwa v29, v6 dst_sel:DWORD dst_unused:UNUSED_PAD src0_sel:WORD_1
	v_cvt_f32_f16_e32 v28, v6
	v_cvt_f32_f16_sdwa v31, v7 dst_sel:DWORD dst_unused:UNUSED_PAD src0_sel:WORD_1
	v_cvt_f32_f16_e32 v30, v7
	;;#ASMSTART
	v_pk_mul_f32 v[26:27], v[26:27], v[10:11]
	;;#ASMEND
	;;#ASMSTART
	v_pk_mul_f32 v[24:25], v[24:25], v[10:11]
	;;#ASMEND
	;; [unrolled: 3-line block ×4, first 2 shown]
	v_cvt_f32_f16_sdwa v21, v8 dst_sel:DWORD dst_unused:UNUSED_PAD src0_sel:WORD_1
	v_cvt_f32_f16_e32 v20, v8
	v_pk_add_f32 v[10:11], v[28:29], 1.0 op_sel_hi:[1,0]
	;;#ASMSTART
	v_pk_mul_f32 v[10:11], v[12:13], v[10:11]
	;;#ASMEND
	v_pk_add_f32 v[12:13], v[30:31], 1.0 op_sel_hi:[1,0]
	v_cvt_f32_f16_sdwa v29, v9 dst_sel:DWORD dst_unused:UNUSED_PAD src0_sel:WORD_1
	v_cvt_f32_f16_e32 v28, v9
	;;#ASMSTART
	v_pk_mul_f32 v[8:9], v[14:15], v[12:13]
	;;#ASMEND
	v_pk_add_f32 v[12:13], v[20:21], 1.0 op_sel_hi:[1,0]
	;;#ASMSTART
	v_pk_mul_f32 v[12:13], v[16:17], v[12:13]
	;;#ASMEND
	s_waitcnt vmcnt(0)
	v_cvt_f32_f16_sdwa v17, v2 dst_sel:DWORD dst_unused:UNUSED_PAD src0_sel:WORD_1
	v_cvt_f32_f16_e32 v16, v2
	v_cvt_f32_f16_sdwa v21, v3 dst_sel:DWORD dst_unused:UNUSED_PAD src0_sel:WORD_1
	v_cvt_f32_f16_e32 v20, v3
	v_pk_add_f32 v[14:15], v[28:29], 1.0 op_sel_hi:[1,0]
	;;#ASMSTART
	v_pk_mul_f32 v[2:3], v[18:19], v[14:15]
	;;#ASMEND
	v_cvt_f32_f16_sdwa v19, v4 dst_sel:DWORD dst_unused:UNUSED_PAD src0_sel:WORD_1
	v_cvt_f32_f16_e32 v18, v4
	v_pk_add_f32 v[14:15], v[16:17], 1.0 op_sel_hi:[1,0]
	v_pk_add_f32 v[16:17], v[20:21], 1.0 op_sel_hi:[1,0]
	v_cvt_f32_f16_sdwa v21, v5 dst_sel:DWORD dst_unused:UNUSED_PAD src0_sel:WORD_1
	v_cvt_f32_f16_e32 v20, v5
	v_pk_add_f32 v[4:5], v[18:19], 1.0 op_sel_hi:[1,0]
	;;#ASMSTART
	v_pk_mul_f32 v[14:15], v[26:27], v[14:15]
	;;#ASMEND
	;;#ASMSTART
	v_pk_mul_f32 v[16:17], v[24:25], v[16:17]
	;;#ASMEND
	;; [unrolled: 3-line block ×3, first 2 shown]
	v_pk_add_f32 v[4:5], v[20:21], 1.0 op_sel_hi:[1,0]
	;;#ASMSTART
	v_pk_mul_f32 v[6:7], v[6:7], v[4:5]
	;;#ASMEND
	v_cvt_f16_f32_e32 v0, v10
	v_cvt_f16_f32_e32 v4, v11
	;; [unrolled: 1-line block ×8, first 2 shown]
	s_add_u32 s20, s38, s0
	s_addc_u32 s0, s39, s1
	s_and_b32 s21, s0, 0xffff
	v_pack_b32_f16 v2, v0, v4
	v_pack_b32_f16 v3, v5, v8
	;; [unrolled: 1-line block ×4, first 2 shown]
	buffer_store_dwordx4 v[2:5], v1, s[20:23], 0 offen
	v_cvt_f16_f32_e32 v0, v14
	v_cvt_f16_f32_e32 v2, v15
	;; [unrolled: 1-line block ×8, first 2 shown]
	v_pack_b32_f16 v2, v0, v2
	v_pack_b32_f16 v3, v3, v4
	v_pack_b32_f16 v4, v5, v8
	v_pack_b32_f16 v5, v6, v7
	;;#ASMSTART
	s_nop 0
	;;#ASMEND
	buffer_store_dwordx4 v[2:5], v1, s[20:23], 16 offen
	;;#ASMSTART
	s_nop 0
	;;#ASMEND
	s_endpgm
	.section	.rodata,"a",@progbits
	.p2align	6, 0x0
	.amdhsa_kernel _ZN5aiter35fused_qk_rmsnorm_group_quant_kernelIDF16_DB8_Li256ELi16ELi2ELb1ELb0ELb1ELb0ELb0ELb0EEEvPT0_PvPT_S6_S6_PKS5_S8_S8_S8_S8_ffiiiiiiiiiiiii
		.amdhsa_group_segment_fixed_size 32
		.amdhsa_private_segment_fixed_size 0
		.amdhsa_kernarg_size 400
		.amdhsa_user_sgpr_count 6
		.amdhsa_user_sgpr_private_segment_buffer 1
		.amdhsa_user_sgpr_dispatch_ptr 0
		.amdhsa_user_sgpr_queue_ptr 0
		.amdhsa_user_sgpr_kernarg_segment_ptr 1
		.amdhsa_user_sgpr_dispatch_id 0
		.amdhsa_user_sgpr_flat_scratch_init 0
		.amdhsa_user_sgpr_kernarg_preload_length 0
		.amdhsa_user_sgpr_kernarg_preload_offset 0
		.amdhsa_user_sgpr_private_segment_size 0
		.amdhsa_uses_dynamic_stack 0
		.amdhsa_system_sgpr_private_segment_wavefront_offset 0
		.amdhsa_system_sgpr_workgroup_id_x 1
		.amdhsa_system_sgpr_workgroup_id_y 1
		.amdhsa_system_sgpr_workgroup_id_z 0
		.amdhsa_system_sgpr_workgroup_info 0
		.amdhsa_system_vgpr_workitem_id 0
		.amdhsa_next_free_vgpr 90
		.amdhsa_next_free_sgpr 44
		.amdhsa_accum_offset 92
		.amdhsa_reserve_vcc 1
		.amdhsa_reserve_flat_scratch 0
		.amdhsa_float_round_mode_32 0
		.amdhsa_float_round_mode_16_64 0
		.amdhsa_float_denorm_mode_32 3
		.amdhsa_float_denorm_mode_16_64 3
		.amdhsa_dx10_clamp 1
		.amdhsa_ieee_mode 1
		.amdhsa_fp16_overflow 0
		.amdhsa_tg_split 0
		.amdhsa_exception_fp_ieee_invalid_op 0
		.amdhsa_exception_fp_denorm_src 0
		.amdhsa_exception_fp_ieee_div_zero 0
		.amdhsa_exception_fp_ieee_overflow 0
		.amdhsa_exception_fp_ieee_underflow 0
		.amdhsa_exception_fp_ieee_inexact 0
		.amdhsa_exception_int_div_zero 0
	.end_amdhsa_kernel
	.section	.text._ZN5aiter35fused_qk_rmsnorm_group_quant_kernelIDF16_DB8_Li256ELi16ELi2ELb1ELb0ELb1ELb0ELb0ELb0EEEvPT0_PvPT_S6_S6_PKS5_S8_S8_S8_S8_ffiiiiiiiiiiiii,"axG",@progbits,_ZN5aiter35fused_qk_rmsnorm_group_quant_kernelIDF16_DB8_Li256ELi16ELi2ELb1ELb0ELb1ELb0ELb0ELb0EEEvPT0_PvPT_S6_S6_PKS5_S8_S8_S8_S8_ffiiiiiiiiiiiii,comdat
.Lfunc_end865:
	.size	_ZN5aiter35fused_qk_rmsnorm_group_quant_kernelIDF16_DB8_Li256ELi16ELi2ELb1ELb0ELb1ELb0ELb0ELb0EEEvPT0_PvPT_S6_S6_PKS5_S8_S8_S8_S8_ffiiiiiiiiiiiii, .Lfunc_end865-_ZN5aiter35fused_qk_rmsnorm_group_quant_kernelIDF16_DB8_Li256ELi16ELi2ELb1ELb0ELb1ELb0ELb0ELb0EEEvPT0_PvPT_S6_S6_PKS5_S8_S8_S8_S8_ffiiiiiiiiiiiii
                                        ; -- End function
	.section	.AMDGPU.csdata,"",@progbits
; Kernel info:
; codeLenInByte = 4152
; NumSgprs: 48
; NumVgprs: 90
; NumAgprs: 0
; TotalNumVgprs: 90
; ScratchSize: 0
; MemoryBound: 0
; FloatMode: 240
; IeeeMode: 1
; LDSByteSize: 32 bytes/workgroup (compile time only)
; SGPRBlocks: 5
; VGPRBlocks: 11
; NumSGPRsForWavesPerEU: 48
; NumVGPRsForWavesPerEU: 90
; AccumOffset: 92
; Occupancy: 5
; WaveLimiterHint : 0
; COMPUTE_PGM_RSRC2:SCRATCH_EN: 0
; COMPUTE_PGM_RSRC2:USER_SGPR: 6
; COMPUTE_PGM_RSRC2:TRAP_HANDLER: 0
; COMPUTE_PGM_RSRC2:TGID_X_EN: 1
; COMPUTE_PGM_RSRC2:TGID_Y_EN: 1
; COMPUTE_PGM_RSRC2:TGID_Z_EN: 0
; COMPUTE_PGM_RSRC2:TIDIG_COMP_CNT: 0
; COMPUTE_PGM_RSRC3_GFX90A:ACCUM_OFFSET: 22
; COMPUTE_PGM_RSRC3_GFX90A:TG_SPLIT: 0
	.section	.text._ZN5aiter35fused_qk_rmsnorm_group_quant_kernelItDB8_Li256ELi16ELi2ELb1ELb0ELb1ELb0ELb0ELb0EEEvPT0_PvPT_S6_S6_PKS5_S8_S8_S8_S8_ffiiiiiiiiiiiii,"axG",@progbits,_ZN5aiter35fused_qk_rmsnorm_group_quant_kernelItDB8_Li256ELi16ELi2ELb1ELb0ELb1ELb0ELb0ELb0EEEvPT0_PvPT_S6_S6_PKS5_S8_S8_S8_S8_ffiiiiiiiiiiiii,comdat
	.protected	_ZN5aiter35fused_qk_rmsnorm_group_quant_kernelItDB8_Li256ELi16ELi2ELb1ELb0ELb1ELb0ELb0ELb0EEEvPT0_PvPT_S6_S6_PKS5_S8_S8_S8_S8_ffiiiiiiiiiiiii ; -- Begin function _ZN5aiter35fused_qk_rmsnorm_group_quant_kernelItDB8_Li256ELi16ELi2ELb1ELb0ELb1ELb0ELb0ELb0EEEvPT0_PvPT_S6_S6_PKS5_S8_S8_S8_S8_ffiiiiiiiiiiiii
	.globl	_ZN5aiter35fused_qk_rmsnorm_group_quant_kernelItDB8_Li256ELi16ELi2ELb1ELb0ELb1ELb0ELb0ELb0EEEvPT0_PvPT_S6_S6_PKS5_S8_S8_S8_S8_ffiiiiiiiiiiiii
	.p2align	8
	.type	_ZN5aiter35fused_qk_rmsnorm_group_quant_kernelItDB8_Li256ELi16ELi2ELb1ELb0ELb1ELb0ELb0ELb0EEEvPT0_PvPT_S6_S6_PKS5_S8_S8_S8_S8_ffiiiiiiiiiiiii,@function
_ZN5aiter35fused_qk_rmsnorm_group_quant_kernelItDB8_Li256ELi16ELi2ELb1ELb0ELb1ELb0ELb0ELb0EEEvPT0_PvPT_S6_S6_PKS5_S8_S8_S8_S8_ffiiiiiiiiiiiii: ; @_ZN5aiter35fused_qk_rmsnorm_group_quant_kernelItDB8_Li256ELi16ELi2ELb1ELb0ELb1ELb0ELb0ELb0EEEvPT0_PvPT_S6_S6_PKS5_S8_S8_S8_S8_ffiiiiiiiiiiiii
; %bb.0:
	s_load_dwordx8 s[12:19], s[4:5], 0x50
	s_waitcnt lgkmcnt(0)
	s_cmp_ge_i32 s6, s14
	s_cbranch_scc1 .LBB866_17
; %bb.1:
	s_cmp_lg_u32 s7, 0
	s_cselect_b64 s[10:11], -1, 0
	s_cmp_eq_u32 s7, 0
	s_cselect_b64 s[8:9], -1, 0
	s_and_b64 s[0:1], s[8:9], exec
	s_load_dwordx2 s[20:21], s[4:5], 0x48
	s_load_dwordx2 s[36:37], s[4:5], 0x30
	s_load_dwordx4 s[24:27], s[4:5], 0x70
	s_cselect_b32 s7, s15, s16
	s_add_i32 s0, s7, 1
	s_lshr_b32 s1, s0, 31
	s_add_i32 s0, s0, s1
	s_lshl_b32 s0, s0, 1
	v_lshlrev_b32_e32 v1, 4, v0
	s_and_b32 s30, s0, -4
	v_cmp_gt_i32_e64 s[0:1], s7, v1
	v_mov_b32_e32 v74, 0
	v_mov_b32_e32 v75, 0
	v_mov_b32_e32 v76, 0
	v_mov_b32_e32 v77, 0
	v_mov_b32_e32 v70, 0
	v_mov_b32_e32 v71, 0
	v_mov_b32_e32 v72, 0
	v_mov_b32_e32 v73, 0
	v_mov_b32_e32 v78, 0
	v_mov_b32_e32 v79, 0
	v_mov_b32_e32 v80, 0
	v_mov_b32_e32 v81, 0
	v_mov_b32_e32 v82, 0
	v_mov_b32_e32 v83, 0
	v_mov_b32_e32 v84, 0
	v_mov_b32_e32 v85, 0
	s_and_saveexec_b64 s[2:3], s[0:1]
	s_cbranch_execz .LBB866_3
; %bb.2:
	s_load_dwordx2 s[22:23], s[4:5], 0x28
	s_load_dwordx2 s[28:29], s[4:5], 0x40
	s_and_b64 s[34:35], s[8:9], exec
	s_cselect_b32 s14, s17, s18
	s_mov_b32 s31, 0x20000
	s_waitcnt lgkmcnt(0)
	s_cselect_b32 s17, s23, s37
	s_cselect_b32 s27, s22, s36
	s_mul_hi_i32 s23, s14, s6
	s_mul_i32 s22, s14, s6
	s_lshl_b64 s[22:23], s[22:23], 1
	s_add_u32 s40, s27, s22
	s_addc_u32 s14, s17, s23
	s_and_b64 s[22:23], s[8:9], exec
	s_cselect_b32 s28, s28, s20
	s_cselect_b32 s17, s29, s21
	s_and_b32 s41, s14, 0xffff
	s_mov_b32 s42, s30
	s_mov_b32 s43, s31
	v_lshlrev_b32_e32 v2, 5, v0
	s_and_b32 s29, s17, 0xffff
	buffer_load_dwordx4 v[78:81], v2, s[40:43], 0 offen
	buffer_load_dwordx4 v[82:85], v2, s[40:43], 16 offen
	;; [unrolled: 1-line block ×4, first 2 shown]
.LBB866_3:
	s_or_b64 exec, exec, s[2:3]
	s_load_dwordx2 s[34:35], s[4:5], 0x80
	s_and_b64 vcc, exec, s[10:11]
	s_cbranch_vccz .LBB866_7
; %bb.4:
	v_mov_b32_e32 v87, 0
	v_mov_b32_e32 v86, 0
	;; [unrolled: 1-line block ×16, first 2 shown]
	s_and_saveexec_b64 s[2:3], s[0:1]
	s_cbranch_execz .LBB866_6
; %bb.5:
	s_waitcnt vmcnt(3)
	v_cvt_f32_u32_sdwa v52, v78 dst_sel:DWORD dst_unused:UNUSED_PAD src0_sel:WORD_0
	v_cvt_f32_u32_sdwa v53, v78 dst_sel:DWORD dst_unused:UNUSED_PAD src0_sel:WORD_1
	v_cvt_f32_u32_sdwa v34, v79 dst_sel:DWORD dst_unused:UNUSED_PAD src0_sel:WORD_0
	v_cvt_f32_u32_sdwa v35, v79 dst_sel:DWORD dst_unused:UNUSED_PAD src0_sel:WORD_1
	v_cvt_f32_u32_sdwa v58, v80 dst_sel:DWORD dst_unused:UNUSED_PAD src0_sel:WORD_0
	v_cvt_f32_u32_sdwa v59, v80 dst_sel:DWORD dst_unused:UNUSED_PAD src0_sel:WORD_1
	v_cvt_f32_u32_sdwa v24, v81 dst_sel:DWORD dst_unused:UNUSED_PAD src0_sel:WORD_0
	v_cvt_f32_u32_sdwa v25, v81 dst_sel:DWORD dst_unused:UNUSED_PAD src0_sel:WORD_1
	s_waitcnt vmcnt(2)
	v_cvt_f32_u32_sdwa v44, v82 dst_sel:DWORD dst_unused:UNUSED_PAD src0_sel:WORD_0
	v_cvt_f32_u32_sdwa v45, v82 dst_sel:DWORD dst_unused:UNUSED_PAD src0_sel:WORD_1
	v_cvt_f32_u32_sdwa v18, v83 dst_sel:DWORD dst_unused:UNUSED_PAD src0_sel:WORD_0
	v_cvt_f32_u32_sdwa v19, v83 dst_sel:DWORD dst_unused:UNUSED_PAD src0_sel:WORD_1
	;; [unrolled: 2-line block ×4, first 2 shown]
.LBB866_6:
	s_or_b64 exec, exec, s[2:3]
	s_cbranch_execz .LBB866_8
	s_branch .LBB866_11
.LBB866_7:
                                        ; implicit-def: $vgpr32_vgpr33_vgpr34_vgpr35_vgpr36_vgpr37_vgpr38_vgpr39_vgpr40_vgpr41_vgpr42_vgpr43_vgpr44_vgpr45_vgpr46_vgpr47
                                        ; implicit-def: $vgpr18_vgpr19_vgpr20_vgpr21_vgpr22_vgpr23_vgpr24_vgpr25_vgpr26_vgpr27_vgpr28_vgpr29_vgpr30_vgpr31_vgpr32_vgpr33
                                        ; implicit-def: $vgpr52_vgpr53_vgpr54_vgpr55_vgpr56_vgpr57_vgpr58_vgpr59_vgpr60_vgpr61_vgpr62_vgpr63_vgpr64_vgpr65_vgpr66_vgpr67
                                        ; implicit-def: $vgpr87
                                        ; implicit-def: $vgpr54_vgpr55_vgpr56_vgpr57_vgpr58_vgpr59_vgpr60_vgpr61_vgpr62_vgpr63_vgpr64_vgpr65_vgpr66_vgpr67_vgpr68_vgpr69
                                        ; implicit-def: $vgpr8_vgpr9_vgpr10_vgpr11_vgpr12_vgpr13_vgpr14_vgpr15_vgpr16_vgpr17_vgpr18_vgpr19_vgpr20_vgpr21_vgpr22_vgpr23
                                        ; implicit-def: $vgpr36_vgpr37_vgpr38_vgpr39_vgpr40_vgpr41_vgpr42_vgpr43_vgpr44_vgpr45_vgpr46_vgpr47_vgpr48_vgpr49_vgpr50_vgpr51
                                        ; implicit-def: $vgpr2_vgpr3_vgpr4_vgpr5_vgpr6_vgpr7_vgpr8_vgpr9_vgpr10_vgpr11_vgpr12_vgpr13_vgpr14_vgpr15_vgpr16_vgpr17
.LBB866_8:
	v_mov_b32_e32 v87, 0
	v_mov_b32_e32 v86, 0
	;; [unrolled: 1-line block ×16, first 2 shown]
	s_and_saveexec_b64 s[2:3], s[0:1]
	s_cbranch_execz .LBB866_10
; %bb.9:
	s_load_dwordx2 s[22:23], s[4:5], 0x38
	s_mul_hi_i32 s29, s19, s6
	s_mul_i32 s28, s19, s6
	s_lshl_b64 s[28:29], s[28:29], 1
	s_mov_b32 s31, 0x20000
	s_waitcnt lgkmcnt(0)
	s_add_u32 s28, s22, s28
	s_addc_u32 s14, s23, s29
	s_and_b32 s29, s14, 0xffff
	v_lshlrev_b32_e32 v38, 5, v0
	buffer_load_dwordx4 v[4:7], v38, s[28:31], 16 offen
	buffer_load_dwordx4 v[8:11], v38, s[28:31], 0 offen
	s_load_dwordx2 s[22:23], s[4:5], 0x20
	s_waitcnt vmcnt(5)
	v_cvt_f32_u32_sdwa v19, v78 dst_sel:DWORD dst_unused:UNUSED_PAD src0_sel:WORD_1
	v_cvt_f32_u32_sdwa v18, v78 dst_sel:DWORD dst_unused:UNUSED_PAD src0_sel:WORD_0
	v_cvt_f32_u32_sdwa v21, v79 dst_sel:DWORD dst_unused:UNUSED_PAD src0_sel:WORD_1
	v_cvt_f32_u32_sdwa v20, v79 dst_sel:DWORD dst_unused:UNUSED_PAD src0_sel:WORD_0
	;; [unrolled: 2-line block ×4, first 2 shown]
	s_waitcnt vmcnt(4)
	v_cvt_f32_u32_sdwa v3, v82 dst_sel:DWORD dst_unused:UNUSED_PAD src0_sel:WORD_1
	v_cvt_f32_u32_sdwa v2, v82 dst_sel:DWORD dst_unused:UNUSED_PAD src0_sel:WORD_0
	v_cvt_f32_u32_sdwa v13, v83 dst_sel:DWORD dst_unused:UNUSED_PAD src0_sel:WORD_1
	v_cvt_f32_u32_sdwa v12, v83 dst_sel:DWORD dst_unused:UNUSED_PAD src0_sel:WORD_0
	;; [unrolled: 2-line block ×3, first 2 shown]
	v_cvt_f32_u32_sdwa v16, v85 dst_sel:DWORD dst_unused:UNUSED_PAD src0_sel:WORD_0
	v_cvt_f32_u32_sdwa v17, v85 dst_sel:DWORD dst_unused:UNUSED_PAD src0_sel:WORD_1
	s_mul_hi_i32 s29, s35, s6
	s_mul_i32 s28, s35, s6
	s_lshl_b64 s[28:29], s[28:29], 1
	s_waitcnt lgkmcnt(0)
	s_add_u32 s28, s22, s28
	s_mov_b32 s14, 0x7060302
	s_addc_u32 s17, s23, s29
	s_and_b32 s29, s17, 0xffff
	s_waitcnt vmcnt(1)
	v_cvt_f32_u32_sdwa v27, v4 dst_sel:DWORD dst_unused:UNUSED_PAD src0_sel:WORD_1
	v_cvt_f32_u32_sdwa v26, v4 dst_sel:DWORD dst_unused:UNUSED_PAD src0_sel:WORD_0
	v_cvt_f32_u32_sdwa v29, v5 dst_sel:DWORD dst_unused:UNUSED_PAD src0_sel:WORD_1
	v_cvt_f32_u32_sdwa v28, v5 dst_sel:DWORD dst_unused:UNUSED_PAD src0_sel:WORD_0
	;; [unrolled: 2-line block ×3, first 2 shown]
	v_cvt_f32_u32_sdwa v32, v7 dst_sel:DWORD dst_unused:UNUSED_PAD src0_sel:WORD_0
	v_cvt_f32_u32_sdwa v33, v7 dst_sel:DWORD dst_unused:UNUSED_PAD src0_sel:WORD_1
	s_waitcnt vmcnt(0)
	v_cvt_f32_u32_sdwa v37, v8 dst_sel:DWORD dst_unused:UNUSED_PAD src0_sel:WORD_1
	v_cvt_f32_u32_sdwa v36, v8 dst_sel:DWORD dst_unused:UNUSED_PAD src0_sel:WORD_0
	v_cvt_f32_u32_sdwa v5, v10 dst_sel:DWORD dst_unused:UNUSED_PAD src0_sel:WORD_1
	v_cvt_f32_u32_sdwa v4, v10 dst_sel:DWORD dst_unused:UNUSED_PAD src0_sel:WORD_0
	;; [unrolled: 2-line block ×4, first 2 shown]
	v_pk_add_f32 v[58:59], v[22:23], v[4:5]
	v_pk_add_f32 v[24:25], v[24:25], v[6:7]
	;; [unrolled: 1-line block ×4, first 2 shown]
	v_perm_b32 v7, v25, v24, s14
	v_perm_b32 v6, v59, v58, s14
	;; [unrolled: 1-line block ×4, first 2 shown]
	v_pk_add_f32 v[86:87], v[16:17], v[32:33]
	v_pk_add_f32 v[14:15], v[14:15], v[30:31]
	;; [unrolled: 1-line block ×4, first 2 shown]
	buffer_store_dwordx4 v[4:7], v38, s[28:31], 0 offen
	;;#ASMSTART
	s_nop 0
	;;#ASMEND
	s_nop 0
	v_perm_b32 v7, v87, v86, s14
	v_perm_b32 v6, v15, v14, s14
	;; [unrolled: 1-line block ×4, first 2 shown]
	buffer_store_dwordx4 v[4:7], v38, s[28:31], 16 offen
	;;#ASMSTART
	s_nop 0
	;;#ASMEND
.LBB866_10:
	s_or_b64 exec, exec, s[2:3]
.LBB866_11:
	v_mul_f32_e32 v2, v53, v53
	v_fmac_f32_e32 v2, v52, v52
	v_fmac_f32_e32 v2, v34, v34
	;; [unrolled: 1-line block ×15, first 2 shown]
	s_nop 1
	v_mov_b32_dpp v3, v2 quad_perm:[1,0,3,2] row_mask:0xf bank_mask:0xf
	v_add_f32_e32 v2, v2, v3
	s_nop 1
	v_mov_b32_dpp v3, v2 quad_perm:[2,3,0,1] row_mask:0xf bank_mask:0xf
	v_add_f32_e32 v2, v2, v3
	s_nop 1
	v_mov_b32_dpp v3, v2 row_half_mirror row_mask:0xf bank_mask:0xf
	v_add_f32_e32 v2, v2, v3
	s_nop 1
	v_mov_b32_dpp v3, v2 row_mirror row_mask:0xf bank_mask:0xf
	v_add_f32_e32 v2, v2, v3
	s_nop 1
	v_mov_b32_dpp v3, v2 row_bcast:15 row_mask:0xf bank_mask:0xf
	v_add_f32_e32 v2, v2, v3
	v_and_b32_e32 v3, 63, v0
	v_cmp_eq_u32_e64 s[2:3], 63, v3
	s_nop 0
	v_mov_b32_dpp v3, v2 row_bcast:31 row_mask:0xf bank_mask:0xf
	s_and_saveexec_b64 s[22:23], s[2:3]
	s_cbranch_execz .LBB866_13
; %bb.12:
	v_add_f32_e32 v2, v2, v3
	v_lshrrev_b32_e32 v3, 4, v0
	v_and_b32_e32 v3, 60, v3
	ds_write_b32 v3, v2 offset:16
.LBB866_13:
	s_or_b64 exec, exec, s[22:23]
	v_and_b32_e32 v2, 3, v0
	v_lshlrev_b32_e32 v36, 2, v2
	s_waitcnt lgkmcnt(0)
	s_barrier
	ds_read_b32 v2, v36 offset:16
	s_load_dwordx2 s[38:39], s[4:5], 0x18
	s_waitcnt lgkmcnt(0)
	v_mov_b32_dpp v3, v2 quad_perm:[1,0,3,2] row_mask:0xf bank_mask:0xf
	v_add_f32_e32 v2, v2, v3
	s_nop 1
	v_mov_b32_dpp v3, v2 quad_perm:[2,3,0,1] row_mask:0xf bank_mask:0xf
	s_and_saveexec_b64 s[22:23], s[0:1]
	s_cbranch_execnz .LBB866_18
; %bb.14:
	s_or_b64 exec, exec, s[22:23]
	s_mov_b64 s[8:9], -1
	s_and_b64 vcc, exec, s[10:11]
	s_cbranch_vccnz .LBB866_19
.LBB866_15:
	s_andn2_b64 vcc, exec, s[8:9]
	s_cbranch_vccz .LBB866_22
.LBB866_16:
	s_cmp_lt_i32 s16, 1
	s_cbranch_scc0 .LBB866_29
.LBB866_17:
	s_endpgm
.LBB866_18:
	v_add_f32_e32 v2, v2, v3
	v_cvt_f32_u32_e32 v3, s7
	s_mov_b32 s7, 0x800000
	s_waitcnt vmcnt(1)
	v_cvt_f32_u32_sdwa v17, v74 dst_sel:DWORD dst_unused:UNUSED_PAD src0_sel:WORD_1
	v_cvt_f32_u32_sdwa v16, v74 dst_sel:DWORD dst_unused:UNUSED_PAD src0_sel:WORD_0
	v_div_scale_f32 v4, s[28:29], v3, v3, v2
	v_rcp_f32_e32 v5, v4
	v_pk_add_f32 v[16:17], v[16:17], 1.0 op_sel_hi:[1,0]
	v_cvt_f32_u32_sdwa v21, v77 dst_sel:DWORD dst_unused:UNUSED_PAD src0_sel:WORD_1
	v_cvt_f32_u32_sdwa v20, v77 dst_sel:DWORD dst_unused:UNUSED_PAD src0_sel:WORD_0
	v_fma_f32 v6, -v4, v5, 1.0
	v_fmac_f32_e32 v5, v6, v5
	v_div_scale_f32 v6, vcc, v2, v3, v2
	v_mul_f32_e32 v7, v6, v5
	v_fma_f32 v8, -v4, v7, v6
	v_fmac_f32_e32 v7, v8, v5
	v_fma_f32 v4, -v4, v7, v6
	v_div_fmas_f32 v4, v4, v5, v7
	v_div_fixup_f32 v2, v4, v3, v2
	v_mov_b32_e32 v3, s13
	v_mov_b32_e32 v4, s12
	v_cndmask_b32_e64 v3, v3, v4, s[8:9]
	v_add_f32_e32 v2, v3, v2
	v_mul_f32_e32 v3, 0x4b800000, v2
	v_cmp_gt_f32_e32 vcc, s7, v2
	v_cndmask_b32_e32 v2, v2, v3, vcc
	v_rsq_f32_e32 v2, v2
	s_waitcnt vmcnt(0)
	v_cvt_f32_u32_sdwa v23, v72 dst_sel:DWORD dst_unused:UNUSED_PAD src0_sel:WORD_1
	v_cvt_f32_u32_sdwa v22, v72 dst_sel:DWORD dst_unused:UNUSED_PAD src0_sel:WORD_0
	v_mul_f32_e32 v3, 0x45800000, v2
	v_cndmask_b32_e32 v2, v2, v3, vcc
	v_mov_b32_e32 v3, v2
	;;#ASMSTART
	v_pk_mul_f32 v[4:5], v[52:53], v[2:3]
	;;#ASMEND
	;;#ASMSTART
	v_pk_mul_f32 v[6:7], v[34:35], v[2:3]
	;;#ASMEND
	;; [unrolled: 3-line block ×9, first 2 shown]
	v_cvt_f32_u32_sdwa v5, v75 dst_sel:DWORD dst_unused:UNUSED_PAD src0_sel:WORD_1
	v_cvt_f32_u32_sdwa v4, v75 dst_sel:DWORD dst_unused:UNUSED_PAD src0_sel:WORD_0
	v_cvt_f32_u32_sdwa v17, v76 dst_sel:DWORD dst_unused:UNUSED_PAD src0_sel:WORD_1
	v_cvt_f32_u32_sdwa v16, v76 dst_sel:DWORD dst_unused:UNUSED_PAD src0_sel:WORD_0
	v_cvt_f32_u32_sdwa v25, v73 dst_sel:DWORD dst_unused:UNUSED_PAD src0_sel:WORD_1
	v_pk_add_f32 v[4:5], v[4:5], 1.0 op_sel_hi:[1,0]
	;;#ASMSTART
	v_pk_mul_f32 v[34:35], v[6:7], v[4:5]
	;;#ASMEND
	v_pk_add_f32 v[4:5], v[16:17], 1.0 op_sel_hi:[1,0]
	v_pk_add_f32 v[6:7], v[20:21], 1.0 op_sel_hi:[1,0]
	v_cvt_f32_u32_sdwa v17, v70 dst_sel:DWORD dst_unused:UNUSED_PAD src0_sel:WORD_1
	v_cvt_f32_u32_sdwa v16, v70 dst_sel:DWORD dst_unused:UNUSED_PAD src0_sel:WORD_0
	v_cvt_f32_u32_sdwa v21, v71 dst_sel:DWORD dst_unused:UNUSED_PAD src0_sel:WORD_1
	v_cvt_f32_u32_sdwa v20, v71 dst_sel:DWORD dst_unused:UNUSED_PAD src0_sel:WORD_0
	v_cvt_f32_u32_sdwa v24, v73 dst_sel:DWORD dst_unused:UNUSED_PAD src0_sel:WORD_0
	v_pk_add_f32 v[16:17], v[16:17], 1.0 op_sel_hi:[1,0]
	v_pk_add_f32 v[22:23], v[22:23], 1.0 op_sel_hi:[1,0]
	v_pk_add_f32 v[20:21], v[20:21], 1.0 op_sel_hi:[1,0]
	v_pk_add_f32 v[26:27], v[24:25], 1.0 op_sel_hi:[1,0]
	;;#ASMSTART
	v_pk_mul_f32 v[58:59], v[8:9], v[4:5]
	;;#ASMEND
	;;#ASMSTART
	v_pk_mul_f32 v[24:25], v[10:11], v[6:7]
	;;#ASMEND
	;; [unrolled: 3-line block ×6, first 2 shown]
	s_or_b64 exec, exec, s[22:23]
	s_mov_b64 s[8:9], -1
	s_and_b64 vcc, exec, s[10:11]
	s_cbranch_vccz .LBB866_15
.LBB866_19:
	s_and_saveexec_b64 s[8:9], s[0:1]
	s_cbranch_execz .LBB866_21
; %bb.20:
	s_mul_hi_i32 s11, s34, s6
	s_mul_i32 s10, s34, s6
	s_lshl_b64 s[10:11], s[10:11], 1
	s_add_u32 s28, s38, s10
	s_addc_u32 s7, s39, s11
	s_and_b32 s29, s7, 0xffff
	s_mov_b32 s7, 0x7060302
	s_mov_b32 s31, 0x20000
	v_perm_b32 v5, v25, v24, s7
	v_perm_b32 v4, v59, v58, s7
	v_perm_b32 v3, v35, v34, s7
	v_perm_b32 v2, v53, v52, s7
	v_lshlrev_b32_e32 v6, 5, v0
	buffer_store_dwordx4 v[2:5], v6, s[28:31], 0 offen
	;;#ASMSTART
	s_nop 0
	;;#ASMEND
	s_nop 0
	v_perm_b32 v5, v87, v86, s7
	v_perm_b32 v4, v15, v14, s7
	v_perm_b32 v3, v19, v18, s7
	v_perm_b32 v2, v45, v44, s7
	buffer_store_dwordx4 v[2:5], v6, s[28:31], 16 offen
	;;#ASMSTART
	s_nop 0
	;;#ASMEND
.LBB866_21:
	s_or_b64 exec, exec, s[8:9]
	s_cbranch_execnz .LBB866_16
.LBB866_22:
	v_mov_b32_e32 v2, 0
	s_and_saveexec_b64 s[8:9], s[0:1]
	s_cbranch_execz .LBB866_24
; %bb.23:
	v_and_b32_e32 v2, 0x7fffffff, v52
	v_and_b32_e32 v3, 0x7fffffff, v53
	v_mov_b32_e32 v4, 0x2edbe6ff
	;;#ASMSTART
	v_max3_f32 v2, v4, v2, v3

	;;#ASMEND
	v_and_b32_e32 v3, 0x7fffffff, v34
	v_and_b32_e32 v4, 0x7fffffff, v35
	;;#ASMSTART
	v_max3_f32 v2, v2, v3, v4

	;;#ASMEND
	v_and_b32_e32 v3, 0x7fffffff, v58
	v_and_b32_e32 v4, 0x7fffffff, v59
	;; [unrolled: 6-line block ×7, first 2 shown]
	;;#ASMSTART
	v_max3_f32 v2, v2, v3, v4

	;;#ASMEND
.LBB866_24:
	s_or_b64 exec, exec, s[8:9]
	;;#ASMSTART
	v_max_f32 v3, v2, v2 quad_perm:[1,0,3,2] row_mask:0xf bank_mask:0xf bound_ctrl:1
	;;#ASMEND
	v_mul_f32_e32 v2, 0x3b124925, v3
	v_and_b32_e32 v3, 1, v0
	v_cmp_eq_u32_e32 vcc, 0, v3
	v_cmp_gt_i32_e64 s[8:9], s15, v1
	s_and_b64 s[10:11], vcc, s[8:9]
	s_and_saveexec_b64 s[8:9], s[10:11]
	s_cbranch_execz .LBB866_26
; %bb.25:
	s_load_dwordx2 s[10:11], s[4:5], 0x8
	s_mul_hi_i32 s23, s25, s6
	s_mul_i32 s22, s25, s6
	v_lshrrev_b32_e32 v3, 1, v0
	s_lshl_b64 s[22:23], s[22:23], 2
	v_mad_i64_i32 v[4:5], s[26:27], s26, v3, 0
	s_waitcnt lgkmcnt(0)
	s_add_u32 s7, s10, s22
	s_addc_u32 s10, s11, s23
	v_lshlrev_b64 v[4:5], 2, v[4:5]
	v_mov_b32_e32 v3, s10
	v_add_co_u32_e32 v4, vcc, s7, v4
	v_addc_co_u32_e32 v5, vcc, v3, v5, vcc
	global_store_dword v[4:5], v2, off
.LBB866_26:
	s_or_b64 exec, exec, s[8:9]
	;;#ASMSTART
	v_rcp_f32 v2, v2
	;;#ASMEND
	s_and_saveexec_b64 s[22:23], s[0:1]
	s_cbranch_execz .LBB866_28
; %bb.27:
	v_mov_b32_e32 v3, v2
	;;#ASMSTART
	v_pk_mul_f32 v[4:5], v[52:53], v[2:3]
	;;#ASMEND
	v_mov_b32_e32 v10, 0xc3e00000
	v_mov_b32_e32 v11, 0x43e00000
	;;#ASMSTART
	v_med3_f32 v4, v4, v10, v11
v_med3_f32 v5, v5, v10, v11
v_cvt_pk_fp8_f32 v6, v4, v5
	;;#ASMEND
	;;#ASMSTART
	v_pk_mul_f32 v[4:5], v[34:35], v[2:3]
	;;#ASMEND
	;;#ASMSTART
	v_med3_f32 v4, v4, v10, v11
v_med3_f32 v5, v5, v10, v11
v_cvt_pk_fp8_f32 v7, v4, v5
	;;#ASMEND
	;;#ASMSTART
	v_pk_mul_f32 v[4:5], v[58:59], v[2:3]
	;;#ASMEND
	;; [unrolled: 8-line block ×3, first 2 shown]
	;;#ASMSTART
	v_med3_f32 v4, v4, v10, v11
v_med3_f32 v5, v5, v10, v11
v_cvt_pk_fp8_f32 v9, v4, v5
	;;#ASMEND
	s_mov_b32 s0, 0x5040100
	v_perm_b32 v4, v7, v6, s0
	s_mov_b32 s0, 0x1060504
	v_perm_b32 v4, v4, v7, s0
	s_load_dwordx2 s[0:1], s[4:5], 0x0
	s_mov_b32 s7, 0x1000504
	;;#ASMSTART
	v_pk_mul_f32 v[6:7], v[44:45], v[2:3]
	;;#ASMEND
	v_perm_b32 v5, v8, v9, s7
	s_mul_i32 s8, s24, s6
	;;#ASMSTART
	v_med3_f32 v6, v6, v10, v11
v_med3_f32 v7, v7, v10, v11
v_cvt_pk_fp8_f32 v8, v6, v7
	;;#ASMEND
	s_mul_hi_i32 s9, s24, s6
	s_waitcnt lgkmcnt(0)
	s_add_u32 s8, s0, s8
	;;#ASMSTART
	v_pk_mul_f32 v[6:7], v[18:19], v[2:3]
	;;#ASMEND
	s_addc_u32 s0, s1, s9
	s_add_i32 s1, s15, 3
	;;#ASMSTART
	v_med3_f32 v6, v6, v10, v11
v_med3_f32 v7, v7, v10, v11
v_cvt_pk_fp8_f32 v9, v6, v7
	;;#ASMEND
	s_ashr_i32 s9, s1, 31
	v_perm_b32 v6, v8, v9, s7
	;;#ASMSTART
	v_pk_mul_f32 v[8:9], v[14:15], v[2:3]
	;;#ASMEND
	v_mov_b32_e32 v7, v9
	s_lshr_b32 s9, s9, 30
	;;#ASMSTART
	v_med3_f32 v8, v8, v10, v11
v_med3_f32 v7, v7, v10, v11
v_cvt_pk_fp8_f32 v9, v8, v7
	;;#ASMEND
	;;#ASMSTART
	v_pk_mul_f32 v[2:3], v[86:87], v[2:3]
	;;#ASMEND
	s_add_i32 s1, s1, s9
	;;#ASMSTART
	v_med3_f32 v2, v2, v10, v11
v_med3_f32 v3, v3, v10, v11
v_cvt_pk_fp8_f32 v7, v2, v3
	;;#ASMEND
	s_and_b32 s10, s1, -4
	s_and_b32 s9, s0, 0xffff
	s_mov_b32 s11, 0x20000
	v_perm_b32 v7, v9, v7, s7
	buffer_store_dwordx4 v[4:7], v1, s[8:11], 0 offen
	;;#ASMSTART
	s_nop 0
	;;#ASMEND
.LBB866_28:
	s_or_b64 exec, exec, s[22:23]
	s_cmp_lt_i32 s16, 1
	s_cbranch_scc1 .LBB866_17
.LBB866_29:
	s_load_dword s0, s[4:5], 0x94
	s_waitcnt lgkmcnt(0)
	s_cmp_lg_u32 s0, 1
	s_cbranch_scc1 .LBB866_17
; %bb.30:
	s_lshl_b32 s0, s16, 1
	s_add_i32 s0, s0, 2
	v_cmp_gt_u32_e32 vcc, s16, v1
	s_and_b32 s22, s0, -4
	v_mov_b32_e32 v18, 0
	v_lshlrev_b32_e32 v1, 5, v0
	v_mov_b32_e32 v14, 0
	v_mov_b32_e32 v15, 0
	v_mov_b32_e32 v16, 0
	v_mov_b32_e32 v17, 0
	v_mov_b32_e32 v10, 0
	v_mov_b32_e32 v11, 0
	v_mov_b32_e32 v12, 0
	v_mov_b32_e32 v13, 0
	v_mov_b32_e32 v6, 0
	v_mov_b32_e32 v7, 0
	v_mov_b32_e32 v8, 0
	v_mov_b32_e32 v9, 0
	v_mov_b32_e32 v2, 0
	v_mov_b32_e32 v3, 0
	v_mov_b32_e32 v4, 0
	v_mov_b32_e32 v5, 0
	s_barrier
	s_and_saveexec_b64 s[0:1], vcc
	s_cbranch_execz .LBB866_32
; %bb.31:
	s_mul_hi_i32 s5, s18, s6
	s_mul_i32 s4, s18, s6
	s_and_b32 s21, s21, 0xffff
	s_lshl_b64 s[4:5], s[4:5], 1
	s_add_u32 s8, s36, s4
	s_mov_b32 s23, 0x20000
	s_addc_u32 s4, s37, s5
	s_and_b32 s9, s4, 0xffff
	s_mov_b32 s10, s22
	s_mov_b32 s11, s23
	buffer_load_dwordx4 v[14:17], v1, s[8:11], 0 offen
	buffer_load_dwordx4 v[10:13], v1, s[8:11], 16 offen
	buffer_load_dwordx4 v[6:9], v1, s[20:23], 0 offen
	buffer_load_dwordx4 v[2:5], v1, s[20:23], 16 offen
.LBB866_32:
	s_or_b64 exec, exec, s[0:1]
	v_mov_b32_e32 v19, 0
	v_mov_b32_e32 v32, 0
	;; [unrolled: 1-line block ×15, first 2 shown]
	s_and_saveexec_b64 s[0:1], vcc
	s_cbranch_execz .LBB866_34
; %bb.33:
	s_waitcnt vmcnt(3)
	v_cvt_f32_u32_sdwa v18, v14 dst_sel:DWORD dst_unused:UNUSED_PAD src0_sel:WORD_0
	v_cvt_f32_u32_sdwa v19, v14 dst_sel:DWORD dst_unused:UNUSED_PAD src0_sel:WORD_1
	v_cvt_f32_u32_sdwa v32, v15 dst_sel:DWORD dst_unused:UNUSED_PAD src0_sel:WORD_0
	v_cvt_f32_u32_sdwa v33, v15 dst_sel:DWORD dst_unused:UNUSED_PAD src0_sel:WORD_1
	;; [unrolled: 2-line block ×4, first 2 shown]
	s_waitcnt vmcnt(2)
	v_cvt_f32_u32_sdwa v26, v10 dst_sel:DWORD dst_unused:UNUSED_PAD src0_sel:WORD_0
	v_cvt_f32_u32_sdwa v27, v10 dst_sel:DWORD dst_unused:UNUSED_PAD src0_sel:WORD_1
	v_cvt_f32_u32_sdwa v24, v11 dst_sel:DWORD dst_unused:UNUSED_PAD src0_sel:WORD_0
	v_cvt_f32_u32_sdwa v25, v11 dst_sel:DWORD dst_unused:UNUSED_PAD src0_sel:WORD_1
	;; [unrolled: 2-line block ×4, first 2 shown]
.LBB866_34:
	s_or_b64 exec, exec, s[0:1]
	s_waitcnt vmcnt(2)
	v_mul_f32_e32 v10, v19, v19
	v_fmac_f32_e32 v10, v18, v18
	v_fmac_f32_e32 v10, v32, v32
	;; [unrolled: 1-line block ×15, first 2 shown]
	s_nop 1
	v_mov_b32_dpp v11, v10 quad_perm:[1,0,3,2] row_mask:0xf bank_mask:0xf
	v_add_f32_e32 v10, v10, v11
	s_nop 1
	v_mov_b32_dpp v11, v10 quad_perm:[2,3,0,1] row_mask:0xf bank_mask:0xf
	v_add_f32_e32 v10, v10, v11
	s_nop 1
	v_mov_b32_dpp v11, v10 row_half_mirror row_mask:0xf bank_mask:0xf
	v_add_f32_e32 v10, v10, v11
	s_nop 1
	v_mov_b32_dpp v11, v10 row_mirror row_mask:0xf bank_mask:0xf
	v_add_f32_e32 v10, v10, v11
	s_nop 1
	v_mov_b32_dpp v11, v10 row_bcast:15 row_mask:0xf bank_mask:0xf
	v_add_f32_e32 v10, v10, v11
	s_nop 1
	v_mov_b32_dpp v11, v10 row_bcast:31 row_mask:0xf bank_mask:0xf
	s_and_saveexec_b64 s[0:1], s[2:3]
	s_cbranch_execz .LBB866_36
; %bb.35:
	v_lshrrev_b32_e32 v0, 4, v0
	v_add_f32_e32 v10, v10, v11
	v_and_b32_e32 v0, 60, v0
	ds_write_b32 v0, v10
.LBB866_36:
	s_or_b64 exec, exec, s[0:1]
	s_waitcnt lgkmcnt(0)
	s_barrier
	ds_read_b32 v0, v36
	s_waitcnt lgkmcnt(0)
	s_nop 0
	v_mov_b32_dpp v10, v0 quad_perm:[1,0,3,2] row_mask:0xf bank_mask:0xf
	v_add_f32_e32 v0, v0, v10
	s_nop 1
	v_mov_b32_dpp v10, v0 quad_perm:[2,3,0,1] row_mask:0xf bank_mask:0xf
	s_and_saveexec_b64 s[0:1], vcc
	s_cbranch_execz .LBB866_17
; %bb.37:
	v_cvt_f32_u32_e32 v11, s16
	v_add_f32_e32 v0, v0, v10
	s_mov_b32 s23, 0x20000
	v_div_scale_f32 v10, s[0:1], v11, v11, v0
	v_rcp_f32_e32 v12, v10
	v_div_scale_f32 v13, vcc, v0, v11, v0
	s_mov_b32 s0, 0x800000
	v_fma_f32 v14, -v10, v12, 1.0
	v_fmac_f32_e32 v12, v14, v12
	v_mul_f32_e32 v14, v13, v12
	v_fma_f32 v15, -v10, v14, v13
	v_fmac_f32_e32 v14, v15, v12
	v_fma_f32 v10, -v10, v14, v13
	v_div_fmas_f32 v10, v10, v12, v14
	v_div_fixup_f32 v0, v10, v11, v0
	v_add_f32_e32 v0, s13, v0
	v_mul_f32_e32 v10, 0x4b800000, v0
	v_cmp_gt_f32_e32 vcc, s0, v0
	v_cndmask_b32_e32 v0, v0, v10, vcc
	v_rsq_f32_e32 v0, v0
	s_mul_hi_i32 s1, s34, s6
	s_mul_i32 s0, s34, s6
	s_lshl_b64 s[0:1], s[0:1], 1
	v_mul_f32_e32 v10, 0x45800000, v0
	v_cndmask_b32_e32 v10, v0, v10, vcc
	v_mov_b32_e32 v11, v10
	;;#ASMSTART
	v_pk_mul_f32 v[12:13], v[18:19], v[10:11]
	;;#ASMEND
	;;#ASMSTART
	v_pk_mul_f32 v[14:15], v[32:33], v[10:11]
	;;#ASMEND
	;; [unrolled: 3-line block ×4, first 2 shown]
	s_waitcnt vmcnt(1)
	v_cvt_f32_u32_sdwa v29, v6 dst_sel:DWORD dst_unused:UNUSED_PAD src0_sel:WORD_1
	v_cvt_f32_u32_sdwa v28, v6 dst_sel:DWORD dst_unused:UNUSED_PAD src0_sel:WORD_0
	v_cvt_f32_u32_sdwa v31, v7 dst_sel:DWORD dst_unused:UNUSED_PAD src0_sel:WORD_1
	v_cvt_f32_u32_sdwa v30, v7 dst_sel:DWORD dst_unused:UNUSED_PAD src0_sel:WORD_0
	;;#ASMSTART
	v_pk_mul_f32 v[26:27], v[26:27], v[10:11]
	;;#ASMEND
	;;#ASMSTART
	v_pk_mul_f32 v[24:25], v[24:25], v[10:11]
	;;#ASMEND
	;; [unrolled: 3-line block ×4, first 2 shown]
	v_cvt_f32_u32_sdwa v21, v8 dst_sel:DWORD dst_unused:UNUSED_PAD src0_sel:WORD_1
	v_cvt_f32_u32_sdwa v20, v8 dst_sel:DWORD dst_unused:UNUSED_PAD src0_sel:WORD_0
	v_pk_add_f32 v[10:11], v[28:29], 1.0 op_sel_hi:[1,0]
	;;#ASMSTART
	v_pk_mul_f32 v[10:11], v[12:13], v[10:11]
	;;#ASMEND
	v_pk_add_f32 v[12:13], v[30:31], 1.0 op_sel_hi:[1,0]
	v_cvt_f32_u32_sdwa v29, v9 dst_sel:DWORD dst_unused:UNUSED_PAD src0_sel:WORD_1
	v_cvt_f32_u32_sdwa v28, v9 dst_sel:DWORD dst_unused:UNUSED_PAD src0_sel:WORD_0
	;;#ASMSTART
	v_pk_mul_f32 v[8:9], v[14:15], v[12:13]
	;;#ASMEND
	v_pk_add_f32 v[12:13], v[20:21], 1.0 op_sel_hi:[1,0]
	;;#ASMSTART
	v_pk_mul_f32 v[12:13], v[16:17], v[12:13]
	;;#ASMEND
	s_waitcnt vmcnt(0)
	v_cvt_f32_u32_sdwa v17, v2 dst_sel:DWORD dst_unused:UNUSED_PAD src0_sel:WORD_1
	v_cvt_f32_u32_sdwa v16, v2 dst_sel:DWORD dst_unused:UNUSED_PAD src0_sel:WORD_0
	v_cvt_f32_u32_sdwa v21, v3 dst_sel:DWORD dst_unused:UNUSED_PAD src0_sel:WORD_1
	v_cvt_f32_u32_sdwa v20, v3 dst_sel:DWORD dst_unused:UNUSED_PAD src0_sel:WORD_0
	v_pk_add_f32 v[14:15], v[28:29], 1.0 op_sel_hi:[1,0]
	;;#ASMSTART
	v_pk_mul_f32 v[14:15], v[18:19], v[14:15]
	;;#ASMEND
	v_pk_add_f32 v[2:3], v[16:17], 1.0 op_sel_hi:[1,0]
	v_cvt_f32_u32_sdwa v19, v4 dst_sel:DWORD dst_unused:UNUSED_PAD src0_sel:WORD_1
	v_cvt_f32_u32_sdwa v18, v4 dst_sel:DWORD dst_unused:UNUSED_PAD src0_sel:WORD_0
	;;#ASMSTART
	v_pk_mul_f32 v[16:17], v[26:27], v[2:3]
	;;#ASMEND
	v_pk_add_f32 v[2:3], v[20:21], 1.0 op_sel_hi:[1,0]
	v_cvt_f32_u32_sdwa v21, v5 dst_sel:DWORD dst_unused:UNUSED_PAD src0_sel:WORD_1
	v_cvt_f32_u32_sdwa v20, v5 dst_sel:DWORD dst_unused:UNUSED_PAD src0_sel:WORD_0
	s_add_u32 s20, s38, s0
	;;#ASMSTART
	v_pk_mul_f32 v[24:25], v[24:25], v[2:3]
	;;#ASMEND
	v_pk_add_f32 v[2:3], v[18:19], 1.0 op_sel_hi:[1,0]
	s_addc_u32 s0, s39, s1
	;;#ASMSTART
	v_pk_mul_f32 v[18:19], v[22:23], v[2:3]
	;;#ASMEND
	v_pk_add_f32 v[2:3], v[20:21], 1.0 op_sel_hi:[1,0]
	s_and_b32 s21, s0, 0xffff
	s_mov_b32 s0, 0x7060302
	;;#ASMSTART
	v_pk_mul_f32 v[6:7], v[6:7], v[2:3]
	;;#ASMEND
	v_perm_b32 v2, v11, v10, s0
	v_perm_b32 v3, v9, v8, s0
	;; [unrolled: 1-line block ×4, first 2 shown]
	buffer_store_dwordx4 v[2:5], v1, s[20:23], 0 offen
	;;#ASMSTART
	s_nop 0
	;;#ASMEND
	s_nop 0
	v_perm_b32 v2, v17, v16, s0
	v_perm_b32 v3, v25, v24, s0
	;; [unrolled: 1-line block ×4, first 2 shown]
	buffer_store_dwordx4 v[2:5], v1, s[20:23], 16 offen
	;;#ASMSTART
	s_nop 0
	;;#ASMEND
	s_endpgm
	.section	.rodata,"a",@progbits
	.p2align	6, 0x0
	.amdhsa_kernel _ZN5aiter35fused_qk_rmsnorm_group_quant_kernelItDB8_Li256ELi16ELi2ELb1ELb0ELb1ELb0ELb0ELb0EEEvPT0_PvPT_S6_S6_PKS5_S8_S8_S8_S8_ffiiiiiiiiiiiii
		.amdhsa_group_segment_fixed_size 32
		.amdhsa_private_segment_fixed_size 0
		.amdhsa_kernarg_size 400
		.amdhsa_user_sgpr_count 6
		.amdhsa_user_sgpr_private_segment_buffer 1
		.amdhsa_user_sgpr_dispatch_ptr 0
		.amdhsa_user_sgpr_queue_ptr 0
		.amdhsa_user_sgpr_kernarg_segment_ptr 1
		.amdhsa_user_sgpr_dispatch_id 0
		.amdhsa_user_sgpr_flat_scratch_init 0
		.amdhsa_user_sgpr_kernarg_preload_length 0
		.amdhsa_user_sgpr_kernarg_preload_offset 0
		.amdhsa_user_sgpr_private_segment_size 0
		.amdhsa_uses_dynamic_stack 0
		.amdhsa_system_sgpr_private_segment_wavefront_offset 0
		.amdhsa_system_sgpr_workgroup_id_x 1
		.amdhsa_system_sgpr_workgroup_id_y 1
		.amdhsa_system_sgpr_workgroup_id_z 0
		.amdhsa_system_sgpr_workgroup_info 0
		.amdhsa_system_vgpr_workitem_id 0
		.amdhsa_next_free_vgpr 88
		.amdhsa_next_free_sgpr 44
		.amdhsa_accum_offset 88
		.amdhsa_reserve_vcc 1
		.amdhsa_reserve_flat_scratch 0
		.amdhsa_float_round_mode_32 0
		.amdhsa_float_round_mode_16_64 0
		.amdhsa_float_denorm_mode_32 3
		.amdhsa_float_denorm_mode_16_64 3
		.amdhsa_dx10_clamp 1
		.amdhsa_ieee_mode 1
		.amdhsa_fp16_overflow 0
		.amdhsa_tg_split 0
		.amdhsa_exception_fp_ieee_invalid_op 0
		.amdhsa_exception_fp_denorm_src 0
		.amdhsa_exception_fp_ieee_div_zero 0
		.amdhsa_exception_fp_ieee_overflow 0
		.amdhsa_exception_fp_ieee_underflow 0
		.amdhsa_exception_fp_ieee_inexact 0
		.amdhsa_exception_int_div_zero 0
	.end_amdhsa_kernel
	.section	.text._ZN5aiter35fused_qk_rmsnorm_group_quant_kernelItDB8_Li256ELi16ELi2ELb1ELb0ELb1ELb0ELb0ELb0EEEvPT0_PvPT_S6_S6_PKS5_S8_S8_S8_S8_ffiiiiiiiiiiiii,"axG",@progbits,_ZN5aiter35fused_qk_rmsnorm_group_quant_kernelItDB8_Li256ELi16ELi2ELb1ELb0ELb1ELb0ELb0ELb0EEEvPT0_PvPT_S6_S6_PKS5_S8_S8_S8_S8_ffiiiiiiiiiiiii,comdat
.Lfunc_end866:
	.size	_ZN5aiter35fused_qk_rmsnorm_group_quant_kernelItDB8_Li256ELi16ELi2ELb1ELb0ELb1ELb0ELb0ELb0EEEvPT0_PvPT_S6_S6_PKS5_S8_S8_S8_S8_ffiiiiiiiiiiiii, .Lfunc_end866-_ZN5aiter35fused_qk_rmsnorm_group_quant_kernelItDB8_Li256ELi16ELi2ELb1ELb0ELb1ELb0ELb0ELb0EEEvPT0_PvPT_S6_S6_PKS5_S8_S8_S8_S8_ffiiiiiiiiiiiii
                                        ; -- End function
	.section	.AMDGPU.csdata,"",@progbits
; Kernel info:
; codeLenInByte = 4188
; NumSgprs: 48
; NumVgprs: 88
; NumAgprs: 0
; TotalNumVgprs: 88
; ScratchSize: 0
; MemoryBound: 0
; FloatMode: 240
; IeeeMode: 1
; LDSByteSize: 32 bytes/workgroup (compile time only)
; SGPRBlocks: 5
; VGPRBlocks: 10
; NumSGPRsForWavesPerEU: 48
; NumVGPRsForWavesPerEU: 88
; AccumOffset: 88
; Occupancy: 5
; WaveLimiterHint : 0
; COMPUTE_PGM_RSRC2:SCRATCH_EN: 0
; COMPUTE_PGM_RSRC2:USER_SGPR: 6
; COMPUTE_PGM_RSRC2:TRAP_HANDLER: 0
; COMPUTE_PGM_RSRC2:TGID_X_EN: 1
; COMPUTE_PGM_RSRC2:TGID_Y_EN: 1
; COMPUTE_PGM_RSRC2:TGID_Z_EN: 0
; COMPUTE_PGM_RSRC2:TIDIG_COMP_CNT: 0
; COMPUTE_PGM_RSRC3_GFX90A:ACCUM_OFFSET: 21
; COMPUTE_PGM_RSRC3_GFX90A:TG_SPLIT: 0
	.section	.text._ZN5aiter35fused_qk_rmsnorm_group_quant_kernelIDF16_N4opus5fp4_tELi256ELi16ELi2ELb1ELb0ELb1ELb0ELb0ELb0EEEvPT0_PvPT_S7_S7_PKS6_S9_S9_S9_S9_ffiiiiiiiiiiiii,"axG",@progbits,_ZN5aiter35fused_qk_rmsnorm_group_quant_kernelIDF16_N4opus5fp4_tELi256ELi16ELi2ELb1ELb0ELb1ELb0ELb0ELb0EEEvPT0_PvPT_S7_S7_PKS6_S9_S9_S9_S9_ffiiiiiiiiiiiii,comdat
	.protected	_ZN5aiter35fused_qk_rmsnorm_group_quant_kernelIDF16_N4opus5fp4_tELi256ELi16ELi2ELb1ELb0ELb1ELb0ELb0ELb0EEEvPT0_PvPT_S7_S7_PKS6_S9_S9_S9_S9_ffiiiiiiiiiiiii ; -- Begin function _ZN5aiter35fused_qk_rmsnorm_group_quant_kernelIDF16_N4opus5fp4_tELi256ELi16ELi2ELb1ELb0ELb1ELb0ELb0ELb0EEEvPT0_PvPT_S7_S7_PKS6_S9_S9_S9_S9_ffiiiiiiiiiiiii
	.globl	_ZN5aiter35fused_qk_rmsnorm_group_quant_kernelIDF16_N4opus5fp4_tELi256ELi16ELi2ELb1ELb0ELb1ELb0ELb0ELb0EEEvPT0_PvPT_S7_S7_PKS6_S9_S9_S9_S9_ffiiiiiiiiiiiii
	.p2align	8
	.type	_ZN5aiter35fused_qk_rmsnorm_group_quant_kernelIDF16_N4opus5fp4_tELi256ELi16ELi2ELb1ELb0ELb1ELb0ELb0ELb0EEEvPT0_PvPT_S7_S7_PKS6_S9_S9_S9_S9_ffiiiiiiiiiiiii,@function
_ZN5aiter35fused_qk_rmsnorm_group_quant_kernelIDF16_N4opus5fp4_tELi256ELi16ELi2ELb1ELb0ELb1ELb0ELb0ELb0EEEvPT0_PvPT_S7_S7_PKS6_S9_S9_S9_S9_ffiiiiiiiiiiiii: ; @_ZN5aiter35fused_qk_rmsnorm_group_quant_kernelIDF16_N4opus5fp4_tELi256ELi16ELi2ELb1ELb0ELb1ELb0ELb0ELb0EEEvPT0_PvPT_S7_S7_PKS6_S9_S9_S9_S9_ffiiiiiiiiiiiii
; %bb.0:
	s_load_dwordx8 s[12:19], s[4:5], 0x50
	s_waitcnt lgkmcnt(0)
	s_cmp_ge_i32 s6, s14
	s_cbranch_scc1 .LBB867_17
; %bb.1:
	s_cmp_lg_u32 s7, 0
	s_cselect_b64 s[22:23], -1, 0
	s_cmp_eq_u32 s7, 0
	s_cselect_b64 s[2:3], -1, 0
	s_and_b64 s[0:1], s[2:3], exec
	s_load_dwordx2 s[20:21], s[4:5], 0x48
	s_load_dwordx2 s[34:35], s[4:5], 0x30
	s_load_dwordx4 s[24:27], s[4:5], 0x70
	s_cselect_b32 s7, s15, s16
	s_add_i32 s0, s7, 1
	s_lshr_b32 s1, s0, 31
	s_add_i32 s0, s0, s1
	s_lshl_b32 s0, s0, 1
	v_lshlrev_b32_e32 v1, 4, v0
	s_and_b32 s30, s0, -4
	v_cmp_gt_i32_e64 s[0:1], s7, v1
	v_mov_b32_e32 v6, 0
	v_mov_b32_e32 v7, 0
	;; [unrolled: 1-line block ×16, first 2 shown]
	s_and_saveexec_b64 s[8:9], s[0:1]
	s_cbranch_execz .LBB867_3
; %bb.2:
	s_load_dwordx2 s[10:11], s[4:5], 0x28
	s_load_dwordx2 s[28:29], s[4:5], 0x40
	s_and_b64 s[36:37], s[2:3], exec
	s_cselect_b32 s14, s17, s18
	s_mov_b32 s31, 0x20000
	s_waitcnt lgkmcnt(0)
	s_cselect_b32 s17, s11, s35
	s_cselect_b32 s27, s10, s34
	s_mul_hi_i32 s11, s14, s6
	s_mul_i32 s10, s14, s6
	s_lshl_b64 s[10:11], s[10:11], 1
	s_add_u32 s36, s27, s10
	s_addc_u32 s14, s17, s11
	s_and_b64 s[10:11], s[2:3], exec
	s_cselect_b32 s28, s28, s20
	s_cselect_b32 s10, s29, s21
	s_and_b32 s37, s14, 0xffff
	s_mov_b32 s38, s30
	s_mov_b32 s39, s31
	v_lshlrev_b32_e32 v18, 5, v0
	s_and_b32 s29, s10, 0xffff
	buffer_load_dwordx4 v[10:13], v18, s[36:39], 0 offen
	buffer_load_dwordx4 v[14:17], v18, s[36:39], 16 offen
	buffer_load_dwordx4 v[6:9], v18, s[28:31], 0 offen
	buffer_load_dwordx4 v[2:5], v18, s[28:31], 16 offen
.LBB867_3:
	s_or_b64 exec, exec, s[8:9]
	s_load_dwordx2 s[10:11], s[4:5], 0x80
	s_and_b64 vcc, exec, s[22:23]
	s_cbranch_vccz .LBB867_7
; %bb.4:
	v_mov_b32_e32 v19, 0
	v_mov_b32_e32 v18, 0
	;; [unrolled: 1-line block ×16, first 2 shown]
	s_and_saveexec_b64 s[8:9], s[0:1]
	s_cbranch_execz .LBB867_6
; %bb.5:
	s_waitcnt vmcnt(3)
	v_cvt_f32_f16_sdwa v29, v10 dst_sel:DWORD dst_unused:UNUSED_PAD src0_sel:WORD_1
	v_cvt_f32_f16_e32 v28, v10
	v_cvt_f32_f16_sdwa v33, v11 dst_sel:DWORD dst_unused:UNUSED_PAD src0_sel:WORD_1
	v_cvt_f32_f16_e32 v32, v11
	;; [unrolled: 2-line block ×4, first 2 shown]
	s_waitcnt vmcnt(2)
	v_cvt_f32_f16_sdwa v23, v14 dst_sel:DWORD dst_unused:UNUSED_PAD src0_sel:WORD_1
	v_cvt_f32_f16_e32 v22, v14
	v_cvt_f32_f16_sdwa v25, v15 dst_sel:DWORD dst_unused:UNUSED_PAD src0_sel:WORD_1
	v_cvt_f32_f16_e32 v24, v15
	;; [unrolled: 2-line block ×4, first 2 shown]
.LBB867_6:
	s_or_b64 exec, exec, s[8:9]
	s_cbranch_execz .LBB867_8
	s_branch .LBB867_11
.LBB867_7:
                                        ; implicit-def: $vgpr19
                                        ; implicit-def: $vgpr21
                                        ; implicit-def: $vgpr25
                                        ; implicit-def: $vgpr23
                                        ; implicit-def: $vgpr31
                                        ; implicit-def: $vgpr27
                                        ; implicit-def: $vgpr33
                                        ; implicit-def: $vgpr29
.LBB867_8:
	v_mov_b32_e32 v19, 0
	v_mov_b32_e32 v18, 0
	;; [unrolled: 1-line block ×16, first 2 shown]
	s_and_saveexec_b64 s[8:9], s[0:1]
	s_cbranch_execz .LBB867_10
; %bb.9:
	s_load_dwordx2 s[28:29], s[4:5], 0x38
	s_mul_hi_i32 s37, s19, s6
	s_mul_i32 s36, s19, s6
	s_lshl_b64 s[36:37], s[36:37], 1
	s_mov_b32 s31, 0x20000
	s_waitcnt lgkmcnt(0)
	s_add_u32 s28, s28, s36
	s_addc_u32 s14, s29, s37
	s_and_b32 s29, s14, 0xffff
	v_lshlrev_b32_e32 v48, 5, v0
	buffer_load_dwordx4 v[18:21], v48, s[28:31], 16 offen
	buffer_load_dwordx4 v[22:25], v48, s[28:31], 0 offen
	s_waitcnt vmcnt(4)
	v_cvt_f32_f16_sdwa v27, v14 dst_sel:DWORD dst_unused:UNUSED_PAD src0_sel:WORD_1
	v_cvt_f32_f16_e32 v26, v14
	v_cvt_f32_f16_sdwa v29, v15 dst_sel:DWORD dst_unused:UNUSED_PAD src0_sel:WORD_1
	v_cvt_f32_f16_e32 v28, v15
	;; [unrolled: 2-line block ×8, first 2 shown]
	s_load_dwordx2 s[28:29], s[4:5], 0x20
	s_mul_hi_i32 s37, s11, s6
	s_mul_i32 s36, s11, s6
	s_lshl_b64 s[36:37], s[36:37], 1
	s_waitcnt lgkmcnt(0)
	s_add_u32 s28, s28, s36
	s_addc_u32 s11, s29, s37
	s_and_b32 s29, s11, 0xffff
	s_waitcnt vmcnt(1)
	v_cvt_f32_f16_e32 v12, v18
	v_cvt_f32_f16_sdwa v13, v18 dst_sel:DWORD dst_unused:UNUSED_PAD src0_sel:WORD_1
	v_cvt_f32_f16_e32 v18, v19
	v_cvt_f32_f16_sdwa v19, v19 dst_sel:DWORD dst_unused:UNUSED_PAD src0_sel:WORD_1
	v_cvt_f32_f16_e32 v36, v20
	v_cvt_f32_f16_sdwa v37, v20 dst_sel:DWORD dst_unused:UNUSED_PAD src0_sel:WORD_1
	v_cvt_f32_f16_e32 v38, v21
	v_cvt_f32_f16_sdwa v39, v21 dst_sel:DWORD dst_unused:UNUSED_PAD src0_sel:WORD_1
	s_waitcnt vmcnt(0)
	v_cvt_f32_f16_e32 v40, v22
	v_cvt_f32_f16_sdwa v41, v22 dst_sel:DWORD dst_unused:UNUSED_PAD src0_sel:WORD_1
	v_cvt_f32_f16_e32 v42, v23
	v_cvt_f32_f16_sdwa v43, v23 dst_sel:DWORD dst_unused:UNUSED_PAD src0_sel:WORD_1
	;; [unrolled: 2-line block ×4, first 2 shown]
	v_pk_add_f32 v[22:23], v[26:27], v[12:13]
	v_pk_add_f32 v[24:25], v[28:29], v[18:19]
	;; [unrolled: 1-line block ×8, first 2 shown]
	v_cvt_f16_f32_e32 v10, v29
	v_cvt_f16_f32_e32 v14, v28
	;; [unrolled: 1-line block ×16, first 2 shown]
	v_pack_b32_f16 v13, v17, v13
	v_pack_b32_f16 v12, v16, v12
	;; [unrolled: 1-line block ×8, first 2 shown]
	buffer_store_dwordx4 v[10:13], v48, s[28:31], 0 offen
	;;#ASMSTART
	s_nop 0
	;;#ASMEND
	buffer_store_dwordx4 v[14:17], v48, s[28:31], 16 offen
	;;#ASMSTART
	s_nop 0
	;;#ASMEND
.LBB867_10:
	s_or_b64 exec, exec, s[8:9]
.LBB867_11:
	s_waitcnt vmcnt(3)
	v_mul_f32_e32 v10, v29, v29
	v_fmac_f32_e32 v10, v28, v28
	v_fmac_f32_e32 v10, v32, v32
	;; [unrolled: 1-line block ×15, first 2 shown]
	v_and_b32_e32 v12, 63, v0
	v_cmp_eq_u32_e64 s[8:9], 63, v12
	v_mov_b32_dpp v11, v10 quad_perm:[1,0,3,2] row_mask:0xf bank_mask:0xf
	v_add_f32_e32 v10, v10, v11
	s_nop 1
	v_mov_b32_dpp v11, v10 quad_perm:[2,3,0,1] row_mask:0xf bank_mask:0xf
	v_add_f32_e32 v10, v10, v11
	s_nop 1
	v_mov_b32_dpp v11, v10 row_half_mirror row_mask:0xf bank_mask:0xf
	v_add_f32_e32 v10, v10, v11
	s_nop 1
	v_mov_b32_dpp v11, v10 row_mirror row_mask:0xf bank_mask:0xf
	v_add_f32_e32 v10, v10, v11
	s_nop 1
	v_mov_b32_dpp v11, v10 row_bcast:15 row_mask:0xf bank_mask:0xf
	v_add_f32_e32 v10, v10, v11
	s_nop 1
	v_mov_b32_dpp v11, v10 row_bcast:31 row_mask:0xf bank_mask:0xf
	s_and_saveexec_b64 s[28:29], s[8:9]
	s_cbranch_execz .LBB867_13
; %bb.12:
	v_add_f32_e32 v10, v10, v11
	v_lshrrev_b32_e32 v11, 4, v0
	v_and_b32_e32 v11, 60, v11
	ds_write_b32 v11, v10 offset:16
.LBB867_13:
	s_or_b64 exec, exec, s[28:29]
	v_and_b32_e32 v10, 3, v0
	v_lshlrev_b32_e32 v34, 2, v10
	s_waitcnt lgkmcnt(0)
	s_barrier
	ds_read_b32 v10, v34 offset:16
	s_load_dwordx2 s[36:37], s[4:5], 0x18
	s_waitcnt lgkmcnt(0)
	v_mov_b32_dpp v11, v10 quad_perm:[1,0,3,2] row_mask:0xf bank_mask:0xf
	v_add_f32_e32 v10, v10, v11
	s_nop 1
	v_mov_b32_dpp v11, v10 quad_perm:[2,3,0,1] row_mask:0xf bank_mask:0xf
	s_and_saveexec_b64 s[28:29], s[0:1]
	s_cbranch_execnz .LBB867_18
; %bb.14:
	s_or_b64 exec, exec, s[28:29]
	s_mov_b64 s[2:3], -1
	s_and_b64 vcc, exec, s[22:23]
	s_cbranch_vccnz .LBB867_19
.LBB867_15:
	s_andn2_b64 vcc, exec, s[2:3]
	s_cbranch_vccz .LBB867_22
.LBB867_16:
	s_cmp_lt_i32 s16, 1
	s_cbranch_scc0 .LBB867_29
.LBB867_17:
	s_endpgm
.LBB867_18:
	v_cvt_f32_u32_e32 v12, s7
	v_add_f32_e32 v10, v10, v11
	s_waitcnt vmcnt(2)
	v_mov_b32_e32 v14, s13
	v_mov_b32_e32 v15, s12
	v_div_scale_f32 v11, s[38:39], v12, v12, v10
	v_rcp_f32_e32 v13, v11
	v_cndmask_b32_e64 v14, v14, v15, s[2:3]
	s_mov_b32 s2, 0x800000
	v_fma_f32 v15, -v11, v13, 1.0
	v_fmac_f32_e32 v13, v15, v13
	v_div_scale_f32 v15, vcc, v10, v12, v10
	v_mul_f32_e32 v16, v15, v13
	v_fma_f32 v17, -v11, v16, v15
	v_fmac_f32_e32 v16, v17, v13
	v_fma_f32 v11, -v11, v16, v15
	v_div_fmas_f32 v11, v11, v13, v16
	v_div_fixup_f32 v10, v11, v12, v10
	v_add_f32_e32 v10, v14, v10
	v_mul_f32_e32 v11, 0x4b800000, v10
	v_cmp_gt_f32_e32 vcc, s2, v10
	v_cndmask_b32_e32 v10, v10, v11, vcc
	v_rsq_f32_e32 v10, v10
	v_mul_f32_e32 v11, 0x45800000, v10
	v_cndmask_b32_e32 v10, v10, v11, vcc
	v_mov_b32_e32 v11, v10
	;;#ASMSTART
	v_pk_mul_f32 v[12:13], v[28:29], v[10:11]
	;;#ASMEND
	;;#ASMSTART
	v_pk_mul_f32 v[14:15], v[32:33], v[10:11]
	;;#ASMEND
	;; [unrolled: 3-line block ×3, first 2 shown]
	s_waitcnt vmcnt(1)
	v_cvt_f32_f16_sdwa v27, v6 dst_sel:DWORD dst_unused:UNUSED_PAD src0_sel:WORD_1
	v_cvt_f32_f16_e32 v26, v6
	v_cvt_f32_f16_sdwa v33, v7 dst_sel:DWORD dst_unused:UNUSED_PAD src0_sel:WORD_1
	v_cvt_f32_f16_e32 v32, v7
	;;#ASMSTART
	v_pk_mul_f32 v[30:31], v[30:31], v[10:11]
	;;#ASMEND
	;;#ASMSTART
	v_pk_mul_f32 v[22:23], v[22:23], v[10:11]
	;;#ASMEND
	;; [unrolled: 3-line block ×5, first 2 shown]
	v_pk_add_f32 v[10:11], v[26:27], 1.0 op_sel_hi:[1,0]
	;;#ASMSTART
	v_pk_mul_f32 v[28:29], v[12:13], v[10:11]
	;;#ASMEND
	v_cvt_f32_f16_sdwa v13, v8 dst_sel:DWORD dst_unused:UNUSED_PAD src0_sel:WORD_1
	v_cvt_f32_f16_e32 v12, v8
	v_cvt_f32_f16_sdwa v19, v9 dst_sel:DWORD dst_unused:UNUSED_PAD src0_sel:WORD_1
	v_cvt_f32_f16_e32 v18, v9
	v_pk_add_f32 v[10:11], v[32:33], 1.0 op_sel_hi:[1,0]
	;;#ASMSTART
	v_pk_mul_f32 v[32:33], v[14:15], v[10:11]
	;;#ASMEND
	s_waitcnt vmcnt(0)
	v_cvt_f32_f16_sdwa v11, v2 dst_sel:DWORD dst_unused:UNUSED_PAD src0_sel:WORD_1
	v_cvt_f32_f16_e32 v10, v2
	v_pk_add_f32 v[8:9], v[12:13], 1.0 op_sel_hi:[1,0]
	;;#ASMSTART
	v_pk_mul_f32 v[26:27], v[16:17], v[8:9]
	;;#ASMEND
	v_pk_add_f32 v[8:9], v[18:19], 1.0 op_sel_hi:[1,0]
	v_cvt_f32_f16_sdwa v13, v3 dst_sel:DWORD dst_unused:UNUSED_PAD src0_sel:WORD_1
	v_cvt_f32_f16_e32 v12, v3
	;;#ASMSTART
	v_pk_mul_f32 v[30:31], v[30:31], v[8:9]
	;;#ASMEND
	v_cvt_f32_f16_sdwa v9, v4 dst_sel:DWORD dst_unused:UNUSED_PAD src0_sel:WORD_1
	v_cvt_f32_f16_e32 v8, v4
	v_pk_add_f32 v[2:3], v[10:11], 1.0 op_sel_hi:[1,0]
	v_cvt_f32_f16_sdwa v11, v5 dst_sel:DWORD dst_unused:UNUSED_PAD src0_sel:WORD_1
	v_cvt_f32_f16_e32 v10, v5
	;;#ASMSTART
	v_pk_mul_f32 v[22:23], v[22:23], v[2:3]
	;;#ASMEND
	v_pk_add_f32 v[2:3], v[12:13], 1.0 op_sel_hi:[1,0]
	;;#ASMSTART
	v_pk_mul_f32 v[24:25], v[24:25], v[2:3]
	;;#ASMEND
	v_pk_add_f32 v[2:3], v[8:9], 1.0 op_sel_hi:[1,0]
	;; [unrolled: 4-line block ×3, first 2 shown]
	;;#ASMSTART
	v_pk_mul_f32 v[18:19], v[6:7], v[2:3]
	;;#ASMEND
	s_or_b64 exec, exec, s[28:29]
	s_mov_b64 s[2:3], -1
	s_and_b64 vcc, exec, s[22:23]
	s_cbranch_vccz .LBB867_15
.LBB867_19:
	s_and_saveexec_b64 s[2:3], s[0:1]
	s_cbranch_execz .LBB867_21
; %bb.20:
	s_mul_hi_i32 s23, s10, s6
	s_mul_i32 s22, s10, s6
	s_waitcnt vmcnt(0)
	v_cvt_f16_f32_e32 v2, v28
	v_cvt_f16_f32_e32 v3, v32
	;; [unrolled: 1-line block ×8, first 2 shown]
	s_lshl_b64 s[22:23], s[22:23], 1
	s_add_u32 s28, s36, s22
	s_addc_u32 s7, s37, s23
	s_and_b32 s29, s7, 0xffff
	s_mov_b32 s31, 0x20000
	v_pack_b32_f16 v5, v5, v6
	v_pack_b32_f16 v4, v4, v7
	;; [unrolled: 1-line block ×4, first 2 shown]
	v_lshlrev_b32_e32 v6, 5, v0
	buffer_store_dwordx4 v[2:5], v6, s[28:31], 0 offen
	v_cvt_f16_f32_e32 v7, v19
	v_cvt_f16_f32_e32 v2, v22
	;; [unrolled: 1-line block ×8, first 2 shown]
	v_pack_b32_f16 v5, v5, v7
	v_pack_b32_f16 v4, v4, v8
	;; [unrolled: 1-line block ×4, first 2 shown]
	;;#ASMSTART
	s_nop 0
	;;#ASMEND
	buffer_store_dwordx4 v[2:5], v6, s[28:31], 16 offen
	;;#ASMSTART
	s_nop 0
	;;#ASMEND
.LBB867_21:
	s_or_b64 exec, exec, s[2:3]
	s_cbranch_execnz .LBB867_16
.LBB867_22:
	s_waitcnt vmcnt(0)
	v_mov_b32_e32 v2, 0
	s_and_saveexec_b64 s[2:3], s[0:1]
	s_cbranch_execz .LBB867_24
; %bb.23:
	v_and_b32_e32 v2, 0x7fffffff, v28
	v_and_b32_e32 v3, 0x7fffffff, v29
	v_mov_b32_e32 v4, 0x2edbe6ff
	;;#ASMSTART
	v_max3_f32 v2, v4, v2, v3

	;;#ASMEND
	v_and_b32_e32 v3, 0x7fffffff, v32
	v_and_b32_e32 v4, 0x7fffffff, v33
	;;#ASMSTART
	v_max3_f32 v2, v2, v3, v4

	;;#ASMEND
	v_and_b32_e32 v3, 0x7fffffff, v26
	v_and_b32_e32 v4, 0x7fffffff, v27
	;; [unrolled: 6-line block ×7, first 2 shown]
	;;#ASMSTART
	v_max3_f32 v2, v2, v3, v4

	;;#ASMEND
.LBB867_24:
	s_or_b64 exec, exec, s[2:3]
	;;#ASMSTART
	v_max_f32 v3, v2, v2 quad_perm:[1,0,3,2] row_mask:0xf bank_mask:0xf bound_ctrl:1
	;;#ASMEND
	v_and_b32_e32 v2, 1, v0
	v_cmp_eq_u32_e32 vcc, 0, v2
	v_cmp_gt_i32_e64 s[2:3], s15, v1
	s_and_b64 s[22:23], vcc, s[2:3]
	s_and_saveexec_b64 s[2:3], s[22:23]
	s_cbranch_execz .LBB867_26
; %bb.25:
	s_load_dwordx2 s[22:23], s[4:5], 0x8
	v_mul_f32_e32 v2, 0x3e2aaaab, v3
	v_lshrrev_b32_e32 v3, 23, v2
	v_and_b32_e32 v4, 0x7f800000, v2
	v_and_b32_e32 v2, 0x7fffff, v2
	v_cmp_ne_u32_e32 vcc, 0, v2
	s_mul_i32 s12, s25, s6
	s_mov_b32 s7, 0x7f800000
	v_addc_co_u32_e32 v2, vcc, 0, v3, vcc
	s_mul_hi_i32 s11, s25, s6
	s_waitcnt lgkmcnt(0)
	s_add_u32 s22, s22, s12
	v_cmp_ne_u32_e32 vcc, s7, v4
	s_addc_u32 s23, s23, s11
	v_lshrrev_b32_e32 v5, 1, v0
	v_cndmask_b32_e32 v4, -1, v2, vcc
	v_pk_mov_b32 v[2:3], s[22:23], s[22:23] op_sel:[0,1]
	v_mad_i64_i32 v[2:3], s[22:23], s26, v5, v[2:3]
	global_store_byte v[2:3], v4, off
.LBB867_26:
	s_or_b64 exec, exec, s[2:3]
	s_and_saveexec_b64 s[2:3], s[0:1]
	s_cbranch_execz .LBB867_28
; %bb.27:
	s_load_dwordx2 s[0:1], s[4:5], 0x0
	s_mul_i32 s11, s24, s6
	s_mul_hi_i32 s7, s24, s6
	v_mov_b32_e32 v2, 0
	v_lshlrev_b32_e32 v4, 3, v0
	s_waitcnt lgkmcnt(0)
	s_add_u32 s24, s0, s11
	s_addc_u32 s0, s1, s7
	s_lshr_b32 s1, s15, 31
	s_add_i32 s1, s15, s1
	s_ashr_i32 s1, s1, 1
	s_add_i32 s1, s1, 3
	s_ashr_i32 s7, s1, 31
	s_lshr_b32 s7, s7, 30
	s_add_i32 s1, s1, s7
	s_and_b32 s26, s1, -4
	s_and_b32 s25, s0, 0xffff
	s_mov_b32 s27, 0x20000
	v_mov_b32_e32 v3, v2
	buffer_store_dwordx2 v[2:3], v4, s[24:27], 0 offen
	;;#ASMSTART
	s_nop 0
	;;#ASMEND
.LBB867_28:
	s_or_b64 exec, exec, s[2:3]
	s_cmp_lt_i32 s16, 1
	s_cbranch_scc1 .LBB867_17
.LBB867_29:
	s_load_dword s0, s[4:5], 0x94
	s_waitcnt lgkmcnt(0)
	s_cmp_lg_u32 s0, 1
	s_cbranch_scc1 .LBB867_17
; %bb.30:
	s_lshl_b32 s0, s16, 1
	s_add_i32 s0, s0, 2
	v_cmp_gt_u32_e32 vcc, s16, v1
	s_and_b32 s22, s0, -4
	v_mov_b32_e32 v18, 0
	v_lshlrev_b32_e32 v1, 5, v0
	s_waitcnt vmcnt(2)
	v_mov_b32_e32 v14, 0
	v_mov_b32_e32 v15, 0
	;; [unrolled: 1-line block ×8, first 2 shown]
	s_waitcnt vmcnt(1)
	v_mov_b32_e32 v6, 0
	v_mov_b32_e32 v7, 0
	;; [unrolled: 1-line block ×4, first 2 shown]
	s_waitcnt vmcnt(0)
	v_mov_b32_e32 v2, 0
	v_mov_b32_e32 v3, 0
	v_mov_b32_e32 v4, 0
	v_mov_b32_e32 v5, 0
	s_barrier
	s_and_saveexec_b64 s[0:1], vcc
	s_cbranch_execz .LBB867_32
; %bb.31:
	s_mul_hi_i32 s3, s18, s6
	s_mul_i32 s2, s18, s6
	s_and_b32 s21, s21, 0xffff
	s_lshl_b64 s[2:3], s[2:3], 1
	s_add_u32 s24, s34, s2
	s_mov_b32 s23, 0x20000
	s_addc_u32 s2, s35, s3
	s_and_b32 s25, s2, 0xffff
	s_mov_b32 s26, s22
	s_mov_b32 s27, s23
	buffer_load_dwordx4 v[14:17], v1, s[24:27], 0 offen
	buffer_load_dwordx4 v[10:13], v1, s[24:27], 16 offen
	;; [unrolled: 1-line block ×4, first 2 shown]
.LBB867_32:
	s_or_b64 exec, exec, s[0:1]
	v_mov_b32_e32 v19, 0
	v_mov_b32_e32 v32, 0
	;; [unrolled: 1-line block ×15, first 2 shown]
	s_and_saveexec_b64 s[0:1], vcc
	s_cbranch_execz .LBB867_34
; %bb.33:
	s_waitcnt vmcnt(3)
	v_cvt_f32_f16_sdwa v19, v14 dst_sel:DWORD dst_unused:UNUSED_PAD src0_sel:WORD_1
	v_cvt_f32_f16_e32 v18, v14
	v_cvt_f32_f16_sdwa v33, v15 dst_sel:DWORD dst_unused:UNUSED_PAD src0_sel:WORD_1
	v_cvt_f32_f16_e32 v32, v15
	;; [unrolled: 2-line block ×4, first 2 shown]
	s_waitcnt vmcnt(2)
	v_cvt_f32_f16_sdwa v27, v10 dst_sel:DWORD dst_unused:UNUSED_PAD src0_sel:WORD_1
	v_cvt_f32_f16_e32 v26, v10
	v_cvt_f32_f16_sdwa v25, v11 dst_sel:DWORD dst_unused:UNUSED_PAD src0_sel:WORD_1
	v_cvt_f32_f16_e32 v24, v11
	;; [unrolled: 2-line block ×4, first 2 shown]
.LBB867_34:
	s_or_b64 exec, exec, s[0:1]
	s_waitcnt vmcnt(2)
	v_mul_f32_e32 v10, v19, v19
	v_fmac_f32_e32 v10, v18, v18
	v_fmac_f32_e32 v10, v32, v32
	;; [unrolled: 1-line block ×15, first 2 shown]
	s_nop 1
	v_mov_b32_dpp v11, v10 quad_perm:[1,0,3,2] row_mask:0xf bank_mask:0xf
	v_add_f32_e32 v10, v10, v11
	s_nop 1
	v_mov_b32_dpp v11, v10 quad_perm:[2,3,0,1] row_mask:0xf bank_mask:0xf
	v_add_f32_e32 v10, v10, v11
	s_nop 1
	v_mov_b32_dpp v11, v10 row_half_mirror row_mask:0xf bank_mask:0xf
	v_add_f32_e32 v10, v10, v11
	s_nop 1
	v_mov_b32_dpp v11, v10 row_mirror row_mask:0xf bank_mask:0xf
	v_add_f32_e32 v10, v10, v11
	s_nop 1
	v_mov_b32_dpp v11, v10 row_bcast:15 row_mask:0xf bank_mask:0xf
	v_add_f32_e32 v10, v10, v11
	s_nop 1
	v_mov_b32_dpp v11, v10 row_bcast:31 row_mask:0xf bank_mask:0xf
	s_and_saveexec_b64 s[0:1], s[8:9]
	s_cbranch_execz .LBB867_36
; %bb.35:
	v_lshrrev_b32_e32 v0, 4, v0
	v_add_f32_e32 v10, v10, v11
	v_and_b32_e32 v0, 60, v0
	ds_write_b32 v0, v10
.LBB867_36:
	s_or_b64 exec, exec, s[0:1]
	s_waitcnt lgkmcnt(0)
	s_barrier
	ds_read_b32 v0, v34
	s_waitcnt lgkmcnt(0)
	s_nop 0
	v_mov_b32_dpp v10, v0 quad_perm:[1,0,3,2] row_mask:0xf bank_mask:0xf
	v_add_f32_e32 v0, v0, v10
	s_nop 1
	v_mov_b32_dpp v10, v0 quad_perm:[2,3,0,1] row_mask:0xf bank_mask:0xf
	s_and_saveexec_b64 s[0:1], vcc
	s_cbranch_execz .LBB867_17
; %bb.37:
	v_cvt_f32_u32_e32 v11, s16
	v_add_f32_e32 v0, v0, v10
	s_mov_b32 s23, 0x20000
	v_div_scale_f32 v10, s[0:1], v11, v11, v0
	v_rcp_f32_e32 v12, v10
	v_div_scale_f32 v13, vcc, v0, v11, v0
	s_mov_b32 s0, 0x800000
	v_fma_f32 v14, -v10, v12, 1.0
	v_fmac_f32_e32 v12, v14, v12
	v_mul_f32_e32 v14, v13, v12
	v_fma_f32 v15, -v10, v14, v13
	v_fmac_f32_e32 v14, v15, v12
	v_fma_f32 v10, -v10, v14, v13
	v_div_fmas_f32 v10, v10, v12, v14
	v_div_fixup_f32 v0, v10, v11, v0
	v_add_f32_e32 v0, s13, v0
	v_mul_f32_e32 v10, 0x4b800000, v0
	v_cmp_gt_f32_e32 vcc, s0, v0
	v_cndmask_b32_e32 v0, v0, v10, vcc
	v_rsq_f32_e32 v0, v0
	s_mul_hi_i32 s1, s10, s6
	s_mul_i32 s0, s10, s6
	s_lshl_b64 s[0:1], s[0:1], 1
	v_mul_f32_e32 v10, 0x45800000, v0
	v_cndmask_b32_e32 v10, v0, v10, vcc
	v_mov_b32_e32 v11, v10
	;;#ASMSTART
	v_pk_mul_f32 v[12:13], v[18:19], v[10:11]
	;;#ASMEND
	;;#ASMSTART
	v_pk_mul_f32 v[14:15], v[32:33], v[10:11]
	;;#ASMEND
	;; [unrolled: 3-line block ×4, first 2 shown]
	s_waitcnt vmcnt(1)
	v_cvt_f32_f16_sdwa v29, v6 dst_sel:DWORD dst_unused:UNUSED_PAD src0_sel:WORD_1
	v_cvt_f32_f16_e32 v28, v6
	v_cvt_f32_f16_sdwa v31, v7 dst_sel:DWORD dst_unused:UNUSED_PAD src0_sel:WORD_1
	v_cvt_f32_f16_e32 v30, v7
	;;#ASMSTART
	v_pk_mul_f32 v[26:27], v[26:27], v[10:11]
	;;#ASMEND
	;;#ASMSTART
	v_pk_mul_f32 v[24:25], v[24:25], v[10:11]
	;;#ASMEND
	;; [unrolled: 3-line block ×4, first 2 shown]
	v_cvt_f32_f16_sdwa v21, v8 dst_sel:DWORD dst_unused:UNUSED_PAD src0_sel:WORD_1
	v_cvt_f32_f16_e32 v20, v8
	v_pk_add_f32 v[10:11], v[28:29], 1.0 op_sel_hi:[1,0]
	;;#ASMSTART
	v_pk_mul_f32 v[10:11], v[12:13], v[10:11]
	;;#ASMEND
	v_pk_add_f32 v[12:13], v[30:31], 1.0 op_sel_hi:[1,0]
	v_cvt_f32_f16_sdwa v29, v9 dst_sel:DWORD dst_unused:UNUSED_PAD src0_sel:WORD_1
	v_cvt_f32_f16_e32 v28, v9
	;;#ASMSTART
	v_pk_mul_f32 v[8:9], v[14:15], v[12:13]
	;;#ASMEND
	v_pk_add_f32 v[12:13], v[20:21], 1.0 op_sel_hi:[1,0]
	;;#ASMSTART
	v_pk_mul_f32 v[12:13], v[16:17], v[12:13]
	;;#ASMEND
	s_waitcnt vmcnt(0)
	v_cvt_f32_f16_sdwa v17, v2 dst_sel:DWORD dst_unused:UNUSED_PAD src0_sel:WORD_1
	v_cvt_f32_f16_e32 v16, v2
	v_cvt_f32_f16_sdwa v21, v3 dst_sel:DWORD dst_unused:UNUSED_PAD src0_sel:WORD_1
	v_cvt_f32_f16_e32 v20, v3
	v_pk_add_f32 v[14:15], v[28:29], 1.0 op_sel_hi:[1,0]
	;;#ASMSTART
	v_pk_mul_f32 v[2:3], v[18:19], v[14:15]
	;;#ASMEND
	v_cvt_f32_f16_sdwa v19, v4 dst_sel:DWORD dst_unused:UNUSED_PAD src0_sel:WORD_1
	v_cvt_f32_f16_e32 v18, v4
	v_pk_add_f32 v[14:15], v[16:17], 1.0 op_sel_hi:[1,0]
	v_pk_add_f32 v[16:17], v[20:21], 1.0 op_sel_hi:[1,0]
	v_cvt_f32_f16_sdwa v21, v5 dst_sel:DWORD dst_unused:UNUSED_PAD src0_sel:WORD_1
	v_cvt_f32_f16_e32 v20, v5
	v_pk_add_f32 v[4:5], v[18:19], 1.0 op_sel_hi:[1,0]
	;;#ASMSTART
	v_pk_mul_f32 v[14:15], v[26:27], v[14:15]
	;;#ASMEND
	;;#ASMSTART
	v_pk_mul_f32 v[16:17], v[24:25], v[16:17]
	;;#ASMEND
	;;#ASMSTART
	v_pk_mul_f32 v[18:19], v[22:23], v[4:5]
	;;#ASMEND
	v_pk_add_f32 v[4:5], v[20:21], 1.0 op_sel_hi:[1,0]
	;;#ASMSTART
	v_pk_mul_f32 v[6:7], v[6:7], v[4:5]
	;;#ASMEND
	v_cvt_f16_f32_e32 v0, v10
	v_cvt_f16_f32_e32 v4, v11
	;; [unrolled: 1-line block ×8, first 2 shown]
	s_add_u32 s20, s36, s0
	s_addc_u32 s0, s37, s1
	s_and_b32 s21, s0, 0xffff
	v_pack_b32_f16 v2, v0, v4
	v_pack_b32_f16 v3, v5, v8
	;; [unrolled: 1-line block ×4, first 2 shown]
	buffer_store_dwordx4 v[2:5], v1, s[20:23], 0 offen
	v_cvt_f16_f32_e32 v0, v14
	v_cvt_f16_f32_e32 v2, v15
	;; [unrolled: 1-line block ×8, first 2 shown]
	v_pack_b32_f16 v2, v0, v2
	v_pack_b32_f16 v3, v3, v4
	;; [unrolled: 1-line block ×4, first 2 shown]
	;;#ASMSTART
	s_nop 0
	;;#ASMEND
	buffer_store_dwordx4 v[2:5], v1, s[20:23], 16 offen
	;;#ASMSTART
	s_nop 0
	;;#ASMEND
	s_endpgm
	.section	.rodata,"a",@progbits
	.p2align	6, 0x0
	.amdhsa_kernel _ZN5aiter35fused_qk_rmsnorm_group_quant_kernelIDF16_N4opus5fp4_tELi256ELi16ELi2ELb1ELb0ELb1ELb0ELb0ELb0EEEvPT0_PvPT_S7_S7_PKS6_S9_S9_S9_S9_ffiiiiiiiiiiiii
		.amdhsa_group_segment_fixed_size 32
		.amdhsa_private_segment_fixed_size 0
		.amdhsa_kernarg_size 400
		.amdhsa_user_sgpr_count 6
		.amdhsa_user_sgpr_private_segment_buffer 1
		.amdhsa_user_sgpr_dispatch_ptr 0
		.amdhsa_user_sgpr_queue_ptr 0
		.amdhsa_user_sgpr_kernarg_segment_ptr 1
		.amdhsa_user_sgpr_dispatch_id 0
		.amdhsa_user_sgpr_flat_scratch_init 0
		.amdhsa_user_sgpr_kernarg_preload_length 0
		.amdhsa_user_sgpr_kernarg_preload_offset 0
		.amdhsa_user_sgpr_private_segment_size 0
		.amdhsa_uses_dynamic_stack 0
		.amdhsa_system_sgpr_private_segment_wavefront_offset 0
		.amdhsa_system_sgpr_workgroup_id_x 1
		.amdhsa_system_sgpr_workgroup_id_y 1
		.amdhsa_system_sgpr_workgroup_id_z 0
		.amdhsa_system_sgpr_workgroup_info 0
		.amdhsa_system_vgpr_workitem_id 0
		.amdhsa_next_free_vgpr 49
		.amdhsa_next_free_sgpr 40
		.amdhsa_accum_offset 52
		.amdhsa_reserve_vcc 1
		.amdhsa_reserve_flat_scratch 0
		.amdhsa_float_round_mode_32 0
		.amdhsa_float_round_mode_16_64 0
		.amdhsa_float_denorm_mode_32 3
		.amdhsa_float_denorm_mode_16_64 3
		.amdhsa_dx10_clamp 1
		.amdhsa_ieee_mode 1
		.amdhsa_fp16_overflow 0
		.amdhsa_tg_split 0
		.amdhsa_exception_fp_ieee_invalid_op 0
		.amdhsa_exception_fp_denorm_src 0
		.amdhsa_exception_fp_ieee_div_zero 0
		.amdhsa_exception_fp_ieee_overflow 0
		.amdhsa_exception_fp_ieee_underflow 0
		.amdhsa_exception_fp_ieee_inexact 0
		.amdhsa_exception_int_div_zero 0
	.end_amdhsa_kernel
	.section	.text._ZN5aiter35fused_qk_rmsnorm_group_quant_kernelIDF16_N4opus5fp4_tELi256ELi16ELi2ELb1ELb0ELb1ELb0ELb0ELb0EEEvPT0_PvPT_S7_S7_PKS6_S9_S9_S9_S9_ffiiiiiiiiiiiii,"axG",@progbits,_ZN5aiter35fused_qk_rmsnorm_group_quant_kernelIDF16_N4opus5fp4_tELi256ELi16ELi2ELb1ELb0ELb1ELb0ELb0ELb0EEEvPT0_PvPT_S7_S7_PKS6_S9_S9_S9_S9_ffiiiiiiiiiiiii,comdat
.Lfunc_end867:
	.size	_ZN5aiter35fused_qk_rmsnorm_group_quant_kernelIDF16_N4opus5fp4_tELi256ELi16ELi2ELb1ELb0ELb1ELb0ELb0ELb0EEEvPT0_PvPT_S7_S7_PKS6_S9_S9_S9_S9_ffiiiiiiiiiiiii, .Lfunc_end867-_ZN5aiter35fused_qk_rmsnorm_group_quant_kernelIDF16_N4opus5fp4_tELi256ELi16ELi2ELb1ELb0ELb1ELb0ELb0ELb0EEEvPT0_PvPT_S7_S7_PKS6_S9_S9_S9_S9_ffiiiiiiiiiiiii
                                        ; -- End function
	.section	.AMDGPU.csdata,"",@progbits
; Kernel info:
; codeLenInByte = 3872
; NumSgprs: 44
; NumVgprs: 49
; NumAgprs: 0
; TotalNumVgprs: 49
; ScratchSize: 0
; MemoryBound: 0
; FloatMode: 240
; IeeeMode: 1
; LDSByteSize: 32 bytes/workgroup (compile time only)
; SGPRBlocks: 5
; VGPRBlocks: 6
; NumSGPRsForWavesPerEU: 44
; NumVGPRsForWavesPerEU: 49
; AccumOffset: 52
; Occupancy: 8
; WaveLimiterHint : 0
; COMPUTE_PGM_RSRC2:SCRATCH_EN: 0
; COMPUTE_PGM_RSRC2:USER_SGPR: 6
; COMPUTE_PGM_RSRC2:TRAP_HANDLER: 0
; COMPUTE_PGM_RSRC2:TGID_X_EN: 1
; COMPUTE_PGM_RSRC2:TGID_Y_EN: 1
; COMPUTE_PGM_RSRC2:TGID_Z_EN: 0
; COMPUTE_PGM_RSRC2:TIDIG_COMP_CNT: 0
; COMPUTE_PGM_RSRC3_GFX90A:ACCUM_OFFSET: 12
; COMPUTE_PGM_RSRC3_GFX90A:TG_SPLIT: 0
	.section	.text._ZN5aiter35fused_qk_rmsnorm_group_quant_kernelItN4opus5fp4_tELi256ELi16ELi2ELb1ELb0ELb1ELb0ELb0ELb0EEEvPT0_PvPT_S7_S7_PKS6_S9_S9_S9_S9_ffiiiiiiiiiiiii,"axG",@progbits,_ZN5aiter35fused_qk_rmsnorm_group_quant_kernelItN4opus5fp4_tELi256ELi16ELi2ELb1ELb0ELb1ELb0ELb0ELb0EEEvPT0_PvPT_S7_S7_PKS6_S9_S9_S9_S9_ffiiiiiiiiiiiii,comdat
	.protected	_ZN5aiter35fused_qk_rmsnorm_group_quant_kernelItN4opus5fp4_tELi256ELi16ELi2ELb1ELb0ELb1ELb0ELb0ELb0EEEvPT0_PvPT_S7_S7_PKS6_S9_S9_S9_S9_ffiiiiiiiiiiiii ; -- Begin function _ZN5aiter35fused_qk_rmsnorm_group_quant_kernelItN4opus5fp4_tELi256ELi16ELi2ELb1ELb0ELb1ELb0ELb0ELb0EEEvPT0_PvPT_S7_S7_PKS6_S9_S9_S9_S9_ffiiiiiiiiiiiii
	.globl	_ZN5aiter35fused_qk_rmsnorm_group_quant_kernelItN4opus5fp4_tELi256ELi16ELi2ELb1ELb0ELb1ELb0ELb0ELb0EEEvPT0_PvPT_S7_S7_PKS6_S9_S9_S9_S9_ffiiiiiiiiiiiii
	.p2align	8
	.type	_ZN5aiter35fused_qk_rmsnorm_group_quant_kernelItN4opus5fp4_tELi256ELi16ELi2ELb1ELb0ELb1ELb0ELb0ELb0EEEvPT0_PvPT_S7_S7_PKS6_S9_S9_S9_S9_ffiiiiiiiiiiiii,@function
_ZN5aiter35fused_qk_rmsnorm_group_quant_kernelItN4opus5fp4_tELi256ELi16ELi2ELb1ELb0ELb1ELb0ELb0ELb0EEEvPT0_PvPT_S7_S7_PKS6_S9_S9_S9_S9_ffiiiiiiiiiiiii: ; @_ZN5aiter35fused_qk_rmsnorm_group_quant_kernelItN4opus5fp4_tELi256ELi16ELi2ELb1ELb0ELb1ELb0ELb0ELb0EEEvPT0_PvPT_S7_S7_PKS6_S9_S9_S9_S9_ffiiiiiiiiiiiii
; %bb.0:
	s_load_dwordx8 s[12:19], s[4:5], 0x50
	s_waitcnt lgkmcnt(0)
	s_cmp_ge_i32 s6, s14
	s_cbranch_scc1 .LBB868_17
; %bb.1:
	s_cmp_lg_u32 s7, 0
	s_cselect_b64 s[22:23], -1, 0
	s_cmp_eq_u32 s7, 0
	s_cselect_b64 s[2:3], -1, 0
	s_and_b64 s[0:1], s[2:3], exec
	s_load_dwordx2 s[20:21], s[4:5], 0x48
	s_load_dwordx2 s[34:35], s[4:5], 0x30
	s_load_dwordx4 s[24:27], s[4:5], 0x70
	s_cselect_b32 s7, s15, s16
	s_add_i32 s0, s7, 1
	s_lshr_b32 s1, s0, 31
	s_add_i32 s0, s0, s1
	s_lshl_b32 s0, s0, 1
	v_lshlrev_b32_e32 v1, 4, v0
	s_and_b32 s30, s0, -4
	v_cmp_gt_i32_e64 s[0:1], s7, v1
	v_mov_b32_e32 v62, 0
	v_mov_b32_e32 v63, 0
	;; [unrolled: 1-line block ×16, first 2 shown]
	s_and_saveexec_b64 s[8:9], s[0:1]
	s_cbranch_execz .LBB868_3
; %bb.2:
	s_load_dwordx2 s[10:11], s[4:5], 0x28
	s_load_dwordx2 s[28:29], s[4:5], 0x40
	s_and_b64 s[36:37], s[2:3], exec
	s_cselect_b32 s14, s17, s18
	s_mov_b32 s31, 0x20000
	s_waitcnt lgkmcnt(0)
	s_cselect_b32 s17, s11, s35
	s_cselect_b32 s27, s10, s34
	s_mul_hi_i32 s11, s14, s6
	s_mul_i32 s10, s14, s6
	s_lshl_b64 s[10:11], s[10:11], 1
	s_add_u32 s36, s27, s10
	s_addc_u32 s14, s17, s11
	s_and_b64 s[10:11], s[2:3], exec
	s_cselect_b32 s28, s28, s20
	s_cselect_b32 s10, s29, s21
	s_and_b32 s37, s14, 0xffff
	s_mov_b32 s38, s30
	s_mov_b32 s39, s31
	v_lshlrev_b32_e32 v2, 5, v0
	s_and_b32 s29, s10, 0xffff
	buffer_load_dwordx4 v[66:69], v2, s[36:39], 0 offen
	buffer_load_dwordx4 v[70:73], v2, s[36:39], 16 offen
	;; [unrolled: 1-line block ×4, first 2 shown]
.LBB868_3:
	s_or_b64 exec, exec, s[8:9]
	s_load_dwordx2 s[10:11], s[4:5], 0x80
	s_and_b64 vcc, exec, s[22:23]
	s_cbranch_vccz .LBB868_7
; %bb.4:
	v_mov_b32_e32 v75, 0
	v_mov_b32_e32 v74, 0
	;; [unrolled: 1-line block ×16, first 2 shown]
	s_and_saveexec_b64 s[8:9], s[0:1]
	s_cbranch_execz .LBB868_6
; %bb.5:
	s_waitcnt vmcnt(3)
	v_cvt_f32_u32_sdwa v2, v66 dst_sel:DWORD dst_unused:UNUSED_PAD src0_sel:WORD_0
	v_cvt_f32_u32_sdwa v3, v66 dst_sel:DWORD dst_unused:UNUSED_PAD src0_sel:WORD_1
	v_cvt_f32_u32_sdwa v6, v67 dst_sel:DWORD dst_unused:UNUSED_PAD src0_sel:WORD_0
	v_cvt_f32_u32_sdwa v7, v67 dst_sel:DWORD dst_unused:UNUSED_PAD src0_sel:WORD_1
	;; [unrolled: 2-line block ×4, first 2 shown]
	s_waitcnt vmcnt(2)
	v_cvt_f32_u32_sdwa v50, v70 dst_sel:DWORD dst_unused:UNUSED_PAD src0_sel:WORD_0
	v_cvt_f32_u32_sdwa v51, v70 dst_sel:DWORD dst_unused:UNUSED_PAD src0_sel:WORD_1
	v_cvt_f32_u32_sdwa v24, v71 dst_sel:DWORD dst_unused:UNUSED_PAD src0_sel:WORD_0
	v_cvt_f32_u32_sdwa v25, v71 dst_sel:DWORD dst_unused:UNUSED_PAD src0_sel:WORD_1
	;; [unrolled: 2-line block ×4, first 2 shown]
.LBB868_6:
	s_or_b64 exec, exec, s[8:9]
	s_cbranch_execz .LBB868_8
	s_branch .LBB868_11
.LBB868_7:
                                        ; implicit-def: $vgpr2_vgpr3_vgpr4_vgpr5_vgpr6_vgpr7_vgpr8_vgpr9_vgpr10_vgpr11_vgpr12_vgpr13_vgpr14_vgpr15_vgpr16_vgpr17
                                        ; implicit-def: $vgpr36_vgpr37_vgpr38_vgpr39_vgpr40_vgpr41_vgpr42_vgpr43_vgpr44_vgpr45_vgpr46_vgpr47_vgpr48_vgpr49_vgpr50_vgpr51
                                        ; implicit-def: $vgpr4_vgpr5_vgpr6_vgpr7_vgpr8_vgpr9_vgpr10_vgpr11_vgpr12_vgpr13_vgpr14_vgpr15_vgpr16_vgpr17_vgpr18_vgpr19
                                        ; implicit-def: $vgpr24_vgpr25_vgpr26_vgpr27_vgpr28_vgpr29_vgpr30_vgpr31_vgpr32_vgpr33_vgpr34_vgpr35_vgpr36_vgpr37_vgpr38_vgpr39
                                        ; implicit-def: $vgpr75
                                        ; implicit-def: $vgpr42_vgpr43_vgpr44_vgpr45_vgpr46_vgpr47_vgpr48_vgpr49_vgpr50_vgpr51_vgpr52_vgpr53_vgpr54_vgpr55_vgpr56_vgpr57
                                        ; implicit-def: $vgpr14_vgpr15_vgpr16_vgpr17_vgpr18_vgpr19_vgpr20_vgpr21_vgpr22_vgpr23_vgpr24_vgpr25_vgpr26_vgpr27_vgpr28_vgpr29
                                        ; implicit-def: $vgpr8_vgpr9_vgpr10_vgpr11_vgpr12_vgpr13_vgpr14_vgpr15_vgpr16_vgpr17_vgpr18_vgpr19_vgpr20_vgpr21_vgpr22_vgpr23
.LBB868_8:
	v_mov_b32_e32 v75, 0
	v_mov_b32_e32 v74, 0
	;; [unrolled: 1-line block ×16, first 2 shown]
	s_and_saveexec_b64 s[8:9], s[0:1]
	s_cbranch_execz .LBB868_10
; %bb.9:
	s_load_dwordx2 s[28:29], s[4:5], 0x38
	s_mul_hi_i32 s37, s19, s6
	s_mul_i32 s36, s19, s6
	s_lshl_b64 s[36:37], s[36:37], 1
	s_mov_b32 s31, 0x20000
	s_waitcnt lgkmcnt(0)
	s_add_u32 s28, s28, s36
	s_addc_u32 s14, s29, s37
	s_and_b32 s29, s14, 0xffff
	v_lshlrev_b32_e32 v38, 5, v0
	buffer_load_dwordx4 v[6:9], v38, s[28:31], 16 offen
	buffer_load_dwordx4 v[10:13], v38, s[28:31], 0 offen
	s_load_dwordx2 s[28:29], s[4:5], 0x20
	s_waitcnt vmcnt(5)
	v_cvt_f32_u32_sdwa v3, v66 dst_sel:DWORD dst_unused:UNUSED_PAD src0_sel:WORD_1
	v_cvt_f32_u32_sdwa v2, v66 dst_sel:DWORD dst_unused:UNUSED_PAD src0_sel:WORD_0
	v_cvt_f32_u32_sdwa v21, v67 dst_sel:DWORD dst_unused:UNUSED_PAD src0_sel:WORD_1
	v_cvt_f32_u32_sdwa v20, v67 dst_sel:DWORD dst_unused:UNUSED_PAD src0_sel:WORD_0
	;; [unrolled: 2-line block ×4, first 2 shown]
	s_waitcnt vmcnt(4)
	v_cvt_f32_u32_sdwa v5, v70 dst_sel:DWORD dst_unused:UNUSED_PAD src0_sel:WORD_1
	v_cvt_f32_u32_sdwa v4, v70 dst_sel:DWORD dst_unused:UNUSED_PAD src0_sel:WORD_0
	v_cvt_f32_u32_sdwa v15, v71 dst_sel:DWORD dst_unused:UNUSED_PAD src0_sel:WORD_1
	v_cvt_f32_u32_sdwa v14, v71 dst_sel:DWORD dst_unused:UNUSED_PAD src0_sel:WORD_0
	;; [unrolled: 2-line block ×3, first 2 shown]
	v_cvt_f32_u32_sdwa v18, v73 dst_sel:DWORD dst_unused:UNUSED_PAD src0_sel:WORD_0
	v_cvt_f32_u32_sdwa v19, v73 dst_sel:DWORD dst_unused:UNUSED_PAD src0_sel:WORD_1
	s_mul_hi_i32 s37, s11, s6
	s_mul_i32 s36, s11, s6
	s_lshl_b64 s[36:37], s[36:37], 1
	s_waitcnt lgkmcnt(0)
	s_add_u32 s28, s28, s36
	s_mov_b32 s11, 0x7060302
	s_addc_u32 s14, s29, s37
	s_and_b32 s29, s14, 0xffff
	s_waitcnt vmcnt(1)
	v_cvt_f32_u32_sdwa v27, v6 dst_sel:DWORD dst_unused:UNUSED_PAD src0_sel:WORD_1
	v_cvt_f32_u32_sdwa v26, v6 dst_sel:DWORD dst_unused:UNUSED_PAD src0_sel:WORD_0
	v_cvt_f32_u32_sdwa v29, v7 dst_sel:DWORD dst_unused:UNUSED_PAD src0_sel:WORD_1
	v_cvt_f32_u32_sdwa v28, v7 dst_sel:DWORD dst_unused:UNUSED_PAD src0_sel:WORD_0
	;; [unrolled: 2-line block ×3, first 2 shown]
	v_cvt_f32_u32_sdwa v34, v9 dst_sel:DWORD dst_unused:UNUSED_PAD src0_sel:WORD_0
	v_cvt_f32_u32_sdwa v35, v9 dst_sel:DWORD dst_unused:UNUSED_PAD src0_sel:WORD_1
	s_waitcnt vmcnt(0)
	v_cvt_f32_u32_sdwa v37, v10 dst_sel:DWORD dst_unused:UNUSED_PAD src0_sel:WORD_1
	v_cvt_f32_u32_sdwa v36, v10 dst_sel:DWORD dst_unused:UNUSED_PAD src0_sel:WORD_0
	v_cvt_f32_u32_sdwa v7, v12 dst_sel:DWORD dst_unused:UNUSED_PAD src0_sel:WORD_1
	v_cvt_f32_u32_sdwa v6, v12 dst_sel:DWORD dst_unused:UNUSED_PAD src0_sel:WORD_0
	;; [unrolled: 2-line block ×4, first 2 shown]
	v_pk_add_f32 v[40:41], v[22:23], v[6:7]
	v_pk_add_f32 v[30:31], v[24:25], v[8:9]
	;; [unrolled: 1-line block ×4, first 2 shown]
	v_perm_b32 v11, v31, v30, s11
	v_perm_b32 v10, v41, v40, s11
	;; [unrolled: 1-line block ×4, first 2 shown]
	v_pk_add_f32 v[74:75], v[18:19], v[34:35]
	v_pk_add_f32 v[20:21], v[16:17], v[32:33]
	v_pk_add_f32 v[24:25], v[14:15], v[28:29]
	v_pk_add_f32 v[50:51], v[4:5], v[26:27]
	buffer_store_dwordx4 v[8:11], v38, s[28:31], 0 offen
	;;#ASMSTART
	s_nop 0
	;;#ASMEND
	s_nop 0
	v_perm_b32 v11, v75, v74, s11
	v_perm_b32 v10, v21, v20, s11
	;; [unrolled: 1-line block ×4, first 2 shown]
	buffer_store_dwordx4 v[8:11], v38, s[28:31], 16 offen
	;;#ASMSTART
	s_nop 0
	;;#ASMEND
.LBB868_10:
	s_or_b64 exec, exec, s[8:9]
.LBB868_11:
	v_mul_f32_e32 v4, v3, v3
	v_fmac_f32_e32 v4, v2, v2
	v_fmac_f32_e32 v4, v6, v6
	;; [unrolled: 1-line block ×15, first 2 shown]
	s_nop 1
	v_mov_b32_dpp v5, v4 quad_perm:[1,0,3,2] row_mask:0xf bank_mask:0xf
	v_add_f32_e32 v4, v4, v5
	s_nop 1
	v_mov_b32_dpp v5, v4 quad_perm:[2,3,0,1] row_mask:0xf bank_mask:0xf
	v_add_f32_e32 v4, v4, v5
	s_nop 1
	v_mov_b32_dpp v5, v4 row_half_mirror row_mask:0xf bank_mask:0xf
	v_add_f32_e32 v4, v4, v5
	s_nop 1
	v_mov_b32_dpp v5, v4 row_mirror row_mask:0xf bank_mask:0xf
	v_add_f32_e32 v4, v4, v5
	s_nop 1
	v_mov_b32_dpp v5, v4 row_bcast:15 row_mask:0xf bank_mask:0xf
	v_add_f32_e32 v4, v4, v5
	v_and_b32_e32 v5, 63, v0
	v_cmp_eq_u32_e64 s[8:9], 63, v5
	s_nop 0
	v_mov_b32_dpp v5, v4 row_bcast:31 row_mask:0xf bank_mask:0xf
	s_and_saveexec_b64 s[28:29], s[8:9]
	s_cbranch_execz .LBB868_13
; %bb.12:
	v_add_f32_e32 v4, v4, v5
	v_lshrrev_b32_e32 v5, 4, v0
	v_and_b32_e32 v5, 60, v5
	ds_write_b32 v5, v4 offset:16
.LBB868_13:
	s_or_b64 exec, exec, s[28:29]
	v_and_b32_e32 v4, 3, v0
	v_lshlrev_b32_e32 v34, 2, v4
	s_waitcnt lgkmcnt(0)
	s_barrier
	ds_read_b32 v4, v34 offset:16
	s_load_dwordx2 s[36:37], s[4:5], 0x18
	s_waitcnt lgkmcnt(0)
	v_mov_b32_dpp v5, v4 quad_perm:[1,0,3,2] row_mask:0xf bank_mask:0xf
	v_add_f32_e32 v4, v4, v5
	s_nop 1
	v_mov_b32_dpp v5, v4 quad_perm:[2,3,0,1] row_mask:0xf bank_mask:0xf
	s_and_saveexec_b64 s[28:29], s[0:1]
	s_cbranch_execnz .LBB868_18
; %bb.14:
	s_or_b64 exec, exec, s[28:29]
	s_mov_b64 s[2:3], -1
	s_and_b64 vcc, exec, s[22:23]
	s_cbranch_vccnz .LBB868_19
.LBB868_15:
	s_andn2_b64 vcc, exec, s[2:3]
	s_cbranch_vccz .LBB868_22
.LBB868_16:
	s_cmp_lt_i32 s16, 1
	s_cbranch_scc0 .LBB868_29
.LBB868_17:
	s_endpgm
.LBB868_18:
	v_add_f32_e32 v4, v4, v5
	v_cvt_f32_u32_e32 v5, s7
	s_waitcnt vmcnt(1)
	v_cvt_f32_u32_sdwa v15, v62 dst_sel:DWORD dst_unused:UNUSED_PAD src0_sel:WORD_1
	v_cvt_f32_u32_sdwa v14, v62 dst_sel:DWORD dst_unused:UNUSED_PAD src0_sel:WORD_0
	v_cvt_f32_u32_sdwa v23, v65 dst_sel:DWORD dst_unused:UNUSED_PAD src0_sel:WORD_1
	v_div_scale_f32 v8, s[38:39], v5, v5, v4
	v_rcp_f32_e32 v9, v8
	v_pk_add_f32 v[14:15], v[14:15], 1.0 op_sel_hi:[1,0]
	v_cvt_f32_u32_sdwa v22, v65 dst_sel:DWORD dst_unused:UNUSED_PAD src0_sel:WORD_0
	s_waitcnt vmcnt(0)
	v_cvt_f32_u32_sdwa v27, v60 dst_sel:DWORD dst_unused:UNUSED_PAD src0_sel:WORD_1
	v_fma_f32 v10, -v8, v9, 1.0
	v_fmac_f32_e32 v9, v10, v9
	v_div_scale_f32 v10, vcc, v4, v5, v4
	v_mul_f32_e32 v11, v10, v9
	v_fma_f32 v12, -v8, v11, v10
	v_fmac_f32_e32 v11, v12, v9
	v_fma_f32 v8, -v8, v11, v10
	v_div_fmas_f32 v8, v8, v9, v11
	v_div_fixup_f32 v4, v8, v5, v4
	v_mov_b32_e32 v5, s13
	v_mov_b32_e32 v8, s12
	v_cndmask_b32_e64 v5, v5, v8, s[2:3]
	v_add_f32_e32 v4, v5, v4
	s_mov_b32 s2, 0x800000
	v_mul_f32_e32 v5, 0x4b800000, v4
	v_cmp_gt_f32_e32 vcc, s2, v4
	v_cndmask_b32_e32 v4, v4, v5, vcc
	v_rsq_f32_e32 v4, v4
	v_cvt_f32_u32_sdwa v26, v60 dst_sel:DWORD dst_unused:UNUSED_PAD src0_sel:WORD_0
	v_cvt_f32_u32_sdwa v29, v61 dst_sel:DWORD dst_unused:UNUSED_PAD src0_sel:WORD_1
	v_cvt_f32_u32_sdwa v28, v61 dst_sel:DWORD dst_unused:UNUSED_PAD src0_sel:WORD_0
	v_mul_f32_e32 v5, 0x45800000, v4
	v_cndmask_b32_e32 v4, v4, v5, vcc
	v_mov_b32_e32 v5, v4
	;;#ASMSTART
	v_pk_mul_f32 v[2:3], v[2:3], v[4:5]
	;;#ASMEND
	;;#ASMSTART
	v_pk_mul_f32 v[6:7], v[6:7], v[4:5]
	;;#ASMEND
	;; [unrolled: 3-line block ×9, first 2 shown]
	v_cvt_f32_u32_sdwa v15, v63 dst_sel:DWORD dst_unused:UNUSED_PAD src0_sel:WORD_1
	v_cvt_f32_u32_sdwa v14, v63 dst_sel:DWORD dst_unused:UNUSED_PAD src0_sel:WORD_0
	v_cvt_f32_u32_sdwa v21, v64 dst_sel:DWORD dst_unused:UNUSED_PAD src0_sel:WORD_1
	v_cvt_f32_u32_sdwa v20, v64 dst_sel:DWORD dst_unused:UNUSED_PAD src0_sel:WORD_0
	v_cvt_f32_u32_sdwa v25, v59 dst_sel:DWORD dst_unused:UNUSED_PAD src0_sel:WORD_1
	v_pk_add_f32 v[14:15], v[14:15], 1.0 op_sel_hi:[1,0]
	v_cvt_f32_u32_sdwa v24, v59 dst_sel:DWORD dst_unused:UNUSED_PAD src0_sel:WORD_0
	;;#ASMSTART
	v_pk_mul_f32 v[6:7], v[6:7], v[14:15]
	;;#ASMEND
	v_pk_add_f32 v[14:15], v[20:21], 1.0 op_sel_hi:[1,0]
	v_pk_add_f32 v[20:21], v[22:23], 1.0 op_sel_hi:[1,0]
	v_cvt_f32_u32_sdwa v23, v58 dst_sel:DWORD dst_unused:UNUSED_PAD src0_sel:WORD_1
	v_cvt_f32_u32_sdwa v22, v58 dst_sel:DWORD dst_unused:UNUSED_PAD src0_sel:WORD_0
	v_pk_add_f32 v[24:25], v[24:25], 1.0 op_sel_hi:[1,0]
	v_pk_add_f32 v[26:27], v[26:27], 1.0 op_sel_hi:[1,0]
	;; [unrolled: 1-line block ×4, first 2 shown]
	;;#ASMSTART
	v_pk_mul_f32 v[40:41], v[8:9], v[14:15]
	;;#ASMEND
	;;#ASMSTART
	v_pk_mul_f32 v[30:31], v[10:11], v[20:21]
	;;#ASMEND
	;; [unrolled: 3-line block ×6, first 2 shown]
	s_or_b64 exec, exec, s[28:29]
	s_mov_b64 s[2:3], -1
	s_and_b64 vcc, exec, s[22:23]
	s_cbranch_vccz .LBB868_15
.LBB868_19:
	s_and_saveexec_b64 s[2:3], s[0:1]
	s_cbranch_execz .LBB868_21
; %bb.20:
	s_mul_hi_i32 s23, s10, s6
	s_mul_i32 s22, s10, s6
	s_lshl_b64 s[22:23], s[22:23], 1
	s_add_u32 s28, s36, s22
	s_addc_u32 s7, s37, s23
	s_and_b32 s29, s7, 0xffff
	s_mov_b32 s7, 0x7060302
	s_mov_b32 s31, 0x20000
	v_perm_b32 v11, v31, v30, s7
	v_perm_b32 v10, v41, v40, s7
	;; [unrolled: 1-line block ×4, first 2 shown]
	v_lshlrev_b32_e32 v4, 5, v0
	buffer_store_dwordx4 v[8:11], v4, s[28:31], 0 offen
	;;#ASMSTART
	s_nop 0
	;;#ASMEND
	s_nop 0
	v_perm_b32 v11, v75, v74, s7
	v_perm_b32 v10, v21, v20, s7
	;; [unrolled: 1-line block ×4, first 2 shown]
	buffer_store_dwordx4 v[8:11], v4, s[28:31], 16 offen
	;;#ASMSTART
	s_nop 0
	;;#ASMEND
.LBB868_21:
	s_or_b64 exec, exec, s[2:3]
	s_cbranch_execnz .LBB868_16
.LBB868_22:
	v_mov_b32_e32 v4, 0
	s_and_saveexec_b64 s[2:3], s[0:1]
	s_cbranch_execz .LBB868_24
; %bb.23:
	v_and_b32_e32 v2, 0x7fffffff, v2
	v_and_b32_e32 v3, 0x7fffffff, v3
	v_mov_b32_e32 v10, 0x2edbe6ff
	;;#ASMSTART
	v_max3_f32 v2, v10, v2, v3

	;;#ASMEND
	v_and_b32_e32 v4, 0x7fffffff, v6
	v_and_b32_e32 v5, 0x7fffffff, v7
	;;#ASMSTART
	v_max3_f32 v2, v2, v4, v5

	;;#ASMEND
	v_and_b32_e32 v6, 0x7fffffff, v40
	v_and_b32_e32 v7, 0x7fffffff, v41
	;; [unrolled: 6-line block ×7, first 2 shown]
	;;#ASMSTART
	v_max3_f32 v4, v2, v3, v4

	;;#ASMEND
.LBB868_24:
	s_or_b64 exec, exec, s[2:3]
	v_and_b32_e32 v3, 1, v0
	v_cmp_eq_u32_e32 vcc, 0, v3
	v_cmp_gt_i32_e64 s[2:3], s15, v1
	s_and_b64 s[22:23], vcc, s[2:3]
	;;#ASMSTART
	v_max_f32 v2, v4, v4 quad_perm:[1,0,3,2] row_mask:0xf bank_mask:0xf bound_ctrl:1
	;;#ASMEND
	s_and_saveexec_b64 s[2:3], s[22:23]
	s_cbranch_execz .LBB868_26
; %bb.25:
	s_load_dwordx2 s[22:23], s[4:5], 0x8
	v_mul_f32_e32 v2, 0x3e2aaaab, v2
	v_lshrrev_b32_e32 v3, 23, v2
	v_and_b32_e32 v4, 0x7f800000, v2
	v_and_b32_e32 v2, 0x7fffff, v2
	v_cmp_ne_u32_e32 vcc, 0, v2
	s_mul_i32 s12, s25, s6
	s_mov_b32 s7, 0x7f800000
	v_addc_co_u32_e32 v2, vcc, 0, v3, vcc
	s_mul_hi_i32 s11, s25, s6
	s_waitcnt lgkmcnt(0)
	s_add_u32 s22, s22, s12
	v_cmp_ne_u32_e32 vcc, s7, v4
	s_addc_u32 s23, s23, s11
	v_lshrrev_b32_e32 v5, 1, v0
	v_cndmask_b32_e32 v4, -1, v2, vcc
	v_pk_mov_b32 v[2:3], s[22:23], s[22:23] op_sel:[0,1]
	v_mad_i64_i32 v[2:3], s[22:23], s26, v5, v[2:3]
	global_store_byte v[2:3], v4, off
.LBB868_26:
	s_or_b64 exec, exec, s[2:3]
	s_and_saveexec_b64 s[2:3], s[0:1]
	s_cbranch_execz .LBB868_28
; %bb.27:
	s_load_dwordx2 s[0:1], s[4:5], 0x0
	s_mul_i32 s11, s24, s6
	s_mul_hi_i32 s7, s24, s6
	v_mov_b32_e32 v2, 0
	v_lshlrev_b32_e32 v4, 3, v0
	s_waitcnt lgkmcnt(0)
	s_add_u32 s24, s0, s11
	s_addc_u32 s0, s1, s7
	s_lshr_b32 s1, s15, 31
	s_add_i32 s1, s15, s1
	s_ashr_i32 s1, s1, 1
	s_add_i32 s1, s1, 3
	s_ashr_i32 s7, s1, 31
	s_lshr_b32 s7, s7, 30
	s_add_i32 s1, s1, s7
	s_and_b32 s26, s1, -4
	s_and_b32 s25, s0, 0xffff
	s_mov_b32 s27, 0x20000
	v_mov_b32_e32 v3, v2
	buffer_store_dwordx2 v[2:3], v4, s[24:27], 0 offen
	;;#ASMSTART
	s_nop 0
	;;#ASMEND
.LBB868_28:
	s_or_b64 exec, exec, s[2:3]
	s_cmp_lt_i32 s16, 1
	s_cbranch_scc1 .LBB868_17
.LBB868_29:
	s_load_dword s0, s[4:5], 0x94
	s_waitcnt lgkmcnt(0)
	s_cmp_lg_u32 s0, 1
	s_cbranch_scc1 .LBB868_17
; %bb.30:
	s_lshl_b32 s0, s16, 1
	s_add_i32 s0, s0, 2
	v_cmp_gt_u32_e32 vcc, s16, v1
	s_and_b32 s22, s0, -4
	v_mov_b32_e32 v18, 0
	v_lshlrev_b32_e32 v1, 5, v0
	v_mov_b32_e32 v14, 0
	v_mov_b32_e32 v15, 0
	;; [unrolled: 1-line block ×16, first 2 shown]
	s_barrier
	s_and_saveexec_b64 s[0:1], vcc
	s_cbranch_execz .LBB868_32
; %bb.31:
	s_mul_hi_i32 s3, s18, s6
	s_mul_i32 s2, s18, s6
	s_and_b32 s21, s21, 0xffff
	s_lshl_b64 s[2:3], s[2:3], 1
	s_add_u32 s24, s34, s2
	s_mov_b32 s23, 0x20000
	s_addc_u32 s2, s35, s3
	s_and_b32 s25, s2, 0xffff
	s_mov_b32 s26, s22
	s_mov_b32 s27, s23
	buffer_load_dwordx4 v[14:17], v1, s[24:27], 0 offen
	buffer_load_dwordx4 v[10:13], v1, s[24:27], 16 offen
	;; [unrolled: 1-line block ×4, first 2 shown]
.LBB868_32:
	s_or_b64 exec, exec, s[0:1]
	v_mov_b32_e32 v19, 0
	v_mov_b32_e32 v32, 0
	;; [unrolled: 1-line block ×15, first 2 shown]
	s_and_saveexec_b64 s[0:1], vcc
	s_cbranch_execz .LBB868_34
; %bb.33:
	s_waitcnt vmcnt(3)
	v_cvt_f32_u32_sdwa v18, v14 dst_sel:DWORD dst_unused:UNUSED_PAD src0_sel:WORD_0
	v_cvt_f32_u32_sdwa v19, v14 dst_sel:DWORD dst_unused:UNUSED_PAD src0_sel:WORD_1
	v_cvt_f32_u32_sdwa v32, v15 dst_sel:DWORD dst_unused:UNUSED_PAD src0_sel:WORD_0
	v_cvt_f32_u32_sdwa v33, v15 dst_sel:DWORD dst_unused:UNUSED_PAD src0_sel:WORD_1
	;; [unrolled: 2-line block ×4, first 2 shown]
	s_waitcnt vmcnt(2)
	v_cvt_f32_u32_sdwa v26, v10 dst_sel:DWORD dst_unused:UNUSED_PAD src0_sel:WORD_0
	v_cvt_f32_u32_sdwa v27, v10 dst_sel:DWORD dst_unused:UNUSED_PAD src0_sel:WORD_1
	v_cvt_f32_u32_sdwa v24, v11 dst_sel:DWORD dst_unused:UNUSED_PAD src0_sel:WORD_0
	v_cvt_f32_u32_sdwa v25, v11 dst_sel:DWORD dst_unused:UNUSED_PAD src0_sel:WORD_1
	;; [unrolled: 2-line block ×4, first 2 shown]
.LBB868_34:
	s_or_b64 exec, exec, s[0:1]
	s_waitcnt vmcnt(2)
	v_mul_f32_e32 v10, v19, v19
	v_fmac_f32_e32 v10, v18, v18
	v_fmac_f32_e32 v10, v32, v32
	;; [unrolled: 1-line block ×15, first 2 shown]
	s_nop 1
	v_mov_b32_dpp v11, v10 quad_perm:[1,0,3,2] row_mask:0xf bank_mask:0xf
	v_add_f32_e32 v10, v10, v11
	s_nop 1
	v_mov_b32_dpp v11, v10 quad_perm:[2,3,0,1] row_mask:0xf bank_mask:0xf
	v_add_f32_e32 v10, v10, v11
	s_nop 1
	v_mov_b32_dpp v11, v10 row_half_mirror row_mask:0xf bank_mask:0xf
	v_add_f32_e32 v10, v10, v11
	s_nop 1
	v_mov_b32_dpp v11, v10 row_mirror row_mask:0xf bank_mask:0xf
	v_add_f32_e32 v10, v10, v11
	s_nop 1
	v_mov_b32_dpp v11, v10 row_bcast:15 row_mask:0xf bank_mask:0xf
	v_add_f32_e32 v10, v10, v11
	s_nop 1
	v_mov_b32_dpp v11, v10 row_bcast:31 row_mask:0xf bank_mask:0xf
	s_and_saveexec_b64 s[0:1], s[8:9]
	s_cbranch_execz .LBB868_36
; %bb.35:
	v_lshrrev_b32_e32 v0, 4, v0
	v_add_f32_e32 v10, v10, v11
	v_and_b32_e32 v0, 60, v0
	ds_write_b32 v0, v10
.LBB868_36:
	s_or_b64 exec, exec, s[0:1]
	s_waitcnt lgkmcnt(0)
	s_barrier
	ds_read_b32 v0, v34
	s_waitcnt lgkmcnt(0)
	s_nop 0
	v_mov_b32_dpp v10, v0 quad_perm:[1,0,3,2] row_mask:0xf bank_mask:0xf
	v_add_f32_e32 v0, v0, v10
	s_nop 1
	v_mov_b32_dpp v10, v0 quad_perm:[2,3,0,1] row_mask:0xf bank_mask:0xf
	s_and_saveexec_b64 s[0:1], vcc
	s_cbranch_execz .LBB868_17
; %bb.37:
	v_cvt_f32_u32_e32 v11, s16
	v_add_f32_e32 v0, v0, v10
	s_mov_b32 s23, 0x20000
	v_div_scale_f32 v10, s[0:1], v11, v11, v0
	v_rcp_f32_e32 v12, v10
	v_div_scale_f32 v13, vcc, v0, v11, v0
	s_mov_b32 s0, 0x800000
	v_fma_f32 v14, -v10, v12, 1.0
	v_fmac_f32_e32 v12, v14, v12
	v_mul_f32_e32 v14, v13, v12
	v_fma_f32 v15, -v10, v14, v13
	v_fmac_f32_e32 v14, v15, v12
	v_fma_f32 v10, -v10, v14, v13
	v_div_fmas_f32 v10, v10, v12, v14
	v_div_fixup_f32 v0, v10, v11, v0
	v_add_f32_e32 v0, s13, v0
	v_mul_f32_e32 v10, 0x4b800000, v0
	v_cmp_gt_f32_e32 vcc, s0, v0
	v_cndmask_b32_e32 v0, v0, v10, vcc
	v_rsq_f32_e32 v0, v0
	s_mul_hi_i32 s1, s10, s6
	s_mul_i32 s0, s10, s6
	s_lshl_b64 s[0:1], s[0:1], 1
	v_mul_f32_e32 v10, 0x45800000, v0
	v_cndmask_b32_e32 v10, v0, v10, vcc
	v_mov_b32_e32 v11, v10
	;;#ASMSTART
	v_pk_mul_f32 v[12:13], v[18:19], v[10:11]
	;;#ASMEND
	;;#ASMSTART
	v_pk_mul_f32 v[14:15], v[32:33], v[10:11]
	;;#ASMEND
	;;#ASMSTART
	v_pk_mul_f32 v[16:17], v[30:31], v[10:11]
	;;#ASMEND
	;;#ASMSTART
	v_pk_mul_f32 v[18:19], v[28:29], v[10:11]
	;;#ASMEND
	s_waitcnt vmcnt(1)
	v_cvt_f32_u32_sdwa v29, v6 dst_sel:DWORD dst_unused:UNUSED_PAD src0_sel:WORD_1
	v_cvt_f32_u32_sdwa v28, v6 dst_sel:DWORD dst_unused:UNUSED_PAD src0_sel:WORD_0
	v_cvt_f32_u32_sdwa v31, v7 dst_sel:DWORD dst_unused:UNUSED_PAD src0_sel:WORD_1
	v_cvt_f32_u32_sdwa v30, v7 dst_sel:DWORD dst_unused:UNUSED_PAD src0_sel:WORD_0
	;;#ASMSTART
	v_pk_mul_f32 v[26:27], v[26:27], v[10:11]
	;;#ASMEND
	;;#ASMSTART
	v_pk_mul_f32 v[24:25], v[24:25], v[10:11]
	;;#ASMEND
	;; [unrolled: 3-line block ×4, first 2 shown]
	v_cvt_f32_u32_sdwa v21, v8 dst_sel:DWORD dst_unused:UNUSED_PAD src0_sel:WORD_1
	v_cvt_f32_u32_sdwa v20, v8 dst_sel:DWORD dst_unused:UNUSED_PAD src0_sel:WORD_0
	v_pk_add_f32 v[10:11], v[28:29], 1.0 op_sel_hi:[1,0]
	;;#ASMSTART
	v_pk_mul_f32 v[10:11], v[12:13], v[10:11]
	;;#ASMEND
	v_pk_add_f32 v[12:13], v[30:31], 1.0 op_sel_hi:[1,0]
	v_cvt_f32_u32_sdwa v29, v9 dst_sel:DWORD dst_unused:UNUSED_PAD src0_sel:WORD_1
	v_cvt_f32_u32_sdwa v28, v9 dst_sel:DWORD dst_unused:UNUSED_PAD src0_sel:WORD_0
	;;#ASMSTART
	v_pk_mul_f32 v[8:9], v[14:15], v[12:13]
	;;#ASMEND
	v_pk_add_f32 v[12:13], v[20:21], 1.0 op_sel_hi:[1,0]
	;;#ASMSTART
	v_pk_mul_f32 v[12:13], v[16:17], v[12:13]
	;;#ASMEND
	s_waitcnt vmcnt(0)
	v_cvt_f32_u32_sdwa v17, v2 dst_sel:DWORD dst_unused:UNUSED_PAD src0_sel:WORD_1
	v_cvt_f32_u32_sdwa v16, v2 dst_sel:DWORD dst_unused:UNUSED_PAD src0_sel:WORD_0
	v_cvt_f32_u32_sdwa v21, v3 dst_sel:DWORD dst_unused:UNUSED_PAD src0_sel:WORD_1
	v_cvt_f32_u32_sdwa v20, v3 dst_sel:DWORD dst_unused:UNUSED_PAD src0_sel:WORD_0
	v_pk_add_f32 v[14:15], v[28:29], 1.0 op_sel_hi:[1,0]
	;;#ASMSTART
	v_pk_mul_f32 v[14:15], v[18:19], v[14:15]
	;;#ASMEND
	v_pk_add_f32 v[2:3], v[16:17], 1.0 op_sel_hi:[1,0]
	v_cvt_f32_u32_sdwa v19, v4 dst_sel:DWORD dst_unused:UNUSED_PAD src0_sel:WORD_1
	v_cvt_f32_u32_sdwa v18, v4 dst_sel:DWORD dst_unused:UNUSED_PAD src0_sel:WORD_0
	;;#ASMSTART
	v_pk_mul_f32 v[16:17], v[26:27], v[2:3]
	;;#ASMEND
	v_pk_add_f32 v[2:3], v[20:21], 1.0 op_sel_hi:[1,0]
	v_cvt_f32_u32_sdwa v21, v5 dst_sel:DWORD dst_unused:UNUSED_PAD src0_sel:WORD_1
	v_cvt_f32_u32_sdwa v20, v5 dst_sel:DWORD dst_unused:UNUSED_PAD src0_sel:WORD_0
	s_add_u32 s20, s36, s0
	;;#ASMSTART
	v_pk_mul_f32 v[24:25], v[24:25], v[2:3]
	;;#ASMEND
	v_pk_add_f32 v[2:3], v[18:19], 1.0 op_sel_hi:[1,0]
	s_addc_u32 s0, s37, s1
	;;#ASMSTART
	v_pk_mul_f32 v[18:19], v[22:23], v[2:3]
	;;#ASMEND
	v_pk_add_f32 v[2:3], v[20:21], 1.0 op_sel_hi:[1,0]
	s_and_b32 s21, s0, 0xffff
	s_mov_b32 s0, 0x7060302
	;;#ASMSTART
	v_pk_mul_f32 v[6:7], v[6:7], v[2:3]
	;;#ASMEND
	v_perm_b32 v2, v11, v10, s0
	v_perm_b32 v3, v9, v8, s0
	;; [unrolled: 1-line block ×4, first 2 shown]
	buffer_store_dwordx4 v[2:5], v1, s[20:23], 0 offen
	;;#ASMSTART
	s_nop 0
	;;#ASMEND
	s_nop 0
	v_perm_b32 v2, v17, v16, s0
	v_perm_b32 v3, v25, v24, s0
	v_perm_b32 v4, v19, v18, s0
	v_perm_b32 v5, v7, v6, s0
	buffer_store_dwordx4 v[2:5], v1, s[20:23], 16 offen
	;;#ASMSTART
	s_nop 0
	;;#ASMEND
	s_endpgm
	.section	.rodata,"a",@progbits
	.p2align	6, 0x0
	.amdhsa_kernel _ZN5aiter35fused_qk_rmsnorm_group_quant_kernelItN4opus5fp4_tELi256ELi16ELi2ELb1ELb0ELb1ELb0ELb0ELb0EEEvPT0_PvPT_S7_S7_PKS6_S9_S9_S9_S9_ffiiiiiiiiiiiii
		.amdhsa_group_segment_fixed_size 32
		.amdhsa_private_segment_fixed_size 0
		.amdhsa_kernarg_size 400
		.amdhsa_user_sgpr_count 6
		.amdhsa_user_sgpr_private_segment_buffer 1
		.amdhsa_user_sgpr_dispatch_ptr 0
		.amdhsa_user_sgpr_queue_ptr 0
		.amdhsa_user_sgpr_kernarg_segment_ptr 1
		.amdhsa_user_sgpr_dispatch_id 0
		.amdhsa_user_sgpr_flat_scratch_init 0
		.amdhsa_user_sgpr_kernarg_preload_length 0
		.amdhsa_user_sgpr_kernarg_preload_offset 0
		.amdhsa_user_sgpr_private_segment_size 0
		.amdhsa_uses_dynamic_stack 0
		.amdhsa_system_sgpr_private_segment_wavefront_offset 0
		.amdhsa_system_sgpr_workgroup_id_x 1
		.amdhsa_system_sgpr_workgroup_id_y 1
		.amdhsa_system_sgpr_workgroup_id_z 0
		.amdhsa_system_sgpr_workgroup_info 0
		.amdhsa_system_vgpr_workitem_id 0
		.amdhsa_next_free_vgpr 76
		.amdhsa_next_free_sgpr 40
		.amdhsa_accum_offset 76
		.amdhsa_reserve_vcc 1
		.amdhsa_reserve_flat_scratch 0
		.amdhsa_float_round_mode_32 0
		.amdhsa_float_round_mode_16_64 0
		.amdhsa_float_denorm_mode_32 3
		.amdhsa_float_denorm_mode_16_64 3
		.amdhsa_dx10_clamp 1
		.amdhsa_ieee_mode 1
		.amdhsa_fp16_overflow 0
		.amdhsa_tg_split 0
		.amdhsa_exception_fp_ieee_invalid_op 0
		.amdhsa_exception_fp_denorm_src 0
		.amdhsa_exception_fp_ieee_div_zero 0
		.amdhsa_exception_fp_ieee_overflow 0
		.amdhsa_exception_fp_ieee_underflow 0
		.amdhsa_exception_fp_ieee_inexact 0
		.amdhsa_exception_int_div_zero 0
	.end_amdhsa_kernel
	.section	.text._ZN5aiter35fused_qk_rmsnorm_group_quant_kernelItN4opus5fp4_tELi256ELi16ELi2ELb1ELb0ELb1ELb0ELb0ELb0EEEvPT0_PvPT_S7_S7_PKS6_S9_S9_S9_S9_ffiiiiiiiiiiiii,"axG",@progbits,_ZN5aiter35fused_qk_rmsnorm_group_quant_kernelItN4opus5fp4_tELi256ELi16ELi2ELb1ELb0ELb1ELb0ELb0ELb0EEEvPT0_PvPT_S7_S7_PKS6_S9_S9_S9_S9_ffiiiiiiiiiiiii,comdat
.Lfunc_end868:
	.size	_ZN5aiter35fused_qk_rmsnorm_group_quant_kernelItN4opus5fp4_tELi256ELi16ELi2ELb1ELb0ELb1ELb0ELb0ELb0EEEvPT0_PvPT_S7_S7_PKS6_S9_S9_S9_S9_ffiiiiiiiiiiiii, .Lfunc_end868-_ZN5aiter35fused_qk_rmsnorm_group_quant_kernelItN4opus5fp4_tELi256ELi16ELi2ELb1ELb0ELb1ELb0ELb0ELb0EEEvPT0_PvPT_S7_S7_PKS6_S9_S9_S9_S9_ffiiiiiiiiiiiii
                                        ; -- End function
	.section	.AMDGPU.csdata,"",@progbits
; Kernel info:
; codeLenInByte = 3888
; NumSgprs: 44
; NumVgprs: 76
; NumAgprs: 0
; TotalNumVgprs: 76
; ScratchSize: 0
; MemoryBound: 0
; FloatMode: 240
; IeeeMode: 1
; LDSByteSize: 32 bytes/workgroup (compile time only)
; SGPRBlocks: 5
; VGPRBlocks: 9
; NumSGPRsForWavesPerEU: 44
; NumVGPRsForWavesPerEU: 76
; AccumOffset: 76
; Occupancy: 6
; WaveLimiterHint : 0
; COMPUTE_PGM_RSRC2:SCRATCH_EN: 0
; COMPUTE_PGM_RSRC2:USER_SGPR: 6
; COMPUTE_PGM_RSRC2:TRAP_HANDLER: 0
; COMPUTE_PGM_RSRC2:TGID_X_EN: 1
; COMPUTE_PGM_RSRC2:TGID_Y_EN: 1
; COMPUTE_PGM_RSRC2:TGID_Z_EN: 0
; COMPUTE_PGM_RSRC2:TIDIG_COMP_CNT: 0
; COMPUTE_PGM_RSRC3_GFX90A:ACCUM_OFFSET: 18
; COMPUTE_PGM_RSRC3_GFX90A:TG_SPLIT: 0
	.section	.text._ZN5aiter35fused_qk_rmsnorm_group_quant_kernelIDF16_DB8_Li256ELi16ELi2ELb1ELb0ELb0ELb0ELb0ELb0EEEvPT0_PvPT_S6_S6_PKS5_S8_S8_S8_S8_ffiiiiiiiiiiiii,"axG",@progbits,_ZN5aiter35fused_qk_rmsnorm_group_quant_kernelIDF16_DB8_Li256ELi16ELi2ELb1ELb0ELb0ELb0ELb0ELb0EEEvPT0_PvPT_S6_S6_PKS5_S8_S8_S8_S8_ffiiiiiiiiiiiii,comdat
	.protected	_ZN5aiter35fused_qk_rmsnorm_group_quant_kernelIDF16_DB8_Li256ELi16ELi2ELb1ELb0ELb0ELb0ELb0ELb0EEEvPT0_PvPT_S6_S6_PKS5_S8_S8_S8_S8_ffiiiiiiiiiiiii ; -- Begin function _ZN5aiter35fused_qk_rmsnorm_group_quant_kernelIDF16_DB8_Li256ELi16ELi2ELb1ELb0ELb0ELb0ELb0ELb0EEEvPT0_PvPT_S6_S6_PKS5_S8_S8_S8_S8_ffiiiiiiiiiiiii
	.globl	_ZN5aiter35fused_qk_rmsnorm_group_quant_kernelIDF16_DB8_Li256ELi16ELi2ELb1ELb0ELb0ELb0ELb0ELb0EEEvPT0_PvPT_S6_S6_PKS5_S8_S8_S8_S8_ffiiiiiiiiiiiii
	.p2align	8
	.type	_ZN5aiter35fused_qk_rmsnorm_group_quant_kernelIDF16_DB8_Li256ELi16ELi2ELb1ELb0ELb0ELb0ELb0ELb0EEEvPT0_PvPT_S6_S6_PKS5_S8_S8_S8_S8_ffiiiiiiiiiiiii,@function
_ZN5aiter35fused_qk_rmsnorm_group_quant_kernelIDF16_DB8_Li256ELi16ELi2ELb1ELb0ELb0ELb0ELb0ELb0EEEvPT0_PvPT_S6_S6_PKS5_S8_S8_S8_S8_ffiiiiiiiiiiiii: ; @_ZN5aiter35fused_qk_rmsnorm_group_quant_kernelIDF16_DB8_Li256ELi16ELi2ELb1ELb0ELb0ELb0ELb0ELb0EEEvPT0_PvPT_S6_S6_PKS5_S8_S8_S8_S8_ffiiiiiiiiiiiii
; %bb.0:
	s_load_dwordx8 s[12:19], s[4:5], 0x50
	s_waitcnt lgkmcnt(0)
	s_cmp_ge_i32 s6, s14
	s_cbranch_scc1 .LBB869_17
; %bb.1:
	s_cmp_lg_u32 s7, 0
	s_cselect_b64 s[10:11], -1, 0
	s_cmp_eq_u32 s7, 0
	s_cselect_b64 s[8:9], -1, 0
	s_and_b64 s[0:1], s[8:9], exec
	s_load_dwordx2 s[20:21], s[4:5], 0x48
	s_load_dwordx2 s[36:37], s[4:5], 0x30
	s_load_dwordx4 s[24:27], s[4:5], 0x70
	s_cselect_b32 s7, s15, s16
	s_add_i32 s0, s7, 1
	s_lshr_b32 s1, s0, 31
	s_add_i32 s0, s0, s1
	s_lshl_b32 s0, s0, 1
	v_lshlrev_b32_e32 v1, 4, v0
	s_and_b32 s30, s0, -4
	v_cmp_gt_i32_e64 s[0:1], s7, v1
	v_mov_b32_e32 v80, 0
	v_mov_b32_e32 v81, 0
	v_mov_b32_e32 v82, 0
	v_mov_b32_e32 v83, 0
	v_mov_b32_e32 v76, 0
	v_mov_b32_e32 v77, 0
	v_mov_b32_e32 v78, 0
	v_mov_b32_e32 v79, 0
	v_mov_b32_e32 v84, 0
	v_mov_b32_e32 v85, 0
	v_mov_b32_e32 v86, 0
	v_mov_b32_e32 v87, 0
	v_mov_b32_e32 v88, 0
	v_mov_b32_e32 v89, 0
	v_mov_b32_e32 v90, 0
	v_mov_b32_e32 v91, 0
	s_and_saveexec_b64 s[2:3], s[0:1]
	s_cbranch_execz .LBB869_3
; %bb.2:
	s_load_dwordx2 s[22:23], s[4:5], 0x28
	s_load_dwordx2 s[28:29], s[4:5], 0x40
	s_and_b64 s[34:35], s[8:9], exec
	s_cselect_b32 s14, s17, s18
	s_mov_b32 s31, 0x20000
	s_waitcnt lgkmcnt(0)
	s_cselect_b32 s17, s23, s37
	s_cselect_b32 s27, s22, s36
	s_mul_hi_i32 s23, s14, s6
	s_mul_i32 s22, s14, s6
	s_lshl_b64 s[22:23], s[22:23], 1
	s_add_u32 s40, s27, s22
	s_addc_u32 s14, s17, s23
	s_and_b64 s[22:23], s[8:9], exec
	s_cselect_b32 s28, s28, s20
	s_cselect_b32 s17, s29, s21
	s_and_b32 s41, s14, 0xffff
	s_mov_b32 s42, s30
	s_mov_b32 s43, s31
	v_lshlrev_b32_e32 v2, 5, v0
	s_and_b32 s29, s17, 0xffff
	buffer_load_dwordx4 v[84:87], v2, s[40:43], 0 offen
	buffer_load_dwordx4 v[88:91], v2, s[40:43], 16 offen
	buffer_load_dwordx4 v[80:83], v2, s[28:31], 0 offen
	buffer_load_dwordx4 v[76:79], v2, s[28:31], 16 offen
.LBB869_3:
	s_or_b64 exec, exec, s[2:3]
	s_load_dwordx2 s[34:35], s[4:5], 0x80
	s_and_b64 vcc, exec, s[10:11]
	s_cbranch_vccz .LBB869_7
; %bb.4:
	v_mov_b32_e32 v93, 0
	v_mov_b32_e32 v92, 0
	;; [unrolled: 1-line block ×16, first 2 shown]
	s_and_saveexec_b64 s[2:3], s[0:1]
	s_cbranch_execz .LBB869_6
; %bb.5:
	s_waitcnt vmcnt(3)
	v_cvt_f32_f16_sdwa v59, v84 dst_sel:DWORD dst_unused:UNUSED_PAD src0_sel:WORD_1
	v_cvt_f32_f16_e32 v58, v84
	v_cvt_f32_f16_sdwa v29, v85 dst_sel:DWORD dst_unused:UNUSED_PAD src0_sel:WORD_1
	v_cvt_f32_f16_e32 v28, v85
	;; [unrolled: 2-line block ×4, first 2 shown]
	s_waitcnt vmcnt(2)
	v_cvt_f32_f16_sdwa v69, v88 dst_sel:DWORD dst_unused:UNUSED_PAD src0_sel:WORD_1
	v_cvt_f32_f16_e32 v68, v88
	v_cvt_f32_f16_sdwa v41, v89 dst_sel:DWORD dst_unused:UNUSED_PAD src0_sel:WORD_1
	v_cvt_f32_f16_e32 v40, v89
	;; [unrolled: 2-line block ×4, first 2 shown]
.LBB869_6:
	s_or_b64 exec, exec, s[2:3]
	s_cbranch_execz .LBB869_8
	s_branch .LBB869_11
.LBB869_7:
                                        ; implicit-def: $vgpr26_vgpr27_vgpr28_vgpr29_vgpr30_vgpr31_vgpr32_vgpr33_vgpr34_vgpr35_vgpr36_vgpr37_vgpr38_vgpr39_vgpr40_vgpr41
                                        ; implicit-def: $vgpr58_vgpr59_vgpr60_vgpr61_vgpr62_vgpr63_vgpr64_vgpr65_vgpr66_vgpr67_vgpr68_vgpr69_vgpr70_vgpr71_vgpr72_vgpr73
                                        ; implicit-def: $vgpr42_vgpr43_vgpr44_vgpr45_vgpr46_vgpr47_vgpr48_vgpr49_vgpr50_vgpr51_vgpr52_vgpr53_vgpr54_vgpr55_vgpr56_vgpr57
                                        ; implicit-def: $vgpr12_vgpr13_vgpr14_vgpr15_vgpr16_vgpr17_vgpr18_vgpr19_vgpr20_vgpr21_vgpr22_vgpr23_vgpr24_vgpr25_vgpr26_vgpr27
                                        ; implicit-def: $vgpr93
                                        ; implicit-def: $vgpr60_vgpr61_vgpr62_vgpr63_vgpr64_vgpr65_vgpr66_vgpr67_vgpr68_vgpr69_vgpr70_vgpr71_vgpr72_vgpr73_vgpr74_vgpr75
                                        ; implicit-def: $vgpr30_vgpr31_vgpr32_vgpr33_vgpr34_vgpr35_vgpr36_vgpr37_vgpr38_vgpr39_vgpr40_vgpr41_vgpr42_vgpr43_vgpr44_vgpr45
                                        ; implicit-def: $vgpr2_vgpr3_vgpr4_vgpr5_vgpr6_vgpr7_vgpr8_vgpr9_vgpr10_vgpr11_vgpr12_vgpr13_vgpr14_vgpr15_vgpr16_vgpr17
.LBB869_8:
	v_mov_b32_e32 v93, 0
	v_mov_b32_e32 v92, 0
	;; [unrolled: 1-line block ×16, first 2 shown]
	s_and_saveexec_b64 s[2:3], s[0:1]
	s_cbranch_execz .LBB869_10
; %bb.9:
	s_load_dwordx2 s[22:23], s[4:5], 0x38
	s_mul_hi_i32 s29, s19, s6
	s_mul_i32 s28, s19, s6
	s_lshl_b64 s[28:29], s[28:29], 1
	s_mov_b32 s31, 0x20000
	s_waitcnt lgkmcnt(0)
	s_add_u32 s28, s22, s28
	s_addc_u32 s14, s23, s29
	s_and_b32 s29, s14, 0xffff
	v_lshlrev_b32_e32 v38, 5, v0
	buffer_load_dwordx4 v[6:9], v38, s[28:31], 16 offen
	buffer_load_dwordx4 v[10:13], v38, s[28:31], 0 offen
	s_waitcnt vmcnt(5)
	v_cvt_f32_f16_sdwa v19, v86 dst_sel:DWORD dst_unused:UNUSED_PAD src0_sel:WORD_1
	v_cvt_f32_f16_e32 v18, v86
	v_cvt_f32_f16_sdwa v25, v87 dst_sel:DWORD dst_unused:UNUSED_PAD src0_sel:WORD_1
	v_cvt_f32_f16_e32 v24, v87
	;; [unrolled: 2-line block ×4, first 2 shown]
	s_load_dwordx2 s[22:23], s[4:5], 0x20
	s_waitcnt vmcnt(4)
	v_cvt_f32_f16_sdwa v3, v88 dst_sel:DWORD dst_unused:UNUSED_PAD src0_sel:WORD_1
	v_cvt_f32_f16_e32 v2, v88
	v_cvt_f32_f16_sdwa v5, v89 dst_sel:DWORD dst_unused:UNUSED_PAD src0_sel:WORD_1
	v_cvt_f32_f16_e32 v4, v89
	;; [unrolled: 2-line block ×4, first 2 shown]
	s_mul_hi_i32 s29, s35, s6
	s_mul_i32 s28, s35, s6
	s_lshl_b64 s[28:29], s[28:29], 1
	s_waitcnt lgkmcnt(0)
	s_add_u32 s28, s22, s28
	s_addc_u32 s14, s23, s29
	s_and_b32 s29, s14, 0xffff
	s_waitcnt vmcnt(1)
	v_cvt_f32_f16_e32 v26, v6
	v_cvt_f32_f16_sdwa v27, v6 dst_sel:DWORD dst_unused:UNUSED_PAD src0_sel:WORD_1
	v_cvt_f32_f16_e32 v30, v7
	v_cvt_f32_f16_sdwa v31, v7 dst_sel:DWORD dst_unused:UNUSED_PAD src0_sel:WORD_1
	v_cvt_f32_f16_e32 v32, v8
	v_cvt_f32_f16_sdwa v33, v8 dst_sel:DWORD dst_unused:UNUSED_PAD src0_sel:WORD_1
	v_cvt_f32_f16_e32 v34, v9
	v_cvt_f32_f16_sdwa v35, v9 dst_sel:DWORD dst_unused:UNUSED_PAD src0_sel:WORD_1
	s_waitcnt vmcnt(0)
	v_cvt_f32_f16_e32 v6, v12
	v_cvt_f32_f16_sdwa v7, v12 dst_sel:DWORD dst_unused:UNUSED_PAD src0_sel:WORD_1
	v_cvt_f32_f16_e32 v8, v13
	v_cvt_f32_f16_sdwa v9, v13 dst_sel:DWORD dst_unused:UNUSED_PAD src0_sel:WORD_1
	v_cvt_f32_f16_e32 v36, v10
	v_cvt_f32_f16_sdwa v37, v10 dst_sel:DWORD dst_unused:UNUSED_PAD src0_sel:WORD_1
	v_cvt_f32_f16_e32 v10, v11
	v_cvt_f32_f16_sdwa v11, v11 dst_sel:DWORD dst_unused:UNUSED_PAD src0_sel:WORD_1
	v_pk_add_f32 v[46:47], v[18:19], v[6:7]
	v_pk_add_f32 v[18:19], v[24:25], v[8:9]
	v_cvt_f16_f32_e32 v6, v47
	v_cvt_f16_f32_e32 v7, v19
	;; [unrolled: 1-line block ×4, first 2 shown]
	v_pk_add_f32 v[28:29], v[22:23], v[10:11]
	v_pk_add_f32 v[58:59], v[20:21], v[36:37]
	v_pack_b32_f16 v9, v8, v7
	v_pack_b32_f16 v8, v12, v6
	v_cvt_f16_f32_e32 v6, v29
	v_cvt_f16_f32_e32 v7, v28
	;; [unrolled: 1-line block ×3, first 2 shown]
	v_pk_add_f32 v[92:93], v[16:17], v[34:35]
	v_pk_add_f32 v[14:15], v[14:15], v[32:33]
	v_pack_b32_f16 v7, v7, v6
	v_cvt_f16_f32_e32 v6, v59
	v_pk_add_f32 v[40:41], v[4:5], v[30:31]
	v_pk_add_f32 v[68:69], v[2:3], v[26:27]
	v_cvt_f16_f32_e32 v4, v40
	v_pack_b32_f16 v6, v10, v6
	buffer_store_dwordx4 v[6:9], v38, s[28:31], 0 offen
	v_cvt_f16_f32_e32 v5, v41
	v_cvt_f16_f32_e32 v6, v14
	v_cvt_f16_f32_e32 v7, v92
	v_cvt_f16_f32_e32 v8, v93
	v_cvt_f16_f32_e32 v9, v15
	v_cvt_f16_f32_e32 v2, v68
	v_cvt_f16_f32_e32 v3, v69
	v_pack_b32_f16 v7, v7, v8
	v_pack_b32_f16 v6, v6, v9
	;; [unrolled: 1-line block ×4, first 2 shown]
	;;#ASMSTART
	s_nop 0
	;;#ASMEND
	buffer_store_dwordx4 v[4:7], v38, s[28:31], 16 offen
	;;#ASMSTART
	s_nop 0
	;;#ASMEND
.LBB869_10:
	s_or_b64 exec, exec, s[2:3]
.LBB869_11:
	v_mul_f32_e32 v2, v59, v59
	v_fmac_f32_e32 v2, v58, v58
	v_fmac_f32_e32 v2, v28, v28
	;; [unrolled: 1-line block ×15, first 2 shown]
	s_nop 1
	v_mov_b32_dpp v3, v2 quad_perm:[1,0,3,2] row_mask:0xf bank_mask:0xf
	v_add_f32_e32 v2, v2, v3
	s_nop 1
	v_mov_b32_dpp v3, v2 quad_perm:[2,3,0,1] row_mask:0xf bank_mask:0xf
	v_add_f32_e32 v2, v2, v3
	s_nop 1
	v_mov_b32_dpp v3, v2 row_half_mirror row_mask:0xf bank_mask:0xf
	v_add_f32_e32 v2, v2, v3
	s_nop 1
	v_mov_b32_dpp v3, v2 row_mirror row_mask:0xf bank_mask:0xf
	v_add_f32_e32 v2, v2, v3
	s_nop 1
	v_mov_b32_dpp v3, v2 row_bcast:15 row_mask:0xf bank_mask:0xf
	v_add_f32_e32 v2, v2, v3
	v_and_b32_e32 v3, 63, v0
	v_cmp_eq_u32_e64 s[2:3], 63, v3
	s_nop 0
	v_mov_b32_dpp v3, v2 row_bcast:31 row_mask:0xf bank_mask:0xf
	s_and_saveexec_b64 s[22:23], s[2:3]
	s_cbranch_execz .LBB869_13
; %bb.12:
	v_add_f32_e32 v2, v2, v3
	v_lshrrev_b32_e32 v3, 4, v0
	v_and_b32_e32 v3, 60, v3
	ds_write_b32 v3, v2 offset:16
.LBB869_13:
	s_or_b64 exec, exec, s[22:23]
	v_and_b32_e32 v2, 3, v0
	v_lshlrev_b32_e32 v34, 2, v2
	s_waitcnt lgkmcnt(0)
	s_barrier
	ds_read_b32 v2, v34 offset:16
	s_load_dwordx2 s[38:39], s[4:5], 0x18
	s_waitcnt lgkmcnt(0)
	v_mov_b32_dpp v3, v2 quad_perm:[1,0,3,2] row_mask:0xf bank_mask:0xf
	v_add_f32_e32 v2, v2, v3
	s_nop 1
	v_mov_b32_dpp v3, v2 quad_perm:[2,3,0,1] row_mask:0xf bank_mask:0xf
	s_and_saveexec_b64 s[22:23], s[0:1]
	s_cbranch_execnz .LBB869_18
; %bb.14:
	s_or_b64 exec, exec, s[22:23]
	s_mov_b64 s[8:9], -1
	s_and_b64 vcc, exec, s[10:11]
	s_cbranch_vccnz .LBB869_19
.LBB869_15:
	s_andn2_b64 vcc, exec, s[8:9]
	s_cbranch_vccz .LBB869_22
.LBB869_16:
	s_cmp_lt_i32 s16, 1
	s_cbranch_scc0 .LBB869_29
.LBB869_17:
	s_endpgm
.LBB869_18:
	v_add_f32_e32 v2, v2, v3
	v_cvt_f32_u32_e32 v3, s7
	s_mov_b32 s7, 0x800000
	s_waitcnt vmcnt(1)
	v_cvt_f32_f16_sdwa v21, v81 dst_sel:DWORD dst_unused:UNUSED_PAD src0_sel:WORD_1
	v_cvt_f32_f16_e32 v20, v81
	v_div_scale_f32 v4, s[28:29], v3, v3, v2
	v_rcp_f32_e32 v5, v4
	s_waitcnt vmcnt(0)
	v_cvt_f32_f16_sdwa v23, v77 dst_sel:DWORD dst_unused:UNUSED_PAD src0_sel:WORD_1
	v_cvt_f32_f16_e32 v22, v77
	v_cvt_f32_f16_sdwa v25, v78 dst_sel:DWORD dst_unused:UNUSED_PAD src0_sel:WORD_1
	v_fma_f32 v6, -v4, v5, 1.0
	v_fmac_f32_e32 v5, v6, v5
	v_div_scale_f32 v6, vcc, v2, v3, v2
	v_mul_f32_e32 v7, v6, v5
	v_fma_f32 v8, -v4, v7, v6
	v_fmac_f32_e32 v7, v8, v5
	v_fma_f32 v4, -v4, v7, v6
	v_div_fmas_f32 v4, v4, v5, v7
	v_div_fixup_f32 v2, v4, v3, v2
	v_mov_b32_e32 v3, s13
	v_mov_b32_e32 v4, s12
	v_cndmask_b32_e64 v3, v3, v4, s[8:9]
	v_add_f32_e32 v2, v3, v2
	v_mul_f32_e32 v3, 0x4b800000, v2
	v_cmp_gt_f32_e32 vcc, s7, v2
	v_cndmask_b32_e32 v2, v2, v3, vcc
	v_rsq_f32_e32 v2, v2
	v_cvt_f32_f16_e32 v24, v78
	v_cvt_f32_f16_sdwa v27, v79 dst_sel:DWORD dst_unused:UNUSED_PAD src0_sel:WORD_1
	v_cvt_f32_f16_e32 v26, v79
	v_mul_f32_e32 v3, 0x45800000, v2
	v_cndmask_b32_e32 v2, v2, v3, vcc
	v_mov_b32_e32 v3, v2
	;;#ASMSTART
	v_pk_mul_f32 v[4:5], v[58:59], v[2:3]
	;;#ASMEND
	;;#ASMSTART
	v_pk_mul_f32 v[6:7], v[28:29], v[2:3]
	;;#ASMEND
	;; [unrolled: 3-line block ×6, first 2 shown]
	v_cvt_f32_f16_sdwa v19, v80 dst_sel:DWORD dst_unused:UNUSED_PAD src0_sel:WORD_1
	v_cvt_f32_f16_e32 v18, v80
	;;#ASMSTART
	v_pk_mul_f32 v[14:15], v[14:15], v[2:3]
	;;#ASMEND
	;;#ASMSTART
	v_pk_mul_f32 v[2:3], v[92:93], v[2:3]
	;;#ASMEND
	;; [unrolled: 3-line block ×4, first 2 shown]
	v_cvt_f32_f16_sdwa v5, v82 dst_sel:DWORD dst_unused:UNUSED_PAD src0_sel:WORD_1
	v_cvt_f32_f16_e32 v4, v82
	v_cvt_f32_f16_sdwa v7, v83 dst_sel:DWORD dst_unused:UNUSED_PAD src0_sel:WORD_1
	v_cvt_f32_f16_e32 v6, v83
	;; [unrolled: 2-line block ×3, first 2 shown]
	;;#ASMSTART
	v_pk_mul_f32 v[46:47], v[8:9], v[4:5]
	;;#ASMEND
	;;#ASMSTART
	v_pk_mul_f32 v[18:19], v[10:11], v[6:7]
	;;#ASMEND
	;; [unrolled: 3-line block ×6, first 2 shown]
	s_or_b64 exec, exec, s[22:23]
	s_mov_b64 s[8:9], -1
	s_and_b64 vcc, exec, s[10:11]
	s_cbranch_vccz .LBB869_15
.LBB869_19:
	s_and_saveexec_b64 s[8:9], s[0:1]
	s_cbranch_execz .LBB869_21
; %bb.20:
	v_cvt_f16_f32_e32 v2, v46
	v_cvt_f16_f32_e32 v3, v18
	;; [unrolled: 1-line block ×4, first 2 shown]
	s_mul_hi_i32 s11, s34, s6
	s_mul_i32 s10, s34, s6
	v_pack_b32_f16 v5, v3, v4
	v_pack_b32_f16 v4, v2, v6
	v_cvt_f16_f32_e32 v2, v28
	v_cvt_f16_f32_e32 v3, v29
	;; [unrolled: 1-line block ×3, first 2 shown]
	s_lshl_b64 s[10:11], s[10:11], 1
	s_add_u32 s28, s38, s10
	v_pack_b32_f16 v3, v2, v3
	v_cvt_f16_f32_e32 v2, v58
	s_addc_u32 s7, s39, s11
	s_and_b32 s29, s7, 0xffff
	s_mov_b32 s31, 0x20000
	v_pack_b32_f16 v2, v2, v6
	v_lshlrev_b32_e32 v6, 5, v0
	buffer_store_dwordx4 v[2:5], v6, s[28:31], 0 offen
	v_cvt_f16_f32_e32 v7, v15
	v_cvt_f16_f32_e32 v2, v14
	;; [unrolled: 1-line block ×4, first 2 shown]
	;;#ASMSTART
	s_nop 0
	;;#ASMEND
	v_pack_b32_f16 v5, v3, v4
	v_pack_b32_f16 v4, v2, v7
	v_cvt_f16_f32_e32 v2, v40
	v_cvt_f16_f32_e32 v3, v41
	;; [unrolled: 1-line block ×3, first 2 shown]
	v_pack_b32_f16 v3, v2, v3
	v_cvt_f16_f32_e32 v2, v68
	v_pack_b32_f16 v2, v2, v7
	buffer_store_dwordx4 v[2:5], v6, s[28:31], 16 offen
	;;#ASMSTART
	s_nop 0
	;;#ASMEND
.LBB869_21:
	s_or_b64 exec, exec, s[8:9]
	s_cbranch_execnz .LBB869_16
.LBB869_22:
	v_mov_b32_e32 v2, 0
	s_and_saveexec_b64 s[8:9], s[0:1]
	s_cbranch_execz .LBB869_24
; %bb.23:
	v_and_b32_e32 v2, 0x7fffffff, v58
	v_and_b32_e32 v3, 0x7fffffff, v59
	v_mov_b32_e32 v4, 0x2edbe6ff
	;;#ASMSTART
	v_max3_f32 v2, v4, v2, v3

	;;#ASMEND
	v_and_b32_e32 v3, 0x7fffffff, v28
	v_and_b32_e32 v4, 0x7fffffff, v29
	;;#ASMSTART
	v_max3_f32 v2, v2, v3, v4

	;;#ASMEND
	v_and_b32_e32 v3, 0x7fffffff, v46
	v_and_b32_e32 v4, 0x7fffffff, v47
	;; [unrolled: 6-line block ×7, first 2 shown]
	;;#ASMSTART
	v_max3_f32 v2, v2, v3, v4

	;;#ASMEND
.LBB869_24:
	s_or_b64 exec, exec, s[8:9]
	;;#ASMSTART
	v_max_f32 v3, v2, v2 quad_perm:[1,0,3,2] row_mask:0xf bank_mask:0xf bound_ctrl:1
	;;#ASMEND
	v_mul_f32_e32 v2, 0x3b124925, v3
	v_and_b32_e32 v3, 1, v0
	v_cmp_eq_u32_e32 vcc, 0, v3
	v_cmp_gt_i32_e64 s[8:9], s15, v1
	s_and_b64 s[10:11], vcc, s[8:9]
	s_and_saveexec_b64 s[8:9], s[10:11]
	s_cbranch_execz .LBB869_26
; %bb.25:
	s_load_dwordx2 s[10:11], s[4:5], 0x8
	s_mul_hi_i32 s23, s25, s6
	s_mul_i32 s22, s25, s6
	v_lshrrev_b32_e32 v3, 1, v0
	s_lshl_b64 s[22:23], s[22:23], 2
	v_mad_i64_i32 v[4:5], s[26:27], s26, v3, 0
	s_waitcnt lgkmcnt(0)
	s_add_u32 s7, s10, s22
	s_addc_u32 s10, s11, s23
	v_lshlrev_b64 v[4:5], 2, v[4:5]
	v_mov_b32_e32 v3, s10
	v_add_co_u32_e32 v4, vcc, s7, v4
	v_addc_co_u32_e32 v5, vcc, v3, v5, vcc
	global_store_dword v[4:5], v2, off
.LBB869_26:
	s_or_b64 exec, exec, s[8:9]
	;;#ASMSTART
	v_rcp_f32 v2, v2
	;;#ASMEND
	s_and_saveexec_b64 s[22:23], s[0:1]
	s_cbranch_execz .LBB869_28
; %bb.27:
	v_mov_b32_e32 v3, v2
	;;#ASMSTART
	v_pk_mul_f32 v[4:5], v[58:59], v[2:3]
	;;#ASMEND
	v_mov_b32_e32 v10, 0xc3e00000
	v_mov_b32_e32 v11, 0x43e00000
	;;#ASMSTART
	v_med3_f32 v4, v4, v10, v11
v_med3_f32 v5, v5, v10, v11
v_cvt_pk_fp8_f32 v6, v4, v5
	;;#ASMEND
	;;#ASMSTART
	v_pk_mul_f32 v[4:5], v[28:29], v[2:3]
	;;#ASMEND
	;;#ASMSTART
	v_med3_f32 v4, v4, v10, v11
v_med3_f32 v5, v5, v10, v11
v_cvt_pk_fp8_f32 v7, v4, v5
	;;#ASMEND
	;;#ASMSTART
	v_pk_mul_f32 v[4:5], v[46:47], v[2:3]
	;;#ASMEND
	;; [unrolled: 8-line block ×3, first 2 shown]
	;;#ASMSTART
	v_med3_f32 v4, v4, v10, v11
v_med3_f32 v5, v5, v10, v11
v_cvt_pk_fp8_f32 v9, v4, v5
	;;#ASMEND
	s_mov_b32 s0, 0x5040100
	v_perm_b32 v4, v7, v6, s0
	s_mov_b32 s0, 0x1060504
	v_perm_b32 v4, v4, v7, s0
	s_load_dwordx2 s[0:1], s[4:5], 0x0
	s_mov_b32 s7, 0x1000504
	;;#ASMSTART
	v_pk_mul_f32 v[6:7], v[68:69], v[2:3]
	;;#ASMEND
	v_perm_b32 v5, v8, v9, s7
	s_mul_i32 s8, s24, s6
	;;#ASMSTART
	v_med3_f32 v6, v6, v10, v11
v_med3_f32 v7, v7, v10, v11
v_cvt_pk_fp8_f32 v8, v6, v7
	;;#ASMEND
	s_mul_hi_i32 s9, s24, s6
	s_waitcnt lgkmcnt(0)
	s_add_u32 s8, s0, s8
	;;#ASMSTART
	v_pk_mul_f32 v[6:7], v[40:41], v[2:3]
	;;#ASMEND
	s_addc_u32 s0, s1, s9
	s_add_i32 s1, s15, 3
	;;#ASMSTART
	v_med3_f32 v6, v6, v10, v11
v_med3_f32 v7, v7, v10, v11
v_cvt_pk_fp8_f32 v9, v6, v7
	;;#ASMEND
	s_ashr_i32 s9, s1, 31
	v_perm_b32 v6, v8, v9, s7
	;;#ASMSTART
	v_pk_mul_f32 v[8:9], v[14:15], v[2:3]
	;;#ASMEND
	v_mov_b32_e32 v7, v9
	s_lshr_b32 s9, s9, 30
	;;#ASMSTART
	v_med3_f32 v8, v8, v10, v11
v_med3_f32 v7, v7, v10, v11
v_cvt_pk_fp8_f32 v9, v8, v7
	;;#ASMEND
	;;#ASMSTART
	v_pk_mul_f32 v[2:3], v[92:93], v[2:3]
	;;#ASMEND
	s_add_i32 s1, s1, s9
	;;#ASMSTART
	v_med3_f32 v2, v2, v10, v11
v_med3_f32 v3, v3, v10, v11
v_cvt_pk_fp8_f32 v7, v2, v3
	;;#ASMEND
	s_and_b32 s10, s1, -4
	s_and_b32 s9, s0, 0xffff
	s_mov_b32 s11, 0x20000
	v_perm_b32 v7, v9, v7, s7
	buffer_store_dwordx4 v[4:7], v1, s[8:11], 0 offen
	;;#ASMSTART
	s_nop 0
	;;#ASMEND
.LBB869_28:
	s_or_b64 exec, exec, s[22:23]
	s_cmp_lt_i32 s16, 1
	s_cbranch_scc1 .LBB869_17
.LBB869_29:
	s_load_dword s0, s[4:5], 0x94
	s_waitcnt lgkmcnt(0)
	s_cmp_lg_u32 s0, 1
	s_cbranch_scc1 .LBB869_17
; %bb.30:
	s_lshl_b32 s0, s16, 1
	s_add_i32 s0, s0, 2
	v_cmp_gt_u32_e32 vcc, s16, v1
	s_and_b32 s22, s0, -4
	v_mov_b32_e32 v18, 0
	v_lshlrev_b32_e32 v1, 5, v0
	v_mov_b32_e32 v14, 0
	v_mov_b32_e32 v15, 0
	;; [unrolled: 1-line block ×16, first 2 shown]
	s_barrier
	s_and_saveexec_b64 s[0:1], vcc
	s_cbranch_execz .LBB869_32
; %bb.31:
	s_mul_hi_i32 s5, s18, s6
	s_mul_i32 s4, s18, s6
	s_and_b32 s21, s21, 0xffff
	s_lshl_b64 s[4:5], s[4:5], 1
	s_add_u32 s8, s36, s4
	s_mov_b32 s23, 0x20000
	s_addc_u32 s4, s37, s5
	s_and_b32 s9, s4, 0xffff
	s_mov_b32 s10, s22
	s_mov_b32 s11, s23
	buffer_load_dwordx4 v[14:17], v1, s[8:11], 0 offen
	buffer_load_dwordx4 v[10:13], v1, s[8:11], 16 offen
	;; [unrolled: 1-line block ×4, first 2 shown]
.LBB869_32:
	s_or_b64 exec, exec, s[0:1]
	v_mov_b32_e32 v19, 0
	v_mov_b32_e32 v32, 0
	v_mov_b32_e32 v33, 0
	v_mov_b32_e32 v30, 0
	v_mov_b32_e32 v31, 0
	v_mov_b32_e32 v28, 0
	v_mov_b32_e32 v29, 0
	v_mov_b32_e32 v26, 0
	v_mov_b32_e32 v27, 0
	v_mov_b32_e32 v24, 0
	v_mov_b32_e32 v25, 0
	v_mov_b32_e32 v22, 0
	v_mov_b32_e32 v23, 0
	v_mov_b32_e32 v20, 0
	v_mov_b32_e32 v21, 0
	s_and_saveexec_b64 s[0:1], vcc
	s_cbranch_execz .LBB869_34
; %bb.33:
	s_waitcnt vmcnt(3)
	v_cvt_f32_f16_sdwa v19, v14 dst_sel:DWORD dst_unused:UNUSED_PAD src0_sel:WORD_1
	v_cvt_f32_f16_e32 v18, v14
	v_cvt_f32_f16_sdwa v33, v15 dst_sel:DWORD dst_unused:UNUSED_PAD src0_sel:WORD_1
	v_cvt_f32_f16_e32 v32, v15
	;; [unrolled: 2-line block ×4, first 2 shown]
	s_waitcnt vmcnt(2)
	v_cvt_f32_f16_sdwa v27, v10 dst_sel:DWORD dst_unused:UNUSED_PAD src0_sel:WORD_1
	v_cvt_f32_f16_e32 v26, v10
	v_cvt_f32_f16_sdwa v25, v11 dst_sel:DWORD dst_unused:UNUSED_PAD src0_sel:WORD_1
	v_cvt_f32_f16_e32 v24, v11
	;; [unrolled: 2-line block ×4, first 2 shown]
.LBB869_34:
	s_or_b64 exec, exec, s[0:1]
	s_waitcnt vmcnt(2)
	v_mul_f32_e32 v10, v19, v19
	v_fmac_f32_e32 v10, v18, v18
	v_fmac_f32_e32 v10, v32, v32
	;; [unrolled: 1-line block ×15, first 2 shown]
	s_nop 1
	v_mov_b32_dpp v11, v10 quad_perm:[1,0,3,2] row_mask:0xf bank_mask:0xf
	v_add_f32_e32 v10, v10, v11
	s_nop 1
	v_mov_b32_dpp v11, v10 quad_perm:[2,3,0,1] row_mask:0xf bank_mask:0xf
	v_add_f32_e32 v10, v10, v11
	s_nop 1
	v_mov_b32_dpp v11, v10 row_half_mirror row_mask:0xf bank_mask:0xf
	v_add_f32_e32 v10, v10, v11
	s_nop 1
	v_mov_b32_dpp v11, v10 row_mirror row_mask:0xf bank_mask:0xf
	v_add_f32_e32 v10, v10, v11
	s_nop 1
	v_mov_b32_dpp v11, v10 row_bcast:15 row_mask:0xf bank_mask:0xf
	v_add_f32_e32 v10, v10, v11
	s_nop 1
	v_mov_b32_dpp v11, v10 row_bcast:31 row_mask:0xf bank_mask:0xf
	s_and_saveexec_b64 s[0:1], s[2:3]
	s_cbranch_execz .LBB869_36
; %bb.35:
	v_lshrrev_b32_e32 v0, 4, v0
	v_add_f32_e32 v10, v10, v11
	v_and_b32_e32 v0, 60, v0
	ds_write_b32 v0, v10
.LBB869_36:
	s_or_b64 exec, exec, s[0:1]
	s_waitcnt lgkmcnt(0)
	s_barrier
	ds_read_b32 v0, v34
	s_waitcnt lgkmcnt(0)
	s_nop 0
	v_mov_b32_dpp v10, v0 quad_perm:[1,0,3,2] row_mask:0xf bank_mask:0xf
	v_add_f32_e32 v0, v0, v10
	s_nop 1
	v_mov_b32_dpp v10, v0 quad_perm:[2,3,0,1] row_mask:0xf bank_mask:0xf
	s_and_saveexec_b64 s[0:1], vcc
	s_cbranch_execz .LBB869_17
; %bb.37:
	v_cvt_f32_u32_e32 v11, s16
	v_add_f32_e32 v0, v0, v10
	s_mov_b32 s23, 0x20000
	v_div_scale_f32 v10, s[0:1], v11, v11, v0
	v_rcp_f32_e32 v12, v10
	v_div_scale_f32 v13, vcc, v0, v11, v0
	s_mov_b32 s0, 0x800000
	v_fma_f32 v14, -v10, v12, 1.0
	v_fmac_f32_e32 v12, v14, v12
	v_mul_f32_e32 v14, v13, v12
	v_fma_f32 v15, -v10, v14, v13
	v_fmac_f32_e32 v14, v15, v12
	v_fma_f32 v10, -v10, v14, v13
	v_div_fmas_f32 v10, v10, v12, v14
	v_div_fixup_f32 v0, v10, v11, v0
	v_add_f32_e32 v0, s13, v0
	v_mul_f32_e32 v10, 0x4b800000, v0
	v_cmp_gt_f32_e32 vcc, s0, v0
	v_cndmask_b32_e32 v0, v0, v10, vcc
	v_rsq_f32_e32 v0, v0
	s_mul_hi_i32 s1, s34, s6
	s_mul_i32 s0, s34, s6
	s_lshl_b64 s[0:1], s[0:1], 1
	v_mul_f32_e32 v10, 0x45800000, v0
	v_cndmask_b32_e32 v10, v0, v10, vcc
	v_mov_b32_e32 v11, v10
	;;#ASMSTART
	v_pk_mul_f32 v[12:13], v[18:19], v[10:11]
	;;#ASMEND
	;;#ASMSTART
	v_pk_mul_f32 v[14:15], v[32:33], v[10:11]
	;;#ASMEND
	;; [unrolled: 3-line block ×8, first 2 shown]
	s_waitcnt vmcnt(1)
	v_cvt_f32_f16_sdwa v21, v6 dst_sel:DWORD dst_unused:UNUSED_PAD src0_sel:WORD_1
	v_cvt_f32_f16_e32 v20, v6
	v_cvt_f32_f16_sdwa v29, v7 dst_sel:DWORD dst_unused:UNUSED_PAD src0_sel:WORD_1
	v_cvt_f32_f16_e32 v28, v7
	v_cvt_f32_f16_sdwa v7, v8 dst_sel:DWORD dst_unused:UNUSED_PAD src0_sel:WORD_1
	v_cvt_f32_f16_e32 v6, v8
	v_cvt_f32_f16_sdwa v31, v9 dst_sel:DWORD dst_unused:UNUSED_PAD src0_sel:WORD_1
	v_cvt_f32_f16_e32 v30, v9
	;;#ASMSTART
	v_pk_mul_f32 v[8:9], v[12:13], v[20:21]
	;;#ASMEND
	;;#ASMSTART
	v_pk_mul_f32 v[12:13], v[14:15], v[28:29]
	;;#ASMEND
	;; [unrolled: 3-line block ×4, first 2 shown]
	s_waitcnt vmcnt(0)
	v_cvt_f32_f16_sdwa v17, v2 dst_sel:DWORD dst_unused:UNUSED_PAD src0_sel:WORD_1
	v_cvt_f32_f16_e32 v16, v2
	v_cvt_f32_f16_sdwa v19, v3 dst_sel:DWORD dst_unused:UNUSED_PAD src0_sel:WORD_1
	v_cvt_f32_f16_e32 v18, v3
	;; [unrolled: 2-line block ×4, first 2 shown]
	;;#ASMSTART
	v_pk_mul_f32 v[16:17], v[26:27], v[16:17]
	;;#ASMEND
	;;#ASMSTART
	v_pk_mul_f32 v[18:19], v[24:25], v[18:19]
	;;#ASMEND
	;; [unrolled: 3-line block ×3, first 2 shown]
	v_cvt_f16_f32_e32 v0, v8
	v_cvt_f16_f32_e32 v2, v9
	;; [unrolled: 1-line block ×8, first 2 shown]
	s_add_u32 s20, s38, s0
	s_addc_u32 s0, s39, s1
	s_and_b32 s21, s0, 0xffff
	v_pack_b32_f16 v2, v0, v2
	v_pack_b32_f16 v3, v3, v4
	;; [unrolled: 1-line block ×4, first 2 shown]
	;;#ASMSTART
	v_pk_mul_f32 v[10:11], v[10:11], v[20:21]
	;;#ASMEND
	buffer_store_dwordx4 v[2:5], v1, s[20:23], 0 offen
	v_cvt_f16_f32_e32 v0, v16
	v_cvt_f16_f32_e32 v2, v17
	;; [unrolled: 1-line block ×8, first 2 shown]
	v_pack_b32_f16 v2, v0, v2
	v_pack_b32_f16 v3, v3, v4
	;; [unrolled: 1-line block ×4, first 2 shown]
	;;#ASMSTART
	s_nop 0
	;;#ASMEND
	buffer_store_dwordx4 v[2:5], v1, s[20:23], 16 offen
	;;#ASMSTART
	s_nop 0
	;;#ASMEND
	s_endpgm
	.section	.rodata,"a",@progbits
	.p2align	6, 0x0
	.amdhsa_kernel _ZN5aiter35fused_qk_rmsnorm_group_quant_kernelIDF16_DB8_Li256ELi16ELi2ELb1ELb0ELb0ELb0ELb0ELb0EEEvPT0_PvPT_S6_S6_PKS5_S8_S8_S8_S8_ffiiiiiiiiiiiii
		.amdhsa_group_segment_fixed_size 32
		.amdhsa_private_segment_fixed_size 0
		.amdhsa_kernarg_size 400
		.amdhsa_user_sgpr_count 6
		.amdhsa_user_sgpr_private_segment_buffer 1
		.amdhsa_user_sgpr_dispatch_ptr 0
		.amdhsa_user_sgpr_queue_ptr 0
		.amdhsa_user_sgpr_kernarg_segment_ptr 1
		.amdhsa_user_sgpr_dispatch_id 0
		.amdhsa_user_sgpr_flat_scratch_init 0
		.amdhsa_user_sgpr_kernarg_preload_length 0
		.amdhsa_user_sgpr_kernarg_preload_offset 0
		.amdhsa_user_sgpr_private_segment_size 0
		.amdhsa_uses_dynamic_stack 0
		.amdhsa_system_sgpr_private_segment_wavefront_offset 0
		.amdhsa_system_sgpr_workgroup_id_x 1
		.amdhsa_system_sgpr_workgroup_id_y 1
		.amdhsa_system_sgpr_workgroup_id_z 0
		.amdhsa_system_sgpr_workgroup_info 0
		.amdhsa_system_vgpr_workitem_id 0
		.amdhsa_next_free_vgpr 94
		.amdhsa_next_free_sgpr 44
		.amdhsa_accum_offset 96
		.amdhsa_reserve_vcc 1
		.amdhsa_reserve_flat_scratch 0
		.amdhsa_float_round_mode_32 0
		.amdhsa_float_round_mode_16_64 0
		.amdhsa_float_denorm_mode_32 3
		.amdhsa_float_denorm_mode_16_64 3
		.amdhsa_dx10_clamp 1
		.amdhsa_ieee_mode 1
		.amdhsa_fp16_overflow 0
		.amdhsa_tg_split 0
		.amdhsa_exception_fp_ieee_invalid_op 0
		.amdhsa_exception_fp_denorm_src 0
		.amdhsa_exception_fp_ieee_div_zero 0
		.amdhsa_exception_fp_ieee_overflow 0
		.amdhsa_exception_fp_ieee_underflow 0
		.amdhsa_exception_fp_ieee_inexact 0
		.amdhsa_exception_int_div_zero 0
	.end_amdhsa_kernel
	.section	.text._ZN5aiter35fused_qk_rmsnorm_group_quant_kernelIDF16_DB8_Li256ELi16ELi2ELb1ELb0ELb0ELb0ELb0ELb0EEEvPT0_PvPT_S6_S6_PKS5_S8_S8_S8_S8_ffiiiiiiiiiiiii,"axG",@progbits,_ZN5aiter35fused_qk_rmsnorm_group_quant_kernelIDF16_DB8_Li256ELi16ELi2ELb1ELb0ELb0ELb0ELb0ELb0EEEvPT0_PvPT_S6_S6_PKS5_S8_S8_S8_S8_ffiiiiiiiiiiiii,comdat
.Lfunc_end869:
	.size	_ZN5aiter35fused_qk_rmsnorm_group_quant_kernelIDF16_DB8_Li256ELi16ELi2ELb1ELb0ELb0ELb0ELb0ELb0EEEvPT0_PvPT_S6_S6_PKS5_S8_S8_S8_S8_ffiiiiiiiiiiiii, .Lfunc_end869-_ZN5aiter35fused_qk_rmsnorm_group_quant_kernelIDF16_DB8_Li256ELi16ELi2ELb1ELb0ELb0ELb0ELb0ELb0EEEvPT0_PvPT_S6_S6_PKS5_S8_S8_S8_S8_ffiiiiiiiiiiiii
                                        ; -- End function
	.section	.AMDGPU.csdata,"",@progbits
; Kernel info:
; codeLenInByte = 4024
; NumSgprs: 48
; NumVgprs: 94
; NumAgprs: 0
; TotalNumVgprs: 94
; ScratchSize: 0
; MemoryBound: 0
; FloatMode: 240
; IeeeMode: 1
; LDSByteSize: 32 bytes/workgroup (compile time only)
; SGPRBlocks: 5
; VGPRBlocks: 11
; NumSGPRsForWavesPerEU: 48
; NumVGPRsForWavesPerEU: 94
; AccumOffset: 96
; Occupancy: 5
; WaveLimiterHint : 0
; COMPUTE_PGM_RSRC2:SCRATCH_EN: 0
; COMPUTE_PGM_RSRC2:USER_SGPR: 6
; COMPUTE_PGM_RSRC2:TRAP_HANDLER: 0
; COMPUTE_PGM_RSRC2:TGID_X_EN: 1
; COMPUTE_PGM_RSRC2:TGID_Y_EN: 1
; COMPUTE_PGM_RSRC2:TGID_Z_EN: 0
; COMPUTE_PGM_RSRC2:TIDIG_COMP_CNT: 0
; COMPUTE_PGM_RSRC3_GFX90A:ACCUM_OFFSET: 23
; COMPUTE_PGM_RSRC3_GFX90A:TG_SPLIT: 0
	.section	.text._ZN5aiter35fused_qk_rmsnorm_group_quant_kernelItDB8_Li256ELi16ELi2ELb1ELb0ELb0ELb0ELb0ELb0EEEvPT0_PvPT_S6_S6_PKS5_S8_S8_S8_S8_ffiiiiiiiiiiiii,"axG",@progbits,_ZN5aiter35fused_qk_rmsnorm_group_quant_kernelItDB8_Li256ELi16ELi2ELb1ELb0ELb0ELb0ELb0ELb0EEEvPT0_PvPT_S6_S6_PKS5_S8_S8_S8_S8_ffiiiiiiiiiiiii,comdat
	.protected	_ZN5aiter35fused_qk_rmsnorm_group_quant_kernelItDB8_Li256ELi16ELi2ELb1ELb0ELb0ELb0ELb0ELb0EEEvPT0_PvPT_S6_S6_PKS5_S8_S8_S8_S8_ffiiiiiiiiiiiii ; -- Begin function _ZN5aiter35fused_qk_rmsnorm_group_quant_kernelItDB8_Li256ELi16ELi2ELb1ELb0ELb0ELb0ELb0ELb0EEEvPT0_PvPT_S6_S6_PKS5_S8_S8_S8_S8_ffiiiiiiiiiiiii
	.globl	_ZN5aiter35fused_qk_rmsnorm_group_quant_kernelItDB8_Li256ELi16ELi2ELb1ELb0ELb0ELb0ELb0ELb0EEEvPT0_PvPT_S6_S6_PKS5_S8_S8_S8_S8_ffiiiiiiiiiiiii
	.p2align	8
	.type	_ZN5aiter35fused_qk_rmsnorm_group_quant_kernelItDB8_Li256ELi16ELi2ELb1ELb0ELb0ELb0ELb0ELb0EEEvPT0_PvPT_S6_S6_PKS5_S8_S8_S8_S8_ffiiiiiiiiiiiii,@function
_ZN5aiter35fused_qk_rmsnorm_group_quant_kernelItDB8_Li256ELi16ELi2ELb1ELb0ELb0ELb0ELb0ELb0EEEvPT0_PvPT_S6_S6_PKS5_S8_S8_S8_S8_ffiiiiiiiiiiiii: ; @_ZN5aiter35fused_qk_rmsnorm_group_quant_kernelItDB8_Li256ELi16ELi2ELb1ELb0ELb0ELb0ELb0ELb0EEEvPT0_PvPT_S6_S6_PKS5_S8_S8_S8_S8_ffiiiiiiiiiiiii
; %bb.0:
	s_load_dwordx8 s[12:19], s[4:5], 0x50
	s_waitcnt lgkmcnt(0)
	s_cmp_ge_i32 s6, s14
	s_cbranch_scc1 .LBB870_17
; %bb.1:
	s_cmp_lg_u32 s7, 0
	s_cselect_b64 s[10:11], -1, 0
	s_cmp_eq_u32 s7, 0
	s_cselect_b64 s[8:9], -1, 0
	s_and_b64 s[0:1], s[8:9], exec
	s_load_dwordx2 s[20:21], s[4:5], 0x48
	s_load_dwordx2 s[36:37], s[4:5], 0x30
	s_load_dwordx4 s[24:27], s[4:5], 0x70
	s_cselect_b32 s7, s15, s16
	s_add_i32 s0, s7, 1
	s_lshr_b32 s1, s0, 31
	s_add_i32 s0, s0, s1
	s_lshl_b32 s0, s0, 1
	v_lshlrev_b32_e32 v1, 4, v0
	s_and_b32 s30, s0, -4
	v_cmp_gt_i32_e64 s[0:1], s7, v1
	v_mov_b32_e32 v82, 0
	v_mov_b32_e32 v83, 0
	;; [unrolled: 1-line block ×16, first 2 shown]
	s_and_saveexec_b64 s[2:3], s[0:1]
	s_cbranch_execz .LBB870_3
; %bb.2:
	s_load_dwordx2 s[22:23], s[4:5], 0x28
	s_load_dwordx2 s[28:29], s[4:5], 0x40
	s_and_b64 s[34:35], s[8:9], exec
	s_cselect_b32 s14, s17, s18
	s_mov_b32 s31, 0x20000
	s_waitcnt lgkmcnt(0)
	s_cselect_b32 s17, s23, s37
	s_cselect_b32 s27, s22, s36
	s_mul_hi_i32 s23, s14, s6
	s_mul_i32 s22, s14, s6
	s_lshl_b64 s[22:23], s[22:23], 1
	s_add_u32 s40, s27, s22
	s_addc_u32 s14, s17, s23
	s_and_b64 s[22:23], s[8:9], exec
	s_cselect_b32 s28, s28, s20
	s_cselect_b32 s17, s29, s21
	s_and_b32 s41, s14, 0xffff
	s_mov_b32 s42, s30
	s_mov_b32 s43, s31
	v_lshlrev_b32_e32 v2, 5, v0
	s_and_b32 s29, s17, 0xffff
	buffer_load_dwordx4 v[86:89], v2, s[40:43], 0 offen
	buffer_load_dwordx4 v[90:93], v2, s[40:43], 16 offen
	;; [unrolled: 1-line block ×4, first 2 shown]
.LBB870_3:
	s_or_b64 exec, exec, s[2:3]
	s_load_dwordx2 s[34:35], s[4:5], 0x80
	s_and_b64 vcc, exec, s[10:11]
	s_cbranch_vccz .LBB870_7
; %bb.4:
	v_mov_b32_e32 v95, 0
	v_mov_b32_e32 v94, 0
	v_mov_b32_e32 v15, 0
	v_mov_b32_e32 v14, 0
	v_mov_b32_e32 v19, 0
	v_mov_b32_e32 v18, 0
	v_mov_b32_e32 v43, 0
	v_mov_b32_e32 v42, 0
	v_mov_b32_e32 v33, 0
	v_mov_b32_e32 v32, 0
	v_mov_b32_e32 v51, 0
	v_mov_b32_e32 v50, 0
	v_mov_b32_e32 v25, 0
	v_mov_b32_e32 v24, 0
	v_mov_b32_e32 v63, 0
	v_mov_b32_e32 v62, 0
	s_and_saveexec_b64 s[2:3], s[0:1]
	s_cbranch_execz .LBB870_6
; %bb.5:
	s_waitcnt vmcnt(3)
	v_cvt_f32_u32_sdwa v62, v86 dst_sel:DWORD dst_unused:UNUSED_PAD src0_sel:WORD_0
	v_cvt_f32_u32_sdwa v63, v86 dst_sel:DWORD dst_unused:UNUSED_PAD src0_sel:WORD_1
	v_cvt_f32_u32_sdwa v24, v87 dst_sel:DWORD dst_unused:UNUSED_PAD src0_sel:WORD_0
	v_cvt_f32_u32_sdwa v25, v87 dst_sel:DWORD dst_unused:UNUSED_PAD src0_sel:WORD_1
	;; [unrolled: 2-line block ×4, first 2 shown]
	s_waitcnt vmcnt(2)
	v_cvt_f32_u32_sdwa v42, v90 dst_sel:DWORD dst_unused:UNUSED_PAD src0_sel:WORD_0
	v_cvt_f32_u32_sdwa v43, v90 dst_sel:DWORD dst_unused:UNUSED_PAD src0_sel:WORD_1
	v_cvt_f32_u32_sdwa v18, v91 dst_sel:DWORD dst_unused:UNUSED_PAD src0_sel:WORD_0
	v_cvt_f32_u32_sdwa v19, v91 dst_sel:DWORD dst_unused:UNUSED_PAD src0_sel:WORD_1
	v_cvt_f32_u32_sdwa v14, v92 dst_sel:DWORD dst_unused:UNUSED_PAD src0_sel:WORD_0
	v_cvt_f32_u32_sdwa v15, v92 dst_sel:DWORD dst_unused:UNUSED_PAD src0_sel:WORD_1
	v_cvt_f32_u32_sdwa v94, v93 dst_sel:DWORD dst_unused:UNUSED_PAD src0_sel:WORD_0
	v_cvt_f32_u32_sdwa v95, v93 dst_sel:DWORD dst_unused:UNUSED_PAD src0_sel:WORD_1
.LBB870_6:
	s_or_b64 exec, exec, s[2:3]
	s_cbranch_execz .LBB870_8
	s_branch .LBB870_11
.LBB870_7:
                                        ; implicit-def: $vgpr22_vgpr23_vgpr24_vgpr25_vgpr26_vgpr27_vgpr28_vgpr29_vgpr30_vgpr31_vgpr32_vgpr33_vgpr34_vgpr35_vgpr36_vgpr37
                                        ; implicit-def: $vgpr46_vgpr47_vgpr48_vgpr49_vgpr50_vgpr51_vgpr52_vgpr53_vgpr54_vgpr55_vgpr56_vgpr57_vgpr58_vgpr59_vgpr60_vgpr61
                                        ; implicit-def: $vgpr26_vgpr27_vgpr28_vgpr29_vgpr30_vgpr31_vgpr32_vgpr33_vgpr34_vgpr35_vgpr36_vgpr37_vgpr38_vgpr39_vgpr40_vgpr41
                                        ; implicit-def: $vgpr8_vgpr9_vgpr10_vgpr11_vgpr12_vgpr13_vgpr14_vgpr15_vgpr16_vgpr17_vgpr18_vgpr19_vgpr20_vgpr21_vgpr22_vgpr23
                                        ; implicit-def: $vgpr95
                                        ; implicit-def: $vgpr62_vgpr63_vgpr64_vgpr65_vgpr66_vgpr67_vgpr68_vgpr69_vgpr70_vgpr71_vgpr72_vgpr73_vgpr74_vgpr75_vgpr76_vgpr77
                                        ; implicit-def: $vgpr34_vgpr35_vgpr36_vgpr37_vgpr38_vgpr39_vgpr40_vgpr41_vgpr42_vgpr43_vgpr44_vgpr45_vgpr46_vgpr47_vgpr48_vgpr49
                                        ; implicit-def: $vgpr2_vgpr3_vgpr4_vgpr5_vgpr6_vgpr7_vgpr8_vgpr9_vgpr10_vgpr11_vgpr12_vgpr13_vgpr14_vgpr15_vgpr16_vgpr17
.LBB870_8:
	v_mov_b32_e32 v95, 0
	v_mov_b32_e32 v94, 0
	v_mov_b32_e32 v15, 0
	v_mov_b32_e32 v14, 0
	v_mov_b32_e32 v19, 0
	v_mov_b32_e32 v18, 0
	v_mov_b32_e32 v43, 0
	v_mov_b32_e32 v42, 0
	v_mov_b32_e32 v33, 0
	v_mov_b32_e32 v32, 0
	v_mov_b32_e32 v51, 0
	v_mov_b32_e32 v50, 0
	v_mov_b32_e32 v25, 0
	v_mov_b32_e32 v24, 0
	v_mov_b32_e32 v63, 0
	v_mov_b32_e32 v62, 0
	s_and_saveexec_b64 s[2:3], s[0:1]
	s_cbranch_execz .LBB870_10
; %bb.9:
	s_load_dwordx2 s[22:23], s[4:5], 0x38
	s_mul_hi_i32 s29, s19, s6
	s_mul_i32 s28, s19, s6
	s_lshl_b64 s[28:29], s[28:29], 1
	s_mov_b32 s31, 0x20000
	s_waitcnt lgkmcnt(0)
	s_add_u32 s28, s22, s28
	s_addc_u32 s14, s23, s29
	s_and_b32 s29, s14, 0xffff
	v_lshlrev_b32_e32 v38, 5, v0
	buffer_load_dwordx4 v[4:7], v38, s[28:31], 16 offen
	buffer_load_dwordx4 v[8:11], v38, s[28:31], 0 offen
	s_load_dwordx2 s[22:23], s[4:5], 0x20
	s_waitcnt vmcnt(5)
	v_cvt_f32_u32_sdwa v19, v86 dst_sel:DWORD dst_unused:UNUSED_PAD src0_sel:WORD_1
	v_cvt_f32_u32_sdwa v18, v86 dst_sel:DWORD dst_unused:UNUSED_PAD src0_sel:WORD_0
	v_cvt_f32_u32_sdwa v21, v87 dst_sel:DWORD dst_unused:UNUSED_PAD src0_sel:WORD_1
	v_cvt_f32_u32_sdwa v20, v87 dst_sel:DWORD dst_unused:UNUSED_PAD src0_sel:WORD_0
	;; [unrolled: 2-line block ×4, first 2 shown]
	s_waitcnt vmcnt(4)
	v_cvt_f32_u32_sdwa v3, v90 dst_sel:DWORD dst_unused:UNUSED_PAD src0_sel:WORD_1
	v_cvt_f32_u32_sdwa v2, v90 dst_sel:DWORD dst_unused:UNUSED_PAD src0_sel:WORD_0
	v_cvt_f32_u32_sdwa v13, v91 dst_sel:DWORD dst_unused:UNUSED_PAD src0_sel:WORD_1
	v_cvt_f32_u32_sdwa v12, v91 dst_sel:DWORD dst_unused:UNUSED_PAD src0_sel:WORD_0
	;; [unrolled: 2-line block ×3, first 2 shown]
	v_cvt_f32_u32_sdwa v16, v93 dst_sel:DWORD dst_unused:UNUSED_PAD src0_sel:WORD_0
	v_cvt_f32_u32_sdwa v17, v93 dst_sel:DWORD dst_unused:UNUSED_PAD src0_sel:WORD_1
	s_mul_hi_i32 s29, s35, s6
	s_mul_i32 s28, s35, s6
	s_lshl_b64 s[28:29], s[28:29], 1
	s_waitcnt lgkmcnt(0)
	s_add_u32 s28, s22, s28
	s_mov_b32 s14, 0x7060302
	s_addc_u32 s17, s23, s29
	s_and_b32 s29, s17, 0xffff
	s_waitcnt vmcnt(1)
	v_cvt_f32_u32_sdwa v27, v4 dst_sel:DWORD dst_unused:UNUSED_PAD src0_sel:WORD_1
	v_cvt_f32_u32_sdwa v26, v4 dst_sel:DWORD dst_unused:UNUSED_PAD src0_sel:WORD_0
	v_cvt_f32_u32_sdwa v29, v5 dst_sel:DWORD dst_unused:UNUSED_PAD src0_sel:WORD_1
	v_cvt_f32_u32_sdwa v28, v5 dst_sel:DWORD dst_unused:UNUSED_PAD src0_sel:WORD_0
	;; [unrolled: 2-line block ×3, first 2 shown]
	v_cvt_f32_u32_sdwa v34, v7 dst_sel:DWORD dst_unused:UNUSED_PAD src0_sel:WORD_0
	v_cvt_f32_u32_sdwa v35, v7 dst_sel:DWORD dst_unused:UNUSED_PAD src0_sel:WORD_1
	s_waitcnt vmcnt(0)
	v_cvt_f32_u32_sdwa v37, v8 dst_sel:DWORD dst_unused:UNUSED_PAD src0_sel:WORD_1
	v_cvt_f32_u32_sdwa v36, v8 dst_sel:DWORD dst_unused:UNUSED_PAD src0_sel:WORD_0
	v_cvt_f32_u32_sdwa v5, v10 dst_sel:DWORD dst_unused:UNUSED_PAD src0_sel:WORD_1
	v_cvt_f32_u32_sdwa v4, v10 dst_sel:DWORD dst_unused:UNUSED_PAD src0_sel:WORD_0
	;; [unrolled: 2-line block ×4, first 2 shown]
	v_pk_add_f32 v[50:51], v[22:23], v[4:5]
	v_pk_add_f32 v[32:33], v[24:25], v[6:7]
	;; [unrolled: 1-line block ×4, first 2 shown]
	v_perm_b32 v7, v33, v32, s14
	v_perm_b32 v6, v51, v50, s14
	;; [unrolled: 1-line block ×4, first 2 shown]
	v_pk_add_f32 v[94:95], v[16:17], v[34:35]
	v_pk_add_f32 v[14:15], v[14:15], v[30:31]
	v_pk_add_f32 v[18:19], v[12:13], v[28:29]
	v_pk_add_f32 v[42:43], v[2:3], v[26:27]
	buffer_store_dwordx4 v[4:7], v38, s[28:31], 0 offen
	;;#ASMSTART
	s_nop 0
	;;#ASMEND
	s_nop 0
	v_perm_b32 v7, v95, v94, s14
	v_perm_b32 v6, v15, v14, s14
	;; [unrolled: 1-line block ×4, first 2 shown]
	buffer_store_dwordx4 v[4:7], v38, s[28:31], 16 offen
	;;#ASMSTART
	s_nop 0
	;;#ASMEND
.LBB870_10:
	s_or_b64 exec, exec, s[2:3]
.LBB870_11:
	v_mul_f32_e32 v2, v63, v63
	v_fmac_f32_e32 v2, v62, v62
	v_fmac_f32_e32 v2, v24, v24
	;; [unrolled: 1-line block ×15, first 2 shown]
	s_nop 1
	v_mov_b32_dpp v3, v2 quad_perm:[1,0,3,2] row_mask:0xf bank_mask:0xf
	v_add_f32_e32 v2, v2, v3
	s_nop 1
	v_mov_b32_dpp v3, v2 quad_perm:[2,3,0,1] row_mask:0xf bank_mask:0xf
	v_add_f32_e32 v2, v2, v3
	s_nop 1
	v_mov_b32_dpp v3, v2 row_half_mirror row_mask:0xf bank_mask:0xf
	v_add_f32_e32 v2, v2, v3
	s_nop 1
	v_mov_b32_dpp v3, v2 row_mirror row_mask:0xf bank_mask:0xf
	v_add_f32_e32 v2, v2, v3
	s_nop 1
	v_mov_b32_dpp v3, v2 row_bcast:15 row_mask:0xf bank_mask:0xf
	v_add_f32_e32 v2, v2, v3
	v_and_b32_e32 v3, 63, v0
	v_cmp_eq_u32_e64 s[2:3], 63, v3
	s_nop 0
	v_mov_b32_dpp v3, v2 row_bcast:31 row_mask:0xf bank_mask:0xf
	s_and_saveexec_b64 s[22:23], s[2:3]
	s_cbranch_execz .LBB870_13
; %bb.12:
	v_add_f32_e32 v2, v2, v3
	v_lshrrev_b32_e32 v3, 4, v0
	v_and_b32_e32 v3, 60, v3
	ds_write_b32 v3, v2 offset:16
.LBB870_13:
	s_or_b64 exec, exec, s[22:23]
	v_and_b32_e32 v2, 3, v0
	v_lshlrev_b32_e32 v34, 2, v2
	s_waitcnt lgkmcnt(0)
	s_barrier
	ds_read_b32 v2, v34 offset:16
	s_load_dwordx2 s[38:39], s[4:5], 0x18
	s_waitcnt lgkmcnt(0)
	v_mov_b32_dpp v3, v2 quad_perm:[1,0,3,2] row_mask:0xf bank_mask:0xf
	v_add_f32_e32 v2, v2, v3
	s_nop 1
	v_mov_b32_dpp v3, v2 quad_perm:[2,3,0,1] row_mask:0xf bank_mask:0xf
	s_and_saveexec_b64 s[22:23], s[0:1]
	s_cbranch_execnz .LBB870_18
; %bb.14:
	s_or_b64 exec, exec, s[22:23]
	s_mov_b64 s[8:9], -1
	s_and_b64 vcc, exec, s[10:11]
	s_cbranch_vccnz .LBB870_19
.LBB870_15:
	s_andn2_b64 vcc, exec, s[8:9]
	s_cbranch_vccz .LBB870_22
.LBB870_16:
	s_cmp_lt_i32 s16, 1
	s_cbranch_scc0 .LBB870_29
.LBB870_17:
	s_endpgm
.LBB870_18:
	v_add_f32_e32 v2, v2, v3
	v_cvt_f32_u32_e32 v3, s7
	s_mov_b32 s7, 0x800000
	s_waitcnt vmcnt(1)
	v_cvt_f32_u32_sdwa v21, v83 dst_sel:DWORD dst_unused:UNUSED_PAD src0_sel:WORD_1
	v_cvt_f32_u32_sdwa v20, v83 dst_sel:DWORD dst_unused:UNUSED_PAD src0_sel:WORD_0
	v_div_scale_f32 v4, s[28:29], v3, v3, v2
	v_rcp_f32_e32 v5, v4
	s_waitcnt vmcnt(0)
	v_cvt_f32_u32_sdwa v23, v80 dst_sel:DWORD dst_unused:UNUSED_PAD src0_sel:WORD_1
	v_cvt_f32_u32_sdwa v22, v80 dst_sel:DWORD dst_unused:UNUSED_PAD src0_sel:WORD_0
	v_cvt_f32_u32_sdwa v27, v81 dst_sel:DWORD dst_unused:UNUSED_PAD src0_sel:WORD_1
	v_fma_f32 v6, -v4, v5, 1.0
	v_fmac_f32_e32 v5, v6, v5
	v_div_scale_f32 v6, vcc, v2, v3, v2
	v_mul_f32_e32 v7, v6, v5
	v_fma_f32 v8, -v4, v7, v6
	v_fmac_f32_e32 v7, v8, v5
	v_fma_f32 v4, -v4, v7, v6
	v_div_fmas_f32 v4, v4, v5, v7
	v_div_fixup_f32 v2, v4, v3, v2
	v_mov_b32_e32 v3, s13
	v_mov_b32_e32 v4, s12
	v_cndmask_b32_e64 v3, v3, v4, s[8:9]
	v_add_f32_e32 v2, v3, v2
	v_mul_f32_e32 v3, 0x4b800000, v2
	v_cmp_gt_f32_e32 vcc, s7, v2
	v_cndmask_b32_e32 v2, v2, v3, vcc
	v_rsq_f32_e32 v2, v2
	v_cvt_f32_u32_sdwa v26, v81 dst_sel:DWORD dst_unused:UNUSED_PAD src0_sel:WORD_0
	v_mul_f32_e32 v3, 0x45800000, v2
	v_cndmask_b32_e32 v2, v2, v3, vcc
	v_mov_b32_e32 v3, v2
	;;#ASMSTART
	v_pk_mul_f32 v[4:5], v[62:63], v[2:3]
	;;#ASMEND
	;;#ASMSTART
	v_pk_mul_f32 v[6:7], v[24:25], v[2:3]
	;;#ASMEND
	;; [unrolled: 3-line block ×6, first 2 shown]
	v_cvt_f32_u32_sdwa v19, v82 dst_sel:DWORD dst_unused:UNUSED_PAD src0_sel:WORD_1
	v_cvt_f32_u32_sdwa v18, v82 dst_sel:DWORD dst_unused:UNUSED_PAD src0_sel:WORD_0
	;;#ASMSTART
	v_pk_mul_f32 v[14:15], v[14:15], v[2:3]
	;;#ASMEND
	;;#ASMSTART
	v_pk_mul_f32 v[2:3], v[94:95], v[2:3]
	;;#ASMEND
	;; [unrolled: 3-line block ×3, first 2 shown]
	v_cvt_f32_u32_sdwa v19, v78 dst_sel:DWORD dst_unused:UNUSED_PAD src0_sel:WORD_1
	v_cvt_f32_u32_sdwa v18, v78 dst_sel:DWORD dst_unused:UNUSED_PAD src0_sel:WORD_0
	;;#ASMSTART
	v_pk_mul_f32 v[24:25], v[6:7], v[20:21]
	;;#ASMEND
	v_cvt_f32_u32_sdwa v5, v84 dst_sel:DWORD dst_unused:UNUSED_PAD src0_sel:WORD_1
	v_cvt_f32_u32_sdwa v4, v84 dst_sel:DWORD dst_unused:UNUSED_PAD src0_sel:WORD_0
	v_cvt_f32_u32_sdwa v7, v85 dst_sel:DWORD dst_unused:UNUSED_PAD src0_sel:WORD_1
	v_cvt_f32_u32_sdwa v6, v85 dst_sel:DWORD dst_unused:UNUSED_PAD src0_sel:WORD_0
	;; [unrolled: 2-line block ×3, first 2 shown]
	;;#ASMSTART
	v_pk_mul_f32 v[50:51], v[8:9], v[4:5]
	;;#ASMEND
	;;#ASMSTART
	v_pk_mul_f32 v[32:33], v[10:11], v[6:7]
	;;#ASMEND
	;; [unrolled: 3-line block ×6, first 2 shown]
	s_or_b64 exec, exec, s[22:23]
	s_mov_b64 s[8:9], -1
	s_and_b64 vcc, exec, s[10:11]
	s_cbranch_vccz .LBB870_15
.LBB870_19:
	s_and_saveexec_b64 s[8:9], s[0:1]
	s_cbranch_execz .LBB870_21
; %bb.20:
	s_mul_hi_i32 s11, s34, s6
	s_mul_i32 s10, s34, s6
	s_lshl_b64 s[10:11], s[10:11], 1
	s_add_u32 s28, s38, s10
	s_addc_u32 s7, s39, s11
	s_and_b32 s29, s7, 0xffff
	s_mov_b32 s7, 0x7060302
	s_mov_b32 s31, 0x20000
	v_perm_b32 v5, v33, v32, s7
	v_perm_b32 v4, v51, v50, s7
	;; [unrolled: 1-line block ×4, first 2 shown]
	v_lshlrev_b32_e32 v6, 5, v0
	buffer_store_dwordx4 v[2:5], v6, s[28:31], 0 offen
	;;#ASMSTART
	s_nop 0
	;;#ASMEND
	s_nop 0
	v_perm_b32 v5, v95, v94, s7
	v_perm_b32 v4, v15, v14, s7
	;; [unrolled: 1-line block ×4, first 2 shown]
	buffer_store_dwordx4 v[2:5], v6, s[28:31], 16 offen
	;;#ASMSTART
	s_nop 0
	;;#ASMEND
.LBB870_21:
	s_or_b64 exec, exec, s[8:9]
	s_cbranch_execnz .LBB870_16
.LBB870_22:
	v_mov_b32_e32 v2, 0
	s_and_saveexec_b64 s[8:9], s[0:1]
	s_cbranch_execz .LBB870_24
; %bb.23:
	v_and_b32_e32 v2, 0x7fffffff, v62
	v_and_b32_e32 v3, 0x7fffffff, v63
	v_mov_b32_e32 v4, 0x2edbe6ff
	;;#ASMSTART
	v_max3_f32 v2, v4, v2, v3

	;;#ASMEND
	v_and_b32_e32 v3, 0x7fffffff, v24
	v_and_b32_e32 v4, 0x7fffffff, v25
	;;#ASMSTART
	v_max3_f32 v2, v2, v3, v4

	;;#ASMEND
	v_and_b32_e32 v3, 0x7fffffff, v50
	v_and_b32_e32 v4, 0x7fffffff, v51
	;; [unrolled: 6-line block ×7, first 2 shown]
	;;#ASMSTART
	v_max3_f32 v2, v2, v3, v4

	;;#ASMEND
.LBB870_24:
	s_or_b64 exec, exec, s[8:9]
	;;#ASMSTART
	v_max_f32 v3, v2, v2 quad_perm:[1,0,3,2] row_mask:0xf bank_mask:0xf bound_ctrl:1
	;;#ASMEND
	v_mul_f32_e32 v2, 0x3b124925, v3
	v_and_b32_e32 v3, 1, v0
	v_cmp_eq_u32_e32 vcc, 0, v3
	v_cmp_gt_i32_e64 s[8:9], s15, v1
	s_and_b64 s[10:11], vcc, s[8:9]
	s_and_saveexec_b64 s[8:9], s[10:11]
	s_cbranch_execz .LBB870_26
; %bb.25:
	s_load_dwordx2 s[10:11], s[4:5], 0x8
	s_mul_hi_i32 s23, s25, s6
	s_mul_i32 s22, s25, s6
	v_lshrrev_b32_e32 v3, 1, v0
	s_lshl_b64 s[22:23], s[22:23], 2
	v_mad_i64_i32 v[4:5], s[26:27], s26, v3, 0
	s_waitcnt lgkmcnt(0)
	s_add_u32 s7, s10, s22
	s_addc_u32 s10, s11, s23
	v_lshlrev_b64 v[4:5], 2, v[4:5]
	v_mov_b32_e32 v3, s10
	v_add_co_u32_e32 v4, vcc, s7, v4
	v_addc_co_u32_e32 v5, vcc, v3, v5, vcc
	global_store_dword v[4:5], v2, off
.LBB870_26:
	s_or_b64 exec, exec, s[8:9]
	;;#ASMSTART
	v_rcp_f32 v2, v2
	;;#ASMEND
	s_and_saveexec_b64 s[22:23], s[0:1]
	s_cbranch_execz .LBB870_28
; %bb.27:
	v_mov_b32_e32 v3, v2
	;;#ASMSTART
	v_pk_mul_f32 v[4:5], v[62:63], v[2:3]
	;;#ASMEND
	v_mov_b32_e32 v10, 0xc3e00000
	v_mov_b32_e32 v11, 0x43e00000
	;;#ASMSTART
	v_med3_f32 v4, v4, v10, v11
v_med3_f32 v5, v5, v10, v11
v_cvt_pk_fp8_f32 v6, v4, v5
	;;#ASMEND
	;;#ASMSTART
	v_pk_mul_f32 v[4:5], v[24:25], v[2:3]
	;;#ASMEND
	;;#ASMSTART
	v_med3_f32 v4, v4, v10, v11
v_med3_f32 v5, v5, v10, v11
v_cvt_pk_fp8_f32 v7, v4, v5
	;;#ASMEND
	;;#ASMSTART
	v_pk_mul_f32 v[4:5], v[50:51], v[2:3]
	;;#ASMEND
	;;#ASMSTART
	v_med3_f32 v4, v4, v10, v11
v_med3_f32 v5, v5, v10, v11
v_cvt_pk_fp8_f32 v8, v4, v5
	;;#ASMEND
	;;#ASMSTART
	v_pk_mul_f32 v[4:5], v[32:33], v[2:3]
	;;#ASMEND
	;;#ASMSTART
	v_med3_f32 v4, v4, v10, v11
v_med3_f32 v5, v5, v10, v11
v_cvt_pk_fp8_f32 v9, v4, v5
	;;#ASMEND
	s_mov_b32 s0, 0x5040100
	v_perm_b32 v4, v7, v6, s0
	s_mov_b32 s0, 0x1060504
	v_perm_b32 v4, v4, v7, s0
	s_load_dwordx2 s[0:1], s[4:5], 0x0
	s_mov_b32 s7, 0x1000504
	;;#ASMSTART
	v_pk_mul_f32 v[6:7], v[42:43], v[2:3]
	;;#ASMEND
	v_perm_b32 v5, v8, v9, s7
	s_mul_i32 s8, s24, s6
	;;#ASMSTART
	v_med3_f32 v6, v6, v10, v11
v_med3_f32 v7, v7, v10, v11
v_cvt_pk_fp8_f32 v8, v6, v7
	;;#ASMEND
	s_mul_hi_i32 s9, s24, s6
	s_waitcnt lgkmcnt(0)
	s_add_u32 s8, s0, s8
	;;#ASMSTART
	v_pk_mul_f32 v[6:7], v[18:19], v[2:3]
	;;#ASMEND
	s_addc_u32 s0, s1, s9
	s_add_i32 s1, s15, 3
	;;#ASMSTART
	v_med3_f32 v6, v6, v10, v11
v_med3_f32 v7, v7, v10, v11
v_cvt_pk_fp8_f32 v9, v6, v7
	;;#ASMEND
	s_ashr_i32 s9, s1, 31
	v_perm_b32 v6, v8, v9, s7
	;;#ASMSTART
	v_pk_mul_f32 v[8:9], v[14:15], v[2:3]
	;;#ASMEND
	v_mov_b32_e32 v7, v9
	s_lshr_b32 s9, s9, 30
	;;#ASMSTART
	v_med3_f32 v8, v8, v10, v11
v_med3_f32 v7, v7, v10, v11
v_cvt_pk_fp8_f32 v9, v8, v7
	;;#ASMEND
	;;#ASMSTART
	v_pk_mul_f32 v[2:3], v[94:95], v[2:3]
	;;#ASMEND
	s_add_i32 s1, s1, s9
	;;#ASMSTART
	v_med3_f32 v2, v2, v10, v11
v_med3_f32 v3, v3, v10, v11
v_cvt_pk_fp8_f32 v7, v2, v3
	;;#ASMEND
	s_and_b32 s10, s1, -4
	s_and_b32 s9, s0, 0xffff
	s_mov_b32 s11, 0x20000
	v_perm_b32 v7, v9, v7, s7
	buffer_store_dwordx4 v[4:7], v1, s[8:11], 0 offen
	;;#ASMSTART
	s_nop 0
	;;#ASMEND
.LBB870_28:
	s_or_b64 exec, exec, s[22:23]
	s_cmp_lt_i32 s16, 1
	s_cbranch_scc1 .LBB870_17
.LBB870_29:
	s_load_dword s0, s[4:5], 0x94
	s_waitcnt lgkmcnt(0)
	s_cmp_lg_u32 s0, 1
	s_cbranch_scc1 .LBB870_17
; %bb.30:
	s_lshl_b32 s0, s16, 1
	s_add_i32 s0, s0, 2
	v_cmp_gt_u32_e32 vcc, s16, v1
	s_and_b32 s22, s0, -4
	v_mov_b32_e32 v18, 0
	v_lshlrev_b32_e32 v1, 5, v0
	v_mov_b32_e32 v14, 0
	v_mov_b32_e32 v15, 0
	;; [unrolled: 1-line block ×16, first 2 shown]
	s_barrier
	s_and_saveexec_b64 s[0:1], vcc
	s_cbranch_execz .LBB870_32
; %bb.31:
	s_mul_hi_i32 s5, s18, s6
	s_mul_i32 s4, s18, s6
	s_and_b32 s21, s21, 0xffff
	s_lshl_b64 s[4:5], s[4:5], 1
	s_add_u32 s8, s36, s4
	s_mov_b32 s23, 0x20000
	s_addc_u32 s4, s37, s5
	s_and_b32 s9, s4, 0xffff
	s_mov_b32 s10, s22
	s_mov_b32 s11, s23
	buffer_load_dwordx4 v[14:17], v1, s[8:11], 0 offen
	buffer_load_dwordx4 v[10:13], v1, s[8:11], 16 offen
	;; [unrolled: 1-line block ×4, first 2 shown]
.LBB870_32:
	s_or_b64 exec, exec, s[0:1]
	v_mov_b32_e32 v19, 0
	v_mov_b32_e32 v32, 0
	;; [unrolled: 1-line block ×15, first 2 shown]
	s_and_saveexec_b64 s[0:1], vcc
	s_cbranch_execz .LBB870_34
; %bb.33:
	s_waitcnt vmcnt(3)
	v_cvt_f32_u32_sdwa v18, v14 dst_sel:DWORD dst_unused:UNUSED_PAD src0_sel:WORD_0
	v_cvt_f32_u32_sdwa v19, v14 dst_sel:DWORD dst_unused:UNUSED_PAD src0_sel:WORD_1
	v_cvt_f32_u32_sdwa v32, v15 dst_sel:DWORD dst_unused:UNUSED_PAD src0_sel:WORD_0
	v_cvt_f32_u32_sdwa v33, v15 dst_sel:DWORD dst_unused:UNUSED_PAD src0_sel:WORD_1
	;; [unrolled: 2-line block ×4, first 2 shown]
	s_waitcnt vmcnt(2)
	v_cvt_f32_u32_sdwa v26, v10 dst_sel:DWORD dst_unused:UNUSED_PAD src0_sel:WORD_0
	v_cvt_f32_u32_sdwa v27, v10 dst_sel:DWORD dst_unused:UNUSED_PAD src0_sel:WORD_1
	v_cvt_f32_u32_sdwa v24, v11 dst_sel:DWORD dst_unused:UNUSED_PAD src0_sel:WORD_0
	v_cvt_f32_u32_sdwa v25, v11 dst_sel:DWORD dst_unused:UNUSED_PAD src0_sel:WORD_1
	v_cvt_f32_u32_sdwa v22, v12 dst_sel:DWORD dst_unused:UNUSED_PAD src0_sel:WORD_0
	v_cvt_f32_u32_sdwa v23, v12 dst_sel:DWORD dst_unused:UNUSED_PAD src0_sel:WORD_1
	v_cvt_f32_u32_sdwa v20, v13 dst_sel:DWORD dst_unused:UNUSED_PAD src0_sel:WORD_0
	v_cvt_f32_u32_sdwa v21, v13 dst_sel:DWORD dst_unused:UNUSED_PAD src0_sel:WORD_1
.LBB870_34:
	s_or_b64 exec, exec, s[0:1]
	s_waitcnt vmcnt(2)
	v_mul_f32_e32 v10, v19, v19
	v_fmac_f32_e32 v10, v18, v18
	v_fmac_f32_e32 v10, v32, v32
	;; [unrolled: 1-line block ×15, first 2 shown]
	s_nop 1
	v_mov_b32_dpp v11, v10 quad_perm:[1,0,3,2] row_mask:0xf bank_mask:0xf
	v_add_f32_e32 v10, v10, v11
	s_nop 1
	v_mov_b32_dpp v11, v10 quad_perm:[2,3,0,1] row_mask:0xf bank_mask:0xf
	v_add_f32_e32 v10, v10, v11
	s_nop 1
	v_mov_b32_dpp v11, v10 row_half_mirror row_mask:0xf bank_mask:0xf
	v_add_f32_e32 v10, v10, v11
	s_nop 1
	v_mov_b32_dpp v11, v10 row_mirror row_mask:0xf bank_mask:0xf
	v_add_f32_e32 v10, v10, v11
	s_nop 1
	v_mov_b32_dpp v11, v10 row_bcast:15 row_mask:0xf bank_mask:0xf
	v_add_f32_e32 v10, v10, v11
	s_nop 1
	v_mov_b32_dpp v11, v10 row_bcast:31 row_mask:0xf bank_mask:0xf
	s_and_saveexec_b64 s[0:1], s[2:3]
	s_cbranch_execz .LBB870_36
; %bb.35:
	v_lshrrev_b32_e32 v0, 4, v0
	v_add_f32_e32 v10, v10, v11
	v_and_b32_e32 v0, 60, v0
	ds_write_b32 v0, v10
.LBB870_36:
	s_or_b64 exec, exec, s[0:1]
	s_waitcnt lgkmcnt(0)
	s_barrier
	ds_read_b32 v0, v34
	s_waitcnt lgkmcnt(0)
	s_nop 0
	v_mov_b32_dpp v10, v0 quad_perm:[1,0,3,2] row_mask:0xf bank_mask:0xf
	v_add_f32_e32 v0, v0, v10
	s_nop 1
	v_mov_b32_dpp v10, v0 quad_perm:[2,3,0,1] row_mask:0xf bank_mask:0xf
	s_and_saveexec_b64 s[0:1], vcc
	s_cbranch_execz .LBB870_17
; %bb.37:
	v_cvt_f32_u32_e32 v11, s16
	v_add_f32_e32 v0, v0, v10
	s_mov_b32 s23, 0x20000
	v_div_scale_f32 v10, s[0:1], v11, v11, v0
	v_rcp_f32_e32 v12, v10
	v_div_scale_f32 v13, vcc, v0, v11, v0
	s_mov_b32 s0, 0x800000
	v_fma_f32 v14, -v10, v12, 1.0
	v_fmac_f32_e32 v12, v14, v12
	v_mul_f32_e32 v14, v13, v12
	v_fma_f32 v15, -v10, v14, v13
	v_fmac_f32_e32 v14, v15, v12
	v_fma_f32 v10, -v10, v14, v13
	v_div_fmas_f32 v10, v10, v12, v14
	v_div_fixup_f32 v0, v10, v11, v0
	v_add_f32_e32 v0, s13, v0
	v_mul_f32_e32 v10, 0x4b800000, v0
	v_cmp_gt_f32_e32 vcc, s0, v0
	v_cndmask_b32_e32 v0, v0, v10, vcc
	v_rsq_f32_e32 v0, v0
	s_mul_hi_i32 s1, s34, s6
	s_mul_i32 s0, s34, s6
	s_lshl_b64 s[0:1], s[0:1], 1
	v_mul_f32_e32 v10, 0x45800000, v0
	v_cndmask_b32_e32 v10, v0, v10, vcc
	v_mov_b32_e32 v11, v10
	s_add_u32 s20, s38, s0
	;;#ASMSTART
	v_pk_mul_f32 v[12:13], v[18:19], v[10:11]
	;;#ASMEND
	;;#ASMSTART
	v_pk_mul_f32 v[14:15], v[32:33], v[10:11]
	;;#ASMEND
	;; [unrolled: 3-line block ×8, first 2 shown]
	s_waitcnt vmcnt(1)
	v_cvt_f32_u32_sdwa v21, v6 dst_sel:DWORD dst_unused:UNUSED_PAD src0_sel:WORD_1
	v_cvt_f32_u32_sdwa v20, v6 dst_sel:DWORD dst_unused:UNUSED_PAD src0_sel:WORD_0
	v_cvt_f32_u32_sdwa v29, v7 dst_sel:DWORD dst_unused:UNUSED_PAD src0_sel:WORD_1
	v_cvt_f32_u32_sdwa v28, v7 dst_sel:DWORD dst_unused:UNUSED_PAD src0_sel:WORD_0
	;; [unrolled: 2-line block ×3, first 2 shown]
	s_addc_u32 s0, s39, s1
	v_cvt_f32_u32_sdwa v31, v9 dst_sel:DWORD dst_unused:UNUSED_PAD src0_sel:WORD_1
	v_cvt_f32_u32_sdwa v30, v9 dst_sel:DWORD dst_unused:UNUSED_PAD src0_sel:WORD_0
	;;#ASMSTART
	v_pk_mul_f32 v[8:9], v[12:13], v[20:21]
	;;#ASMEND
	;;#ASMSTART
	v_pk_mul_f32 v[12:13], v[14:15], v[28:29]
	;;#ASMEND
	;; [unrolled: 3-line block ×4, first 2 shown]
	s_waitcnt vmcnt(0)
	v_cvt_f32_u32_sdwa v17, v2 dst_sel:DWORD dst_unused:UNUSED_PAD src0_sel:WORD_1
	v_cvt_f32_u32_sdwa v16, v2 dst_sel:DWORD dst_unused:UNUSED_PAD src0_sel:WORD_0
	v_cvt_f32_u32_sdwa v19, v3 dst_sel:DWORD dst_unused:UNUSED_PAD src0_sel:WORD_1
	v_cvt_f32_u32_sdwa v18, v3 dst_sel:DWORD dst_unused:UNUSED_PAD src0_sel:WORD_0
	v_cvt_f32_u32_sdwa v3, v4 dst_sel:DWORD dst_unused:UNUSED_PAD src0_sel:WORD_1
	v_cvt_f32_u32_sdwa v2, v4 dst_sel:DWORD dst_unused:UNUSED_PAD src0_sel:WORD_0
	s_and_b32 s21, s0, 0xffff
	s_mov_b32 s0, 0x7060302
	v_cvt_f32_u32_sdwa v21, v5 dst_sel:DWORD dst_unused:UNUSED_PAD src0_sel:WORD_1
	v_cvt_f32_u32_sdwa v20, v5 dst_sel:DWORD dst_unused:UNUSED_PAD src0_sel:WORD_0
	;;#ASMSTART
	v_pk_mul_f32 v[16:17], v[26:27], v[16:17]
	;;#ASMEND
	;;#ASMSTART
	v_pk_mul_f32 v[18:19], v[24:25], v[18:19]
	;;#ASMEND
	;; [unrolled: 3-line block ×3, first 2 shown]
	v_perm_b32 v2, v9, v8, s0
	v_perm_b32 v3, v13, v12, s0
	;; [unrolled: 1-line block ×4, first 2 shown]
	;;#ASMSTART
	v_pk_mul_f32 v[10:11], v[10:11], v[20:21]
	;;#ASMEND
	buffer_store_dwordx4 v[2:5], v1, s[20:23], 0 offen
	;;#ASMSTART
	s_nop 0
	;;#ASMEND
	s_nop 0
	v_perm_b32 v2, v17, v16, s0
	v_perm_b32 v3, v19, v18, s0
	;; [unrolled: 1-line block ×4, first 2 shown]
	buffer_store_dwordx4 v[2:5], v1, s[20:23], 16 offen
	;;#ASMSTART
	s_nop 0
	;;#ASMEND
	s_endpgm
	.section	.rodata,"a",@progbits
	.p2align	6, 0x0
	.amdhsa_kernel _ZN5aiter35fused_qk_rmsnorm_group_quant_kernelItDB8_Li256ELi16ELi2ELb1ELb0ELb0ELb0ELb0ELb0EEEvPT0_PvPT_S6_S6_PKS5_S8_S8_S8_S8_ffiiiiiiiiiiiii
		.amdhsa_group_segment_fixed_size 32
		.amdhsa_private_segment_fixed_size 0
		.amdhsa_kernarg_size 400
		.amdhsa_user_sgpr_count 6
		.amdhsa_user_sgpr_private_segment_buffer 1
		.amdhsa_user_sgpr_dispatch_ptr 0
		.amdhsa_user_sgpr_queue_ptr 0
		.amdhsa_user_sgpr_kernarg_segment_ptr 1
		.amdhsa_user_sgpr_dispatch_id 0
		.amdhsa_user_sgpr_flat_scratch_init 0
		.amdhsa_user_sgpr_kernarg_preload_length 0
		.amdhsa_user_sgpr_kernarg_preload_offset 0
		.amdhsa_user_sgpr_private_segment_size 0
		.amdhsa_uses_dynamic_stack 0
		.amdhsa_system_sgpr_private_segment_wavefront_offset 0
		.amdhsa_system_sgpr_workgroup_id_x 1
		.amdhsa_system_sgpr_workgroup_id_y 1
		.amdhsa_system_sgpr_workgroup_id_z 0
		.amdhsa_system_sgpr_workgroup_info 0
		.amdhsa_system_vgpr_workitem_id 0
		.amdhsa_next_free_vgpr 96
		.amdhsa_next_free_sgpr 44
		.amdhsa_accum_offset 96
		.amdhsa_reserve_vcc 1
		.amdhsa_reserve_flat_scratch 0
		.amdhsa_float_round_mode_32 0
		.amdhsa_float_round_mode_16_64 0
		.amdhsa_float_denorm_mode_32 3
		.amdhsa_float_denorm_mode_16_64 3
		.amdhsa_dx10_clamp 1
		.amdhsa_ieee_mode 1
		.amdhsa_fp16_overflow 0
		.amdhsa_tg_split 0
		.amdhsa_exception_fp_ieee_invalid_op 0
		.amdhsa_exception_fp_denorm_src 0
		.amdhsa_exception_fp_ieee_div_zero 0
		.amdhsa_exception_fp_ieee_overflow 0
		.amdhsa_exception_fp_ieee_underflow 0
		.amdhsa_exception_fp_ieee_inexact 0
		.amdhsa_exception_int_div_zero 0
	.end_amdhsa_kernel
	.section	.text._ZN5aiter35fused_qk_rmsnorm_group_quant_kernelItDB8_Li256ELi16ELi2ELb1ELb0ELb0ELb0ELb0ELb0EEEvPT0_PvPT_S6_S6_PKS5_S8_S8_S8_S8_ffiiiiiiiiiiiii,"axG",@progbits,_ZN5aiter35fused_qk_rmsnorm_group_quant_kernelItDB8_Li256ELi16ELi2ELb1ELb0ELb0ELb0ELb0ELb0EEEvPT0_PvPT_S6_S6_PKS5_S8_S8_S8_S8_ffiiiiiiiiiiiii,comdat
.Lfunc_end870:
	.size	_ZN5aiter35fused_qk_rmsnorm_group_quant_kernelItDB8_Li256ELi16ELi2ELb1ELb0ELb0ELb0ELb0ELb0EEEvPT0_PvPT_S6_S6_PKS5_S8_S8_S8_S8_ffiiiiiiiiiiiii, .Lfunc_end870-_ZN5aiter35fused_qk_rmsnorm_group_quant_kernelItDB8_Li256ELi16ELi2ELb1ELb0ELb0ELb0ELb0ELb0EEEvPT0_PvPT_S6_S6_PKS5_S8_S8_S8_S8_ffiiiiiiiiiiiii
                                        ; -- End function
	.section	.AMDGPU.csdata,"",@progbits
; Kernel info:
; codeLenInByte = 4060
; NumSgprs: 48
; NumVgprs: 96
; NumAgprs: 0
; TotalNumVgprs: 96
; ScratchSize: 0
; MemoryBound: 0
; FloatMode: 240
; IeeeMode: 1
; LDSByteSize: 32 bytes/workgroup (compile time only)
; SGPRBlocks: 5
; VGPRBlocks: 11
; NumSGPRsForWavesPerEU: 48
; NumVGPRsForWavesPerEU: 96
; AccumOffset: 96
; Occupancy: 5
; WaveLimiterHint : 0
; COMPUTE_PGM_RSRC2:SCRATCH_EN: 0
; COMPUTE_PGM_RSRC2:USER_SGPR: 6
; COMPUTE_PGM_RSRC2:TRAP_HANDLER: 0
; COMPUTE_PGM_RSRC2:TGID_X_EN: 1
; COMPUTE_PGM_RSRC2:TGID_Y_EN: 1
; COMPUTE_PGM_RSRC2:TGID_Z_EN: 0
; COMPUTE_PGM_RSRC2:TIDIG_COMP_CNT: 0
; COMPUTE_PGM_RSRC3_GFX90A:ACCUM_OFFSET: 23
; COMPUTE_PGM_RSRC3_GFX90A:TG_SPLIT: 0
	.section	.text._ZN5aiter35fused_qk_rmsnorm_group_quant_kernelIDF16_N4opus5fp4_tELi256ELi16ELi2ELb1ELb0ELb0ELb0ELb0ELb0EEEvPT0_PvPT_S7_S7_PKS6_S9_S9_S9_S9_ffiiiiiiiiiiiii,"axG",@progbits,_ZN5aiter35fused_qk_rmsnorm_group_quant_kernelIDF16_N4opus5fp4_tELi256ELi16ELi2ELb1ELb0ELb0ELb0ELb0ELb0EEEvPT0_PvPT_S7_S7_PKS6_S9_S9_S9_S9_ffiiiiiiiiiiiii,comdat
	.protected	_ZN5aiter35fused_qk_rmsnorm_group_quant_kernelIDF16_N4opus5fp4_tELi256ELi16ELi2ELb1ELb0ELb0ELb0ELb0ELb0EEEvPT0_PvPT_S7_S7_PKS6_S9_S9_S9_S9_ffiiiiiiiiiiiii ; -- Begin function _ZN5aiter35fused_qk_rmsnorm_group_quant_kernelIDF16_N4opus5fp4_tELi256ELi16ELi2ELb1ELb0ELb0ELb0ELb0ELb0EEEvPT0_PvPT_S7_S7_PKS6_S9_S9_S9_S9_ffiiiiiiiiiiiii
	.globl	_ZN5aiter35fused_qk_rmsnorm_group_quant_kernelIDF16_N4opus5fp4_tELi256ELi16ELi2ELb1ELb0ELb0ELb0ELb0ELb0EEEvPT0_PvPT_S7_S7_PKS6_S9_S9_S9_S9_ffiiiiiiiiiiiii
	.p2align	8
	.type	_ZN5aiter35fused_qk_rmsnorm_group_quant_kernelIDF16_N4opus5fp4_tELi256ELi16ELi2ELb1ELb0ELb0ELb0ELb0ELb0EEEvPT0_PvPT_S7_S7_PKS6_S9_S9_S9_S9_ffiiiiiiiiiiiii,@function
_ZN5aiter35fused_qk_rmsnorm_group_quant_kernelIDF16_N4opus5fp4_tELi256ELi16ELi2ELb1ELb0ELb0ELb0ELb0ELb0EEEvPT0_PvPT_S7_S7_PKS6_S9_S9_S9_S9_ffiiiiiiiiiiiii: ; @_ZN5aiter35fused_qk_rmsnorm_group_quant_kernelIDF16_N4opus5fp4_tELi256ELi16ELi2ELb1ELb0ELb0ELb0ELb0ELb0EEEvPT0_PvPT_S7_S7_PKS6_S9_S9_S9_S9_ffiiiiiiiiiiiii
; %bb.0:
	s_load_dwordx8 s[12:19], s[4:5], 0x50
	s_waitcnt lgkmcnt(0)
	s_cmp_ge_i32 s6, s14
	s_cbranch_scc1 .LBB871_17
; %bb.1:
	s_cmp_lg_u32 s7, 0
	s_cselect_b64 s[22:23], -1, 0
	s_cmp_eq_u32 s7, 0
	s_cselect_b64 s[2:3], -1, 0
	s_and_b64 s[0:1], s[2:3], exec
	s_load_dwordx2 s[20:21], s[4:5], 0x48
	s_load_dwordx2 s[34:35], s[4:5], 0x30
	s_load_dwordx4 s[24:27], s[4:5], 0x70
	s_cselect_b32 s7, s15, s16
	s_add_i32 s0, s7, 1
	s_lshr_b32 s1, s0, 31
	s_add_i32 s0, s0, s1
	s_lshl_b32 s0, s0, 1
	v_lshlrev_b32_e32 v1, 4, v0
	s_and_b32 s30, s0, -4
	v_cmp_gt_i32_e64 s[0:1], s7, v1
	v_mov_b32_e32 v6, 0
	v_mov_b32_e32 v7, 0
	;; [unrolled: 1-line block ×16, first 2 shown]
	s_and_saveexec_b64 s[8:9], s[0:1]
	s_cbranch_execz .LBB871_3
; %bb.2:
	s_load_dwordx2 s[10:11], s[4:5], 0x28
	s_load_dwordx2 s[28:29], s[4:5], 0x40
	s_and_b64 s[36:37], s[2:3], exec
	s_cselect_b32 s14, s17, s18
	s_mov_b32 s31, 0x20000
	s_waitcnt lgkmcnt(0)
	s_cselect_b32 s17, s11, s35
	s_cselect_b32 s27, s10, s34
	s_mul_hi_i32 s11, s14, s6
	s_mul_i32 s10, s14, s6
	s_lshl_b64 s[10:11], s[10:11], 1
	s_add_u32 s36, s27, s10
	s_addc_u32 s14, s17, s11
	s_and_b64 s[10:11], s[2:3], exec
	s_cselect_b32 s28, s28, s20
	s_cselect_b32 s10, s29, s21
	s_and_b32 s37, s14, 0xffff
	s_mov_b32 s38, s30
	s_mov_b32 s39, s31
	v_lshlrev_b32_e32 v18, 5, v0
	s_and_b32 s29, s10, 0xffff
	buffer_load_dwordx4 v[10:13], v18, s[36:39], 0 offen
	buffer_load_dwordx4 v[14:17], v18, s[36:39], 16 offen
	;; [unrolled: 1-line block ×4, first 2 shown]
.LBB871_3:
	s_or_b64 exec, exec, s[8:9]
	s_load_dwordx2 s[10:11], s[4:5], 0x80
	s_and_b64 vcc, exec, s[22:23]
	s_cbranch_vccz .LBB871_7
; %bb.4:
	v_mov_b32_e32 v19, 0
	v_mov_b32_e32 v18, 0
	v_mov_b32_e32 v21, 0
	v_mov_b32_e32 v20, 0
	v_mov_b32_e32 v23, 0
	v_mov_b32_e32 v22, 0
	v_mov_b32_e32 v27, 0
	v_mov_b32_e32 v26, 0
	v_mov_b32_e32 v25, 0
	v_mov_b32_e32 v24, 0
	v_mov_b32_e32 v29, 0
	v_mov_b32_e32 v28, 0
	v_mov_b32_e32 v31, 0
	v_mov_b32_e32 v30, 0
	v_mov_b32_e32 v33, 0
	v_mov_b32_e32 v32, 0
	s_and_saveexec_b64 s[8:9], s[0:1]
	s_cbranch_execz .LBB871_6
; %bb.5:
	s_waitcnt vmcnt(3)
	v_cvt_f32_f16_sdwa v33, v10 dst_sel:DWORD dst_unused:UNUSED_PAD src0_sel:WORD_1
	v_cvt_f32_f16_e32 v32, v10
	v_cvt_f32_f16_sdwa v31, v11 dst_sel:DWORD dst_unused:UNUSED_PAD src0_sel:WORD_1
	v_cvt_f32_f16_e32 v30, v11
	;; [unrolled: 2-line block ×4, first 2 shown]
	s_waitcnt vmcnt(2)
	v_cvt_f32_f16_sdwa v27, v14 dst_sel:DWORD dst_unused:UNUSED_PAD src0_sel:WORD_1
	v_cvt_f32_f16_e32 v26, v14
	v_cvt_f32_f16_sdwa v23, v15 dst_sel:DWORD dst_unused:UNUSED_PAD src0_sel:WORD_1
	v_cvt_f32_f16_e32 v22, v15
	;; [unrolled: 2-line block ×4, first 2 shown]
.LBB871_6:
	s_or_b64 exec, exec, s[8:9]
	s_cbranch_execz .LBB871_8
	s_branch .LBB871_11
.LBB871_7:
                                        ; implicit-def: $vgpr19
                                        ; implicit-def: $vgpr21
                                        ; implicit-def: $vgpr23
                                        ; implicit-def: $vgpr27
                                        ; implicit-def: $vgpr25
                                        ; implicit-def: $vgpr29
                                        ; implicit-def: $vgpr31
                                        ; implicit-def: $vgpr33
.LBB871_8:
	v_mov_b32_e32 v19, 0
	v_mov_b32_e32 v18, 0
	;; [unrolled: 1-line block ×16, first 2 shown]
	s_and_saveexec_b64 s[8:9], s[0:1]
	s_cbranch_execz .LBB871_10
; %bb.9:
	s_load_dwordx2 s[28:29], s[4:5], 0x38
	s_mul_hi_i32 s37, s19, s6
	s_mul_i32 s36, s19, s6
	s_lshl_b64 s[36:37], s[36:37], 1
	s_mov_b32 s31, 0x20000
	s_waitcnt lgkmcnt(0)
	s_add_u32 s28, s28, s36
	s_addc_u32 s14, s29, s37
	s_and_b32 s29, s14, 0xffff
	v_lshlrev_b32_e32 v46, 5, v0
	buffer_load_dwordx4 v[18:21], v46, s[28:31], 16 offen
	buffer_load_dwordx4 v[22:25], v46, s[28:31], 0 offen
	s_waitcnt vmcnt(4)
	v_cvt_f32_f16_sdwa v27, v14 dst_sel:DWORD dst_unused:UNUSED_PAD src0_sel:WORD_1
	v_cvt_f32_f16_e32 v26, v14
	v_cvt_f32_f16_sdwa v29, v15 dst_sel:DWORD dst_unused:UNUSED_PAD src0_sel:WORD_1
	v_cvt_f32_f16_e32 v28, v15
	;; [unrolled: 2-line block ×8, first 2 shown]
	s_load_dwordx2 s[28:29], s[4:5], 0x20
	s_mul_hi_i32 s37, s11, s6
	s_mul_i32 s36, s11, s6
	s_lshl_b64 s[36:37], s[36:37], 1
	s_waitcnt lgkmcnt(0)
	s_add_u32 s28, s28, s36
	s_addc_u32 s11, s29, s37
	s_and_b32 s29, s11, 0xffff
	s_waitcnt vmcnt(1)
	v_cvt_f32_f16_e32 v12, v18
	v_cvt_f32_f16_sdwa v13, v18 dst_sel:DWORD dst_unused:UNUSED_PAD src0_sel:WORD_1
	v_cvt_f32_f16_e32 v18, v19
	v_cvt_f32_f16_sdwa v19, v19 dst_sel:DWORD dst_unused:UNUSED_PAD src0_sel:WORD_1
	;; [unrolled: 2-line block ×4, first 2 shown]
	s_waitcnt vmcnt(0)
	v_cvt_f32_f16_e32 v40, v22
	v_cvt_f32_f16_sdwa v41, v22 dst_sel:DWORD dst_unused:UNUSED_PAD src0_sel:WORD_1
	v_cvt_f32_f16_e32 v42, v23
	v_cvt_f32_f16_sdwa v43, v23 dst_sel:DWORD dst_unused:UNUSED_PAD src0_sel:WORD_1
	;; [unrolled: 2-line block ×4, first 2 shown]
	v_pk_add_f32 v[26:27], v[26:27], v[12:13]
	v_pk_add_f32 v[22:23], v[28:29], v[18:19]
	;; [unrolled: 1-line block ×8, first 2 shown]
	v_cvt_f16_f32_e32 v10, v33
	v_cvt_f16_f32_e32 v14, v32
	;; [unrolled: 1-line block ×16, first 2 shown]
	v_pack_b32_f16 v13, v17, v13
	v_pack_b32_f16 v12, v16, v12
	;; [unrolled: 1-line block ×8, first 2 shown]
	buffer_store_dwordx4 v[10:13], v46, s[28:31], 0 offen
	;;#ASMSTART
	s_nop 0
	;;#ASMEND
	buffer_store_dwordx4 v[14:17], v46, s[28:31], 16 offen
	;;#ASMSTART
	s_nop 0
	;;#ASMEND
.LBB871_10:
	s_or_b64 exec, exec, s[8:9]
.LBB871_11:
	s_waitcnt vmcnt(3)
	v_mul_f32_e32 v10, v33, v33
	v_fmac_f32_e32 v10, v32, v32
	v_fmac_f32_e32 v10, v30, v30
	;; [unrolled: 1-line block ×15, first 2 shown]
	v_and_b32_e32 v12, 63, v0
	v_cmp_eq_u32_e64 s[8:9], 63, v12
	v_mov_b32_dpp v11, v10 quad_perm:[1,0,3,2] row_mask:0xf bank_mask:0xf
	v_add_f32_e32 v10, v10, v11
	s_nop 1
	v_mov_b32_dpp v11, v10 quad_perm:[2,3,0,1] row_mask:0xf bank_mask:0xf
	v_add_f32_e32 v10, v10, v11
	s_nop 1
	v_mov_b32_dpp v11, v10 row_half_mirror row_mask:0xf bank_mask:0xf
	v_add_f32_e32 v10, v10, v11
	s_nop 1
	v_mov_b32_dpp v11, v10 row_mirror row_mask:0xf bank_mask:0xf
	v_add_f32_e32 v10, v10, v11
	s_nop 1
	v_mov_b32_dpp v11, v10 row_bcast:15 row_mask:0xf bank_mask:0xf
	v_add_f32_e32 v10, v10, v11
	s_nop 1
	v_mov_b32_dpp v11, v10 row_bcast:31 row_mask:0xf bank_mask:0xf
	s_and_saveexec_b64 s[28:29], s[8:9]
	s_cbranch_execz .LBB871_13
; %bb.12:
	v_add_f32_e32 v10, v10, v11
	v_lshrrev_b32_e32 v11, 4, v0
	v_and_b32_e32 v11, 60, v11
	ds_write_b32 v11, v10 offset:16
.LBB871_13:
	s_or_b64 exec, exec, s[28:29]
	v_and_b32_e32 v10, 3, v0
	v_lshlrev_b32_e32 v34, 2, v10
	s_waitcnt lgkmcnt(0)
	s_barrier
	ds_read_b32 v10, v34 offset:16
	s_load_dwordx2 s[36:37], s[4:5], 0x18
	s_waitcnt lgkmcnt(0)
	v_mov_b32_dpp v11, v10 quad_perm:[1,0,3,2] row_mask:0xf bank_mask:0xf
	v_add_f32_e32 v10, v10, v11
	s_nop 1
	v_mov_b32_dpp v11, v10 quad_perm:[2,3,0,1] row_mask:0xf bank_mask:0xf
	s_and_saveexec_b64 s[28:29], s[0:1]
	s_cbranch_execnz .LBB871_18
; %bb.14:
	s_or_b64 exec, exec, s[28:29]
	s_mov_b64 s[2:3], -1
	s_and_b64 vcc, exec, s[22:23]
	s_cbranch_vccnz .LBB871_19
.LBB871_15:
	s_andn2_b64 vcc, exec, s[2:3]
	s_cbranch_vccz .LBB871_22
.LBB871_16:
	s_cmp_lt_i32 s16, 1
	s_cbranch_scc0 .LBB871_29
.LBB871_17:
	s_endpgm
.LBB871_18:
	v_cvt_f32_u32_e32 v12, s7
	v_add_f32_e32 v10, v10, v11
	s_waitcnt vmcnt(2)
	v_mov_b32_e32 v14, s13
	v_mov_b32_e32 v15, s12
	v_div_scale_f32 v11, s[38:39], v12, v12, v10
	v_rcp_f32_e32 v13, v11
	v_cndmask_b32_e64 v14, v14, v15, s[2:3]
	s_mov_b32 s2, 0x800000
	s_waitcnt vmcnt(1)
	v_cvt_f32_f16_sdwa v37, v9 dst_sel:DWORD dst_unused:UNUSED_PAD src0_sel:WORD_1
	v_fma_f32 v15, -v11, v13, 1.0
	v_fmac_f32_e32 v13, v15, v13
	v_div_scale_f32 v15, vcc, v10, v12, v10
	v_mul_f32_e32 v16, v15, v13
	v_fma_f32 v17, -v11, v16, v15
	v_fmac_f32_e32 v16, v17, v13
	v_fma_f32 v11, -v11, v16, v15
	v_div_fmas_f32 v11, v11, v13, v16
	v_div_fixup_f32 v10, v11, v12, v10
	v_add_f32_e32 v10, v14, v10
	v_mul_f32_e32 v11, 0x4b800000, v10
	v_cmp_gt_f32_e32 vcc, s2, v10
	v_cndmask_b32_e32 v10, v10, v11, vcc
	v_rsq_f32_e32 v10, v10
	v_cvt_f32_f16_e32 v36, v9
	s_waitcnt vmcnt(0)
	v_cvt_f32_f16_sdwa v9, v3 dst_sel:DWORD dst_unused:UNUSED_PAD src0_sel:WORD_1
	v_mul_f32_e32 v11, 0x45800000, v10
	v_cndmask_b32_e32 v10, v10, v11, vcc
	v_mov_b32_e32 v11, v10
	;;#ASMSTART
	v_pk_mul_f32 v[12:13], v[32:33], v[10:11]
	;;#ASMEND
	;;#ASMSTART
	v_pk_mul_f32 v[14:15], v[30:31], v[10:11]
	;;#ASMEND
	;; [unrolled: 3-line block ×8, first 2 shown]
	v_cvt_f32_f16_sdwa v19, v6 dst_sel:DWORD dst_unused:UNUSED_PAD src0_sel:WORD_1
	v_cvt_f32_f16_e32 v18, v6
	v_cvt_f32_f16_sdwa v29, v7 dst_sel:DWORD dst_unused:UNUSED_PAD src0_sel:WORD_1
	v_cvt_f32_f16_e32 v28, v7
	;; [unrolled: 2-line block ×3, first 2 shown]
	;;#ASMSTART
	v_pk_mul_f32 v[32:33], v[12:13], v[18:19]
	;;#ASMEND
	;;#ASMSTART
	v_pk_mul_f32 v[30:31], v[14:15], v[28:29]
	;;#ASMEND
	;; [unrolled: 3-line block ×4, first 2 shown]
	v_cvt_f32_f16_sdwa v7, v2 dst_sel:DWORD dst_unused:UNUSED_PAD src0_sel:WORD_1
	v_cvt_f32_f16_e32 v6, v2
	v_cvt_f32_f16_e32 v8, v3
	v_cvt_f32_f16_sdwa v3, v4 dst_sel:DWORD dst_unused:UNUSED_PAD src0_sel:WORD_1
	v_cvt_f32_f16_e32 v2, v4
	v_cvt_f32_f16_sdwa v13, v5 dst_sel:DWORD dst_unused:UNUSED_PAD src0_sel:WORD_1
	v_cvt_f32_f16_e32 v12, v5
	;;#ASMSTART
	v_pk_mul_f32 v[26:27], v[26:27], v[6:7]
	;;#ASMEND
	;;#ASMSTART
	v_pk_mul_f32 v[22:23], v[22:23], v[8:9]
	;;#ASMEND
	;; [unrolled: 3-line block ×4, first 2 shown]
	s_or_b64 exec, exec, s[28:29]
	s_mov_b64 s[2:3], -1
	s_and_b64 vcc, exec, s[22:23]
	s_cbranch_vccz .LBB871_15
.LBB871_19:
	s_and_saveexec_b64 s[2:3], s[0:1]
	s_cbranch_execz .LBB871_21
; %bb.20:
	s_mul_hi_i32 s23, s10, s6
	s_mul_i32 s22, s10, s6
	s_waitcnt vmcnt(0)
	v_cvt_f16_f32_e32 v2, v32
	v_cvt_f16_f32_e32 v3, v30
	;; [unrolled: 1-line block ×8, first 2 shown]
	s_lshl_b64 s[22:23], s[22:23], 1
	s_add_u32 s28, s36, s22
	s_addc_u32 s7, s37, s23
	s_and_b32 s29, s7, 0xffff
	s_mov_b32 s31, 0x20000
	v_pack_b32_f16 v5, v5, v6
	v_pack_b32_f16 v4, v4, v7
	;; [unrolled: 1-line block ×4, first 2 shown]
	v_lshlrev_b32_e32 v6, 5, v0
	buffer_store_dwordx4 v[2:5], v6, s[28:31], 0 offen
	v_cvt_f16_f32_e32 v7, v19
	v_cvt_f16_f32_e32 v2, v26
	;; [unrolled: 1-line block ×8, first 2 shown]
	v_pack_b32_f16 v5, v5, v7
	v_pack_b32_f16 v4, v4, v8
	;; [unrolled: 1-line block ×4, first 2 shown]
	;;#ASMSTART
	s_nop 0
	;;#ASMEND
	buffer_store_dwordx4 v[2:5], v6, s[28:31], 16 offen
	;;#ASMSTART
	s_nop 0
	;;#ASMEND
.LBB871_21:
	s_or_b64 exec, exec, s[2:3]
	s_cbranch_execnz .LBB871_16
.LBB871_22:
	s_waitcnt vmcnt(0)
	v_mov_b32_e32 v2, 0
	s_and_saveexec_b64 s[2:3], s[0:1]
	s_cbranch_execz .LBB871_24
; %bb.23:
	v_and_b32_e32 v2, 0x7fffffff, v32
	v_and_b32_e32 v3, 0x7fffffff, v33
	v_mov_b32_e32 v4, 0x2edbe6ff
	;;#ASMSTART
	v_max3_f32 v2, v4, v2, v3

	;;#ASMEND
	v_and_b32_e32 v3, 0x7fffffff, v30
	v_and_b32_e32 v4, 0x7fffffff, v31
	;;#ASMSTART
	v_max3_f32 v2, v2, v3, v4

	;;#ASMEND
	v_and_b32_e32 v3, 0x7fffffff, v28
	v_and_b32_e32 v4, 0x7fffffff, v29
	;; [unrolled: 6-line block ×7, first 2 shown]
	;;#ASMSTART
	v_max3_f32 v2, v2, v3, v4

	;;#ASMEND
.LBB871_24:
	s_or_b64 exec, exec, s[2:3]
	;;#ASMSTART
	v_max_f32 v3, v2, v2 quad_perm:[1,0,3,2] row_mask:0xf bank_mask:0xf bound_ctrl:1
	;;#ASMEND
	v_and_b32_e32 v2, 1, v0
	v_cmp_eq_u32_e32 vcc, 0, v2
	v_cmp_gt_i32_e64 s[2:3], s15, v1
	s_and_b64 s[22:23], vcc, s[2:3]
	s_and_saveexec_b64 s[2:3], s[22:23]
	s_cbranch_execz .LBB871_26
; %bb.25:
	s_load_dwordx2 s[22:23], s[4:5], 0x8
	v_mul_f32_e32 v2, 0x3e2aaaab, v3
	v_lshrrev_b32_e32 v3, 23, v2
	v_and_b32_e32 v4, 0x7f800000, v2
	v_and_b32_e32 v2, 0x7fffff, v2
	v_cmp_ne_u32_e32 vcc, 0, v2
	s_mul_i32 s12, s25, s6
	s_mov_b32 s7, 0x7f800000
	v_addc_co_u32_e32 v2, vcc, 0, v3, vcc
	s_mul_hi_i32 s11, s25, s6
	s_waitcnt lgkmcnt(0)
	s_add_u32 s22, s22, s12
	v_cmp_ne_u32_e32 vcc, s7, v4
	s_addc_u32 s23, s23, s11
	v_lshrrev_b32_e32 v5, 1, v0
	v_cndmask_b32_e32 v4, -1, v2, vcc
	v_pk_mov_b32 v[2:3], s[22:23], s[22:23] op_sel:[0,1]
	v_mad_i64_i32 v[2:3], s[22:23], s26, v5, v[2:3]
	global_store_byte v[2:3], v4, off
.LBB871_26:
	s_or_b64 exec, exec, s[2:3]
	s_and_saveexec_b64 s[2:3], s[0:1]
	s_cbranch_execz .LBB871_28
; %bb.27:
	s_load_dwordx2 s[0:1], s[4:5], 0x0
	s_mul_i32 s11, s24, s6
	s_mul_hi_i32 s7, s24, s6
	v_mov_b32_e32 v2, 0
	v_lshlrev_b32_e32 v4, 3, v0
	s_waitcnt lgkmcnt(0)
	s_add_u32 s24, s0, s11
	s_addc_u32 s0, s1, s7
	s_lshr_b32 s1, s15, 31
	s_add_i32 s1, s15, s1
	s_ashr_i32 s1, s1, 1
	s_add_i32 s1, s1, 3
	s_ashr_i32 s7, s1, 31
	s_lshr_b32 s7, s7, 30
	s_add_i32 s1, s1, s7
	s_and_b32 s26, s1, -4
	s_and_b32 s25, s0, 0xffff
	s_mov_b32 s27, 0x20000
	v_mov_b32_e32 v3, v2
	buffer_store_dwordx2 v[2:3], v4, s[24:27], 0 offen
	;;#ASMSTART
	s_nop 0
	;;#ASMEND
.LBB871_28:
	s_or_b64 exec, exec, s[2:3]
	s_cmp_lt_i32 s16, 1
	s_cbranch_scc1 .LBB871_17
.LBB871_29:
	s_load_dword s0, s[4:5], 0x94
	s_waitcnt lgkmcnt(0)
	s_cmp_lg_u32 s0, 1
	s_cbranch_scc1 .LBB871_17
; %bb.30:
	s_lshl_b32 s0, s16, 1
	s_add_i32 s0, s0, 2
	v_cmp_gt_u32_e32 vcc, s16, v1
	s_and_b32 s22, s0, -4
	v_mov_b32_e32 v18, 0
	v_lshlrev_b32_e32 v1, 5, v0
	s_waitcnt vmcnt(2)
	v_mov_b32_e32 v14, 0
	v_mov_b32_e32 v15, 0
	;; [unrolled: 1-line block ×8, first 2 shown]
	s_waitcnt vmcnt(1)
	v_mov_b32_e32 v6, 0
	v_mov_b32_e32 v7, 0
	;; [unrolled: 1-line block ×4, first 2 shown]
	s_waitcnt vmcnt(0)
	v_mov_b32_e32 v2, 0
	v_mov_b32_e32 v3, 0
	;; [unrolled: 1-line block ×4, first 2 shown]
	s_barrier
	s_and_saveexec_b64 s[0:1], vcc
	s_cbranch_execz .LBB871_32
; %bb.31:
	s_mul_hi_i32 s3, s18, s6
	s_mul_i32 s2, s18, s6
	s_and_b32 s21, s21, 0xffff
	s_lshl_b64 s[2:3], s[2:3], 1
	s_add_u32 s24, s34, s2
	s_mov_b32 s23, 0x20000
	s_addc_u32 s2, s35, s3
	s_and_b32 s25, s2, 0xffff
	s_mov_b32 s26, s22
	s_mov_b32 s27, s23
	buffer_load_dwordx4 v[14:17], v1, s[24:27], 0 offen
	buffer_load_dwordx4 v[10:13], v1, s[24:27], 16 offen
	;; [unrolled: 1-line block ×4, first 2 shown]
.LBB871_32:
	s_or_b64 exec, exec, s[0:1]
	v_mov_b32_e32 v19, 0
	v_mov_b32_e32 v32, 0
	;; [unrolled: 1-line block ×15, first 2 shown]
	s_and_saveexec_b64 s[0:1], vcc
	s_cbranch_execz .LBB871_34
; %bb.33:
	s_waitcnt vmcnt(3)
	v_cvt_f32_f16_sdwa v19, v14 dst_sel:DWORD dst_unused:UNUSED_PAD src0_sel:WORD_1
	v_cvt_f32_f16_e32 v18, v14
	v_cvt_f32_f16_sdwa v33, v15 dst_sel:DWORD dst_unused:UNUSED_PAD src0_sel:WORD_1
	v_cvt_f32_f16_e32 v32, v15
	;; [unrolled: 2-line block ×4, first 2 shown]
	s_waitcnt vmcnt(2)
	v_cvt_f32_f16_sdwa v27, v10 dst_sel:DWORD dst_unused:UNUSED_PAD src0_sel:WORD_1
	v_cvt_f32_f16_e32 v26, v10
	v_cvt_f32_f16_sdwa v25, v11 dst_sel:DWORD dst_unused:UNUSED_PAD src0_sel:WORD_1
	v_cvt_f32_f16_e32 v24, v11
	;; [unrolled: 2-line block ×4, first 2 shown]
.LBB871_34:
	s_or_b64 exec, exec, s[0:1]
	s_waitcnt vmcnt(2)
	v_mul_f32_e32 v10, v19, v19
	v_fmac_f32_e32 v10, v18, v18
	v_fmac_f32_e32 v10, v32, v32
	v_fmac_f32_e32 v10, v33, v33
	v_fmac_f32_e32 v10, v30, v30
	v_fmac_f32_e32 v10, v31, v31
	v_fmac_f32_e32 v10, v28, v28
	v_fmac_f32_e32 v10, v29, v29
	v_fmac_f32_e32 v10, v26, v26
	v_fmac_f32_e32 v10, v27, v27
	v_fmac_f32_e32 v10, v24, v24
	v_fmac_f32_e32 v10, v25, v25
	v_fmac_f32_e32 v10, v22, v22
	v_fmac_f32_e32 v10, v23, v23
	v_fmac_f32_e32 v10, v20, v20
	v_fmac_f32_e32 v10, v21, v21
	s_nop 1
	v_mov_b32_dpp v11, v10 quad_perm:[1,0,3,2] row_mask:0xf bank_mask:0xf
	v_add_f32_e32 v10, v10, v11
	s_nop 1
	v_mov_b32_dpp v11, v10 quad_perm:[2,3,0,1] row_mask:0xf bank_mask:0xf
	v_add_f32_e32 v10, v10, v11
	s_nop 1
	v_mov_b32_dpp v11, v10 row_half_mirror row_mask:0xf bank_mask:0xf
	v_add_f32_e32 v10, v10, v11
	s_nop 1
	v_mov_b32_dpp v11, v10 row_mirror row_mask:0xf bank_mask:0xf
	v_add_f32_e32 v10, v10, v11
	s_nop 1
	v_mov_b32_dpp v11, v10 row_bcast:15 row_mask:0xf bank_mask:0xf
	v_add_f32_e32 v10, v10, v11
	s_nop 1
	v_mov_b32_dpp v11, v10 row_bcast:31 row_mask:0xf bank_mask:0xf
	s_and_saveexec_b64 s[0:1], s[8:9]
	s_cbranch_execz .LBB871_36
; %bb.35:
	v_lshrrev_b32_e32 v0, 4, v0
	v_add_f32_e32 v10, v10, v11
	v_and_b32_e32 v0, 60, v0
	ds_write_b32 v0, v10
.LBB871_36:
	s_or_b64 exec, exec, s[0:1]
	s_waitcnt lgkmcnt(0)
	s_barrier
	ds_read_b32 v0, v34
	s_waitcnt lgkmcnt(0)
	s_nop 0
	v_mov_b32_dpp v10, v0 quad_perm:[1,0,3,2] row_mask:0xf bank_mask:0xf
	v_add_f32_e32 v0, v0, v10
	s_nop 1
	v_mov_b32_dpp v10, v0 quad_perm:[2,3,0,1] row_mask:0xf bank_mask:0xf
	s_and_saveexec_b64 s[0:1], vcc
	s_cbranch_execz .LBB871_17
; %bb.37:
	v_cvt_f32_u32_e32 v11, s16
	v_add_f32_e32 v0, v0, v10
	s_mov_b32 s23, 0x20000
	v_div_scale_f32 v10, s[0:1], v11, v11, v0
	v_rcp_f32_e32 v12, v10
	v_div_scale_f32 v13, vcc, v0, v11, v0
	s_mov_b32 s0, 0x800000
	v_fma_f32 v14, -v10, v12, 1.0
	v_fmac_f32_e32 v12, v14, v12
	v_mul_f32_e32 v14, v13, v12
	v_fma_f32 v15, -v10, v14, v13
	v_fmac_f32_e32 v14, v15, v12
	v_fma_f32 v10, -v10, v14, v13
	v_div_fmas_f32 v10, v10, v12, v14
	v_div_fixup_f32 v0, v10, v11, v0
	v_add_f32_e32 v0, s13, v0
	v_mul_f32_e32 v10, 0x4b800000, v0
	v_cmp_gt_f32_e32 vcc, s0, v0
	v_cndmask_b32_e32 v0, v0, v10, vcc
	v_rsq_f32_e32 v0, v0
	s_mul_hi_i32 s1, s10, s6
	s_mul_i32 s0, s10, s6
	s_lshl_b64 s[0:1], s[0:1], 1
	v_mul_f32_e32 v10, 0x45800000, v0
	v_cndmask_b32_e32 v10, v0, v10, vcc
	v_mov_b32_e32 v11, v10
	;;#ASMSTART
	v_pk_mul_f32 v[12:13], v[18:19], v[10:11]
	;;#ASMEND
	;;#ASMSTART
	v_pk_mul_f32 v[14:15], v[32:33], v[10:11]
	;;#ASMEND
	;; [unrolled: 3-line block ×8, first 2 shown]
	s_waitcnt vmcnt(1)
	v_cvt_f32_f16_sdwa v21, v6 dst_sel:DWORD dst_unused:UNUSED_PAD src0_sel:WORD_1
	v_cvt_f32_f16_e32 v20, v6
	v_cvt_f32_f16_sdwa v29, v7 dst_sel:DWORD dst_unused:UNUSED_PAD src0_sel:WORD_1
	v_cvt_f32_f16_e32 v28, v7
	;; [unrolled: 2-line block ×4, first 2 shown]
	;;#ASMSTART
	v_pk_mul_f32 v[8:9], v[12:13], v[20:21]
	;;#ASMEND
	;;#ASMSTART
	v_pk_mul_f32 v[12:13], v[14:15], v[28:29]
	;;#ASMEND
	;; [unrolled: 3-line block ×4, first 2 shown]
	s_waitcnt vmcnt(0)
	v_cvt_f32_f16_sdwa v17, v2 dst_sel:DWORD dst_unused:UNUSED_PAD src0_sel:WORD_1
	v_cvt_f32_f16_e32 v16, v2
	v_cvt_f32_f16_sdwa v19, v3 dst_sel:DWORD dst_unused:UNUSED_PAD src0_sel:WORD_1
	v_cvt_f32_f16_e32 v18, v3
	;; [unrolled: 2-line block ×4, first 2 shown]
	;;#ASMSTART
	v_pk_mul_f32 v[16:17], v[26:27], v[16:17]
	;;#ASMEND
	;;#ASMSTART
	v_pk_mul_f32 v[18:19], v[24:25], v[18:19]
	;;#ASMEND
	;; [unrolled: 3-line block ×3, first 2 shown]
	v_cvt_f16_f32_e32 v0, v8
	v_cvt_f16_f32_e32 v2, v9
	;; [unrolled: 1-line block ×8, first 2 shown]
	s_add_u32 s20, s36, s0
	s_addc_u32 s0, s37, s1
	s_and_b32 s21, s0, 0xffff
	v_pack_b32_f16 v2, v0, v2
	v_pack_b32_f16 v3, v3, v4
	;; [unrolled: 1-line block ×4, first 2 shown]
	;;#ASMSTART
	v_pk_mul_f32 v[10:11], v[10:11], v[20:21]
	;;#ASMEND
	buffer_store_dwordx4 v[2:5], v1, s[20:23], 0 offen
	v_cvt_f16_f32_e32 v0, v16
	v_cvt_f16_f32_e32 v2, v17
	;; [unrolled: 1-line block ×8, first 2 shown]
	v_pack_b32_f16 v2, v0, v2
	v_pack_b32_f16 v3, v3, v4
	;; [unrolled: 1-line block ×4, first 2 shown]
	;;#ASMSTART
	s_nop 0
	;;#ASMEND
	buffer_store_dwordx4 v[2:5], v1, s[20:23], 16 offen
	;;#ASMSTART
	s_nop 0
	;;#ASMEND
	s_endpgm
	.section	.rodata,"a",@progbits
	.p2align	6, 0x0
	.amdhsa_kernel _ZN5aiter35fused_qk_rmsnorm_group_quant_kernelIDF16_N4opus5fp4_tELi256ELi16ELi2ELb1ELb0ELb0ELb0ELb0ELb0EEEvPT0_PvPT_S7_S7_PKS6_S9_S9_S9_S9_ffiiiiiiiiiiiii
		.amdhsa_group_segment_fixed_size 32
		.amdhsa_private_segment_fixed_size 0
		.amdhsa_kernarg_size 400
		.amdhsa_user_sgpr_count 6
		.amdhsa_user_sgpr_private_segment_buffer 1
		.amdhsa_user_sgpr_dispatch_ptr 0
		.amdhsa_user_sgpr_queue_ptr 0
		.amdhsa_user_sgpr_kernarg_segment_ptr 1
		.amdhsa_user_sgpr_dispatch_id 0
		.amdhsa_user_sgpr_flat_scratch_init 0
		.amdhsa_user_sgpr_kernarg_preload_length 0
		.amdhsa_user_sgpr_kernarg_preload_offset 0
		.amdhsa_user_sgpr_private_segment_size 0
		.amdhsa_uses_dynamic_stack 0
		.amdhsa_system_sgpr_private_segment_wavefront_offset 0
		.amdhsa_system_sgpr_workgroup_id_x 1
		.amdhsa_system_sgpr_workgroup_id_y 1
		.amdhsa_system_sgpr_workgroup_id_z 0
		.amdhsa_system_sgpr_workgroup_info 0
		.amdhsa_system_vgpr_workitem_id 0
		.amdhsa_next_free_vgpr 47
		.amdhsa_next_free_sgpr 40
		.amdhsa_accum_offset 48
		.amdhsa_reserve_vcc 1
		.amdhsa_reserve_flat_scratch 0
		.amdhsa_float_round_mode_32 0
		.amdhsa_float_round_mode_16_64 0
		.amdhsa_float_denorm_mode_32 3
		.amdhsa_float_denorm_mode_16_64 3
		.amdhsa_dx10_clamp 1
		.amdhsa_ieee_mode 1
		.amdhsa_fp16_overflow 0
		.amdhsa_tg_split 0
		.amdhsa_exception_fp_ieee_invalid_op 0
		.amdhsa_exception_fp_denorm_src 0
		.amdhsa_exception_fp_ieee_div_zero 0
		.amdhsa_exception_fp_ieee_overflow 0
		.amdhsa_exception_fp_ieee_underflow 0
		.amdhsa_exception_fp_ieee_inexact 0
		.amdhsa_exception_int_div_zero 0
	.end_amdhsa_kernel
	.section	.text._ZN5aiter35fused_qk_rmsnorm_group_quant_kernelIDF16_N4opus5fp4_tELi256ELi16ELi2ELb1ELb0ELb0ELb0ELb0ELb0EEEvPT0_PvPT_S7_S7_PKS6_S9_S9_S9_S9_ffiiiiiiiiiiiii,"axG",@progbits,_ZN5aiter35fused_qk_rmsnorm_group_quant_kernelIDF16_N4opus5fp4_tELi256ELi16ELi2ELb1ELb0ELb0ELb0ELb0ELb0EEEvPT0_PvPT_S7_S7_PKS6_S9_S9_S9_S9_ffiiiiiiiiiiiii,comdat
.Lfunc_end871:
	.size	_ZN5aiter35fused_qk_rmsnorm_group_quant_kernelIDF16_N4opus5fp4_tELi256ELi16ELi2ELb1ELb0ELb0ELb0ELb0ELb0EEEvPT0_PvPT_S7_S7_PKS6_S9_S9_S9_S9_ffiiiiiiiiiiiii, .Lfunc_end871-_ZN5aiter35fused_qk_rmsnorm_group_quant_kernelIDF16_N4opus5fp4_tELi256ELi16ELi2ELb1ELb0ELb0ELb0ELb0ELb0EEEvPT0_PvPT_S7_S7_PKS6_S9_S9_S9_S9_ffiiiiiiiiiiiii
                                        ; -- End function
	.section	.AMDGPU.csdata,"",@progbits
; Kernel info:
; codeLenInByte = 3744
; NumSgprs: 44
; NumVgprs: 47
; NumAgprs: 0
; TotalNumVgprs: 47
; ScratchSize: 0
; MemoryBound: 0
; FloatMode: 240
; IeeeMode: 1
; LDSByteSize: 32 bytes/workgroup (compile time only)
; SGPRBlocks: 5
; VGPRBlocks: 5
; NumSGPRsForWavesPerEU: 44
; NumVGPRsForWavesPerEU: 47
; AccumOffset: 48
; Occupancy: 8
; WaveLimiterHint : 0
; COMPUTE_PGM_RSRC2:SCRATCH_EN: 0
; COMPUTE_PGM_RSRC2:USER_SGPR: 6
; COMPUTE_PGM_RSRC2:TRAP_HANDLER: 0
; COMPUTE_PGM_RSRC2:TGID_X_EN: 1
; COMPUTE_PGM_RSRC2:TGID_Y_EN: 1
; COMPUTE_PGM_RSRC2:TGID_Z_EN: 0
; COMPUTE_PGM_RSRC2:TIDIG_COMP_CNT: 0
; COMPUTE_PGM_RSRC3_GFX90A:ACCUM_OFFSET: 11
; COMPUTE_PGM_RSRC3_GFX90A:TG_SPLIT: 0
	.section	.text._ZN5aiter35fused_qk_rmsnorm_group_quant_kernelItN4opus5fp4_tELi256ELi16ELi2ELb1ELb0ELb0ELb0ELb0ELb0EEEvPT0_PvPT_S7_S7_PKS6_S9_S9_S9_S9_ffiiiiiiiiiiiii,"axG",@progbits,_ZN5aiter35fused_qk_rmsnorm_group_quant_kernelItN4opus5fp4_tELi256ELi16ELi2ELb1ELb0ELb0ELb0ELb0ELb0EEEvPT0_PvPT_S7_S7_PKS6_S9_S9_S9_S9_ffiiiiiiiiiiiii,comdat
	.protected	_ZN5aiter35fused_qk_rmsnorm_group_quant_kernelItN4opus5fp4_tELi256ELi16ELi2ELb1ELb0ELb0ELb0ELb0ELb0EEEvPT0_PvPT_S7_S7_PKS6_S9_S9_S9_S9_ffiiiiiiiiiiiii ; -- Begin function _ZN5aiter35fused_qk_rmsnorm_group_quant_kernelItN4opus5fp4_tELi256ELi16ELi2ELb1ELb0ELb0ELb0ELb0ELb0EEEvPT0_PvPT_S7_S7_PKS6_S9_S9_S9_S9_ffiiiiiiiiiiiii
	.globl	_ZN5aiter35fused_qk_rmsnorm_group_quant_kernelItN4opus5fp4_tELi256ELi16ELi2ELb1ELb0ELb0ELb0ELb0ELb0EEEvPT0_PvPT_S7_S7_PKS6_S9_S9_S9_S9_ffiiiiiiiiiiiii
	.p2align	8
	.type	_ZN5aiter35fused_qk_rmsnorm_group_quant_kernelItN4opus5fp4_tELi256ELi16ELi2ELb1ELb0ELb0ELb0ELb0ELb0EEEvPT0_PvPT_S7_S7_PKS6_S9_S9_S9_S9_ffiiiiiiiiiiiii,@function
_ZN5aiter35fused_qk_rmsnorm_group_quant_kernelItN4opus5fp4_tELi256ELi16ELi2ELb1ELb0ELb0ELb0ELb0ELb0EEEvPT0_PvPT_S7_S7_PKS6_S9_S9_S9_S9_ffiiiiiiiiiiiii: ; @_ZN5aiter35fused_qk_rmsnorm_group_quant_kernelItN4opus5fp4_tELi256ELi16ELi2ELb1ELb0ELb0ELb0ELb0ELb0EEEvPT0_PvPT_S7_S7_PKS6_S9_S9_S9_S9_ffiiiiiiiiiiiii
; %bb.0:
	s_load_dwordx8 s[12:19], s[4:5], 0x50
	s_waitcnt lgkmcnt(0)
	s_cmp_ge_i32 s6, s14
	s_cbranch_scc1 .LBB872_17
; %bb.1:
	s_cmp_lg_u32 s7, 0
	s_cselect_b64 s[22:23], -1, 0
	s_cmp_eq_u32 s7, 0
	s_cselect_b64 s[2:3], -1, 0
	s_and_b64 s[0:1], s[2:3], exec
	s_load_dwordx2 s[20:21], s[4:5], 0x48
	s_load_dwordx2 s[34:35], s[4:5], 0x30
	s_load_dwordx4 s[24:27], s[4:5], 0x70
	s_cselect_b32 s7, s15, s16
	s_add_i32 s0, s7, 1
	s_lshr_b32 s1, s0, 31
	s_add_i32 s0, s0, s1
	s_lshl_b32 s0, s0, 1
	v_lshlrev_b32_e32 v1, 4, v0
	s_and_b32 s30, s0, -4
	v_cmp_gt_i32_e64 s[0:1], s7, v1
	v_mov_b32_e32 v80, 0
	v_mov_b32_e32 v81, 0
	;; [unrolled: 1-line block ×16, first 2 shown]
	s_and_saveexec_b64 s[8:9], s[0:1]
	s_cbranch_execz .LBB872_3
; %bb.2:
	s_load_dwordx2 s[10:11], s[4:5], 0x28
	s_load_dwordx2 s[28:29], s[4:5], 0x40
	s_and_b64 s[36:37], s[2:3], exec
	s_cselect_b32 s14, s17, s18
	s_mov_b32 s31, 0x20000
	s_waitcnt lgkmcnt(0)
	s_cselect_b32 s17, s11, s35
	s_cselect_b32 s27, s10, s34
	s_mul_hi_i32 s11, s14, s6
	s_mul_i32 s10, s14, s6
	s_lshl_b64 s[10:11], s[10:11], 1
	s_add_u32 s36, s27, s10
	s_addc_u32 s14, s17, s11
	s_and_b64 s[10:11], s[2:3], exec
	s_cselect_b32 s28, s28, s20
	s_cselect_b32 s10, s29, s21
	s_and_b32 s37, s14, 0xffff
	s_mov_b32 s38, s30
	s_mov_b32 s39, s31
	v_lshlrev_b32_e32 v2, 5, v0
	s_and_b32 s29, s10, 0xffff
	buffer_load_dwordx4 v[84:87], v2, s[36:39], 0 offen
	buffer_load_dwordx4 v[88:91], v2, s[36:39], 16 offen
	;; [unrolled: 1-line block ×4, first 2 shown]
.LBB872_3:
	s_or_b64 exec, exec, s[8:9]
	s_load_dwordx2 s[10:11], s[4:5], 0x80
	s_and_b64 vcc, exec, s[22:23]
	s_cbranch_vccz .LBB872_7
; %bb.4:
	v_mov_b32_e32 v93, 0
	v_mov_b32_e32 v92, 0
	;; [unrolled: 1-line block ×16, first 2 shown]
	s_and_saveexec_b64 s[8:9], s[0:1]
	s_cbranch_execz .LBB872_6
; %bb.5:
	s_waitcnt vmcnt(3)
	v_cvt_f32_u32_sdwa v32, v84 dst_sel:DWORD dst_unused:UNUSED_PAD src0_sel:WORD_0
	v_cvt_f32_u32_sdwa v33, v84 dst_sel:DWORD dst_unused:UNUSED_PAD src0_sel:WORD_1
	v_cvt_f32_u32_sdwa v18, v85 dst_sel:DWORD dst_unused:UNUSED_PAD src0_sel:WORD_0
	v_cvt_f32_u32_sdwa v19, v85 dst_sel:DWORD dst_unused:UNUSED_PAD src0_sel:WORD_1
	;; [unrolled: 2-line block ×4, first 2 shown]
	s_waitcnt vmcnt(2)
	v_cvt_f32_u32_sdwa v68, v88 dst_sel:DWORD dst_unused:UNUSED_PAD src0_sel:WORD_0
	v_cvt_f32_u32_sdwa v69, v88 dst_sel:DWORD dst_unused:UNUSED_PAD src0_sel:WORD_1
	v_cvt_f32_u32_sdwa v62, v89 dst_sel:DWORD dst_unused:UNUSED_PAD src0_sel:WORD_0
	v_cvt_f32_u32_sdwa v63, v89 dst_sel:DWORD dst_unused:UNUSED_PAD src0_sel:WORD_1
	;; [unrolled: 2-line block ×4, first 2 shown]
.LBB872_6:
	s_or_b64 exec, exec, s[8:9]
	s_cbranch_execz .LBB872_8
	s_branch .LBB872_11
.LBB872_7:
                                        ; implicit-def: $vgpr32_vgpr33_vgpr34_vgpr35_vgpr36_vgpr37_vgpr38_vgpr39_vgpr40_vgpr41_vgpr42_vgpr43_vgpr44_vgpr45_vgpr46_vgpr47
                                        ; implicit-def: $vgpr46_vgpr47_vgpr48_vgpr49_vgpr50_vgpr51_vgpr52_vgpr53_vgpr54_vgpr55_vgpr56_vgpr57_vgpr58_vgpr59_vgpr60_vgpr61
                                        ; implicit-def: $vgpr16_vgpr17_vgpr18_vgpr19_vgpr20_vgpr21_vgpr22_vgpr23_vgpr24_vgpr25_vgpr26_vgpr27_vgpr28_vgpr29_vgpr30_vgpr31
                                        ; implicit-def: $vgpr93
                                        ; implicit-def: $vgpr2_vgpr3_vgpr4_vgpr5_vgpr6_vgpr7_vgpr8_vgpr9_vgpr10_vgpr11_vgpr12_vgpr13_vgpr14_vgpr15_vgpr16_vgpr17
                                        ; implicit-def: $vgpr60_vgpr61_vgpr62_vgpr63_vgpr64_vgpr65_vgpr66_vgpr67_vgpr68_vgpr69_vgpr70_vgpr71_vgpr72_vgpr73_vgpr74_vgpr75
                                        ; implicit-def: $vgpr34_vgpr35_vgpr36_vgpr37_vgpr38_vgpr39_vgpr40_vgpr41_vgpr42_vgpr43_vgpr44_vgpr45_vgpr46_vgpr47_vgpr48_vgpr49
                                        ; implicit-def: $vgpr52_vgpr53_vgpr54_vgpr55_vgpr56_vgpr57_vgpr58_vgpr59_vgpr60_vgpr61_vgpr62_vgpr63_vgpr64_vgpr65_vgpr66_vgpr67
.LBB872_8:
	v_mov_b32_e32 v93, 0
	v_mov_b32_e32 v92, 0
	;; [unrolled: 1-line block ×16, first 2 shown]
	s_and_saveexec_b64 s[8:9], s[0:1]
	s_cbranch_execz .LBB872_10
; %bb.9:
	s_load_dwordx2 s[28:29], s[4:5], 0x38
	s_mul_hi_i32 s37, s19, s6
	s_mul_i32 s36, s19, s6
	s_lshl_b64 s[36:37], s[36:37], 1
	s_mov_b32 s31, 0x20000
	s_waitcnt lgkmcnt(0)
	s_add_u32 s28, s28, s36
	s_addc_u32 s14, s29, s37
	s_and_b32 s29, s14, 0xffff
	v_lshlrev_b32_e32 v36, 5, v0
	buffer_load_dwordx4 v[4:7], v36, s[28:31], 16 offen
	buffer_load_dwordx4 v[8:11], v36, s[28:31], 0 offen
	s_load_dwordx2 s[28:29], s[4:5], 0x20
	s_waitcnt vmcnt(5)
	v_cvt_f32_u32_sdwa v21, v84 dst_sel:DWORD dst_unused:UNUSED_PAD src0_sel:WORD_1
	v_cvt_f32_u32_sdwa v20, v84 dst_sel:DWORD dst_unused:UNUSED_PAD src0_sel:WORD_0
	v_cvt_f32_u32_sdwa v19, v85 dst_sel:DWORD dst_unused:UNUSED_PAD src0_sel:WORD_1
	v_cvt_f32_u32_sdwa v18, v85 dst_sel:DWORD dst_unused:UNUSED_PAD src0_sel:WORD_0
	;; [unrolled: 2-line block ×4, first 2 shown]
	s_waitcnt vmcnt(4)
	v_cvt_f32_u32_sdwa v3, v88 dst_sel:DWORD dst_unused:UNUSED_PAD src0_sel:WORD_1
	v_cvt_f32_u32_sdwa v2, v88 dst_sel:DWORD dst_unused:UNUSED_PAD src0_sel:WORD_0
	v_cvt_f32_u32_sdwa v13, v89 dst_sel:DWORD dst_unused:UNUSED_PAD src0_sel:WORD_1
	v_cvt_f32_u32_sdwa v12, v89 dst_sel:DWORD dst_unused:UNUSED_PAD src0_sel:WORD_0
	;; [unrolled: 2-line block ×3, first 2 shown]
	v_cvt_f32_u32_sdwa v16, v91 dst_sel:DWORD dst_unused:UNUSED_PAD src0_sel:WORD_0
	v_cvt_f32_u32_sdwa v17, v91 dst_sel:DWORD dst_unused:UNUSED_PAD src0_sel:WORD_1
	s_mul_hi_i32 s37, s11, s6
	s_mul_i32 s36, s11, s6
	s_lshl_b64 s[36:37], s[36:37], 1
	s_waitcnt lgkmcnt(0)
	s_add_u32 s28, s28, s36
	s_mov_b32 s11, 0x7060302
	s_addc_u32 s14, s29, s37
	s_and_b32 s29, s14, 0xffff
	s_waitcnt vmcnt(1)
	v_cvt_f32_u32_sdwa v27, v4 dst_sel:DWORD dst_unused:UNUSED_PAD src0_sel:WORD_1
	v_cvt_f32_u32_sdwa v26, v4 dst_sel:DWORD dst_unused:UNUSED_PAD src0_sel:WORD_0
	v_cvt_f32_u32_sdwa v29, v5 dst_sel:DWORD dst_unused:UNUSED_PAD src0_sel:WORD_1
	v_cvt_f32_u32_sdwa v28, v5 dst_sel:DWORD dst_unused:UNUSED_PAD src0_sel:WORD_0
	;; [unrolled: 2-line block ×3, first 2 shown]
	v_cvt_f32_u32_sdwa v34, v7 dst_sel:DWORD dst_unused:UNUSED_PAD src0_sel:WORD_0
	v_cvt_f32_u32_sdwa v35, v7 dst_sel:DWORD dst_unused:UNUSED_PAD src0_sel:WORD_1
	s_waitcnt vmcnt(0)
	v_cvt_f32_u32_sdwa v33, v8 dst_sel:DWORD dst_unused:UNUSED_PAD src0_sel:WORD_1
	v_cvt_f32_u32_sdwa v32, v8 dst_sel:DWORD dst_unused:UNUSED_PAD src0_sel:WORD_0
	v_cvt_f32_u32_sdwa v5, v10 dst_sel:DWORD dst_unused:UNUSED_PAD src0_sel:WORD_1
	v_cvt_f32_u32_sdwa v4, v10 dst_sel:DWORD dst_unused:UNUSED_PAD src0_sel:WORD_0
	;; [unrolled: 2-line block ×4, first 2 shown]
	v_pk_add_f32 v[50:51], v[22:23], v[4:5]
	v_pk_add_f32 v[40:41], v[24:25], v[6:7]
	;; [unrolled: 1-line block ×4, first 2 shown]
	v_perm_b32 v7, v41, v40, s11
	v_perm_b32 v6, v51, v50, s11
	;; [unrolled: 1-line block ×4, first 2 shown]
	v_pk_add_f32 v[92:93], v[16:17], v[34:35]
	v_pk_add_f32 v[14:15], v[14:15], v[30:31]
	;; [unrolled: 1-line block ×4, first 2 shown]
	buffer_store_dwordx4 v[4:7], v36, s[28:31], 0 offen
	;;#ASMSTART
	s_nop 0
	;;#ASMEND
	s_nop 0
	v_perm_b32 v7, v93, v92, s11
	v_perm_b32 v6, v15, v14, s11
	;; [unrolled: 1-line block ×4, first 2 shown]
	buffer_store_dwordx4 v[4:7], v36, s[28:31], 16 offen
	;;#ASMSTART
	s_nop 0
	;;#ASMEND
.LBB872_10:
	s_or_b64 exec, exec, s[8:9]
.LBB872_11:
	v_mul_f32_e32 v2, v33, v33
	v_fmac_f32_e32 v2, v32, v32
	v_fmac_f32_e32 v2, v18, v18
	;; [unrolled: 1-line block ×15, first 2 shown]
	s_nop 1
	v_mov_b32_dpp v3, v2 quad_perm:[1,0,3,2] row_mask:0xf bank_mask:0xf
	v_add_f32_e32 v2, v2, v3
	s_nop 1
	v_mov_b32_dpp v3, v2 quad_perm:[2,3,0,1] row_mask:0xf bank_mask:0xf
	v_add_f32_e32 v2, v2, v3
	s_nop 1
	v_mov_b32_dpp v3, v2 row_half_mirror row_mask:0xf bank_mask:0xf
	v_add_f32_e32 v2, v2, v3
	s_nop 1
	v_mov_b32_dpp v3, v2 row_mirror row_mask:0xf bank_mask:0xf
	v_add_f32_e32 v2, v2, v3
	s_nop 1
	v_mov_b32_dpp v3, v2 row_bcast:15 row_mask:0xf bank_mask:0xf
	v_add_f32_e32 v2, v2, v3
	v_and_b32_e32 v3, 63, v0
	v_cmp_eq_u32_e64 s[8:9], 63, v3
	s_nop 0
	v_mov_b32_dpp v3, v2 row_bcast:31 row_mask:0xf bank_mask:0xf
	s_and_saveexec_b64 s[28:29], s[8:9]
	s_cbranch_execz .LBB872_13
; %bb.12:
	v_add_f32_e32 v2, v2, v3
	v_lshrrev_b32_e32 v3, 4, v0
	v_and_b32_e32 v3, 60, v3
	ds_write_b32 v3, v2 offset:16
.LBB872_13:
	s_or_b64 exec, exec, s[28:29]
	v_and_b32_e32 v2, 3, v0
	v_lshlrev_b32_e32 v34, 2, v2
	s_waitcnt lgkmcnt(0)
	s_barrier
	ds_read_b32 v2, v34 offset:16
	s_load_dwordx2 s[36:37], s[4:5], 0x18
	s_waitcnt lgkmcnt(0)
	v_mov_b32_dpp v3, v2 quad_perm:[1,0,3,2] row_mask:0xf bank_mask:0xf
	v_add_f32_e32 v2, v2, v3
	s_nop 1
	v_mov_b32_dpp v3, v2 quad_perm:[2,3,0,1] row_mask:0xf bank_mask:0xf
	s_and_saveexec_b64 s[28:29], s[0:1]
	s_cbranch_execnz .LBB872_18
; %bb.14:
	s_or_b64 exec, exec, s[28:29]
	s_mov_b64 s[2:3], -1
	s_and_b64 vcc, exec, s[22:23]
	s_cbranch_vccnz .LBB872_19
.LBB872_15:
	s_andn2_b64 vcc, exec, s[2:3]
	s_cbranch_vccz .LBB872_22
.LBB872_16:
	s_cmp_lt_i32 s16, 1
	s_cbranch_scc0 .LBB872_29
.LBB872_17:
	s_endpgm
.LBB872_18:
	v_add_f32_e32 v2, v2, v3
	v_cvt_f32_u32_e32 v3, s7
	s_waitcnt vmcnt(1)
	v_cvt_f32_u32_sdwa v21, v81 dst_sel:DWORD dst_unused:UNUSED_PAD src0_sel:WORD_1
	v_cvt_f32_u32_sdwa v20, v81 dst_sel:DWORD dst_unused:UNUSED_PAD src0_sel:WORD_0
	s_waitcnt vmcnt(0)
	v_cvt_f32_u32_sdwa v23, v77 dst_sel:DWORD dst_unused:UNUSED_PAD src0_sel:WORD_1
	v_div_scale_f32 v4, s[38:39], v3, v3, v2
	v_rcp_f32_e32 v5, v4
	v_cvt_f32_u32_sdwa v22, v77 dst_sel:DWORD dst_unused:UNUSED_PAD src0_sel:WORD_0
	v_cvt_f32_u32_sdwa v25, v78 dst_sel:DWORD dst_unused:UNUSED_PAD src0_sel:WORD_1
	v_cvt_f32_u32_sdwa v24, v78 dst_sel:DWORD dst_unused:UNUSED_PAD src0_sel:WORD_0
	v_fma_f32 v6, -v4, v5, 1.0
	v_fmac_f32_e32 v5, v6, v5
	v_div_scale_f32 v6, vcc, v2, v3, v2
	v_mul_f32_e32 v7, v6, v5
	v_fma_f32 v8, -v4, v7, v6
	v_fmac_f32_e32 v7, v8, v5
	v_fma_f32 v4, -v4, v7, v6
	v_div_fmas_f32 v4, v4, v5, v7
	v_div_fixup_f32 v2, v4, v3, v2
	v_mov_b32_e32 v3, s13
	v_mov_b32_e32 v4, s12
	v_cndmask_b32_e64 v3, v3, v4, s[2:3]
	v_add_f32_e32 v2, v3, v2
	s_mov_b32 s2, 0x800000
	v_mul_f32_e32 v3, 0x4b800000, v2
	v_cmp_gt_f32_e32 vcc, s2, v2
	v_cndmask_b32_e32 v2, v2, v3, vcc
	v_rsq_f32_e32 v2, v2
	v_cvt_f32_u32_sdwa v27, v79 dst_sel:DWORD dst_unused:UNUSED_PAD src0_sel:WORD_1
	v_cvt_f32_u32_sdwa v26, v79 dst_sel:DWORD dst_unused:UNUSED_PAD src0_sel:WORD_0
	v_mul_f32_e32 v3, 0x45800000, v2
	v_cndmask_b32_e32 v2, v2, v3, vcc
	v_mov_b32_e32 v3, v2
	;;#ASMSTART
	v_pk_mul_f32 v[4:5], v[32:33], v[2:3]
	;;#ASMEND
	;;#ASMSTART
	v_pk_mul_f32 v[6:7], v[18:19], v[2:3]
	;;#ASMEND
	;; [unrolled: 3-line block ×6, first 2 shown]
	v_cvt_f32_u32_sdwa v19, v80 dst_sel:DWORD dst_unused:UNUSED_PAD src0_sel:WORD_1
	v_cvt_f32_u32_sdwa v18, v80 dst_sel:DWORD dst_unused:UNUSED_PAD src0_sel:WORD_0
	;;#ASMSTART
	v_pk_mul_f32 v[14:15], v[14:15], v[2:3]
	;;#ASMEND
	;;#ASMSTART
	v_pk_mul_f32 v[2:3], v[92:93], v[2:3]
	;;#ASMEND
	;;#ASMSTART
	v_pk_mul_f32 v[32:33], v[4:5], v[18:19]
	;;#ASMEND
	;;#ASMSTART
	v_pk_mul_f32 v[18:19], v[6:7], v[20:21]
	;;#ASMEND
	v_cvt_f32_u32_sdwa v5, v82 dst_sel:DWORD dst_unused:UNUSED_PAD src0_sel:WORD_1
	v_cvt_f32_u32_sdwa v4, v82 dst_sel:DWORD dst_unused:UNUSED_PAD src0_sel:WORD_0
	v_cvt_f32_u32_sdwa v7, v83 dst_sel:DWORD dst_unused:UNUSED_PAD src0_sel:WORD_1
	v_cvt_f32_u32_sdwa v6, v83 dst_sel:DWORD dst_unused:UNUSED_PAD src0_sel:WORD_0
	;; [unrolled: 2-line block ×3, first 2 shown]
	;;#ASMSTART
	v_pk_mul_f32 v[50:51], v[8:9], v[4:5]
	;;#ASMEND
	;;#ASMSTART
	v_pk_mul_f32 v[40:41], v[10:11], v[6:7]
	;;#ASMEND
	;; [unrolled: 3-line block ×6, first 2 shown]
	s_or_b64 exec, exec, s[28:29]
	s_mov_b64 s[2:3], -1
	s_and_b64 vcc, exec, s[22:23]
	s_cbranch_vccz .LBB872_15
.LBB872_19:
	s_and_saveexec_b64 s[2:3], s[0:1]
	s_cbranch_execz .LBB872_21
; %bb.20:
	s_mul_hi_i32 s23, s10, s6
	s_mul_i32 s22, s10, s6
	s_lshl_b64 s[22:23], s[22:23], 1
	s_add_u32 s28, s36, s22
	s_addc_u32 s7, s37, s23
	s_and_b32 s29, s7, 0xffff
	s_mov_b32 s7, 0x7060302
	s_mov_b32 s31, 0x20000
	v_perm_b32 v5, v41, v40, s7
	v_perm_b32 v4, v51, v50, s7
	;; [unrolled: 1-line block ×4, first 2 shown]
	v_lshlrev_b32_e32 v6, 5, v0
	buffer_store_dwordx4 v[2:5], v6, s[28:31], 0 offen
	;;#ASMSTART
	s_nop 0
	;;#ASMEND
	s_nop 0
	v_perm_b32 v5, v93, v92, s7
	v_perm_b32 v4, v15, v14, s7
	;; [unrolled: 1-line block ×4, first 2 shown]
	buffer_store_dwordx4 v[2:5], v6, s[28:31], 16 offen
	;;#ASMSTART
	s_nop 0
	;;#ASMEND
.LBB872_21:
	s_or_b64 exec, exec, s[2:3]
	s_cbranch_execnz .LBB872_16
.LBB872_22:
	v_mov_b32_e32 v2, 0
	s_and_saveexec_b64 s[2:3], s[0:1]
	s_cbranch_execz .LBB872_24
; %bb.23:
	v_and_b32_e32 v2, 0x7fffffff, v32
	v_and_b32_e32 v3, 0x7fffffff, v33
	v_mov_b32_e32 v10, 0x2edbe6ff
	;;#ASMSTART
	v_max3_f32 v2, v10, v2, v3

	;;#ASMEND
	v_and_b32_e32 v4, 0x7fffffff, v18
	v_and_b32_e32 v5, 0x7fffffff, v19
	;;#ASMSTART
	v_max3_f32 v2, v2, v4, v5

	;;#ASMEND
	v_and_b32_e32 v6, 0x7fffffff, v50
	v_and_b32_e32 v7, 0x7fffffff, v51
	;; [unrolled: 6-line block ×7, first 2 shown]
	;;#ASMSTART
	v_max3_f32 v2, v2, v3, v4

	;;#ASMEND
.LBB872_24:
	s_or_b64 exec, exec, s[2:3]
	;;#ASMSTART
	v_max_f32 v3, v2, v2 quad_perm:[1,0,3,2] row_mask:0xf bank_mask:0xf bound_ctrl:1
	;;#ASMEND
	v_and_b32_e32 v2, 1, v0
	v_cmp_eq_u32_e32 vcc, 0, v2
	v_cmp_gt_i32_e64 s[2:3], s15, v1
	s_and_b64 s[22:23], vcc, s[2:3]
	s_and_saveexec_b64 s[2:3], s[22:23]
	s_cbranch_execz .LBB872_26
; %bb.25:
	s_load_dwordx2 s[22:23], s[4:5], 0x8
	v_mul_f32_e32 v2, 0x3e2aaaab, v3
	v_lshrrev_b32_e32 v3, 23, v2
	v_and_b32_e32 v4, 0x7f800000, v2
	v_and_b32_e32 v2, 0x7fffff, v2
	v_cmp_ne_u32_e32 vcc, 0, v2
	s_mul_i32 s12, s25, s6
	s_mov_b32 s7, 0x7f800000
	v_addc_co_u32_e32 v2, vcc, 0, v3, vcc
	s_mul_hi_i32 s11, s25, s6
	s_waitcnt lgkmcnt(0)
	s_add_u32 s22, s22, s12
	v_cmp_ne_u32_e32 vcc, s7, v4
	s_addc_u32 s23, s23, s11
	v_lshrrev_b32_e32 v5, 1, v0
	v_cndmask_b32_e32 v4, -1, v2, vcc
	v_pk_mov_b32 v[2:3], s[22:23], s[22:23] op_sel:[0,1]
	v_mad_i64_i32 v[2:3], s[22:23], s26, v5, v[2:3]
	global_store_byte v[2:3], v4, off
.LBB872_26:
	s_or_b64 exec, exec, s[2:3]
	s_and_saveexec_b64 s[2:3], s[0:1]
	s_cbranch_execz .LBB872_28
; %bb.27:
	s_load_dwordx2 s[0:1], s[4:5], 0x0
	s_mul_i32 s11, s24, s6
	s_mul_hi_i32 s7, s24, s6
	v_mov_b32_e32 v2, 0
	v_lshlrev_b32_e32 v4, 3, v0
	s_waitcnt lgkmcnt(0)
	s_add_u32 s24, s0, s11
	s_addc_u32 s0, s1, s7
	s_lshr_b32 s1, s15, 31
	s_add_i32 s1, s15, s1
	s_ashr_i32 s1, s1, 1
	s_add_i32 s1, s1, 3
	s_ashr_i32 s7, s1, 31
	s_lshr_b32 s7, s7, 30
	s_add_i32 s1, s1, s7
	s_and_b32 s26, s1, -4
	s_and_b32 s25, s0, 0xffff
	s_mov_b32 s27, 0x20000
	v_mov_b32_e32 v3, v2
	buffer_store_dwordx2 v[2:3], v4, s[24:27], 0 offen
	;;#ASMSTART
	s_nop 0
	;;#ASMEND
.LBB872_28:
	s_or_b64 exec, exec, s[2:3]
	s_cmp_lt_i32 s16, 1
	s_cbranch_scc1 .LBB872_17
.LBB872_29:
	s_load_dword s0, s[4:5], 0x94
	s_waitcnt lgkmcnt(0)
	s_cmp_lg_u32 s0, 1
	s_cbranch_scc1 .LBB872_17
; %bb.30:
	s_lshl_b32 s0, s16, 1
	s_add_i32 s0, s0, 2
	v_cmp_gt_u32_e32 vcc, s16, v1
	s_and_b32 s22, s0, -4
	v_mov_b32_e32 v18, 0
	v_lshlrev_b32_e32 v1, 5, v0
	v_mov_b32_e32 v14, 0
	v_mov_b32_e32 v15, 0
	;; [unrolled: 1-line block ×16, first 2 shown]
	s_barrier
	s_and_saveexec_b64 s[0:1], vcc
	s_cbranch_execz .LBB872_32
; %bb.31:
	s_mul_hi_i32 s3, s18, s6
	s_mul_i32 s2, s18, s6
	s_and_b32 s21, s21, 0xffff
	s_lshl_b64 s[2:3], s[2:3], 1
	s_add_u32 s24, s34, s2
	s_mov_b32 s23, 0x20000
	s_addc_u32 s2, s35, s3
	s_and_b32 s25, s2, 0xffff
	s_mov_b32 s26, s22
	s_mov_b32 s27, s23
	buffer_load_dwordx4 v[14:17], v1, s[24:27], 0 offen
	buffer_load_dwordx4 v[10:13], v1, s[24:27], 16 offen
	;; [unrolled: 1-line block ×4, first 2 shown]
.LBB872_32:
	s_or_b64 exec, exec, s[0:1]
	v_mov_b32_e32 v19, 0
	v_mov_b32_e32 v32, 0
	;; [unrolled: 1-line block ×15, first 2 shown]
	s_and_saveexec_b64 s[0:1], vcc
	s_cbranch_execz .LBB872_34
; %bb.33:
	s_waitcnt vmcnt(3)
	v_cvt_f32_u32_sdwa v18, v14 dst_sel:DWORD dst_unused:UNUSED_PAD src0_sel:WORD_0
	v_cvt_f32_u32_sdwa v19, v14 dst_sel:DWORD dst_unused:UNUSED_PAD src0_sel:WORD_1
	v_cvt_f32_u32_sdwa v32, v15 dst_sel:DWORD dst_unused:UNUSED_PAD src0_sel:WORD_0
	v_cvt_f32_u32_sdwa v33, v15 dst_sel:DWORD dst_unused:UNUSED_PAD src0_sel:WORD_1
	;; [unrolled: 2-line block ×4, first 2 shown]
	s_waitcnt vmcnt(2)
	v_cvt_f32_u32_sdwa v26, v10 dst_sel:DWORD dst_unused:UNUSED_PAD src0_sel:WORD_0
	v_cvt_f32_u32_sdwa v27, v10 dst_sel:DWORD dst_unused:UNUSED_PAD src0_sel:WORD_1
	v_cvt_f32_u32_sdwa v24, v11 dst_sel:DWORD dst_unused:UNUSED_PAD src0_sel:WORD_0
	v_cvt_f32_u32_sdwa v25, v11 dst_sel:DWORD dst_unused:UNUSED_PAD src0_sel:WORD_1
	v_cvt_f32_u32_sdwa v22, v12 dst_sel:DWORD dst_unused:UNUSED_PAD src0_sel:WORD_0
	v_cvt_f32_u32_sdwa v23, v12 dst_sel:DWORD dst_unused:UNUSED_PAD src0_sel:WORD_1
	v_cvt_f32_u32_sdwa v20, v13 dst_sel:DWORD dst_unused:UNUSED_PAD src0_sel:WORD_0
	v_cvt_f32_u32_sdwa v21, v13 dst_sel:DWORD dst_unused:UNUSED_PAD src0_sel:WORD_1
.LBB872_34:
	s_or_b64 exec, exec, s[0:1]
	s_waitcnt vmcnt(2)
	v_mul_f32_e32 v10, v19, v19
	v_fmac_f32_e32 v10, v18, v18
	v_fmac_f32_e32 v10, v32, v32
	;; [unrolled: 1-line block ×15, first 2 shown]
	s_nop 1
	v_mov_b32_dpp v11, v10 quad_perm:[1,0,3,2] row_mask:0xf bank_mask:0xf
	v_add_f32_e32 v10, v10, v11
	s_nop 1
	v_mov_b32_dpp v11, v10 quad_perm:[2,3,0,1] row_mask:0xf bank_mask:0xf
	v_add_f32_e32 v10, v10, v11
	s_nop 1
	v_mov_b32_dpp v11, v10 row_half_mirror row_mask:0xf bank_mask:0xf
	v_add_f32_e32 v10, v10, v11
	s_nop 1
	v_mov_b32_dpp v11, v10 row_mirror row_mask:0xf bank_mask:0xf
	v_add_f32_e32 v10, v10, v11
	s_nop 1
	v_mov_b32_dpp v11, v10 row_bcast:15 row_mask:0xf bank_mask:0xf
	v_add_f32_e32 v10, v10, v11
	s_nop 1
	v_mov_b32_dpp v11, v10 row_bcast:31 row_mask:0xf bank_mask:0xf
	s_and_saveexec_b64 s[0:1], s[8:9]
	s_cbranch_execz .LBB872_36
; %bb.35:
	v_lshrrev_b32_e32 v0, 4, v0
	v_add_f32_e32 v10, v10, v11
	v_and_b32_e32 v0, 60, v0
	ds_write_b32 v0, v10
.LBB872_36:
	s_or_b64 exec, exec, s[0:1]
	s_waitcnt lgkmcnt(0)
	s_barrier
	ds_read_b32 v0, v34
	s_waitcnt lgkmcnt(0)
	s_nop 0
	v_mov_b32_dpp v10, v0 quad_perm:[1,0,3,2] row_mask:0xf bank_mask:0xf
	v_add_f32_e32 v0, v0, v10
	s_nop 1
	v_mov_b32_dpp v10, v0 quad_perm:[2,3,0,1] row_mask:0xf bank_mask:0xf
	s_and_saveexec_b64 s[0:1], vcc
	s_cbranch_execz .LBB872_17
; %bb.37:
	v_cvt_f32_u32_e32 v11, s16
	v_add_f32_e32 v0, v0, v10
	s_mov_b32 s23, 0x20000
	v_div_scale_f32 v10, s[0:1], v11, v11, v0
	v_rcp_f32_e32 v12, v10
	v_div_scale_f32 v13, vcc, v0, v11, v0
	s_mov_b32 s0, 0x800000
	v_fma_f32 v14, -v10, v12, 1.0
	v_fmac_f32_e32 v12, v14, v12
	v_mul_f32_e32 v14, v13, v12
	v_fma_f32 v15, -v10, v14, v13
	v_fmac_f32_e32 v14, v15, v12
	v_fma_f32 v10, -v10, v14, v13
	v_div_fmas_f32 v10, v10, v12, v14
	v_div_fixup_f32 v0, v10, v11, v0
	v_add_f32_e32 v0, s13, v0
	v_mul_f32_e32 v10, 0x4b800000, v0
	v_cmp_gt_f32_e32 vcc, s0, v0
	v_cndmask_b32_e32 v0, v0, v10, vcc
	v_rsq_f32_e32 v0, v0
	s_mul_hi_i32 s1, s10, s6
	s_mul_i32 s0, s10, s6
	s_lshl_b64 s[0:1], s[0:1], 1
	v_mul_f32_e32 v10, 0x45800000, v0
	v_cndmask_b32_e32 v10, v0, v10, vcc
	v_mov_b32_e32 v11, v10
	s_add_u32 s20, s36, s0
	;;#ASMSTART
	v_pk_mul_f32 v[12:13], v[18:19], v[10:11]
	;;#ASMEND
	;;#ASMSTART
	v_pk_mul_f32 v[14:15], v[32:33], v[10:11]
	;;#ASMEND
	;; [unrolled: 3-line block ×8, first 2 shown]
	s_waitcnt vmcnt(1)
	v_cvt_f32_u32_sdwa v21, v6 dst_sel:DWORD dst_unused:UNUSED_PAD src0_sel:WORD_1
	v_cvt_f32_u32_sdwa v20, v6 dst_sel:DWORD dst_unused:UNUSED_PAD src0_sel:WORD_0
	v_cvt_f32_u32_sdwa v29, v7 dst_sel:DWORD dst_unused:UNUSED_PAD src0_sel:WORD_1
	v_cvt_f32_u32_sdwa v28, v7 dst_sel:DWORD dst_unused:UNUSED_PAD src0_sel:WORD_0
	;; [unrolled: 2-line block ×3, first 2 shown]
	s_addc_u32 s0, s37, s1
	v_cvt_f32_u32_sdwa v31, v9 dst_sel:DWORD dst_unused:UNUSED_PAD src0_sel:WORD_1
	v_cvt_f32_u32_sdwa v30, v9 dst_sel:DWORD dst_unused:UNUSED_PAD src0_sel:WORD_0
	;;#ASMSTART
	v_pk_mul_f32 v[8:9], v[12:13], v[20:21]
	;;#ASMEND
	;;#ASMSTART
	v_pk_mul_f32 v[12:13], v[14:15], v[28:29]
	;;#ASMEND
	;; [unrolled: 3-line block ×4, first 2 shown]
	s_waitcnt vmcnt(0)
	v_cvt_f32_u32_sdwa v17, v2 dst_sel:DWORD dst_unused:UNUSED_PAD src0_sel:WORD_1
	v_cvt_f32_u32_sdwa v16, v2 dst_sel:DWORD dst_unused:UNUSED_PAD src0_sel:WORD_0
	v_cvt_f32_u32_sdwa v19, v3 dst_sel:DWORD dst_unused:UNUSED_PAD src0_sel:WORD_1
	v_cvt_f32_u32_sdwa v18, v3 dst_sel:DWORD dst_unused:UNUSED_PAD src0_sel:WORD_0
	;; [unrolled: 2-line block ×3, first 2 shown]
	s_and_b32 s21, s0, 0xffff
	s_mov_b32 s0, 0x7060302
	v_cvt_f32_u32_sdwa v21, v5 dst_sel:DWORD dst_unused:UNUSED_PAD src0_sel:WORD_1
	v_cvt_f32_u32_sdwa v20, v5 dst_sel:DWORD dst_unused:UNUSED_PAD src0_sel:WORD_0
	;;#ASMSTART
	v_pk_mul_f32 v[16:17], v[26:27], v[16:17]
	;;#ASMEND
	;;#ASMSTART
	v_pk_mul_f32 v[18:19], v[24:25], v[18:19]
	;;#ASMEND
	;; [unrolled: 3-line block ×3, first 2 shown]
	v_perm_b32 v2, v9, v8, s0
	v_perm_b32 v3, v13, v12, s0
	;; [unrolled: 1-line block ×4, first 2 shown]
	;;#ASMSTART
	v_pk_mul_f32 v[10:11], v[10:11], v[20:21]
	;;#ASMEND
	buffer_store_dwordx4 v[2:5], v1, s[20:23], 0 offen
	;;#ASMSTART
	s_nop 0
	;;#ASMEND
	s_nop 0
	v_perm_b32 v2, v17, v16, s0
	v_perm_b32 v3, v19, v18, s0
	;; [unrolled: 1-line block ×4, first 2 shown]
	buffer_store_dwordx4 v[2:5], v1, s[20:23], 16 offen
	;;#ASMSTART
	s_nop 0
	;;#ASMEND
	s_endpgm
	.section	.rodata,"a",@progbits
	.p2align	6, 0x0
	.amdhsa_kernel _ZN5aiter35fused_qk_rmsnorm_group_quant_kernelItN4opus5fp4_tELi256ELi16ELi2ELb1ELb0ELb0ELb0ELb0ELb0EEEvPT0_PvPT_S7_S7_PKS6_S9_S9_S9_S9_ffiiiiiiiiiiiii
		.amdhsa_group_segment_fixed_size 32
		.amdhsa_private_segment_fixed_size 0
		.amdhsa_kernarg_size 400
		.amdhsa_user_sgpr_count 6
		.amdhsa_user_sgpr_private_segment_buffer 1
		.amdhsa_user_sgpr_dispatch_ptr 0
		.amdhsa_user_sgpr_queue_ptr 0
		.amdhsa_user_sgpr_kernarg_segment_ptr 1
		.amdhsa_user_sgpr_dispatch_id 0
		.amdhsa_user_sgpr_flat_scratch_init 0
		.amdhsa_user_sgpr_kernarg_preload_length 0
		.amdhsa_user_sgpr_kernarg_preload_offset 0
		.amdhsa_user_sgpr_private_segment_size 0
		.amdhsa_uses_dynamic_stack 0
		.amdhsa_system_sgpr_private_segment_wavefront_offset 0
		.amdhsa_system_sgpr_workgroup_id_x 1
		.amdhsa_system_sgpr_workgroup_id_y 1
		.amdhsa_system_sgpr_workgroup_id_z 0
		.amdhsa_system_sgpr_workgroup_info 0
		.amdhsa_system_vgpr_workitem_id 0
		.amdhsa_next_free_vgpr 94
		.amdhsa_next_free_sgpr 40
		.amdhsa_accum_offset 96
		.amdhsa_reserve_vcc 1
		.amdhsa_reserve_flat_scratch 0
		.amdhsa_float_round_mode_32 0
		.amdhsa_float_round_mode_16_64 0
		.amdhsa_float_denorm_mode_32 3
		.amdhsa_float_denorm_mode_16_64 3
		.amdhsa_dx10_clamp 1
		.amdhsa_ieee_mode 1
		.amdhsa_fp16_overflow 0
		.amdhsa_tg_split 0
		.amdhsa_exception_fp_ieee_invalid_op 0
		.amdhsa_exception_fp_denorm_src 0
		.amdhsa_exception_fp_ieee_div_zero 0
		.amdhsa_exception_fp_ieee_overflow 0
		.amdhsa_exception_fp_ieee_underflow 0
		.amdhsa_exception_fp_ieee_inexact 0
		.amdhsa_exception_int_div_zero 0
	.end_amdhsa_kernel
	.section	.text._ZN5aiter35fused_qk_rmsnorm_group_quant_kernelItN4opus5fp4_tELi256ELi16ELi2ELb1ELb0ELb0ELb0ELb0ELb0EEEvPT0_PvPT_S7_S7_PKS6_S9_S9_S9_S9_ffiiiiiiiiiiiii,"axG",@progbits,_ZN5aiter35fused_qk_rmsnorm_group_quant_kernelItN4opus5fp4_tELi256ELi16ELi2ELb1ELb0ELb0ELb0ELb0ELb0EEEvPT0_PvPT_S7_S7_PKS6_S9_S9_S9_S9_ffiiiiiiiiiiiii,comdat
.Lfunc_end872:
	.size	_ZN5aiter35fused_qk_rmsnorm_group_quant_kernelItN4opus5fp4_tELi256ELi16ELi2ELb1ELb0ELb0ELb0ELb0ELb0EEEvPT0_PvPT_S7_S7_PKS6_S9_S9_S9_S9_ffiiiiiiiiiiiii, .Lfunc_end872-_ZN5aiter35fused_qk_rmsnorm_group_quant_kernelItN4opus5fp4_tELi256ELi16ELi2ELb1ELb0ELb0ELb0ELb0ELb0EEEvPT0_PvPT_S7_S7_PKS6_S9_S9_S9_S9_ffiiiiiiiiiiiii
                                        ; -- End function
	.section	.AMDGPU.csdata,"",@progbits
; Kernel info:
; codeLenInByte = 3760
; NumSgprs: 44
; NumVgprs: 94
; NumAgprs: 0
; TotalNumVgprs: 94
; ScratchSize: 0
; MemoryBound: 0
; FloatMode: 240
; IeeeMode: 1
; LDSByteSize: 32 bytes/workgroup (compile time only)
; SGPRBlocks: 5
; VGPRBlocks: 11
; NumSGPRsForWavesPerEU: 44
; NumVGPRsForWavesPerEU: 94
; AccumOffset: 96
; Occupancy: 5
; WaveLimiterHint : 0
; COMPUTE_PGM_RSRC2:SCRATCH_EN: 0
; COMPUTE_PGM_RSRC2:USER_SGPR: 6
; COMPUTE_PGM_RSRC2:TRAP_HANDLER: 0
; COMPUTE_PGM_RSRC2:TGID_X_EN: 1
; COMPUTE_PGM_RSRC2:TGID_Y_EN: 1
; COMPUTE_PGM_RSRC2:TGID_Z_EN: 0
; COMPUTE_PGM_RSRC2:TIDIG_COMP_CNT: 0
; COMPUTE_PGM_RSRC3_GFX90A:ACCUM_OFFSET: 23
; COMPUTE_PGM_RSRC3_GFX90A:TG_SPLIT: 0
	.section	.text._ZN5aiter35fused_qk_rmsnorm_group_quant_kernelIDF16_DB8_Li256ELi16ELi2ELb0ELb1ELb1ELb0ELb0ELb0EEEvPT0_PvPT_S6_S6_PKS5_S8_S8_S8_S8_ffiiiiiiiiiiiii,"axG",@progbits,_ZN5aiter35fused_qk_rmsnorm_group_quant_kernelIDF16_DB8_Li256ELi16ELi2ELb0ELb1ELb1ELb0ELb0ELb0EEEvPT0_PvPT_S6_S6_PKS5_S8_S8_S8_S8_ffiiiiiiiiiiiii,comdat
	.protected	_ZN5aiter35fused_qk_rmsnorm_group_quant_kernelIDF16_DB8_Li256ELi16ELi2ELb0ELb1ELb1ELb0ELb0ELb0EEEvPT0_PvPT_S6_S6_PKS5_S8_S8_S8_S8_ffiiiiiiiiiiiii ; -- Begin function _ZN5aiter35fused_qk_rmsnorm_group_quant_kernelIDF16_DB8_Li256ELi16ELi2ELb0ELb1ELb1ELb0ELb0ELb0EEEvPT0_PvPT_S6_S6_PKS5_S8_S8_S8_S8_ffiiiiiiiiiiiii
	.globl	_ZN5aiter35fused_qk_rmsnorm_group_quant_kernelIDF16_DB8_Li256ELi16ELi2ELb0ELb1ELb1ELb0ELb0ELb0EEEvPT0_PvPT_S6_S6_PKS5_S8_S8_S8_S8_ffiiiiiiiiiiiii
	.p2align	8
	.type	_ZN5aiter35fused_qk_rmsnorm_group_quant_kernelIDF16_DB8_Li256ELi16ELi2ELb0ELb1ELb1ELb0ELb0ELb0EEEvPT0_PvPT_S6_S6_PKS5_S8_S8_S8_S8_ffiiiiiiiiiiiii,@function
_ZN5aiter35fused_qk_rmsnorm_group_quant_kernelIDF16_DB8_Li256ELi16ELi2ELb0ELb1ELb1ELb0ELb0ELb0EEEvPT0_PvPT_S6_S6_PKS5_S8_S8_S8_S8_ffiiiiiiiiiiiii: ; @_ZN5aiter35fused_qk_rmsnorm_group_quant_kernelIDF16_DB8_Li256ELi16ELi2ELb0ELb1ELb1ELb0ELb0ELb0EEEvPT0_PvPT_S6_S6_PKS5_S8_S8_S8_S8_ffiiiiiiiiiiiii
; %bb.0:
	s_load_dwordx4 s[16:19], s[4:5], 0x50
	s_waitcnt lgkmcnt(0)
	s_cmp_ge_i32 s6, s18
	s_cbranch_scc1 .LBB873_12
; %bb.1:
	s_load_dwordx2 s[12:13], s[4:5], 0x48
	s_load_dwordx2 s[30:31], s[4:5], 0x30
	s_load_dwordx4 s[20:23], s[4:5], 0x60
	s_cmp_lg_u32 s7, 0
	s_cselect_b64 s[14:15], -1, 0
	s_cmp_eq_u32 s7, 0
	s_cselect_b64 vcc, -1, 0
	s_and_b64 s[0:1], vcc, exec
	s_waitcnt lgkmcnt(0)
	s_cselect_b32 s7, s19, s20
	s_add_i32 s0, s7, 1
	s_lshr_b32 s1, s0, 31
	s_add_i32 s0, s0, s1
	s_lshl_b32 s0, s0, 1
	v_lshlrev_b32_e32 v1, 4, v0
	s_and_b32 s10, s0, -4
	v_cmp_gt_i32_e64 s[2:3], s7, v1
	v_mov_b32_e32 v18, 0
	v_mov_b32_e32 v6, 0
	;; [unrolled: 1-line block ×17, first 2 shown]
	s_and_saveexec_b64 s[0:1], s[2:3]
	s_cbranch_execz .LBB873_3
; %bb.2:
	s_load_dwordx2 s[8:9], s[4:5], 0x28
	s_load_dwordx2 s[26:27], s[4:5], 0x40
	s_and_b64 s[24:25], vcc, exec
	s_cselect_b32 s11, s21, s22
	v_lshlrev_b32_e32 v19, 5, v0
	s_waitcnt lgkmcnt(0)
	s_cselect_b32 s18, s9, s31
	s_cselect_b32 s21, s8, s30
	s_mul_hi_i32 s9, s11, s6
	s_mul_i32 s8, s11, s6
	s_lshl_b64 s[8:9], s[8:9], 1
	s_add_u32 s24, s21, s8
	s_addc_u32 s18, s18, s9
	s_and_b64 s[8:9], vcc, exec
	s_mov_b32 s11, 0x20000
	s_cselect_b32 s8, s26, s12
	s_cselect_b32 s9, s27, s13
	s_and_b32 s25, s18, 0xffff
	s_mov_b32 s26, s10
	s_mov_b32 s27, s11
	s_and_b32 s9, s9, 0xffff
	buffer_load_dwordx4 v[14:17], v19, s[24:27], 0 offen
	buffer_load_dwordx4 v[10:13], v19, s[24:27], 16 offen
	;; [unrolled: 1-line block ×4, first 2 shown]
.LBB873_3:
	s_or_b64 exec, exec, s[0:1]
	v_mov_b32_e32 v19, 0
	v_mov_b32_e32 v32, 0
	;; [unrolled: 1-line block ×15, first 2 shown]
	s_and_saveexec_b64 s[0:1], s[2:3]
	s_cbranch_execz .LBB873_5
; %bb.4:
	s_waitcnt vmcnt(3)
	v_cvt_f32_f16_sdwa v19, v14 dst_sel:DWORD dst_unused:UNUSED_PAD src0_sel:WORD_1
	v_cvt_f32_f16_e32 v18, v14
	v_cvt_f32_f16_sdwa v33, v15 dst_sel:DWORD dst_unused:UNUSED_PAD src0_sel:WORD_1
	v_cvt_f32_f16_e32 v32, v15
	;; [unrolled: 2-line block ×4, first 2 shown]
	s_waitcnt vmcnt(2)
	v_cvt_f32_f16_sdwa v25, v10 dst_sel:DWORD dst_unused:UNUSED_PAD src0_sel:WORD_1
	v_cvt_f32_f16_e32 v24, v10
	v_cvt_f32_f16_sdwa v29, v11 dst_sel:DWORD dst_unused:UNUSED_PAD src0_sel:WORD_1
	v_cvt_f32_f16_e32 v28, v11
	;; [unrolled: 2-line block ×4, first 2 shown]
.LBB873_5:
	s_or_b64 exec, exec, s[0:1]
	s_waitcnt vmcnt(2)
	v_mul_f32_e32 v10, v19, v19
	v_fmac_f32_e32 v10, v18, v18
	v_fmac_f32_e32 v10, v32, v32
	;; [unrolled: 1-line block ×15, first 2 shown]
	v_and_b32_e32 v12, 63, v0
	v_cmp_eq_u32_e64 s[0:1], 63, v12
	v_mov_b32_dpp v11, v10 quad_perm:[1,0,3,2] row_mask:0xf bank_mask:0xf
	v_add_f32_e32 v10, v10, v11
	s_nop 1
	v_mov_b32_dpp v11, v10 quad_perm:[2,3,0,1] row_mask:0xf bank_mask:0xf
	v_add_f32_e32 v10, v10, v11
	s_nop 1
	v_mov_b32_dpp v11, v10 row_half_mirror row_mask:0xf bank_mask:0xf
	v_add_f32_e32 v10, v10, v11
	s_nop 1
	v_mov_b32_dpp v11, v10 row_mirror row_mask:0xf bank_mask:0xf
	v_add_f32_e32 v10, v10, v11
	s_nop 1
	v_mov_b32_dpp v11, v10 row_bcast:15 row_mask:0xf bank_mask:0xf
	v_add_f32_e32 v10, v10, v11
	s_nop 1
	v_mov_b32_dpp v11, v10 row_bcast:31 row_mask:0xf bank_mask:0xf
	s_and_saveexec_b64 s[8:9], s[0:1]
	s_cbranch_execz .LBB873_7
; %bb.6:
	v_add_f32_e32 v10, v10, v11
	v_lshrrev_b32_e32 v11, 4, v0
	v_and_b32_e32 v11, 60, v11
	ds_write_b32 v11, v10 offset:16
.LBB873_7:
	s_or_b64 exec, exec, s[8:9]
	v_and_b32_e32 v10, 3, v0
	v_lshlrev_b32_e32 v34, 2, v10
	s_waitcnt lgkmcnt(0)
	s_barrier
	ds_read_b32 v10, v34 offset:16
	s_load_dwordx2 s[28:29], s[4:5], 0x18
	s_waitcnt lgkmcnt(0)
	v_mov_b32_dpp v11, v10 quad_perm:[1,0,3,2] row_mask:0xf bank_mask:0xf
	v_add_f32_e32 v10, v10, v11
	s_nop 1
	v_mov_b32_dpp v11, v10 quad_perm:[2,3,0,1] row_mask:0xf bank_mask:0xf
	s_and_saveexec_b64 s[8:9], s[2:3]
	s_cbranch_execz .LBB873_9
; %bb.8:
	v_cvt_f32_u32_e32 v12, s7
	v_add_f32_e32 v10, v10, v11
	v_mov_b32_e32 v14, s17
	v_mov_b32_e32 v15, s16
	v_div_scale_f32 v11, s[24:25], v12, v12, v10
	v_rcp_f32_e32 v13, v11
	v_cndmask_b32_e32 v14, v14, v15, vcc
	s_mov_b32 s7, 0x800000
	v_fma_f32 v15, -v11, v13, 1.0
	v_fmac_f32_e32 v13, v15, v13
	v_div_scale_f32 v15, vcc, v10, v12, v10
	v_mul_f32_e32 v16, v15, v13
	v_fma_f32 v17, -v11, v16, v15
	v_fmac_f32_e32 v16, v17, v13
	v_fma_f32 v11, -v11, v16, v15
	v_div_fmas_f32 v11, v11, v13, v16
	v_div_fixup_f32 v10, v11, v12, v10
	v_add_f32_e32 v10, v14, v10
	v_mul_f32_e32 v11, 0x4b800000, v10
	v_cmp_gt_f32_e32 vcc, s7, v10
	v_cndmask_b32_e32 v10, v10, v11, vcc
	v_rsq_f32_e32 v10, v10
	v_mul_f32_e32 v11, 0x45800000, v10
	v_cndmask_b32_e32 v10, v10, v11, vcc
	v_mov_b32_e32 v11, v10
	;;#ASMSTART
	v_pk_mul_f32 v[12:13], v[18:19], v[10:11]
	;;#ASMEND
	s_waitcnt vmcnt(1)
	v_cvt_f32_f16_sdwa v19, v6 dst_sel:DWORD dst_unused:UNUSED_PAD src0_sel:WORD_1
	v_cvt_f32_f16_e32 v18, v6
	;;#ASMSTART
	v_pk_mul_f32 v[14:15], v[32:33], v[10:11]
	;;#ASMEND
	;;#ASMSTART
	v_pk_mul_f32 v[16:17], v[26:27], v[10:11]
	;;#ASMEND
	v_cvt_f32_f16_sdwa v27, v7 dst_sel:DWORD dst_unused:UNUSED_PAD src0_sel:WORD_1
	v_cvt_f32_f16_e32 v26, v7
	;;#ASMSTART
	v_pk_mul_f32 v[30:31], v[30:31], v[10:11]
	;;#ASMEND
	;;#ASMSTART
	v_pk_mul_f32 v[24:25], v[24:25], v[10:11]
	;;#ASMEND
	;; [unrolled: 3-line block ×5, first 2 shown]
	v_pk_add_f32 v[10:11], v[18:19], 1.0 op_sel_hi:[1,0]
	;;#ASMSTART
	v_pk_mul_f32 v[18:19], v[12:13], v[10:11]
	;;#ASMEND
	v_cvt_f32_f16_sdwa v13, v8 dst_sel:DWORD dst_unused:UNUSED_PAD src0_sel:WORD_1
	v_cvt_f32_f16_e32 v12, v8
	v_cvt_f32_f16_sdwa v21, v9 dst_sel:DWORD dst_unused:UNUSED_PAD src0_sel:WORD_1
	v_cvt_f32_f16_e32 v20, v9
	v_pk_add_f32 v[10:11], v[26:27], 1.0 op_sel_hi:[1,0]
	;;#ASMSTART
	v_pk_mul_f32 v[32:33], v[14:15], v[10:11]
	;;#ASMEND
	s_waitcnt vmcnt(0)
	v_cvt_f32_f16_sdwa v11, v2 dst_sel:DWORD dst_unused:UNUSED_PAD src0_sel:WORD_1
	v_cvt_f32_f16_e32 v10, v2
	v_pk_add_f32 v[8:9], v[12:13], 1.0 op_sel_hi:[1,0]
	;;#ASMSTART
	v_pk_mul_f32 v[26:27], v[16:17], v[8:9]
	;;#ASMEND
	v_pk_add_f32 v[8:9], v[20:21], 1.0 op_sel_hi:[1,0]
	v_cvt_f32_f16_sdwa v13, v3 dst_sel:DWORD dst_unused:UNUSED_PAD src0_sel:WORD_1
	v_cvt_f32_f16_e32 v12, v3
	;;#ASMSTART
	v_pk_mul_f32 v[30:31], v[30:31], v[8:9]
	;;#ASMEND
	v_cvt_f32_f16_sdwa v9, v4 dst_sel:DWORD dst_unused:UNUSED_PAD src0_sel:WORD_1
	v_cvt_f32_f16_e32 v8, v4
	v_pk_add_f32 v[2:3], v[10:11], 1.0 op_sel_hi:[1,0]
	v_cvt_f32_f16_sdwa v11, v5 dst_sel:DWORD dst_unused:UNUSED_PAD src0_sel:WORD_1
	v_cvt_f32_f16_e32 v10, v5
	;;#ASMSTART
	v_pk_mul_f32 v[24:25], v[24:25], v[2:3]
	;;#ASMEND
	v_pk_add_f32 v[2:3], v[12:13], 1.0 op_sel_hi:[1,0]
	;;#ASMSTART
	v_pk_mul_f32 v[28:29], v[28:29], v[2:3]
	;;#ASMEND
	v_pk_add_f32 v[2:3], v[8:9], 1.0 op_sel_hi:[1,0]
	;; [unrolled: 4-line block ×3, first 2 shown]
	;;#ASMSTART
	v_pk_mul_f32 v[20:21], v[6:7], v[2:3]
	;;#ASMEND
.LBB873_9:
	s_or_b64 exec, exec, s[8:9]
	s_load_dword s7, s[4:5], 0x80
	s_mov_b64 s[8:9], -1
	s_and_b64 vcc, exec, s[14:15]
	s_cbranch_vccnz .LBB873_13
; %bb.10:
	s_andn2_b64 vcc, exec, s[8:9]
	s_cbranch_vccz .LBB873_16
.LBB873_11:
	s_cmp_lt_i32 s20, 1
	s_cbranch_scc0 .LBB873_25
.LBB873_12:
	s_endpgm
.LBB873_13:
	s_and_saveexec_b64 s[14:15], s[2:3]
	s_cbranch_execz .LBB873_15
; %bb.14:
	s_waitcnt lgkmcnt(0)
	s_mul_hi_i32 s9, s7, s6
	s_mul_i32 s8, s7, s6
	s_waitcnt vmcnt(0)
	v_cvt_f16_f32_e32 v2, v18
	v_cvt_f16_f32_e32 v3, v32
	;; [unrolled: 1-line block ×8, first 2 shown]
	s_lshl_b64 s[8:9], s[8:9], 1
	s_add_u32 s8, s28, s8
	s_addc_u32 s9, s29, s9
	s_and_b32 s9, s9, 0xffff
	s_mov_b32 s11, 0x20000
	v_pack_b32_f16 v5, v5, v6
	v_pack_b32_f16 v4, v4, v7
	;; [unrolled: 1-line block ×4, first 2 shown]
	v_lshlrev_b32_e32 v6, 5, v0
	buffer_store_dwordx4 v[2:5], v6, s[8:11], 0 offen
	v_cvt_f16_f32_e32 v7, v21
	v_cvt_f16_f32_e32 v2, v24
	v_cvt_f16_f32_e32 v3, v28
	v_cvt_f16_f32_e32 v4, v22
	v_cvt_f16_f32_e32 v5, v20
	v_cvt_f16_f32_e32 v8, v23
	v_cvt_f16_f32_e32 v9, v29
	v_cvt_f16_f32_e32 v10, v25
	v_pack_b32_f16 v5, v5, v7
	v_pack_b32_f16 v4, v4, v8
	;; [unrolled: 1-line block ×4, first 2 shown]
	;;#ASMSTART
	s_nop 0
	;;#ASMEND
	buffer_store_dwordx4 v[2:5], v6, s[8:11], 16 offen
	;;#ASMSTART
	s_nop 0
	;;#ASMEND
.LBB873_15:
	s_or_b64 exec, exec, s[14:15]
	s_cbranch_execnz .LBB873_11
.LBB873_16:
	s_load_dwordx4 s[24:27], s[4:5], 0x70
	s_waitcnt vmcnt(0)
	v_mov_b32_e32 v2, 0
	s_and_saveexec_b64 s[14:15], s[2:3]
	s_cbranch_execz .LBB873_18
; %bb.17:
	s_load_dwordx2 s[8:9], s[4:5], 0x10
	s_waitcnt lgkmcnt(0)
	s_mul_hi_i32 s35, s27, s6
	s_mul_i32 s34, s27, s6
	v_cvt_f16_f32_e32 v2, v18
	v_cvt_f16_f32_e32 v3, v32
	v_cvt_f16_f32_e32 v4, v26
	v_cvt_f16_f32_e32 v5, v30
	v_cvt_f16_f32_e32 v6, v31
	v_cvt_f16_f32_e32 v7, v27
	v_cvt_f16_f32_e32 v8, v33
	v_cvt_f16_f32_e32 v9, v19
	s_lshl_b64 s[34:35], s[34:35], 1
	s_add_u32 s8, s8, s34
	s_addc_u32 s9, s9, s35
	s_mov_b32 s11, 0x20000
	s_and_b32 s9, s9, 0xffff
	v_pack_b32_f16 v5, v5, v6
	v_pack_b32_f16 v4, v4, v7
	;; [unrolled: 1-line block ×4, first 2 shown]
	v_lshlrev_b32_e32 v6, 5, v0
	buffer_store_dwordx4 v[2:5], v6, s[8:11], 0 offen
	v_cvt_f16_f32_e32 v7, v21
	v_cvt_f16_f32_e32 v2, v24
	;; [unrolled: 1-line block ×8, first 2 shown]
	v_pack_b32_f16 v5, v5, v7
	v_pack_b32_f16 v4, v4, v8
	;; [unrolled: 1-line block ×4, first 2 shown]
	;;#ASMSTART
	s_nop 0
	;;#ASMEND
	buffer_store_dwordx4 v[2:5], v6, s[8:11], 16 offen
	;;#ASMSTART
	s_nop 0
	;;#ASMEND
	s_nop 0
	v_mov_b32_e32 v2, 0x2edbe6ff
.LBB873_18:
	s_or_b64 exec, exec, s[14:15]
	s_and_saveexec_b64 s[8:9], s[2:3]
	s_cbranch_execz .LBB873_20
; %bb.19:
	v_and_b32_e32 v3, 0x7fffffff, v18
	v_and_b32_e32 v4, 0x7fffffff, v19
	;;#ASMSTART
	v_max3_f32 v2, v2, v3, v4

	;;#ASMEND
	v_and_b32_e32 v3, 0x7fffffff, v32
	v_and_b32_e32 v4, 0x7fffffff, v33
	;;#ASMSTART
	v_max3_f32 v2, v2, v3, v4

	;;#ASMEND
	;; [unrolled: 6-line block ×8, first 2 shown]
.LBB873_20:
	s_or_b64 exec, exec, s[8:9]
	;;#ASMSTART
	v_max_f32 v3, v2, v2 quad_perm:[1,0,3,2] row_mask:0xf bank_mask:0xf bound_ctrl:1
	;;#ASMEND
	v_mul_f32_e32 v2, 0x3b124925, v3
	v_and_b32_e32 v3, 1, v0
	v_cmp_eq_u32_e32 vcc, 0, v3
	v_cmp_gt_i32_e64 s[8:9], s19, v1
	s_and_b64 s[10:11], vcc, s[8:9]
	s_and_saveexec_b64 s[8:9], s[10:11]
	s_cbranch_execz .LBB873_22
; %bb.21:
	s_load_dwordx2 s[10:11], s[4:5], 0x8
	s_waitcnt lgkmcnt(0)
	s_mul_hi_i32 s15, s25, s6
	s_mul_i32 s14, s25, s6
	v_lshrrev_b32_e32 v3, 1, v0
	s_lshl_b64 s[14:15], s[14:15], 2
	v_mad_i64_i32 v[4:5], s[26:27], s26, v3, 0
	s_add_u32 s10, s10, s14
	s_addc_u32 s11, s11, s15
	v_lshlrev_b64 v[4:5], 2, v[4:5]
	v_mov_b32_e32 v3, s11
	v_add_co_u32_e32 v4, vcc, s10, v4
	v_addc_co_u32_e32 v5, vcc, v3, v5, vcc
	global_store_dword v[4:5], v2, off
.LBB873_22:
	s_or_b64 exec, exec, s[8:9]
	;;#ASMSTART
	v_rcp_f32 v2, v2
	;;#ASMEND
	s_and_saveexec_b64 s[14:15], s[2:3]
	s_cbranch_execz .LBB873_24
; %bb.23:
	s_load_dwordx2 s[2:3], s[4:5], 0x0
	s_waitcnt lgkmcnt(0)
	s_mul_i32 s8, s24, s6
	s_mul_hi_i32 s9, s24, s6
	v_mov_b32_e32 v3, v2
	;;#ASMSTART
	v_pk_mul_f32 v[4:5], v[18:19], v[2:3]
	;;#ASMEND
	s_add_u32 s8, s2, s8
	s_addc_u32 s2, s3, s9
	s_add_i32 s3, s19, 3
	s_ashr_i32 s10, s3, 31
	v_mov_b32_e32 v10, 0xc3e00000
	v_mov_b32_e32 v11, 0x43e00000
	;;#ASMSTART
	v_med3_f32 v4, v4, v10, v11
v_med3_f32 v5, v5, v10, v11
v_cvt_pk_fp8_f32 v6, v4, v5
	;;#ASMEND
	s_and_b32 s9, s2, 0xffff
	s_lshr_b32 s2, s10, 30
	;;#ASMSTART
	v_pk_mul_f32 v[4:5], v[32:33], v[2:3]
	;;#ASMEND
	s_add_i32 s3, s3, s2
	;;#ASMSTART
	v_med3_f32 v4, v4, v10, v11
v_med3_f32 v5, v5, v10, v11
v_cvt_pk_fp8_f32 v7, v4, v5
	;;#ASMEND
	s_mov_b32 s2, 0x5040100
	v_perm_b32 v4, v7, v6, s2
	s_mov_b32 s2, 0x1060504
	v_perm_b32 v4, v4, v7, s2
	;;#ASMSTART
	v_pk_mul_f32 v[6:7], v[26:27], v[2:3]
	;;#ASMEND
	v_mov_b32_e32 v5, v6
	;;#ASMSTART
	v_med3_f32 v5, v5, v10, v11
v_med3_f32 v7, v7, v10, v11
v_cvt_pk_fp8_f32 v8, v5, v7
	;;#ASMEND
	;;#ASMSTART
	v_pk_mul_f32 v[6:7], v[30:31], v[2:3]
	;;#ASMEND
	v_mov_b32_e32 v5, v7
	;;#ASMSTART
	v_med3_f32 v6, v6, v10, v11
v_med3_f32 v5, v5, v10, v11
v_cvt_pk_fp8_f32 v7, v6, v5
	;;#ASMEND
	s_mov_b32 s2, 0x1000504
	v_perm_b32 v5, v8, v7, s2
	;;#ASMSTART
	v_pk_mul_f32 v[6:7], v[24:25], v[2:3]
	;;#ASMEND
	;;#ASMSTART
	v_med3_f32 v6, v6, v10, v11
v_med3_f32 v7, v7, v10, v11
v_cvt_pk_fp8_f32 v8, v6, v7
	;;#ASMEND
	;;#ASMSTART
	v_pk_mul_f32 v[6:7], v[28:29], v[2:3]
	;;#ASMEND
	;;#ASMSTART
	v_med3_f32 v6, v6, v10, v11
v_med3_f32 v7, v7, v10, v11
v_cvt_pk_fp8_f32 v9, v6, v7
	;;#ASMEND
	v_perm_b32 v6, v8, v9, s2
	;;#ASMSTART
	v_pk_mul_f32 v[8:9], v[22:23], v[2:3]
	;;#ASMEND
	v_mov_b32_e32 v7, v8
	;;#ASMSTART
	v_med3_f32 v7, v7, v10, v11
v_med3_f32 v9, v9, v10, v11
v_cvt_pk_fp8_f32 v8, v7, v9
	;;#ASMEND
	;;#ASMSTART
	v_pk_mul_f32 v[2:3], v[20:21], v[2:3]
	;;#ASMEND
	;;#ASMSTART
	v_med3_f32 v2, v2, v10, v11
v_med3_f32 v3, v3, v10, v11
v_cvt_pk_fp8_f32 v7, v2, v3
	;;#ASMEND
	s_and_b32 s10, s3, -4
	s_mov_b32 s11, 0x20000
	v_perm_b32 v7, v8, v7, s2
	buffer_store_dwordx4 v[4:7], v1, s[8:11], 0 offen
	;;#ASMSTART
	s_nop 0
	;;#ASMEND
.LBB873_24:
	s_or_b64 exec, exec, s[14:15]
	s_cmp_lt_i32 s20, 1
	s_cbranch_scc1 .LBB873_12
.LBB873_25:
	s_load_dword s2, s[4:5], 0x94
	s_waitcnt lgkmcnt(0)
	s_cmp_lg_u32 s2, 1
	s_cbranch_scc1 .LBB873_12
; %bb.26:
	s_lshl_b32 s2, s20, 1
	s_add_i32 s2, s2, 2
	v_cmp_gt_u32_e32 vcc, s20, v1
	s_and_b32 s14, s2, -4
	v_mov_b32_e32 v18, 0
	v_lshlrev_b32_e32 v1, 5, v0
	v_mov_b32_e32 v14, 0
	v_mov_b32_e32 v15, 0
	;; [unrolled: 1-line block ×8, first 2 shown]
	s_waitcnt vmcnt(1)
	v_mov_b32_e32 v6, 0
	v_mov_b32_e32 v7, 0
	;; [unrolled: 1-line block ×4, first 2 shown]
	s_waitcnt vmcnt(0)
	v_mov_b32_e32 v2, 0
	v_mov_b32_e32 v3, 0
	;; [unrolled: 1-line block ×4, first 2 shown]
	s_barrier
	s_and_saveexec_b64 s[2:3], vcc
	s_cbranch_execz .LBB873_28
; %bb.27:
	s_mul_hi_i32 s5, s22, s6
	s_mul_i32 s4, s22, s6
	s_and_b32 s13, s13, 0xffff
	s_lshl_b64 s[4:5], s[4:5], 1
	s_add_u32 s8, s30, s4
	s_mov_b32 s15, 0x20000
	s_addc_u32 s4, s31, s5
	s_and_b32 s9, s4, 0xffff
	s_mov_b32 s10, s14
	s_mov_b32 s11, s15
	buffer_load_dwordx4 v[14:17], v1, s[8:11], 0 offen
	buffer_load_dwordx4 v[10:13], v1, s[8:11], 16 offen
	;; [unrolled: 1-line block ×4, first 2 shown]
.LBB873_28:
	s_or_b64 exec, exec, s[2:3]
	v_mov_b32_e32 v19, 0
	v_mov_b32_e32 v32, 0
	;; [unrolled: 1-line block ×15, first 2 shown]
	s_and_saveexec_b64 s[2:3], vcc
	s_cbranch_execz .LBB873_30
; %bb.29:
	s_waitcnt vmcnt(3)
	v_cvt_f32_f16_sdwa v19, v14 dst_sel:DWORD dst_unused:UNUSED_PAD src0_sel:WORD_1
	v_cvt_f32_f16_e32 v18, v14
	v_cvt_f32_f16_sdwa v33, v15 dst_sel:DWORD dst_unused:UNUSED_PAD src0_sel:WORD_1
	v_cvt_f32_f16_e32 v32, v15
	;; [unrolled: 2-line block ×4, first 2 shown]
	s_waitcnt vmcnt(2)
	v_cvt_f32_f16_sdwa v27, v10 dst_sel:DWORD dst_unused:UNUSED_PAD src0_sel:WORD_1
	v_cvt_f32_f16_e32 v26, v10
	v_cvt_f32_f16_sdwa v25, v11 dst_sel:DWORD dst_unused:UNUSED_PAD src0_sel:WORD_1
	v_cvt_f32_f16_e32 v24, v11
	;; [unrolled: 2-line block ×4, first 2 shown]
.LBB873_30:
	s_or_b64 exec, exec, s[2:3]
	s_waitcnt vmcnt(2)
	v_mul_f32_e32 v10, v19, v19
	v_fmac_f32_e32 v10, v18, v18
	v_fmac_f32_e32 v10, v32, v32
	;; [unrolled: 1-line block ×15, first 2 shown]
	s_nop 1
	v_mov_b32_dpp v11, v10 quad_perm:[1,0,3,2] row_mask:0xf bank_mask:0xf
	v_add_f32_e32 v10, v10, v11
	s_nop 1
	v_mov_b32_dpp v11, v10 quad_perm:[2,3,0,1] row_mask:0xf bank_mask:0xf
	v_add_f32_e32 v10, v10, v11
	s_nop 1
	v_mov_b32_dpp v11, v10 row_half_mirror row_mask:0xf bank_mask:0xf
	v_add_f32_e32 v10, v10, v11
	s_nop 1
	v_mov_b32_dpp v11, v10 row_mirror row_mask:0xf bank_mask:0xf
	v_add_f32_e32 v10, v10, v11
	s_nop 1
	v_mov_b32_dpp v11, v10 row_bcast:15 row_mask:0xf bank_mask:0xf
	v_add_f32_e32 v10, v10, v11
	s_nop 1
	v_mov_b32_dpp v11, v10 row_bcast:31 row_mask:0xf bank_mask:0xf
	s_and_saveexec_b64 s[2:3], s[0:1]
	s_cbranch_execz .LBB873_32
; %bb.31:
	v_lshrrev_b32_e32 v0, 4, v0
	v_add_f32_e32 v10, v10, v11
	v_and_b32_e32 v0, 60, v0
	ds_write_b32 v0, v10
.LBB873_32:
	s_or_b64 exec, exec, s[2:3]
	s_waitcnt lgkmcnt(0)
	s_barrier
	ds_read_b32 v0, v34
	s_waitcnt lgkmcnt(0)
	s_nop 0
	v_mov_b32_dpp v10, v0 quad_perm:[1,0,3,2] row_mask:0xf bank_mask:0xf
	v_add_f32_e32 v0, v0, v10
	s_nop 1
	v_mov_b32_dpp v10, v0 quad_perm:[2,3,0,1] row_mask:0xf bank_mask:0xf
	s_and_saveexec_b64 s[0:1], vcc
	s_cbranch_execz .LBB873_12
; %bb.33:
	v_cvt_f32_u32_e32 v11, s20
	v_add_f32_e32 v0, v0, v10
	s_mov_b32 s15, 0x20000
	v_div_scale_f32 v10, s[0:1], v11, v11, v0
	v_rcp_f32_e32 v12, v10
	v_div_scale_f32 v13, vcc, v0, v11, v0
	s_mov_b32 s0, 0x800000
	v_fma_f32 v14, -v10, v12, 1.0
	v_fmac_f32_e32 v12, v14, v12
	v_mul_f32_e32 v14, v13, v12
	v_fma_f32 v15, -v10, v14, v13
	v_fmac_f32_e32 v14, v15, v12
	v_fma_f32 v10, -v10, v14, v13
	v_div_fmas_f32 v10, v10, v12, v14
	v_div_fixup_f32 v0, v10, v11, v0
	v_add_f32_e32 v0, s17, v0
	v_mul_f32_e32 v10, 0x4b800000, v0
	v_cmp_gt_f32_e32 vcc, s0, v0
	v_cndmask_b32_e32 v0, v0, v10, vcc
	v_rsq_f32_e32 v0, v0
	s_mul_hi_i32 s1, s7, s6
	s_mul_i32 s0, s7, s6
	s_lshl_b64 s[0:1], s[0:1], 1
	v_mul_f32_e32 v10, 0x45800000, v0
	v_cndmask_b32_e32 v10, v0, v10, vcc
	v_mov_b32_e32 v11, v10
	;;#ASMSTART
	v_pk_mul_f32 v[12:13], v[18:19], v[10:11]
	;;#ASMEND
	;;#ASMSTART
	v_pk_mul_f32 v[14:15], v[32:33], v[10:11]
	;;#ASMEND
	;;#ASMSTART
	v_pk_mul_f32 v[16:17], v[30:31], v[10:11]
	;;#ASMEND
	;;#ASMSTART
	v_pk_mul_f32 v[18:19], v[28:29], v[10:11]
	;;#ASMEND
	s_waitcnt vmcnt(1)
	v_cvt_f32_f16_sdwa v29, v6 dst_sel:DWORD dst_unused:UNUSED_PAD src0_sel:WORD_1
	v_cvt_f32_f16_e32 v28, v6
	v_cvt_f32_f16_sdwa v31, v7 dst_sel:DWORD dst_unused:UNUSED_PAD src0_sel:WORD_1
	v_cvt_f32_f16_e32 v30, v7
	;;#ASMSTART
	v_pk_mul_f32 v[26:27], v[26:27], v[10:11]
	;;#ASMEND
	;;#ASMSTART
	v_pk_mul_f32 v[24:25], v[24:25], v[10:11]
	;;#ASMEND
	;; [unrolled: 3-line block ×4, first 2 shown]
	v_cvt_f32_f16_sdwa v21, v8 dst_sel:DWORD dst_unused:UNUSED_PAD src0_sel:WORD_1
	v_cvt_f32_f16_e32 v20, v8
	v_pk_add_f32 v[10:11], v[28:29], 1.0 op_sel_hi:[1,0]
	;;#ASMSTART
	v_pk_mul_f32 v[10:11], v[12:13], v[10:11]
	;;#ASMEND
	v_pk_add_f32 v[12:13], v[30:31], 1.0 op_sel_hi:[1,0]
	v_cvt_f32_f16_sdwa v29, v9 dst_sel:DWORD dst_unused:UNUSED_PAD src0_sel:WORD_1
	v_cvt_f32_f16_e32 v28, v9
	;;#ASMSTART
	v_pk_mul_f32 v[8:9], v[14:15], v[12:13]
	;;#ASMEND
	v_pk_add_f32 v[12:13], v[20:21], 1.0 op_sel_hi:[1,0]
	;;#ASMSTART
	v_pk_mul_f32 v[12:13], v[16:17], v[12:13]
	;;#ASMEND
	s_waitcnt vmcnt(0)
	v_cvt_f32_f16_sdwa v17, v2 dst_sel:DWORD dst_unused:UNUSED_PAD src0_sel:WORD_1
	v_cvt_f32_f16_e32 v16, v2
	v_cvt_f32_f16_sdwa v21, v3 dst_sel:DWORD dst_unused:UNUSED_PAD src0_sel:WORD_1
	v_cvt_f32_f16_e32 v20, v3
	v_pk_add_f32 v[14:15], v[28:29], 1.0 op_sel_hi:[1,0]
	;;#ASMSTART
	v_pk_mul_f32 v[2:3], v[18:19], v[14:15]
	;;#ASMEND
	v_cvt_f32_f16_sdwa v19, v4 dst_sel:DWORD dst_unused:UNUSED_PAD src0_sel:WORD_1
	v_cvt_f32_f16_e32 v18, v4
	v_pk_add_f32 v[14:15], v[16:17], 1.0 op_sel_hi:[1,0]
	v_pk_add_f32 v[16:17], v[20:21], 1.0 op_sel_hi:[1,0]
	v_cvt_f32_f16_sdwa v21, v5 dst_sel:DWORD dst_unused:UNUSED_PAD src0_sel:WORD_1
	v_cvt_f32_f16_e32 v20, v5
	v_pk_add_f32 v[4:5], v[18:19], 1.0 op_sel_hi:[1,0]
	;;#ASMSTART
	v_pk_mul_f32 v[14:15], v[26:27], v[14:15]
	;;#ASMEND
	;;#ASMSTART
	v_pk_mul_f32 v[16:17], v[24:25], v[16:17]
	;;#ASMEND
	;; [unrolled: 3-line block ×3, first 2 shown]
	v_pk_add_f32 v[4:5], v[20:21], 1.0 op_sel_hi:[1,0]
	;;#ASMSTART
	v_pk_mul_f32 v[6:7], v[6:7], v[4:5]
	;;#ASMEND
	v_cvt_f16_f32_e32 v0, v10
	v_cvt_f16_f32_e32 v4, v11
	;; [unrolled: 1-line block ×8, first 2 shown]
	s_add_u32 s12, s28, s0
	s_addc_u32 s0, s29, s1
	s_and_b32 s13, s0, 0xffff
	v_pack_b32_f16 v2, v0, v4
	v_pack_b32_f16 v3, v5, v8
	;; [unrolled: 1-line block ×4, first 2 shown]
	buffer_store_dwordx4 v[2:5], v1, s[12:15], 0 offen
	v_cvt_f16_f32_e32 v0, v14
	v_cvt_f16_f32_e32 v2, v15
	;; [unrolled: 1-line block ×8, first 2 shown]
	v_pack_b32_f16 v2, v0, v2
	v_pack_b32_f16 v3, v3, v4
	;; [unrolled: 1-line block ×4, first 2 shown]
	;;#ASMSTART
	s_nop 0
	;;#ASMEND
	buffer_store_dwordx4 v[2:5], v1, s[12:15], 16 offen
	;;#ASMSTART
	s_nop 0
	;;#ASMEND
	s_endpgm
	.section	.rodata,"a",@progbits
	.p2align	6, 0x0
	.amdhsa_kernel _ZN5aiter35fused_qk_rmsnorm_group_quant_kernelIDF16_DB8_Li256ELi16ELi2ELb0ELb1ELb1ELb0ELb0ELb0EEEvPT0_PvPT_S6_S6_PKS5_S8_S8_S8_S8_ffiiiiiiiiiiiii
		.amdhsa_group_segment_fixed_size 32
		.amdhsa_private_segment_fixed_size 0
		.amdhsa_kernarg_size 400
		.amdhsa_user_sgpr_count 6
		.amdhsa_user_sgpr_private_segment_buffer 1
		.amdhsa_user_sgpr_dispatch_ptr 0
		.amdhsa_user_sgpr_queue_ptr 0
		.amdhsa_user_sgpr_kernarg_segment_ptr 1
		.amdhsa_user_sgpr_dispatch_id 0
		.amdhsa_user_sgpr_flat_scratch_init 0
		.amdhsa_user_sgpr_kernarg_preload_length 0
		.amdhsa_user_sgpr_kernarg_preload_offset 0
		.amdhsa_user_sgpr_private_segment_size 0
		.amdhsa_uses_dynamic_stack 0
		.amdhsa_system_sgpr_private_segment_wavefront_offset 0
		.amdhsa_system_sgpr_workgroup_id_x 1
		.amdhsa_system_sgpr_workgroup_id_y 1
		.amdhsa_system_sgpr_workgroup_id_z 0
		.amdhsa_system_sgpr_workgroup_info 0
		.amdhsa_system_vgpr_workitem_id 0
		.amdhsa_next_free_vgpr 35
		.amdhsa_next_free_sgpr 36
		.amdhsa_accum_offset 36
		.amdhsa_reserve_vcc 1
		.amdhsa_reserve_flat_scratch 0
		.amdhsa_float_round_mode_32 0
		.amdhsa_float_round_mode_16_64 0
		.amdhsa_float_denorm_mode_32 3
		.amdhsa_float_denorm_mode_16_64 3
		.amdhsa_dx10_clamp 1
		.amdhsa_ieee_mode 1
		.amdhsa_fp16_overflow 0
		.amdhsa_tg_split 0
		.amdhsa_exception_fp_ieee_invalid_op 0
		.amdhsa_exception_fp_denorm_src 0
		.amdhsa_exception_fp_ieee_div_zero 0
		.amdhsa_exception_fp_ieee_overflow 0
		.amdhsa_exception_fp_ieee_underflow 0
		.amdhsa_exception_fp_ieee_inexact 0
		.amdhsa_exception_int_div_zero 0
	.end_amdhsa_kernel
	.section	.text._ZN5aiter35fused_qk_rmsnorm_group_quant_kernelIDF16_DB8_Li256ELi16ELi2ELb0ELb1ELb1ELb0ELb0ELb0EEEvPT0_PvPT_S6_S6_PKS5_S8_S8_S8_S8_ffiiiiiiiiiiiii,"axG",@progbits,_ZN5aiter35fused_qk_rmsnorm_group_quant_kernelIDF16_DB8_Li256ELi16ELi2ELb0ELb1ELb1ELb0ELb0ELb0EEEvPT0_PvPT_S6_S6_PKS5_S8_S8_S8_S8_ffiiiiiiiiiiiii,comdat
.Lfunc_end873:
	.size	_ZN5aiter35fused_qk_rmsnorm_group_quant_kernelIDF16_DB8_Li256ELi16ELi2ELb0ELb1ELb1ELb0ELb0ELb0EEEvPT0_PvPT_S6_S6_PKS5_S8_S8_S8_S8_ffiiiiiiiiiiiii, .Lfunc_end873-_ZN5aiter35fused_qk_rmsnorm_group_quant_kernelIDF16_DB8_Li256ELi16ELi2ELb0ELb1ELb1ELb0ELb0ELb0EEEvPT0_PvPT_S6_S6_PKS5_S8_S8_S8_S8_ffiiiiiiiiiiiii
                                        ; -- End function
	.section	.AMDGPU.csdata,"",@progbits
; Kernel info:
; codeLenInByte = 3768
; NumSgprs: 40
; NumVgprs: 35
; NumAgprs: 0
; TotalNumVgprs: 35
; ScratchSize: 0
; MemoryBound: 0
; FloatMode: 240
; IeeeMode: 1
; LDSByteSize: 32 bytes/workgroup (compile time only)
; SGPRBlocks: 4
; VGPRBlocks: 4
; NumSGPRsForWavesPerEU: 40
; NumVGPRsForWavesPerEU: 35
; AccumOffset: 36
; Occupancy: 8
; WaveLimiterHint : 0
; COMPUTE_PGM_RSRC2:SCRATCH_EN: 0
; COMPUTE_PGM_RSRC2:USER_SGPR: 6
; COMPUTE_PGM_RSRC2:TRAP_HANDLER: 0
; COMPUTE_PGM_RSRC2:TGID_X_EN: 1
; COMPUTE_PGM_RSRC2:TGID_Y_EN: 1
; COMPUTE_PGM_RSRC2:TGID_Z_EN: 0
; COMPUTE_PGM_RSRC2:TIDIG_COMP_CNT: 0
; COMPUTE_PGM_RSRC3_GFX90A:ACCUM_OFFSET: 8
; COMPUTE_PGM_RSRC3_GFX90A:TG_SPLIT: 0
	.section	.text._ZN5aiter35fused_qk_rmsnorm_group_quant_kernelItDB8_Li256ELi16ELi2ELb0ELb1ELb1ELb0ELb0ELb0EEEvPT0_PvPT_S6_S6_PKS5_S8_S8_S8_S8_ffiiiiiiiiiiiii,"axG",@progbits,_ZN5aiter35fused_qk_rmsnorm_group_quant_kernelItDB8_Li256ELi16ELi2ELb0ELb1ELb1ELb0ELb0ELb0EEEvPT0_PvPT_S6_S6_PKS5_S8_S8_S8_S8_ffiiiiiiiiiiiii,comdat
	.protected	_ZN5aiter35fused_qk_rmsnorm_group_quant_kernelItDB8_Li256ELi16ELi2ELb0ELb1ELb1ELb0ELb0ELb0EEEvPT0_PvPT_S6_S6_PKS5_S8_S8_S8_S8_ffiiiiiiiiiiiii ; -- Begin function _ZN5aiter35fused_qk_rmsnorm_group_quant_kernelItDB8_Li256ELi16ELi2ELb0ELb1ELb1ELb0ELb0ELb0EEEvPT0_PvPT_S6_S6_PKS5_S8_S8_S8_S8_ffiiiiiiiiiiiii
	.globl	_ZN5aiter35fused_qk_rmsnorm_group_quant_kernelItDB8_Li256ELi16ELi2ELb0ELb1ELb1ELb0ELb0ELb0EEEvPT0_PvPT_S6_S6_PKS5_S8_S8_S8_S8_ffiiiiiiiiiiiii
	.p2align	8
	.type	_ZN5aiter35fused_qk_rmsnorm_group_quant_kernelItDB8_Li256ELi16ELi2ELb0ELb1ELb1ELb0ELb0ELb0EEEvPT0_PvPT_S6_S6_PKS5_S8_S8_S8_S8_ffiiiiiiiiiiiii,@function
_ZN5aiter35fused_qk_rmsnorm_group_quant_kernelItDB8_Li256ELi16ELi2ELb0ELb1ELb1ELb0ELb0ELb0EEEvPT0_PvPT_S6_S6_PKS5_S8_S8_S8_S8_ffiiiiiiiiiiiii: ; @_ZN5aiter35fused_qk_rmsnorm_group_quant_kernelItDB8_Li256ELi16ELi2ELb0ELb1ELb1ELb0ELb0ELb0EEEvPT0_PvPT_S6_S6_PKS5_S8_S8_S8_S8_ffiiiiiiiiiiiii
; %bb.0:
	s_load_dwordx4 s[16:19], s[4:5], 0x50
	s_waitcnt lgkmcnt(0)
	s_cmp_ge_i32 s6, s18
	s_cbranch_scc1 .LBB874_12
; %bb.1:
	s_load_dwordx2 s[12:13], s[4:5], 0x48
	s_load_dwordx2 s[30:31], s[4:5], 0x30
	s_load_dwordx4 s[20:23], s[4:5], 0x60
	s_cmp_lg_u32 s7, 0
	s_cselect_b64 s[14:15], -1, 0
	s_cmp_eq_u32 s7, 0
	s_cselect_b64 vcc, -1, 0
	s_and_b64 s[0:1], vcc, exec
	s_waitcnt lgkmcnt(0)
	s_cselect_b32 s7, s19, s20
	s_add_i32 s0, s7, 1
	s_lshr_b32 s1, s0, 31
	s_add_i32 s0, s0, s1
	s_lshl_b32 s0, s0, 1
	v_lshlrev_b32_e32 v1, 4, v0
	s_and_b32 s10, s0, -4
	v_cmp_gt_i32_e64 s[2:3], s7, v1
	v_mov_b32_e32 v18, 0
	v_mov_b32_e32 v6, 0
	;; [unrolled: 1-line block ×17, first 2 shown]
	s_and_saveexec_b64 s[0:1], s[2:3]
	s_cbranch_execz .LBB874_3
; %bb.2:
	s_load_dwordx2 s[8:9], s[4:5], 0x28
	s_load_dwordx2 s[26:27], s[4:5], 0x40
	s_and_b64 s[24:25], vcc, exec
	s_cselect_b32 s11, s21, s22
	v_lshlrev_b32_e32 v19, 5, v0
	s_waitcnt lgkmcnt(0)
	s_cselect_b32 s18, s9, s31
	s_cselect_b32 s21, s8, s30
	s_mul_hi_i32 s9, s11, s6
	s_mul_i32 s8, s11, s6
	s_lshl_b64 s[8:9], s[8:9], 1
	s_add_u32 s24, s21, s8
	s_addc_u32 s18, s18, s9
	s_and_b64 s[8:9], vcc, exec
	s_mov_b32 s11, 0x20000
	s_cselect_b32 s8, s26, s12
	s_cselect_b32 s9, s27, s13
	s_and_b32 s25, s18, 0xffff
	s_mov_b32 s26, s10
	s_mov_b32 s27, s11
	s_and_b32 s9, s9, 0xffff
	buffer_load_dwordx4 v[14:17], v19, s[24:27], 0 offen
	buffer_load_dwordx4 v[10:13], v19, s[24:27], 16 offen
	;; [unrolled: 1-line block ×4, first 2 shown]
.LBB874_3:
	s_or_b64 exec, exec, s[0:1]
	v_mov_b32_e32 v19, 0
	v_mov_b32_e32 v32, 0
	;; [unrolled: 1-line block ×15, first 2 shown]
	s_and_saveexec_b64 s[0:1], s[2:3]
	s_cbranch_execz .LBB874_5
; %bb.4:
	s_waitcnt vmcnt(3)
	v_cvt_f32_u32_sdwa v18, v14 dst_sel:DWORD dst_unused:UNUSED_PAD src0_sel:WORD_0
	v_cvt_f32_u32_sdwa v19, v14 dst_sel:DWORD dst_unused:UNUSED_PAD src0_sel:WORD_1
	v_cvt_f32_u32_sdwa v32, v15 dst_sel:DWORD dst_unused:UNUSED_PAD src0_sel:WORD_0
	v_cvt_f32_u32_sdwa v33, v15 dst_sel:DWORD dst_unused:UNUSED_PAD src0_sel:WORD_1
	v_cvt_f32_u32_sdwa v26, v16 dst_sel:DWORD dst_unused:UNUSED_PAD src0_sel:WORD_0
	v_cvt_f32_u32_sdwa v27, v16 dst_sel:DWORD dst_unused:UNUSED_PAD src0_sel:WORD_1
	v_cvt_f32_u32_sdwa v30, v17 dst_sel:DWORD dst_unused:UNUSED_PAD src0_sel:WORD_0
	v_cvt_f32_u32_sdwa v31, v17 dst_sel:DWORD dst_unused:UNUSED_PAD src0_sel:WORD_1
	s_waitcnt vmcnt(2)
	v_cvt_f32_u32_sdwa v24, v10 dst_sel:DWORD dst_unused:UNUSED_PAD src0_sel:WORD_0
	v_cvt_f32_u32_sdwa v25, v10 dst_sel:DWORD dst_unused:UNUSED_PAD src0_sel:WORD_1
	v_cvt_f32_u32_sdwa v28, v11 dst_sel:DWORD dst_unused:UNUSED_PAD src0_sel:WORD_0
	v_cvt_f32_u32_sdwa v29, v11 dst_sel:DWORD dst_unused:UNUSED_PAD src0_sel:WORD_1
	;; [unrolled: 2-line block ×4, first 2 shown]
.LBB874_5:
	s_or_b64 exec, exec, s[0:1]
	s_waitcnt vmcnt(2)
	v_mul_f32_e32 v10, v19, v19
	v_fmac_f32_e32 v10, v18, v18
	v_fmac_f32_e32 v10, v32, v32
	;; [unrolled: 1-line block ×15, first 2 shown]
	v_and_b32_e32 v12, 63, v0
	v_cmp_eq_u32_e64 s[0:1], 63, v12
	v_mov_b32_dpp v11, v10 quad_perm:[1,0,3,2] row_mask:0xf bank_mask:0xf
	v_add_f32_e32 v10, v10, v11
	s_nop 1
	v_mov_b32_dpp v11, v10 quad_perm:[2,3,0,1] row_mask:0xf bank_mask:0xf
	v_add_f32_e32 v10, v10, v11
	s_nop 1
	v_mov_b32_dpp v11, v10 row_half_mirror row_mask:0xf bank_mask:0xf
	v_add_f32_e32 v10, v10, v11
	s_nop 1
	v_mov_b32_dpp v11, v10 row_mirror row_mask:0xf bank_mask:0xf
	v_add_f32_e32 v10, v10, v11
	s_nop 1
	v_mov_b32_dpp v11, v10 row_bcast:15 row_mask:0xf bank_mask:0xf
	v_add_f32_e32 v10, v10, v11
	s_nop 1
	v_mov_b32_dpp v11, v10 row_bcast:31 row_mask:0xf bank_mask:0xf
	s_and_saveexec_b64 s[8:9], s[0:1]
	s_cbranch_execz .LBB874_7
; %bb.6:
	v_add_f32_e32 v10, v10, v11
	v_lshrrev_b32_e32 v11, 4, v0
	v_and_b32_e32 v11, 60, v11
	ds_write_b32 v11, v10 offset:16
.LBB874_7:
	s_or_b64 exec, exec, s[8:9]
	v_and_b32_e32 v10, 3, v0
	v_lshlrev_b32_e32 v34, 2, v10
	s_waitcnt lgkmcnt(0)
	s_barrier
	ds_read_b32 v10, v34 offset:16
	s_load_dwordx2 s[28:29], s[4:5], 0x18
	s_waitcnt lgkmcnt(0)
	v_mov_b32_dpp v11, v10 quad_perm:[1,0,3,2] row_mask:0xf bank_mask:0xf
	v_add_f32_e32 v10, v10, v11
	s_nop 1
	v_mov_b32_dpp v11, v10 quad_perm:[2,3,0,1] row_mask:0xf bank_mask:0xf
	s_and_saveexec_b64 s[8:9], s[2:3]
	s_cbranch_execz .LBB874_9
; %bb.8:
	v_cvt_f32_u32_e32 v12, s7
	v_add_f32_e32 v10, v10, v11
	v_mov_b32_e32 v14, s17
	v_mov_b32_e32 v15, s16
	v_div_scale_f32 v11, s[24:25], v12, v12, v10
	v_rcp_f32_e32 v13, v11
	v_cndmask_b32_e32 v14, v14, v15, vcc
	s_mov_b32 s7, 0x800000
	v_fma_f32 v15, -v11, v13, 1.0
	v_fmac_f32_e32 v13, v15, v13
	v_div_scale_f32 v15, vcc, v10, v12, v10
	v_mul_f32_e32 v16, v15, v13
	v_fma_f32 v17, -v11, v16, v15
	v_fmac_f32_e32 v16, v17, v13
	v_fma_f32 v11, -v11, v16, v15
	v_div_fmas_f32 v11, v11, v13, v16
	v_div_fixup_f32 v10, v11, v12, v10
	v_add_f32_e32 v10, v14, v10
	v_mul_f32_e32 v11, 0x4b800000, v10
	v_cmp_gt_f32_e32 vcc, s7, v10
	v_cndmask_b32_e32 v10, v10, v11, vcc
	v_rsq_f32_e32 v10, v10
	v_mul_f32_e32 v11, 0x45800000, v10
	v_cndmask_b32_e32 v10, v10, v11, vcc
	v_mov_b32_e32 v11, v10
	;;#ASMSTART
	v_pk_mul_f32 v[12:13], v[18:19], v[10:11]
	;;#ASMEND
	s_waitcnt vmcnt(1)
	v_cvt_f32_u32_sdwa v19, v6 dst_sel:DWORD dst_unused:UNUSED_PAD src0_sel:WORD_1
	v_cvt_f32_u32_sdwa v18, v6 dst_sel:DWORD dst_unused:UNUSED_PAD src0_sel:WORD_0
	;;#ASMSTART
	v_pk_mul_f32 v[14:15], v[32:33], v[10:11]
	;;#ASMEND
	;;#ASMSTART
	v_pk_mul_f32 v[16:17], v[26:27], v[10:11]
	;;#ASMEND
	v_cvt_f32_u32_sdwa v27, v7 dst_sel:DWORD dst_unused:UNUSED_PAD src0_sel:WORD_1
	v_cvt_f32_u32_sdwa v26, v7 dst_sel:DWORD dst_unused:UNUSED_PAD src0_sel:WORD_0
	;;#ASMSTART
	v_pk_mul_f32 v[30:31], v[30:31], v[10:11]
	;;#ASMEND
	;;#ASMSTART
	v_pk_mul_f32 v[24:25], v[24:25], v[10:11]
	;;#ASMEND
	;; [unrolled: 3-line block ×5, first 2 shown]
	v_pk_add_f32 v[10:11], v[18:19], 1.0 op_sel_hi:[1,0]
	;;#ASMSTART
	v_pk_mul_f32 v[18:19], v[12:13], v[10:11]
	;;#ASMEND
	v_cvt_f32_u32_sdwa v13, v8 dst_sel:DWORD dst_unused:UNUSED_PAD src0_sel:WORD_1
	v_cvt_f32_u32_sdwa v12, v8 dst_sel:DWORD dst_unused:UNUSED_PAD src0_sel:WORD_0
	v_cvt_f32_u32_sdwa v21, v9 dst_sel:DWORD dst_unused:UNUSED_PAD src0_sel:WORD_1
	v_cvt_f32_u32_sdwa v20, v9 dst_sel:DWORD dst_unused:UNUSED_PAD src0_sel:WORD_0
	v_pk_add_f32 v[10:11], v[26:27], 1.0 op_sel_hi:[1,0]
	;;#ASMSTART
	v_pk_mul_f32 v[32:33], v[14:15], v[10:11]
	;;#ASMEND
	s_waitcnt vmcnt(0)
	v_cvt_f32_u32_sdwa v11, v2 dst_sel:DWORD dst_unused:UNUSED_PAD src0_sel:WORD_1
	v_cvt_f32_u32_sdwa v10, v2 dst_sel:DWORD dst_unused:UNUSED_PAD src0_sel:WORD_0
	v_pk_add_f32 v[8:9], v[12:13], 1.0 op_sel_hi:[1,0]
	;;#ASMSTART
	v_pk_mul_f32 v[26:27], v[16:17], v[8:9]
	;;#ASMEND
	v_pk_add_f32 v[8:9], v[20:21], 1.0 op_sel_hi:[1,0]
	v_cvt_f32_u32_sdwa v13, v3 dst_sel:DWORD dst_unused:UNUSED_PAD src0_sel:WORD_1
	v_cvt_f32_u32_sdwa v12, v3 dst_sel:DWORD dst_unused:UNUSED_PAD src0_sel:WORD_0
	;;#ASMSTART
	v_pk_mul_f32 v[30:31], v[30:31], v[8:9]
	;;#ASMEND
	v_cvt_f32_u32_sdwa v9, v4 dst_sel:DWORD dst_unused:UNUSED_PAD src0_sel:WORD_1
	v_cvt_f32_u32_sdwa v8, v4 dst_sel:DWORD dst_unused:UNUSED_PAD src0_sel:WORD_0
	v_pk_add_f32 v[2:3], v[10:11], 1.0 op_sel_hi:[1,0]
	v_cvt_f32_u32_sdwa v11, v5 dst_sel:DWORD dst_unused:UNUSED_PAD src0_sel:WORD_1
	v_cvt_f32_u32_sdwa v10, v5 dst_sel:DWORD dst_unused:UNUSED_PAD src0_sel:WORD_0
	;;#ASMSTART
	v_pk_mul_f32 v[24:25], v[24:25], v[2:3]
	;;#ASMEND
	v_pk_add_f32 v[2:3], v[12:13], 1.0 op_sel_hi:[1,0]
	;;#ASMSTART
	v_pk_mul_f32 v[28:29], v[28:29], v[2:3]
	;;#ASMEND
	v_pk_add_f32 v[2:3], v[8:9], 1.0 op_sel_hi:[1,0]
	;; [unrolled: 4-line block ×3, first 2 shown]
	;;#ASMSTART
	v_pk_mul_f32 v[20:21], v[6:7], v[2:3]
	;;#ASMEND
.LBB874_9:
	s_or_b64 exec, exec, s[8:9]
	s_load_dword s7, s[4:5], 0x80
	s_mov_b64 s[8:9], -1
	s_and_b64 vcc, exec, s[14:15]
	s_cbranch_vccnz .LBB874_13
; %bb.10:
	s_andn2_b64 vcc, exec, s[8:9]
	s_cbranch_vccz .LBB874_16
.LBB874_11:
	s_cmp_lt_i32 s20, 1
	s_cbranch_scc0 .LBB874_25
.LBB874_12:
	s_endpgm
.LBB874_13:
	s_and_saveexec_b64 s[14:15], s[2:3]
	s_cbranch_execz .LBB874_15
; %bb.14:
	s_waitcnt lgkmcnt(0)
	s_mul_hi_i32 s9, s7, s6
	s_mul_i32 s8, s7, s6
	s_lshl_b64 s[8:9], s[8:9], 1
	s_add_u32 s8, s28, s8
	s_addc_u32 s9, s29, s9
	s_mov_b32 s16, 0x7060302
	s_and_b32 s9, s9, 0xffff
	s_mov_b32 s11, 0x20000
	s_waitcnt vmcnt(0)
	v_perm_b32 v5, v31, v30, s16
	v_perm_b32 v4, v27, v26, s16
	;; [unrolled: 1-line block ×4, first 2 shown]
	v_lshlrev_b32_e32 v6, 5, v0
	buffer_store_dwordx4 v[2:5], v6, s[8:11], 0 offen
	;;#ASMSTART
	s_nop 0
	;;#ASMEND
	s_nop 0
	v_perm_b32 v5, v21, v20, s16
	v_perm_b32 v4, v23, v22, s16
	;; [unrolled: 1-line block ×4, first 2 shown]
	buffer_store_dwordx4 v[2:5], v6, s[8:11], 16 offen
	;;#ASMSTART
	s_nop 0
	;;#ASMEND
.LBB874_15:
	s_or_b64 exec, exec, s[14:15]
	s_cbranch_execnz .LBB874_11
.LBB874_16:
	s_load_dwordx4 s[24:27], s[4:5], 0x70
	s_waitcnt vmcnt(0)
	v_mov_b32_e32 v2, 0
	s_and_saveexec_b64 s[14:15], s[2:3]
	s_cbranch_execz .LBB874_18
; %bb.17:
	s_load_dwordx2 s[8:9], s[4:5], 0x10
	s_waitcnt lgkmcnt(0)
	s_mul_hi_i32 s35, s27, s6
	s_mul_i32 s34, s27, s6
	s_lshl_b64 s[34:35], s[34:35], 1
	s_mov_b32 s16, 0x7060302
	s_add_u32 s8, s8, s34
	s_addc_u32 s9, s9, s35
	s_mov_b32 s11, 0x20000
	s_and_b32 s9, s9, 0xffff
	v_perm_b32 v5, v31, v30, s16
	v_perm_b32 v4, v27, v26, s16
	;; [unrolled: 1-line block ×4, first 2 shown]
	v_lshlrev_b32_e32 v6, 5, v0
	buffer_store_dwordx4 v[2:5], v6, s[8:11], 0 offen
	;;#ASMSTART
	s_nop 0
	;;#ASMEND
	s_nop 0
	v_perm_b32 v5, v21, v20, s16
	v_perm_b32 v4, v23, v22, s16
	;; [unrolled: 1-line block ×4, first 2 shown]
	buffer_store_dwordx4 v[2:5], v6, s[8:11], 16 offen
	;;#ASMSTART
	s_nop 0
	;;#ASMEND
	s_nop 0
	v_mov_b32_e32 v2, 0x2edbe6ff
.LBB874_18:
	s_or_b64 exec, exec, s[14:15]
	s_and_saveexec_b64 s[8:9], s[2:3]
	s_cbranch_execz .LBB874_20
; %bb.19:
	v_and_b32_e32 v3, 0x7fffffff, v18
	v_and_b32_e32 v4, 0x7fffffff, v19
	;;#ASMSTART
	v_max3_f32 v2, v2, v3, v4

	;;#ASMEND
	v_and_b32_e32 v3, 0x7fffffff, v32
	v_and_b32_e32 v4, 0x7fffffff, v33
	;;#ASMSTART
	v_max3_f32 v2, v2, v3, v4

	;;#ASMEND
	;; [unrolled: 6-line block ×8, first 2 shown]
.LBB874_20:
	s_or_b64 exec, exec, s[8:9]
	;;#ASMSTART
	v_max_f32 v3, v2, v2 quad_perm:[1,0,3,2] row_mask:0xf bank_mask:0xf bound_ctrl:1
	;;#ASMEND
	v_mul_f32_e32 v2, 0x3b124925, v3
	v_and_b32_e32 v3, 1, v0
	v_cmp_eq_u32_e32 vcc, 0, v3
	v_cmp_gt_i32_e64 s[8:9], s19, v1
	s_and_b64 s[10:11], vcc, s[8:9]
	s_and_saveexec_b64 s[8:9], s[10:11]
	s_cbranch_execz .LBB874_22
; %bb.21:
	s_load_dwordx2 s[10:11], s[4:5], 0x8
	s_waitcnt lgkmcnt(0)
	s_mul_hi_i32 s15, s25, s6
	s_mul_i32 s14, s25, s6
	v_lshrrev_b32_e32 v3, 1, v0
	s_lshl_b64 s[14:15], s[14:15], 2
	v_mad_i64_i32 v[4:5], s[26:27], s26, v3, 0
	s_add_u32 s10, s10, s14
	s_addc_u32 s11, s11, s15
	v_lshlrev_b64 v[4:5], 2, v[4:5]
	v_mov_b32_e32 v3, s11
	v_add_co_u32_e32 v4, vcc, s10, v4
	v_addc_co_u32_e32 v5, vcc, v3, v5, vcc
	global_store_dword v[4:5], v2, off
.LBB874_22:
	s_or_b64 exec, exec, s[8:9]
	;;#ASMSTART
	v_rcp_f32 v2, v2
	;;#ASMEND
	s_and_saveexec_b64 s[14:15], s[2:3]
	s_cbranch_execz .LBB874_24
; %bb.23:
	s_load_dwordx2 s[2:3], s[4:5], 0x0
	s_waitcnt lgkmcnt(0)
	s_mul_i32 s8, s24, s6
	s_mul_hi_i32 s9, s24, s6
	v_mov_b32_e32 v3, v2
	;;#ASMSTART
	v_pk_mul_f32 v[4:5], v[18:19], v[2:3]
	;;#ASMEND
	s_add_u32 s8, s2, s8
	s_addc_u32 s2, s3, s9
	s_add_i32 s3, s19, 3
	s_ashr_i32 s10, s3, 31
	v_mov_b32_e32 v10, 0xc3e00000
	v_mov_b32_e32 v11, 0x43e00000
	;;#ASMSTART
	v_med3_f32 v4, v4, v10, v11
v_med3_f32 v5, v5, v10, v11
v_cvt_pk_fp8_f32 v6, v4, v5
	;;#ASMEND
	s_and_b32 s9, s2, 0xffff
	s_lshr_b32 s2, s10, 30
	;;#ASMSTART
	v_pk_mul_f32 v[4:5], v[32:33], v[2:3]
	;;#ASMEND
	s_add_i32 s3, s3, s2
	;;#ASMSTART
	v_med3_f32 v4, v4, v10, v11
v_med3_f32 v5, v5, v10, v11
v_cvt_pk_fp8_f32 v7, v4, v5
	;;#ASMEND
	s_mov_b32 s2, 0x5040100
	v_perm_b32 v4, v7, v6, s2
	s_mov_b32 s2, 0x1060504
	v_perm_b32 v4, v4, v7, s2
	;;#ASMSTART
	v_pk_mul_f32 v[6:7], v[26:27], v[2:3]
	;;#ASMEND
	v_mov_b32_e32 v5, v6
	;;#ASMSTART
	v_med3_f32 v5, v5, v10, v11
v_med3_f32 v7, v7, v10, v11
v_cvt_pk_fp8_f32 v8, v5, v7
	;;#ASMEND
	;;#ASMSTART
	v_pk_mul_f32 v[6:7], v[30:31], v[2:3]
	;;#ASMEND
	v_mov_b32_e32 v5, v7
	;;#ASMSTART
	v_med3_f32 v6, v6, v10, v11
v_med3_f32 v5, v5, v10, v11
v_cvt_pk_fp8_f32 v7, v6, v5
	;;#ASMEND
	s_mov_b32 s2, 0x1000504
	v_perm_b32 v5, v8, v7, s2
	;;#ASMSTART
	v_pk_mul_f32 v[6:7], v[24:25], v[2:3]
	;;#ASMEND
	;;#ASMSTART
	v_med3_f32 v6, v6, v10, v11
v_med3_f32 v7, v7, v10, v11
v_cvt_pk_fp8_f32 v8, v6, v7
	;;#ASMEND
	;;#ASMSTART
	v_pk_mul_f32 v[6:7], v[28:29], v[2:3]
	;;#ASMEND
	;;#ASMSTART
	v_med3_f32 v6, v6, v10, v11
v_med3_f32 v7, v7, v10, v11
v_cvt_pk_fp8_f32 v9, v6, v7
	;;#ASMEND
	v_perm_b32 v6, v8, v9, s2
	;;#ASMSTART
	v_pk_mul_f32 v[8:9], v[22:23], v[2:3]
	;;#ASMEND
	v_mov_b32_e32 v7, v8
	;;#ASMSTART
	v_med3_f32 v7, v7, v10, v11
v_med3_f32 v9, v9, v10, v11
v_cvt_pk_fp8_f32 v8, v7, v9
	;;#ASMEND
	;;#ASMSTART
	v_pk_mul_f32 v[2:3], v[20:21], v[2:3]
	;;#ASMEND
	;;#ASMSTART
	v_med3_f32 v2, v2, v10, v11
v_med3_f32 v3, v3, v10, v11
v_cvt_pk_fp8_f32 v7, v2, v3
	;;#ASMEND
	s_and_b32 s10, s3, -4
	s_mov_b32 s11, 0x20000
	v_perm_b32 v7, v8, v7, s2
	buffer_store_dwordx4 v[4:7], v1, s[8:11], 0 offen
	;;#ASMSTART
	s_nop 0
	;;#ASMEND
.LBB874_24:
	s_or_b64 exec, exec, s[14:15]
	s_cmp_lt_i32 s20, 1
	s_cbranch_scc1 .LBB874_12
.LBB874_25:
	s_load_dword s2, s[4:5], 0x94
	s_waitcnt lgkmcnt(0)
	s_cmp_lg_u32 s2, 1
	s_cbranch_scc1 .LBB874_12
; %bb.26:
	s_lshl_b32 s2, s20, 1
	s_add_i32 s2, s2, 2
	v_cmp_gt_u32_e32 vcc, s20, v1
	s_and_b32 s14, s2, -4
	v_mov_b32_e32 v18, 0
	v_lshlrev_b32_e32 v1, 5, v0
	v_mov_b32_e32 v14, 0
	v_mov_b32_e32 v15, 0
	;; [unrolled: 1-line block ×8, first 2 shown]
	s_waitcnt vmcnt(1)
	v_mov_b32_e32 v6, 0
	v_mov_b32_e32 v7, 0
	;; [unrolled: 1-line block ×4, first 2 shown]
	s_waitcnt vmcnt(0)
	v_mov_b32_e32 v2, 0
	v_mov_b32_e32 v3, 0
	v_mov_b32_e32 v4, 0
	v_mov_b32_e32 v5, 0
	s_barrier
	s_and_saveexec_b64 s[2:3], vcc
	s_cbranch_execz .LBB874_28
; %bb.27:
	s_mul_hi_i32 s5, s22, s6
	s_mul_i32 s4, s22, s6
	s_and_b32 s13, s13, 0xffff
	s_lshl_b64 s[4:5], s[4:5], 1
	s_add_u32 s8, s30, s4
	s_mov_b32 s15, 0x20000
	s_addc_u32 s4, s31, s5
	s_and_b32 s9, s4, 0xffff
	s_mov_b32 s10, s14
	s_mov_b32 s11, s15
	buffer_load_dwordx4 v[14:17], v1, s[8:11], 0 offen
	buffer_load_dwordx4 v[10:13], v1, s[8:11], 16 offen
	buffer_load_dwordx4 v[6:9], v1, s[12:15], 0 offen
	buffer_load_dwordx4 v[2:5], v1, s[12:15], 16 offen
.LBB874_28:
	s_or_b64 exec, exec, s[2:3]
	v_mov_b32_e32 v19, 0
	v_mov_b32_e32 v32, 0
	;; [unrolled: 1-line block ×15, first 2 shown]
	s_and_saveexec_b64 s[2:3], vcc
	s_cbranch_execz .LBB874_30
; %bb.29:
	s_waitcnt vmcnt(3)
	v_cvt_f32_u32_sdwa v18, v14 dst_sel:DWORD dst_unused:UNUSED_PAD src0_sel:WORD_0
	v_cvt_f32_u32_sdwa v19, v14 dst_sel:DWORD dst_unused:UNUSED_PAD src0_sel:WORD_1
	v_cvt_f32_u32_sdwa v32, v15 dst_sel:DWORD dst_unused:UNUSED_PAD src0_sel:WORD_0
	v_cvt_f32_u32_sdwa v33, v15 dst_sel:DWORD dst_unused:UNUSED_PAD src0_sel:WORD_1
	;; [unrolled: 2-line block ×4, first 2 shown]
	s_waitcnt vmcnt(2)
	v_cvt_f32_u32_sdwa v26, v10 dst_sel:DWORD dst_unused:UNUSED_PAD src0_sel:WORD_0
	v_cvt_f32_u32_sdwa v27, v10 dst_sel:DWORD dst_unused:UNUSED_PAD src0_sel:WORD_1
	v_cvt_f32_u32_sdwa v24, v11 dst_sel:DWORD dst_unused:UNUSED_PAD src0_sel:WORD_0
	v_cvt_f32_u32_sdwa v25, v11 dst_sel:DWORD dst_unused:UNUSED_PAD src0_sel:WORD_1
	;; [unrolled: 2-line block ×4, first 2 shown]
.LBB874_30:
	s_or_b64 exec, exec, s[2:3]
	s_waitcnt vmcnt(2)
	v_mul_f32_e32 v10, v19, v19
	v_fmac_f32_e32 v10, v18, v18
	v_fmac_f32_e32 v10, v32, v32
	;; [unrolled: 1-line block ×15, first 2 shown]
	s_nop 1
	v_mov_b32_dpp v11, v10 quad_perm:[1,0,3,2] row_mask:0xf bank_mask:0xf
	v_add_f32_e32 v10, v10, v11
	s_nop 1
	v_mov_b32_dpp v11, v10 quad_perm:[2,3,0,1] row_mask:0xf bank_mask:0xf
	v_add_f32_e32 v10, v10, v11
	s_nop 1
	v_mov_b32_dpp v11, v10 row_half_mirror row_mask:0xf bank_mask:0xf
	v_add_f32_e32 v10, v10, v11
	s_nop 1
	v_mov_b32_dpp v11, v10 row_mirror row_mask:0xf bank_mask:0xf
	v_add_f32_e32 v10, v10, v11
	s_nop 1
	v_mov_b32_dpp v11, v10 row_bcast:15 row_mask:0xf bank_mask:0xf
	v_add_f32_e32 v10, v10, v11
	s_nop 1
	v_mov_b32_dpp v11, v10 row_bcast:31 row_mask:0xf bank_mask:0xf
	s_and_saveexec_b64 s[2:3], s[0:1]
	s_cbranch_execz .LBB874_32
; %bb.31:
	v_lshrrev_b32_e32 v0, 4, v0
	v_add_f32_e32 v10, v10, v11
	v_and_b32_e32 v0, 60, v0
	ds_write_b32 v0, v10
.LBB874_32:
	s_or_b64 exec, exec, s[2:3]
	s_waitcnt lgkmcnt(0)
	s_barrier
	ds_read_b32 v0, v34
	s_waitcnt lgkmcnt(0)
	s_nop 0
	v_mov_b32_dpp v10, v0 quad_perm:[1,0,3,2] row_mask:0xf bank_mask:0xf
	v_add_f32_e32 v0, v0, v10
	s_nop 1
	v_mov_b32_dpp v10, v0 quad_perm:[2,3,0,1] row_mask:0xf bank_mask:0xf
	s_and_saveexec_b64 s[0:1], vcc
	s_cbranch_execz .LBB874_12
; %bb.33:
	v_cvt_f32_u32_e32 v11, s20
	v_add_f32_e32 v0, v0, v10
	s_mov_b32 s15, 0x20000
	v_div_scale_f32 v10, s[0:1], v11, v11, v0
	v_rcp_f32_e32 v12, v10
	v_div_scale_f32 v13, vcc, v0, v11, v0
	s_mov_b32 s0, 0x800000
	v_fma_f32 v14, -v10, v12, 1.0
	v_fmac_f32_e32 v12, v14, v12
	v_mul_f32_e32 v14, v13, v12
	v_fma_f32 v15, -v10, v14, v13
	v_fmac_f32_e32 v14, v15, v12
	v_fma_f32 v10, -v10, v14, v13
	v_div_fmas_f32 v10, v10, v12, v14
	v_div_fixup_f32 v0, v10, v11, v0
	v_add_f32_e32 v0, s17, v0
	v_mul_f32_e32 v10, 0x4b800000, v0
	v_cmp_gt_f32_e32 vcc, s0, v0
	v_cndmask_b32_e32 v0, v0, v10, vcc
	v_rsq_f32_e32 v0, v0
	s_mul_hi_i32 s1, s7, s6
	s_mul_i32 s0, s7, s6
	s_lshl_b64 s[0:1], s[0:1], 1
	v_mul_f32_e32 v10, 0x45800000, v0
	v_cndmask_b32_e32 v10, v0, v10, vcc
	v_mov_b32_e32 v11, v10
	;;#ASMSTART
	v_pk_mul_f32 v[12:13], v[18:19], v[10:11]
	;;#ASMEND
	;;#ASMSTART
	v_pk_mul_f32 v[14:15], v[32:33], v[10:11]
	;;#ASMEND
	;; [unrolled: 3-line block ×4, first 2 shown]
	s_waitcnt vmcnt(1)
	v_cvt_f32_u32_sdwa v29, v6 dst_sel:DWORD dst_unused:UNUSED_PAD src0_sel:WORD_1
	v_cvt_f32_u32_sdwa v28, v6 dst_sel:DWORD dst_unused:UNUSED_PAD src0_sel:WORD_0
	v_cvt_f32_u32_sdwa v31, v7 dst_sel:DWORD dst_unused:UNUSED_PAD src0_sel:WORD_1
	v_cvt_f32_u32_sdwa v30, v7 dst_sel:DWORD dst_unused:UNUSED_PAD src0_sel:WORD_0
	;;#ASMSTART
	v_pk_mul_f32 v[26:27], v[26:27], v[10:11]
	;;#ASMEND
	;;#ASMSTART
	v_pk_mul_f32 v[24:25], v[24:25], v[10:11]
	;;#ASMEND
	;;#ASMSTART
	v_pk_mul_f32 v[22:23], v[22:23], v[10:11]
	;;#ASMEND
	;;#ASMSTART
	v_pk_mul_f32 v[6:7], v[20:21], v[10:11]
	;;#ASMEND
	v_cvt_f32_u32_sdwa v21, v8 dst_sel:DWORD dst_unused:UNUSED_PAD src0_sel:WORD_1
	v_cvt_f32_u32_sdwa v20, v8 dst_sel:DWORD dst_unused:UNUSED_PAD src0_sel:WORD_0
	v_pk_add_f32 v[10:11], v[28:29], 1.0 op_sel_hi:[1,0]
	;;#ASMSTART
	v_pk_mul_f32 v[10:11], v[12:13], v[10:11]
	;;#ASMEND
	v_pk_add_f32 v[12:13], v[30:31], 1.0 op_sel_hi:[1,0]
	v_cvt_f32_u32_sdwa v29, v9 dst_sel:DWORD dst_unused:UNUSED_PAD src0_sel:WORD_1
	v_cvt_f32_u32_sdwa v28, v9 dst_sel:DWORD dst_unused:UNUSED_PAD src0_sel:WORD_0
	;;#ASMSTART
	v_pk_mul_f32 v[8:9], v[14:15], v[12:13]
	;;#ASMEND
	v_pk_add_f32 v[12:13], v[20:21], 1.0 op_sel_hi:[1,0]
	;;#ASMSTART
	v_pk_mul_f32 v[12:13], v[16:17], v[12:13]
	;;#ASMEND
	s_waitcnt vmcnt(0)
	v_cvt_f32_u32_sdwa v17, v2 dst_sel:DWORD dst_unused:UNUSED_PAD src0_sel:WORD_1
	v_cvt_f32_u32_sdwa v16, v2 dst_sel:DWORD dst_unused:UNUSED_PAD src0_sel:WORD_0
	v_cvt_f32_u32_sdwa v21, v3 dst_sel:DWORD dst_unused:UNUSED_PAD src0_sel:WORD_1
	v_cvt_f32_u32_sdwa v20, v3 dst_sel:DWORD dst_unused:UNUSED_PAD src0_sel:WORD_0
	v_pk_add_f32 v[14:15], v[28:29], 1.0 op_sel_hi:[1,0]
	;;#ASMSTART
	v_pk_mul_f32 v[14:15], v[18:19], v[14:15]
	;;#ASMEND
	v_pk_add_f32 v[2:3], v[16:17], 1.0 op_sel_hi:[1,0]
	v_cvt_f32_u32_sdwa v19, v4 dst_sel:DWORD dst_unused:UNUSED_PAD src0_sel:WORD_1
	v_cvt_f32_u32_sdwa v18, v4 dst_sel:DWORD dst_unused:UNUSED_PAD src0_sel:WORD_0
	;;#ASMSTART
	v_pk_mul_f32 v[16:17], v[26:27], v[2:3]
	;;#ASMEND
	v_pk_add_f32 v[2:3], v[20:21], 1.0 op_sel_hi:[1,0]
	v_cvt_f32_u32_sdwa v21, v5 dst_sel:DWORD dst_unused:UNUSED_PAD src0_sel:WORD_1
	v_cvt_f32_u32_sdwa v20, v5 dst_sel:DWORD dst_unused:UNUSED_PAD src0_sel:WORD_0
	s_add_u32 s12, s28, s0
	;;#ASMSTART
	v_pk_mul_f32 v[24:25], v[24:25], v[2:3]
	;;#ASMEND
	v_pk_add_f32 v[2:3], v[18:19], 1.0 op_sel_hi:[1,0]
	s_addc_u32 s0, s29, s1
	;;#ASMSTART
	v_pk_mul_f32 v[18:19], v[22:23], v[2:3]
	;;#ASMEND
	v_pk_add_f32 v[2:3], v[20:21], 1.0 op_sel_hi:[1,0]
	s_and_b32 s13, s0, 0xffff
	s_mov_b32 s0, 0x7060302
	;;#ASMSTART
	v_pk_mul_f32 v[6:7], v[6:7], v[2:3]
	;;#ASMEND
	v_perm_b32 v2, v11, v10, s0
	v_perm_b32 v3, v9, v8, s0
	;; [unrolled: 1-line block ×4, first 2 shown]
	buffer_store_dwordx4 v[2:5], v1, s[12:15], 0 offen
	;;#ASMSTART
	s_nop 0
	;;#ASMEND
	s_nop 0
	v_perm_b32 v2, v17, v16, s0
	v_perm_b32 v3, v25, v24, s0
	;; [unrolled: 1-line block ×4, first 2 shown]
	buffer_store_dwordx4 v[2:5], v1, s[12:15], 16 offen
	;;#ASMSTART
	s_nop 0
	;;#ASMEND
	s_endpgm
	.section	.rodata,"a",@progbits
	.p2align	6, 0x0
	.amdhsa_kernel _ZN5aiter35fused_qk_rmsnorm_group_quant_kernelItDB8_Li256ELi16ELi2ELb0ELb1ELb1ELb0ELb0ELb0EEEvPT0_PvPT_S6_S6_PKS5_S8_S8_S8_S8_ffiiiiiiiiiiiii
		.amdhsa_group_segment_fixed_size 32
		.amdhsa_private_segment_fixed_size 0
		.amdhsa_kernarg_size 400
		.amdhsa_user_sgpr_count 6
		.amdhsa_user_sgpr_private_segment_buffer 1
		.amdhsa_user_sgpr_dispatch_ptr 0
		.amdhsa_user_sgpr_queue_ptr 0
		.amdhsa_user_sgpr_kernarg_segment_ptr 1
		.amdhsa_user_sgpr_dispatch_id 0
		.amdhsa_user_sgpr_flat_scratch_init 0
		.amdhsa_user_sgpr_kernarg_preload_length 0
		.amdhsa_user_sgpr_kernarg_preload_offset 0
		.amdhsa_user_sgpr_private_segment_size 0
		.amdhsa_uses_dynamic_stack 0
		.amdhsa_system_sgpr_private_segment_wavefront_offset 0
		.amdhsa_system_sgpr_workgroup_id_x 1
		.amdhsa_system_sgpr_workgroup_id_y 1
		.amdhsa_system_sgpr_workgroup_id_z 0
		.amdhsa_system_sgpr_workgroup_info 0
		.amdhsa_system_vgpr_workitem_id 0
		.amdhsa_next_free_vgpr 35
		.amdhsa_next_free_sgpr 36
		.amdhsa_accum_offset 36
		.amdhsa_reserve_vcc 1
		.amdhsa_reserve_flat_scratch 0
		.amdhsa_float_round_mode_32 0
		.amdhsa_float_round_mode_16_64 0
		.amdhsa_float_denorm_mode_32 3
		.amdhsa_float_denorm_mode_16_64 3
		.amdhsa_dx10_clamp 1
		.amdhsa_ieee_mode 1
		.amdhsa_fp16_overflow 0
		.amdhsa_tg_split 0
		.amdhsa_exception_fp_ieee_invalid_op 0
		.amdhsa_exception_fp_denorm_src 0
		.amdhsa_exception_fp_ieee_div_zero 0
		.amdhsa_exception_fp_ieee_overflow 0
		.amdhsa_exception_fp_ieee_underflow 0
		.amdhsa_exception_fp_ieee_inexact 0
		.amdhsa_exception_int_div_zero 0
	.end_amdhsa_kernel
	.section	.text._ZN5aiter35fused_qk_rmsnorm_group_quant_kernelItDB8_Li256ELi16ELi2ELb0ELb1ELb1ELb0ELb0ELb0EEEvPT0_PvPT_S6_S6_PKS5_S8_S8_S8_S8_ffiiiiiiiiiiiii,"axG",@progbits,_ZN5aiter35fused_qk_rmsnorm_group_quant_kernelItDB8_Li256ELi16ELi2ELb0ELb1ELb1ELb0ELb0ELb0EEEvPT0_PvPT_S6_S6_PKS5_S8_S8_S8_S8_ffiiiiiiiiiiiii,comdat
.Lfunc_end874:
	.size	_ZN5aiter35fused_qk_rmsnorm_group_quant_kernelItDB8_Li256ELi16ELi2ELb0ELb1ELb1ELb0ELb0ELb0EEEvPT0_PvPT_S6_S6_PKS5_S8_S8_S8_S8_ffiiiiiiiiiiiii, .Lfunc_end874-_ZN5aiter35fused_qk_rmsnorm_group_quant_kernelItDB8_Li256ELi16ELi2ELb0ELb1ELb1ELb0ELb0ELb0EEEvPT0_PvPT_S6_S6_PKS5_S8_S8_S8_S8_ffiiiiiiiiiiiii
                                        ; -- End function
	.section	.AMDGPU.csdata,"",@progbits
; Kernel info:
; codeLenInByte = 3740
; NumSgprs: 40
; NumVgprs: 35
; NumAgprs: 0
; TotalNumVgprs: 35
; ScratchSize: 0
; MemoryBound: 0
; FloatMode: 240
; IeeeMode: 1
; LDSByteSize: 32 bytes/workgroup (compile time only)
; SGPRBlocks: 4
; VGPRBlocks: 4
; NumSGPRsForWavesPerEU: 40
; NumVGPRsForWavesPerEU: 35
; AccumOffset: 36
; Occupancy: 8
; WaveLimiterHint : 0
; COMPUTE_PGM_RSRC2:SCRATCH_EN: 0
; COMPUTE_PGM_RSRC2:USER_SGPR: 6
; COMPUTE_PGM_RSRC2:TRAP_HANDLER: 0
; COMPUTE_PGM_RSRC2:TGID_X_EN: 1
; COMPUTE_PGM_RSRC2:TGID_Y_EN: 1
; COMPUTE_PGM_RSRC2:TGID_Z_EN: 0
; COMPUTE_PGM_RSRC2:TIDIG_COMP_CNT: 0
; COMPUTE_PGM_RSRC3_GFX90A:ACCUM_OFFSET: 8
; COMPUTE_PGM_RSRC3_GFX90A:TG_SPLIT: 0
	.section	.text._ZN5aiter35fused_qk_rmsnorm_group_quant_kernelIDF16_N4opus5fp4_tELi256ELi16ELi2ELb0ELb1ELb1ELb0ELb0ELb0EEEvPT0_PvPT_S7_S7_PKS6_S9_S9_S9_S9_ffiiiiiiiiiiiii,"axG",@progbits,_ZN5aiter35fused_qk_rmsnorm_group_quant_kernelIDF16_N4opus5fp4_tELi256ELi16ELi2ELb0ELb1ELb1ELb0ELb0ELb0EEEvPT0_PvPT_S7_S7_PKS6_S9_S9_S9_S9_ffiiiiiiiiiiiii,comdat
	.protected	_ZN5aiter35fused_qk_rmsnorm_group_quant_kernelIDF16_N4opus5fp4_tELi256ELi16ELi2ELb0ELb1ELb1ELb0ELb0ELb0EEEvPT0_PvPT_S7_S7_PKS6_S9_S9_S9_S9_ffiiiiiiiiiiiii ; -- Begin function _ZN5aiter35fused_qk_rmsnorm_group_quant_kernelIDF16_N4opus5fp4_tELi256ELi16ELi2ELb0ELb1ELb1ELb0ELb0ELb0EEEvPT0_PvPT_S7_S7_PKS6_S9_S9_S9_S9_ffiiiiiiiiiiiii
	.globl	_ZN5aiter35fused_qk_rmsnorm_group_quant_kernelIDF16_N4opus5fp4_tELi256ELi16ELi2ELb0ELb1ELb1ELb0ELb0ELb0EEEvPT0_PvPT_S7_S7_PKS6_S9_S9_S9_S9_ffiiiiiiiiiiiii
	.p2align	8
	.type	_ZN5aiter35fused_qk_rmsnorm_group_quant_kernelIDF16_N4opus5fp4_tELi256ELi16ELi2ELb0ELb1ELb1ELb0ELb0ELb0EEEvPT0_PvPT_S7_S7_PKS6_S9_S9_S9_S9_ffiiiiiiiiiiiii,@function
_ZN5aiter35fused_qk_rmsnorm_group_quant_kernelIDF16_N4opus5fp4_tELi256ELi16ELi2ELb0ELb1ELb1ELb0ELb0ELb0EEEvPT0_PvPT_S7_S7_PKS6_S9_S9_S9_S9_ffiiiiiiiiiiiii: ; @_ZN5aiter35fused_qk_rmsnorm_group_quant_kernelIDF16_N4opus5fp4_tELi256ELi16ELi2ELb0ELb1ELb1ELb0ELb0ELb0EEEvPT0_PvPT_S7_S7_PKS6_S9_S9_S9_S9_ffiiiiiiiiiiiii
; %bb.0:
	s_load_dwordx4 s[16:19], s[4:5], 0x50
	s_waitcnt lgkmcnt(0)
	s_cmp_ge_i32 s6, s18
	s_cbranch_scc1 .LBB875_12
; %bb.1:
	s_load_dwordx2 s[12:13], s[4:5], 0x48
	s_load_dwordx2 s[30:31], s[4:5], 0x30
	s_load_dwordx4 s[20:23], s[4:5], 0x60
	s_cmp_lg_u32 s7, 0
	s_cselect_b64 s[14:15], -1, 0
	s_cmp_eq_u32 s7, 0
	s_cselect_b64 vcc, -1, 0
	s_and_b64 s[0:1], vcc, exec
	s_waitcnt lgkmcnt(0)
	s_cselect_b32 s7, s19, s20
	s_add_i32 s0, s7, 1
	s_lshr_b32 s1, s0, 31
	s_add_i32 s0, s0, s1
	s_lshl_b32 s0, s0, 1
	v_lshlrev_b32_e32 v1, 4, v0
	s_and_b32 s10, s0, -4
	v_cmp_gt_i32_e64 s[2:3], s7, v1
	v_mov_b32_e32 v18, 0
	v_mov_b32_e32 v6, 0
	;; [unrolled: 1-line block ×17, first 2 shown]
	s_and_saveexec_b64 s[0:1], s[2:3]
	s_cbranch_execz .LBB875_3
; %bb.2:
	s_load_dwordx2 s[8:9], s[4:5], 0x28
	s_load_dwordx2 s[26:27], s[4:5], 0x40
	s_and_b64 s[24:25], vcc, exec
	s_cselect_b32 s11, s21, s22
	v_lshlrev_b32_e32 v19, 5, v0
	s_waitcnt lgkmcnt(0)
	s_cselect_b32 s18, s9, s31
	s_cselect_b32 s21, s8, s30
	s_mul_hi_i32 s9, s11, s6
	s_mul_i32 s8, s11, s6
	s_lshl_b64 s[8:9], s[8:9], 1
	s_add_u32 s24, s21, s8
	s_addc_u32 s18, s18, s9
	s_and_b64 s[8:9], vcc, exec
	s_mov_b32 s11, 0x20000
	s_cselect_b32 s8, s26, s12
	s_cselect_b32 s9, s27, s13
	s_and_b32 s25, s18, 0xffff
	s_mov_b32 s26, s10
	s_mov_b32 s27, s11
	s_and_b32 s9, s9, 0xffff
	buffer_load_dwordx4 v[14:17], v19, s[24:27], 0 offen
	buffer_load_dwordx4 v[10:13], v19, s[24:27], 16 offen
	;; [unrolled: 1-line block ×4, first 2 shown]
.LBB875_3:
	s_or_b64 exec, exec, s[0:1]
	v_mov_b32_e32 v19, 0
	v_mov_b32_e32 v22, 0
	;; [unrolled: 1-line block ×15, first 2 shown]
	s_and_saveexec_b64 s[0:1], s[2:3]
	s_cbranch_execz .LBB875_5
; %bb.4:
	s_waitcnt vmcnt(3)
	v_cvt_f32_f16_sdwa v19, v14 dst_sel:DWORD dst_unused:UNUSED_PAD src0_sel:WORD_1
	v_cvt_f32_f16_e32 v18, v14
	v_cvt_f32_f16_sdwa v23, v15 dst_sel:DWORD dst_unused:UNUSED_PAD src0_sel:WORD_1
	v_cvt_f32_f16_e32 v22, v15
	;; [unrolled: 2-line block ×4, first 2 shown]
	s_waitcnt vmcnt(2)
	v_cvt_f32_f16_sdwa v27, v10 dst_sel:DWORD dst_unused:UNUSED_PAD src0_sel:WORD_1
	v_cvt_f32_f16_e32 v26, v10
	v_cvt_f32_f16_sdwa v33, v11 dst_sel:DWORD dst_unused:UNUSED_PAD src0_sel:WORD_1
	v_cvt_f32_f16_e32 v32, v11
	;; [unrolled: 2-line block ×4, first 2 shown]
.LBB875_5:
	s_or_b64 exec, exec, s[0:1]
	s_waitcnt vmcnt(2)
	v_mul_f32_e32 v10, v19, v19
	v_fmac_f32_e32 v10, v18, v18
	v_fmac_f32_e32 v10, v22, v22
	;; [unrolled: 1-line block ×15, first 2 shown]
	v_and_b32_e32 v12, 63, v0
	v_cmp_eq_u32_e64 s[0:1], 63, v12
	v_mov_b32_dpp v11, v10 quad_perm:[1,0,3,2] row_mask:0xf bank_mask:0xf
	v_add_f32_e32 v10, v10, v11
	s_nop 1
	v_mov_b32_dpp v11, v10 quad_perm:[2,3,0,1] row_mask:0xf bank_mask:0xf
	v_add_f32_e32 v10, v10, v11
	s_nop 1
	v_mov_b32_dpp v11, v10 row_half_mirror row_mask:0xf bank_mask:0xf
	v_add_f32_e32 v10, v10, v11
	s_nop 1
	v_mov_b32_dpp v11, v10 row_mirror row_mask:0xf bank_mask:0xf
	v_add_f32_e32 v10, v10, v11
	s_nop 1
	v_mov_b32_dpp v11, v10 row_bcast:15 row_mask:0xf bank_mask:0xf
	v_add_f32_e32 v10, v10, v11
	s_nop 1
	v_mov_b32_dpp v11, v10 row_bcast:31 row_mask:0xf bank_mask:0xf
	s_and_saveexec_b64 s[8:9], s[0:1]
	s_cbranch_execz .LBB875_7
; %bb.6:
	v_add_f32_e32 v10, v10, v11
	v_lshrrev_b32_e32 v11, 4, v0
	v_and_b32_e32 v11, 60, v11
	ds_write_b32 v11, v10 offset:16
.LBB875_7:
	s_or_b64 exec, exec, s[8:9]
	v_and_b32_e32 v10, 3, v0
	v_lshlrev_b32_e32 v34, 2, v10
	s_waitcnt lgkmcnt(0)
	s_barrier
	ds_read_b32 v10, v34 offset:16
	s_load_dwordx2 s[28:29], s[4:5], 0x18
	s_waitcnt lgkmcnt(0)
	v_mov_b32_dpp v11, v10 quad_perm:[1,0,3,2] row_mask:0xf bank_mask:0xf
	v_add_f32_e32 v10, v10, v11
	s_nop 1
	v_mov_b32_dpp v11, v10 quad_perm:[2,3,0,1] row_mask:0xf bank_mask:0xf
	s_and_saveexec_b64 s[8:9], s[2:3]
	s_cbranch_execz .LBB875_9
; %bb.8:
	v_cvt_f32_u32_e32 v12, s7
	v_add_f32_e32 v10, v10, v11
	v_mov_b32_e32 v14, s17
	v_mov_b32_e32 v15, s16
	v_div_scale_f32 v11, s[24:25], v12, v12, v10
	v_rcp_f32_e32 v13, v11
	v_cndmask_b32_e32 v14, v14, v15, vcc
	s_mov_b32 s7, 0x800000
	v_fma_f32 v15, -v11, v13, 1.0
	v_fmac_f32_e32 v13, v15, v13
	v_div_scale_f32 v15, vcc, v10, v12, v10
	v_mul_f32_e32 v16, v15, v13
	v_fma_f32 v17, -v11, v16, v15
	v_fmac_f32_e32 v16, v17, v13
	v_fma_f32 v11, -v11, v16, v15
	v_div_fmas_f32 v11, v11, v13, v16
	v_div_fixup_f32 v10, v11, v12, v10
	v_add_f32_e32 v10, v14, v10
	v_mul_f32_e32 v11, 0x4b800000, v10
	v_cmp_gt_f32_e32 vcc, s7, v10
	v_cndmask_b32_e32 v10, v10, v11, vcc
	v_rsq_f32_e32 v10, v10
	v_mul_f32_e32 v11, 0x45800000, v10
	v_cndmask_b32_e32 v10, v10, v11, vcc
	v_mov_b32_e32 v11, v10
	;;#ASMSTART
	v_pk_mul_f32 v[12:13], v[18:19], v[10:11]
	;;#ASMEND
	s_waitcnt vmcnt(1)
	v_cvt_f32_f16_sdwa v19, v6 dst_sel:DWORD dst_unused:UNUSED_PAD src0_sel:WORD_1
	v_cvt_f32_f16_e32 v18, v6
	;;#ASMSTART
	v_pk_mul_f32 v[14:15], v[22:23], v[10:11]
	;;#ASMEND
	;;#ASMSTART
	v_pk_mul_f32 v[16:17], v[20:21], v[10:11]
	;;#ASMEND
	v_cvt_f32_f16_sdwa v21, v7 dst_sel:DWORD dst_unused:UNUSED_PAD src0_sel:WORD_1
	v_cvt_f32_f16_e32 v20, v7
	;;#ASMSTART
	v_pk_mul_f32 v[28:29], v[28:29], v[10:11]
	;;#ASMEND
	;;#ASMSTART
	v_pk_mul_f32 v[26:27], v[26:27], v[10:11]
	;;#ASMEND
	;;#ASMSTART
	v_pk_mul_f32 v[32:33], v[32:33], v[10:11]
	;;#ASMEND
	;;#ASMSTART
	v_pk_mul_f32 v[30:31], v[30:31], v[10:11]
	;;#ASMEND
	;;#ASMSTART
	v_pk_mul_f32 v[6:7], v[24:25], v[10:11]
	;;#ASMEND
	v_pk_add_f32 v[10:11], v[18:19], 1.0 op_sel_hi:[1,0]
	;;#ASMSTART
	v_pk_mul_f32 v[18:19], v[12:13], v[10:11]
	;;#ASMEND
	v_cvt_f32_f16_sdwa v13, v8 dst_sel:DWORD dst_unused:UNUSED_PAD src0_sel:WORD_1
	v_cvt_f32_f16_e32 v12, v8
	v_cvt_f32_f16_sdwa v25, v9 dst_sel:DWORD dst_unused:UNUSED_PAD src0_sel:WORD_1
	v_cvt_f32_f16_e32 v24, v9
	v_pk_add_f32 v[10:11], v[20:21], 1.0 op_sel_hi:[1,0]
	;;#ASMSTART
	v_pk_mul_f32 v[22:23], v[14:15], v[10:11]
	;;#ASMEND
	s_waitcnt vmcnt(0)
	v_cvt_f32_f16_sdwa v11, v2 dst_sel:DWORD dst_unused:UNUSED_PAD src0_sel:WORD_1
	v_cvt_f32_f16_e32 v10, v2
	v_pk_add_f32 v[8:9], v[12:13], 1.0 op_sel_hi:[1,0]
	;;#ASMSTART
	v_pk_mul_f32 v[20:21], v[16:17], v[8:9]
	;;#ASMEND
	v_pk_add_f32 v[8:9], v[24:25], 1.0 op_sel_hi:[1,0]
	v_cvt_f32_f16_sdwa v13, v3 dst_sel:DWORD dst_unused:UNUSED_PAD src0_sel:WORD_1
	v_cvt_f32_f16_e32 v12, v3
	;;#ASMSTART
	v_pk_mul_f32 v[28:29], v[28:29], v[8:9]
	;;#ASMEND
	v_cvt_f32_f16_sdwa v9, v4 dst_sel:DWORD dst_unused:UNUSED_PAD src0_sel:WORD_1
	v_cvt_f32_f16_e32 v8, v4
	v_pk_add_f32 v[2:3], v[10:11], 1.0 op_sel_hi:[1,0]
	v_cvt_f32_f16_sdwa v11, v5 dst_sel:DWORD dst_unused:UNUSED_PAD src0_sel:WORD_1
	v_cvt_f32_f16_e32 v10, v5
	;;#ASMSTART
	v_pk_mul_f32 v[26:27], v[26:27], v[2:3]
	;;#ASMEND
	v_pk_add_f32 v[2:3], v[12:13], 1.0 op_sel_hi:[1,0]
	;;#ASMSTART
	v_pk_mul_f32 v[32:33], v[32:33], v[2:3]
	;;#ASMEND
	v_pk_add_f32 v[2:3], v[8:9], 1.0 op_sel_hi:[1,0]
	;; [unrolled: 4-line block ×3, first 2 shown]
	;;#ASMSTART
	v_pk_mul_f32 v[24:25], v[6:7], v[2:3]
	;;#ASMEND
.LBB875_9:
	s_or_b64 exec, exec, s[8:9]
	s_load_dword s7, s[4:5], 0x80
	s_mov_b64 s[8:9], -1
	s_and_b64 vcc, exec, s[14:15]
	s_cbranch_vccnz .LBB875_13
; %bb.10:
	s_andn2_b64 vcc, exec, s[8:9]
	s_cbranch_vccz .LBB875_16
.LBB875_11:
	s_cmp_lt_i32 s20, 1
	s_cbranch_scc0 .LBB875_25
.LBB875_12:
	s_endpgm
.LBB875_13:
	s_and_saveexec_b64 s[14:15], s[2:3]
	s_cbranch_execz .LBB875_15
; %bb.14:
	s_waitcnt lgkmcnt(0)
	s_mul_hi_i32 s9, s7, s6
	s_mul_i32 s8, s7, s6
	s_waitcnt vmcnt(0)
	v_cvt_f16_f32_e32 v2, v18
	v_cvt_f16_f32_e32 v3, v22
	;; [unrolled: 1-line block ×8, first 2 shown]
	s_lshl_b64 s[8:9], s[8:9], 1
	s_add_u32 s8, s28, s8
	s_addc_u32 s9, s29, s9
	s_and_b32 s9, s9, 0xffff
	s_mov_b32 s11, 0x20000
	v_pack_b32_f16 v5, v5, v6
	v_pack_b32_f16 v4, v4, v7
	;; [unrolled: 1-line block ×4, first 2 shown]
	v_lshlrev_b32_e32 v6, 5, v0
	buffer_store_dwordx4 v[2:5], v6, s[8:11], 0 offen
	v_cvt_f16_f32_e32 v7, v25
	v_cvt_f16_f32_e32 v2, v26
	;; [unrolled: 1-line block ×8, first 2 shown]
	v_pack_b32_f16 v5, v5, v7
	v_pack_b32_f16 v4, v4, v8
	;; [unrolled: 1-line block ×4, first 2 shown]
	;;#ASMSTART
	s_nop 0
	;;#ASMEND
	buffer_store_dwordx4 v[2:5], v6, s[8:11], 16 offen
	;;#ASMSTART
	s_nop 0
	;;#ASMEND
.LBB875_15:
	s_or_b64 exec, exec, s[14:15]
	s_cbranch_execnz .LBB875_11
.LBB875_16:
	s_load_dwordx4 s[24:27], s[4:5], 0x70
	s_waitcnt vmcnt(0)
	v_mov_b32_e32 v2, 0
	s_and_saveexec_b64 s[14:15], s[2:3]
	s_cbranch_execz .LBB875_18
; %bb.17:
	s_load_dwordx2 s[8:9], s[4:5], 0x10
	s_waitcnt lgkmcnt(0)
	s_mul_hi_i32 s35, s27, s6
	s_mul_i32 s34, s27, s6
	v_cvt_f16_f32_e32 v2, v18
	v_cvt_f16_f32_e32 v3, v22
	;; [unrolled: 1-line block ×8, first 2 shown]
	s_lshl_b64 s[34:35], s[34:35], 1
	s_add_u32 s8, s8, s34
	s_addc_u32 s9, s9, s35
	s_mov_b32 s11, 0x20000
	s_and_b32 s9, s9, 0xffff
	v_pack_b32_f16 v5, v5, v6
	v_pack_b32_f16 v4, v4, v7
	;; [unrolled: 1-line block ×4, first 2 shown]
	v_lshlrev_b32_e32 v6, 5, v0
	buffer_store_dwordx4 v[2:5], v6, s[8:11], 0 offen
	v_cvt_f16_f32_e32 v7, v25
	v_cvt_f16_f32_e32 v2, v26
	;; [unrolled: 1-line block ×8, first 2 shown]
	v_pack_b32_f16 v5, v5, v7
	v_pack_b32_f16 v4, v4, v8
	;; [unrolled: 1-line block ×4, first 2 shown]
	;;#ASMSTART
	s_nop 0
	;;#ASMEND
	buffer_store_dwordx4 v[2:5], v6, s[8:11], 16 offen
	;;#ASMSTART
	s_nop 0
	;;#ASMEND
	s_nop 0
	v_mov_b32_e32 v2, 0x2edbe6ff
.LBB875_18:
	s_or_b64 exec, exec, s[14:15]
	s_and_saveexec_b64 s[8:9], s[2:3]
	s_cbranch_execz .LBB875_20
; %bb.19:
	v_and_b32_e32 v3, 0x7fffffff, v18
	v_and_b32_e32 v4, 0x7fffffff, v19
	;;#ASMSTART
	v_max3_f32 v2, v2, v3, v4

	;;#ASMEND
	v_and_b32_e32 v3, 0x7fffffff, v22
	v_and_b32_e32 v4, 0x7fffffff, v23
	;;#ASMSTART
	v_max3_f32 v2, v2, v3, v4

	;;#ASMEND
	;; [unrolled: 6-line block ×8, first 2 shown]
.LBB875_20:
	s_or_b64 exec, exec, s[8:9]
	;;#ASMSTART
	v_max_f32 v3, v2, v2 quad_perm:[1,0,3,2] row_mask:0xf bank_mask:0xf bound_ctrl:1
	;;#ASMEND
	v_and_b32_e32 v2, 1, v0
	v_cmp_eq_u32_e32 vcc, 0, v2
	v_cmp_gt_i32_e64 s[8:9], s19, v1
	s_and_b64 s[10:11], vcc, s[8:9]
	s_and_saveexec_b64 s[8:9], s[10:11]
	s_cbranch_execz .LBB875_22
; %bb.21:
	s_load_dwordx2 s[10:11], s[4:5], 0x8
	v_mul_f32_e32 v2, 0x3e2aaaab, v3
	v_lshrrev_b32_e32 v3, 23, v2
	v_and_b32_e32 v4, 0x7f800000, v2
	v_and_b32_e32 v2, 0x7fffff, v2
	v_cmp_ne_u32_e32 vcc, 0, v2
	s_waitcnt lgkmcnt(0)
	s_mul_i32 s16, s25, s6
	s_mov_b32 s14, 0x7f800000
	v_addc_co_u32_e32 v2, vcc, 0, v3, vcc
	s_mul_hi_i32 s15, s25, s6
	s_add_u32 s10, s10, s16
	v_cmp_ne_u32_e32 vcc, s14, v4
	s_addc_u32 s11, s11, s15
	v_lshrrev_b32_e32 v5, 1, v0
	v_cndmask_b32_e32 v4, -1, v2, vcc
	v_pk_mov_b32 v[2:3], s[10:11], s[10:11] op_sel:[0,1]
	v_mad_i64_i32 v[2:3], s[10:11], s26, v5, v[2:3]
	global_store_byte v[2:3], v4, off
.LBB875_22:
	s_or_b64 exec, exec, s[8:9]
	s_and_saveexec_b64 s[8:9], s[2:3]
	s_cbranch_execz .LBB875_24
; %bb.23:
	s_load_dwordx2 s[2:3], s[4:5], 0x0
	s_waitcnt lgkmcnt(0)
	s_mul_i32 s11, s24, s6
	s_mul_hi_i32 s10, s24, s6
	v_mov_b32_e32 v2, 0
	v_lshlrev_b32_e32 v4, 3, v0
	s_add_u32 s24, s2, s11
	s_addc_u32 s2, s3, s10
	s_lshr_b32 s3, s19, 31
	s_add_i32 s3, s19, s3
	s_ashr_i32 s3, s3, 1
	s_add_i32 s3, s3, 3
	s_ashr_i32 s10, s3, 31
	s_lshr_b32 s10, s10, 30
	s_add_i32 s3, s3, s10
	s_and_b32 s26, s3, -4
	s_and_b32 s25, s2, 0xffff
	s_mov_b32 s27, 0x20000
	v_mov_b32_e32 v3, v2
	buffer_store_dwordx2 v[2:3], v4, s[24:27], 0 offen
	;;#ASMSTART
	s_nop 0
	;;#ASMEND
.LBB875_24:
	s_or_b64 exec, exec, s[8:9]
	s_cmp_lt_i32 s20, 1
	s_cbranch_scc1 .LBB875_12
.LBB875_25:
	s_load_dword s2, s[4:5], 0x94
	s_waitcnt lgkmcnt(0)
	s_cmp_lg_u32 s2, 1
	s_cbranch_scc1 .LBB875_12
; %bb.26:
	s_lshl_b32 s2, s20, 1
	s_add_i32 s2, s2, 2
	v_cmp_gt_u32_e32 vcc, s20, v1
	s_and_b32 s14, s2, -4
	v_mov_b32_e32 v18, 0
	v_lshlrev_b32_e32 v1, 5, v0
	v_mov_b32_e32 v14, 0
	v_mov_b32_e32 v15, 0
	;; [unrolled: 1-line block ×8, first 2 shown]
	s_waitcnt vmcnt(1)
	v_mov_b32_e32 v6, 0
	v_mov_b32_e32 v7, 0
	;; [unrolled: 1-line block ×4, first 2 shown]
	s_waitcnt vmcnt(0)
	v_mov_b32_e32 v2, 0
	v_mov_b32_e32 v3, 0
	;; [unrolled: 1-line block ×4, first 2 shown]
	s_barrier
	s_and_saveexec_b64 s[2:3], vcc
	s_cbranch_execz .LBB875_28
; %bb.27:
	s_mul_hi_i32 s5, s22, s6
	s_mul_i32 s4, s22, s6
	s_and_b32 s13, s13, 0xffff
	s_lshl_b64 s[4:5], s[4:5], 1
	s_add_u32 s8, s30, s4
	s_mov_b32 s15, 0x20000
	s_addc_u32 s4, s31, s5
	s_and_b32 s9, s4, 0xffff
	s_mov_b32 s10, s14
	s_mov_b32 s11, s15
	buffer_load_dwordx4 v[14:17], v1, s[8:11], 0 offen
	buffer_load_dwordx4 v[10:13], v1, s[8:11], 16 offen
	;; [unrolled: 1-line block ×4, first 2 shown]
.LBB875_28:
	s_or_b64 exec, exec, s[2:3]
	v_mov_b32_e32 v19, 0
	v_mov_b32_e32 v32, 0
	;; [unrolled: 1-line block ×15, first 2 shown]
	s_and_saveexec_b64 s[2:3], vcc
	s_cbranch_execz .LBB875_30
; %bb.29:
	s_waitcnt vmcnt(3)
	v_cvt_f32_f16_sdwa v19, v14 dst_sel:DWORD dst_unused:UNUSED_PAD src0_sel:WORD_1
	v_cvt_f32_f16_e32 v18, v14
	v_cvt_f32_f16_sdwa v33, v15 dst_sel:DWORD dst_unused:UNUSED_PAD src0_sel:WORD_1
	v_cvt_f32_f16_e32 v32, v15
	;; [unrolled: 2-line block ×4, first 2 shown]
	s_waitcnt vmcnt(2)
	v_cvt_f32_f16_sdwa v27, v10 dst_sel:DWORD dst_unused:UNUSED_PAD src0_sel:WORD_1
	v_cvt_f32_f16_e32 v26, v10
	v_cvt_f32_f16_sdwa v25, v11 dst_sel:DWORD dst_unused:UNUSED_PAD src0_sel:WORD_1
	v_cvt_f32_f16_e32 v24, v11
	;; [unrolled: 2-line block ×4, first 2 shown]
.LBB875_30:
	s_or_b64 exec, exec, s[2:3]
	s_waitcnt vmcnt(2)
	v_mul_f32_e32 v10, v19, v19
	v_fmac_f32_e32 v10, v18, v18
	v_fmac_f32_e32 v10, v32, v32
	;; [unrolled: 1-line block ×15, first 2 shown]
	s_nop 1
	v_mov_b32_dpp v11, v10 quad_perm:[1,0,3,2] row_mask:0xf bank_mask:0xf
	v_add_f32_e32 v10, v10, v11
	s_nop 1
	v_mov_b32_dpp v11, v10 quad_perm:[2,3,0,1] row_mask:0xf bank_mask:0xf
	v_add_f32_e32 v10, v10, v11
	s_nop 1
	v_mov_b32_dpp v11, v10 row_half_mirror row_mask:0xf bank_mask:0xf
	v_add_f32_e32 v10, v10, v11
	s_nop 1
	v_mov_b32_dpp v11, v10 row_mirror row_mask:0xf bank_mask:0xf
	v_add_f32_e32 v10, v10, v11
	s_nop 1
	v_mov_b32_dpp v11, v10 row_bcast:15 row_mask:0xf bank_mask:0xf
	v_add_f32_e32 v10, v10, v11
	s_nop 1
	v_mov_b32_dpp v11, v10 row_bcast:31 row_mask:0xf bank_mask:0xf
	s_and_saveexec_b64 s[2:3], s[0:1]
	s_cbranch_execz .LBB875_32
; %bb.31:
	v_lshrrev_b32_e32 v0, 4, v0
	v_add_f32_e32 v10, v10, v11
	v_and_b32_e32 v0, 60, v0
	ds_write_b32 v0, v10
.LBB875_32:
	s_or_b64 exec, exec, s[2:3]
	s_waitcnt lgkmcnt(0)
	s_barrier
	ds_read_b32 v0, v34
	s_waitcnt lgkmcnt(0)
	s_nop 0
	v_mov_b32_dpp v10, v0 quad_perm:[1,0,3,2] row_mask:0xf bank_mask:0xf
	v_add_f32_e32 v0, v0, v10
	s_nop 1
	v_mov_b32_dpp v10, v0 quad_perm:[2,3,0,1] row_mask:0xf bank_mask:0xf
	s_and_saveexec_b64 s[0:1], vcc
	s_cbranch_execz .LBB875_12
; %bb.33:
	v_cvt_f32_u32_e32 v11, s20
	v_add_f32_e32 v0, v0, v10
	s_mov_b32 s15, 0x20000
	v_div_scale_f32 v10, s[0:1], v11, v11, v0
	v_rcp_f32_e32 v12, v10
	v_div_scale_f32 v13, vcc, v0, v11, v0
	s_mov_b32 s0, 0x800000
	v_fma_f32 v14, -v10, v12, 1.0
	v_fmac_f32_e32 v12, v14, v12
	v_mul_f32_e32 v14, v13, v12
	v_fma_f32 v15, -v10, v14, v13
	v_fmac_f32_e32 v14, v15, v12
	v_fma_f32 v10, -v10, v14, v13
	v_div_fmas_f32 v10, v10, v12, v14
	v_div_fixup_f32 v0, v10, v11, v0
	v_add_f32_e32 v0, s17, v0
	v_mul_f32_e32 v10, 0x4b800000, v0
	v_cmp_gt_f32_e32 vcc, s0, v0
	v_cndmask_b32_e32 v0, v0, v10, vcc
	v_rsq_f32_e32 v0, v0
	s_mul_hi_i32 s1, s7, s6
	s_mul_i32 s0, s7, s6
	s_lshl_b64 s[0:1], s[0:1], 1
	v_mul_f32_e32 v10, 0x45800000, v0
	v_cndmask_b32_e32 v10, v0, v10, vcc
	v_mov_b32_e32 v11, v10
	;;#ASMSTART
	v_pk_mul_f32 v[12:13], v[18:19], v[10:11]
	;;#ASMEND
	;;#ASMSTART
	v_pk_mul_f32 v[14:15], v[32:33], v[10:11]
	;;#ASMEND
	;; [unrolled: 3-line block ×4, first 2 shown]
	s_waitcnt vmcnt(1)
	v_cvt_f32_f16_sdwa v29, v6 dst_sel:DWORD dst_unused:UNUSED_PAD src0_sel:WORD_1
	v_cvt_f32_f16_e32 v28, v6
	v_cvt_f32_f16_sdwa v31, v7 dst_sel:DWORD dst_unused:UNUSED_PAD src0_sel:WORD_1
	v_cvt_f32_f16_e32 v30, v7
	;;#ASMSTART
	v_pk_mul_f32 v[26:27], v[26:27], v[10:11]
	;;#ASMEND
	;;#ASMSTART
	v_pk_mul_f32 v[24:25], v[24:25], v[10:11]
	;;#ASMEND
	;; [unrolled: 3-line block ×4, first 2 shown]
	v_cvt_f32_f16_sdwa v21, v8 dst_sel:DWORD dst_unused:UNUSED_PAD src0_sel:WORD_1
	v_cvt_f32_f16_e32 v20, v8
	v_pk_add_f32 v[10:11], v[28:29], 1.0 op_sel_hi:[1,0]
	;;#ASMSTART
	v_pk_mul_f32 v[10:11], v[12:13], v[10:11]
	;;#ASMEND
	v_pk_add_f32 v[12:13], v[30:31], 1.0 op_sel_hi:[1,0]
	v_cvt_f32_f16_sdwa v29, v9 dst_sel:DWORD dst_unused:UNUSED_PAD src0_sel:WORD_1
	v_cvt_f32_f16_e32 v28, v9
	;;#ASMSTART
	v_pk_mul_f32 v[8:9], v[14:15], v[12:13]
	;;#ASMEND
	v_pk_add_f32 v[12:13], v[20:21], 1.0 op_sel_hi:[1,0]
	;;#ASMSTART
	v_pk_mul_f32 v[12:13], v[16:17], v[12:13]
	;;#ASMEND
	s_waitcnt vmcnt(0)
	v_cvt_f32_f16_sdwa v17, v2 dst_sel:DWORD dst_unused:UNUSED_PAD src0_sel:WORD_1
	v_cvt_f32_f16_e32 v16, v2
	v_cvt_f32_f16_sdwa v21, v3 dst_sel:DWORD dst_unused:UNUSED_PAD src0_sel:WORD_1
	v_cvt_f32_f16_e32 v20, v3
	v_pk_add_f32 v[14:15], v[28:29], 1.0 op_sel_hi:[1,0]
	;;#ASMSTART
	v_pk_mul_f32 v[2:3], v[18:19], v[14:15]
	;;#ASMEND
	v_cvt_f32_f16_sdwa v19, v4 dst_sel:DWORD dst_unused:UNUSED_PAD src0_sel:WORD_1
	v_cvt_f32_f16_e32 v18, v4
	v_pk_add_f32 v[14:15], v[16:17], 1.0 op_sel_hi:[1,0]
	v_pk_add_f32 v[16:17], v[20:21], 1.0 op_sel_hi:[1,0]
	v_cvt_f32_f16_sdwa v21, v5 dst_sel:DWORD dst_unused:UNUSED_PAD src0_sel:WORD_1
	v_cvt_f32_f16_e32 v20, v5
	v_pk_add_f32 v[4:5], v[18:19], 1.0 op_sel_hi:[1,0]
	;;#ASMSTART
	v_pk_mul_f32 v[14:15], v[26:27], v[14:15]
	;;#ASMEND
	;;#ASMSTART
	v_pk_mul_f32 v[16:17], v[24:25], v[16:17]
	;;#ASMEND
	;; [unrolled: 3-line block ×3, first 2 shown]
	v_pk_add_f32 v[4:5], v[20:21], 1.0 op_sel_hi:[1,0]
	;;#ASMSTART
	v_pk_mul_f32 v[6:7], v[6:7], v[4:5]
	;;#ASMEND
	v_cvt_f16_f32_e32 v0, v10
	v_cvt_f16_f32_e32 v4, v11
	;; [unrolled: 1-line block ×8, first 2 shown]
	s_add_u32 s12, s28, s0
	s_addc_u32 s0, s29, s1
	s_and_b32 s13, s0, 0xffff
	v_pack_b32_f16 v2, v0, v4
	v_pack_b32_f16 v3, v5, v8
	;; [unrolled: 1-line block ×4, first 2 shown]
	buffer_store_dwordx4 v[2:5], v1, s[12:15], 0 offen
	v_cvt_f16_f32_e32 v0, v14
	v_cvt_f16_f32_e32 v2, v15
	;; [unrolled: 1-line block ×8, first 2 shown]
	v_pack_b32_f16 v2, v0, v2
	v_pack_b32_f16 v3, v3, v4
	;; [unrolled: 1-line block ×4, first 2 shown]
	;;#ASMSTART
	s_nop 0
	;;#ASMEND
	buffer_store_dwordx4 v[2:5], v1, s[12:15], 16 offen
	;;#ASMSTART
	s_nop 0
	;;#ASMEND
	s_endpgm
	.section	.rodata,"a",@progbits
	.p2align	6, 0x0
	.amdhsa_kernel _ZN5aiter35fused_qk_rmsnorm_group_quant_kernelIDF16_N4opus5fp4_tELi256ELi16ELi2ELb0ELb1ELb1ELb0ELb0ELb0EEEvPT0_PvPT_S7_S7_PKS6_S9_S9_S9_S9_ffiiiiiiiiiiiii
		.amdhsa_group_segment_fixed_size 32
		.amdhsa_private_segment_fixed_size 0
		.amdhsa_kernarg_size 400
		.amdhsa_user_sgpr_count 6
		.amdhsa_user_sgpr_private_segment_buffer 1
		.amdhsa_user_sgpr_dispatch_ptr 0
		.amdhsa_user_sgpr_queue_ptr 0
		.amdhsa_user_sgpr_kernarg_segment_ptr 1
		.amdhsa_user_sgpr_dispatch_id 0
		.amdhsa_user_sgpr_flat_scratch_init 0
		.amdhsa_user_sgpr_kernarg_preload_length 0
		.amdhsa_user_sgpr_kernarg_preload_offset 0
		.amdhsa_user_sgpr_private_segment_size 0
		.amdhsa_uses_dynamic_stack 0
		.amdhsa_system_sgpr_private_segment_wavefront_offset 0
		.amdhsa_system_sgpr_workgroup_id_x 1
		.amdhsa_system_sgpr_workgroup_id_y 1
		.amdhsa_system_sgpr_workgroup_id_z 0
		.amdhsa_system_sgpr_workgroup_info 0
		.amdhsa_system_vgpr_workitem_id 0
		.amdhsa_next_free_vgpr 35
		.amdhsa_next_free_sgpr 36
		.amdhsa_accum_offset 36
		.amdhsa_reserve_vcc 1
		.amdhsa_reserve_flat_scratch 0
		.amdhsa_float_round_mode_32 0
		.amdhsa_float_round_mode_16_64 0
		.amdhsa_float_denorm_mode_32 3
		.amdhsa_float_denorm_mode_16_64 3
		.amdhsa_dx10_clamp 1
		.amdhsa_ieee_mode 1
		.amdhsa_fp16_overflow 0
		.amdhsa_tg_split 0
		.amdhsa_exception_fp_ieee_invalid_op 0
		.amdhsa_exception_fp_denorm_src 0
		.amdhsa_exception_fp_ieee_div_zero 0
		.amdhsa_exception_fp_ieee_overflow 0
		.amdhsa_exception_fp_ieee_underflow 0
		.amdhsa_exception_fp_ieee_inexact 0
		.amdhsa_exception_int_div_zero 0
	.end_amdhsa_kernel
	.section	.text._ZN5aiter35fused_qk_rmsnorm_group_quant_kernelIDF16_N4opus5fp4_tELi256ELi16ELi2ELb0ELb1ELb1ELb0ELb0ELb0EEEvPT0_PvPT_S7_S7_PKS6_S9_S9_S9_S9_ffiiiiiiiiiiiii,"axG",@progbits,_ZN5aiter35fused_qk_rmsnorm_group_quant_kernelIDF16_N4opus5fp4_tELi256ELi16ELi2ELb0ELb1ELb1ELb0ELb0ELb0EEEvPT0_PvPT_S7_S7_PKS6_S9_S9_S9_S9_ffiiiiiiiiiiiii,comdat
.Lfunc_end875:
	.size	_ZN5aiter35fused_qk_rmsnorm_group_quant_kernelIDF16_N4opus5fp4_tELi256ELi16ELi2ELb0ELb1ELb1ELb0ELb0ELb0EEEvPT0_PvPT_S7_S7_PKS6_S9_S9_S9_S9_ffiiiiiiiiiiiii, .Lfunc_end875-_ZN5aiter35fused_qk_rmsnorm_group_quant_kernelIDF16_N4opus5fp4_tELi256ELi16ELi2ELb0ELb1ELb1ELb0ELb0ELb0EEEvPT0_PvPT_S7_S7_PKS6_S9_S9_S9_S9_ffiiiiiiiiiiiii
                                        ; -- End function
	.section	.AMDGPU.csdata,"",@progbits
; Kernel info:
; codeLenInByte = 3460
; NumSgprs: 40
; NumVgprs: 35
; NumAgprs: 0
; TotalNumVgprs: 35
; ScratchSize: 0
; MemoryBound: 0
; FloatMode: 240
; IeeeMode: 1
; LDSByteSize: 32 bytes/workgroup (compile time only)
; SGPRBlocks: 4
; VGPRBlocks: 4
; NumSGPRsForWavesPerEU: 40
; NumVGPRsForWavesPerEU: 35
; AccumOffset: 36
; Occupancy: 8
; WaveLimiterHint : 0
; COMPUTE_PGM_RSRC2:SCRATCH_EN: 0
; COMPUTE_PGM_RSRC2:USER_SGPR: 6
; COMPUTE_PGM_RSRC2:TRAP_HANDLER: 0
; COMPUTE_PGM_RSRC2:TGID_X_EN: 1
; COMPUTE_PGM_RSRC2:TGID_Y_EN: 1
; COMPUTE_PGM_RSRC2:TGID_Z_EN: 0
; COMPUTE_PGM_RSRC2:TIDIG_COMP_CNT: 0
; COMPUTE_PGM_RSRC3_GFX90A:ACCUM_OFFSET: 8
; COMPUTE_PGM_RSRC3_GFX90A:TG_SPLIT: 0
	.section	.text._ZN5aiter35fused_qk_rmsnorm_group_quant_kernelItN4opus5fp4_tELi256ELi16ELi2ELb0ELb1ELb1ELb0ELb0ELb0EEEvPT0_PvPT_S7_S7_PKS6_S9_S9_S9_S9_ffiiiiiiiiiiiii,"axG",@progbits,_ZN5aiter35fused_qk_rmsnorm_group_quant_kernelItN4opus5fp4_tELi256ELi16ELi2ELb0ELb1ELb1ELb0ELb0ELb0EEEvPT0_PvPT_S7_S7_PKS6_S9_S9_S9_S9_ffiiiiiiiiiiiii,comdat
	.protected	_ZN5aiter35fused_qk_rmsnorm_group_quant_kernelItN4opus5fp4_tELi256ELi16ELi2ELb0ELb1ELb1ELb0ELb0ELb0EEEvPT0_PvPT_S7_S7_PKS6_S9_S9_S9_S9_ffiiiiiiiiiiiii ; -- Begin function _ZN5aiter35fused_qk_rmsnorm_group_quant_kernelItN4opus5fp4_tELi256ELi16ELi2ELb0ELb1ELb1ELb0ELb0ELb0EEEvPT0_PvPT_S7_S7_PKS6_S9_S9_S9_S9_ffiiiiiiiiiiiii
	.globl	_ZN5aiter35fused_qk_rmsnorm_group_quant_kernelItN4opus5fp4_tELi256ELi16ELi2ELb0ELb1ELb1ELb0ELb0ELb0EEEvPT0_PvPT_S7_S7_PKS6_S9_S9_S9_S9_ffiiiiiiiiiiiii
	.p2align	8
	.type	_ZN5aiter35fused_qk_rmsnorm_group_quant_kernelItN4opus5fp4_tELi256ELi16ELi2ELb0ELb1ELb1ELb0ELb0ELb0EEEvPT0_PvPT_S7_S7_PKS6_S9_S9_S9_S9_ffiiiiiiiiiiiii,@function
_ZN5aiter35fused_qk_rmsnorm_group_quant_kernelItN4opus5fp4_tELi256ELi16ELi2ELb0ELb1ELb1ELb0ELb0ELb0EEEvPT0_PvPT_S7_S7_PKS6_S9_S9_S9_S9_ffiiiiiiiiiiiii: ; @_ZN5aiter35fused_qk_rmsnorm_group_quant_kernelItN4opus5fp4_tELi256ELi16ELi2ELb0ELb1ELb1ELb0ELb0ELb0EEEvPT0_PvPT_S7_S7_PKS6_S9_S9_S9_S9_ffiiiiiiiiiiiii
; %bb.0:
	s_load_dwordx4 s[16:19], s[4:5], 0x50
	s_waitcnt lgkmcnt(0)
	s_cmp_ge_i32 s6, s18
	s_cbranch_scc1 .LBB876_12
; %bb.1:
	s_load_dwordx2 s[12:13], s[4:5], 0x48
	s_load_dwordx2 s[30:31], s[4:5], 0x30
	s_load_dwordx4 s[20:23], s[4:5], 0x60
	s_cmp_lg_u32 s7, 0
	s_cselect_b64 s[14:15], -1, 0
	s_cmp_eq_u32 s7, 0
	s_cselect_b64 vcc, -1, 0
	s_and_b64 s[0:1], vcc, exec
	s_waitcnt lgkmcnt(0)
	s_cselect_b32 s7, s19, s20
	s_add_i32 s0, s7, 1
	s_lshr_b32 s1, s0, 31
	s_add_i32 s0, s0, s1
	s_lshl_b32 s0, s0, 1
	v_lshlrev_b32_e32 v1, 4, v0
	s_and_b32 s10, s0, -4
	v_cmp_gt_i32_e64 s[2:3], s7, v1
	v_mov_b32_e32 v18, 0
	v_mov_b32_e32 v6, 0
	;; [unrolled: 1-line block ×17, first 2 shown]
	s_and_saveexec_b64 s[0:1], s[2:3]
	s_cbranch_execz .LBB876_3
; %bb.2:
	s_load_dwordx2 s[8:9], s[4:5], 0x28
	s_load_dwordx2 s[26:27], s[4:5], 0x40
	s_and_b64 s[24:25], vcc, exec
	s_cselect_b32 s11, s21, s22
	v_lshlrev_b32_e32 v19, 5, v0
	s_waitcnt lgkmcnt(0)
	s_cselect_b32 s18, s9, s31
	s_cselect_b32 s21, s8, s30
	s_mul_hi_i32 s9, s11, s6
	s_mul_i32 s8, s11, s6
	s_lshl_b64 s[8:9], s[8:9], 1
	s_add_u32 s24, s21, s8
	s_addc_u32 s18, s18, s9
	s_and_b64 s[8:9], vcc, exec
	s_mov_b32 s11, 0x20000
	s_cselect_b32 s8, s26, s12
	s_cselect_b32 s9, s27, s13
	s_and_b32 s25, s18, 0xffff
	s_mov_b32 s26, s10
	s_mov_b32 s27, s11
	s_and_b32 s9, s9, 0xffff
	buffer_load_dwordx4 v[14:17], v19, s[24:27], 0 offen
	buffer_load_dwordx4 v[10:13], v19, s[24:27], 16 offen
	;; [unrolled: 1-line block ×4, first 2 shown]
.LBB876_3:
	s_or_b64 exec, exec, s[0:1]
	v_mov_b32_e32 v19, 0
	v_mov_b32_e32 v22, 0
	;; [unrolled: 1-line block ×15, first 2 shown]
	s_and_saveexec_b64 s[0:1], s[2:3]
	s_cbranch_execz .LBB876_5
; %bb.4:
	s_waitcnt vmcnt(3)
	v_cvt_f32_u32_sdwa v18, v14 dst_sel:DWORD dst_unused:UNUSED_PAD src0_sel:WORD_0
	v_cvt_f32_u32_sdwa v19, v14 dst_sel:DWORD dst_unused:UNUSED_PAD src0_sel:WORD_1
	v_cvt_f32_u32_sdwa v22, v15 dst_sel:DWORD dst_unused:UNUSED_PAD src0_sel:WORD_0
	v_cvt_f32_u32_sdwa v23, v15 dst_sel:DWORD dst_unused:UNUSED_PAD src0_sel:WORD_1
	;; [unrolled: 2-line block ×4, first 2 shown]
	s_waitcnt vmcnt(2)
	v_cvt_f32_u32_sdwa v24, v10 dst_sel:DWORD dst_unused:UNUSED_PAD src0_sel:WORD_0
	v_cvt_f32_u32_sdwa v25, v10 dst_sel:DWORD dst_unused:UNUSED_PAD src0_sel:WORD_1
	v_cvt_f32_u32_sdwa v32, v11 dst_sel:DWORD dst_unused:UNUSED_PAD src0_sel:WORD_0
	v_cvt_f32_u32_sdwa v33, v11 dst_sel:DWORD dst_unused:UNUSED_PAD src0_sel:WORD_1
	v_cvt_f32_u32_sdwa v30, v12 dst_sel:DWORD dst_unused:UNUSED_PAD src0_sel:WORD_0
	v_cvt_f32_u32_sdwa v31, v12 dst_sel:DWORD dst_unused:UNUSED_PAD src0_sel:WORD_1
	v_cvt_f32_u32_sdwa v26, v13 dst_sel:DWORD dst_unused:UNUSED_PAD src0_sel:WORD_0
	v_cvt_f32_u32_sdwa v27, v13 dst_sel:DWORD dst_unused:UNUSED_PAD src0_sel:WORD_1
.LBB876_5:
	s_or_b64 exec, exec, s[0:1]
	s_waitcnt vmcnt(2)
	v_mul_f32_e32 v10, v19, v19
	v_fmac_f32_e32 v10, v18, v18
	v_fmac_f32_e32 v10, v22, v22
	;; [unrolled: 1-line block ×15, first 2 shown]
	v_and_b32_e32 v12, 63, v0
	v_cmp_eq_u32_e64 s[0:1], 63, v12
	v_mov_b32_dpp v11, v10 quad_perm:[1,0,3,2] row_mask:0xf bank_mask:0xf
	v_add_f32_e32 v10, v10, v11
	s_nop 1
	v_mov_b32_dpp v11, v10 quad_perm:[2,3,0,1] row_mask:0xf bank_mask:0xf
	v_add_f32_e32 v10, v10, v11
	s_nop 1
	v_mov_b32_dpp v11, v10 row_half_mirror row_mask:0xf bank_mask:0xf
	v_add_f32_e32 v10, v10, v11
	s_nop 1
	v_mov_b32_dpp v11, v10 row_mirror row_mask:0xf bank_mask:0xf
	v_add_f32_e32 v10, v10, v11
	s_nop 1
	v_mov_b32_dpp v11, v10 row_bcast:15 row_mask:0xf bank_mask:0xf
	v_add_f32_e32 v10, v10, v11
	s_nop 1
	v_mov_b32_dpp v11, v10 row_bcast:31 row_mask:0xf bank_mask:0xf
	s_and_saveexec_b64 s[8:9], s[0:1]
	s_cbranch_execz .LBB876_7
; %bb.6:
	v_add_f32_e32 v10, v10, v11
	v_lshrrev_b32_e32 v11, 4, v0
	v_and_b32_e32 v11, 60, v11
	ds_write_b32 v11, v10 offset:16
.LBB876_7:
	s_or_b64 exec, exec, s[8:9]
	v_and_b32_e32 v10, 3, v0
	v_lshlrev_b32_e32 v34, 2, v10
	s_waitcnt lgkmcnt(0)
	s_barrier
	ds_read_b32 v10, v34 offset:16
	s_load_dwordx2 s[28:29], s[4:5], 0x18
	s_waitcnt lgkmcnt(0)
	v_mov_b32_dpp v11, v10 quad_perm:[1,0,3,2] row_mask:0xf bank_mask:0xf
	v_add_f32_e32 v10, v10, v11
	s_nop 1
	v_mov_b32_dpp v11, v10 quad_perm:[2,3,0,1] row_mask:0xf bank_mask:0xf
	s_and_saveexec_b64 s[8:9], s[2:3]
	s_cbranch_execz .LBB876_9
; %bb.8:
	v_cvt_f32_u32_e32 v12, s7
	v_add_f32_e32 v10, v10, v11
	v_mov_b32_e32 v14, s17
	v_mov_b32_e32 v15, s16
	v_div_scale_f32 v11, s[24:25], v12, v12, v10
	v_rcp_f32_e32 v13, v11
	v_cndmask_b32_e32 v14, v14, v15, vcc
	s_mov_b32 s7, 0x800000
	v_fma_f32 v15, -v11, v13, 1.0
	v_fmac_f32_e32 v13, v15, v13
	v_div_scale_f32 v15, vcc, v10, v12, v10
	v_mul_f32_e32 v16, v15, v13
	v_fma_f32 v17, -v11, v16, v15
	v_fmac_f32_e32 v16, v17, v13
	v_fma_f32 v11, -v11, v16, v15
	v_div_fmas_f32 v11, v11, v13, v16
	v_div_fixup_f32 v10, v11, v12, v10
	v_add_f32_e32 v10, v14, v10
	v_mul_f32_e32 v11, 0x4b800000, v10
	v_cmp_gt_f32_e32 vcc, s7, v10
	v_cndmask_b32_e32 v10, v10, v11, vcc
	v_rsq_f32_e32 v10, v10
	v_mul_f32_e32 v11, 0x45800000, v10
	v_cndmask_b32_e32 v10, v10, v11, vcc
	v_mov_b32_e32 v11, v10
	;;#ASMSTART
	v_pk_mul_f32 v[12:13], v[18:19], v[10:11]
	;;#ASMEND
	s_waitcnt vmcnt(1)
	v_cvt_f32_u32_sdwa v19, v6 dst_sel:DWORD dst_unused:UNUSED_PAD src0_sel:WORD_1
	v_cvt_f32_u32_sdwa v18, v6 dst_sel:DWORD dst_unused:UNUSED_PAD src0_sel:WORD_0
	;;#ASMSTART
	v_pk_mul_f32 v[14:15], v[22:23], v[10:11]
	;;#ASMEND
	;;#ASMSTART
	v_pk_mul_f32 v[16:17], v[20:21], v[10:11]
	;;#ASMEND
	v_cvt_f32_u32_sdwa v21, v7 dst_sel:DWORD dst_unused:UNUSED_PAD src0_sel:WORD_1
	v_cvt_f32_u32_sdwa v20, v7 dst_sel:DWORD dst_unused:UNUSED_PAD src0_sel:WORD_0
	;;#ASMSTART
	v_pk_mul_f32 v[28:29], v[28:29], v[10:11]
	;;#ASMEND
	;;#ASMSTART
	v_pk_mul_f32 v[24:25], v[24:25], v[10:11]
	;;#ASMEND
	;; [unrolled: 3-line block ×5, first 2 shown]
	v_pk_add_f32 v[10:11], v[18:19], 1.0 op_sel_hi:[1,0]
	;;#ASMSTART
	v_pk_mul_f32 v[18:19], v[12:13], v[10:11]
	;;#ASMEND
	v_cvt_f32_u32_sdwa v13, v8 dst_sel:DWORD dst_unused:UNUSED_PAD src0_sel:WORD_1
	v_cvt_f32_u32_sdwa v12, v8 dst_sel:DWORD dst_unused:UNUSED_PAD src0_sel:WORD_0
	v_cvt_f32_u32_sdwa v27, v9 dst_sel:DWORD dst_unused:UNUSED_PAD src0_sel:WORD_1
	v_cvt_f32_u32_sdwa v26, v9 dst_sel:DWORD dst_unused:UNUSED_PAD src0_sel:WORD_0
	v_pk_add_f32 v[10:11], v[20:21], 1.0 op_sel_hi:[1,0]
	;;#ASMSTART
	v_pk_mul_f32 v[22:23], v[14:15], v[10:11]
	;;#ASMEND
	s_waitcnt vmcnt(0)
	v_cvt_f32_u32_sdwa v11, v2 dst_sel:DWORD dst_unused:UNUSED_PAD src0_sel:WORD_1
	v_cvt_f32_u32_sdwa v10, v2 dst_sel:DWORD dst_unused:UNUSED_PAD src0_sel:WORD_0
	v_pk_add_f32 v[8:9], v[12:13], 1.0 op_sel_hi:[1,0]
	;;#ASMSTART
	v_pk_mul_f32 v[20:21], v[16:17], v[8:9]
	;;#ASMEND
	v_pk_add_f32 v[8:9], v[26:27], 1.0 op_sel_hi:[1,0]
	v_cvt_f32_u32_sdwa v13, v3 dst_sel:DWORD dst_unused:UNUSED_PAD src0_sel:WORD_1
	v_cvt_f32_u32_sdwa v12, v3 dst_sel:DWORD dst_unused:UNUSED_PAD src0_sel:WORD_0
	;;#ASMSTART
	v_pk_mul_f32 v[28:29], v[28:29], v[8:9]
	;;#ASMEND
	v_cvt_f32_u32_sdwa v9, v4 dst_sel:DWORD dst_unused:UNUSED_PAD src0_sel:WORD_1
	v_cvt_f32_u32_sdwa v8, v4 dst_sel:DWORD dst_unused:UNUSED_PAD src0_sel:WORD_0
	v_pk_add_f32 v[2:3], v[10:11], 1.0 op_sel_hi:[1,0]
	v_cvt_f32_u32_sdwa v11, v5 dst_sel:DWORD dst_unused:UNUSED_PAD src0_sel:WORD_1
	v_cvt_f32_u32_sdwa v10, v5 dst_sel:DWORD dst_unused:UNUSED_PAD src0_sel:WORD_0
	;;#ASMSTART
	v_pk_mul_f32 v[24:25], v[24:25], v[2:3]
	;;#ASMEND
	v_pk_add_f32 v[2:3], v[12:13], 1.0 op_sel_hi:[1,0]
	;;#ASMSTART
	v_pk_mul_f32 v[32:33], v[32:33], v[2:3]
	;;#ASMEND
	v_pk_add_f32 v[2:3], v[8:9], 1.0 op_sel_hi:[1,0]
	;; [unrolled: 4-line block ×3, first 2 shown]
	;;#ASMSTART
	v_pk_mul_f32 v[26:27], v[6:7], v[2:3]
	;;#ASMEND
.LBB876_9:
	s_or_b64 exec, exec, s[8:9]
	s_load_dword s7, s[4:5], 0x80
	s_mov_b64 s[8:9], -1
	s_and_b64 vcc, exec, s[14:15]
	s_cbranch_vccnz .LBB876_13
; %bb.10:
	s_andn2_b64 vcc, exec, s[8:9]
	s_cbranch_vccz .LBB876_16
.LBB876_11:
	s_cmp_lt_i32 s20, 1
	s_cbranch_scc0 .LBB876_25
.LBB876_12:
	s_endpgm
.LBB876_13:
	s_and_saveexec_b64 s[14:15], s[2:3]
	s_cbranch_execz .LBB876_15
; %bb.14:
	s_waitcnt lgkmcnt(0)
	s_mul_hi_i32 s9, s7, s6
	s_mul_i32 s8, s7, s6
	s_lshl_b64 s[8:9], s[8:9], 1
	s_add_u32 s8, s28, s8
	s_addc_u32 s9, s29, s9
	s_mov_b32 s16, 0x7060302
	s_and_b32 s9, s9, 0xffff
	s_mov_b32 s11, 0x20000
	s_waitcnt vmcnt(0)
	v_perm_b32 v5, v29, v28, s16
	v_perm_b32 v4, v21, v20, s16
	;; [unrolled: 1-line block ×4, first 2 shown]
	v_lshlrev_b32_e32 v6, 5, v0
	buffer_store_dwordx4 v[2:5], v6, s[8:11], 0 offen
	;;#ASMSTART
	s_nop 0
	;;#ASMEND
	s_nop 0
	v_perm_b32 v5, v27, v26, s16
	v_perm_b32 v4, v31, v30, s16
	;; [unrolled: 1-line block ×4, first 2 shown]
	buffer_store_dwordx4 v[2:5], v6, s[8:11], 16 offen
	;;#ASMSTART
	s_nop 0
	;;#ASMEND
.LBB876_15:
	s_or_b64 exec, exec, s[14:15]
	s_cbranch_execnz .LBB876_11
.LBB876_16:
	s_load_dwordx4 s[24:27], s[4:5], 0x70
	s_waitcnt vmcnt(0)
	v_mov_b32_e32 v2, 0
	s_and_saveexec_b64 s[14:15], s[2:3]
	s_cbranch_execz .LBB876_18
; %bb.17:
	s_load_dwordx2 s[8:9], s[4:5], 0x10
	s_waitcnt lgkmcnt(0)
	s_mul_hi_i32 s35, s27, s6
	s_mul_i32 s34, s27, s6
	s_lshl_b64 s[34:35], s[34:35], 1
	s_mov_b32 s16, 0x7060302
	s_add_u32 s8, s8, s34
	s_addc_u32 s9, s9, s35
	s_mov_b32 s11, 0x20000
	s_and_b32 s9, s9, 0xffff
	v_perm_b32 v5, v29, v28, s16
	v_perm_b32 v4, v21, v20, s16
	;; [unrolled: 1-line block ×4, first 2 shown]
	v_lshlrev_b32_e32 v6, 5, v0
	buffer_store_dwordx4 v[2:5], v6, s[8:11], 0 offen
	;;#ASMSTART
	s_nop 0
	;;#ASMEND
	s_nop 0
	v_perm_b32 v5, v27, v26, s16
	v_perm_b32 v4, v31, v30, s16
	;; [unrolled: 1-line block ×4, first 2 shown]
	buffer_store_dwordx4 v[2:5], v6, s[8:11], 16 offen
	;;#ASMSTART
	s_nop 0
	;;#ASMEND
	s_nop 0
	v_mov_b32_e32 v2, 0x2edbe6ff
.LBB876_18:
	s_or_b64 exec, exec, s[14:15]
	s_and_saveexec_b64 s[8:9], s[2:3]
	s_cbranch_execz .LBB876_20
; %bb.19:
	v_and_b32_e32 v3, 0x7fffffff, v18
	v_and_b32_e32 v4, 0x7fffffff, v19
	;;#ASMSTART
	v_max3_f32 v2, v2, v3, v4

	;;#ASMEND
	v_and_b32_e32 v3, 0x7fffffff, v22
	v_and_b32_e32 v4, 0x7fffffff, v23
	;;#ASMSTART
	v_max3_f32 v2, v2, v3, v4

	;;#ASMEND
	v_and_b32_e32 v3, 0x7fffffff, v20
	v_and_b32_e32 v4, 0x7fffffff, v21
	;;#ASMSTART
	v_max3_f32 v2, v2, v3, v4

	;;#ASMEND
	v_and_b32_e32 v3, 0x7fffffff, v28
	v_and_b32_e32 v4, 0x7fffffff, v29
	;;#ASMSTART
	v_max3_f32 v2, v2, v3, v4

	;;#ASMEND
	v_and_b32_e32 v3, 0x7fffffff, v24
	v_and_b32_e32 v4, 0x7fffffff, v25
	;;#ASMSTART
	v_max3_f32 v2, v2, v3, v4

	;;#ASMEND
	v_and_b32_e32 v3, 0x7fffffff, v32
	v_and_b32_e32 v4, 0x7fffffff, v33
	;;#ASMSTART
	v_max3_f32 v2, v2, v3, v4

	;;#ASMEND
	v_and_b32_e32 v3, 0x7fffffff, v30
	v_and_b32_e32 v4, 0x7fffffff, v31
	;;#ASMSTART
	v_max3_f32 v2, v2, v3, v4

	;;#ASMEND
	v_and_b32_e32 v3, 0x7fffffff, v26
	v_and_b32_e32 v4, 0x7fffffff, v27
	;;#ASMSTART
	v_max3_f32 v2, v2, v3, v4

	;;#ASMEND
.LBB876_20:
	s_or_b64 exec, exec, s[8:9]
	;;#ASMSTART
	v_max_f32 v3, v2, v2 quad_perm:[1,0,3,2] row_mask:0xf bank_mask:0xf bound_ctrl:1
	;;#ASMEND
	v_and_b32_e32 v2, 1, v0
	v_cmp_eq_u32_e32 vcc, 0, v2
	v_cmp_gt_i32_e64 s[8:9], s19, v1
	s_and_b64 s[10:11], vcc, s[8:9]
	s_and_saveexec_b64 s[8:9], s[10:11]
	s_cbranch_execz .LBB876_22
; %bb.21:
	s_load_dwordx2 s[10:11], s[4:5], 0x8
	v_mul_f32_e32 v2, 0x3e2aaaab, v3
	v_lshrrev_b32_e32 v3, 23, v2
	v_and_b32_e32 v4, 0x7f800000, v2
	v_and_b32_e32 v2, 0x7fffff, v2
	v_cmp_ne_u32_e32 vcc, 0, v2
	s_waitcnt lgkmcnt(0)
	s_mul_i32 s16, s25, s6
	s_mov_b32 s14, 0x7f800000
	v_addc_co_u32_e32 v2, vcc, 0, v3, vcc
	s_mul_hi_i32 s15, s25, s6
	s_add_u32 s10, s10, s16
	v_cmp_ne_u32_e32 vcc, s14, v4
	s_addc_u32 s11, s11, s15
	v_lshrrev_b32_e32 v5, 1, v0
	v_cndmask_b32_e32 v4, -1, v2, vcc
	v_pk_mov_b32 v[2:3], s[10:11], s[10:11] op_sel:[0,1]
	v_mad_i64_i32 v[2:3], s[10:11], s26, v5, v[2:3]
	global_store_byte v[2:3], v4, off
.LBB876_22:
	s_or_b64 exec, exec, s[8:9]
	s_and_saveexec_b64 s[8:9], s[2:3]
	s_cbranch_execz .LBB876_24
; %bb.23:
	s_load_dwordx2 s[2:3], s[4:5], 0x0
	s_waitcnt lgkmcnt(0)
	s_mul_i32 s11, s24, s6
	s_mul_hi_i32 s10, s24, s6
	v_mov_b32_e32 v2, 0
	v_lshlrev_b32_e32 v4, 3, v0
	s_add_u32 s24, s2, s11
	s_addc_u32 s2, s3, s10
	s_lshr_b32 s3, s19, 31
	s_add_i32 s3, s19, s3
	s_ashr_i32 s3, s3, 1
	s_add_i32 s3, s3, 3
	s_ashr_i32 s10, s3, 31
	s_lshr_b32 s10, s10, 30
	s_add_i32 s3, s3, s10
	s_and_b32 s26, s3, -4
	s_and_b32 s25, s2, 0xffff
	s_mov_b32 s27, 0x20000
	v_mov_b32_e32 v3, v2
	buffer_store_dwordx2 v[2:3], v4, s[24:27], 0 offen
	;;#ASMSTART
	s_nop 0
	;;#ASMEND
.LBB876_24:
	s_or_b64 exec, exec, s[8:9]
	s_cmp_lt_i32 s20, 1
	s_cbranch_scc1 .LBB876_12
.LBB876_25:
	s_load_dword s2, s[4:5], 0x94
	s_waitcnt lgkmcnt(0)
	s_cmp_lg_u32 s2, 1
	s_cbranch_scc1 .LBB876_12
; %bb.26:
	s_lshl_b32 s2, s20, 1
	s_add_i32 s2, s2, 2
	v_cmp_gt_u32_e32 vcc, s20, v1
	s_and_b32 s14, s2, -4
	v_mov_b32_e32 v18, 0
	v_lshlrev_b32_e32 v1, 5, v0
	v_mov_b32_e32 v14, 0
	v_mov_b32_e32 v15, 0
	;; [unrolled: 1-line block ×8, first 2 shown]
	s_waitcnt vmcnt(1)
	v_mov_b32_e32 v6, 0
	v_mov_b32_e32 v7, 0
	;; [unrolled: 1-line block ×4, first 2 shown]
	s_waitcnt vmcnt(0)
	v_mov_b32_e32 v2, 0
	v_mov_b32_e32 v3, 0
	;; [unrolled: 1-line block ×4, first 2 shown]
	s_barrier
	s_and_saveexec_b64 s[2:3], vcc
	s_cbranch_execz .LBB876_28
; %bb.27:
	s_mul_hi_i32 s5, s22, s6
	s_mul_i32 s4, s22, s6
	s_and_b32 s13, s13, 0xffff
	s_lshl_b64 s[4:5], s[4:5], 1
	s_add_u32 s8, s30, s4
	s_mov_b32 s15, 0x20000
	s_addc_u32 s4, s31, s5
	s_and_b32 s9, s4, 0xffff
	s_mov_b32 s10, s14
	s_mov_b32 s11, s15
	buffer_load_dwordx4 v[14:17], v1, s[8:11], 0 offen
	buffer_load_dwordx4 v[10:13], v1, s[8:11], 16 offen
	buffer_load_dwordx4 v[6:9], v1, s[12:15], 0 offen
	buffer_load_dwordx4 v[2:5], v1, s[12:15], 16 offen
.LBB876_28:
	s_or_b64 exec, exec, s[2:3]
	v_mov_b32_e32 v19, 0
	v_mov_b32_e32 v32, 0
	;; [unrolled: 1-line block ×15, first 2 shown]
	s_and_saveexec_b64 s[2:3], vcc
	s_cbranch_execz .LBB876_30
; %bb.29:
	s_waitcnt vmcnt(3)
	v_cvt_f32_u32_sdwa v18, v14 dst_sel:DWORD dst_unused:UNUSED_PAD src0_sel:WORD_0
	v_cvt_f32_u32_sdwa v19, v14 dst_sel:DWORD dst_unused:UNUSED_PAD src0_sel:WORD_1
	v_cvt_f32_u32_sdwa v32, v15 dst_sel:DWORD dst_unused:UNUSED_PAD src0_sel:WORD_0
	v_cvt_f32_u32_sdwa v33, v15 dst_sel:DWORD dst_unused:UNUSED_PAD src0_sel:WORD_1
	;; [unrolled: 2-line block ×4, first 2 shown]
	s_waitcnt vmcnt(2)
	v_cvt_f32_u32_sdwa v26, v10 dst_sel:DWORD dst_unused:UNUSED_PAD src0_sel:WORD_0
	v_cvt_f32_u32_sdwa v27, v10 dst_sel:DWORD dst_unused:UNUSED_PAD src0_sel:WORD_1
	v_cvt_f32_u32_sdwa v24, v11 dst_sel:DWORD dst_unused:UNUSED_PAD src0_sel:WORD_0
	v_cvt_f32_u32_sdwa v25, v11 dst_sel:DWORD dst_unused:UNUSED_PAD src0_sel:WORD_1
	;; [unrolled: 2-line block ×4, first 2 shown]
.LBB876_30:
	s_or_b64 exec, exec, s[2:3]
	s_waitcnt vmcnt(2)
	v_mul_f32_e32 v10, v19, v19
	v_fmac_f32_e32 v10, v18, v18
	v_fmac_f32_e32 v10, v32, v32
	;; [unrolled: 1-line block ×15, first 2 shown]
	s_nop 1
	v_mov_b32_dpp v11, v10 quad_perm:[1,0,3,2] row_mask:0xf bank_mask:0xf
	v_add_f32_e32 v10, v10, v11
	s_nop 1
	v_mov_b32_dpp v11, v10 quad_perm:[2,3,0,1] row_mask:0xf bank_mask:0xf
	v_add_f32_e32 v10, v10, v11
	s_nop 1
	v_mov_b32_dpp v11, v10 row_half_mirror row_mask:0xf bank_mask:0xf
	v_add_f32_e32 v10, v10, v11
	s_nop 1
	v_mov_b32_dpp v11, v10 row_mirror row_mask:0xf bank_mask:0xf
	v_add_f32_e32 v10, v10, v11
	s_nop 1
	v_mov_b32_dpp v11, v10 row_bcast:15 row_mask:0xf bank_mask:0xf
	v_add_f32_e32 v10, v10, v11
	s_nop 1
	v_mov_b32_dpp v11, v10 row_bcast:31 row_mask:0xf bank_mask:0xf
	s_and_saveexec_b64 s[2:3], s[0:1]
	s_cbranch_execz .LBB876_32
; %bb.31:
	v_lshrrev_b32_e32 v0, 4, v0
	v_add_f32_e32 v10, v10, v11
	v_and_b32_e32 v0, 60, v0
	ds_write_b32 v0, v10
.LBB876_32:
	s_or_b64 exec, exec, s[2:3]
	s_waitcnt lgkmcnt(0)
	s_barrier
	ds_read_b32 v0, v34
	s_waitcnt lgkmcnt(0)
	s_nop 0
	v_mov_b32_dpp v10, v0 quad_perm:[1,0,3,2] row_mask:0xf bank_mask:0xf
	v_add_f32_e32 v0, v0, v10
	s_nop 1
	v_mov_b32_dpp v10, v0 quad_perm:[2,3,0,1] row_mask:0xf bank_mask:0xf
	s_and_saveexec_b64 s[0:1], vcc
	s_cbranch_execz .LBB876_12
; %bb.33:
	v_cvt_f32_u32_e32 v11, s20
	v_add_f32_e32 v0, v0, v10
	s_mov_b32 s15, 0x20000
	v_div_scale_f32 v10, s[0:1], v11, v11, v0
	v_rcp_f32_e32 v12, v10
	v_div_scale_f32 v13, vcc, v0, v11, v0
	s_mov_b32 s0, 0x800000
	v_fma_f32 v14, -v10, v12, 1.0
	v_fmac_f32_e32 v12, v14, v12
	v_mul_f32_e32 v14, v13, v12
	v_fma_f32 v15, -v10, v14, v13
	v_fmac_f32_e32 v14, v15, v12
	v_fma_f32 v10, -v10, v14, v13
	v_div_fmas_f32 v10, v10, v12, v14
	v_div_fixup_f32 v0, v10, v11, v0
	v_add_f32_e32 v0, s17, v0
	v_mul_f32_e32 v10, 0x4b800000, v0
	v_cmp_gt_f32_e32 vcc, s0, v0
	v_cndmask_b32_e32 v0, v0, v10, vcc
	v_rsq_f32_e32 v0, v0
	s_mul_hi_i32 s1, s7, s6
	s_mul_i32 s0, s7, s6
	s_lshl_b64 s[0:1], s[0:1], 1
	v_mul_f32_e32 v10, 0x45800000, v0
	v_cndmask_b32_e32 v10, v0, v10, vcc
	v_mov_b32_e32 v11, v10
	;;#ASMSTART
	v_pk_mul_f32 v[12:13], v[18:19], v[10:11]
	;;#ASMEND
	;;#ASMSTART
	v_pk_mul_f32 v[14:15], v[32:33], v[10:11]
	;;#ASMEND
	;; [unrolled: 3-line block ×4, first 2 shown]
	s_waitcnt vmcnt(1)
	v_cvt_f32_u32_sdwa v29, v6 dst_sel:DWORD dst_unused:UNUSED_PAD src0_sel:WORD_1
	v_cvt_f32_u32_sdwa v28, v6 dst_sel:DWORD dst_unused:UNUSED_PAD src0_sel:WORD_0
	v_cvt_f32_u32_sdwa v31, v7 dst_sel:DWORD dst_unused:UNUSED_PAD src0_sel:WORD_1
	v_cvt_f32_u32_sdwa v30, v7 dst_sel:DWORD dst_unused:UNUSED_PAD src0_sel:WORD_0
	;;#ASMSTART
	v_pk_mul_f32 v[26:27], v[26:27], v[10:11]
	;;#ASMEND
	;;#ASMSTART
	v_pk_mul_f32 v[24:25], v[24:25], v[10:11]
	;;#ASMEND
	;; [unrolled: 3-line block ×4, first 2 shown]
	v_cvt_f32_u32_sdwa v21, v8 dst_sel:DWORD dst_unused:UNUSED_PAD src0_sel:WORD_1
	v_cvt_f32_u32_sdwa v20, v8 dst_sel:DWORD dst_unused:UNUSED_PAD src0_sel:WORD_0
	v_pk_add_f32 v[10:11], v[28:29], 1.0 op_sel_hi:[1,0]
	;;#ASMSTART
	v_pk_mul_f32 v[10:11], v[12:13], v[10:11]
	;;#ASMEND
	v_pk_add_f32 v[12:13], v[30:31], 1.0 op_sel_hi:[1,0]
	v_cvt_f32_u32_sdwa v29, v9 dst_sel:DWORD dst_unused:UNUSED_PAD src0_sel:WORD_1
	v_cvt_f32_u32_sdwa v28, v9 dst_sel:DWORD dst_unused:UNUSED_PAD src0_sel:WORD_0
	;;#ASMSTART
	v_pk_mul_f32 v[8:9], v[14:15], v[12:13]
	;;#ASMEND
	v_pk_add_f32 v[12:13], v[20:21], 1.0 op_sel_hi:[1,0]
	;;#ASMSTART
	v_pk_mul_f32 v[12:13], v[16:17], v[12:13]
	;;#ASMEND
	s_waitcnt vmcnt(0)
	v_cvt_f32_u32_sdwa v17, v2 dst_sel:DWORD dst_unused:UNUSED_PAD src0_sel:WORD_1
	v_cvt_f32_u32_sdwa v16, v2 dst_sel:DWORD dst_unused:UNUSED_PAD src0_sel:WORD_0
	v_cvt_f32_u32_sdwa v21, v3 dst_sel:DWORD dst_unused:UNUSED_PAD src0_sel:WORD_1
	v_cvt_f32_u32_sdwa v20, v3 dst_sel:DWORD dst_unused:UNUSED_PAD src0_sel:WORD_0
	v_pk_add_f32 v[14:15], v[28:29], 1.0 op_sel_hi:[1,0]
	;;#ASMSTART
	v_pk_mul_f32 v[14:15], v[18:19], v[14:15]
	;;#ASMEND
	v_pk_add_f32 v[2:3], v[16:17], 1.0 op_sel_hi:[1,0]
	v_cvt_f32_u32_sdwa v19, v4 dst_sel:DWORD dst_unused:UNUSED_PAD src0_sel:WORD_1
	v_cvt_f32_u32_sdwa v18, v4 dst_sel:DWORD dst_unused:UNUSED_PAD src0_sel:WORD_0
	;;#ASMSTART
	v_pk_mul_f32 v[16:17], v[26:27], v[2:3]
	;;#ASMEND
	v_pk_add_f32 v[2:3], v[20:21], 1.0 op_sel_hi:[1,0]
	v_cvt_f32_u32_sdwa v21, v5 dst_sel:DWORD dst_unused:UNUSED_PAD src0_sel:WORD_1
	v_cvt_f32_u32_sdwa v20, v5 dst_sel:DWORD dst_unused:UNUSED_PAD src0_sel:WORD_0
	s_add_u32 s12, s28, s0
	;;#ASMSTART
	v_pk_mul_f32 v[24:25], v[24:25], v[2:3]
	;;#ASMEND
	v_pk_add_f32 v[2:3], v[18:19], 1.0 op_sel_hi:[1,0]
	s_addc_u32 s0, s29, s1
	;;#ASMSTART
	v_pk_mul_f32 v[18:19], v[22:23], v[2:3]
	;;#ASMEND
	v_pk_add_f32 v[2:3], v[20:21], 1.0 op_sel_hi:[1,0]
	s_and_b32 s13, s0, 0xffff
	s_mov_b32 s0, 0x7060302
	;;#ASMSTART
	v_pk_mul_f32 v[6:7], v[6:7], v[2:3]
	;;#ASMEND
	v_perm_b32 v2, v11, v10, s0
	v_perm_b32 v3, v9, v8, s0
	;; [unrolled: 1-line block ×4, first 2 shown]
	buffer_store_dwordx4 v[2:5], v1, s[12:15], 0 offen
	;;#ASMSTART
	s_nop 0
	;;#ASMEND
	s_nop 0
	v_perm_b32 v2, v17, v16, s0
	v_perm_b32 v3, v25, v24, s0
	;; [unrolled: 1-line block ×4, first 2 shown]
	buffer_store_dwordx4 v[2:5], v1, s[12:15], 16 offen
	;;#ASMSTART
	s_nop 0
	;;#ASMEND
	s_endpgm
	.section	.rodata,"a",@progbits
	.p2align	6, 0x0
	.amdhsa_kernel _ZN5aiter35fused_qk_rmsnorm_group_quant_kernelItN4opus5fp4_tELi256ELi16ELi2ELb0ELb1ELb1ELb0ELb0ELb0EEEvPT0_PvPT_S7_S7_PKS6_S9_S9_S9_S9_ffiiiiiiiiiiiii
		.amdhsa_group_segment_fixed_size 32
		.amdhsa_private_segment_fixed_size 0
		.amdhsa_kernarg_size 400
		.amdhsa_user_sgpr_count 6
		.amdhsa_user_sgpr_private_segment_buffer 1
		.amdhsa_user_sgpr_dispatch_ptr 0
		.amdhsa_user_sgpr_queue_ptr 0
		.amdhsa_user_sgpr_kernarg_segment_ptr 1
		.amdhsa_user_sgpr_dispatch_id 0
		.amdhsa_user_sgpr_flat_scratch_init 0
		.amdhsa_user_sgpr_kernarg_preload_length 0
		.amdhsa_user_sgpr_kernarg_preload_offset 0
		.amdhsa_user_sgpr_private_segment_size 0
		.amdhsa_uses_dynamic_stack 0
		.amdhsa_system_sgpr_private_segment_wavefront_offset 0
		.amdhsa_system_sgpr_workgroup_id_x 1
		.amdhsa_system_sgpr_workgroup_id_y 1
		.amdhsa_system_sgpr_workgroup_id_z 0
		.amdhsa_system_sgpr_workgroup_info 0
		.amdhsa_system_vgpr_workitem_id 0
		.amdhsa_next_free_vgpr 35
		.amdhsa_next_free_sgpr 36
		.amdhsa_accum_offset 36
		.amdhsa_reserve_vcc 1
		.amdhsa_reserve_flat_scratch 0
		.amdhsa_float_round_mode_32 0
		.amdhsa_float_round_mode_16_64 0
		.amdhsa_float_denorm_mode_32 3
		.amdhsa_float_denorm_mode_16_64 3
		.amdhsa_dx10_clamp 1
		.amdhsa_ieee_mode 1
		.amdhsa_fp16_overflow 0
		.amdhsa_tg_split 0
		.amdhsa_exception_fp_ieee_invalid_op 0
		.amdhsa_exception_fp_denorm_src 0
		.amdhsa_exception_fp_ieee_div_zero 0
		.amdhsa_exception_fp_ieee_overflow 0
		.amdhsa_exception_fp_ieee_underflow 0
		.amdhsa_exception_fp_ieee_inexact 0
		.amdhsa_exception_int_div_zero 0
	.end_amdhsa_kernel
	.section	.text._ZN5aiter35fused_qk_rmsnorm_group_quant_kernelItN4opus5fp4_tELi256ELi16ELi2ELb0ELb1ELb1ELb0ELb0ELb0EEEvPT0_PvPT_S7_S7_PKS6_S9_S9_S9_S9_ffiiiiiiiiiiiii,"axG",@progbits,_ZN5aiter35fused_qk_rmsnorm_group_quant_kernelItN4opus5fp4_tELi256ELi16ELi2ELb0ELb1ELb1ELb0ELb0ELb0EEEvPT0_PvPT_S7_S7_PKS6_S9_S9_S9_S9_ffiiiiiiiiiiiii,comdat
.Lfunc_end876:
	.size	_ZN5aiter35fused_qk_rmsnorm_group_quant_kernelItN4opus5fp4_tELi256ELi16ELi2ELb0ELb1ELb1ELb0ELb0ELb0EEEvPT0_PvPT_S7_S7_PKS6_S9_S9_S9_S9_ffiiiiiiiiiiiii, .Lfunc_end876-_ZN5aiter35fused_qk_rmsnorm_group_quant_kernelItN4opus5fp4_tELi256ELi16ELi2ELb0ELb1ELb1ELb0ELb0ELb0EEEvPT0_PvPT_S7_S7_PKS6_S9_S9_S9_S9_ffiiiiiiiiiiiii
                                        ; -- End function
	.section	.AMDGPU.csdata,"",@progbits
; Kernel info:
; codeLenInByte = 3432
; NumSgprs: 40
; NumVgprs: 35
; NumAgprs: 0
; TotalNumVgprs: 35
; ScratchSize: 0
; MemoryBound: 0
; FloatMode: 240
; IeeeMode: 1
; LDSByteSize: 32 bytes/workgroup (compile time only)
; SGPRBlocks: 4
; VGPRBlocks: 4
; NumSGPRsForWavesPerEU: 40
; NumVGPRsForWavesPerEU: 35
; AccumOffset: 36
; Occupancy: 8
; WaveLimiterHint : 0
; COMPUTE_PGM_RSRC2:SCRATCH_EN: 0
; COMPUTE_PGM_RSRC2:USER_SGPR: 6
; COMPUTE_PGM_RSRC2:TRAP_HANDLER: 0
; COMPUTE_PGM_RSRC2:TGID_X_EN: 1
; COMPUTE_PGM_RSRC2:TGID_Y_EN: 1
; COMPUTE_PGM_RSRC2:TGID_Z_EN: 0
; COMPUTE_PGM_RSRC2:TIDIG_COMP_CNT: 0
; COMPUTE_PGM_RSRC3_GFX90A:ACCUM_OFFSET: 8
; COMPUTE_PGM_RSRC3_GFX90A:TG_SPLIT: 0
	.section	.text._ZN5aiter35fused_qk_rmsnorm_group_quant_kernelIDF16_DB8_Li256ELi16ELi2ELb0ELb1ELb0ELb0ELb0ELb0EEEvPT0_PvPT_S6_S6_PKS5_S8_S8_S8_S8_ffiiiiiiiiiiiii,"axG",@progbits,_ZN5aiter35fused_qk_rmsnorm_group_quant_kernelIDF16_DB8_Li256ELi16ELi2ELb0ELb1ELb0ELb0ELb0ELb0EEEvPT0_PvPT_S6_S6_PKS5_S8_S8_S8_S8_ffiiiiiiiiiiiii,comdat
	.protected	_ZN5aiter35fused_qk_rmsnorm_group_quant_kernelIDF16_DB8_Li256ELi16ELi2ELb0ELb1ELb0ELb0ELb0ELb0EEEvPT0_PvPT_S6_S6_PKS5_S8_S8_S8_S8_ffiiiiiiiiiiiii ; -- Begin function _ZN5aiter35fused_qk_rmsnorm_group_quant_kernelIDF16_DB8_Li256ELi16ELi2ELb0ELb1ELb0ELb0ELb0ELb0EEEvPT0_PvPT_S6_S6_PKS5_S8_S8_S8_S8_ffiiiiiiiiiiiii
	.globl	_ZN5aiter35fused_qk_rmsnorm_group_quant_kernelIDF16_DB8_Li256ELi16ELi2ELb0ELb1ELb0ELb0ELb0ELb0EEEvPT0_PvPT_S6_S6_PKS5_S8_S8_S8_S8_ffiiiiiiiiiiiii
	.p2align	8
	.type	_ZN5aiter35fused_qk_rmsnorm_group_quant_kernelIDF16_DB8_Li256ELi16ELi2ELb0ELb1ELb0ELb0ELb0ELb0EEEvPT0_PvPT_S6_S6_PKS5_S8_S8_S8_S8_ffiiiiiiiiiiiii,@function
_ZN5aiter35fused_qk_rmsnorm_group_quant_kernelIDF16_DB8_Li256ELi16ELi2ELb0ELb1ELb0ELb0ELb0ELb0EEEvPT0_PvPT_S6_S6_PKS5_S8_S8_S8_S8_ffiiiiiiiiiiiii: ; @_ZN5aiter35fused_qk_rmsnorm_group_quant_kernelIDF16_DB8_Li256ELi16ELi2ELb0ELb1ELb0ELb0ELb0ELb0EEEvPT0_PvPT_S6_S6_PKS5_S8_S8_S8_S8_ffiiiiiiiiiiiii
; %bb.0:
	s_load_dwordx4 s[16:19], s[4:5], 0x50
	s_waitcnt lgkmcnt(0)
	s_cmp_ge_i32 s6, s18
	s_cbranch_scc1 .LBB877_12
; %bb.1:
	s_load_dwordx2 s[12:13], s[4:5], 0x48
	s_load_dwordx2 s[30:31], s[4:5], 0x30
	s_load_dwordx4 s[20:23], s[4:5], 0x60
	s_cmp_lg_u32 s7, 0
	s_cselect_b64 s[14:15], -1, 0
	s_cmp_eq_u32 s7, 0
	s_cselect_b64 vcc, -1, 0
	s_and_b64 s[0:1], vcc, exec
	s_waitcnt lgkmcnt(0)
	s_cselect_b32 s7, s19, s20
	s_add_i32 s0, s7, 1
	s_lshr_b32 s1, s0, 31
	s_add_i32 s0, s0, s1
	s_lshl_b32 s0, s0, 1
	v_lshlrev_b32_e32 v1, 4, v0
	s_and_b32 s10, s0, -4
	v_cmp_gt_i32_e64 s[2:3], s7, v1
	v_mov_b32_e32 v18, 0
	v_mov_b32_e32 v6, 0
	;; [unrolled: 1-line block ×17, first 2 shown]
	s_and_saveexec_b64 s[0:1], s[2:3]
	s_cbranch_execz .LBB877_3
; %bb.2:
	s_load_dwordx2 s[8:9], s[4:5], 0x28
	s_load_dwordx2 s[26:27], s[4:5], 0x40
	s_and_b64 s[24:25], vcc, exec
	s_cselect_b32 s11, s21, s22
	v_lshlrev_b32_e32 v19, 5, v0
	s_waitcnt lgkmcnt(0)
	s_cselect_b32 s18, s9, s31
	s_cselect_b32 s21, s8, s30
	s_mul_hi_i32 s9, s11, s6
	s_mul_i32 s8, s11, s6
	s_lshl_b64 s[8:9], s[8:9], 1
	s_add_u32 s24, s21, s8
	s_addc_u32 s18, s18, s9
	s_and_b64 s[8:9], vcc, exec
	s_mov_b32 s11, 0x20000
	s_cselect_b32 s8, s26, s12
	s_cselect_b32 s9, s27, s13
	s_and_b32 s25, s18, 0xffff
	s_mov_b32 s26, s10
	s_mov_b32 s27, s11
	s_and_b32 s9, s9, 0xffff
	buffer_load_dwordx4 v[14:17], v19, s[24:27], 0 offen
	buffer_load_dwordx4 v[10:13], v19, s[24:27], 16 offen
	;; [unrolled: 1-line block ×4, first 2 shown]
.LBB877_3:
	s_or_b64 exec, exec, s[0:1]
	v_mov_b32_e32 v19, 0
	v_mov_b32_e32 v32, 0
	v_mov_b32_e32 v33, 0
	v_mov_b32_e32 v26, 0
	v_mov_b32_e32 v27, 0
	v_mov_b32_e32 v24, 0
	v_mov_b32_e32 v25, 0
	v_mov_b32_e32 v30, 0
	v_mov_b32_e32 v31, 0
	v_mov_b32_e32 v28, 0
	v_mov_b32_e32 v29, 0
	v_mov_b32_e32 v22, 0
	v_mov_b32_e32 v23, 0
	v_mov_b32_e32 v20, 0
	v_mov_b32_e32 v21, 0
	s_and_saveexec_b64 s[0:1], s[2:3]
	s_cbranch_execz .LBB877_5
; %bb.4:
	s_waitcnt vmcnt(3)
	v_cvt_f32_f16_sdwa v19, v14 dst_sel:DWORD dst_unused:UNUSED_PAD src0_sel:WORD_1
	v_cvt_f32_f16_e32 v18, v14
	v_cvt_f32_f16_sdwa v33, v15 dst_sel:DWORD dst_unused:UNUSED_PAD src0_sel:WORD_1
	v_cvt_f32_f16_e32 v32, v15
	v_cvt_f32_f16_sdwa v27, v16 dst_sel:DWORD dst_unused:UNUSED_PAD src0_sel:WORD_1
	v_cvt_f32_f16_e32 v26, v16
	v_cvt_f32_f16_sdwa v25, v17 dst_sel:DWORD dst_unused:UNUSED_PAD src0_sel:WORD_1
	v_cvt_f32_f16_e32 v24, v17
	s_waitcnt vmcnt(2)
	v_cvt_f32_f16_sdwa v31, v10 dst_sel:DWORD dst_unused:UNUSED_PAD src0_sel:WORD_1
	v_cvt_f32_f16_e32 v30, v10
	v_cvt_f32_f16_sdwa v29, v11 dst_sel:DWORD dst_unused:UNUSED_PAD src0_sel:WORD_1
	v_cvt_f32_f16_e32 v28, v11
	;; [unrolled: 2-line block ×4, first 2 shown]
.LBB877_5:
	s_or_b64 exec, exec, s[0:1]
	s_waitcnt vmcnt(2)
	v_mul_f32_e32 v10, v19, v19
	v_fmac_f32_e32 v10, v18, v18
	v_fmac_f32_e32 v10, v32, v32
	;; [unrolled: 1-line block ×15, first 2 shown]
	v_and_b32_e32 v12, 63, v0
	v_cmp_eq_u32_e64 s[0:1], 63, v12
	v_mov_b32_dpp v11, v10 quad_perm:[1,0,3,2] row_mask:0xf bank_mask:0xf
	v_add_f32_e32 v10, v10, v11
	s_nop 1
	v_mov_b32_dpp v11, v10 quad_perm:[2,3,0,1] row_mask:0xf bank_mask:0xf
	v_add_f32_e32 v10, v10, v11
	s_nop 1
	v_mov_b32_dpp v11, v10 row_half_mirror row_mask:0xf bank_mask:0xf
	v_add_f32_e32 v10, v10, v11
	s_nop 1
	v_mov_b32_dpp v11, v10 row_mirror row_mask:0xf bank_mask:0xf
	v_add_f32_e32 v10, v10, v11
	s_nop 1
	v_mov_b32_dpp v11, v10 row_bcast:15 row_mask:0xf bank_mask:0xf
	v_add_f32_e32 v10, v10, v11
	s_nop 1
	v_mov_b32_dpp v11, v10 row_bcast:31 row_mask:0xf bank_mask:0xf
	s_and_saveexec_b64 s[8:9], s[0:1]
	s_cbranch_execz .LBB877_7
; %bb.6:
	v_add_f32_e32 v10, v10, v11
	v_lshrrev_b32_e32 v11, 4, v0
	v_and_b32_e32 v11, 60, v11
	ds_write_b32 v11, v10 offset:16
.LBB877_7:
	s_or_b64 exec, exec, s[8:9]
	v_and_b32_e32 v10, 3, v0
	v_lshlrev_b32_e32 v34, 2, v10
	s_waitcnt lgkmcnt(0)
	s_barrier
	ds_read_b32 v10, v34 offset:16
	s_load_dwordx2 s[28:29], s[4:5], 0x18
	s_waitcnt lgkmcnt(0)
	v_mov_b32_dpp v11, v10 quad_perm:[1,0,3,2] row_mask:0xf bank_mask:0xf
	v_add_f32_e32 v10, v10, v11
	s_nop 1
	v_mov_b32_dpp v11, v10 quad_perm:[2,3,0,1] row_mask:0xf bank_mask:0xf
	s_and_saveexec_b64 s[8:9], s[2:3]
	s_cbranch_execz .LBB877_9
; %bb.8:
	v_cvt_f32_u32_e32 v12, s7
	v_add_f32_e32 v10, v10, v11
	v_mov_b32_e32 v14, s17
	v_mov_b32_e32 v15, s16
	v_div_scale_f32 v11, s[24:25], v12, v12, v10
	v_rcp_f32_e32 v13, v11
	v_cndmask_b32_e32 v14, v14, v15, vcc
	s_mov_b32 s7, 0x800000
	s_waitcnt vmcnt(1)
	v_cvt_f32_f16_sdwa v37, v9 dst_sel:DWORD dst_unused:UNUSED_PAD src0_sel:WORD_1
	v_fma_f32 v15, -v11, v13, 1.0
	v_fmac_f32_e32 v13, v15, v13
	v_div_scale_f32 v15, vcc, v10, v12, v10
	v_mul_f32_e32 v16, v15, v13
	v_fma_f32 v17, -v11, v16, v15
	v_fmac_f32_e32 v16, v17, v13
	v_fma_f32 v11, -v11, v16, v15
	v_div_fmas_f32 v11, v11, v13, v16
	v_div_fixup_f32 v10, v11, v12, v10
	v_add_f32_e32 v10, v14, v10
	v_mul_f32_e32 v11, 0x4b800000, v10
	v_cmp_gt_f32_e32 vcc, s7, v10
	v_cndmask_b32_e32 v10, v10, v11, vcc
	v_rsq_f32_e32 v10, v10
	v_cvt_f32_f16_e32 v36, v9
	s_waitcnt vmcnt(0)
	v_cvt_f32_f16_sdwa v9, v3 dst_sel:DWORD dst_unused:UNUSED_PAD src0_sel:WORD_1
	v_mul_f32_e32 v11, 0x45800000, v10
	v_cndmask_b32_e32 v10, v10, v11, vcc
	v_mov_b32_e32 v11, v10
	;;#ASMSTART
	v_pk_mul_f32 v[12:13], v[18:19], v[10:11]
	;;#ASMEND
	;;#ASMSTART
	v_pk_mul_f32 v[14:15], v[32:33], v[10:11]
	;;#ASMEND
	;; [unrolled: 3-line block ×8, first 2 shown]
	v_cvt_f32_f16_sdwa v19, v6 dst_sel:DWORD dst_unused:UNUSED_PAD src0_sel:WORD_1
	v_cvt_f32_f16_e32 v18, v6
	v_cvt_f32_f16_sdwa v21, v7 dst_sel:DWORD dst_unused:UNUSED_PAD src0_sel:WORD_1
	v_cvt_f32_f16_e32 v20, v7
	;; [unrolled: 2-line block ×3, first 2 shown]
	;;#ASMSTART
	v_pk_mul_f32 v[18:19], v[12:13], v[18:19]
	;;#ASMEND
	;;#ASMSTART
	v_pk_mul_f32 v[32:33], v[14:15], v[20:21]
	;;#ASMEND
	;; [unrolled: 3-line block ×4, first 2 shown]
	v_cvt_f32_f16_sdwa v7, v2 dst_sel:DWORD dst_unused:UNUSED_PAD src0_sel:WORD_1
	v_cvt_f32_f16_e32 v6, v2
	v_cvt_f32_f16_e32 v8, v3
	v_cvt_f32_f16_sdwa v3, v4 dst_sel:DWORD dst_unused:UNUSED_PAD src0_sel:WORD_1
	v_cvt_f32_f16_e32 v2, v4
	v_cvt_f32_f16_sdwa v13, v5 dst_sel:DWORD dst_unused:UNUSED_PAD src0_sel:WORD_1
	v_cvt_f32_f16_e32 v12, v5
	;;#ASMSTART
	v_pk_mul_f32 v[30:31], v[30:31], v[6:7]
	;;#ASMEND
	;;#ASMSTART
	v_pk_mul_f32 v[28:29], v[28:29], v[8:9]
	;;#ASMEND
	;; [unrolled: 3-line block ×4, first 2 shown]
.LBB877_9:
	s_or_b64 exec, exec, s[8:9]
	s_load_dword s7, s[4:5], 0x80
	s_mov_b64 s[8:9], -1
	s_and_b64 vcc, exec, s[14:15]
	s_cbranch_vccnz .LBB877_13
; %bb.10:
	s_andn2_b64 vcc, exec, s[8:9]
	s_cbranch_vccz .LBB877_16
.LBB877_11:
	s_cmp_lt_i32 s20, 1
	s_cbranch_scc0 .LBB877_25
.LBB877_12:
	s_endpgm
.LBB877_13:
	s_and_saveexec_b64 s[14:15], s[2:3]
	s_cbranch_execz .LBB877_15
; %bb.14:
	s_waitcnt lgkmcnt(0)
	s_mul_hi_i32 s9, s7, s6
	s_mul_i32 s8, s7, s6
	s_waitcnt vmcnt(0)
	v_cvt_f16_f32_e32 v2, v18
	v_cvt_f16_f32_e32 v3, v32
	;; [unrolled: 1-line block ×8, first 2 shown]
	s_lshl_b64 s[8:9], s[8:9], 1
	s_add_u32 s8, s28, s8
	s_addc_u32 s9, s29, s9
	s_and_b32 s9, s9, 0xffff
	s_mov_b32 s11, 0x20000
	v_pack_b32_f16 v5, v5, v6
	v_pack_b32_f16 v4, v4, v7
	;; [unrolled: 1-line block ×4, first 2 shown]
	v_lshlrev_b32_e32 v6, 5, v0
	buffer_store_dwordx4 v[2:5], v6, s[8:11], 0 offen
	v_cvt_f16_f32_e32 v7, v21
	v_cvt_f16_f32_e32 v2, v30
	v_cvt_f16_f32_e32 v3, v28
	v_cvt_f16_f32_e32 v4, v22
	v_cvt_f16_f32_e32 v5, v20
	v_cvt_f16_f32_e32 v8, v23
	v_cvt_f16_f32_e32 v9, v29
	v_cvt_f16_f32_e32 v10, v31
	v_pack_b32_f16 v5, v5, v7
	v_pack_b32_f16 v4, v4, v8
	;; [unrolled: 1-line block ×4, first 2 shown]
	;;#ASMSTART
	s_nop 0
	;;#ASMEND
	buffer_store_dwordx4 v[2:5], v6, s[8:11], 16 offen
	;;#ASMSTART
	s_nop 0
	;;#ASMEND
.LBB877_15:
	s_or_b64 exec, exec, s[14:15]
	s_cbranch_execnz .LBB877_11
.LBB877_16:
	s_load_dwordx4 s[24:27], s[4:5], 0x70
	s_waitcnt vmcnt(0)
	v_mov_b32_e32 v2, 0
	s_and_saveexec_b64 s[14:15], s[2:3]
	s_cbranch_execz .LBB877_18
; %bb.17:
	s_load_dwordx2 s[8:9], s[4:5], 0x10
	s_waitcnt lgkmcnt(0)
	s_mul_hi_i32 s35, s27, s6
	s_mul_i32 s34, s27, s6
	v_cvt_f16_f32_e32 v2, v18
	v_cvt_f16_f32_e32 v3, v32
	;; [unrolled: 1-line block ×8, first 2 shown]
	s_lshl_b64 s[34:35], s[34:35], 1
	s_add_u32 s8, s8, s34
	s_addc_u32 s9, s9, s35
	s_mov_b32 s11, 0x20000
	s_and_b32 s9, s9, 0xffff
	v_pack_b32_f16 v5, v5, v6
	v_pack_b32_f16 v4, v4, v7
	;; [unrolled: 1-line block ×4, first 2 shown]
	v_lshlrev_b32_e32 v6, 5, v0
	buffer_store_dwordx4 v[2:5], v6, s[8:11], 0 offen
	v_cvt_f16_f32_e32 v7, v21
	v_cvt_f16_f32_e32 v2, v30
	;; [unrolled: 1-line block ×8, first 2 shown]
	v_pack_b32_f16 v5, v5, v7
	v_pack_b32_f16 v4, v4, v8
	;; [unrolled: 1-line block ×4, first 2 shown]
	;;#ASMSTART
	s_nop 0
	;;#ASMEND
	buffer_store_dwordx4 v[2:5], v6, s[8:11], 16 offen
	;;#ASMSTART
	s_nop 0
	;;#ASMEND
	s_nop 0
	v_mov_b32_e32 v2, 0x2edbe6ff
.LBB877_18:
	s_or_b64 exec, exec, s[14:15]
	s_and_saveexec_b64 s[8:9], s[2:3]
	s_cbranch_execz .LBB877_20
; %bb.19:
	v_and_b32_e32 v3, 0x7fffffff, v18
	v_and_b32_e32 v4, 0x7fffffff, v19
	;;#ASMSTART
	v_max3_f32 v2, v2, v3, v4

	;;#ASMEND
	v_and_b32_e32 v3, 0x7fffffff, v32
	v_and_b32_e32 v4, 0x7fffffff, v33
	;;#ASMSTART
	v_max3_f32 v2, v2, v3, v4

	;;#ASMEND
	;; [unrolled: 6-line block ×8, first 2 shown]
.LBB877_20:
	s_or_b64 exec, exec, s[8:9]
	;;#ASMSTART
	v_max_f32 v3, v2, v2 quad_perm:[1,0,3,2] row_mask:0xf bank_mask:0xf bound_ctrl:1
	;;#ASMEND
	v_mul_f32_e32 v2, 0x3b124925, v3
	v_and_b32_e32 v3, 1, v0
	v_cmp_eq_u32_e32 vcc, 0, v3
	v_cmp_gt_i32_e64 s[8:9], s19, v1
	s_and_b64 s[10:11], vcc, s[8:9]
	s_and_saveexec_b64 s[8:9], s[10:11]
	s_cbranch_execz .LBB877_22
; %bb.21:
	s_load_dwordx2 s[10:11], s[4:5], 0x8
	s_waitcnt lgkmcnt(0)
	s_mul_hi_i32 s15, s25, s6
	s_mul_i32 s14, s25, s6
	v_lshrrev_b32_e32 v3, 1, v0
	s_lshl_b64 s[14:15], s[14:15], 2
	v_mad_i64_i32 v[4:5], s[26:27], s26, v3, 0
	s_add_u32 s10, s10, s14
	s_addc_u32 s11, s11, s15
	v_lshlrev_b64 v[4:5], 2, v[4:5]
	v_mov_b32_e32 v3, s11
	v_add_co_u32_e32 v4, vcc, s10, v4
	v_addc_co_u32_e32 v5, vcc, v3, v5, vcc
	global_store_dword v[4:5], v2, off
.LBB877_22:
	s_or_b64 exec, exec, s[8:9]
	;;#ASMSTART
	v_rcp_f32 v2, v2
	;;#ASMEND
	s_and_saveexec_b64 s[14:15], s[2:3]
	s_cbranch_execz .LBB877_24
; %bb.23:
	s_load_dwordx2 s[2:3], s[4:5], 0x0
	s_waitcnt lgkmcnt(0)
	s_mul_i32 s8, s24, s6
	s_mul_hi_i32 s9, s24, s6
	v_mov_b32_e32 v3, v2
	;;#ASMSTART
	v_pk_mul_f32 v[4:5], v[18:19], v[2:3]
	;;#ASMEND
	s_add_u32 s8, s2, s8
	s_addc_u32 s2, s3, s9
	s_add_i32 s3, s19, 3
	s_ashr_i32 s10, s3, 31
	v_mov_b32_e32 v10, 0xc3e00000
	v_mov_b32_e32 v11, 0x43e00000
	;;#ASMSTART
	v_med3_f32 v4, v4, v10, v11
v_med3_f32 v5, v5, v10, v11
v_cvt_pk_fp8_f32 v6, v4, v5
	;;#ASMEND
	s_and_b32 s9, s2, 0xffff
	s_lshr_b32 s2, s10, 30
	;;#ASMSTART
	v_pk_mul_f32 v[4:5], v[32:33], v[2:3]
	;;#ASMEND
	s_add_i32 s3, s3, s2
	;;#ASMSTART
	v_med3_f32 v4, v4, v10, v11
v_med3_f32 v5, v5, v10, v11
v_cvt_pk_fp8_f32 v7, v4, v5
	;;#ASMEND
	s_mov_b32 s2, 0x5040100
	v_perm_b32 v4, v7, v6, s2
	s_mov_b32 s2, 0x1060504
	v_perm_b32 v4, v4, v7, s2
	;;#ASMSTART
	v_pk_mul_f32 v[6:7], v[26:27], v[2:3]
	;;#ASMEND
	v_mov_b32_e32 v5, v6
	;;#ASMSTART
	v_med3_f32 v5, v5, v10, v11
v_med3_f32 v7, v7, v10, v11
v_cvt_pk_fp8_f32 v8, v5, v7
	;;#ASMEND
	;;#ASMSTART
	v_pk_mul_f32 v[6:7], v[24:25], v[2:3]
	;;#ASMEND
	v_mov_b32_e32 v5, v7
	;;#ASMSTART
	v_med3_f32 v6, v6, v10, v11
v_med3_f32 v5, v5, v10, v11
v_cvt_pk_fp8_f32 v7, v6, v5
	;;#ASMEND
	s_mov_b32 s2, 0x1000504
	v_perm_b32 v5, v8, v7, s2
	;;#ASMSTART
	v_pk_mul_f32 v[6:7], v[30:31], v[2:3]
	;;#ASMEND
	;;#ASMSTART
	v_med3_f32 v6, v6, v10, v11
v_med3_f32 v7, v7, v10, v11
v_cvt_pk_fp8_f32 v8, v6, v7
	;;#ASMEND
	;;#ASMSTART
	v_pk_mul_f32 v[6:7], v[28:29], v[2:3]
	;;#ASMEND
	;;#ASMSTART
	v_med3_f32 v6, v6, v10, v11
v_med3_f32 v7, v7, v10, v11
v_cvt_pk_fp8_f32 v9, v6, v7
	;;#ASMEND
	v_perm_b32 v6, v8, v9, s2
	;;#ASMSTART
	v_pk_mul_f32 v[8:9], v[22:23], v[2:3]
	;;#ASMEND
	v_mov_b32_e32 v7, v8
	;;#ASMSTART
	v_med3_f32 v7, v7, v10, v11
v_med3_f32 v9, v9, v10, v11
v_cvt_pk_fp8_f32 v8, v7, v9
	;;#ASMEND
	;;#ASMSTART
	v_pk_mul_f32 v[2:3], v[20:21], v[2:3]
	;;#ASMEND
	;;#ASMSTART
	v_med3_f32 v2, v2, v10, v11
v_med3_f32 v3, v3, v10, v11
v_cvt_pk_fp8_f32 v7, v2, v3
	;;#ASMEND
	s_and_b32 s10, s3, -4
	s_mov_b32 s11, 0x20000
	v_perm_b32 v7, v8, v7, s2
	buffer_store_dwordx4 v[4:7], v1, s[8:11], 0 offen
	;;#ASMSTART
	s_nop 0
	;;#ASMEND
.LBB877_24:
	s_or_b64 exec, exec, s[14:15]
	s_cmp_lt_i32 s20, 1
	s_cbranch_scc1 .LBB877_12
.LBB877_25:
	s_load_dword s2, s[4:5], 0x94
	s_waitcnt lgkmcnt(0)
	s_cmp_lg_u32 s2, 1
	s_cbranch_scc1 .LBB877_12
; %bb.26:
	s_lshl_b32 s2, s20, 1
	s_add_i32 s2, s2, 2
	v_cmp_gt_u32_e32 vcc, s20, v1
	s_and_b32 s14, s2, -4
	v_mov_b32_e32 v18, 0
	v_lshlrev_b32_e32 v1, 5, v0
	v_mov_b32_e32 v14, 0
	v_mov_b32_e32 v15, 0
	;; [unrolled: 1-line block ×8, first 2 shown]
	s_waitcnt vmcnt(1)
	v_mov_b32_e32 v6, 0
	v_mov_b32_e32 v7, 0
	;; [unrolled: 1-line block ×4, first 2 shown]
	s_waitcnt vmcnt(0)
	v_mov_b32_e32 v2, 0
	v_mov_b32_e32 v3, 0
	;; [unrolled: 1-line block ×4, first 2 shown]
	s_barrier
	s_and_saveexec_b64 s[2:3], vcc
	s_cbranch_execz .LBB877_28
; %bb.27:
	s_mul_hi_i32 s5, s22, s6
	s_mul_i32 s4, s22, s6
	s_and_b32 s13, s13, 0xffff
	s_lshl_b64 s[4:5], s[4:5], 1
	s_add_u32 s8, s30, s4
	s_mov_b32 s15, 0x20000
	s_addc_u32 s4, s31, s5
	s_and_b32 s9, s4, 0xffff
	s_mov_b32 s10, s14
	s_mov_b32 s11, s15
	buffer_load_dwordx4 v[14:17], v1, s[8:11], 0 offen
	buffer_load_dwordx4 v[10:13], v1, s[8:11], 16 offen
	buffer_load_dwordx4 v[6:9], v1, s[12:15], 0 offen
	buffer_load_dwordx4 v[2:5], v1, s[12:15], 16 offen
.LBB877_28:
	s_or_b64 exec, exec, s[2:3]
	v_mov_b32_e32 v19, 0
	v_mov_b32_e32 v32, 0
	;; [unrolled: 1-line block ×15, first 2 shown]
	s_and_saveexec_b64 s[2:3], vcc
	s_cbranch_execz .LBB877_30
; %bb.29:
	s_waitcnt vmcnt(3)
	v_cvt_f32_f16_sdwa v19, v14 dst_sel:DWORD dst_unused:UNUSED_PAD src0_sel:WORD_1
	v_cvt_f32_f16_e32 v18, v14
	v_cvt_f32_f16_sdwa v33, v15 dst_sel:DWORD dst_unused:UNUSED_PAD src0_sel:WORD_1
	v_cvt_f32_f16_e32 v32, v15
	;; [unrolled: 2-line block ×4, first 2 shown]
	s_waitcnt vmcnt(2)
	v_cvt_f32_f16_sdwa v27, v10 dst_sel:DWORD dst_unused:UNUSED_PAD src0_sel:WORD_1
	v_cvt_f32_f16_e32 v26, v10
	v_cvt_f32_f16_sdwa v25, v11 dst_sel:DWORD dst_unused:UNUSED_PAD src0_sel:WORD_1
	v_cvt_f32_f16_e32 v24, v11
	;; [unrolled: 2-line block ×4, first 2 shown]
.LBB877_30:
	s_or_b64 exec, exec, s[2:3]
	s_waitcnt vmcnt(2)
	v_mul_f32_e32 v10, v19, v19
	v_fmac_f32_e32 v10, v18, v18
	v_fmac_f32_e32 v10, v32, v32
	;; [unrolled: 1-line block ×15, first 2 shown]
	s_nop 1
	v_mov_b32_dpp v11, v10 quad_perm:[1,0,3,2] row_mask:0xf bank_mask:0xf
	v_add_f32_e32 v10, v10, v11
	s_nop 1
	v_mov_b32_dpp v11, v10 quad_perm:[2,3,0,1] row_mask:0xf bank_mask:0xf
	v_add_f32_e32 v10, v10, v11
	s_nop 1
	v_mov_b32_dpp v11, v10 row_half_mirror row_mask:0xf bank_mask:0xf
	v_add_f32_e32 v10, v10, v11
	s_nop 1
	v_mov_b32_dpp v11, v10 row_mirror row_mask:0xf bank_mask:0xf
	v_add_f32_e32 v10, v10, v11
	s_nop 1
	v_mov_b32_dpp v11, v10 row_bcast:15 row_mask:0xf bank_mask:0xf
	v_add_f32_e32 v10, v10, v11
	s_nop 1
	v_mov_b32_dpp v11, v10 row_bcast:31 row_mask:0xf bank_mask:0xf
	s_and_saveexec_b64 s[2:3], s[0:1]
	s_cbranch_execz .LBB877_32
; %bb.31:
	v_lshrrev_b32_e32 v0, 4, v0
	v_add_f32_e32 v10, v10, v11
	v_and_b32_e32 v0, 60, v0
	ds_write_b32 v0, v10
.LBB877_32:
	s_or_b64 exec, exec, s[2:3]
	s_waitcnt lgkmcnt(0)
	s_barrier
	ds_read_b32 v0, v34
	s_waitcnt lgkmcnt(0)
	s_nop 0
	v_mov_b32_dpp v10, v0 quad_perm:[1,0,3,2] row_mask:0xf bank_mask:0xf
	v_add_f32_e32 v0, v0, v10
	s_nop 1
	v_mov_b32_dpp v10, v0 quad_perm:[2,3,0,1] row_mask:0xf bank_mask:0xf
	s_and_saveexec_b64 s[0:1], vcc
	s_cbranch_execz .LBB877_12
; %bb.33:
	v_cvt_f32_u32_e32 v11, s20
	v_add_f32_e32 v0, v0, v10
	s_mov_b32 s15, 0x20000
	v_div_scale_f32 v10, s[0:1], v11, v11, v0
	v_rcp_f32_e32 v12, v10
	v_div_scale_f32 v13, vcc, v0, v11, v0
	s_mov_b32 s0, 0x800000
	v_fma_f32 v14, -v10, v12, 1.0
	v_fmac_f32_e32 v12, v14, v12
	v_mul_f32_e32 v14, v13, v12
	v_fma_f32 v15, -v10, v14, v13
	v_fmac_f32_e32 v14, v15, v12
	v_fma_f32 v10, -v10, v14, v13
	v_div_fmas_f32 v10, v10, v12, v14
	v_div_fixup_f32 v0, v10, v11, v0
	v_add_f32_e32 v0, s17, v0
	v_mul_f32_e32 v10, 0x4b800000, v0
	v_cmp_gt_f32_e32 vcc, s0, v0
	v_cndmask_b32_e32 v0, v0, v10, vcc
	v_rsq_f32_e32 v0, v0
	s_mul_hi_i32 s1, s7, s6
	s_mul_i32 s0, s7, s6
	s_lshl_b64 s[0:1], s[0:1], 1
	v_mul_f32_e32 v10, 0x45800000, v0
	v_cndmask_b32_e32 v10, v0, v10, vcc
	v_mov_b32_e32 v11, v10
	;;#ASMSTART
	v_pk_mul_f32 v[12:13], v[18:19], v[10:11]
	;;#ASMEND
	;;#ASMSTART
	v_pk_mul_f32 v[14:15], v[32:33], v[10:11]
	;;#ASMEND
	;; [unrolled: 3-line block ×8, first 2 shown]
	s_waitcnt vmcnt(1)
	v_cvt_f32_f16_sdwa v21, v6 dst_sel:DWORD dst_unused:UNUSED_PAD src0_sel:WORD_1
	v_cvt_f32_f16_e32 v20, v6
	v_cvt_f32_f16_sdwa v29, v7 dst_sel:DWORD dst_unused:UNUSED_PAD src0_sel:WORD_1
	v_cvt_f32_f16_e32 v28, v7
	;; [unrolled: 2-line block ×4, first 2 shown]
	;;#ASMSTART
	v_pk_mul_f32 v[8:9], v[12:13], v[20:21]
	;;#ASMEND
	;;#ASMSTART
	v_pk_mul_f32 v[12:13], v[14:15], v[28:29]
	;;#ASMEND
	;; [unrolled: 3-line block ×4, first 2 shown]
	s_waitcnt vmcnt(0)
	v_cvt_f32_f16_sdwa v17, v2 dst_sel:DWORD dst_unused:UNUSED_PAD src0_sel:WORD_1
	v_cvt_f32_f16_e32 v16, v2
	v_cvt_f32_f16_sdwa v19, v3 dst_sel:DWORD dst_unused:UNUSED_PAD src0_sel:WORD_1
	v_cvt_f32_f16_e32 v18, v3
	;; [unrolled: 2-line block ×4, first 2 shown]
	;;#ASMSTART
	v_pk_mul_f32 v[16:17], v[26:27], v[16:17]
	;;#ASMEND
	;;#ASMSTART
	v_pk_mul_f32 v[18:19], v[24:25], v[18:19]
	;;#ASMEND
	;; [unrolled: 3-line block ×3, first 2 shown]
	v_cvt_f16_f32_e32 v0, v8
	v_cvt_f16_f32_e32 v2, v9
	;; [unrolled: 1-line block ×8, first 2 shown]
	s_add_u32 s12, s28, s0
	s_addc_u32 s0, s29, s1
	s_and_b32 s13, s0, 0xffff
	v_pack_b32_f16 v2, v0, v2
	v_pack_b32_f16 v3, v3, v4
	;; [unrolled: 1-line block ×4, first 2 shown]
	;;#ASMSTART
	v_pk_mul_f32 v[10:11], v[10:11], v[20:21]
	;;#ASMEND
	buffer_store_dwordx4 v[2:5], v1, s[12:15], 0 offen
	v_cvt_f16_f32_e32 v0, v16
	v_cvt_f16_f32_e32 v2, v17
	;; [unrolled: 1-line block ×8, first 2 shown]
	v_pack_b32_f16 v2, v0, v2
	v_pack_b32_f16 v3, v3, v4
	;; [unrolled: 1-line block ×4, first 2 shown]
	;;#ASMSTART
	s_nop 0
	;;#ASMEND
	buffer_store_dwordx4 v[2:5], v1, s[12:15], 16 offen
	;;#ASMSTART
	s_nop 0
	;;#ASMEND
	s_endpgm
	.section	.rodata,"a",@progbits
	.p2align	6, 0x0
	.amdhsa_kernel _ZN5aiter35fused_qk_rmsnorm_group_quant_kernelIDF16_DB8_Li256ELi16ELi2ELb0ELb1ELb0ELb0ELb0ELb0EEEvPT0_PvPT_S6_S6_PKS5_S8_S8_S8_S8_ffiiiiiiiiiiiii
		.amdhsa_group_segment_fixed_size 32
		.amdhsa_private_segment_fixed_size 0
		.amdhsa_kernarg_size 400
		.amdhsa_user_sgpr_count 6
		.amdhsa_user_sgpr_private_segment_buffer 1
		.amdhsa_user_sgpr_dispatch_ptr 0
		.amdhsa_user_sgpr_queue_ptr 0
		.amdhsa_user_sgpr_kernarg_segment_ptr 1
		.amdhsa_user_sgpr_dispatch_id 0
		.amdhsa_user_sgpr_flat_scratch_init 0
		.amdhsa_user_sgpr_kernarg_preload_length 0
		.amdhsa_user_sgpr_kernarg_preload_offset 0
		.amdhsa_user_sgpr_private_segment_size 0
		.amdhsa_uses_dynamic_stack 0
		.amdhsa_system_sgpr_private_segment_wavefront_offset 0
		.amdhsa_system_sgpr_workgroup_id_x 1
		.amdhsa_system_sgpr_workgroup_id_y 1
		.amdhsa_system_sgpr_workgroup_id_z 0
		.amdhsa_system_sgpr_workgroup_info 0
		.amdhsa_system_vgpr_workitem_id 0
		.amdhsa_next_free_vgpr 38
		.amdhsa_next_free_sgpr 36
		.amdhsa_accum_offset 40
		.amdhsa_reserve_vcc 1
		.amdhsa_reserve_flat_scratch 0
		.amdhsa_float_round_mode_32 0
		.amdhsa_float_round_mode_16_64 0
		.amdhsa_float_denorm_mode_32 3
		.amdhsa_float_denorm_mode_16_64 3
		.amdhsa_dx10_clamp 1
		.amdhsa_ieee_mode 1
		.amdhsa_fp16_overflow 0
		.amdhsa_tg_split 0
		.amdhsa_exception_fp_ieee_invalid_op 0
		.amdhsa_exception_fp_denorm_src 0
		.amdhsa_exception_fp_ieee_div_zero 0
		.amdhsa_exception_fp_ieee_overflow 0
		.amdhsa_exception_fp_ieee_underflow 0
		.amdhsa_exception_fp_ieee_inexact 0
		.amdhsa_exception_int_div_zero 0
	.end_amdhsa_kernel
	.section	.text._ZN5aiter35fused_qk_rmsnorm_group_quant_kernelIDF16_DB8_Li256ELi16ELi2ELb0ELb1ELb0ELb0ELb0ELb0EEEvPT0_PvPT_S6_S6_PKS5_S8_S8_S8_S8_ffiiiiiiiiiiiii,"axG",@progbits,_ZN5aiter35fused_qk_rmsnorm_group_quant_kernelIDF16_DB8_Li256ELi16ELi2ELb0ELb1ELb0ELb0ELb0ELb0EEEvPT0_PvPT_S6_S6_PKS5_S8_S8_S8_S8_ffiiiiiiiiiiiii,comdat
.Lfunc_end877:
	.size	_ZN5aiter35fused_qk_rmsnorm_group_quant_kernelIDF16_DB8_Li256ELi16ELi2ELb0ELb1ELb0ELb0ELb0ELb0EEEvPT0_PvPT_S6_S6_PKS5_S8_S8_S8_S8_ffiiiiiiiiiiiii, .Lfunc_end877-_ZN5aiter35fused_qk_rmsnorm_group_quant_kernelIDF16_DB8_Li256ELi16ELi2ELb0ELb1ELb0ELb0ELb0ELb0EEEvPT0_PvPT_S6_S6_PKS5_S8_S8_S8_S8_ffiiiiiiiiiiiii
                                        ; -- End function
	.section	.AMDGPU.csdata,"",@progbits
; Kernel info:
; codeLenInByte = 3640
; NumSgprs: 40
; NumVgprs: 38
; NumAgprs: 0
; TotalNumVgprs: 38
; ScratchSize: 0
; MemoryBound: 0
; FloatMode: 240
; IeeeMode: 1
; LDSByteSize: 32 bytes/workgroup (compile time only)
; SGPRBlocks: 4
; VGPRBlocks: 4
; NumSGPRsForWavesPerEU: 40
; NumVGPRsForWavesPerEU: 38
; AccumOffset: 40
; Occupancy: 8
; WaveLimiterHint : 0
; COMPUTE_PGM_RSRC2:SCRATCH_EN: 0
; COMPUTE_PGM_RSRC2:USER_SGPR: 6
; COMPUTE_PGM_RSRC2:TRAP_HANDLER: 0
; COMPUTE_PGM_RSRC2:TGID_X_EN: 1
; COMPUTE_PGM_RSRC2:TGID_Y_EN: 1
; COMPUTE_PGM_RSRC2:TGID_Z_EN: 0
; COMPUTE_PGM_RSRC2:TIDIG_COMP_CNT: 0
; COMPUTE_PGM_RSRC3_GFX90A:ACCUM_OFFSET: 9
; COMPUTE_PGM_RSRC3_GFX90A:TG_SPLIT: 0
	.section	.text._ZN5aiter35fused_qk_rmsnorm_group_quant_kernelItDB8_Li256ELi16ELi2ELb0ELb1ELb0ELb0ELb0ELb0EEEvPT0_PvPT_S6_S6_PKS5_S8_S8_S8_S8_ffiiiiiiiiiiiii,"axG",@progbits,_ZN5aiter35fused_qk_rmsnorm_group_quant_kernelItDB8_Li256ELi16ELi2ELb0ELb1ELb0ELb0ELb0ELb0EEEvPT0_PvPT_S6_S6_PKS5_S8_S8_S8_S8_ffiiiiiiiiiiiii,comdat
	.protected	_ZN5aiter35fused_qk_rmsnorm_group_quant_kernelItDB8_Li256ELi16ELi2ELb0ELb1ELb0ELb0ELb0ELb0EEEvPT0_PvPT_S6_S6_PKS5_S8_S8_S8_S8_ffiiiiiiiiiiiii ; -- Begin function _ZN5aiter35fused_qk_rmsnorm_group_quant_kernelItDB8_Li256ELi16ELi2ELb0ELb1ELb0ELb0ELb0ELb0EEEvPT0_PvPT_S6_S6_PKS5_S8_S8_S8_S8_ffiiiiiiiiiiiii
	.globl	_ZN5aiter35fused_qk_rmsnorm_group_quant_kernelItDB8_Li256ELi16ELi2ELb0ELb1ELb0ELb0ELb0ELb0EEEvPT0_PvPT_S6_S6_PKS5_S8_S8_S8_S8_ffiiiiiiiiiiiii
	.p2align	8
	.type	_ZN5aiter35fused_qk_rmsnorm_group_quant_kernelItDB8_Li256ELi16ELi2ELb0ELb1ELb0ELb0ELb0ELb0EEEvPT0_PvPT_S6_S6_PKS5_S8_S8_S8_S8_ffiiiiiiiiiiiii,@function
_ZN5aiter35fused_qk_rmsnorm_group_quant_kernelItDB8_Li256ELi16ELi2ELb0ELb1ELb0ELb0ELb0ELb0EEEvPT0_PvPT_S6_S6_PKS5_S8_S8_S8_S8_ffiiiiiiiiiiiii: ; @_ZN5aiter35fused_qk_rmsnorm_group_quant_kernelItDB8_Li256ELi16ELi2ELb0ELb1ELb0ELb0ELb0ELb0EEEvPT0_PvPT_S6_S6_PKS5_S8_S8_S8_S8_ffiiiiiiiiiiiii
; %bb.0:
	s_load_dwordx4 s[16:19], s[4:5], 0x50
	s_waitcnt lgkmcnt(0)
	s_cmp_ge_i32 s6, s18
	s_cbranch_scc1 .LBB878_12
; %bb.1:
	s_load_dwordx2 s[12:13], s[4:5], 0x48
	s_load_dwordx2 s[30:31], s[4:5], 0x30
	s_load_dwordx4 s[20:23], s[4:5], 0x60
	s_cmp_lg_u32 s7, 0
	s_cselect_b64 s[14:15], -1, 0
	s_cmp_eq_u32 s7, 0
	s_cselect_b64 vcc, -1, 0
	s_and_b64 s[0:1], vcc, exec
	s_waitcnt lgkmcnt(0)
	s_cselect_b32 s7, s19, s20
	s_add_i32 s0, s7, 1
	s_lshr_b32 s1, s0, 31
	s_add_i32 s0, s0, s1
	s_lshl_b32 s0, s0, 1
	v_lshlrev_b32_e32 v1, 4, v0
	s_and_b32 s10, s0, -4
	v_cmp_gt_i32_e64 s[2:3], s7, v1
	v_mov_b32_e32 v18, 0
	v_mov_b32_e32 v6, 0
	;; [unrolled: 1-line block ×17, first 2 shown]
	s_and_saveexec_b64 s[0:1], s[2:3]
	s_cbranch_execz .LBB878_3
; %bb.2:
	s_load_dwordx2 s[8:9], s[4:5], 0x28
	s_load_dwordx2 s[26:27], s[4:5], 0x40
	s_and_b64 s[24:25], vcc, exec
	s_cselect_b32 s11, s21, s22
	v_lshlrev_b32_e32 v19, 5, v0
	s_waitcnt lgkmcnt(0)
	s_cselect_b32 s18, s9, s31
	s_cselect_b32 s21, s8, s30
	s_mul_hi_i32 s9, s11, s6
	s_mul_i32 s8, s11, s6
	s_lshl_b64 s[8:9], s[8:9], 1
	s_add_u32 s24, s21, s8
	s_addc_u32 s18, s18, s9
	s_and_b64 s[8:9], vcc, exec
	s_mov_b32 s11, 0x20000
	s_cselect_b32 s8, s26, s12
	s_cselect_b32 s9, s27, s13
	s_and_b32 s25, s18, 0xffff
	s_mov_b32 s26, s10
	s_mov_b32 s27, s11
	s_and_b32 s9, s9, 0xffff
	buffer_load_dwordx4 v[14:17], v19, s[24:27], 0 offen
	buffer_load_dwordx4 v[10:13], v19, s[24:27], 16 offen
	;; [unrolled: 1-line block ×4, first 2 shown]
.LBB878_3:
	s_or_b64 exec, exec, s[0:1]
	v_mov_b32_e32 v19, 0
	v_mov_b32_e32 v32, 0
	;; [unrolled: 1-line block ×15, first 2 shown]
	s_and_saveexec_b64 s[0:1], s[2:3]
	s_cbranch_execz .LBB878_5
; %bb.4:
	s_waitcnt vmcnt(3)
	v_cvt_f32_u32_sdwa v18, v14 dst_sel:DWORD dst_unused:UNUSED_PAD src0_sel:WORD_0
	v_cvt_f32_u32_sdwa v19, v14 dst_sel:DWORD dst_unused:UNUSED_PAD src0_sel:WORD_1
	v_cvt_f32_u32_sdwa v32, v15 dst_sel:DWORD dst_unused:UNUSED_PAD src0_sel:WORD_0
	v_cvt_f32_u32_sdwa v33, v15 dst_sel:DWORD dst_unused:UNUSED_PAD src0_sel:WORD_1
	;; [unrolled: 2-line block ×4, first 2 shown]
	s_waitcnt vmcnt(2)
	v_cvt_f32_u32_sdwa v30, v10 dst_sel:DWORD dst_unused:UNUSED_PAD src0_sel:WORD_0
	v_cvt_f32_u32_sdwa v31, v10 dst_sel:DWORD dst_unused:UNUSED_PAD src0_sel:WORD_1
	v_cvt_f32_u32_sdwa v28, v11 dst_sel:DWORD dst_unused:UNUSED_PAD src0_sel:WORD_0
	v_cvt_f32_u32_sdwa v29, v11 dst_sel:DWORD dst_unused:UNUSED_PAD src0_sel:WORD_1
	;; [unrolled: 2-line block ×4, first 2 shown]
.LBB878_5:
	s_or_b64 exec, exec, s[0:1]
	s_waitcnt vmcnt(2)
	v_mul_f32_e32 v10, v19, v19
	v_fmac_f32_e32 v10, v18, v18
	v_fmac_f32_e32 v10, v32, v32
	;; [unrolled: 1-line block ×15, first 2 shown]
	v_and_b32_e32 v12, 63, v0
	v_cmp_eq_u32_e64 s[0:1], 63, v12
	v_mov_b32_dpp v11, v10 quad_perm:[1,0,3,2] row_mask:0xf bank_mask:0xf
	v_add_f32_e32 v10, v10, v11
	s_nop 1
	v_mov_b32_dpp v11, v10 quad_perm:[2,3,0,1] row_mask:0xf bank_mask:0xf
	v_add_f32_e32 v10, v10, v11
	s_nop 1
	v_mov_b32_dpp v11, v10 row_half_mirror row_mask:0xf bank_mask:0xf
	v_add_f32_e32 v10, v10, v11
	s_nop 1
	v_mov_b32_dpp v11, v10 row_mirror row_mask:0xf bank_mask:0xf
	v_add_f32_e32 v10, v10, v11
	s_nop 1
	v_mov_b32_dpp v11, v10 row_bcast:15 row_mask:0xf bank_mask:0xf
	v_add_f32_e32 v10, v10, v11
	s_nop 1
	v_mov_b32_dpp v11, v10 row_bcast:31 row_mask:0xf bank_mask:0xf
	s_and_saveexec_b64 s[8:9], s[0:1]
	s_cbranch_execz .LBB878_7
; %bb.6:
	v_add_f32_e32 v10, v10, v11
	v_lshrrev_b32_e32 v11, 4, v0
	v_and_b32_e32 v11, 60, v11
	ds_write_b32 v11, v10 offset:16
.LBB878_7:
	s_or_b64 exec, exec, s[8:9]
	v_and_b32_e32 v10, 3, v0
	v_lshlrev_b32_e32 v34, 2, v10
	s_waitcnt lgkmcnt(0)
	s_barrier
	ds_read_b32 v10, v34 offset:16
	s_load_dwordx2 s[28:29], s[4:5], 0x18
	s_waitcnt lgkmcnt(0)
	v_mov_b32_dpp v11, v10 quad_perm:[1,0,3,2] row_mask:0xf bank_mask:0xf
	v_add_f32_e32 v10, v10, v11
	s_nop 1
	v_mov_b32_dpp v11, v10 quad_perm:[2,3,0,1] row_mask:0xf bank_mask:0xf
	s_and_saveexec_b64 s[8:9], s[2:3]
	s_cbranch_execz .LBB878_9
; %bb.8:
	v_cvt_f32_u32_e32 v12, s7
	v_add_f32_e32 v10, v10, v11
	v_mov_b32_e32 v14, s17
	v_mov_b32_e32 v15, s16
	v_div_scale_f32 v11, s[24:25], v12, v12, v10
	v_rcp_f32_e32 v13, v11
	v_cndmask_b32_e32 v14, v14, v15, vcc
	s_mov_b32 s7, 0x800000
	s_waitcnt vmcnt(1)
	v_cvt_f32_u32_sdwa v37, v9 dst_sel:DWORD dst_unused:UNUSED_PAD src0_sel:WORD_1
	v_fma_f32 v15, -v11, v13, 1.0
	v_fmac_f32_e32 v13, v15, v13
	v_div_scale_f32 v15, vcc, v10, v12, v10
	v_mul_f32_e32 v16, v15, v13
	v_fma_f32 v17, -v11, v16, v15
	v_fmac_f32_e32 v16, v17, v13
	v_fma_f32 v11, -v11, v16, v15
	v_div_fmas_f32 v11, v11, v13, v16
	v_div_fixup_f32 v10, v11, v12, v10
	v_add_f32_e32 v10, v14, v10
	v_mul_f32_e32 v11, 0x4b800000, v10
	v_cmp_gt_f32_e32 vcc, s7, v10
	v_cndmask_b32_e32 v10, v10, v11, vcc
	v_rsq_f32_e32 v10, v10
	v_cvt_f32_u32_sdwa v36, v9 dst_sel:DWORD dst_unused:UNUSED_PAD src0_sel:WORD_0
	s_waitcnt vmcnt(0)
	v_cvt_f32_u32_sdwa v9, v3 dst_sel:DWORD dst_unused:UNUSED_PAD src0_sel:WORD_1
	v_mul_f32_e32 v11, 0x45800000, v10
	v_cndmask_b32_e32 v10, v10, v11, vcc
	v_mov_b32_e32 v11, v10
	;;#ASMSTART
	v_pk_mul_f32 v[12:13], v[18:19], v[10:11]
	;;#ASMEND
	;;#ASMSTART
	v_pk_mul_f32 v[14:15], v[32:33], v[10:11]
	;;#ASMEND
	;; [unrolled: 3-line block ×8, first 2 shown]
	v_cvt_f32_u32_sdwa v19, v6 dst_sel:DWORD dst_unused:UNUSED_PAD src0_sel:WORD_1
	v_cvt_f32_u32_sdwa v18, v6 dst_sel:DWORD dst_unused:UNUSED_PAD src0_sel:WORD_0
	v_cvt_f32_u32_sdwa v21, v7 dst_sel:DWORD dst_unused:UNUSED_PAD src0_sel:WORD_1
	v_cvt_f32_u32_sdwa v20, v7 dst_sel:DWORD dst_unused:UNUSED_PAD src0_sel:WORD_0
	;; [unrolled: 2-line block ×3, first 2 shown]
	;;#ASMSTART
	v_pk_mul_f32 v[18:19], v[12:13], v[18:19]
	;;#ASMEND
	;;#ASMSTART
	v_pk_mul_f32 v[32:33], v[14:15], v[20:21]
	;;#ASMEND
	;; [unrolled: 3-line block ×4, first 2 shown]
	v_cvt_f32_u32_sdwa v7, v2 dst_sel:DWORD dst_unused:UNUSED_PAD src0_sel:WORD_1
	v_cvt_f32_u32_sdwa v6, v2 dst_sel:DWORD dst_unused:UNUSED_PAD src0_sel:WORD_0
	v_cvt_f32_u32_sdwa v8, v3 dst_sel:DWORD dst_unused:UNUSED_PAD src0_sel:WORD_0
	v_cvt_f32_u32_sdwa v3, v4 dst_sel:DWORD dst_unused:UNUSED_PAD src0_sel:WORD_1
	v_cvt_f32_u32_sdwa v2, v4 dst_sel:DWORD dst_unused:UNUSED_PAD src0_sel:WORD_0
	v_cvt_f32_u32_sdwa v13, v5 dst_sel:DWORD dst_unused:UNUSED_PAD src0_sel:WORD_1
	v_cvt_f32_u32_sdwa v12, v5 dst_sel:DWORD dst_unused:UNUSED_PAD src0_sel:WORD_0
	;;#ASMSTART
	v_pk_mul_f32 v[30:31], v[30:31], v[6:7]
	;;#ASMEND
	;;#ASMSTART
	v_pk_mul_f32 v[28:29], v[28:29], v[8:9]
	;;#ASMEND
	;; [unrolled: 3-line block ×4, first 2 shown]
.LBB878_9:
	s_or_b64 exec, exec, s[8:9]
	s_load_dword s7, s[4:5], 0x80
	s_mov_b64 s[8:9], -1
	s_and_b64 vcc, exec, s[14:15]
	s_cbranch_vccnz .LBB878_13
; %bb.10:
	s_andn2_b64 vcc, exec, s[8:9]
	s_cbranch_vccz .LBB878_16
.LBB878_11:
	s_cmp_lt_i32 s20, 1
	s_cbranch_scc0 .LBB878_25
.LBB878_12:
	s_endpgm
.LBB878_13:
	s_and_saveexec_b64 s[14:15], s[2:3]
	s_cbranch_execz .LBB878_15
; %bb.14:
	s_waitcnt lgkmcnt(0)
	s_mul_hi_i32 s9, s7, s6
	s_mul_i32 s8, s7, s6
	s_lshl_b64 s[8:9], s[8:9], 1
	s_add_u32 s8, s28, s8
	s_addc_u32 s9, s29, s9
	s_mov_b32 s16, 0x7060302
	s_and_b32 s9, s9, 0xffff
	s_mov_b32 s11, 0x20000
	s_waitcnt vmcnt(0)
	v_perm_b32 v5, v25, v24, s16
	v_perm_b32 v4, v27, v26, s16
	;; [unrolled: 1-line block ×4, first 2 shown]
	v_lshlrev_b32_e32 v6, 5, v0
	buffer_store_dwordx4 v[2:5], v6, s[8:11], 0 offen
	;;#ASMSTART
	s_nop 0
	;;#ASMEND
	s_nop 0
	v_perm_b32 v5, v21, v20, s16
	v_perm_b32 v4, v23, v22, s16
	;; [unrolled: 1-line block ×4, first 2 shown]
	buffer_store_dwordx4 v[2:5], v6, s[8:11], 16 offen
	;;#ASMSTART
	s_nop 0
	;;#ASMEND
.LBB878_15:
	s_or_b64 exec, exec, s[14:15]
	s_cbranch_execnz .LBB878_11
.LBB878_16:
	s_load_dwordx4 s[24:27], s[4:5], 0x70
	s_waitcnt vmcnt(0)
	v_mov_b32_e32 v2, 0
	s_and_saveexec_b64 s[14:15], s[2:3]
	s_cbranch_execz .LBB878_18
; %bb.17:
	s_load_dwordx2 s[8:9], s[4:5], 0x10
	s_waitcnt lgkmcnt(0)
	s_mul_hi_i32 s35, s27, s6
	s_mul_i32 s34, s27, s6
	s_lshl_b64 s[34:35], s[34:35], 1
	s_mov_b32 s16, 0x7060302
	s_add_u32 s8, s8, s34
	s_addc_u32 s9, s9, s35
	s_mov_b32 s11, 0x20000
	s_and_b32 s9, s9, 0xffff
	v_perm_b32 v5, v25, v24, s16
	v_perm_b32 v4, v27, v26, s16
	;; [unrolled: 1-line block ×4, first 2 shown]
	v_lshlrev_b32_e32 v6, 5, v0
	buffer_store_dwordx4 v[2:5], v6, s[8:11], 0 offen
	;;#ASMSTART
	s_nop 0
	;;#ASMEND
	s_nop 0
	v_perm_b32 v5, v21, v20, s16
	v_perm_b32 v4, v23, v22, s16
	;; [unrolled: 1-line block ×4, first 2 shown]
	buffer_store_dwordx4 v[2:5], v6, s[8:11], 16 offen
	;;#ASMSTART
	s_nop 0
	;;#ASMEND
	s_nop 0
	v_mov_b32_e32 v2, 0x2edbe6ff
.LBB878_18:
	s_or_b64 exec, exec, s[14:15]
	s_and_saveexec_b64 s[8:9], s[2:3]
	s_cbranch_execz .LBB878_20
; %bb.19:
	v_and_b32_e32 v3, 0x7fffffff, v18
	v_and_b32_e32 v4, 0x7fffffff, v19
	;;#ASMSTART
	v_max3_f32 v2, v2, v3, v4

	;;#ASMEND
	v_and_b32_e32 v3, 0x7fffffff, v32
	v_and_b32_e32 v4, 0x7fffffff, v33
	;;#ASMSTART
	v_max3_f32 v2, v2, v3, v4

	;;#ASMEND
	;; [unrolled: 6-line block ×8, first 2 shown]
.LBB878_20:
	s_or_b64 exec, exec, s[8:9]
	;;#ASMSTART
	v_max_f32 v3, v2, v2 quad_perm:[1,0,3,2] row_mask:0xf bank_mask:0xf bound_ctrl:1
	;;#ASMEND
	v_mul_f32_e32 v2, 0x3b124925, v3
	v_and_b32_e32 v3, 1, v0
	v_cmp_eq_u32_e32 vcc, 0, v3
	v_cmp_gt_i32_e64 s[8:9], s19, v1
	s_and_b64 s[10:11], vcc, s[8:9]
	s_and_saveexec_b64 s[8:9], s[10:11]
	s_cbranch_execz .LBB878_22
; %bb.21:
	s_load_dwordx2 s[10:11], s[4:5], 0x8
	s_waitcnt lgkmcnt(0)
	s_mul_hi_i32 s15, s25, s6
	s_mul_i32 s14, s25, s6
	v_lshrrev_b32_e32 v3, 1, v0
	s_lshl_b64 s[14:15], s[14:15], 2
	v_mad_i64_i32 v[4:5], s[26:27], s26, v3, 0
	s_add_u32 s10, s10, s14
	s_addc_u32 s11, s11, s15
	v_lshlrev_b64 v[4:5], 2, v[4:5]
	v_mov_b32_e32 v3, s11
	v_add_co_u32_e32 v4, vcc, s10, v4
	v_addc_co_u32_e32 v5, vcc, v3, v5, vcc
	global_store_dword v[4:5], v2, off
.LBB878_22:
	s_or_b64 exec, exec, s[8:9]
	;;#ASMSTART
	v_rcp_f32 v2, v2
	;;#ASMEND
	s_and_saveexec_b64 s[14:15], s[2:3]
	s_cbranch_execz .LBB878_24
; %bb.23:
	s_load_dwordx2 s[2:3], s[4:5], 0x0
	s_waitcnt lgkmcnt(0)
	s_mul_i32 s8, s24, s6
	s_mul_hi_i32 s9, s24, s6
	v_mov_b32_e32 v3, v2
	;;#ASMSTART
	v_pk_mul_f32 v[4:5], v[18:19], v[2:3]
	;;#ASMEND
	s_add_u32 s8, s2, s8
	s_addc_u32 s2, s3, s9
	s_add_i32 s3, s19, 3
	s_ashr_i32 s10, s3, 31
	v_mov_b32_e32 v10, 0xc3e00000
	v_mov_b32_e32 v11, 0x43e00000
	;;#ASMSTART
	v_med3_f32 v4, v4, v10, v11
v_med3_f32 v5, v5, v10, v11
v_cvt_pk_fp8_f32 v6, v4, v5
	;;#ASMEND
	s_and_b32 s9, s2, 0xffff
	s_lshr_b32 s2, s10, 30
	;;#ASMSTART
	v_pk_mul_f32 v[4:5], v[32:33], v[2:3]
	;;#ASMEND
	s_add_i32 s3, s3, s2
	;;#ASMSTART
	v_med3_f32 v4, v4, v10, v11
v_med3_f32 v5, v5, v10, v11
v_cvt_pk_fp8_f32 v7, v4, v5
	;;#ASMEND
	s_mov_b32 s2, 0x5040100
	v_perm_b32 v4, v7, v6, s2
	s_mov_b32 s2, 0x1060504
	v_perm_b32 v4, v4, v7, s2
	;;#ASMSTART
	v_pk_mul_f32 v[6:7], v[26:27], v[2:3]
	;;#ASMEND
	v_mov_b32_e32 v5, v6
	;;#ASMSTART
	v_med3_f32 v5, v5, v10, v11
v_med3_f32 v7, v7, v10, v11
v_cvt_pk_fp8_f32 v8, v5, v7
	;;#ASMEND
	;;#ASMSTART
	v_pk_mul_f32 v[6:7], v[24:25], v[2:3]
	;;#ASMEND
	v_mov_b32_e32 v5, v7
	;;#ASMSTART
	v_med3_f32 v6, v6, v10, v11
v_med3_f32 v5, v5, v10, v11
v_cvt_pk_fp8_f32 v7, v6, v5
	;;#ASMEND
	s_mov_b32 s2, 0x1000504
	v_perm_b32 v5, v8, v7, s2
	;;#ASMSTART
	v_pk_mul_f32 v[6:7], v[30:31], v[2:3]
	;;#ASMEND
	;;#ASMSTART
	v_med3_f32 v6, v6, v10, v11
v_med3_f32 v7, v7, v10, v11
v_cvt_pk_fp8_f32 v8, v6, v7
	;;#ASMEND
	;;#ASMSTART
	v_pk_mul_f32 v[6:7], v[28:29], v[2:3]
	;;#ASMEND
	;;#ASMSTART
	v_med3_f32 v6, v6, v10, v11
v_med3_f32 v7, v7, v10, v11
v_cvt_pk_fp8_f32 v9, v6, v7
	;;#ASMEND
	v_perm_b32 v6, v8, v9, s2
	;;#ASMSTART
	v_pk_mul_f32 v[8:9], v[22:23], v[2:3]
	;;#ASMEND
	v_mov_b32_e32 v7, v8
	;;#ASMSTART
	v_med3_f32 v7, v7, v10, v11
v_med3_f32 v9, v9, v10, v11
v_cvt_pk_fp8_f32 v8, v7, v9
	;;#ASMEND
	;;#ASMSTART
	v_pk_mul_f32 v[2:3], v[20:21], v[2:3]
	;;#ASMEND
	;;#ASMSTART
	v_med3_f32 v2, v2, v10, v11
v_med3_f32 v3, v3, v10, v11
v_cvt_pk_fp8_f32 v7, v2, v3
	;;#ASMEND
	s_and_b32 s10, s3, -4
	s_mov_b32 s11, 0x20000
	v_perm_b32 v7, v8, v7, s2
	buffer_store_dwordx4 v[4:7], v1, s[8:11], 0 offen
	;;#ASMSTART
	s_nop 0
	;;#ASMEND
.LBB878_24:
	s_or_b64 exec, exec, s[14:15]
	s_cmp_lt_i32 s20, 1
	s_cbranch_scc1 .LBB878_12
.LBB878_25:
	s_load_dword s2, s[4:5], 0x94
	s_waitcnt lgkmcnt(0)
	s_cmp_lg_u32 s2, 1
	s_cbranch_scc1 .LBB878_12
; %bb.26:
	s_lshl_b32 s2, s20, 1
	s_add_i32 s2, s2, 2
	v_cmp_gt_u32_e32 vcc, s20, v1
	s_and_b32 s14, s2, -4
	v_mov_b32_e32 v18, 0
	v_lshlrev_b32_e32 v1, 5, v0
	v_mov_b32_e32 v14, 0
	v_mov_b32_e32 v15, 0
	;; [unrolled: 1-line block ×8, first 2 shown]
	s_waitcnt vmcnt(1)
	v_mov_b32_e32 v6, 0
	v_mov_b32_e32 v7, 0
	;; [unrolled: 1-line block ×4, first 2 shown]
	s_waitcnt vmcnt(0)
	v_mov_b32_e32 v2, 0
	v_mov_b32_e32 v3, 0
	;; [unrolled: 1-line block ×4, first 2 shown]
	s_barrier
	s_and_saveexec_b64 s[2:3], vcc
	s_cbranch_execz .LBB878_28
; %bb.27:
	s_mul_hi_i32 s5, s22, s6
	s_mul_i32 s4, s22, s6
	s_and_b32 s13, s13, 0xffff
	s_lshl_b64 s[4:5], s[4:5], 1
	s_add_u32 s8, s30, s4
	s_mov_b32 s15, 0x20000
	s_addc_u32 s4, s31, s5
	s_and_b32 s9, s4, 0xffff
	s_mov_b32 s10, s14
	s_mov_b32 s11, s15
	buffer_load_dwordx4 v[14:17], v1, s[8:11], 0 offen
	buffer_load_dwordx4 v[10:13], v1, s[8:11], 16 offen
	;; [unrolled: 1-line block ×4, first 2 shown]
.LBB878_28:
	s_or_b64 exec, exec, s[2:3]
	v_mov_b32_e32 v19, 0
	v_mov_b32_e32 v32, 0
	;; [unrolled: 1-line block ×15, first 2 shown]
	s_and_saveexec_b64 s[2:3], vcc
	s_cbranch_execz .LBB878_30
; %bb.29:
	s_waitcnt vmcnt(3)
	v_cvt_f32_u32_sdwa v18, v14 dst_sel:DWORD dst_unused:UNUSED_PAD src0_sel:WORD_0
	v_cvt_f32_u32_sdwa v19, v14 dst_sel:DWORD dst_unused:UNUSED_PAD src0_sel:WORD_1
	v_cvt_f32_u32_sdwa v32, v15 dst_sel:DWORD dst_unused:UNUSED_PAD src0_sel:WORD_0
	v_cvt_f32_u32_sdwa v33, v15 dst_sel:DWORD dst_unused:UNUSED_PAD src0_sel:WORD_1
	v_cvt_f32_u32_sdwa v30, v16 dst_sel:DWORD dst_unused:UNUSED_PAD src0_sel:WORD_0
	v_cvt_f32_u32_sdwa v31, v16 dst_sel:DWORD dst_unused:UNUSED_PAD src0_sel:WORD_1
	v_cvt_f32_u32_sdwa v28, v17 dst_sel:DWORD dst_unused:UNUSED_PAD src0_sel:WORD_0
	v_cvt_f32_u32_sdwa v29, v17 dst_sel:DWORD dst_unused:UNUSED_PAD src0_sel:WORD_1
	s_waitcnt vmcnt(2)
	v_cvt_f32_u32_sdwa v26, v10 dst_sel:DWORD dst_unused:UNUSED_PAD src0_sel:WORD_0
	v_cvt_f32_u32_sdwa v27, v10 dst_sel:DWORD dst_unused:UNUSED_PAD src0_sel:WORD_1
	v_cvt_f32_u32_sdwa v24, v11 dst_sel:DWORD dst_unused:UNUSED_PAD src0_sel:WORD_0
	v_cvt_f32_u32_sdwa v25, v11 dst_sel:DWORD dst_unused:UNUSED_PAD src0_sel:WORD_1
	;; [unrolled: 2-line block ×4, first 2 shown]
.LBB878_30:
	s_or_b64 exec, exec, s[2:3]
	s_waitcnt vmcnt(2)
	v_mul_f32_e32 v10, v19, v19
	v_fmac_f32_e32 v10, v18, v18
	v_fmac_f32_e32 v10, v32, v32
	;; [unrolled: 1-line block ×15, first 2 shown]
	s_nop 1
	v_mov_b32_dpp v11, v10 quad_perm:[1,0,3,2] row_mask:0xf bank_mask:0xf
	v_add_f32_e32 v10, v10, v11
	s_nop 1
	v_mov_b32_dpp v11, v10 quad_perm:[2,3,0,1] row_mask:0xf bank_mask:0xf
	v_add_f32_e32 v10, v10, v11
	s_nop 1
	v_mov_b32_dpp v11, v10 row_half_mirror row_mask:0xf bank_mask:0xf
	v_add_f32_e32 v10, v10, v11
	s_nop 1
	v_mov_b32_dpp v11, v10 row_mirror row_mask:0xf bank_mask:0xf
	v_add_f32_e32 v10, v10, v11
	s_nop 1
	v_mov_b32_dpp v11, v10 row_bcast:15 row_mask:0xf bank_mask:0xf
	v_add_f32_e32 v10, v10, v11
	s_nop 1
	v_mov_b32_dpp v11, v10 row_bcast:31 row_mask:0xf bank_mask:0xf
	s_and_saveexec_b64 s[2:3], s[0:1]
	s_cbranch_execz .LBB878_32
; %bb.31:
	v_lshrrev_b32_e32 v0, 4, v0
	v_add_f32_e32 v10, v10, v11
	v_and_b32_e32 v0, 60, v0
	ds_write_b32 v0, v10
.LBB878_32:
	s_or_b64 exec, exec, s[2:3]
	s_waitcnt lgkmcnt(0)
	s_barrier
	ds_read_b32 v0, v34
	s_waitcnt lgkmcnt(0)
	s_nop 0
	v_mov_b32_dpp v10, v0 quad_perm:[1,0,3,2] row_mask:0xf bank_mask:0xf
	v_add_f32_e32 v0, v0, v10
	s_nop 1
	v_mov_b32_dpp v10, v0 quad_perm:[2,3,0,1] row_mask:0xf bank_mask:0xf
	s_and_saveexec_b64 s[0:1], vcc
	s_cbranch_execz .LBB878_12
; %bb.33:
	v_cvt_f32_u32_e32 v11, s20
	v_add_f32_e32 v0, v0, v10
	s_mov_b32 s15, 0x20000
	v_div_scale_f32 v10, s[0:1], v11, v11, v0
	v_rcp_f32_e32 v12, v10
	v_div_scale_f32 v13, vcc, v0, v11, v0
	s_mov_b32 s0, 0x800000
	v_fma_f32 v14, -v10, v12, 1.0
	v_fmac_f32_e32 v12, v14, v12
	v_mul_f32_e32 v14, v13, v12
	v_fma_f32 v15, -v10, v14, v13
	v_fmac_f32_e32 v14, v15, v12
	v_fma_f32 v10, -v10, v14, v13
	v_div_fmas_f32 v10, v10, v12, v14
	v_div_fixup_f32 v0, v10, v11, v0
	v_add_f32_e32 v0, s17, v0
	v_mul_f32_e32 v10, 0x4b800000, v0
	v_cmp_gt_f32_e32 vcc, s0, v0
	v_cndmask_b32_e32 v0, v0, v10, vcc
	v_rsq_f32_e32 v0, v0
	s_mul_hi_i32 s1, s7, s6
	s_mul_i32 s0, s7, s6
	s_lshl_b64 s[0:1], s[0:1], 1
	v_mul_f32_e32 v10, 0x45800000, v0
	v_cndmask_b32_e32 v10, v0, v10, vcc
	v_mov_b32_e32 v11, v10
	s_add_u32 s12, s28, s0
	;;#ASMSTART
	v_pk_mul_f32 v[12:13], v[18:19], v[10:11]
	;;#ASMEND
	;;#ASMSTART
	v_pk_mul_f32 v[14:15], v[32:33], v[10:11]
	;;#ASMEND
	;; [unrolled: 3-line block ×8, first 2 shown]
	s_waitcnt vmcnt(1)
	v_cvt_f32_u32_sdwa v21, v6 dst_sel:DWORD dst_unused:UNUSED_PAD src0_sel:WORD_1
	v_cvt_f32_u32_sdwa v20, v6 dst_sel:DWORD dst_unused:UNUSED_PAD src0_sel:WORD_0
	v_cvt_f32_u32_sdwa v29, v7 dst_sel:DWORD dst_unused:UNUSED_PAD src0_sel:WORD_1
	v_cvt_f32_u32_sdwa v28, v7 dst_sel:DWORD dst_unused:UNUSED_PAD src0_sel:WORD_0
	v_cvt_f32_u32_sdwa v7, v8 dst_sel:DWORD dst_unused:UNUSED_PAD src0_sel:WORD_1
	v_cvt_f32_u32_sdwa v6, v8 dst_sel:DWORD dst_unused:UNUSED_PAD src0_sel:WORD_0
	s_addc_u32 s0, s29, s1
	v_cvt_f32_u32_sdwa v31, v9 dst_sel:DWORD dst_unused:UNUSED_PAD src0_sel:WORD_1
	v_cvt_f32_u32_sdwa v30, v9 dst_sel:DWORD dst_unused:UNUSED_PAD src0_sel:WORD_0
	;;#ASMSTART
	v_pk_mul_f32 v[8:9], v[12:13], v[20:21]
	;;#ASMEND
	;;#ASMSTART
	v_pk_mul_f32 v[12:13], v[14:15], v[28:29]
	;;#ASMEND
	;; [unrolled: 3-line block ×4, first 2 shown]
	s_waitcnt vmcnt(0)
	v_cvt_f32_u32_sdwa v17, v2 dst_sel:DWORD dst_unused:UNUSED_PAD src0_sel:WORD_1
	v_cvt_f32_u32_sdwa v16, v2 dst_sel:DWORD dst_unused:UNUSED_PAD src0_sel:WORD_0
	v_cvt_f32_u32_sdwa v19, v3 dst_sel:DWORD dst_unused:UNUSED_PAD src0_sel:WORD_1
	v_cvt_f32_u32_sdwa v18, v3 dst_sel:DWORD dst_unused:UNUSED_PAD src0_sel:WORD_0
	;; [unrolled: 2-line block ×3, first 2 shown]
	s_and_b32 s13, s0, 0xffff
	s_mov_b32 s0, 0x7060302
	v_cvt_f32_u32_sdwa v21, v5 dst_sel:DWORD dst_unused:UNUSED_PAD src0_sel:WORD_1
	v_cvt_f32_u32_sdwa v20, v5 dst_sel:DWORD dst_unused:UNUSED_PAD src0_sel:WORD_0
	;;#ASMSTART
	v_pk_mul_f32 v[16:17], v[26:27], v[16:17]
	;;#ASMEND
	;;#ASMSTART
	v_pk_mul_f32 v[18:19], v[24:25], v[18:19]
	;;#ASMEND
	;; [unrolled: 3-line block ×3, first 2 shown]
	v_perm_b32 v2, v9, v8, s0
	v_perm_b32 v3, v13, v12, s0
	;; [unrolled: 1-line block ×4, first 2 shown]
	;;#ASMSTART
	v_pk_mul_f32 v[10:11], v[10:11], v[20:21]
	;;#ASMEND
	buffer_store_dwordx4 v[2:5], v1, s[12:15], 0 offen
	;;#ASMSTART
	s_nop 0
	;;#ASMEND
	s_nop 0
	v_perm_b32 v2, v17, v16, s0
	v_perm_b32 v3, v19, v18, s0
	;; [unrolled: 1-line block ×4, first 2 shown]
	buffer_store_dwordx4 v[2:5], v1, s[12:15], 16 offen
	;;#ASMSTART
	s_nop 0
	;;#ASMEND
	s_endpgm
	.section	.rodata,"a",@progbits
	.p2align	6, 0x0
	.amdhsa_kernel _ZN5aiter35fused_qk_rmsnorm_group_quant_kernelItDB8_Li256ELi16ELi2ELb0ELb1ELb0ELb0ELb0ELb0EEEvPT0_PvPT_S6_S6_PKS5_S8_S8_S8_S8_ffiiiiiiiiiiiii
		.amdhsa_group_segment_fixed_size 32
		.amdhsa_private_segment_fixed_size 0
		.amdhsa_kernarg_size 400
		.amdhsa_user_sgpr_count 6
		.amdhsa_user_sgpr_private_segment_buffer 1
		.amdhsa_user_sgpr_dispatch_ptr 0
		.amdhsa_user_sgpr_queue_ptr 0
		.amdhsa_user_sgpr_kernarg_segment_ptr 1
		.amdhsa_user_sgpr_dispatch_id 0
		.amdhsa_user_sgpr_flat_scratch_init 0
		.amdhsa_user_sgpr_kernarg_preload_length 0
		.amdhsa_user_sgpr_kernarg_preload_offset 0
		.amdhsa_user_sgpr_private_segment_size 0
		.amdhsa_uses_dynamic_stack 0
		.amdhsa_system_sgpr_private_segment_wavefront_offset 0
		.amdhsa_system_sgpr_workgroup_id_x 1
		.amdhsa_system_sgpr_workgroup_id_y 1
		.amdhsa_system_sgpr_workgroup_id_z 0
		.amdhsa_system_sgpr_workgroup_info 0
		.amdhsa_system_vgpr_workitem_id 0
		.amdhsa_next_free_vgpr 38
		.amdhsa_next_free_sgpr 36
		.amdhsa_accum_offset 40
		.amdhsa_reserve_vcc 1
		.amdhsa_reserve_flat_scratch 0
		.amdhsa_float_round_mode_32 0
		.amdhsa_float_round_mode_16_64 0
		.amdhsa_float_denorm_mode_32 3
		.amdhsa_float_denorm_mode_16_64 3
		.amdhsa_dx10_clamp 1
		.amdhsa_ieee_mode 1
		.amdhsa_fp16_overflow 0
		.amdhsa_tg_split 0
		.amdhsa_exception_fp_ieee_invalid_op 0
		.amdhsa_exception_fp_denorm_src 0
		.amdhsa_exception_fp_ieee_div_zero 0
		.amdhsa_exception_fp_ieee_overflow 0
		.amdhsa_exception_fp_ieee_underflow 0
		.amdhsa_exception_fp_ieee_inexact 0
		.amdhsa_exception_int_div_zero 0
	.end_amdhsa_kernel
	.section	.text._ZN5aiter35fused_qk_rmsnorm_group_quant_kernelItDB8_Li256ELi16ELi2ELb0ELb1ELb0ELb0ELb0ELb0EEEvPT0_PvPT_S6_S6_PKS5_S8_S8_S8_S8_ffiiiiiiiiiiiii,"axG",@progbits,_ZN5aiter35fused_qk_rmsnorm_group_quant_kernelItDB8_Li256ELi16ELi2ELb0ELb1ELb0ELb0ELb0ELb0EEEvPT0_PvPT_S6_S6_PKS5_S8_S8_S8_S8_ffiiiiiiiiiiiii,comdat
.Lfunc_end878:
	.size	_ZN5aiter35fused_qk_rmsnorm_group_quant_kernelItDB8_Li256ELi16ELi2ELb0ELb1ELb0ELb0ELb0ELb0EEEvPT0_PvPT_S6_S6_PKS5_S8_S8_S8_S8_ffiiiiiiiiiiiii, .Lfunc_end878-_ZN5aiter35fused_qk_rmsnorm_group_quant_kernelItDB8_Li256ELi16ELi2ELb0ELb1ELb0ELb0ELb0ELb0EEEvPT0_PvPT_S6_S6_PKS5_S8_S8_S8_S8_ffiiiiiiiiiiiii
                                        ; -- End function
	.section	.AMDGPU.csdata,"",@progbits
; Kernel info:
; codeLenInByte = 3612
; NumSgprs: 40
; NumVgprs: 38
; NumAgprs: 0
; TotalNumVgprs: 38
; ScratchSize: 0
; MemoryBound: 0
; FloatMode: 240
; IeeeMode: 1
; LDSByteSize: 32 bytes/workgroup (compile time only)
; SGPRBlocks: 4
; VGPRBlocks: 4
; NumSGPRsForWavesPerEU: 40
; NumVGPRsForWavesPerEU: 38
; AccumOffset: 40
; Occupancy: 8
; WaveLimiterHint : 0
; COMPUTE_PGM_RSRC2:SCRATCH_EN: 0
; COMPUTE_PGM_RSRC2:USER_SGPR: 6
; COMPUTE_PGM_RSRC2:TRAP_HANDLER: 0
; COMPUTE_PGM_RSRC2:TGID_X_EN: 1
; COMPUTE_PGM_RSRC2:TGID_Y_EN: 1
; COMPUTE_PGM_RSRC2:TGID_Z_EN: 0
; COMPUTE_PGM_RSRC2:TIDIG_COMP_CNT: 0
; COMPUTE_PGM_RSRC3_GFX90A:ACCUM_OFFSET: 9
; COMPUTE_PGM_RSRC3_GFX90A:TG_SPLIT: 0
	.section	.text._ZN5aiter35fused_qk_rmsnorm_group_quant_kernelIDF16_N4opus5fp4_tELi256ELi16ELi2ELb0ELb1ELb0ELb0ELb0ELb0EEEvPT0_PvPT_S7_S7_PKS6_S9_S9_S9_S9_ffiiiiiiiiiiiii,"axG",@progbits,_ZN5aiter35fused_qk_rmsnorm_group_quant_kernelIDF16_N4opus5fp4_tELi256ELi16ELi2ELb0ELb1ELb0ELb0ELb0ELb0EEEvPT0_PvPT_S7_S7_PKS6_S9_S9_S9_S9_ffiiiiiiiiiiiii,comdat
	.protected	_ZN5aiter35fused_qk_rmsnorm_group_quant_kernelIDF16_N4opus5fp4_tELi256ELi16ELi2ELb0ELb1ELb0ELb0ELb0ELb0EEEvPT0_PvPT_S7_S7_PKS6_S9_S9_S9_S9_ffiiiiiiiiiiiii ; -- Begin function _ZN5aiter35fused_qk_rmsnorm_group_quant_kernelIDF16_N4opus5fp4_tELi256ELi16ELi2ELb0ELb1ELb0ELb0ELb0ELb0EEEvPT0_PvPT_S7_S7_PKS6_S9_S9_S9_S9_ffiiiiiiiiiiiii
	.globl	_ZN5aiter35fused_qk_rmsnorm_group_quant_kernelIDF16_N4opus5fp4_tELi256ELi16ELi2ELb0ELb1ELb0ELb0ELb0ELb0EEEvPT0_PvPT_S7_S7_PKS6_S9_S9_S9_S9_ffiiiiiiiiiiiii
	.p2align	8
	.type	_ZN5aiter35fused_qk_rmsnorm_group_quant_kernelIDF16_N4opus5fp4_tELi256ELi16ELi2ELb0ELb1ELb0ELb0ELb0ELb0EEEvPT0_PvPT_S7_S7_PKS6_S9_S9_S9_S9_ffiiiiiiiiiiiii,@function
_ZN5aiter35fused_qk_rmsnorm_group_quant_kernelIDF16_N4opus5fp4_tELi256ELi16ELi2ELb0ELb1ELb0ELb0ELb0ELb0EEEvPT0_PvPT_S7_S7_PKS6_S9_S9_S9_S9_ffiiiiiiiiiiiii: ; @_ZN5aiter35fused_qk_rmsnorm_group_quant_kernelIDF16_N4opus5fp4_tELi256ELi16ELi2ELb0ELb1ELb0ELb0ELb0ELb0EEEvPT0_PvPT_S7_S7_PKS6_S9_S9_S9_S9_ffiiiiiiiiiiiii
; %bb.0:
	s_load_dwordx4 s[16:19], s[4:5], 0x50
	s_waitcnt lgkmcnt(0)
	s_cmp_ge_i32 s6, s18
	s_cbranch_scc1 .LBB879_12
; %bb.1:
	s_load_dwordx2 s[12:13], s[4:5], 0x48
	s_load_dwordx2 s[30:31], s[4:5], 0x30
	s_load_dwordx4 s[20:23], s[4:5], 0x60
	s_cmp_lg_u32 s7, 0
	s_cselect_b64 s[14:15], -1, 0
	s_cmp_eq_u32 s7, 0
	s_cselect_b64 vcc, -1, 0
	s_and_b64 s[0:1], vcc, exec
	s_waitcnt lgkmcnt(0)
	s_cselect_b32 s7, s19, s20
	s_add_i32 s0, s7, 1
	s_lshr_b32 s1, s0, 31
	s_add_i32 s0, s0, s1
	s_lshl_b32 s0, s0, 1
	v_lshlrev_b32_e32 v1, 4, v0
	s_and_b32 s10, s0, -4
	v_cmp_gt_i32_e64 s[2:3], s7, v1
	v_mov_b32_e32 v18, 0
	v_mov_b32_e32 v6, 0
	;; [unrolled: 1-line block ×17, first 2 shown]
	s_and_saveexec_b64 s[0:1], s[2:3]
	s_cbranch_execz .LBB879_3
; %bb.2:
	s_load_dwordx2 s[8:9], s[4:5], 0x28
	s_load_dwordx2 s[26:27], s[4:5], 0x40
	s_and_b64 s[24:25], vcc, exec
	s_cselect_b32 s11, s21, s22
	v_lshlrev_b32_e32 v19, 5, v0
	s_waitcnt lgkmcnt(0)
	s_cselect_b32 s18, s9, s31
	s_cselect_b32 s21, s8, s30
	s_mul_hi_i32 s9, s11, s6
	s_mul_i32 s8, s11, s6
	s_lshl_b64 s[8:9], s[8:9], 1
	s_add_u32 s24, s21, s8
	s_addc_u32 s18, s18, s9
	s_and_b64 s[8:9], vcc, exec
	s_mov_b32 s11, 0x20000
	s_cselect_b32 s8, s26, s12
	s_cselect_b32 s9, s27, s13
	s_and_b32 s25, s18, 0xffff
	s_mov_b32 s26, s10
	s_mov_b32 s27, s11
	s_and_b32 s9, s9, 0xffff
	buffer_load_dwordx4 v[14:17], v19, s[24:27], 0 offen
	buffer_load_dwordx4 v[10:13], v19, s[24:27], 16 offen
	;; [unrolled: 1-line block ×4, first 2 shown]
.LBB879_3:
	s_or_b64 exec, exec, s[0:1]
	v_mov_b32_e32 v19, 0
	v_mov_b32_e32 v24, 0
	;; [unrolled: 1-line block ×15, first 2 shown]
	s_and_saveexec_b64 s[0:1], s[2:3]
	s_cbranch_execz .LBB879_5
; %bb.4:
	s_waitcnt vmcnt(3)
	v_cvt_f32_f16_sdwa v19, v14 dst_sel:DWORD dst_unused:UNUSED_PAD src0_sel:WORD_1
	v_cvt_f32_f16_e32 v18, v14
	v_cvt_f32_f16_sdwa v25, v15 dst_sel:DWORD dst_unused:UNUSED_PAD src0_sel:WORD_1
	v_cvt_f32_f16_e32 v24, v15
	;; [unrolled: 2-line block ×4, first 2 shown]
	s_waitcnt vmcnt(2)
	v_cvt_f32_f16_sdwa v33, v10 dst_sel:DWORD dst_unused:UNUSED_PAD src0_sel:WORD_1
	v_cvt_f32_f16_e32 v32, v10
	v_cvt_f32_f16_sdwa v31, v11 dst_sel:DWORD dst_unused:UNUSED_PAD src0_sel:WORD_1
	v_cvt_f32_f16_e32 v30, v11
	;; [unrolled: 2-line block ×4, first 2 shown]
.LBB879_5:
	s_or_b64 exec, exec, s[0:1]
	s_waitcnt vmcnt(2)
	v_mul_f32_e32 v10, v19, v19
	v_fmac_f32_e32 v10, v18, v18
	v_fmac_f32_e32 v10, v24, v24
	;; [unrolled: 1-line block ×15, first 2 shown]
	v_and_b32_e32 v12, 63, v0
	v_cmp_eq_u32_e64 s[0:1], 63, v12
	v_mov_b32_dpp v11, v10 quad_perm:[1,0,3,2] row_mask:0xf bank_mask:0xf
	v_add_f32_e32 v10, v10, v11
	s_nop 1
	v_mov_b32_dpp v11, v10 quad_perm:[2,3,0,1] row_mask:0xf bank_mask:0xf
	v_add_f32_e32 v10, v10, v11
	s_nop 1
	v_mov_b32_dpp v11, v10 row_half_mirror row_mask:0xf bank_mask:0xf
	v_add_f32_e32 v10, v10, v11
	s_nop 1
	v_mov_b32_dpp v11, v10 row_mirror row_mask:0xf bank_mask:0xf
	v_add_f32_e32 v10, v10, v11
	s_nop 1
	v_mov_b32_dpp v11, v10 row_bcast:15 row_mask:0xf bank_mask:0xf
	v_add_f32_e32 v10, v10, v11
	s_nop 1
	v_mov_b32_dpp v11, v10 row_bcast:31 row_mask:0xf bank_mask:0xf
	s_and_saveexec_b64 s[8:9], s[0:1]
	s_cbranch_execz .LBB879_7
; %bb.6:
	v_add_f32_e32 v10, v10, v11
	v_lshrrev_b32_e32 v11, 4, v0
	v_and_b32_e32 v11, 60, v11
	ds_write_b32 v11, v10 offset:16
.LBB879_7:
	s_or_b64 exec, exec, s[8:9]
	v_and_b32_e32 v10, 3, v0
	v_lshlrev_b32_e32 v34, 2, v10
	s_waitcnt lgkmcnt(0)
	s_barrier
	ds_read_b32 v10, v34 offset:16
	s_load_dwordx2 s[28:29], s[4:5], 0x18
	s_waitcnt lgkmcnt(0)
	v_mov_b32_dpp v11, v10 quad_perm:[1,0,3,2] row_mask:0xf bank_mask:0xf
	v_add_f32_e32 v10, v10, v11
	s_nop 1
	v_mov_b32_dpp v11, v10 quad_perm:[2,3,0,1] row_mask:0xf bank_mask:0xf
	s_and_saveexec_b64 s[8:9], s[2:3]
	s_cbranch_execz .LBB879_9
; %bb.8:
	v_cvt_f32_u32_e32 v12, s7
	v_add_f32_e32 v10, v10, v11
	v_mov_b32_e32 v14, s17
	v_mov_b32_e32 v15, s16
	v_div_scale_f32 v11, s[24:25], v12, v12, v10
	v_rcp_f32_e32 v13, v11
	v_cndmask_b32_e32 v14, v14, v15, vcc
	s_mov_b32 s7, 0x800000
	v_fma_f32 v15, -v11, v13, 1.0
	v_fmac_f32_e32 v13, v15, v13
	v_div_scale_f32 v15, vcc, v10, v12, v10
	v_mul_f32_e32 v16, v15, v13
	v_fma_f32 v17, -v11, v16, v15
	v_fmac_f32_e32 v16, v17, v13
	v_fma_f32 v11, -v11, v16, v15
	v_div_fmas_f32 v11, v11, v13, v16
	v_div_fixup_f32 v10, v11, v12, v10
	v_add_f32_e32 v10, v14, v10
	v_mul_f32_e32 v11, 0x4b800000, v10
	v_cmp_gt_f32_e32 vcc, s7, v10
	v_cndmask_b32_e32 v10, v10, v11, vcc
	v_rsq_f32_e32 v10, v10
	v_mul_f32_e32 v11, 0x45800000, v10
	v_cndmask_b32_e32 v10, v10, v11, vcc
	v_mov_b32_e32 v11, v10
	;;#ASMSTART
	v_pk_mul_f32 v[12:13], v[18:19], v[10:11]
	;;#ASMEND
	;;#ASMSTART
	v_pk_mul_f32 v[14:15], v[24:25], v[10:11]
	;;#ASMEND
	;; [unrolled: 3-line block ×8, first 2 shown]
	s_waitcnt vmcnt(1)
	v_cvt_f32_f16_sdwa v19, v6 dst_sel:DWORD dst_unused:UNUSED_PAD src0_sel:WORD_1
	v_cvt_f32_f16_e32 v18, v6
	v_cvt_f32_f16_sdwa v21, v7 dst_sel:DWORD dst_unused:UNUSED_PAD src0_sel:WORD_1
	v_cvt_f32_f16_e32 v20, v7
	;; [unrolled: 2-line block ×4, first 2 shown]
	;;#ASMSTART
	v_pk_mul_f32 v[18:19], v[12:13], v[18:19]
	;;#ASMEND
	;;#ASMSTART
	v_pk_mul_f32 v[24:25], v[14:15], v[20:21]
	;;#ASMEND
	;; [unrolled: 3-line block ×4, first 2 shown]
	s_waitcnt vmcnt(0)
	v_cvt_f32_f16_sdwa v7, v2 dst_sel:DWORD dst_unused:UNUSED_PAD src0_sel:WORD_1
	v_cvt_f32_f16_e32 v6, v2
	v_cvt_f32_f16_sdwa v9, v3 dst_sel:DWORD dst_unused:UNUSED_PAD src0_sel:WORD_1
	v_cvt_f32_f16_e32 v8, v3
	;; [unrolled: 2-line block ×4, first 2 shown]
	;;#ASMSTART
	v_pk_mul_f32 v[32:33], v[32:33], v[6:7]
	;;#ASMEND
	;;#ASMSTART
	v_pk_mul_f32 v[30:31], v[30:31], v[8:9]
	;;#ASMEND
	;; [unrolled: 3-line block ×4, first 2 shown]
.LBB879_9:
	s_or_b64 exec, exec, s[8:9]
	s_load_dword s7, s[4:5], 0x80
	s_mov_b64 s[8:9], -1
	s_and_b64 vcc, exec, s[14:15]
	s_cbranch_vccnz .LBB879_13
; %bb.10:
	s_andn2_b64 vcc, exec, s[8:9]
	s_cbranch_vccz .LBB879_16
.LBB879_11:
	s_cmp_lt_i32 s20, 1
	s_cbranch_scc0 .LBB879_25
.LBB879_12:
	s_endpgm
.LBB879_13:
	s_and_saveexec_b64 s[14:15], s[2:3]
	s_cbranch_execz .LBB879_15
; %bb.14:
	s_waitcnt lgkmcnt(0)
	s_mul_hi_i32 s9, s7, s6
	s_mul_i32 s8, s7, s6
	s_waitcnt vmcnt(0)
	v_cvt_f16_f32_e32 v2, v18
	v_cvt_f16_f32_e32 v3, v24
	v_cvt_f16_f32_e32 v4, v20
	v_cvt_f16_f32_e32 v5, v22
	v_cvt_f16_f32_e32 v6, v23
	v_cvt_f16_f32_e32 v7, v21
	v_cvt_f16_f32_e32 v8, v25
	v_cvt_f16_f32_e32 v9, v19
	s_lshl_b64 s[8:9], s[8:9], 1
	s_add_u32 s8, s28, s8
	s_addc_u32 s9, s29, s9
	s_and_b32 s9, s9, 0xffff
	s_mov_b32 s11, 0x20000
	v_pack_b32_f16 v5, v5, v6
	v_pack_b32_f16 v4, v4, v7
	;; [unrolled: 1-line block ×4, first 2 shown]
	v_lshlrev_b32_e32 v6, 5, v0
	buffer_store_dwordx4 v[2:5], v6, s[8:11], 0 offen
	v_cvt_f16_f32_e32 v7, v29
	v_cvt_f16_f32_e32 v2, v32
	;; [unrolled: 1-line block ×8, first 2 shown]
	v_pack_b32_f16 v5, v5, v7
	v_pack_b32_f16 v4, v4, v8
	;; [unrolled: 1-line block ×4, first 2 shown]
	;;#ASMSTART
	s_nop 0
	;;#ASMEND
	buffer_store_dwordx4 v[2:5], v6, s[8:11], 16 offen
	;;#ASMSTART
	s_nop 0
	;;#ASMEND
.LBB879_15:
	s_or_b64 exec, exec, s[14:15]
	s_cbranch_execnz .LBB879_11
.LBB879_16:
	s_load_dwordx4 s[24:27], s[4:5], 0x70
	s_waitcnt vmcnt(0)
	v_mov_b32_e32 v2, 0
	s_and_saveexec_b64 s[14:15], s[2:3]
	s_cbranch_execz .LBB879_18
; %bb.17:
	s_load_dwordx2 s[8:9], s[4:5], 0x10
	s_waitcnt lgkmcnt(0)
	s_mul_hi_i32 s35, s27, s6
	s_mul_i32 s34, s27, s6
	v_cvt_f16_f32_e32 v2, v18
	v_cvt_f16_f32_e32 v3, v24
	;; [unrolled: 1-line block ×8, first 2 shown]
	s_lshl_b64 s[34:35], s[34:35], 1
	s_add_u32 s8, s8, s34
	s_addc_u32 s9, s9, s35
	s_mov_b32 s11, 0x20000
	s_and_b32 s9, s9, 0xffff
	v_pack_b32_f16 v5, v5, v6
	v_pack_b32_f16 v4, v4, v7
	;; [unrolled: 1-line block ×4, first 2 shown]
	v_lshlrev_b32_e32 v6, 5, v0
	buffer_store_dwordx4 v[2:5], v6, s[8:11], 0 offen
	v_cvt_f16_f32_e32 v7, v29
	v_cvt_f16_f32_e32 v2, v32
	;; [unrolled: 1-line block ×8, first 2 shown]
	v_pack_b32_f16 v5, v5, v7
	v_pack_b32_f16 v4, v4, v8
	;; [unrolled: 1-line block ×4, first 2 shown]
	;;#ASMSTART
	s_nop 0
	;;#ASMEND
	buffer_store_dwordx4 v[2:5], v6, s[8:11], 16 offen
	;;#ASMSTART
	s_nop 0
	;;#ASMEND
	s_nop 0
	v_mov_b32_e32 v2, 0x2edbe6ff
.LBB879_18:
	s_or_b64 exec, exec, s[14:15]
	s_and_saveexec_b64 s[8:9], s[2:3]
	s_cbranch_execz .LBB879_20
; %bb.19:
	v_and_b32_e32 v3, 0x7fffffff, v18
	v_and_b32_e32 v4, 0x7fffffff, v19
	;;#ASMSTART
	v_max3_f32 v2, v2, v3, v4

	;;#ASMEND
	v_and_b32_e32 v3, 0x7fffffff, v24
	v_and_b32_e32 v4, 0x7fffffff, v25
	;;#ASMSTART
	v_max3_f32 v2, v2, v3, v4

	;;#ASMEND
	;; [unrolled: 6-line block ×8, first 2 shown]
.LBB879_20:
	s_or_b64 exec, exec, s[8:9]
	;;#ASMSTART
	v_max_f32 v3, v2, v2 quad_perm:[1,0,3,2] row_mask:0xf bank_mask:0xf bound_ctrl:1
	;;#ASMEND
	v_and_b32_e32 v2, 1, v0
	v_cmp_eq_u32_e32 vcc, 0, v2
	v_cmp_gt_i32_e64 s[8:9], s19, v1
	s_and_b64 s[10:11], vcc, s[8:9]
	s_and_saveexec_b64 s[8:9], s[10:11]
	s_cbranch_execz .LBB879_22
; %bb.21:
	s_load_dwordx2 s[10:11], s[4:5], 0x8
	v_mul_f32_e32 v2, 0x3e2aaaab, v3
	v_lshrrev_b32_e32 v3, 23, v2
	v_and_b32_e32 v4, 0x7f800000, v2
	v_and_b32_e32 v2, 0x7fffff, v2
	v_cmp_ne_u32_e32 vcc, 0, v2
	s_waitcnt lgkmcnt(0)
	s_mul_i32 s16, s25, s6
	s_mov_b32 s14, 0x7f800000
	v_addc_co_u32_e32 v2, vcc, 0, v3, vcc
	s_mul_hi_i32 s15, s25, s6
	s_add_u32 s10, s10, s16
	v_cmp_ne_u32_e32 vcc, s14, v4
	s_addc_u32 s11, s11, s15
	v_lshrrev_b32_e32 v5, 1, v0
	v_cndmask_b32_e32 v4, -1, v2, vcc
	v_pk_mov_b32 v[2:3], s[10:11], s[10:11] op_sel:[0,1]
	v_mad_i64_i32 v[2:3], s[10:11], s26, v5, v[2:3]
	global_store_byte v[2:3], v4, off
.LBB879_22:
	s_or_b64 exec, exec, s[8:9]
	s_and_saveexec_b64 s[8:9], s[2:3]
	s_cbranch_execz .LBB879_24
; %bb.23:
	s_load_dwordx2 s[2:3], s[4:5], 0x0
	s_waitcnt lgkmcnt(0)
	s_mul_i32 s11, s24, s6
	s_mul_hi_i32 s10, s24, s6
	v_mov_b32_e32 v2, 0
	v_lshlrev_b32_e32 v4, 3, v0
	s_add_u32 s24, s2, s11
	s_addc_u32 s2, s3, s10
	s_lshr_b32 s3, s19, 31
	s_add_i32 s3, s19, s3
	s_ashr_i32 s3, s3, 1
	s_add_i32 s3, s3, 3
	s_ashr_i32 s10, s3, 31
	s_lshr_b32 s10, s10, 30
	s_add_i32 s3, s3, s10
	s_and_b32 s26, s3, -4
	s_and_b32 s25, s2, 0xffff
	s_mov_b32 s27, 0x20000
	v_mov_b32_e32 v3, v2
	buffer_store_dwordx2 v[2:3], v4, s[24:27], 0 offen
	;;#ASMSTART
	s_nop 0
	;;#ASMEND
.LBB879_24:
	s_or_b64 exec, exec, s[8:9]
	s_cmp_lt_i32 s20, 1
	s_cbranch_scc1 .LBB879_12
.LBB879_25:
	s_load_dword s2, s[4:5], 0x94
	s_waitcnt lgkmcnt(0)
	s_cmp_lg_u32 s2, 1
	s_cbranch_scc1 .LBB879_12
; %bb.26:
	s_lshl_b32 s2, s20, 1
	s_add_i32 s2, s2, 2
	v_cmp_gt_u32_e32 vcc, s20, v1
	s_and_b32 s14, s2, -4
	v_mov_b32_e32 v18, 0
	v_lshlrev_b32_e32 v1, 5, v0
	v_mov_b32_e32 v14, 0
	v_mov_b32_e32 v15, 0
	;; [unrolled: 1-line block ×8, first 2 shown]
	s_waitcnt vmcnt(1)
	v_mov_b32_e32 v6, 0
	v_mov_b32_e32 v7, 0
	;; [unrolled: 1-line block ×4, first 2 shown]
	s_waitcnt vmcnt(0)
	v_mov_b32_e32 v2, 0
	v_mov_b32_e32 v3, 0
	;; [unrolled: 1-line block ×4, first 2 shown]
	s_barrier
	s_and_saveexec_b64 s[2:3], vcc
	s_cbranch_execz .LBB879_28
; %bb.27:
	s_mul_hi_i32 s5, s22, s6
	s_mul_i32 s4, s22, s6
	s_and_b32 s13, s13, 0xffff
	s_lshl_b64 s[4:5], s[4:5], 1
	s_add_u32 s8, s30, s4
	s_mov_b32 s15, 0x20000
	s_addc_u32 s4, s31, s5
	s_and_b32 s9, s4, 0xffff
	s_mov_b32 s10, s14
	s_mov_b32 s11, s15
	buffer_load_dwordx4 v[14:17], v1, s[8:11], 0 offen
	buffer_load_dwordx4 v[10:13], v1, s[8:11], 16 offen
	;; [unrolled: 1-line block ×4, first 2 shown]
.LBB879_28:
	s_or_b64 exec, exec, s[2:3]
	v_mov_b32_e32 v19, 0
	v_mov_b32_e32 v32, 0
	;; [unrolled: 1-line block ×15, first 2 shown]
	s_and_saveexec_b64 s[2:3], vcc
	s_cbranch_execz .LBB879_30
; %bb.29:
	s_waitcnt vmcnt(3)
	v_cvt_f32_f16_sdwa v19, v14 dst_sel:DWORD dst_unused:UNUSED_PAD src0_sel:WORD_1
	v_cvt_f32_f16_e32 v18, v14
	v_cvt_f32_f16_sdwa v33, v15 dst_sel:DWORD dst_unused:UNUSED_PAD src0_sel:WORD_1
	v_cvt_f32_f16_e32 v32, v15
	;; [unrolled: 2-line block ×4, first 2 shown]
	s_waitcnt vmcnt(2)
	v_cvt_f32_f16_sdwa v27, v10 dst_sel:DWORD dst_unused:UNUSED_PAD src0_sel:WORD_1
	v_cvt_f32_f16_e32 v26, v10
	v_cvt_f32_f16_sdwa v25, v11 dst_sel:DWORD dst_unused:UNUSED_PAD src0_sel:WORD_1
	v_cvt_f32_f16_e32 v24, v11
	;; [unrolled: 2-line block ×4, first 2 shown]
.LBB879_30:
	s_or_b64 exec, exec, s[2:3]
	s_waitcnt vmcnt(2)
	v_mul_f32_e32 v10, v19, v19
	v_fmac_f32_e32 v10, v18, v18
	v_fmac_f32_e32 v10, v32, v32
	;; [unrolled: 1-line block ×15, first 2 shown]
	s_nop 1
	v_mov_b32_dpp v11, v10 quad_perm:[1,0,3,2] row_mask:0xf bank_mask:0xf
	v_add_f32_e32 v10, v10, v11
	s_nop 1
	v_mov_b32_dpp v11, v10 quad_perm:[2,3,0,1] row_mask:0xf bank_mask:0xf
	v_add_f32_e32 v10, v10, v11
	s_nop 1
	v_mov_b32_dpp v11, v10 row_half_mirror row_mask:0xf bank_mask:0xf
	v_add_f32_e32 v10, v10, v11
	s_nop 1
	v_mov_b32_dpp v11, v10 row_mirror row_mask:0xf bank_mask:0xf
	v_add_f32_e32 v10, v10, v11
	s_nop 1
	v_mov_b32_dpp v11, v10 row_bcast:15 row_mask:0xf bank_mask:0xf
	v_add_f32_e32 v10, v10, v11
	s_nop 1
	v_mov_b32_dpp v11, v10 row_bcast:31 row_mask:0xf bank_mask:0xf
	s_and_saveexec_b64 s[2:3], s[0:1]
	s_cbranch_execz .LBB879_32
; %bb.31:
	v_lshrrev_b32_e32 v0, 4, v0
	v_add_f32_e32 v10, v10, v11
	v_and_b32_e32 v0, 60, v0
	ds_write_b32 v0, v10
.LBB879_32:
	s_or_b64 exec, exec, s[2:3]
	s_waitcnt lgkmcnt(0)
	s_barrier
	ds_read_b32 v0, v34
	s_waitcnt lgkmcnt(0)
	s_nop 0
	v_mov_b32_dpp v10, v0 quad_perm:[1,0,3,2] row_mask:0xf bank_mask:0xf
	v_add_f32_e32 v0, v0, v10
	s_nop 1
	v_mov_b32_dpp v10, v0 quad_perm:[2,3,0,1] row_mask:0xf bank_mask:0xf
	s_and_saveexec_b64 s[0:1], vcc
	s_cbranch_execz .LBB879_12
; %bb.33:
	v_cvt_f32_u32_e32 v11, s20
	v_add_f32_e32 v0, v0, v10
	s_mov_b32 s15, 0x20000
	v_div_scale_f32 v10, s[0:1], v11, v11, v0
	v_rcp_f32_e32 v12, v10
	v_div_scale_f32 v13, vcc, v0, v11, v0
	s_mov_b32 s0, 0x800000
	v_fma_f32 v14, -v10, v12, 1.0
	v_fmac_f32_e32 v12, v14, v12
	v_mul_f32_e32 v14, v13, v12
	v_fma_f32 v15, -v10, v14, v13
	v_fmac_f32_e32 v14, v15, v12
	v_fma_f32 v10, -v10, v14, v13
	v_div_fmas_f32 v10, v10, v12, v14
	v_div_fixup_f32 v0, v10, v11, v0
	v_add_f32_e32 v0, s17, v0
	v_mul_f32_e32 v10, 0x4b800000, v0
	v_cmp_gt_f32_e32 vcc, s0, v0
	v_cndmask_b32_e32 v0, v0, v10, vcc
	v_rsq_f32_e32 v0, v0
	s_mul_hi_i32 s1, s7, s6
	s_mul_i32 s0, s7, s6
	s_lshl_b64 s[0:1], s[0:1], 1
	v_mul_f32_e32 v10, 0x45800000, v0
	v_cndmask_b32_e32 v10, v0, v10, vcc
	v_mov_b32_e32 v11, v10
	;;#ASMSTART
	v_pk_mul_f32 v[12:13], v[18:19], v[10:11]
	;;#ASMEND
	;;#ASMSTART
	v_pk_mul_f32 v[14:15], v[32:33], v[10:11]
	;;#ASMEND
	;; [unrolled: 3-line block ×8, first 2 shown]
	s_waitcnt vmcnt(1)
	v_cvt_f32_f16_sdwa v21, v6 dst_sel:DWORD dst_unused:UNUSED_PAD src0_sel:WORD_1
	v_cvt_f32_f16_e32 v20, v6
	v_cvt_f32_f16_sdwa v29, v7 dst_sel:DWORD dst_unused:UNUSED_PAD src0_sel:WORD_1
	v_cvt_f32_f16_e32 v28, v7
	;; [unrolled: 2-line block ×4, first 2 shown]
	;;#ASMSTART
	v_pk_mul_f32 v[8:9], v[12:13], v[20:21]
	;;#ASMEND
	;;#ASMSTART
	v_pk_mul_f32 v[12:13], v[14:15], v[28:29]
	;;#ASMEND
	;; [unrolled: 3-line block ×4, first 2 shown]
	s_waitcnt vmcnt(0)
	v_cvt_f32_f16_sdwa v17, v2 dst_sel:DWORD dst_unused:UNUSED_PAD src0_sel:WORD_1
	v_cvt_f32_f16_e32 v16, v2
	v_cvt_f32_f16_sdwa v19, v3 dst_sel:DWORD dst_unused:UNUSED_PAD src0_sel:WORD_1
	v_cvt_f32_f16_e32 v18, v3
	;; [unrolled: 2-line block ×4, first 2 shown]
	;;#ASMSTART
	v_pk_mul_f32 v[16:17], v[26:27], v[16:17]
	;;#ASMEND
	;;#ASMSTART
	v_pk_mul_f32 v[18:19], v[24:25], v[18:19]
	;;#ASMEND
	;; [unrolled: 3-line block ×3, first 2 shown]
	v_cvt_f16_f32_e32 v0, v8
	v_cvt_f16_f32_e32 v2, v9
	;; [unrolled: 1-line block ×8, first 2 shown]
	s_add_u32 s12, s28, s0
	s_addc_u32 s0, s29, s1
	s_and_b32 s13, s0, 0xffff
	v_pack_b32_f16 v2, v0, v2
	v_pack_b32_f16 v3, v3, v4
	v_pack_b32_f16 v4, v5, v6
	v_pack_b32_f16 v5, v7, v8
	;;#ASMSTART
	v_pk_mul_f32 v[10:11], v[10:11], v[20:21]
	;;#ASMEND
	buffer_store_dwordx4 v[2:5], v1, s[12:15], 0 offen
	v_cvt_f16_f32_e32 v0, v16
	v_cvt_f16_f32_e32 v2, v17
	;; [unrolled: 1-line block ×8, first 2 shown]
	v_pack_b32_f16 v2, v0, v2
	v_pack_b32_f16 v3, v3, v4
	;; [unrolled: 1-line block ×4, first 2 shown]
	;;#ASMSTART
	s_nop 0
	;;#ASMEND
	buffer_store_dwordx4 v[2:5], v1, s[12:15], 16 offen
	;;#ASMSTART
	s_nop 0
	;;#ASMEND
	s_endpgm
	.section	.rodata,"a",@progbits
	.p2align	6, 0x0
	.amdhsa_kernel _ZN5aiter35fused_qk_rmsnorm_group_quant_kernelIDF16_N4opus5fp4_tELi256ELi16ELi2ELb0ELb1ELb0ELb0ELb0ELb0EEEvPT0_PvPT_S7_S7_PKS6_S9_S9_S9_S9_ffiiiiiiiiiiiii
		.amdhsa_group_segment_fixed_size 32
		.amdhsa_private_segment_fixed_size 0
		.amdhsa_kernarg_size 400
		.amdhsa_user_sgpr_count 6
		.amdhsa_user_sgpr_private_segment_buffer 1
		.amdhsa_user_sgpr_dispatch_ptr 0
		.amdhsa_user_sgpr_queue_ptr 0
		.amdhsa_user_sgpr_kernarg_segment_ptr 1
		.amdhsa_user_sgpr_dispatch_id 0
		.amdhsa_user_sgpr_flat_scratch_init 0
		.amdhsa_user_sgpr_kernarg_preload_length 0
		.amdhsa_user_sgpr_kernarg_preload_offset 0
		.amdhsa_user_sgpr_private_segment_size 0
		.amdhsa_uses_dynamic_stack 0
		.amdhsa_system_sgpr_private_segment_wavefront_offset 0
		.amdhsa_system_sgpr_workgroup_id_x 1
		.amdhsa_system_sgpr_workgroup_id_y 1
		.amdhsa_system_sgpr_workgroup_id_z 0
		.amdhsa_system_sgpr_workgroup_info 0
		.amdhsa_system_vgpr_workitem_id 0
		.amdhsa_next_free_vgpr 35
		.amdhsa_next_free_sgpr 36
		.amdhsa_accum_offset 36
		.amdhsa_reserve_vcc 1
		.amdhsa_reserve_flat_scratch 0
		.amdhsa_float_round_mode_32 0
		.amdhsa_float_round_mode_16_64 0
		.amdhsa_float_denorm_mode_32 3
		.amdhsa_float_denorm_mode_16_64 3
		.amdhsa_dx10_clamp 1
		.amdhsa_ieee_mode 1
		.amdhsa_fp16_overflow 0
		.amdhsa_tg_split 0
		.amdhsa_exception_fp_ieee_invalid_op 0
		.amdhsa_exception_fp_denorm_src 0
		.amdhsa_exception_fp_ieee_div_zero 0
		.amdhsa_exception_fp_ieee_overflow 0
		.amdhsa_exception_fp_ieee_underflow 0
		.amdhsa_exception_fp_ieee_inexact 0
		.amdhsa_exception_int_div_zero 0
	.end_amdhsa_kernel
	.section	.text._ZN5aiter35fused_qk_rmsnorm_group_quant_kernelIDF16_N4opus5fp4_tELi256ELi16ELi2ELb0ELb1ELb0ELb0ELb0ELb0EEEvPT0_PvPT_S7_S7_PKS6_S9_S9_S9_S9_ffiiiiiiiiiiiii,"axG",@progbits,_ZN5aiter35fused_qk_rmsnorm_group_quant_kernelIDF16_N4opus5fp4_tELi256ELi16ELi2ELb0ELb1ELb0ELb0ELb0ELb0EEEvPT0_PvPT_S7_S7_PKS6_S9_S9_S9_S9_ffiiiiiiiiiiiii,comdat
.Lfunc_end879:
	.size	_ZN5aiter35fused_qk_rmsnorm_group_quant_kernelIDF16_N4opus5fp4_tELi256ELi16ELi2ELb0ELb1ELb0ELb0ELb0ELb0EEEvPT0_PvPT_S7_S7_PKS6_S9_S9_S9_S9_ffiiiiiiiiiiiii, .Lfunc_end879-_ZN5aiter35fused_qk_rmsnorm_group_quant_kernelIDF16_N4opus5fp4_tELi256ELi16ELi2ELb0ELb1ELb0ELb0ELb0ELb0EEEvPT0_PvPT_S7_S7_PKS6_S9_S9_S9_S9_ffiiiiiiiiiiiii
                                        ; -- End function
	.section	.AMDGPU.csdata,"",@progbits
; Kernel info:
; codeLenInByte = 3332
; NumSgprs: 40
; NumVgprs: 35
; NumAgprs: 0
; TotalNumVgprs: 35
; ScratchSize: 0
; MemoryBound: 0
; FloatMode: 240
; IeeeMode: 1
; LDSByteSize: 32 bytes/workgroup (compile time only)
; SGPRBlocks: 4
; VGPRBlocks: 4
; NumSGPRsForWavesPerEU: 40
; NumVGPRsForWavesPerEU: 35
; AccumOffset: 36
; Occupancy: 8
; WaveLimiterHint : 0
; COMPUTE_PGM_RSRC2:SCRATCH_EN: 0
; COMPUTE_PGM_RSRC2:USER_SGPR: 6
; COMPUTE_PGM_RSRC2:TRAP_HANDLER: 0
; COMPUTE_PGM_RSRC2:TGID_X_EN: 1
; COMPUTE_PGM_RSRC2:TGID_Y_EN: 1
; COMPUTE_PGM_RSRC2:TGID_Z_EN: 0
; COMPUTE_PGM_RSRC2:TIDIG_COMP_CNT: 0
; COMPUTE_PGM_RSRC3_GFX90A:ACCUM_OFFSET: 8
; COMPUTE_PGM_RSRC3_GFX90A:TG_SPLIT: 0
	.section	.text._ZN5aiter35fused_qk_rmsnorm_group_quant_kernelItN4opus5fp4_tELi256ELi16ELi2ELb0ELb1ELb0ELb0ELb0ELb0EEEvPT0_PvPT_S7_S7_PKS6_S9_S9_S9_S9_ffiiiiiiiiiiiii,"axG",@progbits,_ZN5aiter35fused_qk_rmsnorm_group_quant_kernelItN4opus5fp4_tELi256ELi16ELi2ELb0ELb1ELb0ELb0ELb0ELb0EEEvPT0_PvPT_S7_S7_PKS6_S9_S9_S9_S9_ffiiiiiiiiiiiii,comdat
	.protected	_ZN5aiter35fused_qk_rmsnorm_group_quant_kernelItN4opus5fp4_tELi256ELi16ELi2ELb0ELb1ELb0ELb0ELb0ELb0EEEvPT0_PvPT_S7_S7_PKS6_S9_S9_S9_S9_ffiiiiiiiiiiiii ; -- Begin function _ZN5aiter35fused_qk_rmsnorm_group_quant_kernelItN4opus5fp4_tELi256ELi16ELi2ELb0ELb1ELb0ELb0ELb0ELb0EEEvPT0_PvPT_S7_S7_PKS6_S9_S9_S9_S9_ffiiiiiiiiiiiii
	.globl	_ZN5aiter35fused_qk_rmsnorm_group_quant_kernelItN4opus5fp4_tELi256ELi16ELi2ELb0ELb1ELb0ELb0ELb0ELb0EEEvPT0_PvPT_S7_S7_PKS6_S9_S9_S9_S9_ffiiiiiiiiiiiii
	.p2align	8
	.type	_ZN5aiter35fused_qk_rmsnorm_group_quant_kernelItN4opus5fp4_tELi256ELi16ELi2ELb0ELb1ELb0ELb0ELb0ELb0EEEvPT0_PvPT_S7_S7_PKS6_S9_S9_S9_S9_ffiiiiiiiiiiiii,@function
_ZN5aiter35fused_qk_rmsnorm_group_quant_kernelItN4opus5fp4_tELi256ELi16ELi2ELb0ELb1ELb0ELb0ELb0ELb0EEEvPT0_PvPT_S7_S7_PKS6_S9_S9_S9_S9_ffiiiiiiiiiiiii: ; @_ZN5aiter35fused_qk_rmsnorm_group_quant_kernelItN4opus5fp4_tELi256ELi16ELi2ELb0ELb1ELb0ELb0ELb0ELb0EEEvPT0_PvPT_S7_S7_PKS6_S9_S9_S9_S9_ffiiiiiiiiiiiii
; %bb.0:
	s_load_dwordx4 s[16:19], s[4:5], 0x50
	s_waitcnt lgkmcnt(0)
	s_cmp_ge_i32 s6, s18
	s_cbranch_scc1 .LBB880_12
; %bb.1:
	s_load_dwordx2 s[12:13], s[4:5], 0x48
	s_load_dwordx2 s[30:31], s[4:5], 0x30
	s_load_dwordx4 s[20:23], s[4:5], 0x60
	s_cmp_lg_u32 s7, 0
	s_cselect_b64 s[14:15], -1, 0
	s_cmp_eq_u32 s7, 0
	s_cselect_b64 vcc, -1, 0
	s_and_b64 s[0:1], vcc, exec
	s_waitcnt lgkmcnt(0)
	s_cselect_b32 s7, s19, s20
	s_add_i32 s0, s7, 1
	s_lshr_b32 s1, s0, 31
	s_add_i32 s0, s0, s1
	s_lshl_b32 s0, s0, 1
	v_lshlrev_b32_e32 v1, 4, v0
	s_and_b32 s10, s0, -4
	v_cmp_gt_i32_e64 s[2:3], s7, v1
	v_mov_b32_e32 v18, 0
	v_mov_b32_e32 v6, 0
	;; [unrolled: 1-line block ×17, first 2 shown]
	s_and_saveexec_b64 s[0:1], s[2:3]
	s_cbranch_execz .LBB880_3
; %bb.2:
	s_load_dwordx2 s[8:9], s[4:5], 0x28
	s_load_dwordx2 s[26:27], s[4:5], 0x40
	s_and_b64 s[24:25], vcc, exec
	s_cselect_b32 s11, s21, s22
	v_lshlrev_b32_e32 v19, 5, v0
	s_waitcnt lgkmcnt(0)
	s_cselect_b32 s18, s9, s31
	s_cselect_b32 s21, s8, s30
	s_mul_hi_i32 s9, s11, s6
	s_mul_i32 s8, s11, s6
	s_lshl_b64 s[8:9], s[8:9], 1
	s_add_u32 s24, s21, s8
	s_addc_u32 s18, s18, s9
	s_and_b64 s[8:9], vcc, exec
	s_mov_b32 s11, 0x20000
	s_cselect_b32 s8, s26, s12
	s_cselect_b32 s9, s27, s13
	s_and_b32 s25, s18, 0xffff
	s_mov_b32 s26, s10
	s_mov_b32 s27, s11
	s_and_b32 s9, s9, 0xffff
	buffer_load_dwordx4 v[14:17], v19, s[24:27], 0 offen
	buffer_load_dwordx4 v[10:13], v19, s[24:27], 16 offen
	;; [unrolled: 1-line block ×4, first 2 shown]
.LBB880_3:
	s_or_b64 exec, exec, s[0:1]
	v_mov_b32_e32 v19, 0
	v_mov_b32_e32 v24, 0
	;; [unrolled: 1-line block ×15, first 2 shown]
	s_and_saveexec_b64 s[0:1], s[2:3]
	s_cbranch_execz .LBB880_5
; %bb.4:
	s_waitcnt vmcnt(3)
	v_cvt_f32_u32_sdwa v18, v14 dst_sel:DWORD dst_unused:UNUSED_PAD src0_sel:WORD_0
	v_cvt_f32_u32_sdwa v19, v14 dst_sel:DWORD dst_unused:UNUSED_PAD src0_sel:WORD_1
	v_cvt_f32_u32_sdwa v24, v15 dst_sel:DWORD dst_unused:UNUSED_PAD src0_sel:WORD_0
	v_cvt_f32_u32_sdwa v25, v15 dst_sel:DWORD dst_unused:UNUSED_PAD src0_sel:WORD_1
	v_cvt_f32_u32_sdwa v20, v16 dst_sel:DWORD dst_unused:UNUSED_PAD src0_sel:WORD_0
	v_cvt_f32_u32_sdwa v21, v16 dst_sel:DWORD dst_unused:UNUSED_PAD src0_sel:WORD_1
	v_cvt_f32_u32_sdwa v22, v17 dst_sel:DWORD dst_unused:UNUSED_PAD src0_sel:WORD_0
	v_cvt_f32_u32_sdwa v23, v17 dst_sel:DWORD dst_unused:UNUSED_PAD src0_sel:WORD_1
	s_waitcnt vmcnt(2)
	v_cvt_f32_u32_sdwa v32, v10 dst_sel:DWORD dst_unused:UNUSED_PAD src0_sel:WORD_0
	v_cvt_f32_u32_sdwa v33, v10 dst_sel:DWORD dst_unused:UNUSED_PAD src0_sel:WORD_1
	v_cvt_f32_u32_sdwa v30, v11 dst_sel:DWORD dst_unused:UNUSED_PAD src0_sel:WORD_0
	v_cvt_f32_u32_sdwa v31, v11 dst_sel:DWORD dst_unused:UNUSED_PAD src0_sel:WORD_1
	;; [unrolled: 2-line block ×4, first 2 shown]
.LBB880_5:
	s_or_b64 exec, exec, s[0:1]
	s_waitcnt vmcnt(2)
	v_mul_f32_e32 v10, v19, v19
	v_fmac_f32_e32 v10, v18, v18
	v_fmac_f32_e32 v10, v24, v24
	;; [unrolled: 1-line block ×15, first 2 shown]
	v_and_b32_e32 v12, 63, v0
	v_cmp_eq_u32_e64 s[0:1], 63, v12
	v_mov_b32_dpp v11, v10 quad_perm:[1,0,3,2] row_mask:0xf bank_mask:0xf
	v_add_f32_e32 v10, v10, v11
	s_nop 1
	v_mov_b32_dpp v11, v10 quad_perm:[2,3,0,1] row_mask:0xf bank_mask:0xf
	v_add_f32_e32 v10, v10, v11
	s_nop 1
	v_mov_b32_dpp v11, v10 row_half_mirror row_mask:0xf bank_mask:0xf
	v_add_f32_e32 v10, v10, v11
	s_nop 1
	v_mov_b32_dpp v11, v10 row_mirror row_mask:0xf bank_mask:0xf
	v_add_f32_e32 v10, v10, v11
	s_nop 1
	v_mov_b32_dpp v11, v10 row_bcast:15 row_mask:0xf bank_mask:0xf
	v_add_f32_e32 v10, v10, v11
	s_nop 1
	v_mov_b32_dpp v11, v10 row_bcast:31 row_mask:0xf bank_mask:0xf
	s_and_saveexec_b64 s[8:9], s[0:1]
	s_cbranch_execz .LBB880_7
; %bb.6:
	v_add_f32_e32 v10, v10, v11
	v_lshrrev_b32_e32 v11, 4, v0
	v_and_b32_e32 v11, 60, v11
	ds_write_b32 v11, v10 offset:16
.LBB880_7:
	s_or_b64 exec, exec, s[8:9]
	v_and_b32_e32 v10, 3, v0
	v_lshlrev_b32_e32 v34, 2, v10
	s_waitcnt lgkmcnt(0)
	s_barrier
	ds_read_b32 v10, v34 offset:16
	s_load_dwordx2 s[28:29], s[4:5], 0x18
	s_waitcnt lgkmcnt(0)
	v_mov_b32_dpp v11, v10 quad_perm:[1,0,3,2] row_mask:0xf bank_mask:0xf
	v_add_f32_e32 v10, v10, v11
	s_nop 1
	v_mov_b32_dpp v11, v10 quad_perm:[2,3,0,1] row_mask:0xf bank_mask:0xf
	s_and_saveexec_b64 s[8:9], s[2:3]
	s_cbranch_execz .LBB880_9
; %bb.8:
	v_cvt_f32_u32_e32 v12, s7
	v_add_f32_e32 v10, v10, v11
	v_mov_b32_e32 v14, s17
	v_mov_b32_e32 v15, s16
	v_div_scale_f32 v11, s[24:25], v12, v12, v10
	v_rcp_f32_e32 v13, v11
	v_cndmask_b32_e32 v14, v14, v15, vcc
	s_mov_b32 s7, 0x800000
	v_fma_f32 v15, -v11, v13, 1.0
	v_fmac_f32_e32 v13, v15, v13
	v_div_scale_f32 v15, vcc, v10, v12, v10
	v_mul_f32_e32 v16, v15, v13
	v_fma_f32 v17, -v11, v16, v15
	v_fmac_f32_e32 v16, v17, v13
	v_fma_f32 v11, -v11, v16, v15
	v_div_fmas_f32 v11, v11, v13, v16
	v_div_fixup_f32 v10, v11, v12, v10
	v_add_f32_e32 v10, v14, v10
	v_mul_f32_e32 v11, 0x4b800000, v10
	v_cmp_gt_f32_e32 vcc, s7, v10
	v_cndmask_b32_e32 v10, v10, v11, vcc
	v_rsq_f32_e32 v10, v10
	v_mul_f32_e32 v11, 0x45800000, v10
	v_cndmask_b32_e32 v10, v10, v11, vcc
	v_mov_b32_e32 v11, v10
	;;#ASMSTART
	v_pk_mul_f32 v[12:13], v[18:19], v[10:11]
	;;#ASMEND
	;;#ASMSTART
	v_pk_mul_f32 v[14:15], v[24:25], v[10:11]
	;;#ASMEND
	;; [unrolled: 3-line block ×8, first 2 shown]
	s_waitcnt vmcnt(1)
	v_cvt_f32_u32_sdwa v19, v6 dst_sel:DWORD dst_unused:UNUSED_PAD src0_sel:WORD_1
	v_cvt_f32_u32_sdwa v18, v6 dst_sel:DWORD dst_unused:UNUSED_PAD src0_sel:WORD_0
	v_cvt_f32_u32_sdwa v21, v7 dst_sel:DWORD dst_unused:UNUSED_PAD src0_sel:WORD_1
	v_cvt_f32_u32_sdwa v20, v7 dst_sel:DWORD dst_unused:UNUSED_PAD src0_sel:WORD_0
	;; [unrolled: 2-line block ×4, first 2 shown]
	;;#ASMSTART
	v_pk_mul_f32 v[18:19], v[12:13], v[18:19]
	;;#ASMEND
	;;#ASMSTART
	v_pk_mul_f32 v[24:25], v[14:15], v[20:21]
	;;#ASMEND
	;; [unrolled: 3-line block ×4, first 2 shown]
	s_waitcnt vmcnt(0)
	v_cvt_f32_u32_sdwa v7, v2 dst_sel:DWORD dst_unused:UNUSED_PAD src0_sel:WORD_1
	v_cvt_f32_u32_sdwa v6, v2 dst_sel:DWORD dst_unused:UNUSED_PAD src0_sel:WORD_0
	v_cvt_f32_u32_sdwa v9, v3 dst_sel:DWORD dst_unused:UNUSED_PAD src0_sel:WORD_1
	v_cvt_f32_u32_sdwa v8, v3 dst_sel:DWORD dst_unused:UNUSED_PAD src0_sel:WORD_0
	;; [unrolled: 2-line block ×4, first 2 shown]
	;;#ASMSTART
	v_pk_mul_f32 v[32:33], v[32:33], v[6:7]
	;;#ASMEND
	;;#ASMSTART
	v_pk_mul_f32 v[30:31], v[30:31], v[8:9]
	;;#ASMEND
	;; [unrolled: 3-line block ×4, first 2 shown]
.LBB880_9:
	s_or_b64 exec, exec, s[8:9]
	s_load_dword s7, s[4:5], 0x80
	s_mov_b64 s[8:9], -1
	s_and_b64 vcc, exec, s[14:15]
	s_cbranch_vccnz .LBB880_13
; %bb.10:
	s_andn2_b64 vcc, exec, s[8:9]
	s_cbranch_vccz .LBB880_16
.LBB880_11:
	s_cmp_lt_i32 s20, 1
	s_cbranch_scc0 .LBB880_25
.LBB880_12:
	s_endpgm
.LBB880_13:
	s_and_saveexec_b64 s[14:15], s[2:3]
	s_cbranch_execz .LBB880_15
; %bb.14:
	s_waitcnt lgkmcnt(0)
	s_mul_hi_i32 s9, s7, s6
	s_mul_i32 s8, s7, s6
	s_lshl_b64 s[8:9], s[8:9], 1
	s_add_u32 s8, s28, s8
	s_addc_u32 s9, s29, s9
	s_mov_b32 s16, 0x7060302
	s_and_b32 s9, s9, 0xffff
	s_mov_b32 s11, 0x20000
	s_waitcnt vmcnt(0)
	v_perm_b32 v5, v23, v22, s16
	v_perm_b32 v4, v21, v20, s16
	;; [unrolled: 1-line block ×4, first 2 shown]
	v_lshlrev_b32_e32 v6, 5, v0
	buffer_store_dwordx4 v[2:5], v6, s[8:11], 0 offen
	;;#ASMSTART
	s_nop 0
	;;#ASMEND
	s_nop 0
	v_perm_b32 v5, v29, v28, s16
	v_perm_b32 v4, v27, v26, s16
	;; [unrolled: 1-line block ×4, first 2 shown]
	buffer_store_dwordx4 v[2:5], v6, s[8:11], 16 offen
	;;#ASMSTART
	s_nop 0
	;;#ASMEND
.LBB880_15:
	s_or_b64 exec, exec, s[14:15]
	s_cbranch_execnz .LBB880_11
.LBB880_16:
	s_load_dwordx4 s[24:27], s[4:5], 0x70
	s_waitcnt vmcnt(0)
	v_mov_b32_e32 v2, 0
	s_and_saveexec_b64 s[14:15], s[2:3]
	s_cbranch_execz .LBB880_18
; %bb.17:
	s_load_dwordx2 s[8:9], s[4:5], 0x10
	s_waitcnt lgkmcnt(0)
	s_mul_hi_i32 s35, s27, s6
	s_mul_i32 s34, s27, s6
	s_lshl_b64 s[34:35], s[34:35], 1
	s_mov_b32 s16, 0x7060302
	s_add_u32 s8, s8, s34
	s_addc_u32 s9, s9, s35
	s_mov_b32 s11, 0x20000
	s_and_b32 s9, s9, 0xffff
	v_perm_b32 v5, v23, v22, s16
	v_perm_b32 v4, v21, v20, s16
	;; [unrolled: 1-line block ×4, first 2 shown]
	v_lshlrev_b32_e32 v6, 5, v0
	buffer_store_dwordx4 v[2:5], v6, s[8:11], 0 offen
	;;#ASMSTART
	s_nop 0
	;;#ASMEND
	s_nop 0
	v_perm_b32 v5, v29, v28, s16
	v_perm_b32 v4, v27, v26, s16
	;; [unrolled: 1-line block ×4, first 2 shown]
	buffer_store_dwordx4 v[2:5], v6, s[8:11], 16 offen
	;;#ASMSTART
	s_nop 0
	;;#ASMEND
	s_nop 0
	v_mov_b32_e32 v2, 0x2edbe6ff
.LBB880_18:
	s_or_b64 exec, exec, s[14:15]
	s_and_saveexec_b64 s[8:9], s[2:3]
	s_cbranch_execz .LBB880_20
; %bb.19:
	v_and_b32_e32 v3, 0x7fffffff, v18
	v_and_b32_e32 v4, 0x7fffffff, v19
	;;#ASMSTART
	v_max3_f32 v2, v2, v3, v4

	;;#ASMEND
	v_and_b32_e32 v3, 0x7fffffff, v24
	v_and_b32_e32 v4, 0x7fffffff, v25
	;;#ASMSTART
	v_max3_f32 v2, v2, v3, v4

	;;#ASMEND
	;; [unrolled: 6-line block ×8, first 2 shown]
.LBB880_20:
	s_or_b64 exec, exec, s[8:9]
	;;#ASMSTART
	v_max_f32 v3, v2, v2 quad_perm:[1,0,3,2] row_mask:0xf bank_mask:0xf bound_ctrl:1
	;;#ASMEND
	v_and_b32_e32 v2, 1, v0
	v_cmp_eq_u32_e32 vcc, 0, v2
	v_cmp_gt_i32_e64 s[8:9], s19, v1
	s_and_b64 s[10:11], vcc, s[8:9]
	s_and_saveexec_b64 s[8:9], s[10:11]
	s_cbranch_execz .LBB880_22
; %bb.21:
	s_load_dwordx2 s[10:11], s[4:5], 0x8
	v_mul_f32_e32 v2, 0x3e2aaaab, v3
	v_lshrrev_b32_e32 v3, 23, v2
	v_and_b32_e32 v4, 0x7f800000, v2
	v_and_b32_e32 v2, 0x7fffff, v2
	v_cmp_ne_u32_e32 vcc, 0, v2
	s_waitcnt lgkmcnt(0)
	s_mul_i32 s16, s25, s6
	s_mov_b32 s14, 0x7f800000
	v_addc_co_u32_e32 v2, vcc, 0, v3, vcc
	s_mul_hi_i32 s15, s25, s6
	s_add_u32 s10, s10, s16
	v_cmp_ne_u32_e32 vcc, s14, v4
	s_addc_u32 s11, s11, s15
	v_lshrrev_b32_e32 v5, 1, v0
	v_cndmask_b32_e32 v4, -1, v2, vcc
	v_pk_mov_b32 v[2:3], s[10:11], s[10:11] op_sel:[0,1]
	v_mad_i64_i32 v[2:3], s[10:11], s26, v5, v[2:3]
	global_store_byte v[2:3], v4, off
.LBB880_22:
	s_or_b64 exec, exec, s[8:9]
	s_and_saveexec_b64 s[8:9], s[2:3]
	s_cbranch_execz .LBB880_24
; %bb.23:
	s_load_dwordx2 s[2:3], s[4:5], 0x0
	s_waitcnt lgkmcnt(0)
	s_mul_i32 s11, s24, s6
	s_mul_hi_i32 s10, s24, s6
	v_mov_b32_e32 v2, 0
	v_lshlrev_b32_e32 v4, 3, v0
	s_add_u32 s24, s2, s11
	s_addc_u32 s2, s3, s10
	s_lshr_b32 s3, s19, 31
	s_add_i32 s3, s19, s3
	s_ashr_i32 s3, s3, 1
	s_add_i32 s3, s3, 3
	s_ashr_i32 s10, s3, 31
	s_lshr_b32 s10, s10, 30
	s_add_i32 s3, s3, s10
	s_and_b32 s26, s3, -4
	s_and_b32 s25, s2, 0xffff
	s_mov_b32 s27, 0x20000
	v_mov_b32_e32 v3, v2
	buffer_store_dwordx2 v[2:3], v4, s[24:27], 0 offen
	;;#ASMSTART
	s_nop 0
	;;#ASMEND
.LBB880_24:
	s_or_b64 exec, exec, s[8:9]
	s_cmp_lt_i32 s20, 1
	s_cbranch_scc1 .LBB880_12
.LBB880_25:
	s_load_dword s2, s[4:5], 0x94
	s_waitcnt lgkmcnt(0)
	s_cmp_lg_u32 s2, 1
	s_cbranch_scc1 .LBB880_12
; %bb.26:
	s_lshl_b32 s2, s20, 1
	s_add_i32 s2, s2, 2
	v_cmp_gt_u32_e32 vcc, s20, v1
	s_and_b32 s14, s2, -4
	v_mov_b32_e32 v18, 0
	v_lshlrev_b32_e32 v1, 5, v0
	v_mov_b32_e32 v14, 0
	v_mov_b32_e32 v15, 0
	;; [unrolled: 1-line block ×8, first 2 shown]
	s_waitcnt vmcnt(1)
	v_mov_b32_e32 v6, 0
	v_mov_b32_e32 v7, 0
	v_mov_b32_e32 v8, 0
	v_mov_b32_e32 v9, 0
	s_waitcnt vmcnt(0)
	v_mov_b32_e32 v2, 0
	v_mov_b32_e32 v3, 0
	;; [unrolled: 1-line block ×4, first 2 shown]
	s_barrier
	s_and_saveexec_b64 s[2:3], vcc
	s_cbranch_execz .LBB880_28
; %bb.27:
	s_mul_hi_i32 s5, s22, s6
	s_mul_i32 s4, s22, s6
	s_and_b32 s13, s13, 0xffff
	s_lshl_b64 s[4:5], s[4:5], 1
	s_add_u32 s8, s30, s4
	s_mov_b32 s15, 0x20000
	s_addc_u32 s4, s31, s5
	s_and_b32 s9, s4, 0xffff
	s_mov_b32 s10, s14
	s_mov_b32 s11, s15
	buffer_load_dwordx4 v[14:17], v1, s[8:11], 0 offen
	buffer_load_dwordx4 v[10:13], v1, s[8:11], 16 offen
	;; [unrolled: 1-line block ×4, first 2 shown]
.LBB880_28:
	s_or_b64 exec, exec, s[2:3]
	v_mov_b32_e32 v19, 0
	v_mov_b32_e32 v32, 0
	;; [unrolled: 1-line block ×15, first 2 shown]
	s_and_saveexec_b64 s[2:3], vcc
	s_cbranch_execz .LBB880_30
; %bb.29:
	s_waitcnt vmcnt(3)
	v_cvt_f32_u32_sdwa v18, v14 dst_sel:DWORD dst_unused:UNUSED_PAD src0_sel:WORD_0
	v_cvt_f32_u32_sdwa v19, v14 dst_sel:DWORD dst_unused:UNUSED_PAD src0_sel:WORD_1
	v_cvt_f32_u32_sdwa v32, v15 dst_sel:DWORD dst_unused:UNUSED_PAD src0_sel:WORD_0
	v_cvt_f32_u32_sdwa v33, v15 dst_sel:DWORD dst_unused:UNUSED_PAD src0_sel:WORD_1
	;; [unrolled: 2-line block ×4, first 2 shown]
	s_waitcnt vmcnt(2)
	v_cvt_f32_u32_sdwa v26, v10 dst_sel:DWORD dst_unused:UNUSED_PAD src0_sel:WORD_0
	v_cvt_f32_u32_sdwa v27, v10 dst_sel:DWORD dst_unused:UNUSED_PAD src0_sel:WORD_1
	v_cvt_f32_u32_sdwa v24, v11 dst_sel:DWORD dst_unused:UNUSED_PAD src0_sel:WORD_0
	v_cvt_f32_u32_sdwa v25, v11 dst_sel:DWORD dst_unused:UNUSED_PAD src0_sel:WORD_1
	;; [unrolled: 2-line block ×4, first 2 shown]
.LBB880_30:
	s_or_b64 exec, exec, s[2:3]
	s_waitcnt vmcnt(2)
	v_mul_f32_e32 v10, v19, v19
	v_fmac_f32_e32 v10, v18, v18
	v_fmac_f32_e32 v10, v32, v32
	;; [unrolled: 1-line block ×15, first 2 shown]
	s_nop 1
	v_mov_b32_dpp v11, v10 quad_perm:[1,0,3,2] row_mask:0xf bank_mask:0xf
	v_add_f32_e32 v10, v10, v11
	s_nop 1
	v_mov_b32_dpp v11, v10 quad_perm:[2,3,0,1] row_mask:0xf bank_mask:0xf
	v_add_f32_e32 v10, v10, v11
	s_nop 1
	v_mov_b32_dpp v11, v10 row_half_mirror row_mask:0xf bank_mask:0xf
	v_add_f32_e32 v10, v10, v11
	s_nop 1
	v_mov_b32_dpp v11, v10 row_mirror row_mask:0xf bank_mask:0xf
	v_add_f32_e32 v10, v10, v11
	s_nop 1
	v_mov_b32_dpp v11, v10 row_bcast:15 row_mask:0xf bank_mask:0xf
	v_add_f32_e32 v10, v10, v11
	s_nop 1
	v_mov_b32_dpp v11, v10 row_bcast:31 row_mask:0xf bank_mask:0xf
	s_and_saveexec_b64 s[2:3], s[0:1]
	s_cbranch_execz .LBB880_32
; %bb.31:
	v_lshrrev_b32_e32 v0, 4, v0
	v_add_f32_e32 v10, v10, v11
	v_and_b32_e32 v0, 60, v0
	ds_write_b32 v0, v10
.LBB880_32:
	s_or_b64 exec, exec, s[2:3]
	s_waitcnt lgkmcnt(0)
	s_barrier
	ds_read_b32 v0, v34
	s_waitcnt lgkmcnt(0)
	s_nop 0
	v_mov_b32_dpp v10, v0 quad_perm:[1,0,3,2] row_mask:0xf bank_mask:0xf
	v_add_f32_e32 v0, v0, v10
	s_nop 1
	v_mov_b32_dpp v10, v0 quad_perm:[2,3,0,1] row_mask:0xf bank_mask:0xf
	s_and_saveexec_b64 s[0:1], vcc
	s_cbranch_execz .LBB880_12
; %bb.33:
	v_cvt_f32_u32_e32 v11, s20
	v_add_f32_e32 v0, v0, v10
	s_mov_b32 s15, 0x20000
	v_div_scale_f32 v10, s[0:1], v11, v11, v0
	v_rcp_f32_e32 v12, v10
	v_div_scale_f32 v13, vcc, v0, v11, v0
	s_mov_b32 s0, 0x800000
	v_fma_f32 v14, -v10, v12, 1.0
	v_fmac_f32_e32 v12, v14, v12
	v_mul_f32_e32 v14, v13, v12
	v_fma_f32 v15, -v10, v14, v13
	v_fmac_f32_e32 v14, v15, v12
	v_fma_f32 v10, -v10, v14, v13
	v_div_fmas_f32 v10, v10, v12, v14
	v_div_fixup_f32 v0, v10, v11, v0
	v_add_f32_e32 v0, s17, v0
	v_mul_f32_e32 v10, 0x4b800000, v0
	v_cmp_gt_f32_e32 vcc, s0, v0
	v_cndmask_b32_e32 v0, v0, v10, vcc
	v_rsq_f32_e32 v0, v0
	s_mul_hi_i32 s1, s7, s6
	s_mul_i32 s0, s7, s6
	s_lshl_b64 s[0:1], s[0:1], 1
	v_mul_f32_e32 v10, 0x45800000, v0
	v_cndmask_b32_e32 v10, v0, v10, vcc
	v_mov_b32_e32 v11, v10
	s_add_u32 s12, s28, s0
	;;#ASMSTART
	v_pk_mul_f32 v[12:13], v[18:19], v[10:11]
	;;#ASMEND
	;;#ASMSTART
	v_pk_mul_f32 v[14:15], v[32:33], v[10:11]
	;;#ASMEND
	;; [unrolled: 3-line block ×8, first 2 shown]
	s_waitcnt vmcnt(1)
	v_cvt_f32_u32_sdwa v21, v6 dst_sel:DWORD dst_unused:UNUSED_PAD src0_sel:WORD_1
	v_cvt_f32_u32_sdwa v20, v6 dst_sel:DWORD dst_unused:UNUSED_PAD src0_sel:WORD_0
	v_cvt_f32_u32_sdwa v29, v7 dst_sel:DWORD dst_unused:UNUSED_PAD src0_sel:WORD_1
	v_cvt_f32_u32_sdwa v28, v7 dst_sel:DWORD dst_unused:UNUSED_PAD src0_sel:WORD_0
	;; [unrolled: 2-line block ×3, first 2 shown]
	s_addc_u32 s0, s29, s1
	v_cvt_f32_u32_sdwa v31, v9 dst_sel:DWORD dst_unused:UNUSED_PAD src0_sel:WORD_1
	v_cvt_f32_u32_sdwa v30, v9 dst_sel:DWORD dst_unused:UNUSED_PAD src0_sel:WORD_0
	;;#ASMSTART
	v_pk_mul_f32 v[8:9], v[12:13], v[20:21]
	;;#ASMEND
	;;#ASMSTART
	v_pk_mul_f32 v[12:13], v[14:15], v[28:29]
	;;#ASMEND
	;; [unrolled: 3-line block ×4, first 2 shown]
	s_waitcnt vmcnt(0)
	v_cvt_f32_u32_sdwa v17, v2 dst_sel:DWORD dst_unused:UNUSED_PAD src0_sel:WORD_1
	v_cvt_f32_u32_sdwa v16, v2 dst_sel:DWORD dst_unused:UNUSED_PAD src0_sel:WORD_0
	v_cvt_f32_u32_sdwa v19, v3 dst_sel:DWORD dst_unused:UNUSED_PAD src0_sel:WORD_1
	v_cvt_f32_u32_sdwa v18, v3 dst_sel:DWORD dst_unused:UNUSED_PAD src0_sel:WORD_0
	v_cvt_f32_u32_sdwa v3, v4 dst_sel:DWORD dst_unused:UNUSED_PAD src0_sel:WORD_1
	v_cvt_f32_u32_sdwa v2, v4 dst_sel:DWORD dst_unused:UNUSED_PAD src0_sel:WORD_0
	s_and_b32 s13, s0, 0xffff
	s_mov_b32 s0, 0x7060302
	v_cvt_f32_u32_sdwa v21, v5 dst_sel:DWORD dst_unused:UNUSED_PAD src0_sel:WORD_1
	v_cvt_f32_u32_sdwa v20, v5 dst_sel:DWORD dst_unused:UNUSED_PAD src0_sel:WORD_0
	;;#ASMSTART
	v_pk_mul_f32 v[16:17], v[26:27], v[16:17]
	;;#ASMEND
	;;#ASMSTART
	v_pk_mul_f32 v[18:19], v[24:25], v[18:19]
	;;#ASMEND
	;; [unrolled: 3-line block ×3, first 2 shown]
	v_perm_b32 v2, v9, v8, s0
	v_perm_b32 v3, v13, v12, s0
	;; [unrolled: 1-line block ×4, first 2 shown]
	;;#ASMSTART
	v_pk_mul_f32 v[10:11], v[10:11], v[20:21]
	;;#ASMEND
	buffer_store_dwordx4 v[2:5], v1, s[12:15], 0 offen
	;;#ASMSTART
	s_nop 0
	;;#ASMEND
	s_nop 0
	v_perm_b32 v2, v17, v16, s0
	v_perm_b32 v3, v19, v18, s0
	;; [unrolled: 1-line block ×4, first 2 shown]
	buffer_store_dwordx4 v[2:5], v1, s[12:15], 16 offen
	;;#ASMSTART
	s_nop 0
	;;#ASMEND
	s_endpgm
	.section	.rodata,"a",@progbits
	.p2align	6, 0x0
	.amdhsa_kernel _ZN5aiter35fused_qk_rmsnorm_group_quant_kernelItN4opus5fp4_tELi256ELi16ELi2ELb0ELb1ELb0ELb0ELb0ELb0EEEvPT0_PvPT_S7_S7_PKS6_S9_S9_S9_S9_ffiiiiiiiiiiiii
		.amdhsa_group_segment_fixed_size 32
		.amdhsa_private_segment_fixed_size 0
		.amdhsa_kernarg_size 400
		.amdhsa_user_sgpr_count 6
		.amdhsa_user_sgpr_private_segment_buffer 1
		.amdhsa_user_sgpr_dispatch_ptr 0
		.amdhsa_user_sgpr_queue_ptr 0
		.amdhsa_user_sgpr_kernarg_segment_ptr 1
		.amdhsa_user_sgpr_dispatch_id 0
		.amdhsa_user_sgpr_flat_scratch_init 0
		.amdhsa_user_sgpr_kernarg_preload_length 0
		.amdhsa_user_sgpr_kernarg_preload_offset 0
		.amdhsa_user_sgpr_private_segment_size 0
		.amdhsa_uses_dynamic_stack 0
		.amdhsa_system_sgpr_private_segment_wavefront_offset 0
		.amdhsa_system_sgpr_workgroup_id_x 1
		.amdhsa_system_sgpr_workgroup_id_y 1
		.amdhsa_system_sgpr_workgroup_id_z 0
		.amdhsa_system_sgpr_workgroup_info 0
		.amdhsa_system_vgpr_workitem_id 0
		.amdhsa_next_free_vgpr 35
		.amdhsa_next_free_sgpr 36
		.amdhsa_accum_offset 36
		.amdhsa_reserve_vcc 1
		.amdhsa_reserve_flat_scratch 0
		.amdhsa_float_round_mode_32 0
		.amdhsa_float_round_mode_16_64 0
		.amdhsa_float_denorm_mode_32 3
		.amdhsa_float_denorm_mode_16_64 3
		.amdhsa_dx10_clamp 1
		.amdhsa_ieee_mode 1
		.amdhsa_fp16_overflow 0
		.amdhsa_tg_split 0
		.amdhsa_exception_fp_ieee_invalid_op 0
		.amdhsa_exception_fp_denorm_src 0
		.amdhsa_exception_fp_ieee_div_zero 0
		.amdhsa_exception_fp_ieee_overflow 0
		.amdhsa_exception_fp_ieee_underflow 0
		.amdhsa_exception_fp_ieee_inexact 0
		.amdhsa_exception_int_div_zero 0
	.end_amdhsa_kernel
	.section	.text._ZN5aiter35fused_qk_rmsnorm_group_quant_kernelItN4opus5fp4_tELi256ELi16ELi2ELb0ELb1ELb0ELb0ELb0ELb0EEEvPT0_PvPT_S7_S7_PKS6_S9_S9_S9_S9_ffiiiiiiiiiiiii,"axG",@progbits,_ZN5aiter35fused_qk_rmsnorm_group_quant_kernelItN4opus5fp4_tELi256ELi16ELi2ELb0ELb1ELb0ELb0ELb0ELb0EEEvPT0_PvPT_S7_S7_PKS6_S9_S9_S9_S9_ffiiiiiiiiiiiii,comdat
.Lfunc_end880:
	.size	_ZN5aiter35fused_qk_rmsnorm_group_quant_kernelItN4opus5fp4_tELi256ELi16ELi2ELb0ELb1ELb0ELb0ELb0ELb0EEEvPT0_PvPT_S7_S7_PKS6_S9_S9_S9_S9_ffiiiiiiiiiiiii, .Lfunc_end880-_ZN5aiter35fused_qk_rmsnorm_group_quant_kernelItN4opus5fp4_tELi256ELi16ELi2ELb0ELb1ELb0ELb0ELb0ELb0EEEvPT0_PvPT_S7_S7_PKS6_S9_S9_S9_S9_ffiiiiiiiiiiiii
                                        ; -- End function
	.section	.AMDGPU.csdata,"",@progbits
; Kernel info:
; codeLenInByte = 3304
; NumSgprs: 40
; NumVgprs: 35
; NumAgprs: 0
; TotalNumVgprs: 35
; ScratchSize: 0
; MemoryBound: 0
; FloatMode: 240
; IeeeMode: 1
; LDSByteSize: 32 bytes/workgroup (compile time only)
; SGPRBlocks: 4
; VGPRBlocks: 4
; NumSGPRsForWavesPerEU: 40
; NumVGPRsForWavesPerEU: 35
; AccumOffset: 36
; Occupancy: 8
; WaveLimiterHint : 0
; COMPUTE_PGM_RSRC2:SCRATCH_EN: 0
; COMPUTE_PGM_RSRC2:USER_SGPR: 6
; COMPUTE_PGM_RSRC2:TRAP_HANDLER: 0
; COMPUTE_PGM_RSRC2:TGID_X_EN: 1
; COMPUTE_PGM_RSRC2:TGID_Y_EN: 1
; COMPUTE_PGM_RSRC2:TGID_Z_EN: 0
; COMPUTE_PGM_RSRC2:TIDIG_COMP_CNT: 0
; COMPUTE_PGM_RSRC3_GFX90A:ACCUM_OFFSET: 8
; COMPUTE_PGM_RSRC3_GFX90A:TG_SPLIT: 0
	.section	.text._ZN5aiter35fused_qk_rmsnorm_group_quant_kernelIDF16_DB8_Li256ELi16ELi2ELb0ELb0ELb1ELb0ELb0ELb0EEEvPT0_PvPT_S6_S6_PKS5_S8_S8_S8_S8_ffiiiiiiiiiiiii,"axG",@progbits,_ZN5aiter35fused_qk_rmsnorm_group_quant_kernelIDF16_DB8_Li256ELi16ELi2ELb0ELb0ELb1ELb0ELb0ELb0EEEvPT0_PvPT_S6_S6_PKS5_S8_S8_S8_S8_ffiiiiiiiiiiiii,comdat
	.protected	_ZN5aiter35fused_qk_rmsnorm_group_quant_kernelIDF16_DB8_Li256ELi16ELi2ELb0ELb0ELb1ELb0ELb0ELb0EEEvPT0_PvPT_S6_S6_PKS5_S8_S8_S8_S8_ffiiiiiiiiiiiii ; -- Begin function _ZN5aiter35fused_qk_rmsnorm_group_quant_kernelIDF16_DB8_Li256ELi16ELi2ELb0ELb0ELb1ELb0ELb0ELb0EEEvPT0_PvPT_S6_S6_PKS5_S8_S8_S8_S8_ffiiiiiiiiiiiii
	.globl	_ZN5aiter35fused_qk_rmsnorm_group_quant_kernelIDF16_DB8_Li256ELi16ELi2ELb0ELb0ELb1ELb0ELb0ELb0EEEvPT0_PvPT_S6_S6_PKS5_S8_S8_S8_S8_ffiiiiiiiiiiiii
	.p2align	8
	.type	_ZN5aiter35fused_qk_rmsnorm_group_quant_kernelIDF16_DB8_Li256ELi16ELi2ELb0ELb0ELb1ELb0ELb0ELb0EEEvPT0_PvPT_S6_S6_PKS5_S8_S8_S8_S8_ffiiiiiiiiiiiii,@function
_ZN5aiter35fused_qk_rmsnorm_group_quant_kernelIDF16_DB8_Li256ELi16ELi2ELb0ELb0ELb1ELb0ELb0ELb0EEEvPT0_PvPT_S6_S6_PKS5_S8_S8_S8_S8_ffiiiiiiiiiiiii: ; @_ZN5aiter35fused_qk_rmsnorm_group_quant_kernelIDF16_DB8_Li256ELi16ELi2ELb0ELb0ELb1ELb0ELb0ELb0EEEvPT0_PvPT_S6_S6_PKS5_S8_S8_S8_S8_ffiiiiiiiiiiiii
; %bb.0:
	s_load_dwordx4 s[16:19], s[4:5], 0x50
	s_waitcnt lgkmcnt(0)
	s_cmp_ge_i32 s6, s18
	s_cbranch_scc1 .LBB881_12
; %bb.1:
	s_load_dwordx2 s[12:13], s[4:5], 0x48
	s_load_dwordx2 s[30:31], s[4:5], 0x30
	s_load_dwordx4 s[20:23], s[4:5], 0x60
	s_cmp_lg_u32 s7, 0
	s_cselect_b64 s[14:15], -1, 0
	s_cmp_eq_u32 s7, 0
	s_cselect_b64 vcc, -1, 0
	s_and_b64 s[0:1], vcc, exec
	s_waitcnt lgkmcnt(0)
	s_cselect_b32 s7, s19, s20
	s_add_i32 s0, s7, 1
	s_lshr_b32 s1, s0, 31
	s_add_i32 s0, s0, s1
	s_lshl_b32 s0, s0, 1
	v_lshlrev_b32_e32 v1, 4, v0
	s_and_b32 s10, s0, -4
	v_cmp_gt_i32_e64 s[2:3], s7, v1
	v_mov_b32_e32 v18, 0
	v_mov_b32_e32 v6, 0
	;; [unrolled: 1-line block ×17, first 2 shown]
	s_and_saveexec_b64 s[0:1], s[2:3]
	s_cbranch_execz .LBB881_3
; %bb.2:
	s_load_dwordx2 s[8:9], s[4:5], 0x28
	s_load_dwordx2 s[26:27], s[4:5], 0x40
	s_and_b64 s[24:25], vcc, exec
	s_cselect_b32 s11, s21, s22
	v_lshlrev_b32_e32 v19, 5, v0
	s_waitcnt lgkmcnt(0)
	s_cselect_b32 s18, s9, s31
	s_cselect_b32 s21, s8, s30
	s_mul_hi_i32 s9, s11, s6
	s_mul_i32 s8, s11, s6
	s_lshl_b64 s[8:9], s[8:9], 1
	s_add_u32 s24, s21, s8
	s_addc_u32 s18, s18, s9
	s_and_b64 s[8:9], vcc, exec
	s_mov_b32 s11, 0x20000
	s_cselect_b32 s8, s26, s12
	s_cselect_b32 s9, s27, s13
	s_and_b32 s25, s18, 0xffff
	s_mov_b32 s26, s10
	s_mov_b32 s27, s11
	s_and_b32 s9, s9, 0xffff
	buffer_load_dwordx4 v[14:17], v19, s[24:27], 0 offen
	buffer_load_dwordx4 v[10:13], v19, s[24:27], 16 offen
	;; [unrolled: 1-line block ×4, first 2 shown]
.LBB881_3:
	s_or_b64 exec, exec, s[0:1]
	v_mov_b32_e32 v19, 0
	v_mov_b32_e32 v32, 0
	;; [unrolled: 1-line block ×15, first 2 shown]
	s_and_saveexec_b64 s[0:1], s[2:3]
	s_cbranch_execz .LBB881_5
; %bb.4:
	s_waitcnt vmcnt(3)
	v_cvt_f32_f16_sdwa v19, v14 dst_sel:DWORD dst_unused:UNUSED_PAD src0_sel:WORD_1
	v_cvt_f32_f16_e32 v18, v14
	v_cvt_f32_f16_sdwa v33, v15 dst_sel:DWORD dst_unused:UNUSED_PAD src0_sel:WORD_1
	v_cvt_f32_f16_e32 v32, v15
	;; [unrolled: 2-line block ×4, first 2 shown]
	s_waitcnt vmcnt(2)
	v_cvt_f32_f16_sdwa v25, v10 dst_sel:DWORD dst_unused:UNUSED_PAD src0_sel:WORD_1
	v_cvt_f32_f16_e32 v24, v10
	v_cvt_f32_f16_sdwa v29, v11 dst_sel:DWORD dst_unused:UNUSED_PAD src0_sel:WORD_1
	v_cvt_f32_f16_e32 v28, v11
	;; [unrolled: 2-line block ×4, first 2 shown]
.LBB881_5:
	s_or_b64 exec, exec, s[0:1]
	s_waitcnt vmcnt(2)
	v_mul_f32_e32 v10, v19, v19
	v_fmac_f32_e32 v10, v18, v18
	v_fmac_f32_e32 v10, v32, v32
	;; [unrolled: 1-line block ×15, first 2 shown]
	v_and_b32_e32 v12, 63, v0
	v_cmp_eq_u32_e64 s[0:1], 63, v12
	v_mov_b32_dpp v11, v10 quad_perm:[1,0,3,2] row_mask:0xf bank_mask:0xf
	v_add_f32_e32 v10, v10, v11
	s_nop 1
	v_mov_b32_dpp v11, v10 quad_perm:[2,3,0,1] row_mask:0xf bank_mask:0xf
	v_add_f32_e32 v10, v10, v11
	s_nop 1
	v_mov_b32_dpp v11, v10 row_half_mirror row_mask:0xf bank_mask:0xf
	v_add_f32_e32 v10, v10, v11
	s_nop 1
	v_mov_b32_dpp v11, v10 row_mirror row_mask:0xf bank_mask:0xf
	v_add_f32_e32 v10, v10, v11
	s_nop 1
	v_mov_b32_dpp v11, v10 row_bcast:15 row_mask:0xf bank_mask:0xf
	v_add_f32_e32 v10, v10, v11
	s_nop 1
	v_mov_b32_dpp v11, v10 row_bcast:31 row_mask:0xf bank_mask:0xf
	s_and_saveexec_b64 s[8:9], s[0:1]
	s_cbranch_execz .LBB881_7
; %bb.6:
	v_add_f32_e32 v10, v10, v11
	v_lshrrev_b32_e32 v11, 4, v0
	v_and_b32_e32 v11, 60, v11
	ds_write_b32 v11, v10 offset:16
.LBB881_7:
	s_or_b64 exec, exec, s[8:9]
	v_and_b32_e32 v10, 3, v0
	v_lshlrev_b32_e32 v34, 2, v10
	s_waitcnt lgkmcnt(0)
	s_barrier
	ds_read_b32 v10, v34 offset:16
	s_load_dwordx2 s[28:29], s[4:5], 0x18
	s_waitcnt lgkmcnt(0)
	v_mov_b32_dpp v11, v10 quad_perm:[1,0,3,2] row_mask:0xf bank_mask:0xf
	v_add_f32_e32 v10, v10, v11
	s_nop 1
	v_mov_b32_dpp v11, v10 quad_perm:[2,3,0,1] row_mask:0xf bank_mask:0xf
	s_and_saveexec_b64 s[8:9], s[2:3]
	s_cbranch_execz .LBB881_9
; %bb.8:
	v_cvt_f32_u32_e32 v12, s7
	v_add_f32_e32 v10, v10, v11
	v_mov_b32_e32 v14, s17
	v_mov_b32_e32 v15, s16
	v_div_scale_f32 v11, s[24:25], v12, v12, v10
	v_rcp_f32_e32 v13, v11
	v_cndmask_b32_e32 v14, v14, v15, vcc
	s_mov_b32 s7, 0x800000
	v_fma_f32 v15, -v11, v13, 1.0
	v_fmac_f32_e32 v13, v15, v13
	v_div_scale_f32 v15, vcc, v10, v12, v10
	v_mul_f32_e32 v16, v15, v13
	v_fma_f32 v17, -v11, v16, v15
	v_fmac_f32_e32 v16, v17, v13
	v_fma_f32 v11, -v11, v16, v15
	v_div_fmas_f32 v11, v11, v13, v16
	v_div_fixup_f32 v10, v11, v12, v10
	v_add_f32_e32 v10, v14, v10
	v_mul_f32_e32 v11, 0x4b800000, v10
	v_cmp_gt_f32_e32 vcc, s7, v10
	v_cndmask_b32_e32 v10, v10, v11, vcc
	v_rsq_f32_e32 v10, v10
	v_mul_f32_e32 v11, 0x45800000, v10
	v_cndmask_b32_e32 v10, v10, v11, vcc
	v_mov_b32_e32 v11, v10
	;;#ASMSTART
	v_pk_mul_f32 v[12:13], v[18:19], v[10:11]
	;;#ASMEND
	s_waitcnt vmcnt(1)
	v_cvt_f32_f16_sdwa v19, v6 dst_sel:DWORD dst_unused:UNUSED_PAD src0_sel:WORD_1
	v_cvt_f32_f16_e32 v18, v6
	;;#ASMSTART
	v_pk_mul_f32 v[14:15], v[32:33], v[10:11]
	;;#ASMEND
	;;#ASMSTART
	v_pk_mul_f32 v[16:17], v[26:27], v[10:11]
	;;#ASMEND
	v_cvt_f32_f16_sdwa v27, v7 dst_sel:DWORD dst_unused:UNUSED_PAD src0_sel:WORD_1
	v_cvt_f32_f16_e32 v26, v7
	;;#ASMSTART
	v_pk_mul_f32 v[30:31], v[30:31], v[10:11]
	;;#ASMEND
	;;#ASMSTART
	v_pk_mul_f32 v[24:25], v[24:25], v[10:11]
	;;#ASMEND
	;;#ASMSTART
	v_pk_mul_f32 v[28:29], v[28:29], v[10:11]
	;;#ASMEND
	;;#ASMSTART
	v_pk_mul_f32 v[22:23], v[22:23], v[10:11]
	;;#ASMEND
	;;#ASMSTART
	v_pk_mul_f32 v[6:7], v[20:21], v[10:11]
	;;#ASMEND
	v_pk_add_f32 v[10:11], v[18:19], 1.0 op_sel_hi:[1,0]
	;;#ASMSTART
	v_pk_mul_f32 v[18:19], v[12:13], v[10:11]
	;;#ASMEND
	v_cvt_f32_f16_sdwa v13, v8 dst_sel:DWORD dst_unused:UNUSED_PAD src0_sel:WORD_1
	v_cvt_f32_f16_e32 v12, v8
	v_cvt_f32_f16_sdwa v21, v9 dst_sel:DWORD dst_unused:UNUSED_PAD src0_sel:WORD_1
	v_cvt_f32_f16_e32 v20, v9
	v_pk_add_f32 v[10:11], v[26:27], 1.0 op_sel_hi:[1,0]
	;;#ASMSTART
	v_pk_mul_f32 v[32:33], v[14:15], v[10:11]
	;;#ASMEND
	s_waitcnt vmcnt(0)
	v_cvt_f32_f16_sdwa v11, v2 dst_sel:DWORD dst_unused:UNUSED_PAD src0_sel:WORD_1
	v_cvt_f32_f16_e32 v10, v2
	v_pk_add_f32 v[8:9], v[12:13], 1.0 op_sel_hi:[1,0]
	;;#ASMSTART
	v_pk_mul_f32 v[26:27], v[16:17], v[8:9]
	;;#ASMEND
	v_pk_add_f32 v[8:9], v[20:21], 1.0 op_sel_hi:[1,0]
	v_cvt_f32_f16_sdwa v13, v3 dst_sel:DWORD dst_unused:UNUSED_PAD src0_sel:WORD_1
	v_cvt_f32_f16_e32 v12, v3
	;;#ASMSTART
	v_pk_mul_f32 v[30:31], v[30:31], v[8:9]
	;;#ASMEND
	v_cvt_f32_f16_sdwa v9, v4 dst_sel:DWORD dst_unused:UNUSED_PAD src0_sel:WORD_1
	v_cvt_f32_f16_e32 v8, v4
	v_pk_add_f32 v[2:3], v[10:11], 1.0 op_sel_hi:[1,0]
	v_cvt_f32_f16_sdwa v11, v5 dst_sel:DWORD dst_unused:UNUSED_PAD src0_sel:WORD_1
	v_cvt_f32_f16_e32 v10, v5
	;;#ASMSTART
	v_pk_mul_f32 v[24:25], v[24:25], v[2:3]
	;;#ASMEND
	v_pk_add_f32 v[2:3], v[12:13], 1.0 op_sel_hi:[1,0]
	;;#ASMSTART
	v_pk_mul_f32 v[28:29], v[28:29], v[2:3]
	;;#ASMEND
	v_pk_add_f32 v[2:3], v[8:9], 1.0 op_sel_hi:[1,0]
	;;#ASMSTART
	v_pk_mul_f32 v[22:23], v[22:23], v[2:3]
	;;#ASMEND
	v_pk_add_f32 v[2:3], v[10:11], 1.0 op_sel_hi:[1,0]
	;;#ASMSTART
	v_pk_mul_f32 v[20:21], v[6:7], v[2:3]
	;;#ASMEND
.LBB881_9:
	s_or_b64 exec, exec, s[8:9]
	s_load_dword s7, s[4:5], 0x80
	s_mov_b64 s[8:9], -1
	s_and_b64 vcc, exec, s[14:15]
	s_cbranch_vccnz .LBB881_13
; %bb.10:
	s_andn2_b64 vcc, exec, s[8:9]
	s_cbranch_vccz .LBB881_16
.LBB881_11:
	s_cmp_lt_i32 s20, 1
	s_cbranch_scc0 .LBB881_23
.LBB881_12:
	s_endpgm
.LBB881_13:
	s_and_saveexec_b64 s[14:15], s[2:3]
	s_cbranch_execz .LBB881_15
; %bb.14:
	s_waitcnt lgkmcnt(0)
	s_mul_hi_i32 s9, s7, s6
	s_mul_i32 s8, s7, s6
	s_waitcnt vmcnt(0)
	v_cvt_f16_f32_e32 v2, v18
	v_cvt_f16_f32_e32 v3, v32
	;; [unrolled: 1-line block ×8, first 2 shown]
	s_lshl_b64 s[8:9], s[8:9], 1
	s_add_u32 s8, s28, s8
	s_addc_u32 s9, s29, s9
	s_and_b32 s9, s9, 0xffff
	s_mov_b32 s11, 0x20000
	v_pack_b32_f16 v5, v5, v6
	v_pack_b32_f16 v4, v4, v7
	;; [unrolled: 1-line block ×4, first 2 shown]
	v_lshlrev_b32_e32 v6, 5, v0
	buffer_store_dwordx4 v[2:5], v6, s[8:11], 0 offen
	v_cvt_f16_f32_e32 v7, v21
	v_cvt_f16_f32_e32 v2, v24
	;; [unrolled: 1-line block ×8, first 2 shown]
	v_pack_b32_f16 v5, v5, v7
	v_pack_b32_f16 v4, v4, v8
	;; [unrolled: 1-line block ×4, first 2 shown]
	;;#ASMSTART
	s_nop 0
	;;#ASMEND
	buffer_store_dwordx4 v[2:5], v6, s[8:11], 16 offen
	;;#ASMSTART
	s_nop 0
	;;#ASMEND
.LBB881_15:
	s_or_b64 exec, exec, s[14:15]
	s_cbranch_execnz .LBB881_11
.LBB881_16:
	s_waitcnt vmcnt(0)
	v_mov_b32_e32 v2, 0
	s_and_saveexec_b64 s[8:9], s[2:3]
	s_cbranch_execz .LBB881_18
; %bb.17:
	v_and_b32_e32 v2, 0x7fffffff, v18
	v_and_b32_e32 v3, 0x7fffffff, v19
	v_mov_b32_e32 v4, 0x2edbe6ff
	;;#ASMSTART
	v_max3_f32 v2, v4, v2, v3

	;;#ASMEND
	v_and_b32_e32 v3, 0x7fffffff, v32
	v_and_b32_e32 v4, 0x7fffffff, v33
	;;#ASMSTART
	v_max3_f32 v2, v2, v3, v4

	;;#ASMEND
	v_and_b32_e32 v3, 0x7fffffff, v26
	v_and_b32_e32 v4, 0x7fffffff, v27
	;; [unrolled: 6-line block ×7, first 2 shown]
	;;#ASMSTART
	v_max3_f32 v2, v2, v3, v4

	;;#ASMEND
.LBB881_18:
	s_or_b64 exec, exec, s[8:9]
	s_load_dwordx4 s[24:27], s[4:5], 0x70
	;;#ASMSTART
	v_max_f32 v3, v2, v2 quad_perm:[1,0,3,2] row_mask:0xf bank_mask:0xf bound_ctrl:1
	;;#ASMEND
	v_mul_f32_e32 v2, 0x3b124925, v3
	v_and_b32_e32 v3, 1, v0
	v_cmp_eq_u32_e32 vcc, 0, v3
	v_cmp_gt_i32_e64 s[8:9], s19, v1
	s_and_b64 s[10:11], vcc, s[8:9]
	s_and_saveexec_b64 s[8:9], s[10:11]
	s_cbranch_execz .LBB881_20
; %bb.19:
	s_load_dwordx2 s[10:11], s[4:5], 0x8
	s_waitcnt lgkmcnt(0)
	s_mul_hi_i32 s15, s25, s6
	s_mul_i32 s14, s25, s6
	v_lshrrev_b32_e32 v3, 1, v0
	s_lshl_b64 s[14:15], s[14:15], 2
	v_mad_i64_i32 v[4:5], s[26:27], s26, v3, 0
	s_add_u32 s10, s10, s14
	s_addc_u32 s11, s11, s15
	v_lshlrev_b64 v[4:5], 2, v[4:5]
	v_mov_b32_e32 v3, s11
	v_add_co_u32_e32 v4, vcc, s10, v4
	v_addc_co_u32_e32 v5, vcc, v3, v5, vcc
	global_store_dword v[4:5], v2, off
.LBB881_20:
	s_or_b64 exec, exec, s[8:9]
	;;#ASMSTART
	v_rcp_f32 v2, v2
	;;#ASMEND
	s_and_saveexec_b64 s[14:15], s[2:3]
	s_cbranch_execz .LBB881_22
; %bb.21:
	s_load_dwordx2 s[2:3], s[4:5], 0x0
	s_waitcnt lgkmcnt(0)
	s_mul_i32 s8, s24, s6
	s_mul_hi_i32 s9, s24, s6
	v_mov_b32_e32 v3, v2
	;;#ASMSTART
	v_pk_mul_f32 v[4:5], v[18:19], v[2:3]
	;;#ASMEND
	s_add_u32 s8, s2, s8
	s_addc_u32 s2, s3, s9
	s_add_i32 s3, s19, 3
	s_ashr_i32 s10, s3, 31
	v_mov_b32_e32 v10, 0xc3e00000
	v_mov_b32_e32 v11, 0x43e00000
	;;#ASMSTART
	v_med3_f32 v4, v4, v10, v11
v_med3_f32 v5, v5, v10, v11
v_cvt_pk_fp8_f32 v6, v4, v5
	;;#ASMEND
	s_and_b32 s9, s2, 0xffff
	s_lshr_b32 s2, s10, 30
	;;#ASMSTART
	v_pk_mul_f32 v[4:5], v[32:33], v[2:3]
	;;#ASMEND
	s_add_i32 s3, s3, s2
	;;#ASMSTART
	v_med3_f32 v4, v4, v10, v11
v_med3_f32 v5, v5, v10, v11
v_cvt_pk_fp8_f32 v7, v4, v5
	;;#ASMEND
	s_mov_b32 s2, 0x5040100
	v_perm_b32 v4, v7, v6, s2
	s_mov_b32 s2, 0x1060504
	v_perm_b32 v4, v4, v7, s2
	;;#ASMSTART
	v_pk_mul_f32 v[6:7], v[26:27], v[2:3]
	;;#ASMEND
	v_mov_b32_e32 v5, v6
	;;#ASMSTART
	v_med3_f32 v5, v5, v10, v11
v_med3_f32 v7, v7, v10, v11
v_cvt_pk_fp8_f32 v8, v5, v7
	;;#ASMEND
	;;#ASMSTART
	v_pk_mul_f32 v[6:7], v[30:31], v[2:3]
	;;#ASMEND
	v_mov_b32_e32 v5, v7
	;;#ASMSTART
	v_med3_f32 v6, v6, v10, v11
v_med3_f32 v5, v5, v10, v11
v_cvt_pk_fp8_f32 v7, v6, v5
	;;#ASMEND
	s_mov_b32 s2, 0x1000504
	v_perm_b32 v5, v8, v7, s2
	;;#ASMSTART
	v_pk_mul_f32 v[6:7], v[24:25], v[2:3]
	;;#ASMEND
	;;#ASMSTART
	v_med3_f32 v6, v6, v10, v11
v_med3_f32 v7, v7, v10, v11
v_cvt_pk_fp8_f32 v8, v6, v7
	;;#ASMEND
	;;#ASMSTART
	v_pk_mul_f32 v[6:7], v[28:29], v[2:3]
	;;#ASMEND
	;;#ASMSTART
	v_med3_f32 v6, v6, v10, v11
v_med3_f32 v7, v7, v10, v11
v_cvt_pk_fp8_f32 v9, v6, v7
	;;#ASMEND
	v_perm_b32 v6, v8, v9, s2
	;;#ASMSTART
	v_pk_mul_f32 v[8:9], v[22:23], v[2:3]
	;;#ASMEND
	v_mov_b32_e32 v7, v8
	;;#ASMSTART
	v_med3_f32 v7, v7, v10, v11
v_med3_f32 v9, v9, v10, v11
v_cvt_pk_fp8_f32 v8, v7, v9
	;;#ASMEND
	;;#ASMSTART
	v_pk_mul_f32 v[2:3], v[20:21], v[2:3]
	;;#ASMEND
	;;#ASMSTART
	v_med3_f32 v2, v2, v10, v11
v_med3_f32 v3, v3, v10, v11
v_cvt_pk_fp8_f32 v7, v2, v3
	;;#ASMEND
	s_and_b32 s10, s3, -4
	s_mov_b32 s11, 0x20000
	v_perm_b32 v7, v8, v7, s2
	buffer_store_dwordx4 v[4:7], v1, s[8:11], 0 offen
	;;#ASMSTART
	s_nop 0
	;;#ASMEND
.LBB881_22:
	s_or_b64 exec, exec, s[14:15]
	s_cmp_lt_i32 s20, 1
	s_cbranch_scc1 .LBB881_12
.LBB881_23:
	s_load_dword s2, s[4:5], 0x94
	s_waitcnt lgkmcnt(0)
	s_cmp_lg_u32 s2, 1
	s_cbranch_scc1 .LBB881_12
; %bb.24:
	s_lshl_b32 s2, s20, 1
	s_add_i32 s2, s2, 2
	v_cmp_gt_u32_e32 vcc, s20, v1
	s_and_b32 s14, s2, -4
	v_mov_b32_e32 v18, 0
	v_lshlrev_b32_e32 v1, 5, v0
	v_mov_b32_e32 v14, 0
	v_mov_b32_e32 v15, 0
	;; [unrolled: 1-line block ×8, first 2 shown]
	s_waitcnt vmcnt(1)
	v_mov_b32_e32 v6, 0
	v_mov_b32_e32 v7, 0
	;; [unrolled: 1-line block ×4, first 2 shown]
	s_waitcnt vmcnt(0)
	v_mov_b32_e32 v2, 0
	v_mov_b32_e32 v3, 0
	v_mov_b32_e32 v4, 0
	v_mov_b32_e32 v5, 0
	s_barrier
	s_and_saveexec_b64 s[2:3], vcc
	s_cbranch_execz .LBB881_26
; %bb.25:
	s_mul_hi_i32 s5, s22, s6
	s_mul_i32 s4, s22, s6
	s_and_b32 s13, s13, 0xffff
	s_lshl_b64 s[4:5], s[4:5], 1
	s_add_u32 s8, s30, s4
	s_mov_b32 s15, 0x20000
	s_addc_u32 s4, s31, s5
	s_and_b32 s9, s4, 0xffff
	s_mov_b32 s10, s14
	s_mov_b32 s11, s15
	buffer_load_dwordx4 v[14:17], v1, s[8:11], 0 offen
	buffer_load_dwordx4 v[10:13], v1, s[8:11], 16 offen
	;; [unrolled: 1-line block ×4, first 2 shown]
.LBB881_26:
	s_or_b64 exec, exec, s[2:3]
	v_mov_b32_e32 v19, 0
	v_mov_b32_e32 v32, 0
	;; [unrolled: 1-line block ×15, first 2 shown]
	s_and_saveexec_b64 s[2:3], vcc
	s_cbranch_execz .LBB881_28
; %bb.27:
	s_waitcnt vmcnt(3)
	v_cvt_f32_f16_sdwa v19, v14 dst_sel:DWORD dst_unused:UNUSED_PAD src0_sel:WORD_1
	v_cvt_f32_f16_e32 v18, v14
	v_cvt_f32_f16_sdwa v33, v15 dst_sel:DWORD dst_unused:UNUSED_PAD src0_sel:WORD_1
	v_cvt_f32_f16_e32 v32, v15
	;; [unrolled: 2-line block ×4, first 2 shown]
	s_waitcnt vmcnt(2)
	v_cvt_f32_f16_sdwa v27, v10 dst_sel:DWORD dst_unused:UNUSED_PAD src0_sel:WORD_1
	v_cvt_f32_f16_e32 v26, v10
	v_cvt_f32_f16_sdwa v25, v11 dst_sel:DWORD dst_unused:UNUSED_PAD src0_sel:WORD_1
	v_cvt_f32_f16_e32 v24, v11
	;; [unrolled: 2-line block ×4, first 2 shown]
.LBB881_28:
	s_or_b64 exec, exec, s[2:3]
	s_waitcnt vmcnt(2)
	v_mul_f32_e32 v10, v19, v19
	v_fmac_f32_e32 v10, v18, v18
	v_fmac_f32_e32 v10, v32, v32
	;; [unrolled: 1-line block ×15, first 2 shown]
	s_nop 1
	v_mov_b32_dpp v11, v10 quad_perm:[1,0,3,2] row_mask:0xf bank_mask:0xf
	v_add_f32_e32 v10, v10, v11
	s_nop 1
	v_mov_b32_dpp v11, v10 quad_perm:[2,3,0,1] row_mask:0xf bank_mask:0xf
	v_add_f32_e32 v10, v10, v11
	s_nop 1
	v_mov_b32_dpp v11, v10 row_half_mirror row_mask:0xf bank_mask:0xf
	v_add_f32_e32 v10, v10, v11
	s_nop 1
	v_mov_b32_dpp v11, v10 row_mirror row_mask:0xf bank_mask:0xf
	v_add_f32_e32 v10, v10, v11
	s_nop 1
	v_mov_b32_dpp v11, v10 row_bcast:15 row_mask:0xf bank_mask:0xf
	v_add_f32_e32 v10, v10, v11
	s_nop 1
	v_mov_b32_dpp v11, v10 row_bcast:31 row_mask:0xf bank_mask:0xf
	s_and_saveexec_b64 s[2:3], s[0:1]
	s_cbranch_execz .LBB881_30
; %bb.29:
	v_lshrrev_b32_e32 v0, 4, v0
	v_add_f32_e32 v10, v10, v11
	v_and_b32_e32 v0, 60, v0
	ds_write_b32 v0, v10
.LBB881_30:
	s_or_b64 exec, exec, s[2:3]
	s_waitcnt lgkmcnt(0)
	s_barrier
	ds_read_b32 v0, v34
	s_waitcnt lgkmcnt(0)
	s_nop 0
	v_mov_b32_dpp v10, v0 quad_perm:[1,0,3,2] row_mask:0xf bank_mask:0xf
	v_add_f32_e32 v0, v0, v10
	s_nop 1
	v_mov_b32_dpp v10, v0 quad_perm:[2,3,0,1] row_mask:0xf bank_mask:0xf
	s_and_saveexec_b64 s[0:1], vcc
	s_cbranch_execz .LBB881_12
; %bb.31:
	v_cvt_f32_u32_e32 v11, s20
	v_add_f32_e32 v0, v0, v10
	s_mov_b32 s15, 0x20000
	v_div_scale_f32 v10, s[0:1], v11, v11, v0
	v_rcp_f32_e32 v12, v10
	v_div_scale_f32 v13, vcc, v0, v11, v0
	s_mov_b32 s0, 0x800000
	v_fma_f32 v14, -v10, v12, 1.0
	v_fmac_f32_e32 v12, v14, v12
	v_mul_f32_e32 v14, v13, v12
	v_fma_f32 v15, -v10, v14, v13
	v_fmac_f32_e32 v14, v15, v12
	v_fma_f32 v10, -v10, v14, v13
	v_div_fmas_f32 v10, v10, v12, v14
	v_div_fixup_f32 v0, v10, v11, v0
	v_add_f32_e32 v0, s17, v0
	v_mul_f32_e32 v10, 0x4b800000, v0
	v_cmp_gt_f32_e32 vcc, s0, v0
	v_cndmask_b32_e32 v0, v0, v10, vcc
	v_rsq_f32_e32 v0, v0
	s_mul_hi_i32 s1, s7, s6
	s_mul_i32 s0, s7, s6
	s_lshl_b64 s[0:1], s[0:1], 1
	v_mul_f32_e32 v10, 0x45800000, v0
	v_cndmask_b32_e32 v10, v0, v10, vcc
	v_mov_b32_e32 v11, v10
	;;#ASMSTART
	v_pk_mul_f32 v[12:13], v[18:19], v[10:11]
	;;#ASMEND
	;;#ASMSTART
	v_pk_mul_f32 v[14:15], v[32:33], v[10:11]
	;;#ASMEND
	;; [unrolled: 3-line block ×4, first 2 shown]
	s_waitcnt vmcnt(1)
	v_cvt_f32_f16_sdwa v29, v6 dst_sel:DWORD dst_unused:UNUSED_PAD src0_sel:WORD_1
	v_cvt_f32_f16_e32 v28, v6
	v_cvt_f32_f16_sdwa v31, v7 dst_sel:DWORD dst_unused:UNUSED_PAD src0_sel:WORD_1
	v_cvt_f32_f16_e32 v30, v7
	;;#ASMSTART
	v_pk_mul_f32 v[26:27], v[26:27], v[10:11]
	;;#ASMEND
	;;#ASMSTART
	v_pk_mul_f32 v[24:25], v[24:25], v[10:11]
	;;#ASMEND
	;; [unrolled: 3-line block ×4, first 2 shown]
	v_cvt_f32_f16_sdwa v21, v8 dst_sel:DWORD dst_unused:UNUSED_PAD src0_sel:WORD_1
	v_cvt_f32_f16_e32 v20, v8
	v_pk_add_f32 v[10:11], v[28:29], 1.0 op_sel_hi:[1,0]
	;;#ASMSTART
	v_pk_mul_f32 v[10:11], v[12:13], v[10:11]
	;;#ASMEND
	v_pk_add_f32 v[12:13], v[30:31], 1.0 op_sel_hi:[1,0]
	v_cvt_f32_f16_sdwa v29, v9 dst_sel:DWORD dst_unused:UNUSED_PAD src0_sel:WORD_1
	v_cvt_f32_f16_e32 v28, v9
	;;#ASMSTART
	v_pk_mul_f32 v[8:9], v[14:15], v[12:13]
	;;#ASMEND
	v_pk_add_f32 v[12:13], v[20:21], 1.0 op_sel_hi:[1,0]
	;;#ASMSTART
	v_pk_mul_f32 v[12:13], v[16:17], v[12:13]
	;;#ASMEND
	s_waitcnt vmcnt(0)
	v_cvt_f32_f16_sdwa v17, v2 dst_sel:DWORD dst_unused:UNUSED_PAD src0_sel:WORD_1
	v_cvt_f32_f16_e32 v16, v2
	v_cvt_f32_f16_sdwa v21, v3 dst_sel:DWORD dst_unused:UNUSED_PAD src0_sel:WORD_1
	v_cvt_f32_f16_e32 v20, v3
	v_pk_add_f32 v[14:15], v[28:29], 1.0 op_sel_hi:[1,0]
	;;#ASMSTART
	v_pk_mul_f32 v[2:3], v[18:19], v[14:15]
	;;#ASMEND
	v_cvt_f32_f16_sdwa v19, v4 dst_sel:DWORD dst_unused:UNUSED_PAD src0_sel:WORD_1
	v_cvt_f32_f16_e32 v18, v4
	v_pk_add_f32 v[14:15], v[16:17], 1.0 op_sel_hi:[1,0]
	v_pk_add_f32 v[16:17], v[20:21], 1.0 op_sel_hi:[1,0]
	v_cvt_f32_f16_sdwa v21, v5 dst_sel:DWORD dst_unused:UNUSED_PAD src0_sel:WORD_1
	v_cvt_f32_f16_e32 v20, v5
	v_pk_add_f32 v[4:5], v[18:19], 1.0 op_sel_hi:[1,0]
	;;#ASMSTART
	v_pk_mul_f32 v[14:15], v[26:27], v[14:15]
	;;#ASMEND
	;;#ASMSTART
	v_pk_mul_f32 v[16:17], v[24:25], v[16:17]
	;;#ASMEND
	;; [unrolled: 3-line block ×3, first 2 shown]
	v_pk_add_f32 v[4:5], v[20:21], 1.0 op_sel_hi:[1,0]
	;;#ASMSTART
	v_pk_mul_f32 v[6:7], v[6:7], v[4:5]
	;;#ASMEND
	v_cvt_f16_f32_e32 v0, v10
	v_cvt_f16_f32_e32 v4, v11
	;; [unrolled: 1-line block ×8, first 2 shown]
	s_add_u32 s12, s28, s0
	s_addc_u32 s0, s29, s1
	s_and_b32 s13, s0, 0xffff
	v_pack_b32_f16 v2, v0, v4
	v_pack_b32_f16 v3, v5, v8
	;; [unrolled: 1-line block ×4, first 2 shown]
	buffer_store_dwordx4 v[2:5], v1, s[12:15], 0 offen
	v_cvt_f16_f32_e32 v0, v14
	v_cvt_f16_f32_e32 v2, v15
	;; [unrolled: 1-line block ×8, first 2 shown]
	v_pack_b32_f16 v2, v0, v2
	v_pack_b32_f16 v3, v3, v4
	v_pack_b32_f16 v4, v5, v8
	v_pack_b32_f16 v5, v6, v7
	;;#ASMSTART
	s_nop 0
	;;#ASMEND
	buffer_store_dwordx4 v[2:5], v1, s[12:15], 16 offen
	;;#ASMSTART
	s_nop 0
	;;#ASMEND
	s_endpgm
	.section	.rodata,"a",@progbits
	.p2align	6, 0x0
	.amdhsa_kernel _ZN5aiter35fused_qk_rmsnorm_group_quant_kernelIDF16_DB8_Li256ELi16ELi2ELb0ELb0ELb1ELb0ELb0ELb0EEEvPT0_PvPT_S6_S6_PKS5_S8_S8_S8_S8_ffiiiiiiiiiiiii
		.amdhsa_group_segment_fixed_size 32
		.amdhsa_private_segment_fixed_size 0
		.amdhsa_kernarg_size 400
		.amdhsa_user_sgpr_count 6
		.amdhsa_user_sgpr_private_segment_buffer 1
		.amdhsa_user_sgpr_dispatch_ptr 0
		.amdhsa_user_sgpr_queue_ptr 0
		.amdhsa_user_sgpr_kernarg_segment_ptr 1
		.amdhsa_user_sgpr_dispatch_id 0
		.amdhsa_user_sgpr_flat_scratch_init 0
		.amdhsa_user_sgpr_kernarg_preload_length 0
		.amdhsa_user_sgpr_kernarg_preload_offset 0
		.amdhsa_user_sgpr_private_segment_size 0
		.amdhsa_uses_dynamic_stack 0
		.amdhsa_system_sgpr_private_segment_wavefront_offset 0
		.amdhsa_system_sgpr_workgroup_id_x 1
		.amdhsa_system_sgpr_workgroup_id_y 1
		.amdhsa_system_sgpr_workgroup_id_z 0
		.amdhsa_system_sgpr_workgroup_info 0
		.amdhsa_system_vgpr_workitem_id 0
		.amdhsa_next_free_vgpr 35
		.amdhsa_next_free_sgpr 32
		.amdhsa_accum_offset 36
		.amdhsa_reserve_vcc 1
		.amdhsa_reserve_flat_scratch 0
		.amdhsa_float_round_mode_32 0
		.amdhsa_float_round_mode_16_64 0
		.amdhsa_float_denorm_mode_32 3
		.amdhsa_float_denorm_mode_16_64 3
		.amdhsa_dx10_clamp 1
		.amdhsa_ieee_mode 1
		.amdhsa_fp16_overflow 0
		.amdhsa_tg_split 0
		.amdhsa_exception_fp_ieee_invalid_op 0
		.amdhsa_exception_fp_denorm_src 0
		.amdhsa_exception_fp_ieee_div_zero 0
		.amdhsa_exception_fp_ieee_overflow 0
		.amdhsa_exception_fp_ieee_underflow 0
		.amdhsa_exception_fp_ieee_inexact 0
		.amdhsa_exception_int_div_zero 0
	.end_amdhsa_kernel
	.section	.text._ZN5aiter35fused_qk_rmsnorm_group_quant_kernelIDF16_DB8_Li256ELi16ELi2ELb0ELb0ELb1ELb0ELb0ELb0EEEvPT0_PvPT_S6_S6_PKS5_S8_S8_S8_S8_ffiiiiiiiiiiiii,"axG",@progbits,_ZN5aiter35fused_qk_rmsnorm_group_quant_kernelIDF16_DB8_Li256ELi16ELi2ELb0ELb0ELb1ELb0ELb0ELb0EEEvPT0_PvPT_S6_S6_PKS5_S8_S8_S8_S8_ffiiiiiiiiiiiii,comdat
.Lfunc_end881:
	.size	_ZN5aiter35fused_qk_rmsnorm_group_quant_kernelIDF16_DB8_Li256ELi16ELi2ELb0ELb0ELb1ELb0ELb0ELb0EEEvPT0_PvPT_S6_S6_PKS5_S8_S8_S8_S8_ffiiiiiiiiiiiii, .Lfunc_end881-_ZN5aiter35fused_qk_rmsnorm_group_quant_kernelIDF16_DB8_Li256ELi16ELi2ELb0ELb0ELb1ELb0ELb0ELb0EEEvPT0_PvPT_S6_S6_PKS5_S8_S8_S8_S8_ffiiiiiiiiiiiii
                                        ; -- End function
	.section	.AMDGPU.csdata,"",@progbits
; Kernel info:
; codeLenInByte = 3540
; NumSgprs: 36
; NumVgprs: 35
; NumAgprs: 0
; TotalNumVgprs: 35
; ScratchSize: 0
; MemoryBound: 0
; FloatMode: 240
; IeeeMode: 1
; LDSByteSize: 32 bytes/workgroup (compile time only)
; SGPRBlocks: 4
; VGPRBlocks: 4
; NumSGPRsForWavesPerEU: 36
; NumVGPRsForWavesPerEU: 35
; AccumOffset: 36
; Occupancy: 8
; WaveLimiterHint : 0
; COMPUTE_PGM_RSRC2:SCRATCH_EN: 0
; COMPUTE_PGM_RSRC2:USER_SGPR: 6
; COMPUTE_PGM_RSRC2:TRAP_HANDLER: 0
; COMPUTE_PGM_RSRC2:TGID_X_EN: 1
; COMPUTE_PGM_RSRC2:TGID_Y_EN: 1
; COMPUTE_PGM_RSRC2:TGID_Z_EN: 0
; COMPUTE_PGM_RSRC2:TIDIG_COMP_CNT: 0
; COMPUTE_PGM_RSRC3_GFX90A:ACCUM_OFFSET: 8
; COMPUTE_PGM_RSRC3_GFX90A:TG_SPLIT: 0
	.section	.text._ZN5aiter35fused_qk_rmsnorm_group_quant_kernelItDB8_Li256ELi16ELi2ELb0ELb0ELb1ELb0ELb0ELb0EEEvPT0_PvPT_S6_S6_PKS5_S8_S8_S8_S8_ffiiiiiiiiiiiii,"axG",@progbits,_ZN5aiter35fused_qk_rmsnorm_group_quant_kernelItDB8_Li256ELi16ELi2ELb0ELb0ELb1ELb0ELb0ELb0EEEvPT0_PvPT_S6_S6_PKS5_S8_S8_S8_S8_ffiiiiiiiiiiiii,comdat
	.protected	_ZN5aiter35fused_qk_rmsnorm_group_quant_kernelItDB8_Li256ELi16ELi2ELb0ELb0ELb1ELb0ELb0ELb0EEEvPT0_PvPT_S6_S6_PKS5_S8_S8_S8_S8_ffiiiiiiiiiiiii ; -- Begin function _ZN5aiter35fused_qk_rmsnorm_group_quant_kernelItDB8_Li256ELi16ELi2ELb0ELb0ELb1ELb0ELb0ELb0EEEvPT0_PvPT_S6_S6_PKS5_S8_S8_S8_S8_ffiiiiiiiiiiiii
	.globl	_ZN5aiter35fused_qk_rmsnorm_group_quant_kernelItDB8_Li256ELi16ELi2ELb0ELb0ELb1ELb0ELb0ELb0EEEvPT0_PvPT_S6_S6_PKS5_S8_S8_S8_S8_ffiiiiiiiiiiiii
	.p2align	8
	.type	_ZN5aiter35fused_qk_rmsnorm_group_quant_kernelItDB8_Li256ELi16ELi2ELb0ELb0ELb1ELb0ELb0ELb0EEEvPT0_PvPT_S6_S6_PKS5_S8_S8_S8_S8_ffiiiiiiiiiiiii,@function
_ZN5aiter35fused_qk_rmsnorm_group_quant_kernelItDB8_Li256ELi16ELi2ELb0ELb0ELb1ELb0ELb0ELb0EEEvPT0_PvPT_S6_S6_PKS5_S8_S8_S8_S8_ffiiiiiiiiiiiii: ; @_ZN5aiter35fused_qk_rmsnorm_group_quant_kernelItDB8_Li256ELi16ELi2ELb0ELb0ELb1ELb0ELb0ELb0EEEvPT0_PvPT_S6_S6_PKS5_S8_S8_S8_S8_ffiiiiiiiiiiiii
; %bb.0:
	s_load_dwordx4 s[16:19], s[4:5], 0x50
	s_waitcnt lgkmcnt(0)
	s_cmp_ge_i32 s6, s18
	s_cbranch_scc1 .LBB882_12
; %bb.1:
	s_load_dwordx2 s[12:13], s[4:5], 0x48
	s_load_dwordx2 s[30:31], s[4:5], 0x30
	s_load_dwordx4 s[20:23], s[4:5], 0x60
	s_cmp_lg_u32 s7, 0
	s_cselect_b64 s[14:15], -1, 0
	s_cmp_eq_u32 s7, 0
	s_cselect_b64 vcc, -1, 0
	s_and_b64 s[0:1], vcc, exec
	s_waitcnt lgkmcnt(0)
	s_cselect_b32 s7, s19, s20
	s_add_i32 s0, s7, 1
	s_lshr_b32 s1, s0, 31
	s_add_i32 s0, s0, s1
	s_lshl_b32 s0, s0, 1
	v_lshlrev_b32_e32 v1, 4, v0
	s_and_b32 s10, s0, -4
	v_cmp_gt_i32_e64 s[2:3], s7, v1
	v_mov_b32_e32 v18, 0
	v_mov_b32_e32 v6, 0
	;; [unrolled: 1-line block ×17, first 2 shown]
	s_and_saveexec_b64 s[0:1], s[2:3]
	s_cbranch_execz .LBB882_3
; %bb.2:
	s_load_dwordx2 s[8:9], s[4:5], 0x28
	s_load_dwordx2 s[26:27], s[4:5], 0x40
	s_and_b64 s[24:25], vcc, exec
	s_cselect_b32 s11, s21, s22
	v_lshlrev_b32_e32 v19, 5, v0
	s_waitcnt lgkmcnt(0)
	s_cselect_b32 s18, s9, s31
	s_cselect_b32 s21, s8, s30
	s_mul_hi_i32 s9, s11, s6
	s_mul_i32 s8, s11, s6
	s_lshl_b64 s[8:9], s[8:9], 1
	s_add_u32 s24, s21, s8
	s_addc_u32 s18, s18, s9
	s_and_b64 s[8:9], vcc, exec
	s_mov_b32 s11, 0x20000
	s_cselect_b32 s8, s26, s12
	s_cselect_b32 s9, s27, s13
	s_and_b32 s25, s18, 0xffff
	s_mov_b32 s26, s10
	s_mov_b32 s27, s11
	s_and_b32 s9, s9, 0xffff
	buffer_load_dwordx4 v[14:17], v19, s[24:27], 0 offen
	buffer_load_dwordx4 v[10:13], v19, s[24:27], 16 offen
	;; [unrolled: 1-line block ×4, first 2 shown]
.LBB882_3:
	s_or_b64 exec, exec, s[0:1]
	v_mov_b32_e32 v19, 0
	v_mov_b32_e32 v32, 0
	;; [unrolled: 1-line block ×15, first 2 shown]
	s_and_saveexec_b64 s[0:1], s[2:3]
	s_cbranch_execz .LBB882_5
; %bb.4:
	s_waitcnt vmcnt(3)
	v_cvt_f32_u32_sdwa v18, v14 dst_sel:DWORD dst_unused:UNUSED_PAD src0_sel:WORD_0
	v_cvt_f32_u32_sdwa v19, v14 dst_sel:DWORD dst_unused:UNUSED_PAD src0_sel:WORD_1
	v_cvt_f32_u32_sdwa v32, v15 dst_sel:DWORD dst_unused:UNUSED_PAD src0_sel:WORD_0
	v_cvt_f32_u32_sdwa v33, v15 dst_sel:DWORD dst_unused:UNUSED_PAD src0_sel:WORD_1
	;; [unrolled: 2-line block ×4, first 2 shown]
	s_waitcnt vmcnt(2)
	v_cvt_f32_u32_sdwa v24, v10 dst_sel:DWORD dst_unused:UNUSED_PAD src0_sel:WORD_0
	v_cvt_f32_u32_sdwa v25, v10 dst_sel:DWORD dst_unused:UNUSED_PAD src0_sel:WORD_1
	v_cvt_f32_u32_sdwa v28, v11 dst_sel:DWORD dst_unused:UNUSED_PAD src0_sel:WORD_0
	v_cvt_f32_u32_sdwa v29, v11 dst_sel:DWORD dst_unused:UNUSED_PAD src0_sel:WORD_1
	;; [unrolled: 2-line block ×4, first 2 shown]
.LBB882_5:
	s_or_b64 exec, exec, s[0:1]
	s_waitcnt vmcnt(2)
	v_mul_f32_e32 v10, v19, v19
	v_fmac_f32_e32 v10, v18, v18
	v_fmac_f32_e32 v10, v32, v32
	;; [unrolled: 1-line block ×15, first 2 shown]
	v_and_b32_e32 v12, 63, v0
	v_cmp_eq_u32_e64 s[0:1], 63, v12
	v_mov_b32_dpp v11, v10 quad_perm:[1,0,3,2] row_mask:0xf bank_mask:0xf
	v_add_f32_e32 v10, v10, v11
	s_nop 1
	v_mov_b32_dpp v11, v10 quad_perm:[2,3,0,1] row_mask:0xf bank_mask:0xf
	v_add_f32_e32 v10, v10, v11
	s_nop 1
	v_mov_b32_dpp v11, v10 row_half_mirror row_mask:0xf bank_mask:0xf
	v_add_f32_e32 v10, v10, v11
	s_nop 1
	v_mov_b32_dpp v11, v10 row_mirror row_mask:0xf bank_mask:0xf
	v_add_f32_e32 v10, v10, v11
	s_nop 1
	v_mov_b32_dpp v11, v10 row_bcast:15 row_mask:0xf bank_mask:0xf
	v_add_f32_e32 v10, v10, v11
	s_nop 1
	v_mov_b32_dpp v11, v10 row_bcast:31 row_mask:0xf bank_mask:0xf
	s_and_saveexec_b64 s[8:9], s[0:1]
	s_cbranch_execz .LBB882_7
; %bb.6:
	v_add_f32_e32 v10, v10, v11
	v_lshrrev_b32_e32 v11, 4, v0
	v_and_b32_e32 v11, 60, v11
	ds_write_b32 v11, v10 offset:16
.LBB882_7:
	s_or_b64 exec, exec, s[8:9]
	v_and_b32_e32 v10, 3, v0
	v_lshlrev_b32_e32 v34, 2, v10
	s_waitcnt lgkmcnt(0)
	s_barrier
	ds_read_b32 v10, v34 offset:16
	s_load_dwordx2 s[28:29], s[4:5], 0x18
	s_waitcnt lgkmcnt(0)
	v_mov_b32_dpp v11, v10 quad_perm:[1,0,3,2] row_mask:0xf bank_mask:0xf
	v_add_f32_e32 v10, v10, v11
	s_nop 1
	v_mov_b32_dpp v11, v10 quad_perm:[2,3,0,1] row_mask:0xf bank_mask:0xf
	s_and_saveexec_b64 s[8:9], s[2:3]
	s_cbranch_execz .LBB882_9
; %bb.8:
	v_cvt_f32_u32_e32 v12, s7
	v_add_f32_e32 v10, v10, v11
	v_mov_b32_e32 v14, s17
	v_mov_b32_e32 v15, s16
	v_div_scale_f32 v11, s[24:25], v12, v12, v10
	v_rcp_f32_e32 v13, v11
	v_cndmask_b32_e32 v14, v14, v15, vcc
	s_mov_b32 s7, 0x800000
	v_fma_f32 v15, -v11, v13, 1.0
	v_fmac_f32_e32 v13, v15, v13
	v_div_scale_f32 v15, vcc, v10, v12, v10
	v_mul_f32_e32 v16, v15, v13
	v_fma_f32 v17, -v11, v16, v15
	v_fmac_f32_e32 v16, v17, v13
	v_fma_f32 v11, -v11, v16, v15
	v_div_fmas_f32 v11, v11, v13, v16
	v_div_fixup_f32 v10, v11, v12, v10
	v_add_f32_e32 v10, v14, v10
	v_mul_f32_e32 v11, 0x4b800000, v10
	v_cmp_gt_f32_e32 vcc, s7, v10
	v_cndmask_b32_e32 v10, v10, v11, vcc
	v_rsq_f32_e32 v10, v10
	v_mul_f32_e32 v11, 0x45800000, v10
	v_cndmask_b32_e32 v10, v10, v11, vcc
	v_mov_b32_e32 v11, v10
	;;#ASMSTART
	v_pk_mul_f32 v[12:13], v[18:19], v[10:11]
	;;#ASMEND
	s_waitcnt vmcnt(1)
	v_cvt_f32_u32_sdwa v19, v6 dst_sel:DWORD dst_unused:UNUSED_PAD src0_sel:WORD_1
	v_cvt_f32_u32_sdwa v18, v6 dst_sel:DWORD dst_unused:UNUSED_PAD src0_sel:WORD_0
	;;#ASMSTART
	v_pk_mul_f32 v[14:15], v[32:33], v[10:11]
	;;#ASMEND
	;;#ASMSTART
	v_pk_mul_f32 v[16:17], v[26:27], v[10:11]
	;;#ASMEND
	v_cvt_f32_u32_sdwa v27, v7 dst_sel:DWORD dst_unused:UNUSED_PAD src0_sel:WORD_1
	v_cvt_f32_u32_sdwa v26, v7 dst_sel:DWORD dst_unused:UNUSED_PAD src0_sel:WORD_0
	;;#ASMSTART
	v_pk_mul_f32 v[30:31], v[30:31], v[10:11]
	;;#ASMEND
	;;#ASMSTART
	v_pk_mul_f32 v[24:25], v[24:25], v[10:11]
	;;#ASMEND
	;; [unrolled: 3-line block ×5, first 2 shown]
	v_pk_add_f32 v[10:11], v[18:19], 1.0 op_sel_hi:[1,0]
	;;#ASMSTART
	v_pk_mul_f32 v[18:19], v[12:13], v[10:11]
	;;#ASMEND
	v_cvt_f32_u32_sdwa v13, v8 dst_sel:DWORD dst_unused:UNUSED_PAD src0_sel:WORD_1
	v_cvt_f32_u32_sdwa v12, v8 dst_sel:DWORD dst_unused:UNUSED_PAD src0_sel:WORD_0
	v_cvt_f32_u32_sdwa v21, v9 dst_sel:DWORD dst_unused:UNUSED_PAD src0_sel:WORD_1
	v_cvt_f32_u32_sdwa v20, v9 dst_sel:DWORD dst_unused:UNUSED_PAD src0_sel:WORD_0
	v_pk_add_f32 v[10:11], v[26:27], 1.0 op_sel_hi:[1,0]
	;;#ASMSTART
	v_pk_mul_f32 v[32:33], v[14:15], v[10:11]
	;;#ASMEND
	s_waitcnt vmcnt(0)
	v_cvt_f32_u32_sdwa v11, v2 dst_sel:DWORD dst_unused:UNUSED_PAD src0_sel:WORD_1
	v_cvt_f32_u32_sdwa v10, v2 dst_sel:DWORD dst_unused:UNUSED_PAD src0_sel:WORD_0
	v_pk_add_f32 v[8:9], v[12:13], 1.0 op_sel_hi:[1,0]
	;;#ASMSTART
	v_pk_mul_f32 v[26:27], v[16:17], v[8:9]
	;;#ASMEND
	v_pk_add_f32 v[8:9], v[20:21], 1.0 op_sel_hi:[1,0]
	v_cvt_f32_u32_sdwa v13, v3 dst_sel:DWORD dst_unused:UNUSED_PAD src0_sel:WORD_1
	v_cvt_f32_u32_sdwa v12, v3 dst_sel:DWORD dst_unused:UNUSED_PAD src0_sel:WORD_0
	;;#ASMSTART
	v_pk_mul_f32 v[30:31], v[30:31], v[8:9]
	;;#ASMEND
	v_cvt_f32_u32_sdwa v9, v4 dst_sel:DWORD dst_unused:UNUSED_PAD src0_sel:WORD_1
	v_cvt_f32_u32_sdwa v8, v4 dst_sel:DWORD dst_unused:UNUSED_PAD src0_sel:WORD_0
	v_pk_add_f32 v[2:3], v[10:11], 1.0 op_sel_hi:[1,0]
	v_cvt_f32_u32_sdwa v11, v5 dst_sel:DWORD dst_unused:UNUSED_PAD src0_sel:WORD_1
	v_cvt_f32_u32_sdwa v10, v5 dst_sel:DWORD dst_unused:UNUSED_PAD src0_sel:WORD_0
	;;#ASMSTART
	v_pk_mul_f32 v[24:25], v[24:25], v[2:3]
	;;#ASMEND
	v_pk_add_f32 v[2:3], v[12:13], 1.0 op_sel_hi:[1,0]
	;;#ASMSTART
	v_pk_mul_f32 v[28:29], v[28:29], v[2:3]
	;;#ASMEND
	v_pk_add_f32 v[2:3], v[8:9], 1.0 op_sel_hi:[1,0]
	;; [unrolled: 4-line block ×3, first 2 shown]
	;;#ASMSTART
	v_pk_mul_f32 v[20:21], v[6:7], v[2:3]
	;;#ASMEND
.LBB882_9:
	s_or_b64 exec, exec, s[8:9]
	s_load_dword s7, s[4:5], 0x80
	s_mov_b64 s[8:9], -1
	s_and_b64 vcc, exec, s[14:15]
	s_cbranch_vccnz .LBB882_13
; %bb.10:
	s_andn2_b64 vcc, exec, s[8:9]
	s_cbranch_vccz .LBB882_16
.LBB882_11:
	s_cmp_lt_i32 s20, 1
	s_cbranch_scc0 .LBB882_23
.LBB882_12:
	s_endpgm
.LBB882_13:
	s_and_saveexec_b64 s[14:15], s[2:3]
	s_cbranch_execz .LBB882_15
; %bb.14:
	s_waitcnt lgkmcnt(0)
	s_mul_hi_i32 s9, s7, s6
	s_mul_i32 s8, s7, s6
	s_lshl_b64 s[8:9], s[8:9], 1
	s_add_u32 s8, s28, s8
	s_addc_u32 s9, s29, s9
	s_mov_b32 s16, 0x7060302
	s_and_b32 s9, s9, 0xffff
	s_mov_b32 s11, 0x20000
	s_waitcnt vmcnt(0)
	v_perm_b32 v5, v31, v30, s16
	v_perm_b32 v4, v27, v26, s16
	;; [unrolled: 1-line block ×4, first 2 shown]
	v_lshlrev_b32_e32 v6, 5, v0
	buffer_store_dwordx4 v[2:5], v6, s[8:11], 0 offen
	;;#ASMSTART
	s_nop 0
	;;#ASMEND
	s_nop 0
	v_perm_b32 v5, v21, v20, s16
	v_perm_b32 v4, v23, v22, s16
	;; [unrolled: 1-line block ×4, first 2 shown]
	buffer_store_dwordx4 v[2:5], v6, s[8:11], 16 offen
	;;#ASMSTART
	s_nop 0
	;;#ASMEND
.LBB882_15:
	s_or_b64 exec, exec, s[14:15]
	s_cbranch_execnz .LBB882_11
.LBB882_16:
	s_waitcnt vmcnt(0)
	v_mov_b32_e32 v2, 0
	s_and_saveexec_b64 s[8:9], s[2:3]
	s_cbranch_execz .LBB882_18
; %bb.17:
	v_and_b32_e32 v2, 0x7fffffff, v18
	v_and_b32_e32 v3, 0x7fffffff, v19
	v_mov_b32_e32 v4, 0x2edbe6ff
	;;#ASMSTART
	v_max3_f32 v2, v4, v2, v3

	;;#ASMEND
	v_and_b32_e32 v3, 0x7fffffff, v32
	v_and_b32_e32 v4, 0x7fffffff, v33
	;;#ASMSTART
	v_max3_f32 v2, v2, v3, v4

	;;#ASMEND
	v_and_b32_e32 v3, 0x7fffffff, v26
	v_and_b32_e32 v4, 0x7fffffff, v27
	;; [unrolled: 6-line block ×7, first 2 shown]
	;;#ASMSTART
	v_max3_f32 v2, v2, v3, v4

	;;#ASMEND
.LBB882_18:
	s_or_b64 exec, exec, s[8:9]
	s_load_dwordx4 s[24:27], s[4:5], 0x70
	;;#ASMSTART
	v_max_f32 v3, v2, v2 quad_perm:[1,0,3,2] row_mask:0xf bank_mask:0xf bound_ctrl:1
	;;#ASMEND
	v_mul_f32_e32 v2, 0x3b124925, v3
	v_and_b32_e32 v3, 1, v0
	v_cmp_eq_u32_e32 vcc, 0, v3
	v_cmp_gt_i32_e64 s[8:9], s19, v1
	s_and_b64 s[10:11], vcc, s[8:9]
	s_and_saveexec_b64 s[8:9], s[10:11]
	s_cbranch_execz .LBB882_20
; %bb.19:
	s_load_dwordx2 s[10:11], s[4:5], 0x8
	s_waitcnt lgkmcnt(0)
	s_mul_hi_i32 s15, s25, s6
	s_mul_i32 s14, s25, s6
	v_lshrrev_b32_e32 v3, 1, v0
	s_lshl_b64 s[14:15], s[14:15], 2
	v_mad_i64_i32 v[4:5], s[26:27], s26, v3, 0
	s_add_u32 s10, s10, s14
	s_addc_u32 s11, s11, s15
	v_lshlrev_b64 v[4:5], 2, v[4:5]
	v_mov_b32_e32 v3, s11
	v_add_co_u32_e32 v4, vcc, s10, v4
	v_addc_co_u32_e32 v5, vcc, v3, v5, vcc
	global_store_dword v[4:5], v2, off
.LBB882_20:
	s_or_b64 exec, exec, s[8:9]
	;;#ASMSTART
	v_rcp_f32 v2, v2
	;;#ASMEND
	s_and_saveexec_b64 s[14:15], s[2:3]
	s_cbranch_execz .LBB882_22
; %bb.21:
	s_load_dwordx2 s[2:3], s[4:5], 0x0
	s_waitcnt lgkmcnt(0)
	s_mul_i32 s8, s24, s6
	s_mul_hi_i32 s9, s24, s6
	v_mov_b32_e32 v3, v2
	;;#ASMSTART
	v_pk_mul_f32 v[4:5], v[18:19], v[2:3]
	;;#ASMEND
	s_add_u32 s8, s2, s8
	s_addc_u32 s2, s3, s9
	s_add_i32 s3, s19, 3
	s_ashr_i32 s10, s3, 31
	v_mov_b32_e32 v10, 0xc3e00000
	v_mov_b32_e32 v11, 0x43e00000
	;;#ASMSTART
	v_med3_f32 v4, v4, v10, v11
v_med3_f32 v5, v5, v10, v11
v_cvt_pk_fp8_f32 v6, v4, v5
	;;#ASMEND
	s_and_b32 s9, s2, 0xffff
	s_lshr_b32 s2, s10, 30
	;;#ASMSTART
	v_pk_mul_f32 v[4:5], v[32:33], v[2:3]
	;;#ASMEND
	s_add_i32 s3, s3, s2
	;;#ASMSTART
	v_med3_f32 v4, v4, v10, v11
v_med3_f32 v5, v5, v10, v11
v_cvt_pk_fp8_f32 v7, v4, v5
	;;#ASMEND
	s_mov_b32 s2, 0x5040100
	v_perm_b32 v4, v7, v6, s2
	s_mov_b32 s2, 0x1060504
	v_perm_b32 v4, v4, v7, s2
	;;#ASMSTART
	v_pk_mul_f32 v[6:7], v[26:27], v[2:3]
	;;#ASMEND
	v_mov_b32_e32 v5, v7
	;;#ASMSTART
	v_med3_f32 v6, v6, v10, v11
v_med3_f32 v5, v5, v10, v11
v_cvt_pk_fp8_f32 v8, v6, v5
	;;#ASMEND
	;;#ASMSTART
	v_pk_mul_f32 v[6:7], v[30:31], v[2:3]
	;;#ASMEND
	v_mov_b32_e32 v5, v7
	;;#ASMSTART
	v_med3_f32 v6, v6, v10, v11
v_med3_f32 v5, v5, v10, v11
v_cvt_pk_fp8_f32 v7, v6, v5
	;;#ASMEND
	s_mov_b32 s2, 0x1000504
	v_perm_b32 v5, v8, v7, s2
	;;#ASMSTART
	v_pk_mul_f32 v[6:7], v[24:25], v[2:3]
	;;#ASMEND
	;;#ASMSTART
	v_med3_f32 v6, v6, v10, v11
v_med3_f32 v7, v7, v10, v11
v_cvt_pk_fp8_f32 v8, v6, v7
	;;#ASMEND
	;;#ASMSTART
	v_pk_mul_f32 v[6:7], v[28:29], v[2:3]
	;;#ASMEND
	;;#ASMSTART
	v_med3_f32 v6, v6, v10, v11
v_med3_f32 v7, v7, v10, v11
v_cvt_pk_fp8_f32 v9, v6, v7
	;;#ASMEND
	v_perm_b32 v6, v8, v9, s2
	;;#ASMSTART
	v_pk_mul_f32 v[8:9], v[22:23], v[2:3]
	;;#ASMEND
	v_mov_b32_e32 v7, v9
	;;#ASMSTART
	v_med3_f32 v8, v8, v10, v11
v_med3_f32 v7, v7, v10, v11
v_cvt_pk_fp8_f32 v9, v8, v7
	;;#ASMEND
	;;#ASMSTART
	v_pk_mul_f32 v[2:3], v[20:21], v[2:3]
	;;#ASMEND
	;;#ASMSTART
	v_med3_f32 v2, v2, v10, v11
v_med3_f32 v3, v3, v10, v11
v_cvt_pk_fp8_f32 v7, v2, v3
	;;#ASMEND
	s_and_b32 s10, s3, -4
	s_mov_b32 s11, 0x20000
	v_perm_b32 v7, v9, v7, s2
	buffer_store_dwordx4 v[4:7], v1, s[8:11], 0 offen
	;;#ASMSTART
	s_nop 0
	;;#ASMEND
.LBB882_22:
	s_or_b64 exec, exec, s[14:15]
	s_cmp_lt_i32 s20, 1
	s_cbranch_scc1 .LBB882_12
.LBB882_23:
	s_load_dword s2, s[4:5], 0x94
	s_waitcnt lgkmcnt(0)
	s_cmp_lg_u32 s2, 1
	s_cbranch_scc1 .LBB882_12
; %bb.24:
	s_lshl_b32 s2, s20, 1
	s_add_i32 s2, s2, 2
	v_cmp_gt_u32_e32 vcc, s20, v1
	s_and_b32 s14, s2, -4
	v_mov_b32_e32 v18, 0
	v_lshlrev_b32_e32 v1, 5, v0
	v_mov_b32_e32 v14, 0
	v_mov_b32_e32 v15, 0
	;; [unrolled: 1-line block ×8, first 2 shown]
	s_waitcnt vmcnt(1)
	v_mov_b32_e32 v6, 0
	v_mov_b32_e32 v7, 0
	;; [unrolled: 1-line block ×4, first 2 shown]
	s_waitcnt vmcnt(0)
	v_mov_b32_e32 v2, 0
	v_mov_b32_e32 v3, 0
	;; [unrolled: 1-line block ×4, first 2 shown]
	s_barrier
	s_and_saveexec_b64 s[2:3], vcc
	s_cbranch_execz .LBB882_26
; %bb.25:
	s_mul_hi_i32 s5, s22, s6
	s_mul_i32 s4, s22, s6
	s_and_b32 s13, s13, 0xffff
	s_lshl_b64 s[4:5], s[4:5], 1
	s_add_u32 s8, s30, s4
	s_mov_b32 s15, 0x20000
	s_addc_u32 s4, s31, s5
	s_and_b32 s9, s4, 0xffff
	s_mov_b32 s10, s14
	s_mov_b32 s11, s15
	buffer_load_dwordx4 v[14:17], v1, s[8:11], 0 offen
	buffer_load_dwordx4 v[10:13], v1, s[8:11], 16 offen
	;; [unrolled: 1-line block ×4, first 2 shown]
.LBB882_26:
	s_or_b64 exec, exec, s[2:3]
	v_mov_b32_e32 v19, 0
	v_mov_b32_e32 v32, 0
	;; [unrolled: 1-line block ×15, first 2 shown]
	s_and_saveexec_b64 s[2:3], vcc
	s_cbranch_execz .LBB882_28
; %bb.27:
	s_waitcnt vmcnt(3)
	v_cvt_f32_u32_sdwa v18, v14 dst_sel:DWORD dst_unused:UNUSED_PAD src0_sel:WORD_0
	v_cvt_f32_u32_sdwa v19, v14 dst_sel:DWORD dst_unused:UNUSED_PAD src0_sel:WORD_1
	v_cvt_f32_u32_sdwa v32, v15 dst_sel:DWORD dst_unused:UNUSED_PAD src0_sel:WORD_0
	v_cvt_f32_u32_sdwa v33, v15 dst_sel:DWORD dst_unused:UNUSED_PAD src0_sel:WORD_1
	;; [unrolled: 2-line block ×4, first 2 shown]
	s_waitcnt vmcnt(2)
	v_cvt_f32_u32_sdwa v26, v10 dst_sel:DWORD dst_unused:UNUSED_PAD src0_sel:WORD_0
	v_cvt_f32_u32_sdwa v27, v10 dst_sel:DWORD dst_unused:UNUSED_PAD src0_sel:WORD_1
	v_cvt_f32_u32_sdwa v24, v11 dst_sel:DWORD dst_unused:UNUSED_PAD src0_sel:WORD_0
	v_cvt_f32_u32_sdwa v25, v11 dst_sel:DWORD dst_unused:UNUSED_PAD src0_sel:WORD_1
	;; [unrolled: 2-line block ×4, first 2 shown]
.LBB882_28:
	s_or_b64 exec, exec, s[2:3]
	s_waitcnt vmcnt(2)
	v_mul_f32_e32 v10, v19, v19
	v_fmac_f32_e32 v10, v18, v18
	v_fmac_f32_e32 v10, v32, v32
	;; [unrolled: 1-line block ×15, first 2 shown]
	s_nop 1
	v_mov_b32_dpp v11, v10 quad_perm:[1,0,3,2] row_mask:0xf bank_mask:0xf
	v_add_f32_e32 v10, v10, v11
	s_nop 1
	v_mov_b32_dpp v11, v10 quad_perm:[2,3,0,1] row_mask:0xf bank_mask:0xf
	v_add_f32_e32 v10, v10, v11
	s_nop 1
	v_mov_b32_dpp v11, v10 row_half_mirror row_mask:0xf bank_mask:0xf
	v_add_f32_e32 v10, v10, v11
	s_nop 1
	v_mov_b32_dpp v11, v10 row_mirror row_mask:0xf bank_mask:0xf
	v_add_f32_e32 v10, v10, v11
	s_nop 1
	v_mov_b32_dpp v11, v10 row_bcast:15 row_mask:0xf bank_mask:0xf
	v_add_f32_e32 v10, v10, v11
	s_nop 1
	v_mov_b32_dpp v11, v10 row_bcast:31 row_mask:0xf bank_mask:0xf
	s_and_saveexec_b64 s[2:3], s[0:1]
	s_cbranch_execz .LBB882_30
; %bb.29:
	v_lshrrev_b32_e32 v0, 4, v0
	v_add_f32_e32 v10, v10, v11
	v_and_b32_e32 v0, 60, v0
	ds_write_b32 v0, v10
.LBB882_30:
	s_or_b64 exec, exec, s[2:3]
	s_waitcnt lgkmcnt(0)
	s_barrier
	ds_read_b32 v0, v34
	s_waitcnt lgkmcnt(0)
	s_nop 0
	v_mov_b32_dpp v10, v0 quad_perm:[1,0,3,2] row_mask:0xf bank_mask:0xf
	v_add_f32_e32 v0, v0, v10
	s_nop 1
	v_mov_b32_dpp v10, v0 quad_perm:[2,3,0,1] row_mask:0xf bank_mask:0xf
	s_and_saveexec_b64 s[0:1], vcc
	s_cbranch_execz .LBB882_12
; %bb.31:
	v_cvt_f32_u32_e32 v11, s20
	v_add_f32_e32 v0, v0, v10
	s_mov_b32 s15, 0x20000
	v_div_scale_f32 v10, s[0:1], v11, v11, v0
	v_rcp_f32_e32 v12, v10
	v_div_scale_f32 v13, vcc, v0, v11, v0
	s_mov_b32 s0, 0x800000
	v_fma_f32 v14, -v10, v12, 1.0
	v_fmac_f32_e32 v12, v14, v12
	v_mul_f32_e32 v14, v13, v12
	v_fma_f32 v15, -v10, v14, v13
	v_fmac_f32_e32 v14, v15, v12
	v_fma_f32 v10, -v10, v14, v13
	v_div_fmas_f32 v10, v10, v12, v14
	v_div_fixup_f32 v0, v10, v11, v0
	v_add_f32_e32 v0, s17, v0
	v_mul_f32_e32 v10, 0x4b800000, v0
	v_cmp_gt_f32_e32 vcc, s0, v0
	v_cndmask_b32_e32 v0, v0, v10, vcc
	v_rsq_f32_e32 v0, v0
	s_mul_hi_i32 s1, s7, s6
	s_mul_i32 s0, s7, s6
	s_lshl_b64 s[0:1], s[0:1], 1
	v_mul_f32_e32 v10, 0x45800000, v0
	v_cndmask_b32_e32 v10, v0, v10, vcc
	v_mov_b32_e32 v11, v10
	;;#ASMSTART
	v_pk_mul_f32 v[12:13], v[18:19], v[10:11]
	;;#ASMEND
	;;#ASMSTART
	v_pk_mul_f32 v[14:15], v[32:33], v[10:11]
	;;#ASMEND
	;; [unrolled: 3-line block ×4, first 2 shown]
	s_waitcnt vmcnt(1)
	v_cvt_f32_u32_sdwa v29, v6 dst_sel:DWORD dst_unused:UNUSED_PAD src0_sel:WORD_1
	v_cvt_f32_u32_sdwa v28, v6 dst_sel:DWORD dst_unused:UNUSED_PAD src0_sel:WORD_0
	v_cvt_f32_u32_sdwa v31, v7 dst_sel:DWORD dst_unused:UNUSED_PAD src0_sel:WORD_1
	v_cvt_f32_u32_sdwa v30, v7 dst_sel:DWORD dst_unused:UNUSED_PAD src0_sel:WORD_0
	;;#ASMSTART
	v_pk_mul_f32 v[26:27], v[26:27], v[10:11]
	;;#ASMEND
	;;#ASMSTART
	v_pk_mul_f32 v[24:25], v[24:25], v[10:11]
	;;#ASMEND
	;; [unrolled: 3-line block ×4, first 2 shown]
	v_cvt_f32_u32_sdwa v21, v8 dst_sel:DWORD dst_unused:UNUSED_PAD src0_sel:WORD_1
	v_cvt_f32_u32_sdwa v20, v8 dst_sel:DWORD dst_unused:UNUSED_PAD src0_sel:WORD_0
	v_pk_add_f32 v[10:11], v[28:29], 1.0 op_sel_hi:[1,0]
	;;#ASMSTART
	v_pk_mul_f32 v[10:11], v[12:13], v[10:11]
	;;#ASMEND
	v_pk_add_f32 v[12:13], v[30:31], 1.0 op_sel_hi:[1,0]
	v_cvt_f32_u32_sdwa v29, v9 dst_sel:DWORD dst_unused:UNUSED_PAD src0_sel:WORD_1
	v_cvt_f32_u32_sdwa v28, v9 dst_sel:DWORD dst_unused:UNUSED_PAD src0_sel:WORD_0
	;;#ASMSTART
	v_pk_mul_f32 v[8:9], v[14:15], v[12:13]
	;;#ASMEND
	v_pk_add_f32 v[12:13], v[20:21], 1.0 op_sel_hi:[1,0]
	;;#ASMSTART
	v_pk_mul_f32 v[12:13], v[16:17], v[12:13]
	;;#ASMEND
	s_waitcnt vmcnt(0)
	v_cvt_f32_u32_sdwa v17, v2 dst_sel:DWORD dst_unused:UNUSED_PAD src0_sel:WORD_1
	v_cvt_f32_u32_sdwa v16, v2 dst_sel:DWORD dst_unused:UNUSED_PAD src0_sel:WORD_0
	v_cvt_f32_u32_sdwa v21, v3 dst_sel:DWORD dst_unused:UNUSED_PAD src0_sel:WORD_1
	v_cvt_f32_u32_sdwa v20, v3 dst_sel:DWORD dst_unused:UNUSED_PAD src0_sel:WORD_0
	v_pk_add_f32 v[14:15], v[28:29], 1.0 op_sel_hi:[1,0]
	;;#ASMSTART
	v_pk_mul_f32 v[14:15], v[18:19], v[14:15]
	;;#ASMEND
	v_pk_add_f32 v[2:3], v[16:17], 1.0 op_sel_hi:[1,0]
	v_cvt_f32_u32_sdwa v19, v4 dst_sel:DWORD dst_unused:UNUSED_PAD src0_sel:WORD_1
	v_cvt_f32_u32_sdwa v18, v4 dst_sel:DWORD dst_unused:UNUSED_PAD src0_sel:WORD_0
	;;#ASMSTART
	v_pk_mul_f32 v[16:17], v[26:27], v[2:3]
	;;#ASMEND
	v_pk_add_f32 v[2:3], v[20:21], 1.0 op_sel_hi:[1,0]
	v_cvt_f32_u32_sdwa v21, v5 dst_sel:DWORD dst_unused:UNUSED_PAD src0_sel:WORD_1
	v_cvt_f32_u32_sdwa v20, v5 dst_sel:DWORD dst_unused:UNUSED_PAD src0_sel:WORD_0
	s_add_u32 s12, s28, s0
	;;#ASMSTART
	v_pk_mul_f32 v[24:25], v[24:25], v[2:3]
	;;#ASMEND
	v_pk_add_f32 v[2:3], v[18:19], 1.0 op_sel_hi:[1,0]
	s_addc_u32 s0, s29, s1
	;;#ASMSTART
	v_pk_mul_f32 v[18:19], v[22:23], v[2:3]
	;;#ASMEND
	v_pk_add_f32 v[2:3], v[20:21], 1.0 op_sel_hi:[1,0]
	s_and_b32 s13, s0, 0xffff
	s_mov_b32 s0, 0x7060302
	;;#ASMSTART
	v_pk_mul_f32 v[6:7], v[6:7], v[2:3]
	;;#ASMEND
	v_perm_b32 v2, v11, v10, s0
	v_perm_b32 v3, v9, v8, s0
	;; [unrolled: 1-line block ×4, first 2 shown]
	buffer_store_dwordx4 v[2:5], v1, s[12:15], 0 offen
	;;#ASMSTART
	s_nop 0
	;;#ASMEND
	s_nop 0
	v_perm_b32 v2, v17, v16, s0
	v_perm_b32 v3, v25, v24, s0
	v_perm_b32 v4, v19, v18, s0
	v_perm_b32 v5, v7, v6, s0
	buffer_store_dwordx4 v[2:5], v1, s[12:15], 16 offen
	;;#ASMSTART
	s_nop 0
	;;#ASMEND
	s_endpgm
	.section	.rodata,"a",@progbits
	.p2align	6, 0x0
	.amdhsa_kernel _ZN5aiter35fused_qk_rmsnorm_group_quant_kernelItDB8_Li256ELi16ELi2ELb0ELb0ELb1ELb0ELb0ELb0EEEvPT0_PvPT_S6_S6_PKS5_S8_S8_S8_S8_ffiiiiiiiiiiiii
		.amdhsa_group_segment_fixed_size 32
		.amdhsa_private_segment_fixed_size 0
		.amdhsa_kernarg_size 400
		.amdhsa_user_sgpr_count 6
		.amdhsa_user_sgpr_private_segment_buffer 1
		.amdhsa_user_sgpr_dispatch_ptr 0
		.amdhsa_user_sgpr_queue_ptr 0
		.amdhsa_user_sgpr_kernarg_segment_ptr 1
		.amdhsa_user_sgpr_dispatch_id 0
		.amdhsa_user_sgpr_flat_scratch_init 0
		.amdhsa_user_sgpr_kernarg_preload_length 0
		.amdhsa_user_sgpr_kernarg_preload_offset 0
		.amdhsa_user_sgpr_private_segment_size 0
		.amdhsa_uses_dynamic_stack 0
		.amdhsa_system_sgpr_private_segment_wavefront_offset 0
		.amdhsa_system_sgpr_workgroup_id_x 1
		.amdhsa_system_sgpr_workgroup_id_y 1
		.amdhsa_system_sgpr_workgroup_id_z 0
		.amdhsa_system_sgpr_workgroup_info 0
		.amdhsa_system_vgpr_workitem_id 0
		.amdhsa_next_free_vgpr 35
		.amdhsa_next_free_sgpr 32
		.amdhsa_accum_offset 36
		.amdhsa_reserve_vcc 1
		.amdhsa_reserve_flat_scratch 0
		.amdhsa_float_round_mode_32 0
		.amdhsa_float_round_mode_16_64 0
		.amdhsa_float_denorm_mode_32 3
		.amdhsa_float_denorm_mode_16_64 3
		.amdhsa_dx10_clamp 1
		.amdhsa_ieee_mode 1
		.amdhsa_fp16_overflow 0
		.amdhsa_tg_split 0
		.amdhsa_exception_fp_ieee_invalid_op 0
		.amdhsa_exception_fp_denorm_src 0
		.amdhsa_exception_fp_ieee_div_zero 0
		.amdhsa_exception_fp_ieee_overflow 0
		.amdhsa_exception_fp_ieee_underflow 0
		.amdhsa_exception_fp_ieee_inexact 0
		.amdhsa_exception_int_div_zero 0
	.end_amdhsa_kernel
	.section	.text._ZN5aiter35fused_qk_rmsnorm_group_quant_kernelItDB8_Li256ELi16ELi2ELb0ELb0ELb1ELb0ELb0ELb0EEEvPT0_PvPT_S6_S6_PKS5_S8_S8_S8_S8_ffiiiiiiiiiiiii,"axG",@progbits,_ZN5aiter35fused_qk_rmsnorm_group_quant_kernelItDB8_Li256ELi16ELi2ELb0ELb0ELb1ELb0ELb0ELb0EEEvPT0_PvPT_S6_S6_PKS5_S8_S8_S8_S8_ffiiiiiiiiiiiii,comdat
.Lfunc_end882:
	.size	_ZN5aiter35fused_qk_rmsnorm_group_quant_kernelItDB8_Li256ELi16ELi2ELb0ELb0ELb1ELb0ELb0ELb0EEEvPT0_PvPT_S6_S6_PKS5_S8_S8_S8_S8_ffiiiiiiiiiiiii, .Lfunc_end882-_ZN5aiter35fused_qk_rmsnorm_group_quant_kernelItDB8_Li256ELi16ELi2ELb0ELb0ELb1ELb0ELb0ELb0EEEvPT0_PvPT_S6_S6_PKS5_S8_S8_S8_S8_ffiiiiiiiiiiiii
                                        ; -- End function
	.section	.AMDGPU.csdata,"",@progbits
; Kernel info:
; codeLenInByte = 3564
; NumSgprs: 36
; NumVgprs: 35
; NumAgprs: 0
; TotalNumVgprs: 35
; ScratchSize: 0
; MemoryBound: 0
; FloatMode: 240
; IeeeMode: 1
; LDSByteSize: 32 bytes/workgroup (compile time only)
; SGPRBlocks: 4
; VGPRBlocks: 4
; NumSGPRsForWavesPerEU: 36
; NumVGPRsForWavesPerEU: 35
; AccumOffset: 36
; Occupancy: 8
; WaveLimiterHint : 0
; COMPUTE_PGM_RSRC2:SCRATCH_EN: 0
; COMPUTE_PGM_RSRC2:USER_SGPR: 6
; COMPUTE_PGM_RSRC2:TRAP_HANDLER: 0
; COMPUTE_PGM_RSRC2:TGID_X_EN: 1
; COMPUTE_PGM_RSRC2:TGID_Y_EN: 1
; COMPUTE_PGM_RSRC2:TGID_Z_EN: 0
; COMPUTE_PGM_RSRC2:TIDIG_COMP_CNT: 0
; COMPUTE_PGM_RSRC3_GFX90A:ACCUM_OFFSET: 8
; COMPUTE_PGM_RSRC3_GFX90A:TG_SPLIT: 0
	.section	.text._ZN5aiter35fused_qk_rmsnorm_group_quant_kernelIDF16_N4opus5fp4_tELi256ELi16ELi2ELb0ELb0ELb1ELb0ELb0ELb0EEEvPT0_PvPT_S7_S7_PKS6_S9_S9_S9_S9_ffiiiiiiiiiiiii,"axG",@progbits,_ZN5aiter35fused_qk_rmsnorm_group_quant_kernelIDF16_N4opus5fp4_tELi256ELi16ELi2ELb0ELb0ELb1ELb0ELb0ELb0EEEvPT0_PvPT_S7_S7_PKS6_S9_S9_S9_S9_ffiiiiiiiiiiiii,comdat
	.protected	_ZN5aiter35fused_qk_rmsnorm_group_quant_kernelIDF16_N4opus5fp4_tELi256ELi16ELi2ELb0ELb0ELb1ELb0ELb0ELb0EEEvPT0_PvPT_S7_S7_PKS6_S9_S9_S9_S9_ffiiiiiiiiiiiii ; -- Begin function _ZN5aiter35fused_qk_rmsnorm_group_quant_kernelIDF16_N4opus5fp4_tELi256ELi16ELi2ELb0ELb0ELb1ELb0ELb0ELb0EEEvPT0_PvPT_S7_S7_PKS6_S9_S9_S9_S9_ffiiiiiiiiiiiii
	.globl	_ZN5aiter35fused_qk_rmsnorm_group_quant_kernelIDF16_N4opus5fp4_tELi256ELi16ELi2ELb0ELb0ELb1ELb0ELb0ELb0EEEvPT0_PvPT_S7_S7_PKS6_S9_S9_S9_S9_ffiiiiiiiiiiiii
	.p2align	8
	.type	_ZN5aiter35fused_qk_rmsnorm_group_quant_kernelIDF16_N4opus5fp4_tELi256ELi16ELi2ELb0ELb0ELb1ELb0ELb0ELb0EEEvPT0_PvPT_S7_S7_PKS6_S9_S9_S9_S9_ffiiiiiiiiiiiii,@function
_ZN5aiter35fused_qk_rmsnorm_group_quant_kernelIDF16_N4opus5fp4_tELi256ELi16ELi2ELb0ELb0ELb1ELb0ELb0ELb0EEEvPT0_PvPT_S7_S7_PKS6_S9_S9_S9_S9_ffiiiiiiiiiiiii: ; @_ZN5aiter35fused_qk_rmsnorm_group_quant_kernelIDF16_N4opus5fp4_tELi256ELi16ELi2ELb0ELb0ELb1ELb0ELb0ELb0EEEvPT0_PvPT_S7_S7_PKS6_S9_S9_S9_S9_ffiiiiiiiiiiiii
; %bb.0:
	s_load_dwordx4 s[16:19], s[4:5], 0x50
	s_waitcnt lgkmcnt(0)
	s_cmp_ge_i32 s6, s18
	s_cbranch_scc1 .LBB883_12
; %bb.1:
	s_load_dwordx2 s[12:13], s[4:5], 0x48
	s_load_dwordx2 s[30:31], s[4:5], 0x30
	s_load_dwordx4 s[20:23], s[4:5], 0x60
	s_cmp_lg_u32 s7, 0
	s_cselect_b64 s[14:15], -1, 0
	s_cmp_eq_u32 s7, 0
	s_cselect_b64 vcc, -1, 0
	s_and_b64 s[0:1], vcc, exec
	s_waitcnt lgkmcnt(0)
	s_cselect_b32 s7, s19, s20
	s_add_i32 s0, s7, 1
	s_lshr_b32 s1, s0, 31
	s_add_i32 s0, s0, s1
	s_lshl_b32 s0, s0, 1
	v_lshlrev_b32_e32 v1, 4, v0
	s_and_b32 s10, s0, -4
	v_cmp_gt_i32_e64 s[2:3], s7, v1
	v_mov_b32_e32 v18, 0
	v_mov_b32_e32 v6, 0
	;; [unrolled: 1-line block ×17, first 2 shown]
	s_and_saveexec_b64 s[0:1], s[2:3]
	s_cbranch_execz .LBB883_3
; %bb.2:
	s_load_dwordx2 s[8:9], s[4:5], 0x28
	s_load_dwordx2 s[26:27], s[4:5], 0x40
	s_and_b64 s[24:25], vcc, exec
	s_cselect_b32 s11, s21, s22
	v_lshlrev_b32_e32 v19, 5, v0
	s_waitcnt lgkmcnt(0)
	s_cselect_b32 s18, s9, s31
	s_cselect_b32 s21, s8, s30
	s_mul_hi_i32 s9, s11, s6
	s_mul_i32 s8, s11, s6
	s_lshl_b64 s[8:9], s[8:9], 1
	s_add_u32 s24, s21, s8
	s_addc_u32 s18, s18, s9
	s_and_b64 s[8:9], vcc, exec
	s_mov_b32 s11, 0x20000
	s_cselect_b32 s8, s26, s12
	s_cselect_b32 s9, s27, s13
	s_and_b32 s25, s18, 0xffff
	s_mov_b32 s26, s10
	s_mov_b32 s27, s11
	s_and_b32 s9, s9, 0xffff
	buffer_load_dwordx4 v[14:17], v19, s[24:27], 0 offen
	buffer_load_dwordx4 v[10:13], v19, s[24:27], 16 offen
	;; [unrolled: 1-line block ×4, first 2 shown]
.LBB883_3:
	s_or_b64 exec, exec, s[0:1]
	v_mov_b32_e32 v19, 0
	v_mov_b32_e32 v22, 0
	;; [unrolled: 1-line block ×15, first 2 shown]
	s_and_saveexec_b64 s[0:1], s[2:3]
	s_cbranch_execz .LBB883_5
; %bb.4:
	s_waitcnt vmcnt(3)
	v_cvt_f32_f16_sdwa v19, v14 dst_sel:DWORD dst_unused:UNUSED_PAD src0_sel:WORD_1
	v_cvt_f32_f16_e32 v18, v14
	v_cvt_f32_f16_sdwa v23, v15 dst_sel:DWORD dst_unused:UNUSED_PAD src0_sel:WORD_1
	v_cvt_f32_f16_e32 v22, v15
	;; [unrolled: 2-line block ×4, first 2 shown]
	s_waitcnt vmcnt(2)
	v_cvt_f32_f16_sdwa v27, v10 dst_sel:DWORD dst_unused:UNUSED_PAD src0_sel:WORD_1
	v_cvt_f32_f16_e32 v26, v10
	v_cvt_f32_f16_sdwa v33, v11 dst_sel:DWORD dst_unused:UNUSED_PAD src0_sel:WORD_1
	v_cvt_f32_f16_e32 v32, v11
	;; [unrolled: 2-line block ×4, first 2 shown]
.LBB883_5:
	s_or_b64 exec, exec, s[0:1]
	s_waitcnt vmcnt(2)
	v_mul_f32_e32 v10, v19, v19
	v_fmac_f32_e32 v10, v18, v18
	v_fmac_f32_e32 v10, v22, v22
	;; [unrolled: 1-line block ×15, first 2 shown]
	v_and_b32_e32 v12, 63, v0
	v_cmp_eq_u32_e64 s[0:1], 63, v12
	v_mov_b32_dpp v11, v10 quad_perm:[1,0,3,2] row_mask:0xf bank_mask:0xf
	v_add_f32_e32 v10, v10, v11
	s_nop 1
	v_mov_b32_dpp v11, v10 quad_perm:[2,3,0,1] row_mask:0xf bank_mask:0xf
	v_add_f32_e32 v10, v10, v11
	s_nop 1
	v_mov_b32_dpp v11, v10 row_half_mirror row_mask:0xf bank_mask:0xf
	v_add_f32_e32 v10, v10, v11
	s_nop 1
	v_mov_b32_dpp v11, v10 row_mirror row_mask:0xf bank_mask:0xf
	v_add_f32_e32 v10, v10, v11
	s_nop 1
	v_mov_b32_dpp v11, v10 row_bcast:15 row_mask:0xf bank_mask:0xf
	v_add_f32_e32 v10, v10, v11
	s_nop 1
	v_mov_b32_dpp v11, v10 row_bcast:31 row_mask:0xf bank_mask:0xf
	s_and_saveexec_b64 s[8:9], s[0:1]
	s_cbranch_execz .LBB883_7
; %bb.6:
	v_add_f32_e32 v10, v10, v11
	v_lshrrev_b32_e32 v11, 4, v0
	v_and_b32_e32 v11, 60, v11
	ds_write_b32 v11, v10 offset:16
.LBB883_7:
	s_or_b64 exec, exec, s[8:9]
	v_and_b32_e32 v10, 3, v0
	v_lshlrev_b32_e32 v34, 2, v10
	s_waitcnt lgkmcnt(0)
	s_barrier
	ds_read_b32 v10, v34 offset:16
	s_load_dwordx2 s[28:29], s[4:5], 0x18
	s_waitcnt lgkmcnt(0)
	v_mov_b32_dpp v11, v10 quad_perm:[1,0,3,2] row_mask:0xf bank_mask:0xf
	v_add_f32_e32 v10, v10, v11
	s_nop 1
	v_mov_b32_dpp v11, v10 quad_perm:[2,3,0,1] row_mask:0xf bank_mask:0xf
	s_and_saveexec_b64 s[8:9], s[2:3]
	s_cbranch_execz .LBB883_9
; %bb.8:
	v_cvt_f32_u32_e32 v12, s7
	v_add_f32_e32 v10, v10, v11
	v_mov_b32_e32 v14, s17
	v_mov_b32_e32 v15, s16
	v_div_scale_f32 v11, s[24:25], v12, v12, v10
	v_rcp_f32_e32 v13, v11
	v_cndmask_b32_e32 v14, v14, v15, vcc
	s_mov_b32 s7, 0x800000
	v_fma_f32 v15, -v11, v13, 1.0
	v_fmac_f32_e32 v13, v15, v13
	v_div_scale_f32 v15, vcc, v10, v12, v10
	v_mul_f32_e32 v16, v15, v13
	v_fma_f32 v17, -v11, v16, v15
	v_fmac_f32_e32 v16, v17, v13
	v_fma_f32 v11, -v11, v16, v15
	v_div_fmas_f32 v11, v11, v13, v16
	v_div_fixup_f32 v10, v11, v12, v10
	v_add_f32_e32 v10, v14, v10
	v_mul_f32_e32 v11, 0x4b800000, v10
	v_cmp_gt_f32_e32 vcc, s7, v10
	v_cndmask_b32_e32 v10, v10, v11, vcc
	v_rsq_f32_e32 v10, v10
	v_mul_f32_e32 v11, 0x45800000, v10
	v_cndmask_b32_e32 v10, v10, v11, vcc
	v_mov_b32_e32 v11, v10
	;;#ASMSTART
	v_pk_mul_f32 v[12:13], v[18:19], v[10:11]
	;;#ASMEND
	s_waitcnt vmcnt(1)
	v_cvt_f32_f16_sdwa v19, v6 dst_sel:DWORD dst_unused:UNUSED_PAD src0_sel:WORD_1
	v_cvt_f32_f16_e32 v18, v6
	;;#ASMSTART
	v_pk_mul_f32 v[14:15], v[22:23], v[10:11]
	;;#ASMEND
	;;#ASMSTART
	v_pk_mul_f32 v[16:17], v[20:21], v[10:11]
	;;#ASMEND
	v_cvt_f32_f16_sdwa v21, v7 dst_sel:DWORD dst_unused:UNUSED_PAD src0_sel:WORD_1
	v_cvt_f32_f16_e32 v20, v7
	;;#ASMSTART
	v_pk_mul_f32 v[28:29], v[28:29], v[10:11]
	;;#ASMEND
	;;#ASMSTART
	v_pk_mul_f32 v[26:27], v[26:27], v[10:11]
	;;#ASMEND
	;; [unrolled: 3-line block ×5, first 2 shown]
	v_pk_add_f32 v[10:11], v[18:19], 1.0 op_sel_hi:[1,0]
	;;#ASMSTART
	v_pk_mul_f32 v[18:19], v[12:13], v[10:11]
	;;#ASMEND
	v_cvt_f32_f16_sdwa v13, v8 dst_sel:DWORD dst_unused:UNUSED_PAD src0_sel:WORD_1
	v_cvt_f32_f16_e32 v12, v8
	v_cvt_f32_f16_sdwa v25, v9 dst_sel:DWORD dst_unused:UNUSED_PAD src0_sel:WORD_1
	v_cvt_f32_f16_e32 v24, v9
	v_pk_add_f32 v[10:11], v[20:21], 1.0 op_sel_hi:[1,0]
	;;#ASMSTART
	v_pk_mul_f32 v[22:23], v[14:15], v[10:11]
	;;#ASMEND
	s_waitcnt vmcnt(0)
	v_cvt_f32_f16_sdwa v11, v2 dst_sel:DWORD dst_unused:UNUSED_PAD src0_sel:WORD_1
	v_cvt_f32_f16_e32 v10, v2
	v_pk_add_f32 v[8:9], v[12:13], 1.0 op_sel_hi:[1,0]
	;;#ASMSTART
	v_pk_mul_f32 v[20:21], v[16:17], v[8:9]
	;;#ASMEND
	v_pk_add_f32 v[8:9], v[24:25], 1.0 op_sel_hi:[1,0]
	v_cvt_f32_f16_sdwa v13, v3 dst_sel:DWORD dst_unused:UNUSED_PAD src0_sel:WORD_1
	v_cvt_f32_f16_e32 v12, v3
	;;#ASMSTART
	v_pk_mul_f32 v[28:29], v[28:29], v[8:9]
	;;#ASMEND
	v_cvt_f32_f16_sdwa v9, v4 dst_sel:DWORD dst_unused:UNUSED_PAD src0_sel:WORD_1
	v_cvt_f32_f16_e32 v8, v4
	v_pk_add_f32 v[2:3], v[10:11], 1.0 op_sel_hi:[1,0]
	v_cvt_f32_f16_sdwa v11, v5 dst_sel:DWORD dst_unused:UNUSED_PAD src0_sel:WORD_1
	v_cvt_f32_f16_e32 v10, v5
	;;#ASMSTART
	v_pk_mul_f32 v[26:27], v[26:27], v[2:3]
	;;#ASMEND
	v_pk_add_f32 v[2:3], v[12:13], 1.0 op_sel_hi:[1,0]
	;;#ASMSTART
	v_pk_mul_f32 v[32:33], v[32:33], v[2:3]
	;;#ASMEND
	v_pk_add_f32 v[2:3], v[8:9], 1.0 op_sel_hi:[1,0]
	;; [unrolled: 4-line block ×3, first 2 shown]
	;;#ASMSTART
	v_pk_mul_f32 v[24:25], v[6:7], v[2:3]
	;;#ASMEND
.LBB883_9:
	s_or_b64 exec, exec, s[8:9]
	s_load_dword s7, s[4:5], 0x80
	s_mov_b64 s[8:9], -1
	s_and_b64 vcc, exec, s[14:15]
	s_cbranch_vccnz .LBB883_13
; %bb.10:
	s_andn2_b64 vcc, exec, s[8:9]
	s_cbranch_vccz .LBB883_16
.LBB883_11:
	s_cmp_lt_i32 s20, 1
	s_cbranch_scc0 .LBB883_23
.LBB883_12:
	s_endpgm
.LBB883_13:
	s_and_saveexec_b64 s[14:15], s[2:3]
	s_cbranch_execz .LBB883_15
; %bb.14:
	s_waitcnt lgkmcnt(0)
	s_mul_hi_i32 s9, s7, s6
	s_mul_i32 s8, s7, s6
	s_waitcnt vmcnt(0)
	v_cvt_f16_f32_e32 v2, v18
	v_cvt_f16_f32_e32 v3, v22
	;; [unrolled: 1-line block ×8, first 2 shown]
	s_lshl_b64 s[8:9], s[8:9], 1
	s_add_u32 s8, s28, s8
	s_addc_u32 s9, s29, s9
	s_and_b32 s9, s9, 0xffff
	s_mov_b32 s11, 0x20000
	v_pack_b32_f16 v5, v5, v6
	v_pack_b32_f16 v4, v4, v7
	;; [unrolled: 1-line block ×4, first 2 shown]
	v_lshlrev_b32_e32 v6, 5, v0
	buffer_store_dwordx4 v[2:5], v6, s[8:11], 0 offen
	v_cvt_f16_f32_e32 v7, v25
	v_cvt_f16_f32_e32 v2, v26
	;; [unrolled: 1-line block ×8, first 2 shown]
	v_pack_b32_f16 v5, v5, v7
	v_pack_b32_f16 v4, v4, v8
	;; [unrolled: 1-line block ×4, first 2 shown]
	;;#ASMSTART
	s_nop 0
	;;#ASMEND
	buffer_store_dwordx4 v[2:5], v6, s[8:11], 16 offen
	;;#ASMSTART
	s_nop 0
	;;#ASMEND
.LBB883_15:
	s_or_b64 exec, exec, s[14:15]
	s_cbranch_execnz .LBB883_11
.LBB883_16:
	s_waitcnt vmcnt(0)
	v_mov_b32_e32 v2, 0
	s_and_saveexec_b64 s[8:9], s[2:3]
	s_cbranch_execz .LBB883_18
; %bb.17:
	v_and_b32_e32 v2, 0x7fffffff, v18
	v_and_b32_e32 v3, 0x7fffffff, v19
	v_mov_b32_e32 v4, 0x2edbe6ff
	;;#ASMSTART
	v_max3_f32 v2, v4, v2, v3

	;;#ASMEND
	v_and_b32_e32 v3, 0x7fffffff, v22
	v_and_b32_e32 v4, 0x7fffffff, v23
	;;#ASMSTART
	v_max3_f32 v2, v2, v3, v4

	;;#ASMEND
	v_and_b32_e32 v3, 0x7fffffff, v20
	v_and_b32_e32 v4, 0x7fffffff, v21
	;; [unrolled: 6-line block ×7, first 2 shown]
	;;#ASMSTART
	v_max3_f32 v2, v2, v3, v4

	;;#ASMEND
.LBB883_18:
	s_or_b64 exec, exec, s[8:9]
	s_load_dwordx4 s[24:27], s[4:5], 0x70
	;;#ASMSTART
	v_max_f32 v3, v2, v2 quad_perm:[1,0,3,2] row_mask:0xf bank_mask:0xf bound_ctrl:1
	;;#ASMEND
	v_and_b32_e32 v2, 1, v0
	v_cmp_eq_u32_e32 vcc, 0, v2
	v_cmp_gt_i32_e64 s[8:9], s19, v1
	s_and_b64 s[10:11], vcc, s[8:9]
	s_and_saveexec_b64 s[8:9], s[10:11]
	s_cbranch_execz .LBB883_20
; %bb.19:
	s_load_dwordx2 s[10:11], s[4:5], 0x8
	v_mul_f32_e32 v2, 0x3e2aaaab, v3
	v_lshrrev_b32_e32 v3, 23, v2
	v_and_b32_e32 v4, 0x7f800000, v2
	v_and_b32_e32 v2, 0x7fffff, v2
	v_cmp_ne_u32_e32 vcc, 0, v2
	s_waitcnt lgkmcnt(0)
	s_mul_i32 s16, s25, s6
	s_mov_b32 s14, 0x7f800000
	v_addc_co_u32_e32 v2, vcc, 0, v3, vcc
	s_mul_hi_i32 s15, s25, s6
	s_add_u32 s10, s10, s16
	v_cmp_ne_u32_e32 vcc, s14, v4
	s_addc_u32 s11, s11, s15
	v_lshrrev_b32_e32 v5, 1, v0
	v_cndmask_b32_e32 v4, -1, v2, vcc
	v_pk_mov_b32 v[2:3], s[10:11], s[10:11] op_sel:[0,1]
	v_mad_i64_i32 v[2:3], s[10:11], s26, v5, v[2:3]
	global_store_byte v[2:3], v4, off
.LBB883_20:
	s_or_b64 exec, exec, s[8:9]
	s_and_saveexec_b64 s[8:9], s[2:3]
	s_cbranch_execz .LBB883_22
; %bb.21:
	s_load_dwordx2 s[2:3], s[4:5], 0x0
	s_waitcnt lgkmcnt(0)
	s_mul_i32 s11, s24, s6
	s_mul_hi_i32 s10, s24, s6
	v_mov_b32_e32 v2, 0
	v_lshlrev_b32_e32 v4, 3, v0
	s_add_u32 s24, s2, s11
	s_addc_u32 s2, s3, s10
	s_lshr_b32 s3, s19, 31
	s_add_i32 s3, s19, s3
	s_ashr_i32 s3, s3, 1
	s_add_i32 s3, s3, 3
	s_ashr_i32 s10, s3, 31
	s_lshr_b32 s10, s10, 30
	s_add_i32 s3, s3, s10
	s_and_b32 s26, s3, -4
	s_and_b32 s25, s2, 0xffff
	s_mov_b32 s27, 0x20000
	v_mov_b32_e32 v3, v2
	buffer_store_dwordx2 v[2:3], v4, s[24:27], 0 offen
	;;#ASMSTART
	s_nop 0
	;;#ASMEND
.LBB883_22:
	s_or_b64 exec, exec, s[8:9]
	s_cmp_lt_i32 s20, 1
	s_cbranch_scc1 .LBB883_12
.LBB883_23:
	s_load_dword s2, s[4:5], 0x94
	s_waitcnt lgkmcnt(0)
	s_cmp_lg_u32 s2, 1
	s_cbranch_scc1 .LBB883_12
; %bb.24:
	s_lshl_b32 s2, s20, 1
	s_add_i32 s2, s2, 2
	v_cmp_gt_u32_e32 vcc, s20, v1
	s_and_b32 s14, s2, -4
	v_mov_b32_e32 v18, 0
	v_lshlrev_b32_e32 v1, 5, v0
	v_mov_b32_e32 v14, 0
	v_mov_b32_e32 v15, 0
	;; [unrolled: 1-line block ×8, first 2 shown]
	s_waitcnt vmcnt(1)
	v_mov_b32_e32 v6, 0
	v_mov_b32_e32 v7, 0
	;; [unrolled: 1-line block ×4, first 2 shown]
	s_waitcnt vmcnt(0)
	v_mov_b32_e32 v2, 0
	v_mov_b32_e32 v3, 0
	;; [unrolled: 1-line block ×4, first 2 shown]
	s_barrier
	s_and_saveexec_b64 s[2:3], vcc
	s_cbranch_execz .LBB883_26
; %bb.25:
	s_mul_hi_i32 s5, s22, s6
	s_mul_i32 s4, s22, s6
	s_and_b32 s13, s13, 0xffff
	s_lshl_b64 s[4:5], s[4:5], 1
	s_add_u32 s8, s30, s4
	s_mov_b32 s15, 0x20000
	s_addc_u32 s4, s31, s5
	s_and_b32 s9, s4, 0xffff
	s_mov_b32 s10, s14
	s_mov_b32 s11, s15
	buffer_load_dwordx4 v[14:17], v1, s[8:11], 0 offen
	buffer_load_dwordx4 v[10:13], v1, s[8:11], 16 offen
	;; [unrolled: 1-line block ×4, first 2 shown]
.LBB883_26:
	s_or_b64 exec, exec, s[2:3]
	v_mov_b32_e32 v19, 0
	v_mov_b32_e32 v32, 0
	;; [unrolled: 1-line block ×15, first 2 shown]
	s_and_saveexec_b64 s[2:3], vcc
	s_cbranch_execz .LBB883_28
; %bb.27:
	s_waitcnt vmcnt(3)
	v_cvt_f32_f16_sdwa v19, v14 dst_sel:DWORD dst_unused:UNUSED_PAD src0_sel:WORD_1
	v_cvt_f32_f16_e32 v18, v14
	v_cvt_f32_f16_sdwa v33, v15 dst_sel:DWORD dst_unused:UNUSED_PAD src0_sel:WORD_1
	v_cvt_f32_f16_e32 v32, v15
	;; [unrolled: 2-line block ×4, first 2 shown]
	s_waitcnt vmcnt(2)
	v_cvt_f32_f16_sdwa v27, v10 dst_sel:DWORD dst_unused:UNUSED_PAD src0_sel:WORD_1
	v_cvt_f32_f16_e32 v26, v10
	v_cvt_f32_f16_sdwa v25, v11 dst_sel:DWORD dst_unused:UNUSED_PAD src0_sel:WORD_1
	v_cvt_f32_f16_e32 v24, v11
	;; [unrolled: 2-line block ×4, first 2 shown]
.LBB883_28:
	s_or_b64 exec, exec, s[2:3]
	s_waitcnt vmcnt(2)
	v_mul_f32_e32 v10, v19, v19
	v_fmac_f32_e32 v10, v18, v18
	v_fmac_f32_e32 v10, v32, v32
	;; [unrolled: 1-line block ×15, first 2 shown]
	s_nop 1
	v_mov_b32_dpp v11, v10 quad_perm:[1,0,3,2] row_mask:0xf bank_mask:0xf
	v_add_f32_e32 v10, v10, v11
	s_nop 1
	v_mov_b32_dpp v11, v10 quad_perm:[2,3,0,1] row_mask:0xf bank_mask:0xf
	v_add_f32_e32 v10, v10, v11
	s_nop 1
	v_mov_b32_dpp v11, v10 row_half_mirror row_mask:0xf bank_mask:0xf
	v_add_f32_e32 v10, v10, v11
	s_nop 1
	v_mov_b32_dpp v11, v10 row_mirror row_mask:0xf bank_mask:0xf
	v_add_f32_e32 v10, v10, v11
	s_nop 1
	v_mov_b32_dpp v11, v10 row_bcast:15 row_mask:0xf bank_mask:0xf
	v_add_f32_e32 v10, v10, v11
	s_nop 1
	v_mov_b32_dpp v11, v10 row_bcast:31 row_mask:0xf bank_mask:0xf
	s_and_saveexec_b64 s[2:3], s[0:1]
	s_cbranch_execz .LBB883_30
; %bb.29:
	v_lshrrev_b32_e32 v0, 4, v0
	v_add_f32_e32 v10, v10, v11
	v_and_b32_e32 v0, 60, v0
	ds_write_b32 v0, v10
.LBB883_30:
	s_or_b64 exec, exec, s[2:3]
	s_waitcnt lgkmcnt(0)
	s_barrier
	ds_read_b32 v0, v34
	s_waitcnt lgkmcnt(0)
	s_nop 0
	v_mov_b32_dpp v10, v0 quad_perm:[1,0,3,2] row_mask:0xf bank_mask:0xf
	v_add_f32_e32 v0, v0, v10
	s_nop 1
	v_mov_b32_dpp v10, v0 quad_perm:[2,3,0,1] row_mask:0xf bank_mask:0xf
	s_and_saveexec_b64 s[0:1], vcc
	s_cbranch_execz .LBB883_12
; %bb.31:
	v_cvt_f32_u32_e32 v11, s20
	v_add_f32_e32 v0, v0, v10
	s_mov_b32 s15, 0x20000
	v_div_scale_f32 v10, s[0:1], v11, v11, v0
	v_rcp_f32_e32 v12, v10
	v_div_scale_f32 v13, vcc, v0, v11, v0
	s_mov_b32 s0, 0x800000
	v_fma_f32 v14, -v10, v12, 1.0
	v_fmac_f32_e32 v12, v14, v12
	v_mul_f32_e32 v14, v13, v12
	v_fma_f32 v15, -v10, v14, v13
	v_fmac_f32_e32 v14, v15, v12
	v_fma_f32 v10, -v10, v14, v13
	v_div_fmas_f32 v10, v10, v12, v14
	v_div_fixup_f32 v0, v10, v11, v0
	v_add_f32_e32 v0, s17, v0
	v_mul_f32_e32 v10, 0x4b800000, v0
	v_cmp_gt_f32_e32 vcc, s0, v0
	v_cndmask_b32_e32 v0, v0, v10, vcc
	v_rsq_f32_e32 v0, v0
	s_mul_hi_i32 s1, s7, s6
	s_mul_i32 s0, s7, s6
	s_lshl_b64 s[0:1], s[0:1], 1
	v_mul_f32_e32 v10, 0x45800000, v0
	v_cndmask_b32_e32 v10, v0, v10, vcc
	v_mov_b32_e32 v11, v10
	;;#ASMSTART
	v_pk_mul_f32 v[12:13], v[18:19], v[10:11]
	;;#ASMEND
	;;#ASMSTART
	v_pk_mul_f32 v[14:15], v[32:33], v[10:11]
	;;#ASMEND
	;; [unrolled: 3-line block ×4, first 2 shown]
	s_waitcnt vmcnt(1)
	v_cvt_f32_f16_sdwa v29, v6 dst_sel:DWORD dst_unused:UNUSED_PAD src0_sel:WORD_1
	v_cvt_f32_f16_e32 v28, v6
	v_cvt_f32_f16_sdwa v31, v7 dst_sel:DWORD dst_unused:UNUSED_PAD src0_sel:WORD_1
	v_cvt_f32_f16_e32 v30, v7
	;;#ASMSTART
	v_pk_mul_f32 v[26:27], v[26:27], v[10:11]
	;;#ASMEND
	;;#ASMSTART
	v_pk_mul_f32 v[24:25], v[24:25], v[10:11]
	;;#ASMEND
	;; [unrolled: 3-line block ×4, first 2 shown]
	v_cvt_f32_f16_sdwa v21, v8 dst_sel:DWORD dst_unused:UNUSED_PAD src0_sel:WORD_1
	v_cvt_f32_f16_e32 v20, v8
	v_pk_add_f32 v[10:11], v[28:29], 1.0 op_sel_hi:[1,0]
	;;#ASMSTART
	v_pk_mul_f32 v[10:11], v[12:13], v[10:11]
	;;#ASMEND
	v_pk_add_f32 v[12:13], v[30:31], 1.0 op_sel_hi:[1,0]
	v_cvt_f32_f16_sdwa v29, v9 dst_sel:DWORD dst_unused:UNUSED_PAD src0_sel:WORD_1
	v_cvt_f32_f16_e32 v28, v9
	;;#ASMSTART
	v_pk_mul_f32 v[8:9], v[14:15], v[12:13]
	;;#ASMEND
	v_pk_add_f32 v[12:13], v[20:21], 1.0 op_sel_hi:[1,0]
	;;#ASMSTART
	v_pk_mul_f32 v[12:13], v[16:17], v[12:13]
	;;#ASMEND
	s_waitcnt vmcnt(0)
	v_cvt_f32_f16_sdwa v17, v2 dst_sel:DWORD dst_unused:UNUSED_PAD src0_sel:WORD_1
	v_cvt_f32_f16_e32 v16, v2
	v_cvt_f32_f16_sdwa v21, v3 dst_sel:DWORD dst_unused:UNUSED_PAD src0_sel:WORD_1
	v_cvt_f32_f16_e32 v20, v3
	v_pk_add_f32 v[14:15], v[28:29], 1.0 op_sel_hi:[1,0]
	;;#ASMSTART
	v_pk_mul_f32 v[2:3], v[18:19], v[14:15]
	;;#ASMEND
	v_cvt_f32_f16_sdwa v19, v4 dst_sel:DWORD dst_unused:UNUSED_PAD src0_sel:WORD_1
	v_cvt_f32_f16_e32 v18, v4
	v_pk_add_f32 v[14:15], v[16:17], 1.0 op_sel_hi:[1,0]
	v_pk_add_f32 v[16:17], v[20:21], 1.0 op_sel_hi:[1,0]
	v_cvt_f32_f16_sdwa v21, v5 dst_sel:DWORD dst_unused:UNUSED_PAD src0_sel:WORD_1
	v_cvt_f32_f16_e32 v20, v5
	v_pk_add_f32 v[4:5], v[18:19], 1.0 op_sel_hi:[1,0]
	;;#ASMSTART
	v_pk_mul_f32 v[14:15], v[26:27], v[14:15]
	;;#ASMEND
	;;#ASMSTART
	v_pk_mul_f32 v[16:17], v[24:25], v[16:17]
	;;#ASMEND
	;; [unrolled: 3-line block ×3, first 2 shown]
	v_pk_add_f32 v[4:5], v[20:21], 1.0 op_sel_hi:[1,0]
	;;#ASMSTART
	v_pk_mul_f32 v[6:7], v[6:7], v[4:5]
	;;#ASMEND
	v_cvt_f16_f32_e32 v0, v10
	v_cvt_f16_f32_e32 v4, v11
	;; [unrolled: 1-line block ×8, first 2 shown]
	s_add_u32 s12, s28, s0
	s_addc_u32 s0, s29, s1
	s_and_b32 s13, s0, 0xffff
	v_pack_b32_f16 v2, v0, v4
	v_pack_b32_f16 v3, v5, v8
	;; [unrolled: 1-line block ×4, first 2 shown]
	buffer_store_dwordx4 v[2:5], v1, s[12:15], 0 offen
	v_cvt_f16_f32_e32 v0, v14
	v_cvt_f16_f32_e32 v2, v15
	;; [unrolled: 1-line block ×8, first 2 shown]
	v_pack_b32_f16 v2, v0, v2
	v_pack_b32_f16 v3, v3, v4
	;; [unrolled: 1-line block ×4, first 2 shown]
	;;#ASMSTART
	s_nop 0
	;;#ASMEND
	buffer_store_dwordx4 v[2:5], v1, s[12:15], 16 offen
	;;#ASMSTART
	s_nop 0
	;;#ASMEND
	s_endpgm
	.section	.rodata,"a",@progbits
	.p2align	6, 0x0
	.amdhsa_kernel _ZN5aiter35fused_qk_rmsnorm_group_quant_kernelIDF16_N4opus5fp4_tELi256ELi16ELi2ELb0ELb0ELb1ELb0ELb0ELb0EEEvPT0_PvPT_S7_S7_PKS6_S9_S9_S9_S9_ffiiiiiiiiiiiii
		.amdhsa_group_segment_fixed_size 32
		.amdhsa_private_segment_fixed_size 0
		.amdhsa_kernarg_size 400
		.amdhsa_user_sgpr_count 6
		.amdhsa_user_sgpr_private_segment_buffer 1
		.amdhsa_user_sgpr_dispatch_ptr 0
		.amdhsa_user_sgpr_queue_ptr 0
		.amdhsa_user_sgpr_kernarg_segment_ptr 1
		.amdhsa_user_sgpr_dispatch_id 0
		.amdhsa_user_sgpr_flat_scratch_init 0
		.amdhsa_user_sgpr_kernarg_preload_length 0
		.amdhsa_user_sgpr_kernarg_preload_offset 0
		.amdhsa_user_sgpr_private_segment_size 0
		.amdhsa_uses_dynamic_stack 0
		.amdhsa_system_sgpr_private_segment_wavefront_offset 0
		.amdhsa_system_sgpr_workgroup_id_x 1
		.amdhsa_system_sgpr_workgroup_id_y 1
		.amdhsa_system_sgpr_workgroup_id_z 0
		.amdhsa_system_sgpr_workgroup_info 0
		.amdhsa_system_vgpr_workitem_id 0
		.amdhsa_next_free_vgpr 35
		.amdhsa_next_free_sgpr 32
		.amdhsa_accum_offset 36
		.amdhsa_reserve_vcc 1
		.amdhsa_reserve_flat_scratch 0
		.amdhsa_float_round_mode_32 0
		.amdhsa_float_round_mode_16_64 0
		.amdhsa_float_denorm_mode_32 3
		.amdhsa_float_denorm_mode_16_64 3
		.amdhsa_dx10_clamp 1
		.amdhsa_ieee_mode 1
		.amdhsa_fp16_overflow 0
		.amdhsa_tg_split 0
		.amdhsa_exception_fp_ieee_invalid_op 0
		.amdhsa_exception_fp_denorm_src 0
		.amdhsa_exception_fp_ieee_div_zero 0
		.amdhsa_exception_fp_ieee_overflow 0
		.amdhsa_exception_fp_ieee_underflow 0
		.amdhsa_exception_fp_ieee_inexact 0
		.amdhsa_exception_int_div_zero 0
	.end_amdhsa_kernel
	.section	.text._ZN5aiter35fused_qk_rmsnorm_group_quant_kernelIDF16_N4opus5fp4_tELi256ELi16ELi2ELb0ELb0ELb1ELb0ELb0ELb0EEEvPT0_PvPT_S7_S7_PKS6_S9_S9_S9_S9_ffiiiiiiiiiiiii,"axG",@progbits,_ZN5aiter35fused_qk_rmsnorm_group_quant_kernelIDF16_N4opus5fp4_tELi256ELi16ELi2ELb0ELb0ELb1ELb0ELb0ELb0EEEvPT0_PvPT_S7_S7_PKS6_S9_S9_S9_S9_ffiiiiiiiiiiiii,comdat
.Lfunc_end883:
	.size	_ZN5aiter35fused_qk_rmsnorm_group_quant_kernelIDF16_N4opus5fp4_tELi256ELi16ELi2ELb0ELb0ELb1ELb0ELb0ELb0EEEvPT0_PvPT_S7_S7_PKS6_S9_S9_S9_S9_ffiiiiiiiiiiiii, .Lfunc_end883-_ZN5aiter35fused_qk_rmsnorm_group_quant_kernelIDF16_N4opus5fp4_tELi256ELi16ELi2ELb0ELb0ELb1ELb0ELb0ELb0EEEvPT0_PvPT_S7_S7_PKS6_S9_S9_S9_S9_ffiiiiiiiiiiiii
                                        ; -- End function
	.section	.AMDGPU.csdata,"",@progbits
; Kernel info:
; codeLenInByte = 3232
; NumSgprs: 36
; NumVgprs: 35
; NumAgprs: 0
; TotalNumVgprs: 35
; ScratchSize: 0
; MemoryBound: 0
; FloatMode: 240
; IeeeMode: 1
; LDSByteSize: 32 bytes/workgroup (compile time only)
; SGPRBlocks: 4
; VGPRBlocks: 4
; NumSGPRsForWavesPerEU: 36
; NumVGPRsForWavesPerEU: 35
; AccumOffset: 36
; Occupancy: 8
; WaveLimiterHint : 0
; COMPUTE_PGM_RSRC2:SCRATCH_EN: 0
; COMPUTE_PGM_RSRC2:USER_SGPR: 6
; COMPUTE_PGM_RSRC2:TRAP_HANDLER: 0
; COMPUTE_PGM_RSRC2:TGID_X_EN: 1
; COMPUTE_PGM_RSRC2:TGID_Y_EN: 1
; COMPUTE_PGM_RSRC2:TGID_Z_EN: 0
; COMPUTE_PGM_RSRC2:TIDIG_COMP_CNT: 0
; COMPUTE_PGM_RSRC3_GFX90A:ACCUM_OFFSET: 8
; COMPUTE_PGM_RSRC3_GFX90A:TG_SPLIT: 0
	.section	.text._ZN5aiter35fused_qk_rmsnorm_group_quant_kernelItN4opus5fp4_tELi256ELi16ELi2ELb0ELb0ELb1ELb0ELb0ELb0EEEvPT0_PvPT_S7_S7_PKS6_S9_S9_S9_S9_ffiiiiiiiiiiiii,"axG",@progbits,_ZN5aiter35fused_qk_rmsnorm_group_quant_kernelItN4opus5fp4_tELi256ELi16ELi2ELb0ELb0ELb1ELb0ELb0ELb0EEEvPT0_PvPT_S7_S7_PKS6_S9_S9_S9_S9_ffiiiiiiiiiiiii,comdat
	.protected	_ZN5aiter35fused_qk_rmsnorm_group_quant_kernelItN4opus5fp4_tELi256ELi16ELi2ELb0ELb0ELb1ELb0ELb0ELb0EEEvPT0_PvPT_S7_S7_PKS6_S9_S9_S9_S9_ffiiiiiiiiiiiii ; -- Begin function _ZN5aiter35fused_qk_rmsnorm_group_quant_kernelItN4opus5fp4_tELi256ELi16ELi2ELb0ELb0ELb1ELb0ELb0ELb0EEEvPT0_PvPT_S7_S7_PKS6_S9_S9_S9_S9_ffiiiiiiiiiiiii
	.globl	_ZN5aiter35fused_qk_rmsnorm_group_quant_kernelItN4opus5fp4_tELi256ELi16ELi2ELb0ELb0ELb1ELb0ELb0ELb0EEEvPT0_PvPT_S7_S7_PKS6_S9_S9_S9_S9_ffiiiiiiiiiiiii
	.p2align	8
	.type	_ZN5aiter35fused_qk_rmsnorm_group_quant_kernelItN4opus5fp4_tELi256ELi16ELi2ELb0ELb0ELb1ELb0ELb0ELb0EEEvPT0_PvPT_S7_S7_PKS6_S9_S9_S9_S9_ffiiiiiiiiiiiii,@function
_ZN5aiter35fused_qk_rmsnorm_group_quant_kernelItN4opus5fp4_tELi256ELi16ELi2ELb0ELb0ELb1ELb0ELb0ELb0EEEvPT0_PvPT_S7_S7_PKS6_S9_S9_S9_S9_ffiiiiiiiiiiiii: ; @_ZN5aiter35fused_qk_rmsnorm_group_quant_kernelItN4opus5fp4_tELi256ELi16ELi2ELb0ELb0ELb1ELb0ELb0ELb0EEEvPT0_PvPT_S7_S7_PKS6_S9_S9_S9_S9_ffiiiiiiiiiiiii
; %bb.0:
	s_load_dwordx4 s[16:19], s[4:5], 0x50
	s_waitcnt lgkmcnt(0)
	s_cmp_ge_i32 s6, s18
	s_cbranch_scc1 .LBB884_12
; %bb.1:
	s_load_dwordx2 s[12:13], s[4:5], 0x48
	s_load_dwordx2 s[30:31], s[4:5], 0x30
	s_load_dwordx4 s[20:23], s[4:5], 0x60
	s_cmp_lg_u32 s7, 0
	s_cselect_b64 s[14:15], -1, 0
	s_cmp_eq_u32 s7, 0
	s_cselect_b64 vcc, -1, 0
	s_and_b64 s[0:1], vcc, exec
	s_waitcnt lgkmcnt(0)
	s_cselect_b32 s7, s19, s20
	s_add_i32 s0, s7, 1
	s_lshr_b32 s1, s0, 31
	s_add_i32 s0, s0, s1
	s_lshl_b32 s0, s0, 1
	v_lshlrev_b32_e32 v1, 4, v0
	s_and_b32 s10, s0, -4
	v_cmp_gt_i32_e64 s[2:3], s7, v1
	v_mov_b32_e32 v18, 0
	v_mov_b32_e32 v6, 0
	;; [unrolled: 1-line block ×17, first 2 shown]
	s_and_saveexec_b64 s[0:1], s[2:3]
	s_cbranch_execz .LBB884_3
; %bb.2:
	s_load_dwordx2 s[8:9], s[4:5], 0x28
	s_load_dwordx2 s[26:27], s[4:5], 0x40
	s_and_b64 s[24:25], vcc, exec
	s_cselect_b32 s11, s21, s22
	v_lshlrev_b32_e32 v19, 5, v0
	s_waitcnt lgkmcnt(0)
	s_cselect_b32 s18, s9, s31
	s_cselect_b32 s21, s8, s30
	s_mul_hi_i32 s9, s11, s6
	s_mul_i32 s8, s11, s6
	s_lshl_b64 s[8:9], s[8:9], 1
	s_add_u32 s24, s21, s8
	s_addc_u32 s18, s18, s9
	s_and_b64 s[8:9], vcc, exec
	s_mov_b32 s11, 0x20000
	s_cselect_b32 s8, s26, s12
	s_cselect_b32 s9, s27, s13
	s_and_b32 s25, s18, 0xffff
	s_mov_b32 s26, s10
	s_mov_b32 s27, s11
	s_and_b32 s9, s9, 0xffff
	buffer_load_dwordx4 v[14:17], v19, s[24:27], 0 offen
	buffer_load_dwordx4 v[10:13], v19, s[24:27], 16 offen
	;; [unrolled: 1-line block ×4, first 2 shown]
.LBB884_3:
	s_or_b64 exec, exec, s[0:1]
	v_mov_b32_e32 v19, 0
	v_mov_b32_e32 v22, 0
	;; [unrolled: 1-line block ×15, first 2 shown]
	s_and_saveexec_b64 s[0:1], s[2:3]
	s_cbranch_execz .LBB884_5
; %bb.4:
	s_waitcnt vmcnt(3)
	v_cvt_f32_u32_sdwa v18, v14 dst_sel:DWORD dst_unused:UNUSED_PAD src0_sel:WORD_0
	v_cvt_f32_u32_sdwa v19, v14 dst_sel:DWORD dst_unused:UNUSED_PAD src0_sel:WORD_1
	v_cvt_f32_u32_sdwa v22, v15 dst_sel:DWORD dst_unused:UNUSED_PAD src0_sel:WORD_0
	v_cvt_f32_u32_sdwa v23, v15 dst_sel:DWORD dst_unused:UNUSED_PAD src0_sel:WORD_1
	;; [unrolled: 2-line block ×4, first 2 shown]
	s_waitcnt vmcnt(2)
	v_cvt_f32_u32_sdwa v24, v10 dst_sel:DWORD dst_unused:UNUSED_PAD src0_sel:WORD_0
	v_cvt_f32_u32_sdwa v25, v10 dst_sel:DWORD dst_unused:UNUSED_PAD src0_sel:WORD_1
	v_cvt_f32_u32_sdwa v32, v11 dst_sel:DWORD dst_unused:UNUSED_PAD src0_sel:WORD_0
	v_cvt_f32_u32_sdwa v33, v11 dst_sel:DWORD dst_unused:UNUSED_PAD src0_sel:WORD_1
	;; [unrolled: 2-line block ×4, first 2 shown]
.LBB884_5:
	s_or_b64 exec, exec, s[0:1]
	s_waitcnt vmcnt(2)
	v_mul_f32_e32 v10, v19, v19
	v_fmac_f32_e32 v10, v18, v18
	v_fmac_f32_e32 v10, v22, v22
	;; [unrolled: 1-line block ×15, first 2 shown]
	v_and_b32_e32 v12, 63, v0
	v_cmp_eq_u32_e64 s[0:1], 63, v12
	v_mov_b32_dpp v11, v10 quad_perm:[1,0,3,2] row_mask:0xf bank_mask:0xf
	v_add_f32_e32 v10, v10, v11
	s_nop 1
	v_mov_b32_dpp v11, v10 quad_perm:[2,3,0,1] row_mask:0xf bank_mask:0xf
	v_add_f32_e32 v10, v10, v11
	s_nop 1
	v_mov_b32_dpp v11, v10 row_half_mirror row_mask:0xf bank_mask:0xf
	v_add_f32_e32 v10, v10, v11
	s_nop 1
	v_mov_b32_dpp v11, v10 row_mirror row_mask:0xf bank_mask:0xf
	v_add_f32_e32 v10, v10, v11
	s_nop 1
	v_mov_b32_dpp v11, v10 row_bcast:15 row_mask:0xf bank_mask:0xf
	v_add_f32_e32 v10, v10, v11
	s_nop 1
	v_mov_b32_dpp v11, v10 row_bcast:31 row_mask:0xf bank_mask:0xf
	s_and_saveexec_b64 s[8:9], s[0:1]
	s_cbranch_execz .LBB884_7
; %bb.6:
	v_add_f32_e32 v10, v10, v11
	v_lshrrev_b32_e32 v11, 4, v0
	v_and_b32_e32 v11, 60, v11
	ds_write_b32 v11, v10 offset:16
.LBB884_7:
	s_or_b64 exec, exec, s[8:9]
	v_and_b32_e32 v10, 3, v0
	v_lshlrev_b32_e32 v34, 2, v10
	s_waitcnt lgkmcnt(0)
	s_barrier
	ds_read_b32 v10, v34 offset:16
	s_load_dwordx2 s[28:29], s[4:5], 0x18
	s_waitcnt lgkmcnt(0)
	v_mov_b32_dpp v11, v10 quad_perm:[1,0,3,2] row_mask:0xf bank_mask:0xf
	v_add_f32_e32 v10, v10, v11
	s_nop 1
	v_mov_b32_dpp v11, v10 quad_perm:[2,3,0,1] row_mask:0xf bank_mask:0xf
	s_and_saveexec_b64 s[8:9], s[2:3]
	s_cbranch_execz .LBB884_9
; %bb.8:
	v_cvt_f32_u32_e32 v12, s7
	v_add_f32_e32 v10, v10, v11
	v_mov_b32_e32 v14, s17
	v_mov_b32_e32 v15, s16
	v_div_scale_f32 v11, s[24:25], v12, v12, v10
	v_rcp_f32_e32 v13, v11
	v_cndmask_b32_e32 v14, v14, v15, vcc
	s_mov_b32 s7, 0x800000
	v_fma_f32 v15, -v11, v13, 1.0
	v_fmac_f32_e32 v13, v15, v13
	v_div_scale_f32 v15, vcc, v10, v12, v10
	v_mul_f32_e32 v16, v15, v13
	v_fma_f32 v17, -v11, v16, v15
	v_fmac_f32_e32 v16, v17, v13
	v_fma_f32 v11, -v11, v16, v15
	v_div_fmas_f32 v11, v11, v13, v16
	v_div_fixup_f32 v10, v11, v12, v10
	v_add_f32_e32 v10, v14, v10
	v_mul_f32_e32 v11, 0x4b800000, v10
	v_cmp_gt_f32_e32 vcc, s7, v10
	v_cndmask_b32_e32 v10, v10, v11, vcc
	v_rsq_f32_e32 v10, v10
	v_mul_f32_e32 v11, 0x45800000, v10
	v_cndmask_b32_e32 v10, v10, v11, vcc
	v_mov_b32_e32 v11, v10
	;;#ASMSTART
	v_pk_mul_f32 v[12:13], v[18:19], v[10:11]
	;;#ASMEND
	s_waitcnt vmcnt(1)
	v_cvt_f32_u32_sdwa v19, v6 dst_sel:DWORD dst_unused:UNUSED_PAD src0_sel:WORD_1
	v_cvt_f32_u32_sdwa v18, v6 dst_sel:DWORD dst_unused:UNUSED_PAD src0_sel:WORD_0
	;;#ASMSTART
	v_pk_mul_f32 v[14:15], v[22:23], v[10:11]
	;;#ASMEND
	;;#ASMSTART
	v_pk_mul_f32 v[16:17], v[20:21], v[10:11]
	;;#ASMEND
	v_cvt_f32_u32_sdwa v21, v7 dst_sel:DWORD dst_unused:UNUSED_PAD src0_sel:WORD_1
	v_cvt_f32_u32_sdwa v20, v7 dst_sel:DWORD dst_unused:UNUSED_PAD src0_sel:WORD_0
	;;#ASMSTART
	v_pk_mul_f32 v[28:29], v[28:29], v[10:11]
	;;#ASMEND
	;;#ASMSTART
	v_pk_mul_f32 v[24:25], v[24:25], v[10:11]
	;;#ASMEND
	;; [unrolled: 3-line block ×5, first 2 shown]
	v_pk_add_f32 v[10:11], v[18:19], 1.0 op_sel_hi:[1,0]
	;;#ASMSTART
	v_pk_mul_f32 v[18:19], v[12:13], v[10:11]
	;;#ASMEND
	v_cvt_f32_u32_sdwa v13, v8 dst_sel:DWORD dst_unused:UNUSED_PAD src0_sel:WORD_1
	v_cvt_f32_u32_sdwa v12, v8 dst_sel:DWORD dst_unused:UNUSED_PAD src0_sel:WORD_0
	v_cvt_f32_u32_sdwa v27, v9 dst_sel:DWORD dst_unused:UNUSED_PAD src0_sel:WORD_1
	v_cvt_f32_u32_sdwa v26, v9 dst_sel:DWORD dst_unused:UNUSED_PAD src0_sel:WORD_0
	v_pk_add_f32 v[10:11], v[20:21], 1.0 op_sel_hi:[1,0]
	;;#ASMSTART
	v_pk_mul_f32 v[22:23], v[14:15], v[10:11]
	;;#ASMEND
	s_waitcnt vmcnt(0)
	v_cvt_f32_u32_sdwa v11, v2 dst_sel:DWORD dst_unused:UNUSED_PAD src0_sel:WORD_1
	v_cvt_f32_u32_sdwa v10, v2 dst_sel:DWORD dst_unused:UNUSED_PAD src0_sel:WORD_0
	v_pk_add_f32 v[8:9], v[12:13], 1.0 op_sel_hi:[1,0]
	;;#ASMSTART
	v_pk_mul_f32 v[20:21], v[16:17], v[8:9]
	;;#ASMEND
	v_pk_add_f32 v[8:9], v[26:27], 1.0 op_sel_hi:[1,0]
	v_cvt_f32_u32_sdwa v13, v3 dst_sel:DWORD dst_unused:UNUSED_PAD src0_sel:WORD_1
	v_cvt_f32_u32_sdwa v12, v3 dst_sel:DWORD dst_unused:UNUSED_PAD src0_sel:WORD_0
	;;#ASMSTART
	v_pk_mul_f32 v[28:29], v[28:29], v[8:9]
	;;#ASMEND
	v_cvt_f32_u32_sdwa v9, v4 dst_sel:DWORD dst_unused:UNUSED_PAD src0_sel:WORD_1
	v_cvt_f32_u32_sdwa v8, v4 dst_sel:DWORD dst_unused:UNUSED_PAD src0_sel:WORD_0
	v_pk_add_f32 v[2:3], v[10:11], 1.0 op_sel_hi:[1,0]
	v_cvt_f32_u32_sdwa v11, v5 dst_sel:DWORD dst_unused:UNUSED_PAD src0_sel:WORD_1
	v_cvt_f32_u32_sdwa v10, v5 dst_sel:DWORD dst_unused:UNUSED_PAD src0_sel:WORD_0
	;;#ASMSTART
	v_pk_mul_f32 v[24:25], v[24:25], v[2:3]
	;;#ASMEND
	v_pk_add_f32 v[2:3], v[12:13], 1.0 op_sel_hi:[1,0]
	;;#ASMSTART
	v_pk_mul_f32 v[32:33], v[32:33], v[2:3]
	;;#ASMEND
	v_pk_add_f32 v[2:3], v[8:9], 1.0 op_sel_hi:[1,0]
	;; [unrolled: 4-line block ×3, first 2 shown]
	;;#ASMSTART
	v_pk_mul_f32 v[26:27], v[6:7], v[2:3]
	;;#ASMEND
.LBB884_9:
	s_or_b64 exec, exec, s[8:9]
	s_load_dword s7, s[4:5], 0x80
	s_mov_b64 s[8:9], -1
	s_and_b64 vcc, exec, s[14:15]
	s_cbranch_vccnz .LBB884_13
; %bb.10:
	s_andn2_b64 vcc, exec, s[8:9]
	s_cbranch_vccz .LBB884_16
.LBB884_11:
	s_cmp_lt_i32 s20, 1
	s_cbranch_scc0 .LBB884_23
.LBB884_12:
	s_endpgm
.LBB884_13:
	s_and_saveexec_b64 s[14:15], s[2:3]
	s_cbranch_execz .LBB884_15
; %bb.14:
	s_waitcnt lgkmcnt(0)
	s_mul_hi_i32 s9, s7, s6
	s_mul_i32 s8, s7, s6
	s_lshl_b64 s[8:9], s[8:9], 1
	s_add_u32 s8, s28, s8
	s_addc_u32 s9, s29, s9
	s_mov_b32 s16, 0x7060302
	s_and_b32 s9, s9, 0xffff
	s_mov_b32 s11, 0x20000
	s_waitcnt vmcnt(0)
	v_perm_b32 v5, v29, v28, s16
	v_perm_b32 v4, v21, v20, s16
	;; [unrolled: 1-line block ×4, first 2 shown]
	v_lshlrev_b32_e32 v6, 5, v0
	buffer_store_dwordx4 v[2:5], v6, s[8:11], 0 offen
	;;#ASMSTART
	s_nop 0
	;;#ASMEND
	s_nop 0
	v_perm_b32 v5, v27, v26, s16
	v_perm_b32 v4, v31, v30, s16
	;; [unrolled: 1-line block ×4, first 2 shown]
	buffer_store_dwordx4 v[2:5], v6, s[8:11], 16 offen
	;;#ASMSTART
	s_nop 0
	;;#ASMEND
.LBB884_15:
	s_or_b64 exec, exec, s[14:15]
	s_cbranch_execnz .LBB884_11
.LBB884_16:
	s_waitcnt vmcnt(0)
	v_mov_b32_e32 v2, 0
	s_and_saveexec_b64 s[8:9], s[2:3]
	s_cbranch_execz .LBB884_18
; %bb.17:
	v_and_b32_e32 v2, 0x7fffffff, v18
	v_and_b32_e32 v3, 0x7fffffff, v19
	v_mov_b32_e32 v4, 0x2edbe6ff
	;;#ASMSTART
	v_max3_f32 v2, v4, v2, v3

	;;#ASMEND
	v_and_b32_e32 v3, 0x7fffffff, v22
	v_and_b32_e32 v4, 0x7fffffff, v23
	;;#ASMSTART
	v_max3_f32 v2, v2, v3, v4

	;;#ASMEND
	v_and_b32_e32 v3, 0x7fffffff, v20
	v_and_b32_e32 v4, 0x7fffffff, v21
	;; [unrolled: 6-line block ×7, first 2 shown]
	;;#ASMSTART
	v_max3_f32 v2, v2, v3, v4

	;;#ASMEND
.LBB884_18:
	s_or_b64 exec, exec, s[8:9]
	s_load_dwordx4 s[24:27], s[4:5], 0x70
	;;#ASMSTART
	v_max_f32 v3, v2, v2 quad_perm:[1,0,3,2] row_mask:0xf bank_mask:0xf bound_ctrl:1
	;;#ASMEND
	v_and_b32_e32 v2, 1, v0
	v_cmp_eq_u32_e32 vcc, 0, v2
	v_cmp_gt_i32_e64 s[8:9], s19, v1
	s_and_b64 s[10:11], vcc, s[8:9]
	s_and_saveexec_b64 s[8:9], s[10:11]
	s_cbranch_execz .LBB884_20
; %bb.19:
	s_load_dwordx2 s[10:11], s[4:5], 0x8
	v_mul_f32_e32 v2, 0x3e2aaaab, v3
	v_lshrrev_b32_e32 v3, 23, v2
	v_and_b32_e32 v4, 0x7f800000, v2
	v_and_b32_e32 v2, 0x7fffff, v2
	v_cmp_ne_u32_e32 vcc, 0, v2
	s_waitcnt lgkmcnt(0)
	s_mul_i32 s16, s25, s6
	s_mov_b32 s14, 0x7f800000
	v_addc_co_u32_e32 v2, vcc, 0, v3, vcc
	s_mul_hi_i32 s15, s25, s6
	s_add_u32 s10, s10, s16
	v_cmp_ne_u32_e32 vcc, s14, v4
	s_addc_u32 s11, s11, s15
	v_lshrrev_b32_e32 v5, 1, v0
	v_cndmask_b32_e32 v4, -1, v2, vcc
	v_pk_mov_b32 v[2:3], s[10:11], s[10:11] op_sel:[0,1]
	v_mad_i64_i32 v[2:3], s[10:11], s26, v5, v[2:3]
	global_store_byte v[2:3], v4, off
.LBB884_20:
	s_or_b64 exec, exec, s[8:9]
	s_and_saveexec_b64 s[8:9], s[2:3]
	s_cbranch_execz .LBB884_22
; %bb.21:
	s_load_dwordx2 s[2:3], s[4:5], 0x0
	s_waitcnt lgkmcnt(0)
	s_mul_i32 s11, s24, s6
	s_mul_hi_i32 s10, s24, s6
	v_mov_b32_e32 v2, 0
	v_lshlrev_b32_e32 v4, 3, v0
	s_add_u32 s24, s2, s11
	s_addc_u32 s2, s3, s10
	s_lshr_b32 s3, s19, 31
	s_add_i32 s3, s19, s3
	s_ashr_i32 s3, s3, 1
	s_add_i32 s3, s3, 3
	s_ashr_i32 s10, s3, 31
	s_lshr_b32 s10, s10, 30
	s_add_i32 s3, s3, s10
	s_and_b32 s26, s3, -4
	s_and_b32 s25, s2, 0xffff
	s_mov_b32 s27, 0x20000
	v_mov_b32_e32 v3, v2
	buffer_store_dwordx2 v[2:3], v4, s[24:27], 0 offen
	;;#ASMSTART
	s_nop 0
	;;#ASMEND
.LBB884_22:
	s_or_b64 exec, exec, s[8:9]
	s_cmp_lt_i32 s20, 1
	s_cbranch_scc1 .LBB884_12
.LBB884_23:
	s_load_dword s2, s[4:5], 0x94
	s_waitcnt lgkmcnt(0)
	s_cmp_lg_u32 s2, 1
	s_cbranch_scc1 .LBB884_12
; %bb.24:
	s_lshl_b32 s2, s20, 1
	s_add_i32 s2, s2, 2
	v_cmp_gt_u32_e32 vcc, s20, v1
	s_and_b32 s14, s2, -4
	v_mov_b32_e32 v18, 0
	v_lshlrev_b32_e32 v1, 5, v0
	v_mov_b32_e32 v14, 0
	v_mov_b32_e32 v15, 0
	;; [unrolled: 1-line block ×8, first 2 shown]
	s_waitcnt vmcnt(1)
	v_mov_b32_e32 v6, 0
	v_mov_b32_e32 v7, 0
	v_mov_b32_e32 v8, 0
	v_mov_b32_e32 v9, 0
	s_waitcnt vmcnt(0)
	v_mov_b32_e32 v2, 0
	v_mov_b32_e32 v3, 0
	;; [unrolled: 1-line block ×4, first 2 shown]
	s_barrier
	s_and_saveexec_b64 s[2:3], vcc
	s_cbranch_execz .LBB884_26
; %bb.25:
	s_mul_hi_i32 s5, s22, s6
	s_mul_i32 s4, s22, s6
	s_and_b32 s13, s13, 0xffff
	s_lshl_b64 s[4:5], s[4:5], 1
	s_add_u32 s8, s30, s4
	s_mov_b32 s15, 0x20000
	s_addc_u32 s4, s31, s5
	s_and_b32 s9, s4, 0xffff
	s_mov_b32 s10, s14
	s_mov_b32 s11, s15
	buffer_load_dwordx4 v[14:17], v1, s[8:11], 0 offen
	buffer_load_dwordx4 v[10:13], v1, s[8:11], 16 offen
	buffer_load_dwordx4 v[6:9], v1, s[12:15], 0 offen
	buffer_load_dwordx4 v[2:5], v1, s[12:15], 16 offen
.LBB884_26:
	s_or_b64 exec, exec, s[2:3]
	v_mov_b32_e32 v19, 0
	v_mov_b32_e32 v32, 0
	;; [unrolled: 1-line block ×15, first 2 shown]
	s_and_saveexec_b64 s[2:3], vcc
	s_cbranch_execz .LBB884_28
; %bb.27:
	s_waitcnt vmcnt(3)
	v_cvt_f32_u32_sdwa v18, v14 dst_sel:DWORD dst_unused:UNUSED_PAD src0_sel:WORD_0
	v_cvt_f32_u32_sdwa v19, v14 dst_sel:DWORD dst_unused:UNUSED_PAD src0_sel:WORD_1
	v_cvt_f32_u32_sdwa v32, v15 dst_sel:DWORD dst_unused:UNUSED_PAD src0_sel:WORD_0
	v_cvt_f32_u32_sdwa v33, v15 dst_sel:DWORD dst_unused:UNUSED_PAD src0_sel:WORD_1
	;; [unrolled: 2-line block ×4, first 2 shown]
	s_waitcnt vmcnt(2)
	v_cvt_f32_u32_sdwa v26, v10 dst_sel:DWORD dst_unused:UNUSED_PAD src0_sel:WORD_0
	v_cvt_f32_u32_sdwa v27, v10 dst_sel:DWORD dst_unused:UNUSED_PAD src0_sel:WORD_1
	v_cvt_f32_u32_sdwa v24, v11 dst_sel:DWORD dst_unused:UNUSED_PAD src0_sel:WORD_0
	v_cvt_f32_u32_sdwa v25, v11 dst_sel:DWORD dst_unused:UNUSED_PAD src0_sel:WORD_1
	v_cvt_f32_u32_sdwa v22, v12 dst_sel:DWORD dst_unused:UNUSED_PAD src0_sel:WORD_0
	v_cvt_f32_u32_sdwa v23, v12 dst_sel:DWORD dst_unused:UNUSED_PAD src0_sel:WORD_1
	v_cvt_f32_u32_sdwa v20, v13 dst_sel:DWORD dst_unused:UNUSED_PAD src0_sel:WORD_0
	v_cvt_f32_u32_sdwa v21, v13 dst_sel:DWORD dst_unused:UNUSED_PAD src0_sel:WORD_1
.LBB884_28:
	s_or_b64 exec, exec, s[2:3]
	s_waitcnt vmcnt(2)
	v_mul_f32_e32 v10, v19, v19
	v_fmac_f32_e32 v10, v18, v18
	v_fmac_f32_e32 v10, v32, v32
	;; [unrolled: 1-line block ×15, first 2 shown]
	s_nop 1
	v_mov_b32_dpp v11, v10 quad_perm:[1,0,3,2] row_mask:0xf bank_mask:0xf
	v_add_f32_e32 v10, v10, v11
	s_nop 1
	v_mov_b32_dpp v11, v10 quad_perm:[2,3,0,1] row_mask:0xf bank_mask:0xf
	v_add_f32_e32 v10, v10, v11
	s_nop 1
	v_mov_b32_dpp v11, v10 row_half_mirror row_mask:0xf bank_mask:0xf
	v_add_f32_e32 v10, v10, v11
	s_nop 1
	v_mov_b32_dpp v11, v10 row_mirror row_mask:0xf bank_mask:0xf
	v_add_f32_e32 v10, v10, v11
	s_nop 1
	v_mov_b32_dpp v11, v10 row_bcast:15 row_mask:0xf bank_mask:0xf
	v_add_f32_e32 v10, v10, v11
	s_nop 1
	v_mov_b32_dpp v11, v10 row_bcast:31 row_mask:0xf bank_mask:0xf
	s_and_saveexec_b64 s[2:3], s[0:1]
	s_cbranch_execz .LBB884_30
; %bb.29:
	v_lshrrev_b32_e32 v0, 4, v0
	v_add_f32_e32 v10, v10, v11
	v_and_b32_e32 v0, 60, v0
	ds_write_b32 v0, v10
.LBB884_30:
	s_or_b64 exec, exec, s[2:3]
	s_waitcnt lgkmcnt(0)
	s_barrier
	ds_read_b32 v0, v34
	s_waitcnt lgkmcnt(0)
	s_nop 0
	v_mov_b32_dpp v10, v0 quad_perm:[1,0,3,2] row_mask:0xf bank_mask:0xf
	v_add_f32_e32 v0, v0, v10
	s_nop 1
	v_mov_b32_dpp v10, v0 quad_perm:[2,3,0,1] row_mask:0xf bank_mask:0xf
	s_and_saveexec_b64 s[0:1], vcc
	s_cbranch_execz .LBB884_12
; %bb.31:
	v_cvt_f32_u32_e32 v11, s20
	v_add_f32_e32 v0, v0, v10
	s_mov_b32 s15, 0x20000
	v_div_scale_f32 v10, s[0:1], v11, v11, v0
	v_rcp_f32_e32 v12, v10
	v_div_scale_f32 v13, vcc, v0, v11, v0
	s_mov_b32 s0, 0x800000
	v_fma_f32 v14, -v10, v12, 1.0
	v_fmac_f32_e32 v12, v14, v12
	v_mul_f32_e32 v14, v13, v12
	v_fma_f32 v15, -v10, v14, v13
	v_fmac_f32_e32 v14, v15, v12
	v_fma_f32 v10, -v10, v14, v13
	v_div_fmas_f32 v10, v10, v12, v14
	v_div_fixup_f32 v0, v10, v11, v0
	v_add_f32_e32 v0, s17, v0
	v_mul_f32_e32 v10, 0x4b800000, v0
	v_cmp_gt_f32_e32 vcc, s0, v0
	v_cndmask_b32_e32 v0, v0, v10, vcc
	v_rsq_f32_e32 v0, v0
	s_mul_hi_i32 s1, s7, s6
	s_mul_i32 s0, s7, s6
	s_lshl_b64 s[0:1], s[0:1], 1
	v_mul_f32_e32 v10, 0x45800000, v0
	v_cndmask_b32_e32 v10, v0, v10, vcc
	v_mov_b32_e32 v11, v10
	;;#ASMSTART
	v_pk_mul_f32 v[12:13], v[18:19], v[10:11]
	;;#ASMEND
	;;#ASMSTART
	v_pk_mul_f32 v[14:15], v[32:33], v[10:11]
	;;#ASMEND
	;; [unrolled: 3-line block ×4, first 2 shown]
	s_waitcnt vmcnt(1)
	v_cvt_f32_u32_sdwa v29, v6 dst_sel:DWORD dst_unused:UNUSED_PAD src0_sel:WORD_1
	v_cvt_f32_u32_sdwa v28, v6 dst_sel:DWORD dst_unused:UNUSED_PAD src0_sel:WORD_0
	v_cvt_f32_u32_sdwa v31, v7 dst_sel:DWORD dst_unused:UNUSED_PAD src0_sel:WORD_1
	v_cvt_f32_u32_sdwa v30, v7 dst_sel:DWORD dst_unused:UNUSED_PAD src0_sel:WORD_0
	;;#ASMSTART
	v_pk_mul_f32 v[26:27], v[26:27], v[10:11]
	;;#ASMEND
	;;#ASMSTART
	v_pk_mul_f32 v[24:25], v[24:25], v[10:11]
	;;#ASMEND
	;; [unrolled: 3-line block ×4, first 2 shown]
	v_cvt_f32_u32_sdwa v21, v8 dst_sel:DWORD dst_unused:UNUSED_PAD src0_sel:WORD_1
	v_cvt_f32_u32_sdwa v20, v8 dst_sel:DWORD dst_unused:UNUSED_PAD src0_sel:WORD_0
	v_pk_add_f32 v[10:11], v[28:29], 1.0 op_sel_hi:[1,0]
	;;#ASMSTART
	v_pk_mul_f32 v[10:11], v[12:13], v[10:11]
	;;#ASMEND
	v_pk_add_f32 v[12:13], v[30:31], 1.0 op_sel_hi:[1,0]
	v_cvt_f32_u32_sdwa v29, v9 dst_sel:DWORD dst_unused:UNUSED_PAD src0_sel:WORD_1
	v_cvt_f32_u32_sdwa v28, v9 dst_sel:DWORD dst_unused:UNUSED_PAD src0_sel:WORD_0
	;;#ASMSTART
	v_pk_mul_f32 v[8:9], v[14:15], v[12:13]
	;;#ASMEND
	v_pk_add_f32 v[12:13], v[20:21], 1.0 op_sel_hi:[1,0]
	;;#ASMSTART
	v_pk_mul_f32 v[12:13], v[16:17], v[12:13]
	;;#ASMEND
	s_waitcnt vmcnt(0)
	v_cvt_f32_u32_sdwa v17, v2 dst_sel:DWORD dst_unused:UNUSED_PAD src0_sel:WORD_1
	v_cvt_f32_u32_sdwa v16, v2 dst_sel:DWORD dst_unused:UNUSED_PAD src0_sel:WORD_0
	v_cvt_f32_u32_sdwa v21, v3 dst_sel:DWORD dst_unused:UNUSED_PAD src0_sel:WORD_1
	v_cvt_f32_u32_sdwa v20, v3 dst_sel:DWORD dst_unused:UNUSED_PAD src0_sel:WORD_0
	v_pk_add_f32 v[14:15], v[28:29], 1.0 op_sel_hi:[1,0]
	;;#ASMSTART
	v_pk_mul_f32 v[14:15], v[18:19], v[14:15]
	;;#ASMEND
	v_pk_add_f32 v[2:3], v[16:17], 1.0 op_sel_hi:[1,0]
	v_cvt_f32_u32_sdwa v19, v4 dst_sel:DWORD dst_unused:UNUSED_PAD src0_sel:WORD_1
	v_cvt_f32_u32_sdwa v18, v4 dst_sel:DWORD dst_unused:UNUSED_PAD src0_sel:WORD_0
	;;#ASMSTART
	v_pk_mul_f32 v[16:17], v[26:27], v[2:3]
	;;#ASMEND
	v_pk_add_f32 v[2:3], v[20:21], 1.0 op_sel_hi:[1,0]
	v_cvt_f32_u32_sdwa v21, v5 dst_sel:DWORD dst_unused:UNUSED_PAD src0_sel:WORD_1
	v_cvt_f32_u32_sdwa v20, v5 dst_sel:DWORD dst_unused:UNUSED_PAD src0_sel:WORD_0
	s_add_u32 s12, s28, s0
	;;#ASMSTART
	v_pk_mul_f32 v[24:25], v[24:25], v[2:3]
	;;#ASMEND
	v_pk_add_f32 v[2:3], v[18:19], 1.0 op_sel_hi:[1,0]
	s_addc_u32 s0, s29, s1
	;;#ASMSTART
	v_pk_mul_f32 v[18:19], v[22:23], v[2:3]
	;;#ASMEND
	v_pk_add_f32 v[2:3], v[20:21], 1.0 op_sel_hi:[1,0]
	s_and_b32 s13, s0, 0xffff
	s_mov_b32 s0, 0x7060302
	;;#ASMSTART
	v_pk_mul_f32 v[6:7], v[6:7], v[2:3]
	;;#ASMEND
	v_perm_b32 v2, v11, v10, s0
	v_perm_b32 v3, v9, v8, s0
	;; [unrolled: 1-line block ×4, first 2 shown]
	buffer_store_dwordx4 v[2:5], v1, s[12:15], 0 offen
	;;#ASMSTART
	s_nop 0
	;;#ASMEND
	s_nop 0
	v_perm_b32 v2, v17, v16, s0
	v_perm_b32 v3, v25, v24, s0
	;; [unrolled: 1-line block ×4, first 2 shown]
	buffer_store_dwordx4 v[2:5], v1, s[12:15], 16 offen
	;;#ASMSTART
	s_nop 0
	;;#ASMEND
	s_endpgm
	.section	.rodata,"a",@progbits
	.p2align	6, 0x0
	.amdhsa_kernel _ZN5aiter35fused_qk_rmsnorm_group_quant_kernelItN4opus5fp4_tELi256ELi16ELi2ELb0ELb0ELb1ELb0ELb0ELb0EEEvPT0_PvPT_S7_S7_PKS6_S9_S9_S9_S9_ffiiiiiiiiiiiii
		.amdhsa_group_segment_fixed_size 32
		.amdhsa_private_segment_fixed_size 0
		.amdhsa_kernarg_size 400
		.amdhsa_user_sgpr_count 6
		.amdhsa_user_sgpr_private_segment_buffer 1
		.amdhsa_user_sgpr_dispatch_ptr 0
		.amdhsa_user_sgpr_queue_ptr 0
		.amdhsa_user_sgpr_kernarg_segment_ptr 1
		.amdhsa_user_sgpr_dispatch_id 0
		.amdhsa_user_sgpr_flat_scratch_init 0
		.amdhsa_user_sgpr_kernarg_preload_length 0
		.amdhsa_user_sgpr_kernarg_preload_offset 0
		.amdhsa_user_sgpr_private_segment_size 0
		.amdhsa_uses_dynamic_stack 0
		.amdhsa_system_sgpr_private_segment_wavefront_offset 0
		.amdhsa_system_sgpr_workgroup_id_x 1
		.amdhsa_system_sgpr_workgroup_id_y 1
		.amdhsa_system_sgpr_workgroup_id_z 0
		.amdhsa_system_sgpr_workgroup_info 0
		.amdhsa_system_vgpr_workitem_id 0
		.amdhsa_next_free_vgpr 35
		.amdhsa_next_free_sgpr 32
		.amdhsa_accum_offset 36
		.amdhsa_reserve_vcc 1
		.amdhsa_reserve_flat_scratch 0
		.amdhsa_float_round_mode_32 0
		.amdhsa_float_round_mode_16_64 0
		.amdhsa_float_denorm_mode_32 3
		.amdhsa_float_denorm_mode_16_64 3
		.amdhsa_dx10_clamp 1
		.amdhsa_ieee_mode 1
		.amdhsa_fp16_overflow 0
		.amdhsa_tg_split 0
		.amdhsa_exception_fp_ieee_invalid_op 0
		.amdhsa_exception_fp_denorm_src 0
		.amdhsa_exception_fp_ieee_div_zero 0
		.amdhsa_exception_fp_ieee_overflow 0
		.amdhsa_exception_fp_ieee_underflow 0
		.amdhsa_exception_fp_ieee_inexact 0
		.amdhsa_exception_int_div_zero 0
	.end_amdhsa_kernel
	.section	.text._ZN5aiter35fused_qk_rmsnorm_group_quant_kernelItN4opus5fp4_tELi256ELi16ELi2ELb0ELb0ELb1ELb0ELb0ELb0EEEvPT0_PvPT_S7_S7_PKS6_S9_S9_S9_S9_ffiiiiiiiiiiiii,"axG",@progbits,_ZN5aiter35fused_qk_rmsnorm_group_quant_kernelItN4opus5fp4_tELi256ELi16ELi2ELb0ELb0ELb1ELb0ELb0ELb0EEEvPT0_PvPT_S7_S7_PKS6_S9_S9_S9_S9_ffiiiiiiiiiiiii,comdat
.Lfunc_end884:
	.size	_ZN5aiter35fused_qk_rmsnorm_group_quant_kernelItN4opus5fp4_tELi256ELi16ELi2ELb0ELb0ELb1ELb0ELb0ELb0EEEvPT0_PvPT_S7_S7_PKS6_S9_S9_S9_S9_ffiiiiiiiiiiiii, .Lfunc_end884-_ZN5aiter35fused_qk_rmsnorm_group_quant_kernelItN4opus5fp4_tELi256ELi16ELi2ELb0ELb0ELb1ELb0ELb0ELb0EEEvPT0_PvPT_S7_S7_PKS6_S9_S9_S9_S9_ffiiiiiiiiiiiii
                                        ; -- End function
	.section	.AMDGPU.csdata,"",@progbits
; Kernel info:
; codeLenInByte = 3256
; NumSgprs: 36
; NumVgprs: 35
; NumAgprs: 0
; TotalNumVgprs: 35
; ScratchSize: 0
; MemoryBound: 0
; FloatMode: 240
; IeeeMode: 1
; LDSByteSize: 32 bytes/workgroup (compile time only)
; SGPRBlocks: 4
; VGPRBlocks: 4
; NumSGPRsForWavesPerEU: 36
; NumVGPRsForWavesPerEU: 35
; AccumOffset: 36
; Occupancy: 8
; WaveLimiterHint : 0
; COMPUTE_PGM_RSRC2:SCRATCH_EN: 0
; COMPUTE_PGM_RSRC2:USER_SGPR: 6
; COMPUTE_PGM_RSRC2:TRAP_HANDLER: 0
; COMPUTE_PGM_RSRC2:TGID_X_EN: 1
; COMPUTE_PGM_RSRC2:TGID_Y_EN: 1
; COMPUTE_PGM_RSRC2:TGID_Z_EN: 0
; COMPUTE_PGM_RSRC2:TIDIG_COMP_CNT: 0
; COMPUTE_PGM_RSRC3_GFX90A:ACCUM_OFFSET: 8
; COMPUTE_PGM_RSRC3_GFX90A:TG_SPLIT: 0
	.section	.text._ZN5aiter35fused_qk_rmsnorm_group_quant_kernelIDF16_DB8_Li256ELi16ELi2ELb0ELb0ELb0ELb0ELb0ELb0EEEvPT0_PvPT_S6_S6_PKS5_S8_S8_S8_S8_ffiiiiiiiiiiiii,"axG",@progbits,_ZN5aiter35fused_qk_rmsnorm_group_quant_kernelIDF16_DB8_Li256ELi16ELi2ELb0ELb0ELb0ELb0ELb0ELb0EEEvPT0_PvPT_S6_S6_PKS5_S8_S8_S8_S8_ffiiiiiiiiiiiii,comdat
	.protected	_ZN5aiter35fused_qk_rmsnorm_group_quant_kernelIDF16_DB8_Li256ELi16ELi2ELb0ELb0ELb0ELb0ELb0ELb0EEEvPT0_PvPT_S6_S6_PKS5_S8_S8_S8_S8_ffiiiiiiiiiiiii ; -- Begin function _ZN5aiter35fused_qk_rmsnorm_group_quant_kernelIDF16_DB8_Li256ELi16ELi2ELb0ELb0ELb0ELb0ELb0ELb0EEEvPT0_PvPT_S6_S6_PKS5_S8_S8_S8_S8_ffiiiiiiiiiiiii
	.globl	_ZN5aiter35fused_qk_rmsnorm_group_quant_kernelIDF16_DB8_Li256ELi16ELi2ELb0ELb0ELb0ELb0ELb0ELb0EEEvPT0_PvPT_S6_S6_PKS5_S8_S8_S8_S8_ffiiiiiiiiiiiii
	.p2align	8
	.type	_ZN5aiter35fused_qk_rmsnorm_group_quant_kernelIDF16_DB8_Li256ELi16ELi2ELb0ELb0ELb0ELb0ELb0ELb0EEEvPT0_PvPT_S6_S6_PKS5_S8_S8_S8_S8_ffiiiiiiiiiiiii,@function
_ZN5aiter35fused_qk_rmsnorm_group_quant_kernelIDF16_DB8_Li256ELi16ELi2ELb0ELb0ELb0ELb0ELb0ELb0EEEvPT0_PvPT_S6_S6_PKS5_S8_S8_S8_S8_ffiiiiiiiiiiiii: ; @_ZN5aiter35fused_qk_rmsnorm_group_quant_kernelIDF16_DB8_Li256ELi16ELi2ELb0ELb0ELb0ELb0ELb0ELb0EEEvPT0_PvPT_S6_S6_PKS5_S8_S8_S8_S8_ffiiiiiiiiiiiii
; %bb.0:
	s_load_dwordx4 s[16:19], s[4:5], 0x50
	s_waitcnt lgkmcnt(0)
	s_cmp_ge_i32 s6, s18
	s_cbranch_scc1 .LBB885_12
; %bb.1:
	s_load_dwordx2 s[12:13], s[4:5], 0x48
	s_load_dwordx2 s[30:31], s[4:5], 0x30
	s_load_dwordx4 s[20:23], s[4:5], 0x60
	s_cmp_lg_u32 s7, 0
	s_cselect_b64 s[14:15], -1, 0
	s_cmp_eq_u32 s7, 0
	s_cselect_b64 vcc, -1, 0
	s_and_b64 s[0:1], vcc, exec
	s_waitcnt lgkmcnt(0)
	s_cselect_b32 s7, s19, s20
	s_add_i32 s0, s7, 1
	s_lshr_b32 s1, s0, 31
	s_add_i32 s0, s0, s1
	s_lshl_b32 s0, s0, 1
	v_lshlrev_b32_e32 v1, 4, v0
	s_and_b32 s10, s0, -4
	v_cmp_gt_i32_e64 s[2:3], s7, v1
	v_mov_b32_e32 v18, 0
	v_mov_b32_e32 v6, 0
	;; [unrolled: 1-line block ×17, first 2 shown]
	s_and_saveexec_b64 s[0:1], s[2:3]
	s_cbranch_execz .LBB885_3
; %bb.2:
	s_load_dwordx2 s[8:9], s[4:5], 0x28
	s_load_dwordx2 s[26:27], s[4:5], 0x40
	s_and_b64 s[24:25], vcc, exec
	s_cselect_b32 s11, s21, s22
	v_lshlrev_b32_e32 v19, 5, v0
	s_waitcnt lgkmcnt(0)
	s_cselect_b32 s18, s9, s31
	s_cselect_b32 s21, s8, s30
	s_mul_hi_i32 s9, s11, s6
	s_mul_i32 s8, s11, s6
	s_lshl_b64 s[8:9], s[8:9], 1
	s_add_u32 s24, s21, s8
	s_addc_u32 s18, s18, s9
	s_and_b64 s[8:9], vcc, exec
	s_mov_b32 s11, 0x20000
	s_cselect_b32 s8, s26, s12
	s_cselect_b32 s9, s27, s13
	s_and_b32 s25, s18, 0xffff
	s_mov_b32 s26, s10
	s_mov_b32 s27, s11
	s_and_b32 s9, s9, 0xffff
	buffer_load_dwordx4 v[14:17], v19, s[24:27], 0 offen
	buffer_load_dwordx4 v[10:13], v19, s[24:27], 16 offen
	buffer_load_dwordx4 v[6:9], v19, s[8:11], 0 offen
	buffer_load_dwordx4 v[2:5], v19, s[8:11], 16 offen
.LBB885_3:
	s_or_b64 exec, exec, s[0:1]
	v_mov_b32_e32 v19, 0
	v_mov_b32_e32 v32, 0
	;; [unrolled: 1-line block ×15, first 2 shown]
	s_and_saveexec_b64 s[0:1], s[2:3]
	s_cbranch_execz .LBB885_5
; %bb.4:
	s_waitcnt vmcnt(3)
	v_cvt_f32_f16_sdwa v19, v14 dst_sel:DWORD dst_unused:UNUSED_PAD src0_sel:WORD_1
	v_cvt_f32_f16_e32 v18, v14
	v_cvt_f32_f16_sdwa v33, v15 dst_sel:DWORD dst_unused:UNUSED_PAD src0_sel:WORD_1
	v_cvt_f32_f16_e32 v32, v15
	;; [unrolled: 2-line block ×4, first 2 shown]
	s_waitcnt vmcnt(2)
	v_cvt_f32_f16_sdwa v31, v10 dst_sel:DWORD dst_unused:UNUSED_PAD src0_sel:WORD_1
	v_cvt_f32_f16_e32 v30, v10
	v_cvt_f32_f16_sdwa v29, v11 dst_sel:DWORD dst_unused:UNUSED_PAD src0_sel:WORD_1
	v_cvt_f32_f16_e32 v28, v11
	;; [unrolled: 2-line block ×4, first 2 shown]
.LBB885_5:
	s_or_b64 exec, exec, s[0:1]
	s_waitcnt vmcnt(2)
	v_mul_f32_e32 v10, v19, v19
	v_fmac_f32_e32 v10, v18, v18
	v_fmac_f32_e32 v10, v32, v32
	;; [unrolled: 1-line block ×15, first 2 shown]
	v_and_b32_e32 v12, 63, v0
	v_cmp_eq_u32_e64 s[0:1], 63, v12
	v_mov_b32_dpp v11, v10 quad_perm:[1,0,3,2] row_mask:0xf bank_mask:0xf
	v_add_f32_e32 v10, v10, v11
	s_nop 1
	v_mov_b32_dpp v11, v10 quad_perm:[2,3,0,1] row_mask:0xf bank_mask:0xf
	v_add_f32_e32 v10, v10, v11
	s_nop 1
	v_mov_b32_dpp v11, v10 row_half_mirror row_mask:0xf bank_mask:0xf
	v_add_f32_e32 v10, v10, v11
	s_nop 1
	v_mov_b32_dpp v11, v10 row_mirror row_mask:0xf bank_mask:0xf
	v_add_f32_e32 v10, v10, v11
	s_nop 1
	v_mov_b32_dpp v11, v10 row_bcast:15 row_mask:0xf bank_mask:0xf
	v_add_f32_e32 v10, v10, v11
	s_nop 1
	v_mov_b32_dpp v11, v10 row_bcast:31 row_mask:0xf bank_mask:0xf
	s_and_saveexec_b64 s[8:9], s[0:1]
	s_cbranch_execz .LBB885_7
; %bb.6:
	v_add_f32_e32 v10, v10, v11
	v_lshrrev_b32_e32 v11, 4, v0
	v_and_b32_e32 v11, 60, v11
	ds_write_b32 v11, v10 offset:16
.LBB885_7:
	s_or_b64 exec, exec, s[8:9]
	v_and_b32_e32 v10, 3, v0
	v_lshlrev_b32_e32 v34, 2, v10
	s_waitcnt lgkmcnt(0)
	s_barrier
	ds_read_b32 v10, v34 offset:16
	s_load_dwordx2 s[28:29], s[4:5], 0x18
	s_waitcnt lgkmcnt(0)
	v_mov_b32_dpp v11, v10 quad_perm:[1,0,3,2] row_mask:0xf bank_mask:0xf
	v_add_f32_e32 v10, v10, v11
	s_nop 1
	v_mov_b32_dpp v11, v10 quad_perm:[2,3,0,1] row_mask:0xf bank_mask:0xf
	s_and_saveexec_b64 s[8:9], s[2:3]
	s_cbranch_execz .LBB885_9
; %bb.8:
	v_cvt_f32_u32_e32 v12, s7
	v_add_f32_e32 v10, v10, v11
	v_mov_b32_e32 v14, s17
	v_mov_b32_e32 v15, s16
	v_div_scale_f32 v11, s[24:25], v12, v12, v10
	v_rcp_f32_e32 v13, v11
	v_cndmask_b32_e32 v14, v14, v15, vcc
	s_mov_b32 s7, 0x800000
	s_waitcnt vmcnt(1)
	v_cvt_f32_f16_sdwa v37, v9 dst_sel:DWORD dst_unused:UNUSED_PAD src0_sel:WORD_1
	v_fma_f32 v15, -v11, v13, 1.0
	v_fmac_f32_e32 v13, v15, v13
	v_div_scale_f32 v15, vcc, v10, v12, v10
	v_mul_f32_e32 v16, v15, v13
	v_fma_f32 v17, -v11, v16, v15
	v_fmac_f32_e32 v16, v17, v13
	v_fma_f32 v11, -v11, v16, v15
	v_div_fmas_f32 v11, v11, v13, v16
	v_div_fixup_f32 v10, v11, v12, v10
	v_add_f32_e32 v10, v14, v10
	v_mul_f32_e32 v11, 0x4b800000, v10
	v_cmp_gt_f32_e32 vcc, s7, v10
	v_cndmask_b32_e32 v10, v10, v11, vcc
	v_rsq_f32_e32 v10, v10
	v_cvt_f32_f16_e32 v36, v9
	s_waitcnt vmcnt(0)
	v_cvt_f32_f16_sdwa v9, v3 dst_sel:DWORD dst_unused:UNUSED_PAD src0_sel:WORD_1
	v_mul_f32_e32 v11, 0x45800000, v10
	v_cndmask_b32_e32 v10, v10, v11, vcc
	v_mov_b32_e32 v11, v10
	;;#ASMSTART
	v_pk_mul_f32 v[12:13], v[18:19], v[10:11]
	;;#ASMEND
	;;#ASMSTART
	v_pk_mul_f32 v[14:15], v[32:33], v[10:11]
	;;#ASMEND
	;; [unrolled: 3-line block ×8, first 2 shown]
	v_cvt_f32_f16_sdwa v19, v6 dst_sel:DWORD dst_unused:UNUSED_PAD src0_sel:WORD_1
	v_cvt_f32_f16_e32 v18, v6
	v_cvt_f32_f16_sdwa v21, v7 dst_sel:DWORD dst_unused:UNUSED_PAD src0_sel:WORD_1
	v_cvt_f32_f16_e32 v20, v7
	;; [unrolled: 2-line block ×3, first 2 shown]
	;;#ASMSTART
	v_pk_mul_f32 v[18:19], v[12:13], v[18:19]
	;;#ASMEND
	;;#ASMSTART
	v_pk_mul_f32 v[32:33], v[14:15], v[20:21]
	;;#ASMEND
	;; [unrolled: 3-line block ×4, first 2 shown]
	v_cvt_f32_f16_sdwa v7, v2 dst_sel:DWORD dst_unused:UNUSED_PAD src0_sel:WORD_1
	v_cvt_f32_f16_e32 v6, v2
	v_cvt_f32_f16_e32 v8, v3
	v_cvt_f32_f16_sdwa v3, v4 dst_sel:DWORD dst_unused:UNUSED_PAD src0_sel:WORD_1
	v_cvt_f32_f16_e32 v2, v4
	v_cvt_f32_f16_sdwa v13, v5 dst_sel:DWORD dst_unused:UNUSED_PAD src0_sel:WORD_1
	v_cvt_f32_f16_e32 v12, v5
	;;#ASMSTART
	v_pk_mul_f32 v[30:31], v[30:31], v[6:7]
	;;#ASMEND
	;;#ASMSTART
	v_pk_mul_f32 v[28:29], v[28:29], v[8:9]
	;;#ASMEND
	;; [unrolled: 3-line block ×4, first 2 shown]
.LBB885_9:
	s_or_b64 exec, exec, s[8:9]
	s_load_dword s7, s[4:5], 0x80
	s_mov_b64 s[8:9], -1
	s_and_b64 vcc, exec, s[14:15]
	s_cbranch_vccnz .LBB885_13
; %bb.10:
	s_andn2_b64 vcc, exec, s[8:9]
	s_cbranch_vccz .LBB885_16
.LBB885_11:
	s_cmp_lt_i32 s20, 1
	s_cbranch_scc0 .LBB885_23
.LBB885_12:
	s_endpgm
.LBB885_13:
	s_and_saveexec_b64 s[14:15], s[2:3]
	s_cbranch_execz .LBB885_15
; %bb.14:
	s_waitcnt lgkmcnt(0)
	s_mul_hi_i32 s9, s7, s6
	s_mul_i32 s8, s7, s6
	s_waitcnt vmcnt(0)
	v_cvt_f16_f32_e32 v2, v18
	v_cvt_f16_f32_e32 v3, v32
	;; [unrolled: 1-line block ×8, first 2 shown]
	s_lshl_b64 s[8:9], s[8:9], 1
	s_add_u32 s8, s28, s8
	s_addc_u32 s9, s29, s9
	s_and_b32 s9, s9, 0xffff
	s_mov_b32 s11, 0x20000
	v_pack_b32_f16 v5, v5, v6
	v_pack_b32_f16 v4, v4, v7
	;; [unrolled: 1-line block ×4, first 2 shown]
	v_lshlrev_b32_e32 v6, 5, v0
	buffer_store_dwordx4 v[2:5], v6, s[8:11], 0 offen
	v_cvt_f16_f32_e32 v7, v21
	v_cvt_f16_f32_e32 v2, v30
	;; [unrolled: 1-line block ×8, first 2 shown]
	v_pack_b32_f16 v5, v5, v7
	v_pack_b32_f16 v4, v4, v8
	;; [unrolled: 1-line block ×4, first 2 shown]
	;;#ASMSTART
	s_nop 0
	;;#ASMEND
	buffer_store_dwordx4 v[2:5], v6, s[8:11], 16 offen
	;;#ASMSTART
	s_nop 0
	;;#ASMEND
.LBB885_15:
	s_or_b64 exec, exec, s[14:15]
	s_cbranch_execnz .LBB885_11
.LBB885_16:
	s_waitcnt vmcnt(0)
	v_mov_b32_e32 v2, 0
	s_and_saveexec_b64 s[8:9], s[2:3]
	s_cbranch_execz .LBB885_18
; %bb.17:
	v_and_b32_e32 v2, 0x7fffffff, v18
	v_and_b32_e32 v3, 0x7fffffff, v19
	v_mov_b32_e32 v4, 0x2edbe6ff
	;;#ASMSTART
	v_max3_f32 v2, v4, v2, v3

	;;#ASMEND
	v_and_b32_e32 v3, 0x7fffffff, v32
	v_and_b32_e32 v4, 0x7fffffff, v33
	;;#ASMSTART
	v_max3_f32 v2, v2, v3, v4

	;;#ASMEND
	v_and_b32_e32 v3, 0x7fffffff, v26
	v_and_b32_e32 v4, 0x7fffffff, v27
	;; [unrolled: 6-line block ×7, first 2 shown]
	;;#ASMSTART
	v_max3_f32 v2, v2, v3, v4

	;;#ASMEND
.LBB885_18:
	s_or_b64 exec, exec, s[8:9]
	s_load_dwordx4 s[24:27], s[4:5], 0x70
	;;#ASMSTART
	v_max_f32 v3, v2, v2 quad_perm:[1,0,3,2] row_mask:0xf bank_mask:0xf bound_ctrl:1
	;;#ASMEND
	v_mul_f32_e32 v2, 0x3b124925, v3
	v_and_b32_e32 v3, 1, v0
	v_cmp_eq_u32_e32 vcc, 0, v3
	v_cmp_gt_i32_e64 s[8:9], s19, v1
	s_and_b64 s[10:11], vcc, s[8:9]
	s_and_saveexec_b64 s[8:9], s[10:11]
	s_cbranch_execz .LBB885_20
; %bb.19:
	s_load_dwordx2 s[10:11], s[4:5], 0x8
	s_waitcnt lgkmcnt(0)
	s_mul_hi_i32 s15, s25, s6
	s_mul_i32 s14, s25, s6
	v_lshrrev_b32_e32 v3, 1, v0
	s_lshl_b64 s[14:15], s[14:15], 2
	v_mad_i64_i32 v[4:5], s[26:27], s26, v3, 0
	s_add_u32 s10, s10, s14
	s_addc_u32 s11, s11, s15
	v_lshlrev_b64 v[4:5], 2, v[4:5]
	v_mov_b32_e32 v3, s11
	v_add_co_u32_e32 v4, vcc, s10, v4
	v_addc_co_u32_e32 v5, vcc, v3, v5, vcc
	global_store_dword v[4:5], v2, off
.LBB885_20:
	s_or_b64 exec, exec, s[8:9]
	;;#ASMSTART
	v_rcp_f32 v2, v2
	;;#ASMEND
	s_and_saveexec_b64 s[14:15], s[2:3]
	s_cbranch_execz .LBB885_22
; %bb.21:
	s_load_dwordx2 s[2:3], s[4:5], 0x0
	s_waitcnt lgkmcnt(0)
	s_mul_i32 s8, s24, s6
	s_mul_hi_i32 s9, s24, s6
	v_mov_b32_e32 v3, v2
	;;#ASMSTART
	v_pk_mul_f32 v[4:5], v[18:19], v[2:3]
	;;#ASMEND
	s_add_u32 s8, s2, s8
	s_addc_u32 s2, s3, s9
	s_add_i32 s3, s19, 3
	s_ashr_i32 s10, s3, 31
	v_mov_b32_e32 v10, 0xc3e00000
	v_mov_b32_e32 v11, 0x43e00000
	;;#ASMSTART
	v_med3_f32 v4, v4, v10, v11
v_med3_f32 v5, v5, v10, v11
v_cvt_pk_fp8_f32 v6, v4, v5
	;;#ASMEND
	s_and_b32 s9, s2, 0xffff
	s_lshr_b32 s2, s10, 30
	;;#ASMSTART
	v_pk_mul_f32 v[4:5], v[32:33], v[2:3]
	;;#ASMEND
	s_add_i32 s3, s3, s2
	;;#ASMSTART
	v_med3_f32 v4, v4, v10, v11
v_med3_f32 v5, v5, v10, v11
v_cvt_pk_fp8_f32 v7, v4, v5
	;;#ASMEND
	s_mov_b32 s2, 0x5040100
	v_perm_b32 v4, v7, v6, s2
	s_mov_b32 s2, 0x1060504
	v_perm_b32 v4, v4, v7, s2
	;;#ASMSTART
	v_pk_mul_f32 v[6:7], v[26:27], v[2:3]
	;;#ASMEND
	v_mov_b32_e32 v5, v6
	;;#ASMSTART
	v_med3_f32 v5, v5, v10, v11
v_med3_f32 v7, v7, v10, v11
v_cvt_pk_fp8_f32 v8, v5, v7
	;;#ASMEND
	;;#ASMSTART
	v_pk_mul_f32 v[6:7], v[24:25], v[2:3]
	;;#ASMEND
	v_mov_b32_e32 v5, v7
	;;#ASMSTART
	v_med3_f32 v6, v6, v10, v11
v_med3_f32 v5, v5, v10, v11
v_cvt_pk_fp8_f32 v7, v6, v5
	;;#ASMEND
	s_mov_b32 s2, 0x1000504
	v_perm_b32 v5, v8, v7, s2
	;;#ASMSTART
	v_pk_mul_f32 v[6:7], v[30:31], v[2:3]
	;;#ASMEND
	;;#ASMSTART
	v_med3_f32 v6, v6, v10, v11
v_med3_f32 v7, v7, v10, v11
v_cvt_pk_fp8_f32 v8, v6, v7
	;;#ASMEND
	;;#ASMSTART
	v_pk_mul_f32 v[6:7], v[28:29], v[2:3]
	;;#ASMEND
	;;#ASMSTART
	v_med3_f32 v6, v6, v10, v11
v_med3_f32 v7, v7, v10, v11
v_cvt_pk_fp8_f32 v9, v6, v7
	;;#ASMEND
	v_perm_b32 v6, v8, v9, s2
	;;#ASMSTART
	v_pk_mul_f32 v[8:9], v[22:23], v[2:3]
	;;#ASMEND
	v_mov_b32_e32 v7, v8
	;;#ASMSTART
	v_med3_f32 v7, v7, v10, v11
v_med3_f32 v9, v9, v10, v11
v_cvt_pk_fp8_f32 v8, v7, v9
	;;#ASMEND
	;;#ASMSTART
	v_pk_mul_f32 v[2:3], v[20:21], v[2:3]
	;;#ASMEND
	;;#ASMSTART
	v_med3_f32 v2, v2, v10, v11
v_med3_f32 v3, v3, v10, v11
v_cvt_pk_fp8_f32 v7, v2, v3
	;;#ASMEND
	s_and_b32 s10, s3, -4
	s_mov_b32 s11, 0x20000
	v_perm_b32 v7, v8, v7, s2
	buffer_store_dwordx4 v[4:7], v1, s[8:11], 0 offen
	;;#ASMSTART
	s_nop 0
	;;#ASMEND
.LBB885_22:
	s_or_b64 exec, exec, s[14:15]
	s_cmp_lt_i32 s20, 1
	s_cbranch_scc1 .LBB885_12
.LBB885_23:
	s_load_dword s2, s[4:5], 0x94
	s_waitcnt lgkmcnt(0)
	s_cmp_lg_u32 s2, 1
	s_cbranch_scc1 .LBB885_12
; %bb.24:
	s_lshl_b32 s2, s20, 1
	s_add_i32 s2, s2, 2
	v_cmp_gt_u32_e32 vcc, s20, v1
	s_and_b32 s14, s2, -4
	v_mov_b32_e32 v18, 0
	v_lshlrev_b32_e32 v1, 5, v0
	v_mov_b32_e32 v14, 0
	v_mov_b32_e32 v15, 0
	;; [unrolled: 1-line block ×8, first 2 shown]
	s_waitcnt vmcnt(1)
	v_mov_b32_e32 v6, 0
	v_mov_b32_e32 v7, 0
	;; [unrolled: 1-line block ×4, first 2 shown]
	s_waitcnt vmcnt(0)
	v_mov_b32_e32 v2, 0
	v_mov_b32_e32 v3, 0
	;; [unrolled: 1-line block ×4, first 2 shown]
	s_barrier
	s_and_saveexec_b64 s[2:3], vcc
	s_cbranch_execz .LBB885_26
; %bb.25:
	s_mul_hi_i32 s5, s22, s6
	s_mul_i32 s4, s22, s6
	s_and_b32 s13, s13, 0xffff
	s_lshl_b64 s[4:5], s[4:5], 1
	s_add_u32 s8, s30, s4
	s_mov_b32 s15, 0x20000
	s_addc_u32 s4, s31, s5
	s_and_b32 s9, s4, 0xffff
	s_mov_b32 s10, s14
	s_mov_b32 s11, s15
	buffer_load_dwordx4 v[14:17], v1, s[8:11], 0 offen
	buffer_load_dwordx4 v[10:13], v1, s[8:11], 16 offen
	;; [unrolled: 1-line block ×4, first 2 shown]
.LBB885_26:
	s_or_b64 exec, exec, s[2:3]
	v_mov_b32_e32 v19, 0
	v_mov_b32_e32 v32, 0
	;; [unrolled: 1-line block ×15, first 2 shown]
	s_and_saveexec_b64 s[2:3], vcc
	s_cbranch_execz .LBB885_28
; %bb.27:
	s_waitcnt vmcnt(3)
	v_cvt_f32_f16_sdwa v19, v14 dst_sel:DWORD dst_unused:UNUSED_PAD src0_sel:WORD_1
	v_cvt_f32_f16_e32 v18, v14
	v_cvt_f32_f16_sdwa v33, v15 dst_sel:DWORD dst_unused:UNUSED_PAD src0_sel:WORD_1
	v_cvt_f32_f16_e32 v32, v15
	;; [unrolled: 2-line block ×4, first 2 shown]
	s_waitcnt vmcnt(2)
	v_cvt_f32_f16_sdwa v27, v10 dst_sel:DWORD dst_unused:UNUSED_PAD src0_sel:WORD_1
	v_cvt_f32_f16_e32 v26, v10
	v_cvt_f32_f16_sdwa v25, v11 dst_sel:DWORD dst_unused:UNUSED_PAD src0_sel:WORD_1
	v_cvt_f32_f16_e32 v24, v11
	;; [unrolled: 2-line block ×4, first 2 shown]
.LBB885_28:
	s_or_b64 exec, exec, s[2:3]
	s_waitcnt vmcnt(2)
	v_mul_f32_e32 v10, v19, v19
	v_fmac_f32_e32 v10, v18, v18
	v_fmac_f32_e32 v10, v32, v32
	v_fmac_f32_e32 v10, v33, v33
	v_fmac_f32_e32 v10, v30, v30
	v_fmac_f32_e32 v10, v31, v31
	v_fmac_f32_e32 v10, v28, v28
	v_fmac_f32_e32 v10, v29, v29
	v_fmac_f32_e32 v10, v26, v26
	v_fmac_f32_e32 v10, v27, v27
	v_fmac_f32_e32 v10, v24, v24
	v_fmac_f32_e32 v10, v25, v25
	v_fmac_f32_e32 v10, v22, v22
	v_fmac_f32_e32 v10, v23, v23
	v_fmac_f32_e32 v10, v20, v20
	v_fmac_f32_e32 v10, v21, v21
	s_nop 1
	v_mov_b32_dpp v11, v10 quad_perm:[1,0,3,2] row_mask:0xf bank_mask:0xf
	v_add_f32_e32 v10, v10, v11
	s_nop 1
	v_mov_b32_dpp v11, v10 quad_perm:[2,3,0,1] row_mask:0xf bank_mask:0xf
	v_add_f32_e32 v10, v10, v11
	s_nop 1
	v_mov_b32_dpp v11, v10 row_half_mirror row_mask:0xf bank_mask:0xf
	v_add_f32_e32 v10, v10, v11
	s_nop 1
	v_mov_b32_dpp v11, v10 row_mirror row_mask:0xf bank_mask:0xf
	v_add_f32_e32 v10, v10, v11
	s_nop 1
	v_mov_b32_dpp v11, v10 row_bcast:15 row_mask:0xf bank_mask:0xf
	v_add_f32_e32 v10, v10, v11
	s_nop 1
	v_mov_b32_dpp v11, v10 row_bcast:31 row_mask:0xf bank_mask:0xf
	s_and_saveexec_b64 s[2:3], s[0:1]
	s_cbranch_execz .LBB885_30
; %bb.29:
	v_lshrrev_b32_e32 v0, 4, v0
	v_add_f32_e32 v10, v10, v11
	v_and_b32_e32 v0, 60, v0
	ds_write_b32 v0, v10
.LBB885_30:
	s_or_b64 exec, exec, s[2:3]
	s_waitcnt lgkmcnt(0)
	s_barrier
	ds_read_b32 v0, v34
	s_waitcnt lgkmcnt(0)
	s_nop 0
	v_mov_b32_dpp v10, v0 quad_perm:[1,0,3,2] row_mask:0xf bank_mask:0xf
	v_add_f32_e32 v0, v0, v10
	s_nop 1
	v_mov_b32_dpp v10, v0 quad_perm:[2,3,0,1] row_mask:0xf bank_mask:0xf
	s_and_saveexec_b64 s[0:1], vcc
	s_cbranch_execz .LBB885_12
; %bb.31:
	v_cvt_f32_u32_e32 v11, s20
	v_add_f32_e32 v0, v0, v10
	s_mov_b32 s15, 0x20000
	v_div_scale_f32 v10, s[0:1], v11, v11, v0
	v_rcp_f32_e32 v12, v10
	v_div_scale_f32 v13, vcc, v0, v11, v0
	s_mov_b32 s0, 0x800000
	v_fma_f32 v14, -v10, v12, 1.0
	v_fmac_f32_e32 v12, v14, v12
	v_mul_f32_e32 v14, v13, v12
	v_fma_f32 v15, -v10, v14, v13
	v_fmac_f32_e32 v14, v15, v12
	v_fma_f32 v10, -v10, v14, v13
	v_div_fmas_f32 v10, v10, v12, v14
	v_div_fixup_f32 v0, v10, v11, v0
	v_add_f32_e32 v0, s17, v0
	v_mul_f32_e32 v10, 0x4b800000, v0
	v_cmp_gt_f32_e32 vcc, s0, v0
	v_cndmask_b32_e32 v0, v0, v10, vcc
	v_rsq_f32_e32 v0, v0
	s_mul_hi_i32 s1, s7, s6
	s_mul_i32 s0, s7, s6
	s_lshl_b64 s[0:1], s[0:1], 1
	v_mul_f32_e32 v10, 0x45800000, v0
	v_cndmask_b32_e32 v10, v0, v10, vcc
	v_mov_b32_e32 v11, v10
	;;#ASMSTART
	v_pk_mul_f32 v[12:13], v[18:19], v[10:11]
	;;#ASMEND
	;;#ASMSTART
	v_pk_mul_f32 v[14:15], v[32:33], v[10:11]
	;;#ASMEND
	;; [unrolled: 3-line block ×8, first 2 shown]
	s_waitcnt vmcnt(1)
	v_cvt_f32_f16_sdwa v21, v6 dst_sel:DWORD dst_unused:UNUSED_PAD src0_sel:WORD_1
	v_cvt_f32_f16_e32 v20, v6
	v_cvt_f32_f16_sdwa v29, v7 dst_sel:DWORD dst_unused:UNUSED_PAD src0_sel:WORD_1
	v_cvt_f32_f16_e32 v28, v7
	;; [unrolled: 2-line block ×4, first 2 shown]
	;;#ASMSTART
	v_pk_mul_f32 v[8:9], v[12:13], v[20:21]
	;;#ASMEND
	;;#ASMSTART
	v_pk_mul_f32 v[12:13], v[14:15], v[28:29]
	;;#ASMEND
	;; [unrolled: 3-line block ×4, first 2 shown]
	s_waitcnt vmcnt(0)
	v_cvt_f32_f16_sdwa v17, v2 dst_sel:DWORD dst_unused:UNUSED_PAD src0_sel:WORD_1
	v_cvt_f32_f16_e32 v16, v2
	v_cvt_f32_f16_sdwa v19, v3 dst_sel:DWORD dst_unused:UNUSED_PAD src0_sel:WORD_1
	v_cvt_f32_f16_e32 v18, v3
	v_cvt_f32_f16_sdwa v3, v4 dst_sel:DWORD dst_unused:UNUSED_PAD src0_sel:WORD_1
	v_cvt_f32_f16_e32 v2, v4
	v_cvt_f32_f16_sdwa v21, v5 dst_sel:DWORD dst_unused:UNUSED_PAD src0_sel:WORD_1
	v_cvt_f32_f16_e32 v20, v5
	;;#ASMSTART
	v_pk_mul_f32 v[16:17], v[26:27], v[16:17]
	;;#ASMEND
	;;#ASMSTART
	v_pk_mul_f32 v[18:19], v[24:25], v[18:19]
	;;#ASMEND
	;; [unrolled: 3-line block ×3, first 2 shown]
	v_cvt_f16_f32_e32 v0, v8
	v_cvt_f16_f32_e32 v2, v9
	;; [unrolled: 1-line block ×8, first 2 shown]
	s_add_u32 s12, s28, s0
	s_addc_u32 s0, s29, s1
	s_and_b32 s13, s0, 0xffff
	v_pack_b32_f16 v2, v0, v2
	v_pack_b32_f16 v3, v3, v4
	;; [unrolled: 1-line block ×4, first 2 shown]
	;;#ASMSTART
	v_pk_mul_f32 v[10:11], v[10:11], v[20:21]
	;;#ASMEND
	buffer_store_dwordx4 v[2:5], v1, s[12:15], 0 offen
	v_cvt_f16_f32_e32 v0, v16
	v_cvt_f16_f32_e32 v2, v17
	;; [unrolled: 1-line block ×8, first 2 shown]
	v_pack_b32_f16 v2, v0, v2
	v_pack_b32_f16 v3, v3, v4
	;; [unrolled: 1-line block ×4, first 2 shown]
	;;#ASMSTART
	s_nop 0
	;;#ASMEND
	buffer_store_dwordx4 v[2:5], v1, s[12:15], 16 offen
	;;#ASMSTART
	s_nop 0
	;;#ASMEND
	s_endpgm
	.section	.rodata,"a",@progbits
	.p2align	6, 0x0
	.amdhsa_kernel _ZN5aiter35fused_qk_rmsnorm_group_quant_kernelIDF16_DB8_Li256ELi16ELi2ELb0ELb0ELb0ELb0ELb0ELb0EEEvPT0_PvPT_S6_S6_PKS5_S8_S8_S8_S8_ffiiiiiiiiiiiii
		.amdhsa_group_segment_fixed_size 32
		.amdhsa_private_segment_fixed_size 0
		.amdhsa_kernarg_size 400
		.amdhsa_user_sgpr_count 6
		.amdhsa_user_sgpr_private_segment_buffer 1
		.amdhsa_user_sgpr_dispatch_ptr 0
		.amdhsa_user_sgpr_queue_ptr 0
		.amdhsa_user_sgpr_kernarg_segment_ptr 1
		.amdhsa_user_sgpr_dispatch_id 0
		.amdhsa_user_sgpr_flat_scratch_init 0
		.amdhsa_user_sgpr_kernarg_preload_length 0
		.amdhsa_user_sgpr_kernarg_preload_offset 0
		.amdhsa_user_sgpr_private_segment_size 0
		.amdhsa_uses_dynamic_stack 0
		.amdhsa_system_sgpr_private_segment_wavefront_offset 0
		.amdhsa_system_sgpr_workgroup_id_x 1
		.amdhsa_system_sgpr_workgroup_id_y 1
		.amdhsa_system_sgpr_workgroup_id_z 0
		.amdhsa_system_sgpr_workgroup_info 0
		.amdhsa_system_vgpr_workitem_id 0
		.amdhsa_next_free_vgpr 38
		.amdhsa_next_free_sgpr 32
		.amdhsa_accum_offset 40
		.amdhsa_reserve_vcc 1
		.amdhsa_reserve_flat_scratch 0
		.amdhsa_float_round_mode_32 0
		.amdhsa_float_round_mode_16_64 0
		.amdhsa_float_denorm_mode_32 3
		.amdhsa_float_denorm_mode_16_64 3
		.amdhsa_dx10_clamp 1
		.amdhsa_ieee_mode 1
		.amdhsa_fp16_overflow 0
		.amdhsa_tg_split 0
		.amdhsa_exception_fp_ieee_invalid_op 0
		.amdhsa_exception_fp_denorm_src 0
		.amdhsa_exception_fp_ieee_div_zero 0
		.amdhsa_exception_fp_ieee_overflow 0
		.amdhsa_exception_fp_ieee_underflow 0
		.amdhsa_exception_fp_ieee_inexact 0
		.amdhsa_exception_int_div_zero 0
	.end_amdhsa_kernel
	.section	.text._ZN5aiter35fused_qk_rmsnorm_group_quant_kernelIDF16_DB8_Li256ELi16ELi2ELb0ELb0ELb0ELb0ELb0ELb0EEEvPT0_PvPT_S6_S6_PKS5_S8_S8_S8_S8_ffiiiiiiiiiiiii,"axG",@progbits,_ZN5aiter35fused_qk_rmsnorm_group_quant_kernelIDF16_DB8_Li256ELi16ELi2ELb0ELb0ELb0ELb0ELb0ELb0EEEvPT0_PvPT_S6_S6_PKS5_S8_S8_S8_S8_ffiiiiiiiiiiiii,comdat
.Lfunc_end885:
	.size	_ZN5aiter35fused_qk_rmsnorm_group_quant_kernelIDF16_DB8_Li256ELi16ELi2ELb0ELb0ELb0ELb0ELb0ELb0EEEvPT0_PvPT_S6_S6_PKS5_S8_S8_S8_S8_ffiiiiiiiiiiiii, .Lfunc_end885-_ZN5aiter35fused_qk_rmsnorm_group_quant_kernelIDF16_DB8_Li256ELi16ELi2ELb0ELb0ELb0ELb0ELb0ELb0EEEvPT0_PvPT_S6_S6_PKS5_S8_S8_S8_S8_ffiiiiiiiiiiiii
                                        ; -- End function
	.section	.AMDGPU.csdata,"",@progbits
; Kernel info:
; codeLenInByte = 3412
; NumSgprs: 36
; NumVgprs: 38
; NumAgprs: 0
; TotalNumVgprs: 38
; ScratchSize: 0
; MemoryBound: 0
; FloatMode: 240
; IeeeMode: 1
; LDSByteSize: 32 bytes/workgroup (compile time only)
; SGPRBlocks: 4
; VGPRBlocks: 4
; NumSGPRsForWavesPerEU: 36
; NumVGPRsForWavesPerEU: 38
; AccumOffset: 40
; Occupancy: 8
; WaveLimiterHint : 0
; COMPUTE_PGM_RSRC2:SCRATCH_EN: 0
; COMPUTE_PGM_RSRC2:USER_SGPR: 6
; COMPUTE_PGM_RSRC2:TRAP_HANDLER: 0
; COMPUTE_PGM_RSRC2:TGID_X_EN: 1
; COMPUTE_PGM_RSRC2:TGID_Y_EN: 1
; COMPUTE_PGM_RSRC2:TGID_Z_EN: 0
; COMPUTE_PGM_RSRC2:TIDIG_COMP_CNT: 0
; COMPUTE_PGM_RSRC3_GFX90A:ACCUM_OFFSET: 9
; COMPUTE_PGM_RSRC3_GFX90A:TG_SPLIT: 0
	.section	.text._ZN5aiter35fused_qk_rmsnorm_group_quant_kernelItDB8_Li256ELi16ELi2ELb0ELb0ELb0ELb0ELb0ELb0EEEvPT0_PvPT_S6_S6_PKS5_S8_S8_S8_S8_ffiiiiiiiiiiiii,"axG",@progbits,_ZN5aiter35fused_qk_rmsnorm_group_quant_kernelItDB8_Li256ELi16ELi2ELb0ELb0ELb0ELb0ELb0ELb0EEEvPT0_PvPT_S6_S6_PKS5_S8_S8_S8_S8_ffiiiiiiiiiiiii,comdat
	.protected	_ZN5aiter35fused_qk_rmsnorm_group_quant_kernelItDB8_Li256ELi16ELi2ELb0ELb0ELb0ELb0ELb0ELb0EEEvPT0_PvPT_S6_S6_PKS5_S8_S8_S8_S8_ffiiiiiiiiiiiii ; -- Begin function _ZN5aiter35fused_qk_rmsnorm_group_quant_kernelItDB8_Li256ELi16ELi2ELb0ELb0ELb0ELb0ELb0ELb0EEEvPT0_PvPT_S6_S6_PKS5_S8_S8_S8_S8_ffiiiiiiiiiiiii
	.globl	_ZN5aiter35fused_qk_rmsnorm_group_quant_kernelItDB8_Li256ELi16ELi2ELb0ELb0ELb0ELb0ELb0ELb0EEEvPT0_PvPT_S6_S6_PKS5_S8_S8_S8_S8_ffiiiiiiiiiiiii
	.p2align	8
	.type	_ZN5aiter35fused_qk_rmsnorm_group_quant_kernelItDB8_Li256ELi16ELi2ELb0ELb0ELb0ELb0ELb0ELb0EEEvPT0_PvPT_S6_S6_PKS5_S8_S8_S8_S8_ffiiiiiiiiiiiii,@function
_ZN5aiter35fused_qk_rmsnorm_group_quant_kernelItDB8_Li256ELi16ELi2ELb0ELb0ELb0ELb0ELb0ELb0EEEvPT0_PvPT_S6_S6_PKS5_S8_S8_S8_S8_ffiiiiiiiiiiiii: ; @_ZN5aiter35fused_qk_rmsnorm_group_quant_kernelItDB8_Li256ELi16ELi2ELb0ELb0ELb0ELb0ELb0ELb0EEEvPT0_PvPT_S6_S6_PKS5_S8_S8_S8_S8_ffiiiiiiiiiiiii
; %bb.0:
	s_load_dwordx4 s[16:19], s[4:5], 0x50
	s_waitcnt lgkmcnt(0)
	s_cmp_ge_i32 s6, s18
	s_cbranch_scc1 .LBB886_12
; %bb.1:
	s_load_dwordx2 s[12:13], s[4:5], 0x48
	s_load_dwordx2 s[30:31], s[4:5], 0x30
	s_load_dwordx4 s[20:23], s[4:5], 0x60
	s_cmp_lg_u32 s7, 0
	s_cselect_b64 s[14:15], -1, 0
	s_cmp_eq_u32 s7, 0
	s_cselect_b64 vcc, -1, 0
	s_and_b64 s[0:1], vcc, exec
	s_waitcnt lgkmcnt(0)
	s_cselect_b32 s7, s19, s20
	s_add_i32 s0, s7, 1
	s_lshr_b32 s1, s0, 31
	s_add_i32 s0, s0, s1
	s_lshl_b32 s0, s0, 1
	v_lshlrev_b32_e32 v1, 4, v0
	s_and_b32 s10, s0, -4
	v_cmp_gt_i32_e64 s[2:3], s7, v1
	v_mov_b32_e32 v18, 0
	v_mov_b32_e32 v6, 0
	;; [unrolled: 1-line block ×17, first 2 shown]
	s_and_saveexec_b64 s[0:1], s[2:3]
	s_cbranch_execz .LBB886_3
; %bb.2:
	s_load_dwordx2 s[8:9], s[4:5], 0x28
	s_load_dwordx2 s[26:27], s[4:5], 0x40
	s_and_b64 s[24:25], vcc, exec
	s_cselect_b32 s11, s21, s22
	v_lshlrev_b32_e32 v19, 5, v0
	s_waitcnt lgkmcnt(0)
	s_cselect_b32 s18, s9, s31
	s_cselect_b32 s21, s8, s30
	s_mul_hi_i32 s9, s11, s6
	s_mul_i32 s8, s11, s6
	s_lshl_b64 s[8:9], s[8:9], 1
	s_add_u32 s24, s21, s8
	s_addc_u32 s18, s18, s9
	s_and_b64 s[8:9], vcc, exec
	s_mov_b32 s11, 0x20000
	s_cselect_b32 s8, s26, s12
	s_cselect_b32 s9, s27, s13
	s_and_b32 s25, s18, 0xffff
	s_mov_b32 s26, s10
	s_mov_b32 s27, s11
	s_and_b32 s9, s9, 0xffff
	buffer_load_dwordx4 v[14:17], v19, s[24:27], 0 offen
	buffer_load_dwordx4 v[10:13], v19, s[24:27], 16 offen
	;; [unrolled: 1-line block ×4, first 2 shown]
.LBB886_3:
	s_or_b64 exec, exec, s[0:1]
	v_mov_b32_e32 v19, 0
	v_mov_b32_e32 v32, 0
	v_mov_b32_e32 v33, 0
	v_mov_b32_e32 v26, 0
	v_mov_b32_e32 v27, 0
	v_mov_b32_e32 v24, 0
	v_mov_b32_e32 v25, 0
	v_mov_b32_e32 v30, 0
	v_mov_b32_e32 v31, 0
	v_mov_b32_e32 v28, 0
	v_mov_b32_e32 v29, 0
	v_mov_b32_e32 v22, 0
	v_mov_b32_e32 v23, 0
	v_mov_b32_e32 v20, 0
	v_mov_b32_e32 v21, 0
	s_and_saveexec_b64 s[0:1], s[2:3]
	s_cbranch_execz .LBB886_5
; %bb.4:
	s_waitcnt vmcnt(3)
	v_cvt_f32_u32_sdwa v18, v14 dst_sel:DWORD dst_unused:UNUSED_PAD src0_sel:WORD_0
	v_cvt_f32_u32_sdwa v19, v14 dst_sel:DWORD dst_unused:UNUSED_PAD src0_sel:WORD_1
	v_cvt_f32_u32_sdwa v32, v15 dst_sel:DWORD dst_unused:UNUSED_PAD src0_sel:WORD_0
	v_cvt_f32_u32_sdwa v33, v15 dst_sel:DWORD dst_unused:UNUSED_PAD src0_sel:WORD_1
	;; [unrolled: 2-line block ×4, first 2 shown]
	s_waitcnt vmcnt(2)
	v_cvt_f32_u32_sdwa v30, v10 dst_sel:DWORD dst_unused:UNUSED_PAD src0_sel:WORD_0
	v_cvt_f32_u32_sdwa v31, v10 dst_sel:DWORD dst_unused:UNUSED_PAD src0_sel:WORD_1
	v_cvt_f32_u32_sdwa v28, v11 dst_sel:DWORD dst_unused:UNUSED_PAD src0_sel:WORD_0
	v_cvt_f32_u32_sdwa v29, v11 dst_sel:DWORD dst_unused:UNUSED_PAD src0_sel:WORD_1
	;; [unrolled: 2-line block ×4, first 2 shown]
.LBB886_5:
	s_or_b64 exec, exec, s[0:1]
	s_waitcnt vmcnt(2)
	v_mul_f32_e32 v10, v19, v19
	v_fmac_f32_e32 v10, v18, v18
	v_fmac_f32_e32 v10, v32, v32
	;; [unrolled: 1-line block ×15, first 2 shown]
	v_and_b32_e32 v12, 63, v0
	v_cmp_eq_u32_e64 s[0:1], 63, v12
	v_mov_b32_dpp v11, v10 quad_perm:[1,0,3,2] row_mask:0xf bank_mask:0xf
	v_add_f32_e32 v10, v10, v11
	s_nop 1
	v_mov_b32_dpp v11, v10 quad_perm:[2,3,0,1] row_mask:0xf bank_mask:0xf
	v_add_f32_e32 v10, v10, v11
	s_nop 1
	v_mov_b32_dpp v11, v10 row_half_mirror row_mask:0xf bank_mask:0xf
	v_add_f32_e32 v10, v10, v11
	s_nop 1
	v_mov_b32_dpp v11, v10 row_mirror row_mask:0xf bank_mask:0xf
	v_add_f32_e32 v10, v10, v11
	s_nop 1
	v_mov_b32_dpp v11, v10 row_bcast:15 row_mask:0xf bank_mask:0xf
	v_add_f32_e32 v10, v10, v11
	s_nop 1
	v_mov_b32_dpp v11, v10 row_bcast:31 row_mask:0xf bank_mask:0xf
	s_and_saveexec_b64 s[8:9], s[0:1]
	s_cbranch_execz .LBB886_7
; %bb.6:
	v_add_f32_e32 v10, v10, v11
	v_lshrrev_b32_e32 v11, 4, v0
	v_and_b32_e32 v11, 60, v11
	ds_write_b32 v11, v10 offset:16
.LBB886_7:
	s_or_b64 exec, exec, s[8:9]
	v_and_b32_e32 v10, 3, v0
	v_lshlrev_b32_e32 v34, 2, v10
	s_waitcnt lgkmcnt(0)
	s_barrier
	ds_read_b32 v10, v34 offset:16
	s_load_dwordx2 s[28:29], s[4:5], 0x18
	s_waitcnt lgkmcnt(0)
	v_mov_b32_dpp v11, v10 quad_perm:[1,0,3,2] row_mask:0xf bank_mask:0xf
	v_add_f32_e32 v10, v10, v11
	s_nop 1
	v_mov_b32_dpp v11, v10 quad_perm:[2,3,0,1] row_mask:0xf bank_mask:0xf
	s_and_saveexec_b64 s[8:9], s[2:3]
	s_cbranch_execz .LBB886_9
; %bb.8:
	v_cvt_f32_u32_e32 v12, s7
	v_add_f32_e32 v10, v10, v11
	v_mov_b32_e32 v14, s17
	v_mov_b32_e32 v15, s16
	v_div_scale_f32 v11, s[24:25], v12, v12, v10
	v_rcp_f32_e32 v13, v11
	v_cndmask_b32_e32 v14, v14, v15, vcc
	s_mov_b32 s7, 0x800000
	s_waitcnt vmcnt(1)
	v_cvt_f32_u32_sdwa v37, v9 dst_sel:DWORD dst_unused:UNUSED_PAD src0_sel:WORD_1
	v_fma_f32 v15, -v11, v13, 1.0
	v_fmac_f32_e32 v13, v15, v13
	v_div_scale_f32 v15, vcc, v10, v12, v10
	v_mul_f32_e32 v16, v15, v13
	v_fma_f32 v17, -v11, v16, v15
	v_fmac_f32_e32 v16, v17, v13
	v_fma_f32 v11, -v11, v16, v15
	v_div_fmas_f32 v11, v11, v13, v16
	v_div_fixup_f32 v10, v11, v12, v10
	v_add_f32_e32 v10, v14, v10
	v_mul_f32_e32 v11, 0x4b800000, v10
	v_cmp_gt_f32_e32 vcc, s7, v10
	v_cndmask_b32_e32 v10, v10, v11, vcc
	v_rsq_f32_e32 v10, v10
	v_cvt_f32_u32_sdwa v36, v9 dst_sel:DWORD dst_unused:UNUSED_PAD src0_sel:WORD_0
	s_waitcnt vmcnt(0)
	v_cvt_f32_u32_sdwa v9, v3 dst_sel:DWORD dst_unused:UNUSED_PAD src0_sel:WORD_1
	v_mul_f32_e32 v11, 0x45800000, v10
	v_cndmask_b32_e32 v10, v10, v11, vcc
	v_mov_b32_e32 v11, v10
	;;#ASMSTART
	v_pk_mul_f32 v[12:13], v[18:19], v[10:11]
	;;#ASMEND
	;;#ASMSTART
	v_pk_mul_f32 v[14:15], v[32:33], v[10:11]
	;;#ASMEND
	;; [unrolled: 3-line block ×8, first 2 shown]
	v_cvt_f32_u32_sdwa v19, v6 dst_sel:DWORD dst_unused:UNUSED_PAD src0_sel:WORD_1
	v_cvt_f32_u32_sdwa v18, v6 dst_sel:DWORD dst_unused:UNUSED_PAD src0_sel:WORD_0
	v_cvt_f32_u32_sdwa v21, v7 dst_sel:DWORD dst_unused:UNUSED_PAD src0_sel:WORD_1
	v_cvt_f32_u32_sdwa v20, v7 dst_sel:DWORD dst_unused:UNUSED_PAD src0_sel:WORD_0
	;; [unrolled: 2-line block ×3, first 2 shown]
	;;#ASMSTART
	v_pk_mul_f32 v[18:19], v[12:13], v[18:19]
	;;#ASMEND
	;;#ASMSTART
	v_pk_mul_f32 v[32:33], v[14:15], v[20:21]
	;;#ASMEND
	;; [unrolled: 3-line block ×4, first 2 shown]
	v_cvt_f32_u32_sdwa v7, v2 dst_sel:DWORD dst_unused:UNUSED_PAD src0_sel:WORD_1
	v_cvt_f32_u32_sdwa v6, v2 dst_sel:DWORD dst_unused:UNUSED_PAD src0_sel:WORD_0
	v_cvt_f32_u32_sdwa v8, v3 dst_sel:DWORD dst_unused:UNUSED_PAD src0_sel:WORD_0
	v_cvt_f32_u32_sdwa v3, v4 dst_sel:DWORD dst_unused:UNUSED_PAD src0_sel:WORD_1
	v_cvt_f32_u32_sdwa v2, v4 dst_sel:DWORD dst_unused:UNUSED_PAD src0_sel:WORD_0
	v_cvt_f32_u32_sdwa v13, v5 dst_sel:DWORD dst_unused:UNUSED_PAD src0_sel:WORD_1
	v_cvt_f32_u32_sdwa v12, v5 dst_sel:DWORD dst_unused:UNUSED_PAD src0_sel:WORD_0
	;;#ASMSTART
	v_pk_mul_f32 v[30:31], v[30:31], v[6:7]
	;;#ASMEND
	;;#ASMSTART
	v_pk_mul_f32 v[28:29], v[28:29], v[8:9]
	;;#ASMEND
	;; [unrolled: 3-line block ×4, first 2 shown]
.LBB886_9:
	s_or_b64 exec, exec, s[8:9]
	s_load_dword s7, s[4:5], 0x80
	s_mov_b64 s[8:9], -1
	s_and_b64 vcc, exec, s[14:15]
	s_cbranch_vccnz .LBB886_13
; %bb.10:
	s_andn2_b64 vcc, exec, s[8:9]
	s_cbranch_vccz .LBB886_16
.LBB886_11:
	s_cmp_lt_i32 s20, 1
	s_cbranch_scc0 .LBB886_23
.LBB886_12:
	s_endpgm
.LBB886_13:
	s_and_saveexec_b64 s[14:15], s[2:3]
	s_cbranch_execz .LBB886_15
; %bb.14:
	s_waitcnt lgkmcnt(0)
	s_mul_hi_i32 s9, s7, s6
	s_mul_i32 s8, s7, s6
	s_lshl_b64 s[8:9], s[8:9], 1
	s_add_u32 s8, s28, s8
	s_addc_u32 s9, s29, s9
	s_mov_b32 s16, 0x7060302
	s_and_b32 s9, s9, 0xffff
	s_mov_b32 s11, 0x20000
	s_waitcnt vmcnt(0)
	v_perm_b32 v5, v25, v24, s16
	v_perm_b32 v4, v27, v26, s16
	;; [unrolled: 1-line block ×4, first 2 shown]
	v_lshlrev_b32_e32 v6, 5, v0
	buffer_store_dwordx4 v[2:5], v6, s[8:11], 0 offen
	;;#ASMSTART
	s_nop 0
	;;#ASMEND
	s_nop 0
	v_perm_b32 v5, v21, v20, s16
	v_perm_b32 v4, v23, v22, s16
	v_perm_b32 v3, v29, v28, s16
	v_perm_b32 v2, v31, v30, s16
	buffer_store_dwordx4 v[2:5], v6, s[8:11], 16 offen
	;;#ASMSTART
	s_nop 0
	;;#ASMEND
.LBB886_15:
	s_or_b64 exec, exec, s[14:15]
	s_cbranch_execnz .LBB886_11
.LBB886_16:
	s_waitcnt vmcnt(0)
	v_mov_b32_e32 v2, 0
	s_and_saveexec_b64 s[8:9], s[2:3]
	s_cbranch_execz .LBB886_18
; %bb.17:
	v_and_b32_e32 v2, 0x7fffffff, v18
	v_and_b32_e32 v3, 0x7fffffff, v19
	v_mov_b32_e32 v4, 0x2edbe6ff
	;;#ASMSTART
	v_max3_f32 v2, v4, v2, v3

	;;#ASMEND
	v_and_b32_e32 v3, 0x7fffffff, v32
	v_and_b32_e32 v4, 0x7fffffff, v33
	;;#ASMSTART
	v_max3_f32 v2, v2, v3, v4

	;;#ASMEND
	v_and_b32_e32 v3, 0x7fffffff, v26
	v_and_b32_e32 v4, 0x7fffffff, v27
	;;#ASMSTART
	v_max3_f32 v2, v2, v3, v4

	;;#ASMEND
	v_and_b32_e32 v3, 0x7fffffff, v24
	v_and_b32_e32 v4, 0x7fffffff, v25
	;;#ASMSTART
	v_max3_f32 v2, v2, v3, v4

	;;#ASMEND
	v_and_b32_e32 v3, 0x7fffffff, v30
	v_and_b32_e32 v4, 0x7fffffff, v31
	;;#ASMSTART
	v_max3_f32 v2, v2, v3, v4

	;;#ASMEND
	v_and_b32_e32 v3, 0x7fffffff, v28
	v_and_b32_e32 v4, 0x7fffffff, v29
	;;#ASMSTART
	v_max3_f32 v2, v2, v3, v4

	;;#ASMEND
	v_and_b32_e32 v3, 0x7fffffff, v22
	v_and_b32_e32 v4, 0x7fffffff, v23
	;;#ASMSTART
	v_max3_f32 v2, v2, v3, v4

	;;#ASMEND
	v_and_b32_e32 v3, 0x7fffffff, v20
	v_and_b32_e32 v4, 0x7fffffff, v21
	;;#ASMSTART
	v_max3_f32 v2, v2, v3, v4

	;;#ASMEND
.LBB886_18:
	s_or_b64 exec, exec, s[8:9]
	s_load_dwordx4 s[24:27], s[4:5], 0x70
	;;#ASMSTART
	v_max_f32 v3, v2, v2 quad_perm:[1,0,3,2] row_mask:0xf bank_mask:0xf bound_ctrl:1
	;;#ASMEND
	v_mul_f32_e32 v2, 0x3b124925, v3
	v_and_b32_e32 v3, 1, v0
	v_cmp_eq_u32_e32 vcc, 0, v3
	v_cmp_gt_i32_e64 s[8:9], s19, v1
	s_and_b64 s[10:11], vcc, s[8:9]
	s_and_saveexec_b64 s[8:9], s[10:11]
	s_cbranch_execz .LBB886_20
; %bb.19:
	s_load_dwordx2 s[10:11], s[4:5], 0x8
	s_waitcnt lgkmcnt(0)
	s_mul_hi_i32 s15, s25, s6
	s_mul_i32 s14, s25, s6
	v_lshrrev_b32_e32 v3, 1, v0
	s_lshl_b64 s[14:15], s[14:15], 2
	v_mad_i64_i32 v[4:5], s[26:27], s26, v3, 0
	s_add_u32 s10, s10, s14
	s_addc_u32 s11, s11, s15
	v_lshlrev_b64 v[4:5], 2, v[4:5]
	v_mov_b32_e32 v3, s11
	v_add_co_u32_e32 v4, vcc, s10, v4
	v_addc_co_u32_e32 v5, vcc, v3, v5, vcc
	global_store_dword v[4:5], v2, off
.LBB886_20:
	s_or_b64 exec, exec, s[8:9]
	;;#ASMSTART
	v_rcp_f32 v2, v2
	;;#ASMEND
	s_and_saveexec_b64 s[14:15], s[2:3]
	s_cbranch_execz .LBB886_22
; %bb.21:
	s_load_dwordx2 s[2:3], s[4:5], 0x0
	s_waitcnt lgkmcnt(0)
	s_mul_i32 s8, s24, s6
	s_mul_hi_i32 s9, s24, s6
	v_mov_b32_e32 v3, v2
	;;#ASMSTART
	v_pk_mul_f32 v[4:5], v[18:19], v[2:3]
	;;#ASMEND
	s_add_u32 s8, s2, s8
	s_addc_u32 s2, s3, s9
	s_add_i32 s3, s19, 3
	s_ashr_i32 s10, s3, 31
	v_mov_b32_e32 v10, 0xc3e00000
	v_mov_b32_e32 v11, 0x43e00000
	;;#ASMSTART
	v_med3_f32 v4, v4, v10, v11
v_med3_f32 v5, v5, v10, v11
v_cvt_pk_fp8_f32 v6, v4, v5
	;;#ASMEND
	s_and_b32 s9, s2, 0xffff
	s_lshr_b32 s2, s10, 30
	;;#ASMSTART
	v_pk_mul_f32 v[4:5], v[32:33], v[2:3]
	;;#ASMEND
	s_add_i32 s3, s3, s2
	;;#ASMSTART
	v_med3_f32 v4, v4, v10, v11
v_med3_f32 v5, v5, v10, v11
v_cvt_pk_fp8_f32 v7, v4, v5
	;;#ASMEND
	s_mov_b32 s2, 0x5040100
	v_perm_b32 v4, v7, v6, s2
	s_mov_b32 s2, 0x1060504
	v_perm_b32 v4, v4, v7, s2
	;;#ASMSTART
	v_pk_mul_f32 v[6:7], v[26:27], v[2:3]
	;;#ASMEND
	v_mov_b32_e32 v5, v7
	;;#ASMSTART
	v_med3_f32 v6, v6, v10, v11
v_med3_f32 v5, v5, v10, v11
v_cvt_pk_fp8_f32 v8, v6, v5
	;;#ASMEND
	;;#ASMSTART
	v_pk_mul_f32 v[6:7], v[24:25], v[2:3]
	;;#ASMEND
	v_mov_b32_e32 v5, v7
	;;#ASMSTART
	v_med3_f32 v6, v6, v10, v11
v_med3_f32 v5, v5, v10, v11
v_cvt_pk_fp8_f32 v7, v6, v5
	;;#ASMEND
	s_mov_b32 s2, 0x1000504
	v_perm_b32 v5, v8, v7, s2
	;;#ASMSTART
	v_pk_mul_f32 v[6:7], v[30:31], v[2:3]
	;;#ASMEND
	;;#ASMSTART
	v_med3_f32 v6, v6, v10, v11
v_med3_f32 v7, v7, v10, v11
v_cvt_pk_fp8_f32 v8, v6, v7
	;;#ASMEND
	;;#ASMSTART
	v_pk_mul_f32 v[6:7], v[28:29], v[2:3]
	;;#ASMEND
	;;#ASMSTART
	v_med3_f32 v6, v6, v10, v11
v_med3_f32 v7, v7, v10, v11
v_cvt_pk_fp8_f32 v9, v6, v7
	;;#ASMEND
	v_perm_b32 v6, v8, v9, s2
	;;#ASMSTART
	v_pk_mul_f32 v[8:9], v[22:23], v[2:3]
	;;#ASMEND
	v_mov_b32_e32 v7, v9
	;;#ASMSTART
	v_med3_f32 v8, v8, v10, v11
v_med3_f32 v7, v7, v10, v11
v_cvt_pk_fp8_f32 v9, v8, v7
	;;#ASMEND
	;;#ASMSTART
	v_pk_mul_f32 v[2:3], v[20:21], v[2:3]
	;;#ASMEND
	;;#ASMSTART
	v_med3_f32 v2, v2, v10, v11
v_med3_f32 v3, v3, v10, v11
v_cvt_pk_fp8_f32 v7, v2, v3
	;;#ASMEND
	s_and_b32 s10, s3, -4
	s_mov_b32 s11, 0x20000
	v_perm_b32 v7, v9, v7, s2
	buffer_store_dwordx4 v[4:7], v1, s[8:11], 0 offen
	;;#ASMSTART
	s_nop 0
	;;#ASMEND
.LBB886_22:
	s_or_b64 exec, exec, s[14:15]
	s_cmp_lt_i32 s20, 1
	s_cbranch_scc1 .LBB886_12
.LBB886_23:
	s_load_dword s2, s[4:5], 0x94
	s_waitcnt lgkmcnt(0)
	s_cmp_lg_u32 s2, 1
	s_cbranch_scc1 .LBB886_12
; %bb.24:
	s_lshl_b32 s2, s20, 1
	s_add_i32 s2, s2, 2
	v_cmp_gt_u32_e32 vcc, s20, v1
	s_and_b32 s14, s2, -4
	v_mov_b32_e32 v18, 0
	v_lshlrev_b32_e32 v1, 5, v0
	v_mov_b32_e32 v14, 0
	v_mov_b32_e32 v15, 0
	;; [unrolled: 1-line block ×8, first 2 shown]
	s_waitcnt vmcnt(1)
	v_mov_b32_e32 v6, 0
	v_mov_b32_e32 v7, 0
	;; [unrolled: 1-line block ×4, first 2 shown]
	s_waitcnt vmcnt(0)
	v_mov_b32_e32 v2, 0
	v_mov_b32_e32 v3, 0
	;; [unrolled: 1-line block ×4, first 2 shown]
	s_barrier
	s_and_saveexec_b64 s[2:3], vcc
	s_cbranch_execz .LBB886_26
; %bb.25:
	s_mul_hi_i32 s5, s22, s6
	s_mul_i32 s4, s22, s6
	s_and_b32 s13, s13, 0xffff
	s_lshl_b64 s[4:5], s[4:5], 1
	s_add_u32 s8, s30, s4
	s_mov_b32 s15, 0x20000
	s_addc_u32 s4, s31, s5
	s_and_b32 s9, s4, 0xffff
	s_mov_b32 s10, s14
	s_mov_b32 s11, s15
	buffer_load_dwordx4 v[14:17], v1, s[8:11], 0 offen
	buffer_load_dwordx4 v[10:13], v1, s[8:11], 16 offen
	;; [unrolled: 1-line block ×4, first 2 shown]
.LBB886_26:
	s_or_b64 exec, exec, s[2:3]
	v_mov_b32_e32 v19, 0
	v_mov_b32_e32 v32, 0
	;; [unrolled: 1-line block ×15, first 2 shown]
	s_and_saveexec_b64 s[2:3], vcc
	s_cbranch_execz .LBB886_28
; %bb.27:
	s_waitcnt vmcnt(3)
	v_cvt_f32_u32_sdwa v18, v14 dst_sel:DWORD dst_unused:UNUSED_PAD src0_sel:WORD_0
	v_cvt_f32_u32_sdwa v19, v14 dst_sel:DWORD dst_unused:UNUSED_PAD src0_sel:WORD_1
	v_cvt_f32_u32_sdwa v32, v15 dst_sel:DWORD dst_unused:UNUSED_PAD src0_sel:WORD_0
	v_cvt_f32_u32_sdwa v33, v15 dst_sel:DWORD dst_unused:UNUSED_PAD src0_sel:WORD_1
	;; [unrolled: 2-line block ×4, first 2 shown]
	s_waitcnt vmcnt(2)
	v_cvt_f32_u32_sdwa v26, v10 dst_sel:DWORD dst_unused:UNUSED_PAD src0_sel:WORD_0
	v_cvt_f32_u32_sdwa v27, v10 dst_sel:DWORD dst_unused:UNUSED_PAD src0_sel:WORD_1
	v_cvt_f32_u32_sdwa v24, v11 dst_sel:DWORD dst_unused:UNUSED_PAD src0_sel:WORD_0
	v_cvt_f32_u32_sdwa v25, v11 dst_sel:DWORD dst_unused:UNUSED_PAD src0_sel:WORD_1
	;; [unrolled: 2-line block ×4, first 2 shown]
.LBB886_28:
	s_or_b64 exec, exec, s[2:3]
	s_waitcnt vmcnt(2)
	v_mul_f32_e32 v10, v19, v19
	v_fmac_f32_e32 v10, v18, v18
	v_fmac_f32_e32 v10, v32, v32
	;; [unrolled: 1-line block ×15, first 2 shown]
	s_nop 1
	v_mov_b32_dpp v11, v10 quad_perm:[1,0,3,2] row_mask:0xf bank_mask:0xf
	v_add_f32_e32 v10, v10, v11
	s_nop 1
	v_mov_b32_dpp v11, v10 quad_perm:[2,3,0,1] row_mask:0xf bank_mask:0xf
	v_add_f32_e32 v10, v10, v11
	s_nop 1
	v_mov_b32_dpp v11, v10 row_half_mirror row_mask:0xf bank_mask:0xf
	v_add_f32_e32 v10, v10, v11
	s_nop 1
	v_mov_b32_dpp v11, v10 row_mirror row_mask:0xf bank_mask:0xf
	v_add_f32_e32 v10, v10, v11
	s_nop 1
	v_mov_b32_dpp v11, v10 row_bcast:15 row_mask:0xf bank_mask:0xf
	v_add_f32_e32 v10, v10, v11
	s_nop 1
	v_mov_b32_dpp v11, v10 row_bcast:31 row_mask:0xf bank_mask:0xf
	s_and_saveexec_b64 s[2:3], s[0:1]
	s_cbranch_execz .LBB886_30
; %bb.29:
	v_lshrrev_b32_e32 v0, 4, v0
	v_add_f32_e32 v10, v10, v11
	v_and_b32_e32 v0, 60, v0
	ds_write_b32 v0, v10
.LBB886_30:
	s_or_b64 exec, exec, s[2:3]
	s_waitcnt lgkmcnt(0)
	s_barrier
	ds_read_b32 v0, v34
	s_waitcnt lgkmcnt(0)
	s_nop 0
	v_mov_b32_dpp v10, v0 quad_perm:[1,0,3,2] row_mask:0xf bank_mask:0xf
	v_add_f32_e32 v0, v0, v10
	s_nop 1
	v_mov_b32_dpp v10, v0 quad_perm:[2,3,0,1] row_mask:0xf bank_mask:0xf
	s_and_saveexec_b64 s[0:1], vcc
	s_cbranch_execz .LBB886_12
; %bb.31:
	v_cvt_f32_u32_e32 v11, s20
	v_add_f32_e32 v0, v0, v10
	s_mov_b32 s15, 0x20000
	v_div_scale_f32 v10, s[0:1], v11, v11, v0
	v_rcp_f32_e32 v12, v10
	v_div_scale_f32 v13, vcc, v0, v11, v0
	s_mov_b32 s0, 0x800000
	v_fma_f32 v14, -v10, v12, 1.0
	v_fmac_f32_e32 v12, v14, v12
	v_mul_f32_e32 v14, v13, v12
	v_fma_f32 v15, -v10, v14, v13
	v_fmac_f32_e32 v14, v15, v12
	v_fma_f32 v10, -v10, v14, v13
	v_div_fmas_f32 v10, v10, v12, v14
	v_div_fixup_f32 v0, v10, v11, v0
	v_add_f32_e32 v0, s17, v0
	v_mul_f32_e32 v10, 0x4b800000, v0
	v_cmp_gt_f32_e32 vcc, s0, v0
	v_cndmask_b32_e32 v0, v0, v10, vcc
	v_rsq_f32_e32 v0, v0
	s_mul_hi_i32 s1, s7, s6
	s_mul_i32 s0, s7, s6
	s_lshl_b64 s[0:1], s[0:1], 1
	v_mul_f32_e32 v10, 0x45800000, v0
	v_cndmask_b32_e32 v10, v0, v10, vcc
	v_mov_b32_e32 v11, v10
	s_add_u32 s12, s28, s0
	;;#ASMSTART
	v_pk_mul_f32 v[12:13], v[18:19], v[10:11]
	;;#ASMEND
	;;#ASMSTART
	v_pk_mul_f32 v[14:15], v[32:33], v[10:11]
	;;#ASMEND
	;; [unrolled: 3-line block ×8, first 2 shown]
	s_waitcnt vmcnt(1)
	v_cvt_f32_u32_sdwa v21, v6 dst_sel:DWORD dst_unused:UNUSED_PAD src0_sel:WORD_1
	v_cvt_f32_u32_sdwa v20, v6 dst_sel:DWORD dst_unused:UNUSED_PAD src0_sel:WORD_0
	v_cvt_f32_u32_sdwa v29, v7 dst_sel:DWORD dst_unused:UNUSED_PAD src0_sel:WORD_1
	v_cvt_f32_u32_sdwa v28, v7 dst_sel:DWORD dst_unused:UNUSED_PAD src0_sel:WORD_0
	;; [unrolled: 2-line block ×3, first 2 shown]
	s_addc_u32 s0, s29, s1
	v_cvt_f32_u32_sdwa v31, v9 dst_sel:DWORD dst_unused:UNUSED_PAD src0_sel:WORD_1
	v_cvt_f32_u32_sdwa v30, v9 dst_sel:DWORD dst_unused:UNUSED_PAD src0_sel:WORD_0
	;;#ASMSTART
	v_pk_mul_f32 v[8:9], v[12:13], v[20:21]
	;;#ASMEND
	;;#ASMSTART
	v_pk_mul_f32 v[12:13], v[14:15], v[28:29]
	;;#ASMEND
	;; [unrolled: 3-line block ×4, first 2 shown]
	s_waitcnt vmcnt(0)
	v_cvt_f32_u32_sdwa v17, v2 dst_sel:DWORD dst_unused:UNUSED_PAD src0_sel:WORD_1
	v_cvt_f32_u32_sdwa v16, v2 dst_sel:DWORD dst_unused:UNUSED_PAD src0_sel:WORD_0
	v_cvt_f32_u32_sdwa v19, v3 dst_sel:DWORD dst_unused:UNUSED_PAD src0_sel:WORD_1
	v_cvt_f32_u32_sdwa v18, v3 dst_sel:DWORD dst_unused:UNUSED_PAD src0_sel:WORD_0
	;; [unrolled: 2-line block ×3, first 2 shown]
	s_and_b32 s13, s0, 0xffff
	s_mov_b32 s0, 0x7060302
	v_cvt_f32_u32_sdwa v21, v5 dst_sel:DWORD dst_unused:UNUSED_PAD src0_sel:WORD_1
	v_cvt_f32_u32_sdwa v20, v5 dst_sel:DWORD dst_unused:UNUSED_PAD src0_sel:WORD_0
	;;#ASMSTART
	v_pk_mul_f32 v[16:17], v[26:27], v[16:17]
	;;#ASMEND
	;;#ASMSTART
	v_pk_mul_f32 v[18:19], v[24:25], v[18:19]
	;;#ASMEND
	;; [unrolled: 3-line block ×3, first 2 shown]
	v_perm_b32 v2, v9, v8, s0
	v_perm_b32 v3, v13, v12, s0
	;; [unrolled: 1-line block ×4, first 2 shown]
	;;#ASMSTART
	v_pk_mul_f32 v[10:11], v[10:11], v[20:21]
	;;#ASMEND
	buffer_store_dwordx4 v[2:5], v1, s[12:15], 0 offen
	;;#ASMSTART
	s_nop 0
	;;#ASMEND
	s_nop 0
	v_perm_b32 v2, v17, v16, s0
	v_perm_b32 v3, v19, v18, s0
	;; [unrolled: 1-line block ×4, first 2 shown]
	buffer_store_dwordx4 v[2:5], v1, s[12:15], 16 offen
	;;#ASMSTART
	s_nop 0
	;;#ASMEND
	s_endpgm
	.section	.rodata,"a",@progbits
	.p2align	6, 0x0
	.amdhsa_kernel _ZN5aiter35fused_qk_rmsnorm_group_quant_kernelItDB8_Li256ELi16ELi2ELb0ELb0ELb0ELb0ELb0ELb0EEEvPT0_PvPT_S6_S6_PKS5_S8_S8_S8_S8_ffiiiiiiiiiiiii
		.amdhsa_group_segment_fixed_size 32
		.amdhsa_private_segment_fixed_size 0
		.amdhsa_kernarg_size 400
		.amdhsa_user_sgpr_count 6
		.amdhsa_user_sgpr_private_segment_buffer 1
		.amdhsa_user_sgpr_dispatch_ptr 0
		.amdhsa_user_sgpr_queue_ptr 0
		.amdhsa_user_sgpr_kernarg_segment_ptr 1
		.amdhsa_user_sgpr_dispatch_id 0
		.amdhsa_user_sgpr_flat_scratch_init 0
		.amdhsa_user_sgpr_kernarg_preload_length 0
		.amdhsa_user_sgpr_kernarg_preload_offset 0
		.amdhsa_user_sgpr_private_segment_size 0
		.amdhsa_uses_dynamic_stack 0
		.amdhsa_system_sgpr_private_segment_wavefront_offset 0
		.amdhsa_system_sgpr_workgroup_id_x 1
		.amdhsa_system_sgpr_workgroup_id_y 1
		.amdhsa_system_sgpr_workgroup_id_z 0
		.amdhsa_system_sgpr_workgroup_info 0
		.amdhsa_system_vgpr_workitem_id 0
		.amdhsa_next_free_vgpr 38
		.amdhsa_next_free_sgpr 32
		.amdhsa_accum_offset 40
		.amdhsa_reserve_vcc 1
		.amdhsa_reserve_flat_scratch 0
		.amdhsa_float_round_mode_32 0
		.amdhsa_float_round_mode_16_64 0
		.amdhsa_float_denorm_mode_32 3
		.amdhsa_float_denorm_mode_16_64 3
		.amdhsa_dx10_clamp 1
		.amdhsa_ieee_mode 1
		.amdhsa_fp16_overflow 0
		.amdhsa_tg_split 0
		.amdhsa_exception_fp_ieee_invalid_op 0
		.amdhsa_exception_fp_denorm_src 0
		.amdhsa_exception_fp_ieee_div_zero 0
		.amdhsa_exception_fp_ieee_overflow 0
		.amdhsa_exception_fp_ieee_underflow 0
		.amdhsa_exception_fp_ieee_inexact 0
		.amdhsa_exception_int_div_zero 0
	.end_amdhsa_kernel
	.section	.text._ZN5aiter35fused_qk_rmsnorm_group_quant_kernelItDB8_Li256ELi16ELi2ELb0ELb0ELb0ELb0ELb0ELb0EEEvPT0_PvPT_S6_S6_PKS5_S8_S8_S8_S8_ffiiiiiiiiiiiii,"axG",@progbits,_ZN5aiter35fused_qk_rmsnorm_group_quant_kernelItDB8_Li256ELi16ELi2ELb0ELb0ELb0ELb0ELb0ELb0EEEvPT0_PvPT_S6_S6_PKS5_S8_S8_S8_S8_ffiiiiiiiiiiiii,comdat
.Lfunc_end886:
	.size	_ZN5aiter35fused_qk_rmsnorm_group_quant_kernelItDB8_Li256ELi16ELi2ELb0ELb0ELb0ELb0ELb0ELb0EEEvPT0_PvPT_S6_S6_PKS5_S8_S8_S8_S8_ffiiiiiiiiiiiii, .Lfunc_end886-_ZN5aiter35fused_qk_rmsnorm_group_quant_kernelItDB8_Li256ELi16ELi2ELb0ELb0ELb0ELb0ELb0ELb0EEEvPT0_PvPT_S6_S6_PKS5_S8_S8_S8_S8_ffiiiiiiiiiiiii
                                        ; -- End function
	.section	.AMDGPU.csdata,"",@progbits
; Kernel info:
; codeLenInByte = 3436
; NumSgprs: 36
; NumVgprs: 38
; NumAgprs: 0
; TotalNumVgprs: 38
; ScratchSize: 0
; MemoryBound: 0
; FloatMode: 240
; IeeeMode: 1
; LDSByteSize: 32 bytes/workgroup (compile time only)
; SGPRBlocks: 4
; VGPRBlocks: 4
; NumSGPRsForWavesPerEU: 36
; NumVGPRsForWavesPerEU: 38
; AccumOffset: 40
; Occupancy: 8
; WaveLimiterHint : 0
; COMPUTE_PGM_RSRC2:SCRATCH_EN: 0
; COMPUTE_PGM_RSRC2:USER_SGPR: 6
; COMPUTE_PGM_RSRC2:TRAP_HANDLER: 0
; COMPUTE_PGM_RSRC2:TGID_X_EN: 1
; COMPUTE_PGM_RSRC2:TGID_Y_EN: 1
; COMPUTE_PGM_RSRC2:TGID_Z_EN: 0
; COMPUTE_PGM_RSRC2:TIDIG_COMP_CNT: 0
; COMPUTE_PGM_RSRC3_GFX90A:ACCUM_OFFSET: 9
; COMPUTE_PGM_RSRC3_GFX90A:TG_SPLIT: 0
	.section	.text._ZN5aiter35fused_qk_rmsnorm_group_quant_kernelIDF16_N4opus5fp4_tELi256ELi16ELi2ELb0ELb0ELb0ELb0ELb0ELb0EEEvPT0_PvPT_S7_S7_PKS6_S9_S9_S9_S9_ffiiiiiiiiiiiii,"axG",@progbits,_ZN5aiter35fused_qk_rmsnorm_group_quant_kernelIDF16_N4opus5fp4_tELi256ELi16ELi2ELb0ELb0ELb0ELb0ELb0ELb0EEEvPT0_PvPT_S7_S7_PKS6_S9_S9_S9_S9_ffiiiiiiiiiiiii,comdat
	.protected	_ZN5aiter35fused_qk_rmsnorm_group_quant_kernelIDF16_N4opus5fp4_tELi256ELi16ELi2ELb0ELb0ELb0ELb0ELb0ELb0EEEvPT0_PvPT_S7_S7_PKS6_S9_S9_S9_S9_ffiiiiiiiiiiiii ; -- Begin function _ZN5aiter35fused_qk_rmsnorm_group_quant_kernelIDF16_N4opus5fp4_tELi256ELi16ELi2ELb0ELb0ELb0ELb0ELb0ELb0EEEvPT0_PvPT_S7_S7_PKS6_S9_S9_S9_S9_ffiiiiiiiiiiiii
	.globl	_ZN5aiter35fused_qk_rmsnorm_group_quant_kernelIDF16_N4opus5fp4_tELi256ELi16ELi2ELb0ELb0ELb0ELb0ELb0ELb0EEEvPT0_PvPT_S7_S7_PKS6_S9_S9_S9_S9_ffiiiiiiiiiiiii
	.p2align	8
	.type	_ZN5aiter35fused_qk_rmsnorm_group_quant_kernelIDF16_N4opus5fp4_tELi256ELi16ELi2ELb0ELb0ELb0ELb0ELb0ELb0EEEvPT0_PvPT_S7_S7_PKS6_S9_S9_S9_S9_ffiiiiiiiiiiiii,@function
_ZN5aiter35fused_qk_rmsnorm_group_quant_kernelIDF16_N4opus5fp4_tELi256ELi16ELi2ELb0ELb0ELb0ELb0ELb0ELb0EEEvPT0_PvPT_S7_S7_PKS6_S9_S9_S9_S9_ffiiiiiiiiiiiii: ; @_ZN5aiter35fused_qk_rmsnorm_group_quant_kernelIDF16_N4opus5fp4_tELi256ELi16ELi2ELb0ELb0ELb0ELb0ELb0ELb0EEEvPT0_PvPT_S7_S7_PKS6_S9_S9_S9_S9_ffiiiiiiiiiiiii
; %bb.0:
	s_load_dwordx4 s[16:19], s[4:5], 0x50
	s_waitcnt lgkmcnt(0)
	s_cmp_ge_i32 s6, s18
	s_cbranch_scc1 .LBB887_12
; %bb.1:
	s_load_dwordx2 s[12:13], s[4:5], 0x48
	s_load_dwordx2 s[30:31], s[4:5], 0x30
	s_load_dwordx4 s[20:23], s[4:5], 0x60
	s_cmp_lg_u32 s7, 0
	s_cselect_b64 s[14:15], -1, 0
	s_cmp_eq_u32 s7, 0
	s_cselect_b64 vcc, -1, 0
	s_and_b64 s[0:1], vcc, exec
	s_waitcnt lgkmcnt(0)
	s_cselect_b32 s7, s19, s20
	s_add_i32 s0, s7, 1
	s_lshr_b32 s1, s0, 31
	s_add_i32 s0, s0, s1
	s_lshl_b32 s0, s0, 1
	v_lshlrev_b32_e32 v1, 4, v0
	s_and_b32 s10, s0, -4
	v_cmp_gt_i32_e64 s[2:3], s7, v1
	v_mov_b32_e32 v18, 0
	v_mov_b32_e32 v6, 0
	;; [unrolled: 1-line block ×17, first 2 shown]
	s_and_saveexec_b64 s[0:1], s[2:3]
	s_cbranch_execz .LBB887_3
; %bb.2:
	s_load_dwordx2 s[8:9], s[4:5], 0x28
	s_load_dwordx2 s[26:27], s[4:5], 0x40
	s_and_b64 s[24:25], vcc, exec
	s_cselect_b32 s11, s21, s22
	v_lshlrev_b32_e32 v19, 5, v0
	s_waitcnt lgkmcnt(0)
	s_cselect_b32 s18, s9, s31
	s_cselect_b32 s21, s8, s30
	s_mul_hi_i32 s9, s11, s6
	s_mul_i32 s8, s11, s6
	s_lshl_b64 s[8:9], s[8:9], 1
	s_add_u32 s24, s21, s8
	s_addc_u32 s18, s18, s9
	s_and_b64 s[8:9], vcc, exec
	s_mov_b32 s11, 0x20000
	s_cselect_b32 s8, s26, s12
	s_cselect_b32 s9, s27, s13
	s_and_b32 s25, s18, 0xffff
	s_mov_b32 s26, s10
	s_mov_b32 s27, s11
	s_and_b32 s9, s9, 0xffff
	buffer_load_dwordx4 v[14:17], v19, s[24:27], 0 offen
	buffer_load_dwordx4 v[10:13], v19, s[24:27], 16 offen
	;; [unrolled: 1-line block ×4, first 2 shown]
.LBB887_3:
	s_or_b64 exec, exec, s[0:1]
	v_mov_b32_e32 v19, 0
	v_mov_b32_e32 v24, 0
	;; [unrolled: 1-line block ×15, first 2 shown]
	s_and_saveexec_b64 s[0:1], s[2:3]
	s_cbranch_execz .LBB887_5
; %bb.4:
	s_waitcnt vmcnt(3)
	v_cvt_f32_f16_sdwa v19, v14 dst_sel:DWORD dst_unused:UNUSED_PAD src0_sel:WORD_1
	v_cvt_f32_f16_e32 v18, v14
	v_cvt_f32_f16_sdwa v25, v15 dst_sel:DWORD dst_unused:UNUSED_PAD src0_sel:WORD_1
	v_cvt_f32_f16_e32 v24, v15
	;; [unrolled: 2-line block ×4, first 2 shown]
	s_waitcnt vmcnt(2)
	v_cvt_f32_f16_sdwa v33, v10 dst_sel:DWORD dst_unused:UNUSED_PAD src0_sel:WORD_1
	v_cvt_f32_f16_e32 v32, v10
	v_cvt_f32_f16_sdwa v31, v11 dst_sel:DWORD dst_unused:UNUSED_PAD src0_sel:WORD_1
	v_cvt_f32_f16_e32 v30, v11
	;; [unrolled: 2-line block ×4, first 2 shown]
.LBB887_5:
	s_or_b64 exec, exec, s[0:1]
	s_waitcnt vmcnt(2)
	v_mul_f32_e32 v10, v19, v19
	v_fmac_f32_e32 v10, v18, v18
	v_fmac_f32_e32 v10, v24, v24
	;; [unrolled: 1-line block ×15, first 2 shown]
	v_and_b32_e32 v12, 63, v0
	v_cmp_eq_u32_e64 s[0:1], 63, v12
	v_mov_b32_dpp v11, v10 quad_perm:[1,0,3,2] row_mask:0xf bank_mask:0xf
	v_add_f32_e32 v10, v10, v11
	s_nop 1
	v_mov_b32_dpp v11, v10 quad_perm:[2,3,0,1] row_mask:0xf bank_mask:0xf
	v_add_f32_e32 v10, v10, v11
	s_nop 1
	v_mov_b32_dpp v11, v10 row_half_mirror row_mask:0xf bank_mask:0xf
	v_add_f32_e32 v10, v10, v11
	s_nop 1
	v_mov_b32_dpp v11, v10 row_mirror row_mask:0xf bank_mask:0xf
	v_add_f32_e32 v10, v10, v11
	s_nop 1
	v_mov_b32_dpp v11, v10 row_bcast:15 row_mask:0xf bank_mask:0xf
	v_add_f32_e32 v10, v10, v11
	s_nop 1
	v_mov_b32_dpp v11, v10 row_bcast:31 row_mask:0xf bank_mask:0xf
	s_and_saveexec_b64 s[8:9], s[0:1]
	s_cbranch_execz .LBB887_7
; %bb.6:
	v_add_f32_e32 v10, v10, v11
	v_lshrrev_b32_e32 v11, 4, v0
	v_and_b32_e32 v11, 60, v11
	ds_write_b32 v11, v10 offset:16
.LBB887_7:
	s_or_b64 exec, exec, s[8:9]
	v_and_b32_e32 v10, 3, v0
	v_lshlrev_b32_e32 v34, 2, v10
	s_waitcnt lgkmcnt(0)
	s_barrier
	ds_read_b32 v10, v34 offset:16
	s_load_dwordx2 s[28:29], s[4:5], 0x18
	s_waitcnt lgkmcnt(0)
	v_mov_b32_dpp v11, v10 quad_perm:[1,0,3,2] row_mask:0xf bank_mask:0xf
	v_add_f32_e32 v10, v10, v11
	s_nop 1
	v_mov_b32_dpp v11, v10 quad_perm:[2,3,0,1] row_mask:0xf bank_mask:0xf
	s_and_saveexec_b64 s[8:9], s[2:3]
	s_cbranch_execz .LBB887_9
; %bb.8:
	v_cvt_f32_u32_e32 v12, s7
	v_add_f32_e32 v10, v10, v11
	v_mov_b32_e32 v14, s17
	v_mov_b32_e32 v15, s16
	v_div_scale_f32 v11, s[24:25], v12, v12, v10
	v_rcp_f32_e32 v13, v11
	v_cndmask_b32_e32 v14, v14, v15, vcc
	s_mov_b32 s7, 0x800000
	v_fma_f32 v15, -v11, v13, 1.0
	v_fmac_f32_e32 v13, v15, v13
	v_div_scale_f32 v15, vcc, v10, v12, v10
	v_mul_f32_e32 v16, v15, v13
	v_fma_f32 v17, -v11, v16, v15
	v_fmac_f32_e32 v16, v17, v13
	v_fma_f32 v11, -v11, v16, v15
	v_div_fmas_f32 v11, v11, v13, v16
	v_div_fixup_f32 v10, v11, v12, v10
	v_add_f32_e32 v10, v14, v10
	v_mul_f32_e32 v11, 0x4b800000, v10
	v_cmp_gt_f32_e32 vcc, s7, v10
	v_cndmask_b32_e32 v10, v10, v11, vcc
	v_rsq_f32_e32 v10, v10
	v_mul_f32_e32 v11, 0x45800000, v10
	v_cndmask_b32_e32 v10, v10, v11, vcc
	v_mov_b32_e32 v11, v10
	;;#ASMSTART
	v_pk_mul_f32 v[12:13], v[18:19], v[10:11]
	;;#ASMEND
	;;#ASMSTART
	v_pk_mul_f32 v[14:15], v[24:25], v[10:11]
	;;#ASMEND
	;; [unrolled: 3-line block ×8, first 2 shown]
	s_waitcnt vmcnt(1)
	v_cvt_f32_f16_sdwa v19, v6 dst_sel:DWORD dst_unused:UNUSED_PAD src0_sel:WORD_1
	v_cvt_f32_f16_e32 v18, v6
	v_cvt_f32_f16_sdwa v21, v7 dst_sel:DWORD dst_unused:UNUSED_PAD src0_sel:WORD_1
	v_cvt_f32_f16_e32 v20, v7
	;; [unrolled: 2-line block ×4, first 2 shown]
	;;#ASMSTART
	v_pk_mul_f32 v[18:19], v[12:13], v[18:19]
	;;#ASMEND
	;;#ASMSTART
	v_pk_mul_f32 v[24:25], v[14:15], v[20:21]
	;;#ASMEND
	;; [unrolled: 3-line block ×4, first 2 shown]
	s_waitcnt vmcnt(0)
	v_cvt_f32_f16_sdwa v7, v2 dst_sel:DWORD dst_unused:UNUSED_PAD src0_sel:WORD_1
	v_cvt_f32_f16_e32 v6, v2
	v_cvt_f32_f16_sdwa v9, v3 dst_sel:DWORD dst_unused:UNUSED_PAD src0_sel:WORD_1
	v_cvt_f32_f16_e32 v8, v3
	;; [unrolled: 2-line block ×4, first 2 shown]
	;;#ASMSTART
	v_pk_mul_f32 v[32:33], v[32:33], v[6:7]
	;;#ASMEND
	;;#ASMSTART
	v_pk_mul_f32 v[30:31], v[30:31], v[8:9]
	;;#ASMEND
	;; [unrolled: 3-line block ×4, first 2 shown]
.LBB887_9:
	s_or_b64 exec, exec, s[8:9]
	s_load_dword s7, s[4:5], 0x80
	s_mov_b64 s[8:9], -1
	s_and_b64 vcc, exec, s[14:15]
	s_cbranch_vccnz .LBB887_13
; %bb.10:
	s_andn2_b64 vcc, exec, s[8:9]
	s_cbranch_vccz .LBB887_16
.LBB887_11:
	s_cmp_lt_i32 s20, 1
	s_cbranch_scc0 .LBB887_23
.LBB887_12:
	s_endpgm
.LBB887_13:
	s_and_saveexec_b64 s[14:15], s[2:3]
	s_cbranch_execz .LBB887_15
; %bb.14:
	s_waitcnt lgkmcnt(0)
	s_mul_hi_i32 s9, s7, s6
	s_mul_i32 s8, s7, s6
	s_waitcnt vmcnt(0)
	v_cvt_f16_f32_e32 v2, v18
	v_cvt_f16_f32_e32 v3, v24
	;; [unrolled: 1-line block ×8, first 2 shown]
	s_lshl_b64 s[8:9], s[8:9], 1
	s_add_u32 s8, s28, s8
	s_addc_u32 s9, s29, s9
	s_and_b32 s9, s9, 0xffff
	s_mov_b32 s11, 0x20000
	v_pack_b32_f16 v5, v5, v6
	v_pack_b32_f16 v4, v4, v7
	;; [unrolled: 1-line block ×4, first 2 shown]
	v_lshlrev_b32_e32 v6, 5, v0
	buffer_store_dwordx4 v[2:5], v6, s[8:11], 0 offen
	v_cvt_f16_f32_e32 v7, v29
	v_cvt_f16_f32_e32 v2, v32
	;; [unrolled: 1-line block ×8, first 2 shown]
	v_pack_b32_f16 v5, v5, v7
	v_pack_b32_f16 v4, v4, v8
	;; [unrolled: 1-line block ×4, first 2 shown]
	;;#ASMSTART
	s_nop 0
	;;#ASMEND
	buffer_store_dwordx4 v[2:5], v6, s[8:11], 16 offen
	;;#ASMSTART
	s_nop 0
	;;#ASMEND
.LBB887_15:
	s_or_b64 exec, exec, s[14:15]
	s_cbranch_execnz .LBB887_11
.LBB887_16:
	s_waitcnt vmcnt(0)
	v_mov_b32_e32 v2, 0
	s_and_saveexec_b64 s[8:9], s[2:3]
	s_cbranch_execz .LBB887_18
; %bb.17:
	v_and_b32_e32 v2, 0x7fffffff, v18
	v_and_b32_e32 v3, 0x7fffffff, v19
	v_mov_b32_e32 v4, 0x2edbe6ff
	;;#ASMSTART
	v_max3_f32 v2, v4, v2, v3

	;;#ASMEND
	v_and_b32_e32 v3, 0x7fffffff, v24
	v_and_b32_e32 v4, 0x7fffffff, v25
	;;#ASMSTART
	v_max3_f32 v2, v2, v3, v4

	;;#ASMEND
	v_and_b32_e32 v3, 0x7fffffff, v20
	v_and_b32_e32 v4, 0x7fffffff, v21
	;; [unrolled: 6-line block ×7, first 2 shown]
	;;#ASMSTART
	v_max3_f32 v2, v2, v3, v4

	;;#ASMEND
.LBB887_18:
	s_or_b64 exec, exec, s[8:9]
	s_load_dwordx4 s[24:27], s[4:5], 0x70
	;;#ASMSTART
	v_max_f32 v3, v2, v2 quad_perm:[1,0,3,2] row_mask:0xf bank_mask:0xf bound_ctrl:1
	;;#ASMEND
	v_and_b32_e32 v2, 1, v0
	v_cmp_eq_u32_e32 vcc, 0, v2
	v_cmp_gt_i32_e64 s[8:9], s19, v1
	s_and_b64 s[10:11], vcc, s[8:9]
	s_and_saveexec_b64 s[8:9], s[10:11]
	s_cbranch_execz .LBB887_20
; %bb.19:
	s_load_dwordx2 s[10:11], s[4:5], 0x8
	v_mul_f32_e32 v2, 0x3e2aaaab, v3
	v_lshrrev_b32_e32 v3, 23, v2
	v_and_b32_e32 v4, 0x7f800000, v2
	v_and_b32_e32 v2, 0x7fffff, v2
	v_cmp_ne_u32_e32 vcc, 0, v2
	s_waitcnt lgkmcnt(0)
	s_mul_i32 s16, s25, s6
	s_mov_b32 s14, 0x7f800000
	v_addc_co_u32_e32 v2, vcc, 0, v3, vcc
	s_mul_hi_i32 s15, s25, s6
	s_add_u32 s10, s10, s16
	v_cmp_ne_u32_e32 vcc, s14, v4
	s_addc_u32 s11, s11, s15
	v_lshrrev_b32_e32 v5, 1, v0
	v_cndmask_b32_e32 v4, -1, v2, vcc
	v_pk_mov_b32 v[2:3], s[10:11], s[10:11] op_sel:[0,1]
	v_mad_i64_i32 v[2:3], s[10:11], s26, v5, v[2:3]
	global_store_byte v[2:3], v4, off
.LBB887_20:
	s_or_b64 exec, exec, s[8:9]
	s_and_saveexec_b64 s[8:9], s[2:3]
	s_cbranch_execz .LBB887_22
; %bb.21:
	s_load_dwordx2 s[2:3], s[4:5], 0x0
	s_waitcnt lgkmcnt(0)
	s_mul_i32 s11, s24, s6
	s_mul_hi_i32 s10, s24, s6
	v_mov_b32_e32 v2, 0
	v_lshlrev_b32_e32 v4, 3, v0
	s_add_u32 s24, s2, s11
	s_addc_u32 s2, s3, s10
	s_lshr_b32 s3, s19, 31
	s_add_i32 s3, s19, s3
	s_ashr_i32 s3, s3, 1
	s_add_i32 s3, s3, 3
	s_ashr_i32 s10, s3, 31
	s_lshr_b32 s10, s10, 30
	s_add_i32 s3, s3, s10
	s_and_b32 s26, s3, -4
	s_and_b32 s25, s2, 0xffff
	s_mov_b32 s27, 0x20000
	v_mov_b32_e32 v3, v2
	buffer_store_dwordx2 v[2:3], v4, s[24:27], 0 offen
	;;#ASMSTART
	s_nop 0
	;;#ASMEND
.LBB887_22:
	s_or_b64 exec, exec, s[8:9]
	s_cmp_lt_i32 s20, 1
	s_cbranch_scc1 .LBB887_12
.LBB887_23:
	s_load_dword s2, s[4:5], 0x94
	s_waitcnt lgkmcnt(0)
	s_cmp_lg_u32 s2, 1
	s_cbranch_scc1 .LBB887_12
; %bb.24:
	s_lshl_b32 s2, s20, 1
	s_add_i32 s2, s2, 2
	v_cmp_gt_u32_e32 vcc, s20, v1
	s_and_b32 s14, s2, -4
	v_mov_b32_e32 v18, 0
	v_lshlrev_b32_e32 v1, 5, v0
	v_mov_b32_e32 v14, 0
	v_mov_b32_e32 v15, 0
	;; [unrolled: 1-line block ×8, first 2 shown]
	s_waitcnt vmcnt(1)
	v_mov_b32_e32 v6, 0
	v_mov_b32_e32 v7, 0
	;; [unrolled: 1-line block ×4, first 2 shown]
	s_waitcnt vmcnt(0)
	v_mov_b32_e32 v2, 0
	v_mov_b32_e32 v3, 0
	;; [unrolled: 1-line block ×4, first 2 shown]
	s_barrier
	s_and_saveexec_b64 s[2:3], vcc
	s_cbranch_execz .LBB887_26
; %bb.25:
	s_mul_hi_i32 s5, s22, s6
	s_mul_i32 s4, s22, s6
	s_and_b32 s13, s13, 0xffff
	s_lshl_b64 s[4:5], s[4:5], 1
	s_add_u32 s8, s30, s4
	s_mov_b32 s15, 0x20000
	s_addc_u32 s4, s31, s5
	s_and_b32 s9, s4, 0xffff
	s_mov_b32 s10, s14
	s_mov_b32 s11, s15
	buffer_load_dwordx4 v[14:17], v1, s[8:11], 0 offen
	buffer_load_dwordx4 v[10:13], v1, s[8:11], 16 offen
	;; [unrolled: 1-line block ×4, first 2 shown]
.LBB887_26:
	s_or_b64 exec, exec, s[2:3]
	v_mov_b32_e32 v19, 0
	v_mov_b32_e32 v32, 0
	;; [unrolled: 1-line block ×15, first 2 shown]
	s_and_saveexec_b64 s[2:3], vcc
	s_cbranch_execz .LBB887_28
; %bb.27:
	s_waitcnt vmcnt(3)
	v_cvt_f32_f16_sdwa v19, v14 dst_sel:DWORD dst_unused:UNUSED_PAD src0_sel:WORD_1
	v_cvt_f32_f16_e32 v18, v14
	v_cvt_f32_f16_sdwa v33, v15 dst_sel:DWORD dst_unused:UNUSED_PAD src0_sel:WORD_1
	v_cvt_f32_f16_e32 v32, v15
	;; [unrolled: 2-line block ×4, first 2 shown]
	s_waitcnt vmcnt(2)
	v_cvt_f32_f16_sdwa v27, v10 dst_sel:DWORD dst_unused:UNUSED_PAD src0_sel:WORD_1
	v_cvt_f32_f16_e32 v26, v10
	v_cvt_f32_f16_sdwa v25, v11 dst_sel:DWORD dst_unused:UNUSED_PAD src0_sel:WORD_1
	v_cvt_f32_f16_e32 v24, v11
	;; [unrolled: 2-line block ×4, first 2 shown]
.LBB887_28:
	s_or_b64 exec, exec, s[2:3]
	s_waitcnt vmcnt(2)
	v_mul_f32_e32 v10, v19, v19
	v_fmac_f32_e32 v10, v18, v18
	v_fmac_f32_e32 v10, v32, v32
	;; [unrolled: 1-line block ×15, first 2 shown]
	s_nop 1
	v_mov_b32_dpp v11, v10 quad_perm:[1,0,3,2] row_mask:0xf bank_mask:0xf
	v_add_f32_e32 v10, v10, v11
	s_nop 1
	v_mov_b32_dpp v11, v10 quad_perm:[2,3,0,1] row_mask:0xf bank_mask:0xf
	v_add_f32_e32 v10, v10, v11
	s_nop 1
	v_mov_b32_dpp v11, v10 row_half_mirror row_mask:0xf bank_mask:0xf
	v_add_f32_e32 v10, v10, v11
	s_nop 1
	v_mov_b32_dpp v11, v10 row_mirror row_mask:0xf bank_mask:0xf
	v_add_f32_e32 v10, v10, v11
	s_nop 1
	v_mov_b32_dpp v11, v10 row_bcast:15 row_mask:0xf bank_mask:0xf
	v_add_f32_e32 v10, v10, v11
	s_nop 1
	v_mov_b32_dpp v11, v10 row_bcast:31 row_mask:0xf bank_mask:0xf
	s_and_saveexec_b64 s[2:3], s[0:1]
	s_cbranch_execz .LBB887_30
; %bb.29:
	v_lshrrev_b32_e32 v0, 4, v0
	v_add_f32_e32 v10, v10, v11
	v_and_b32_e32 v0, 60, v0
	ds_write_b32 v0, v10
.LBB887_30:
	s_or_b64 exec, exec, s[2:3]
	s_waitcnt lgkmcnt(0)
	s_barrier
	ds_read_b32 v0, v34
	s_waitcnt lgkmcnt(0)
	s_nop 0
	v_mov_b32_dpp v10, v0 quad_perm:[1,0,3,2] row_mask:0xf bank_mask:0xf
	v_add_f32_e32 v0, v0, v10
	s_nop 1
	v_mov_b32_dpp v10, v0 quad_perm:[2,3,0,1] row_mask:0xf bank_mask:0xf
	s_and_saveexec_b64 s[0:1], vcc
	s_cbranch_execz .LBB887_12
; %bb.31:
	v_cvt_f32_u32_e32 v11, s20
	v_add_f32_e32 v0, v0, v10
	s_mov_b32 s15, 0x20000
	v_div_scale_f32 v10, s[0:1], v11, v11, v0
	v_rcp_f32_e32 v12, v10
	v_div_scale_f32 v13, vcc, v0, v11, v0
	s_mov_b32 s0, 0x800000
	v_fma_f32 v14, -v10, v12, 1.0
	v_fmac_f32_e32 v12, v14, v12
	v_mul_f32_e32 v14, v13, v12
	v_fma_f32 v15, -v10, v14, v13
	v_fmac_f32_e32 v14, v15, v12
	v_fma_f32 v10, -v10, v14, v13
	v_div_fmas_f32 v10, v10, v12, v14
	v_div_fixup_f32 v0, v10, v11, v0
	v_add_f32_e32 v0, s17, v0
	v_mul_f32_e32 v10, 0x4b800000, v0
	v_cmp_gt_f32_e32 vcc, s0, v0
	v_cndmask_b32_e32 v0, v0, v10, vcc
	v_rsq_f32_e32 v0, v0
	s_mul_hi_i32 s1, s7, s6
	s_mul_i32 s0, s7, s6
	s_lshl_b64 s[0:1], s[0:1], 1
	v_mul_f32_e32 v10, 0x45800000, v0
	v_cndmask_b32_e32 v10, v0, v10, vcc
	v_mov_b32_e32 v11, v10
	;;#ASMSTART
	v_pk_mul_f32 v[12:13], v[18:19], v[10:11]
	;;#ASMEND
	;;#ASMSTART
	v_pk_mul_f32 v[14:15], v[32:33], v[10:11]
	;;#ASMEND
	;; [unrolled: 3-line block ×8, first 2 shown]
	s_waitcnt vmcnt(1)
	v_cvt_f32_f16_sdwa v21, v6 dst_sel:DWORD dst_unused:UNUSED_PAD src0_sel:WORD_1
	v_cvt_f32_f16_e32 v20, v6
	v_cvt_f32_f16_sdwa v29, v7 dst_sel:DWORD dst_unused:UNUSED_PAD src0_sel:WORD_1
	v_cvt_f32_f16_e32 v28, v7
	;; [unrolled: 2-line block ×4, first 2 shown]
	;;#ASMSTART
	v_pk_mul_f32 v[8:9], v[12:13], v[20:21]
	;;#ASMEND
	;;#ASMSTART
	v_pk_mul_f32 v[12:13], v[14:15], v[28:29]
	;;#ASMEND
	;; [unrolled: 3-line block ×4, first 2 shown]
	s_waitcnt vmcnt(0)
	v_cvt_f32_f16_sdwa v17, v2 dst_sel:DWORD dst_unused:UNUSED_PAD src0_sel:WORD_1
	v_cvt_f32_f16_e32 v16, v2
	v_cvt_f32_f16_sdwa v19, v3 dst_sel:DWORD dst_unused:UNUSED_PAD src0_sel:WORD_1
	v_cvt_f32_f16_e32 v18, v3
	;; [unrolled: 2-line block ×4, first 2 shown]
	;;#ASMSTART
	v_pk_mul_f32 v[16:17], v[26:27], v[16:17]
	;;#ASMEND
	;;#ASMSTART
	v_pk_mul_f32 v[18:19], v[24:25], v[18:19]
	;;#ASMEND
	;; [unrolled: 3-line block ×3, first 2 shown]
	v_cvt_f16_f32_e32 v0, v8
	v_cvt_f16_f32_e32 v2, v9
	;; [unrolled: 1-line block ×8, first 2 shown]
	s_add_u32 s12, s28, s0
	s_addc_u32 s0, s29, s1
	s_and_b32 s13, s0, 0xffff
	v_pack_b32_f16 v2, v0, v2
	v_pack_b32_f16 v3, v3, v4
	;; [unrolled: 1-line block ×4, first 2 shown]
	;;#ASMSTART
	v_pk_mul_f32 v[10:11], v[10:11], v[20:21]
	;;#ASMEND
	buffer_store_dwordx4 v[2:5], v1, s[12:15], 0 offen
	v_cvt_f16_f32_e32 v0, v16
	v_cvt_f16_f32_e32 v2, v17
	;; [unrolled: 1-line block ×8, first 2 shown]
	v_pack_b32_f16 v2, v0, v2
	v_pack_b32_f16 v3, v3, v4
	;; [unrolled: 1-line block ×4, first 2 shown]
	;;#ASMSTART
	s_nop 0
	;;#ASMEND
	buffer_store_dwordx4 v[2:5], v1, s[12:15], 16 offen
	;;#ASMSTART
	s_nop 0
	;;#ASMEND
	s_endpgm
	.section	.rodata,"a",@progbits
	.p2align	6, 0x0
	.amdhsa_kernel _ZN5aiter35fused_qk_rmsnorm_group_quant_kernelIDF16_N4opus5fp4_tELi256ELi16ELi2ELb0ELb0ELb0ELb0ELb0ELb0EEEvPT0_PvPT_S7_S7_PKS6_S9_S9_S9_S9_ffiiiiiiiiiiiii
		.amdhsa_group_segment_fixed_size 32
		.amdhsa_private_segment_fixed_size 0
		.amdhsa_kernarg_size 400
		.amdhsa_user_sgpr_count 6
		.amdhsa_user_sgpr_private_segment_buffer 1
		.amdhsa_user_sgpr_dispatch_ptr 0
		.amdhsa_user_sgpr_queue_ptr 0
		.amdhsa_user_sgpr_kernarg_segment_ptr 1
		.amdhsa_user_sgpr_dispatch_id 0
		.amdhsa_user_sgpr_flat_scratch_init 0
		.amdhsa_user_sgpr_kernarg_preload_length 0
		.amdhsa_user_sgpr_kernarg_preload_offset 0
		.amdhsa_user_sgpr_private_segment_size 0
		.amdhsa_uses_dynamic_stack 0
		.amdhsa_system_sgpr_private_segment_wavefront_offset 0
		.amdhsa_system_sgpr_workgroup_id_x 1
		.amdhsa_system_sgpr_workgroup_id_y 1
		.amdhsa_system_sgpr_workgroup_id_z 0
		.amdhsa_system_sgpr_workgroup_info 0
		.amdhsa_system_vgpr_workitem_id 0
		.amdhsa_next_free_vgpr 35
		.amdhsa_next_free_sgpr 32
		.amdhsa_accum_offset 36
		.amdhsa_reserve_vcc 1
		.amdhsa_reserve_flat_scratch 0
		.amdhsa_float_round_mode_32 0
		.amdhsa_float_round_mode_16_64 0
		.amdhsa_float_denorm_mode_32 3
		.amdhsa_float_denorm_mode_16_64 3
		.amdhsa_dx10_clamp 1
		.amdhsa_ieee_mode 1
		.amdhsa_fp16_overflow 0
		.amdhsa_tg_split 0
		.amdhsa_exception_fp_ieee_invalid_op 0
		.amdhsa_exception_fp_denorm_src 0
		.amdhsa_exception_fp_ieee_div_zero 0
		.amdhsa_exception_fp_ieee_overflow 0
		.amdhsa_exception_fp_ieee_underflow 0
		.amdhsa_exception_fp_ieee_inexact 0
		.amdhsa_exception_int_div_zero 0
	.end_amdhsa_kernel
	.section	.text._ZN5aiter35fused_qk_rmsnorm_group_quant_kernelIDF16_N4opus5fp4_tELi256ELi16ELi2ELb0ELb0ELb0ELb0ELb0ELb0EEEvPT0_PvPT_S7_S7_PKS6_S9_S9_S9_S9_ffiiiiiiiiiiiii,"axG",@progbits,_ZN5aiter35fused_qk_rmsnorm_group_quant_kernelIDF16_N4opus5fp4_tELi256ELi16ELi2ELb0ELb0ELb0ELb0ELb0ELb0EEEvPT0_PvPT_S7_S7_PKS6_S9_S9_S9_S9_ffiiiiiiiiiiiii,comdat
.Lfunc_end887:
	.size	_ZN5aiter35fused_qk_rmsnorm_group_quant_kernelIDF16_N4opus5fp4_tELi256ELi16ELi2ELb0ELb0ELb0ELb0ELb0ELb0EEEvPT0_PvPT_S7_S7_PKS6_S9_S9_S9_S9_ffiiiiiiiiiiiii, .Lfunc_end887-_ZN5aiter35fused_qk_rmsnorm_group_quant_kernelIDF16_N4opus5fp4_tELi256ELi16ELi2ELb0ELb0ELb0ELb0ELb0ELb0EEEvPT0_PvPT_S7_S7_PKS6_S9_S9_S9_S9_ffiiiiiiiiiiiii
                                        ; -- End function
	.section	.AMDGPU.csdata,"",@progbits
; Kernel info:
; codeLenInByte = 3104
; NumSgprs: 36
; NumVgprs: 35
; NumAgprs: 0
; TotalNumVgprs: 35
; ScratchSize: 0
; MemoryBound: 0
; FloatMode: 240
; IeeeMode: 1
; LDSByteSize: 32 bytes/workgroup (compile time only)
; SGPRBlocks: 4
; VGPRBlocks: 4
; NumSGPRsForWavesPerEU: 36
; NumVGPRsForWavesPerEU: 35
; AccumOffset: 36
; Occupancy: 8
; WaveLimiterHint : 0
; COMPUTE_PGM_RSRC2:SCRATCH_EN: 0
; COMPUTE_PGM_RSRC2:USER_SGPR: 6
; COMPUTE_PGM_RSRC2:TRAP_HANDLER: 0
; COMPUTE_PGM_RSRC2:TGID_X_EN: 1
; COMPUTE_PGM_RSRC2:TGID_Y_EN: 1
; COMPUTE_PGM_RSRC2:TGID_Z_EN: 0
; COMPUTE_PGM_RSRC2:TIDIG_COMP_CNT: 0
; COMPUTE_PGM_RSRC3_GFX90A:ACCUM_OFFSET: 8
; COMPUTE_PGM_RSRC3_GFX90A:TG_SPLIT: 0
	.section	.text._ZN5aiter35fused_qk_rmsnorm_group_quant_kernelItN4opus5fp4_tELi256ELi16ELi2ELb0ELb0ELb0ELb0ELb0ELb0EEEvPT0_PvPT_S7_S7_PKS6_S9_S9_S9_S9_ffiiiiiiiiiiiii,"axG",@progbits,_ZN5aiter35fused_qk_rmsnorm_group_quant_kernelItN4opus5fp4_tELi256ELi16ELi2ELb0ELb0ELb0ELb0ELb0ELb0EEEvPT0_PvPT_S7_S7_PKS6_S9_S9_S9_S9_ffiiiiiiiiiiiii,comdat
	.protected	_ZN5aiter35fused_qk_rmsnorm_group_quant_kernelItN4opus5fp4_tELi256ELi16ELi2ELb0ELb0ELb0ELb0ELb0ELb0EEEvPT0_PvPT_S7_S7_PKS6_S9_S9_S9_S9_ffiiiiiiiiiiiii ; -- Begin function _ZN5aiter35fused_qk_rmsnorm_group_quant_kernelItN4opus5fp4_tELi256ELi16ELi2ELb0ELb0ELb0ELb0ELb0ELb0EEEvPT0_PvPT_S7_S7_PKS6_S9_S9_S9_S9_ffiiiiiiiiiiiii
	.globl	_ZN5aiter35fused_qk_rmsnorm_group_quant_kernelItN4opus5fp4_tELi256ELi16ELi2ELb0ELb0ELb0ELb0ELb0ELb0EEEvPT0_PvPT_S7_S7_PKS6_S9_S9_S9_S9_ffiiiiiiiiiiiii
	.p2align	8
	.type	_ZN5aiter35fused_qk_rmsnorm_group_quant_kernelItN4opus5fp4_tELi256ELi16ELi2ELb0ELb0ELb0ELb0ELb0ELb0EEEvPT0_PvPT_S7_S7_PKS6_S9_S9_S9_S9_ffiiiiiiiiiiiii,@function
_ZN5aiter35fused_qk_rmsnorm_group_quant_kernelItN4opus5fp4_tELi256ELi16ELi2ELb0ELb0ELb0ELb0ELb0ELb0EEEvPT0_PvPT_S7_S7_PKS6_S9_S9_S9_S9_ffiiiiiiiiiiiii: ; @_ZN5aiter35fused_qk_rmsnorm_group_quant_kernelItN4opus5fp4_tELi256ELi16ELi2ELb0ELb0ELb0ELb0ELb0ELb0EEEvPT0_PvPT_S7_S7_PKS6_S9_S9_S9_S9_ffiiiiiiiiiiiii
; %bb.0:
	s_load_dwordx4 s[16:19], s[4:5], 0x50
	s_waitcnt lgkmcnt(0)
	s_cmp_ge_i32 s6, s18
	s_cbranch_scc1 .LBB888_12
; %bb.1:
	s_load_dwordx2 s[12:13], s[4:5], 0x48
	s_load_dwordx2 s[30:31], s[4:5], 0x30
	s_load_dwordx4 s[20:23], s[4:5], 0x60
	s_cmp_lg_u32 s7, 0
	s_cselect_b64 s[14:15], -1, 0
	s_cmp_eq_u32 s7, 0
	s_cselect_b64 vcc, -1, 0
	s_and_b64 s[0:1], vcc, exec
	s_waitcnt lgkmcnt(0)
	s_cselect_b32 s7, s19, s20
	s_add_i32 s0, s7, 1
	s_lshr_b32 s1, s0, 31
	s_add_i32 s0, s0, s1
	s_lshl_b32 s0, s0, 1
	v_lshlrev_b32_e32 v1, 4, v0
	s_and_b32 s10, s0, -4
	v_cmp_gt_i32_e64 s[2:3], s7, v1
	v_mov_b32_e32 v18, 0
	v_mov_b32_e32 v6, 0
	;; [unrolled: 1-line block ×17, first 2 shown]
	s_and_saveexec_b64 s[0:1], s[2:3]
	s_cbranch_execz .LBB888_3
; %bb.2:
	s_load_dwordx2 s[8:9], s[4:5], 0x28
	s_load_dwordx2 s[26:27], s[4:5], 0x40
	s_and_b64 s[24:25], vcc, exec
	s_cselect_b32 s11, s21, s22
	v_lshlrev_b32_e32 v19, 5, v0
	s_waitcnt lgkmcnt(0)
	s_cselect_b32 s18, s9, s31
	s_cselect_b32 s21, s8, s30
	s_mul_hi_i32 s9, s11, s6
	s_mul_i32 s8, s11, s6
	s_lshl_b64 s[8:9], s[8:9], 1
	s_add_u32 s24, s21, s8
	s_addc_u32 s18, s18, s9
	s_and_b64 s[8:9], vcc, exec
	s_mov_b32 s11, 0x20000
	s_cselect_b32 s8, s26, s12
	s_cselect_b32 s9, s27, s13
	s_and_b32 s25, s18, 0xffff
	s_mov_b32 s26, s10
	s_mov_b32 s27, s11
	s_and_b32 s9, s9, 0xffff
	buffer_load_dwordx4 v[14:17], v19, s[24:27], 0 offen
	buffer_load_dwordx4 v[10:13], v19, s[24:27], 16 offen
	buffer_load_dwordx4 v[6:9], v19, s[8:11], 0 offen
	buffer_load_dwordx4 v[2:5], v19, s[8:11], 16 offen
.LBB888_3:
	s_or_b64 exec, exec, s[0:1]
	v_mov_b32_e32 v19, 0
	v_mov_b32_e32 v24, 0
	;; [unrolled: 1-line block ×15, first 2 shown]
	s_and_saveexec_b64 s[0:1], s[2:3]
	s_cbranch_execz .LBB888_5
; %bb.4:
	s_waitcnt vmcnt(3)
	v_cvt_f32_u32_sdwa v18, v14 dst_sel:DWORD dst_unused:UNUSED_PAD src0_sel:WORD_0
	v_cvt_f32_u32_sdwa v19, v14 dst_sel:DWORD dst_unused:UNUSED_PAD src0_sel:WORD_1
	v_cvt_f32_u32_sdwa v24, v15 dst_sel:DWORD dst_unused:UNUSED_PAD src0_sel:WORD_0
	v_cvt_f32_u32_sdwa v25, v15 dst_sel:DWORD dst_unused:UNUSED_PAD src0_sel:WORD_1
	;; [unrolled: 2-line block ×4, first 2 shown]
	s_waitcnt vmcnt(2)
	v_cvt_f32_u32_sdwa v32, v10 dst_sel:DWORD dst_unused:UNUSED_PAD src0_sel:WORD_0
	v_cvt_f32_u32_sdwa v33, v10 dst_sel:DWORD dst_unused:UNUSED_PAD src0_sel:WORD_1
	v_cvt_f32_u32_sdwa v30, v11 dst_sel:DWORD dst_unused:UNUSED_PAD src0_sel:WORD_0
	v_cvt_f32_u32_sdwa v31, v11 dst_sel:DWORD dst_unused:UNUSED_PAD src0_sel:WORD_1
	;; [unrolled: 2-line block ×4, first 2 shown]
.LBB888_5:
	s_or_b64 exec, exec, s[0:1]
	s_waitcnt vmcnt(2)
	v_mul_f32_e32 v10, v19, v19
	v_fmac_f32_e32 v10, v18, v18
	v_fmac_f32_e32 v10, v24, v24
	;; [unrolled: 1-line block ×15, first 2 shown]
	v_and_b32_e32 v12, 63, v0
	v_cmp_eq_u32_e64 s[0:1], 63, v12
	v_mov_b32_dpp v11, v10 quad_perm:[1,0,3,2] row_mask:0xf bank_mask:0xf
	v_add_f32_e32 v10, v10, v11
	s_nop 1
	v_mov_b32_dpp v11, v10 quad_perm:[2,3,0,1] row_mask:0xf bank_mask:0xf
	v_add_f32_e32 v10, v10, v11
	s_nop 1
	v_mov_b32_dpp v11, v10 row_half_mirror row_mask:0xf bank_mask:0xf
	v_add_f32_e32 v10, v10, v11
	s_nop 1
	v_mov_b32_dpp v11, v10 row_mirror row_mask:0xf bank_mask:0xf
	v_add_f32_e32 v10, v10, v11
	s_nop 1
	v_mov_b32_dpp v11, v10 row_bcast:15 row_mask:0xf bank_mask:0xf
	v_add_f32_e32 v10, v10, v11
	s_nop 1
	v_mov_b32_dpp v11, v10 row_bcast:31 row_mask:0xf bank_mask:0xf
	s_and_saveexec_b64 s[8:9], s[0:1]
	s_cbranch_execz .LBB888_7
; %bb.6:
	v_add_f32_e32 v10, v10, v11
	v_lshrrev_b32_e32 v11, 4, v0
	v_and_b32_e32 v11, 60, v11
	ds_write_b32 v11, v10 offset:16
.LBB888_7:
	s_or_b64 exec, exec, s[8:9]
	v_and_b32_e32 v10, 3, v0
	v_lshlrev_b32_e32 v34, 2, v10
	s_waitcnt lgkmcnt(0)
	s_barrier
	ds_read_b32 v10, v34 offset:16
	s_load_dwordx2 s[28:29], s[4:5], 0x18
	s_waitcnt lgkmcnt(0)
	v_mov_b32_dpp v11, v10 quad_perm:[1,0,3,2] row_mask:0xf bank_mask:0xf
	v_add_f32_e32 v10, v10, v11
	s_nop 1
	v_mov_b32_dpp v11, v10 quad_perm:[2,3,0,1] row_mask:0xf bank_mask:0xf
	s_and_saveexec_b64 s[8:9], s[2:3]
	s_cbranch_execz .LBB888_9
; %bb.8:
	v_cvt_f32_u32_e32 v12, s7
	v_add_f32_e32 v10, v10, v11
	v_mov_b32_e32 v14, s17
	v_mov_b32_e32 v15, s16
	v_div_scale_f32 v11, s[24:25], v12, v12, v10
	v_rcp_f32_e32 v13, v11
	v_cndmask_b32_e32 v14, v14, v15, vcc
	s_mov_b32 s7, 0x800000
	v_fma_f32 v15, -v11, v13, 1.0
	v_fmac_f32_e32 v13, v15, v13
	v_div_scale_f32 v15, vcc, v10, v12, v10
	v_mul_f32_e32 v16, v15, v13
	v_fma_f32 v17, -v11, v16, v15
	v_fmac_f32_e32 v16, v17, v13
	v_fma_f32 v11, -v11, v16, v15
	v_div_fmas_f32 v11, v11, v13, v16
	v_div_fixup_f32 v10, v11, v12, v10
	v_add_f32_e32 v10, v14, v10
	v_mul_f32_e32 v11, 0x4b800000, v10
	v_cmp_gt_f32_e32 vcc, s7, v10
	v_cndmask_b32_e32 v10, v10, v11, vcc
	v_rsq_f32_e32 v10, v10
	v_mul_f32_e32 v11, 0x45800000, v10
	v_cndmask_b32_e32 v10, v10, v11, vcc
	v_mov_b32_e32 v11, v10
	;;#ASMSTART
	v_pk_mul_f32 v[12:13], v[18:19], v[10:11]
	;;#ASMEND
	;;#ASMSTART
	v_pk_mul_f32 v[14:15], v[24:25], v[10:11]
	;;#ASMEND
	;; [unrolled: 3-line block ×8, first 2 shown]
	s_waitcnt vmcnt(1)
	v_cvt_f32_u32_sdwa v19, v6 dst_sel:DWORD dst_unused:UNUSED_PAD src0_sel:WORD_1
	v_cvt_f32_u32_sdwa v18, v6 dst_sel:DWORD dst_unused:UNUSED_PAD src0_sel:WORD_0
	v_cvt_f32_u32_sdwa v21, v7 dst_sel:DWORD dst_unused:UNUSED_PAD src0_sel:WORD_1
	v_cvt_f32_u32_sdwa v20, v7 dst_sel:DWORD dst_unused:UNUSED_PAD src0_sel:WORD_0
	;; [unrolled: 2-line block ×4, first 2 shown]
	;;#ASMSTART
	v_pk_mul_f32 v[18:19], v[12:13], v[18:19]
	;;#ASMEND
	;;#ASMSTART
	v_pk_mul_f32 v[24:25], v[14:15], v[20:21]
	;;#ASMEND
	;; [unrolled: 3-line block ×4, first 2 shown]
	s_waitcnt vmcnt(0)
	v_cvt_f32_u32_sdwa v7, v2 dst_sel:DWORD dst_unused:UNUSED_PAD src0_sel:WORD_1
	v_cvt_f32_u32_sdwa v6, v2 dst_sel:DWORD dst_unused:UNUSED_PAD src0_sel:WORD_0
	v_cvt_f32_u32_sdwa v9, v3 dst_sel:DWORD dst_unused:UNUSED_PAD src0_sel:WORD_1
	v_cvt_f32_u32_sdwa v8, v3 dst_sel:DWORD dst_unused:UNUSED_PAD src0_sel:WORD_0
	;; [unrolled: 2-line block ×4, first 2 shown]
	;;#ASMSTART
	v_pk_mul_f32 v[32:33], v[32:33], v[6:7]
	;;#ASMEND
	;;#ASMSTART
	v_pk_mul_f32 v[30:31], v[30:31], v[8:9]
	;;#ASMEND
	;; [unrolled: 3-line block ×4, first 2 shown]
.LBB888_9:
	s_or_b64 exec, exec, s[8:9]
	s_load_dword s7, s[4:5], 0x80
	s_mov_b64 s[8:9], -1
	s_and_b64 vcc, exec, s[14:15]
	s_cbranch_vccnz .LBB888_13
; %bb.10:
	s_andn2_b64 vcc, exec, s[8:9]
	s_cbranch_vccz .LBB888_16
.LBB888_11:
	s_cmp_lt_i32 s20, 1
	s_cbranch_scc0 .LBB888_23
.LBB888_12:
	s_endpgm
.LBB888_13:
	s_and_saveexec_b64 s[14:15], s[2:3]
	s_cbranch_execz .LBB888_15
; %bb.14:
	s_waitcnt lgkmcnt(0)
	s_mul_hi_i32 s9, s7, s6
	s_mul_i32 s8, s7, s6
	s_lshl_b64 s[8:9], s[8:9], 1
	s_add_u32 s8, s28, s8
	s_addc_u32 s9, s29, s9
	s_mov_b32 s16, 0x7060302
	s_and_b32 s9, s9, 0xffff
	s_mov_b32 s11, 0x20000
	s_waitcnt vmcnt(0)
	v_perm_b32 v5, v23, v22, s16
	v_perm_b32 v4, v21, v20, s16
	v_perm_b32 v3, v25, v24, s16
	v_perm_b32 v2, v19, v18, s16
	v_lshlrev_b32_e32 v6, 5, v0
	buffer_store_dwordx4 v[2:5], v6, s[8:11], 0 offen
	;;#ASMSTART
	s_nop 0
	;;#ASMEND
	s_nop 0
	v_perm_b32 v5, v29, v28, s16
	v_perm_b32 v4, v27, v26, s16
	;; [unrolled: 1-line block ×4, first 2 shown]
	buffer_store_dwordx4 v[2:5], v6, s[8:11], 16 offen
	;;#ASMSTART
	s_nop 0
	;;#ASMEND
.LBB888_15:
	s_or_b64 exec, exec, s[14:15]
	s_cbranch_execnz .LBB888_11
.LBB888_16:
	s_waitcnt vmcnt(0)
	v_mov_b32_e32 v2, 0
	s_and_saveexec_b64 s[8:9], s[2:3]
	s_cbranch_execz .LBB888_18
; %bb.17:
	v_and_b32_e32 v2, 0x7fffffff, v18
	v_and_b32_e32 v3, 0x7fffffff, v19
	v_mov_b32_e32 v4, 0x2edbe6ff
	;;#ASMSTART
	v_max3_f32 v2, v4, v2, v3

	;;#ASMEND
	v_and_b32_e32 v3, 0x7fffffff, v24
	v_and_b32_e32 v4, 0x7fffffff, v25
	;;#ASMSTART
	v_max3_f32 v2, v2, v3, v4

	;;#ASMEND
	v_and_b32_e32 v3, 0x7fffffff, v20
	v_and_b32_e32 v4, 0x7fffffff, v21
	;; [unrolled: 6-line block ×7, first 2 shown]
	;;#ASMSTART
	v_max3_f32 v2, v2, v3, v4

	;;#ASMEND
.LBB888_18:
	s_or_b64 exec, exec, s[8:9]
	s_load_dwordx4 s[24:27], s[4:5], 0x70
	;;#ASMSTART
	v_max_f32 v3, v2, v2 quad_perm:[1,0,3,2] row_mask:0xf bank_mask:0xf bound_ctrl:1
	;;#ASMEND
	v_and_b32_e32 v2, 1, v0
	v_cmp_eq_u32_e32 vcc, 0, v2
	v_cmp_gt_i32_e64 s[8:9], s19, v1
	s_and_b64 s[10:11], vcc, s[8:9]
	s_and_saveexec_b64 s[8:9], s[10:11]
	s_cbranch_execz .LBB888_20
; %bb.19:
	s_load_dwordx2 s[10:11], s[4:5], 0x8
	v_mul_f32_e32 v2, 0x3e2aaaab, v3
	v_lshrrev_b32_e32 v3, 23, v2
	v_and_b32_e32 v4, 0x7f800000, v2
	v_and_b32_e32 v2, 0x7fffff, v2
	v_cmp_ne_u32_e32 vcc, 0, v2
	s_waitcnt lgkmcnt(0)
	s_mul_i32 s16, s25, s6
	s_mov_b32 s14, 0x7f800000
	v_addc_co_u32_e32 v2, vcc, 0, v3, vcc
	s_mul_hi_i32 s15, s25, s6
	s_add_u32 s10, s10, s16
	v_cmp_ne_u32_e32 vcc, s14, v4
	s_addc_u32 s11, s11, s15
	v_lshrrev_b32_e32 v5, 1, v0
	v_cndmask_b32_e32 v4, -1, v2, vcc
	v_pk_mov_b32 v[2:3], s[10:11], s[10:11] op_sel:[0,1]
	v_mad_i64_i32 v[2:3], s[10:11], s26, v5, v[2:3]
	global_store_byte v[2:3], v4, off
.LBB888_20:
	s_or_b64 exec, exec, s[8:9]
	s_and_saveexec_b64 s[8:9], s[2:3]
	s_cbranch_execz .LBB888_22
; %bb.21:
	s_load_dwordx2 s[2:3], s[4:5], 0x0
	s_waitcnt lgkmcnt(0)
	s_mul_i32 s11, s24, s6
	s_mul_hi_i32 s10, s24, s6
	v_mov_b32_e32 v2, 0
	v_lshlrev_b32_e32 v4, 3, v0
	s_add_u32 s24, s2, s11
	s_addc_u32 s2, s3, s10
	s_lshr_b32 s3, s19, 31
	s_add_i32 s3, s19, s3
	s_ashr_i32 s3, s3, 1
	s_add_i32 s3, s3, 3
	s_ashr_i32 s10, s3, 31
	s_lshr_b32 s10, s10, 30
	s_add_i32 s3, s3, s10
	s_and_b32 s26, s3, -4
	s_and_b32 s25, s2, 0xffff
	s_mov_b32 s27, 0x20000
	v_mov_b32_e32 v3, v2
	buffer_store_dwordx2 v[2:3], v4, s[24:27], 0 offen
	;;#ASMSTART
	s_nop 0
	;;#ASMEND
.LBB888_22:
	s_or_b64 exec, exec, s[8:9]
	s_cmp_lt_i32 s20, 1
	s_cbranch_scc1 .LBB888_12
.LBB888_23:
	s_load_dword s2, s[4:5], 0x94
	s_waitcnt lgkmcnt(0)
	s_cmp_lg_u32 s2, 1
	s_cbranch_scc1 .LBB888_12
; %bb.24:
	s_lshl_b32 s2, s20, 1
	s_add_i32 s2, s2, 2
	v_cmp_gt_u32_e32 vcc, s20, v1
	s_and_b32 s14, s2, -4
	v_mov_b32_e32 v18, 0
	v_lshlrev_b32_e32 v1, 5, v0
	v_mov_b32_e32 v14, 0
	v_mov_b32_e32 v15, 0
	;; [unrolled: 1-line block ×8, first 2 shown]
	s_waitcnt vmcnt(1)
	v_mov_b32_e32 v6, 0
	v_mov_b32_e32 v7, 0
	;; [unrolled: 1-line block ×4, first 2 shown]
	s_waitcnt vmcnt(0)
	v_mov_b32_e32 v2, 0
	v_mov_b32_e32 v3, 0
	;; [unrolled: 1-line block ×4, first 2 shown]
	s_barrier
	s_and_saveexec_b64 s[2:3], vcc
	s_cbranch_execz .LBB888_26
; %bb.25:
	s_mul_hi_i32 s5, s22, s6
	s_mul_i32 s4, s22, s6
	s_and_b32 s13, s13, 0xffff
	s_lshl_b64 s[4:5], s[4:5], 1
	s_add_u32 s8, s30, s4
	s_mov_b32 s15, 0x20000
	s_addc_u32 s4, s31, s5
	s_and_b32 s9, s4, 0xffff
	s_mov_b32 s10, s14
	s_mov_b32 s11, s15
	buffer_load_dwordx4 v[14:17], v1, s[8:11], 0 offen
	buffer_load_dwordx4 v[10:13], v1, s[8:11], 16 offen
	;; [unrolled: 1-line block ×4, first 2 shown]
.LBB888_26:
	s_or_b64 exec, exec, s[2:3]
	v_mov_b32_e32 v19, 0
	v_mov_b32_e32 v32, 0
	v_mov_b32_e32 v33, 0
	v_mov_b32_e32 v30, 0
	v_mov_b32_e32 v31, 0
	v_mov_b32_e32 v28, 0
	v_mov_b32_e32 v29, 0
	v_mov_b32_e32 v26, 0
	v_mov_b32_e32 v27, 0
	v_mov_b32_e32 v24, 0
	v_mov_b32_e32 v25, 0
	v_mov_b32_e32 v22, 0
	v_mov_b32_e32 v23, 0
	v_mov_b32_e32 v20, 0
	v_mov_b32_e32 v21, 0
	s_and_saveexec_b64 s[2:3], vcc
	s_cbranch_execz .LBB888_28
; %bb.27:
	s_waitcnt vmcnt(3)
	v_cvt_f32_u32_sdwa v18, v14 dst_sel:DWORD dst_unused:UNUSED_PAD src0_sel:WORD_0
	v_cvt_f32_u32_sdwa v19, v14 dst_sel:DWORD dst_unused:UNUSED_PAD src0_sel:WORD_1
	v_cvt_f32_u32_sdwa v32, v15 dst_sel:DWORD dst_unused:UNUSED_PAD src0_sel:WORD_0
	v_cvt_f32_u32_sdwa v33, v15 dst_sel:DWORD dst_unused:UNUSED_PAD src0_sel:WORD_1
	;; [unrolled: 2-line block ×4, first 2 shown]
	s_waitcnt vmcnt(2)
	v_cvt_f32_u32_sdwa v26, v10 dst_sel:DWORD dst_unused:UNUSED_PAD src0_sel:WORD_0
	v_cvt_f32_u32_sdwa v27, v10 dst_sel:DWORD dst_unused:UNUSED_PAD src0_sel:WORD_1
	v_cvt_f32_u32_sdwa v24, v11 dst_sel:DWORD dst_unused:UNUSED_PAD src0_sel:WORD_0
	v_cvt_f32_u32_sdwa v25, v11 dst_sel:DWORD dst_unused:UNUSED_PAD src0_sel:WORD_1
	;; [unrolled: 2-line block ×4, first 2 shown]
.LBB888_28:
	s_or_b64 exec, exec, s[2:3]
	s_waitcnt vmcnt(2)
	v_mul_f32_e32 v10, v19, v19
	v_fmac_f32_e32 v10, v18, v18
	v_fmac_f32_e32 v10, v32, v32
	;; [unrolled: 1-line block ×15, first 2 shown]
	s_nop 1
	v_mov_b32_dpp v11, v10 quad_perm:[1,0,3,2] row_mask:0xf bank_mask:0xf
	v_add_f32_e32 v10, v10, v11
	s_nop 1
	v_mov_b32_dpp v11, v10 quad_perm:[2,3,0,1] row_mask:0xf bank_mask:0xf
	v_add_f32_e32 v10, v10, v11
	s_nop 1
	v_mov_b32_dpp v11, v10 row_half_mirror row_mask:0xf bank_mask:0xf
	v_add_f32_e32 v10, v10, v11
	s_nop 1
	v_mov_b32_dpp v11, v10 row_mirror row_mask:0xf bank_mask:0xf
	v_add_f32_e32 v10, v10, v11
	s_nop 1
	v_mov_b32_dpp v11, v10 row_bcast:15 row_mask:0xf bank_mask:0xf
	v_add_f32_e32 v10, v10, v11
	s_nop 1
	v_mov_b32_dpp v11, v10 row_bcast:31 row_mask:0xf bank_mask:0xf
	s_and_saveexec_b64 s[2:3], s[0:1]
	s_cbranch_execz .LBB888_30
; %bb.29:
	v_lshrrev_b32_e32 v0, 4, v0
	v_add_f32_e32 v10, v10, v11
	v_and_b32_e32 v0, 60, v0
	ds_write_b32 v0, v10
.LBB888_30:
	s_or_b64 exec, exec, s[2:3]
	s_waitcnt lgkmcnt(0)
	s_barrier
	ds_read_b32 v0, v34
	s_waitcnt lgkmcnt(0)
	s_nop 0
	v_mov_b32_dpp v10, v0 quad_perm:[1,0,3,2] row_mask:0xf bank_mask:0xf
	v_add_f32_e32 v0, v0, v10
	s_nop 1
	v_mov_b32_dpp v10, v0 quad_perm:[2,3,0,1] row_mask:0xf bank_mask:0xf
	s_and_saveexec_b64 s[0:1], vcc
	s_cbranch_execz .LBB888_12
; %bb.31:
	v_cvt_f32_u32_e32 v11, s20
	v_add_f32_e32 v0, v0, v10
	s_mov_b32 s15, 0x20000
	v_div_scale_f32 v10, s[0:1], v11, v11, v0
	v_rcp_f32_e32 v12, v10
	v_div_scale_f32 v13, vcc, v0, v11, v0
	s_mov_b32 s0, 0x800000
	v_fma_f32 v14, -v10, v12, 1.0
	v_fmac_f32_e32 v12, v14, v12
	v_mul_f32_e32 v14, v13, v12
	v_fma_f32 v15, -v10, v14, v13
	v_fmac_f32_e32 v14, v15, v12
	v_fma_f32 v10, -v10, v14, v13
	v_div_fmas_f32 v10, v10, v12, v14
	v_div_fixup_f32 v0, v10, v11, v0
	v_add_f32_e32 v0, s17, v0
	v_mul_f32_e32 v10, 0x4b800000, v0
	v_cmp_gt_f32_e32 vcc, s0, v0
	v_cndmask_b32_e32 v0, v0, v10, vcc
	v_rsq_f32_e32 v0, v0
	s_mul_hi_i32 s1, s7, s6
	s_mul_i32 s0, s7, s6
	s_lshl_b64 s[0:1], s[0:1], 1
	v_mul_f32_e32 v10, 0x45800000, v0
	v_cndmask_b32_e32 v10, v0, v10, vcc
	v_mov_b32_e32 v11, v10
	s_add_u32 s12, s28, s0
	;;#ASMSTART
	v_pk_mul_f32 v[12:13], v[18:19], v[10:11]
	;;#ASMEND
	;;#ASMSTART
	v_pk_mul_f32 v[14:15], v[32:33], v[10:11]
	;;#ASMEND
	;; [unrolled: 3-line block ×8, first 2 shown]
	s_waitcnt vmcnt(1)
	v_cvt_f32_u32_sdwa v21, v6 dst_sel:DWORD dst_unused:UNUSED_PAD src0_sel:WORD_1
	v_cvt_f32_u32_sdwa v20, v6 dst_sel:DWORD dst_unused:UNUSED_PAD src0_sel:WORD_0
	v_cvt_f32_u32_sdwa v29, v7 dst_sel:DWORD dst_unused:UNUSED_PAD src0_sel:WORD_1
	v_cvt_f32_u32_sdwa v28, v7 dst_sel:DWORD dst_unused:UNUSED_PAD src0_sel:WORD_0
	;; [unrolled: 2-line block ×3, first 2 shown]
	s_addc_u32 s0, s29, s1
	v_cvt_f32_u32_sdwa v31, v9 dst_sel:DWORD dst_unused:UNUSED_PAD src0_sel:WORD_1
	v_cvt_f32_u32_sdwa v30, v9 dst_sel:DWORD dst_unused:UNUSED_PAD src0_sel:WORD_0
	;;#ASMSTART
	v_pk_mul_f32 v[8:9], v[12:13], v[20:21]
	;;#ASMEND
	;;#ASMSTART
	v_pk_mul_f32 v[12:13], v[14:15], v[28:29]
	;;#ASMEND
	;; [unrolled: 3-line block ×4, first 2 shown]
	s_waitcnt vmcnt(0)
	v_cvt_f32_u32_sdwa v17, v2 dst_sel:DWORD dst_unused:UNUSED_PAD src0_sel:WORD_1
	v_cvt_f32_u32_sdwa v16, v2 dst_sel:DWORD dst_unused:UNUSED_PAD src0_sel:WORD_0
	v_cvt_f32_u32_sdwa v19, v3 dst_sel:DWORD dst_unused:UNUSED_PAD src0_sel:WORD_1
	v_cvt_f32_u32_sdwa v18, v3 dst_sel:DWORD dst_unused:UNUSED_PAD src0_sel:WORD_0
	;; [unrolled: 2-line block ×3, first 2 shown]
	s_and_b32 s13, s0, 0xffff
	s_mov_b32 s0, 0x7060302
	v_cvt_f32_u32_sdwa v21, v5 dst_sel:DWORD dst_unused:UNUSED_PAD src0_sel:WORD_1
	v_cvt_f32_u32_sdwa v20, v5 dst_sel:DWORD dst_unused:UNUSED_PAD src0_sel:WORD_0
	;;#ASMSTART
	v_pk_mul_f32 v[16:17], v[26:27], v[16:17]
	;;#ASMEND
	;;#ASMSTART
	v_pk_mul_f32 v[18:19], v[24:25], v[18:19]
	;;#ASMEND
	;; [unrolled: 3-line block ×3, first 2 shown]
	v_perm_b32 v2, v9, v8, s0
	v_perm_b32 v3, v13, v12, s0
	;; [unrolled: 1-line block ×4, first 2 shown]
	;;#ASMSTART
	v_pk_mul_f32 v[10:11], v[10:11], v[20:21]
	;;#ASMEND
	buffer_store_dwordx4 v[2:5], v1, s[12:15], 0 offen
	;;#ASMSTART
	s_nop 0
	;;#ASMEND
	s_nop 0
	v_perm_b32 v2, v17, v16, s0
	v_perm_b32 v3, v19, v18, s0
	;; [unrolled: 1-line block ×4, first 2 shown]
	buffer_store_dwordx4 v[2:5], v1, s[12:15], 16 offen
	;;#ASMSTART
	s_nop 0
	;;#ASMEND
	s_endpgm
	.section	.rodata,"a",@progbits
	.p2align	6, 0x0
	.amdhsa_kernel _ZN5aiter35fused_qk_rmsnorm_group_quant_kernelItN4opus5fp4_tELi256ELi16ELi2ELb0ELb0ELb0ELb0ELb0ELb0EEEvPT0_PvPT_S7_S7_PKS6_S9_S9_S9_S9_ffiiiiiiiiiiiii
		.amdhsa_group_segment_fixed_size 32
		.amdhsa_private_segment_fixed_size 0
		.amdhsa_kernarg_size 400
		.amdhsa_user_sgpr_count 6
		.amdhsa_user_sgpr_private_segment_buffer 1
		.amdhsa_user_sgpr_dispatch_ptr 0
		.amdhsa_user_sgpr_queue_ptr 0
		.amdhsa_user_sgpr_kernarg_segment_ptr 1
		.amdhsa_user_sgpr_dispatch_id 0
		.amdhsa_user_sgpr_flat_scratch_init 0
		.amdhsa_user_sgpr_kernarg_preload_length 0
		.amdhsa_user_sgpr_kernarg_preload_offset 0
		.amdhsa_user_sgpr_private_segment_size 0
		.amdhsa_uses_dynamic_stack 0
		.amdhsa_system_sgpr_private_segment_wavefront_offset 0
		.amdhsa_system_sgpr_workgroup_id_x 1
		.amdhsa_system_sgpr_workgroup_id_y 1
		.amdhsa_system_sgpr_workgroup_id_z 0
		.amdhsa_system_sgpr_workgroup_info 0
		.amdhsa_system_vgpr_workitem_id 0
		.amdhsa_next_free_vgpr 35
		.amdhsa_next_free_sgpr 32
		.amdhsa_accum_offset 36
		.amdhsa_reserve_vcc 1
		.amdhsa_reserve_flat_scratch 0
		.amdhsa_float_round_mode_32 0
		.amdhsa_float_round_mode_16_64 0
		.amdhsa_float_denorm_mode_32 3
		.amdhsa_float_denorm_mode_16_64 3
		.amdhsa_dx10_clamp 1
		.amdhsa_ieee_mode 1
		.amdhsa_fp16_overflow 0
		.amdhsa_tg_split 0
		.amdhsa_exception_fp_ieee_invalid_op 0
		.amdhsa_exception_fp_denorm_src 0
		.amdhsa_exception_fp_ieee_div_zero 0
		.amdhsa_exception_fp_ieee_overflow 0
		.amdhsa_exception_fp_ieee_underflow 0
		.amdhsa_exception_fp_ieee_inexact 0
		.amdhsa_exception_int_div_zero 0
	.end_amdhsa_kernel
	.section	.text._ZN5aiter35fused_qk_rmsnorm_group_quant_kernelItN4opus5fp4_tELi256ELi16ELi2ELb0ELb0ELb0ELb0ELb0ELb0EEEvPT0_PvPT_S7_S7_PKS6_S9_S9_S9_S9_ffiiiiiiiiiiiii,"axG",@progbits,_ZN5aiter35fused_qk_rmsnorm_group_quant_kernelItN4opus5fp4_tELi256ELi16ELi2ELb0ELb0ELb0ELb0ELb0ELb0EEEvPT0_PvPT_S7_S7_PKS6_S9_S9_S9_S9_ffiiiiiiiiiiiii,comdat
.Lfunc_end888:
	.size	_ZN5aiter35fused_qk_rmsnorm_group_quant_kernelItN4opus5fp4_tELi256ELi16ELi2ELb0ELb0ELb0ELb0ELb0ELb0EEEvPT0_PvPT_S7_S7_PKS6_S9_S9_S9_S9_ffiiiiiiiiiiiii, .Lfunc_end888-_ZN5aiter35fused_qk_rmsnorm_group_quant_kernelItN4opus5fp4_tELi256ELi16ELi2ELb0ELb0ELb0ELb0ELb0ELb0EEEvPT0_PvPT_S7_S7_PKS6_S9_S9_S9_S9_ffiiiiiiiiiiiii
                                        ; -- End function
	.section	.AMDGPU.csdata,"",@progbits
; Kernel info:
; codeLenInByte = 3128
; NumSgprs: 36
; NumVgprs: 35
; NumAgprs: 0
; TotalNumVgprs: 35
; ScratchSize: 0
; MemoryBound: 0
; FloatMode: 240
; IeeeMode: 1
; LDSByteSize: 32 bytes/workgroup (compile time only)
; SGPRBlocks: 4
; VGPRBlocks: 4
; NumSGPRsForWavesPerEU: 36
; NumVGPRsForWavesPerEU: 35
; AccumOffset: 36
; Occupancy: 8
; WaveLimiterHint : 0
; COMPUTE_PGM_RSRC2:SCRATCH_EN: 0
; COMPUTE_PGM_RSRC2:USER_SGPR: 6
; COMPUTE_PGM_RSRC2:TRAP_HANDLER: 0
; COMPUTE_PGM_RSRC2:TGID_X_EN: 1
; COMPUTE_PGM_RSRC2:TGID_Y_EN: 1
; COMPUTE_PGM_RSRC2:TGID_Z_EN: 0
; COMPUTE_PGM_RSRC2:TIDIG_COMP_CNT: 0
; COMPUTE_PGM_RSRC3_GFX90A:ACCUM_OFFSET: 8
; COMPUTE_PGM_RSRC3_GFX90A:TG_SPLIT: 0
	.section	.text._ZN5aiter35fused_qk_rmsnorm_group_quant_kernelIDF16_DB8_Li512ELi16ELi8ELb1ELb1ELb1ELb1ELb0ELb0EEEvPT0_PvPT_S6_S6_PKS5_S8_S8_S8_S8_ffiiiiiiiiiiiii,"axG",@progbits,_ZN5aiter35fused_qk_rmsnorm_group_quant_kernelIDF16_DB8_Li512ELi16ELi8ELb1ELb1ELb1ELb1ELb0ELb0EEEvPT0_PvPT_S6_S6_PKS5_S8_S8_S8_S8_ffiiiiiiiiiiiii,comdat
	.protected	_ZN5aiter35fused_qk_rmsnorm_group_quant_kernelIDF16_DB8_Li512ELi16ELi8ELb1ELb1ELb1ELb1ELb0ELb0EEEvPT0_PvPT_S6_S6_PKS5_S8_S8_S8_S8_ffiiiiiiiiiiiii ; -- Begin function _ZN5aiter35fused_qk_rmsnorm_group_quant_kernelIDF16_DB8_Li512ELi16ELi8ELb1ELb1ELb1ELb1ELb0ELb0EEEvPT0_PvPT_S6_S6_PKS5_S8_S8_S8_S8_ffiiiiiiiiiiiii
	.globl	_ZN5aiter35fused_qk_rmsnorm_group_quant_kernelIDF16_DB8_Li512ELi16ELi8ELb1ELb1ELb1ELb1ELb0ELb0EEEvPT0_PvPT_S6_S6_PKS5_S8_S8_S8_S8_ffiiiiiiiiiiiii
	.p2align	8
	.type	_ZN5aiter35fused_qk_rmsnorm_group_quant_kernelIDF16_DB8_Li512ELi16ELi8ELb1ELb1ELb1ELb1ELb0ELb0EEEvPT0_PvPT_S6_S6_PKS5_S8_S8_S8_S8_ffiiiiiiiiiiiii,@function
_ZN5aiter35fused_qk_rmsnorm_group_quant_kernelIDF16_DB8_Li512ELi16ELi8ELb1ELb1ELb1ELb1ELb0ELb0EEEvPT0_PvPT_S6_S6_PKS5_S8_S8_S8_S8_ffiiiiiiiiiiiii: ; @_ZN5aiter35fused_qk_rmsnorm_group_quant_kernelIDF16_DB8_Li512ELi16ELi8ELb1ELb1ELb1ELb1ELb0ELb0EEEvPT0_PvPT_S6_S6_PKS5_S8_S8_S8_S8_ffiiiiiiiiiiiii
; %bb.0:
	s_load_dwordx8 s[12:19], s[4:5], 0x50
	s_waitcnt lgkmcnt(0)
	s_cmp_ge_i32 s6, s14
	s_cbranch_scc1 .LBB889_17
; %bb.1:
	s_cmp_lg_u32 s7, 0
	s_cselect_b64 s[22:23], -1, 0
	s_cmp_eq_u32 s7, 0
	s_cselect_b64 s[2:3], -1, 0
	s_and_b64 s[0:1], s[2:3], exec
	s_cselect_b32 s7, s15, s16
	s_load_dwordx2 s[10:11], s[4:5], 0x30
	s_load_dwordx2 s[20:21], s[4:5], 0x48
	s_add_i32 s0, s7, 1
	s_lshr_b32 s1, s0, 31
	s_add_i32 s0, s0, s1
	s_lshl_b32 s0, s0, 1
	v_lshlrev_b32_e32 v1, 4, v0
	s_and_b32 s30, s0, -4
	v_cmp_gt_i32_e64 s[0:1], s7, v1
	v_mov_b32_e32 v6, 0
	v_mov_b32_e32 v7, 0
	;; [unrolled: 1-line block ×16, first 2 shown]
	s_and_saveexec_b64 s[8:9], s[0:1]
	s_cbranch_execz .LBB889_3
; %bb.2:
	s_load_dwordx2 s[14:15], s[4:5], 0x28
	s_load_dwordx2 s[26:27], s[4:5], 0x40
	s_and_b64 s[24:25], s[2:3], exec
	s_cselect_b32 s17, s17, s18
	s_mov_b32 s31, 0x20000
	s_waitcnt lgkmcnt(0)
	s_cselect_b32 s25, s15, s11
	s_cselect_b32 s24, s14, s10
	s_mul_hi_i32 s15, s17, s6
	s_mul_i32 s14, s17, s6
	s_lshl_b64 s[14:15], s[14:15], 1
	s_add_u32 s24, s24, s14
	s_addc_u32 s17, s25, s15
	s_and_b64 s[14:15], s[2:3], exec
	s_cselect_b32 s28, s26, s20
	s_cselect_b32 s14, s27, s21
	s_and_b32 s25, s17, 0xffff
	s_mov_b32 s26, s30
	s_mov_b32 s27, s31
	v_lshlrev_b32_e32 v18, 5, v0
	s_and_b32 s29, s14, 0xffff
	buffer_load_dwordx4 v[10:13], v18, s[24:27], 0 offen
	buffer_load_dwordx4 v[14:17], v18, s[24:27], 16 offen
	;; [unrolled: 1-line block ×4, first 2 shown]
.LBB889_3:
	s_or_b64 exec, exec, s[8:9]
	s_load_dwordx4 s[24:27], s[4:5], 0x7c
	s_and_b64 vcc, exec, s[22:23]
	s_cbranch_vccz .LBB889_7
; %bb.4:
	v_mov_b32_e32 v19, 0
	v_mov_b32_e32 v18, 0
	;; [unrolled: 1-line block ×16, first 2 shown]
	s_and_saveexec_b64 s[8:9], s[0:1]
	s_cbranch_execz .LBB889_6
; %bb.5:
	s_waitcnt vmcnt(3)
	v_cvt_f32_f16_sdwa v27, v10 dst_sel:DWORD dst_unused:UNUSED_PAD src0_sel:WORD_1
	v_cvt_f32_f16_e32 v26, v10
	v_cvt_f32_f16_sdwa v31, v11 dst_sel:DWORD dst_unused:UNUSED_PAD src0_sel:WORD_1
	v_cvt_f32_f16_e32 v30, v11
	;; [unrolled: 2-line block ×4, first 2 shown]
	s_waitcnt vmcnt(2)
	v_cvt_f32_f16_sdwa v21, v14 dst_sel:DWORD dst_unused:UNUSED_PAD src0_sel:WORD_1
	v_cvt_f32_f16_e32 v20, v14
	v_cvt_f32_f16_sdwa v25, v15 dst_sel:DWORD dst_unused:UNUSED_PAD src0_sel:WORD_1
	v_cvt_f32_f16_e32 v24, v15
	;; [unrolled: 2-line block ×4, first 2 shown]
.LBB889_6:
	s_or_b64 exec, exec, s[8:9]
	s_cbranch_execz .LBB889_8
	s_branch .LBB889_11
.LBB889_7:
                                        ; implicit-def: $vgpr19
                                        ; implicit-def: $vgpr23
                                        ; implicit-def: $vgpr25
                                        ; implicit-def: $vgpr21
                                        ; implicit-def: $vgpr33
                                        ; implicit-def: $vgpr29
                                        ; implicit-def: $vgpr31
                                        ; implicit-def: $vgpr27
.LBB889_8:
	v_mov_b32_e32 v19, 0
	v_mov_b32_e32 v18, 0
	;; [unrolled: 1-line block ×16, first 2 shown]
	s_and_saveexec_b64 s[8:9], s[0:1]
	s_cbranch_execz .LBB889_10
; %bb.9:
	s_load_dwordx2 s[14:15], s[4:5], 0x38
	s_mul_hi_i32 s29, s19, s6
	s_mul_i32 s28, s19, s6
	s_lshl_b64 s[28:29], s[28:29], 1
	s_mov_b32 s31, 0x20000
	s_waitcnt lgkmcnt(0)
	s_add_u32 s28, s14, s28
	s_addc_u32 s14, s15, s29
	s_and_b32 s29, s14, 0xffff
	v_lshlrev_b32_e32 v48, 5, v0
	buffer_load_dwordx4 v[18:21], v48, s[28:31], 16 offen
	buffer_load_dwordx4 v[22:25], v48, s[28:31], 0 offen
	s_waitcnt vmcnt(4)
	v_cvt_f32_f16_sdwa v27, v14 dst_sel:DWORD dst_unused:UNUSED_PAD src0_sel:WORD_1
	v_cvt_f32_f16_e32 v26, v14
	v_cvt_f32_f16_sdwa v29, v15 dst_sel:DWORD dst_unused:UNUSED_PAD src0_sel:WORD_1
	v_cvt_f32_f16_e32 v28, v15
	;; [unrolled: 2-line block ×8, first 2 shown]
	s_load_dwordx2 s[14:15], s[4:5], 0x20
	s_mul_hi_i32 s27, s26, s6
	s_mul_i32 s26, s26, s6
	s_lshl_b64 s[26:27], s[26:27], 1
	s_waitcnt lgkmcnt(0)
	s_add_u32 s28, s14, s26
	s_addc_u32 s14, s15, s27
	s_and_b32 s29, s14, 0xffff
	s_waitcnt vmcnt(1)
	v_cvt_f32_f16_e32 v12, v18
	v_cvt_f32_f16_sdwa v13, v18 dst_sel:DWORD dst_unused:UNUSED_PAD src0_sel:WORD_1
	v_cvt_f32_f16_e32 v18, v19
	v_cvt_f32_f16_sdwa v19, v19 dst_sel:DWORD dst_unused:UNUSED_PAD src0_sel:WORD_1
	;; [unrolled: 2-line block ×4, first 2 shown]
	s_waitcnt vmcnt(0)
	v_cvt_f32_f16_e32 v40, v22
	v_cvt_f32_f16_sdwa v41, v22 dst_sel:DWORD dst_unused:UNUSED_PAD src0_sel:WORD_1
	v_cvt_f32_f16_e32 v42, v23
	v_cvt_f32_f16_sdwa v43, v23 dst_sel:DWORD dst_unused:UNUSED_PAD src0_sel:WORD_1
	;; [unrolled: 2-line block ×4, first 2 shown]
	v_pk_add_f32 v[20:21], v[26:27], v[12:13]
	v_pk_add_f32 v[24:25], v[28:29], v[18:19]
	v_pk_add_f32 v[22:23], v[14:15], v[36:37]
	v_pk_add_f32 v[18:19], v[30:31], v[38:39]
	v_pk_add_f32 v[26:27], v[16:17], v[40:41]
	v_pk_add_f32 v[30:31], v[32:33], v[42:43]
	v_pk_add_f32 v[28:29], v[10:11], v[44:45]
	v_pk_add_f32 v[32:33], v[34:35], v[46:47]
	v_cvt_f16_f32_e32 v10, v27
	v_cvt_f16_f32_e32 v14, v26
	;; [unrolled: 1-line block ×16, first 2 shown]
	v_pack_b32_f16 v13, v17, v13
	v_pack_b32_f16 v12, v16, v12
	;; [unrolled: 1-line block ×8, first 2 shown]
	buffer_store_dwordx4 v[10:13], v48, s[28:31], 0 offen
	;;#ASMSTART
	s_nop 0
	;;#ASMEND
	buffer_store_dwordx4 v[14:17], v48, s[28:31], 16 offen
	;;#ASMSTART
	s_nop 0
	;;#ASMEND
.LBB889_10:
	s_or_b64 exec, exec, s[8:9]
.LBB889_11:
	s_waitcnt vmcnt(3)
	v_mul_f32_e32 v10, v27, v27
	v_fmac_f32_e32 v10, v26, v26
	v_fmac_f32_e32 v10, v30, v30
	;; [unrolled: 1-line block ×15, first 2 shown]
	v_and_b32_e32 v12, 63, v0
	v_cmp_eq_u32_e64 s[8:9], 63, v12
	v_mov_b32_dpp v11, v10 quad_perm:[1,0,3,2] row_mask:0xf bank_mask:0xf
	v_add_f32_e32 v10, v10, v11
	s_nop 1
	v_mov_b32_dpp v11, v10 quad_perm:[2,3,0,1] row_mask:0xf bank_mask:0xf
	v_add_f32_e32 v10, v10, v11
	s_nop 1
	v_mov_b32_dpp v11, v10 row_half_mirror row_mask:0xf bank_mask:0xf
	v_add_f32_e32 v10, v10, v11
	s_nop 1
	v_mov_b32_dpp v11, v10 row_mirror row_mask:0xf bank_mask:0xf
	v_add_f32_e32 v10, v10, v11
	s_nop 1
	v_mov_b32_dpp v11, v10 row_bcast:15 row_mask:0xf bank_mask:0xf
	v_add_f32_e32 v10, v10, v11
	s_nop 1
	v_mov_b32_dpp v11, v10 row_bcast:31 row_mask:0xf bank_mask:0xf
	s_and_saveexec_b64 s[14:15], s[8:9]
	s_cbranch_execz .LBB889_13
; %bb.12:
	v_add_f32_e32 v10, v10, v11
	v_lshrrev_b32_e32 v11, 4, v0
	v_and_b32_e32 v11, 60, v11
	ds_write_b32 v11, v10 offset:32
.LBB889_13:
	s_or_b64 exec, exec, s[14:15]
	v_and_b32_e32 v10, 7, v0
	v_lshlrev_b32_e32 v34, 2, v10
	s_waitcnt lgkmcnt(0)
	s_barrier
	ds_read_b32 v10, v34 offset:32
	s_load_dwordx2 s[14:15], s[4:5], 0x18
	s_waitcnt lgkmcnt(0)
	v_mov_b32_dpp v11, v10 quad_perm:[1,0,3,2] row_mask:0xf bank_mask:0xf
	v_add_f32_e32 v10, v10, v11
	s_nop 1
	v_mov_b32_dpp v11, v10 quad_perm:[2,3,0,1] row_mask:0xf bank_mask:0xf
	v_add_f32_e32 v10, v10, v11
	s_nop 1
	v_mov_b32_dpp v11, v10 row_half_mirror row_mask:0xf bank_mask:0xf
	s_and_saveexec_b64 s[26:27], s[0:1]
	s_cbranch_execnz .LBB889_18
; %bb.14:
	s_or_b64 exec, exec, s[26:27]
	s_mov_b64 s[2:3], -1
	s_and_b64 vcc, exec, s[22:23]
	s_cbranch_vccnz .LBB889_19
.LBB889_15:
	s_andn2_b64 vcc, exec, s[2:3]
	s_cbranch_vccz .LBB889_22
.LBB889_16:
	s_cmp_lt_i32 s16, 1
	s_cbranch_scc0 .LBB889_25
.LBB889_17:
	s_endpgm
.LBB889_18:
	v_cvt_f32_u32_e32 v12, s7
	v_add_f32_e32 v10, v10, v11
	s_waitcnt vmcnt(2)
	v_mov_b32_e32 v14, s13
	v_mov_b32_e32 v15, s12
	v_div_scale_f32 v11, s[28:29], v12, v12, v10
	v_rcp_f32_e32 v13, v11
	v_cndmask_b32_e64 v14, v14, v15, s[2:3]
	s_mov_b32 s2, 0x800000
	v_fma_f32 v15, -v11, v13, 1.0
	v_fmac_f32_e32 v13, v15, v13
	v_div_scale_f32 v15, vcc, v10, v12, v10
	v_mul_f32_e32 v16, v15, v13
	v_fma_f32 v17, -v11, v16, v15
	v_fmac_f32_e32 v16, v17, v13
	v_fma_f32 v11, -v11, v16, v15
	v_div_fmas_f32 v11, v11, v13, v16
	v_div_fixup_f32 v10, v11, v12, v10
	v_add_f32_e32 v10, v14, v10
	v_mul_f32_e32 v11, 0x4b800000, v10
	v_cmp_gt_f32_e32 vcc, s2, v10
	v_cndmask_b32_e32 v10, v10, v11, vcc
	v_rsq_f32_e32 v10, v10
	v_mul_f32_e32 v11, 0x45800000, v10
	v_cndmask_b32_e32 v10, v10, v11, vcc
	v_mov_b32_e32 v11, v10
	;;#ASMSTART
	v_pk_mul_f32 v[12:13], v[26:27], v[10:11]
	;;#ASMEND
	s_waitcnt vmcnt(1)
	v_cvt_f32_f16_sdwa v27, v6 dst_sel:DWORD dst_unused:UNUSED_PAD src0_sel:WORD_1
	v_cvt_f32_f16_e32 v26, v6
	;;#ASMSTART
	v_pk_mul_f32 v[14:15], v[30:31], v[10:11]
	;;#ASMEND
	;;#ASMSTART
	v_pk_mul_f32 v[16:17], v[28:29], v[10:11]
	;;#ASMEND
	v_cvt_f32_f16_sdwa v29, v7 dst_sel:DWORD dst_unused:UNUSED_PAD src0_sel:WORD_1
	v_cvt_f32_f16_e32 v28, v7
	;;#ASMSTART
	v_pk_mul_f32 v[32:33], v[32:33], v[10:11]
	;;#ASMEND
	;;#ASMSTART
	v_pk_mul_f32 v[20:21], v[20:21], v[10:11]
	;;#ASMEND
	;; [unrolled: 3-line block ×5, first 2 shown]
	v_pk_add_f32 v[10:11], v[26:27], 1.0 op_sel_hi:[1,0]
	;;#ASMSTART
	v_pk_mul_f32 v[26:27], v[12:13], v[10:11]
	;;#ASMEND
	v_cvt_f32_f16_sdwa v13, v8 dst_sel:DWORD dst_unused:UNUSED_PAD src0_sel:WORD_1
	v_cvt_f32_f16_e32 v12, v8
	v_cvt_f32_f16_sdwa v19, v9 dst_sel:DWORD dst_unused:UNUSED_PAD src0_sel:WORD_1
	v_cvt_f32_f16_e32 v18, v9
	v_pk_add_f32 v[10:11], v[28:29], 1.0 op_sel_hi:[1,0]
	;;#ASMSTART
	v_pk_mul_f32 v[30:31], v[14:15], v[10:11]
	;;#ASMEND
	s_waitcnt vmcnt(0)
	v_cvt_f32_f16_sdwa v11, v2 dst_sel:DWORD dst_unused:UNUSED_PAD src0_sel:WORD_1
	v_cvt_f32_f16_e32 v10, v2
	v_pk_add_f32 v[8:9], v[12:13], 1.0 op_sel_hi:[1,0]
	;;#ASMSTART
	v_pk_mul_f32 v[28:29], v[16:17], v[8:9]
	;;#ASMEND
	v_pk_add_f32 v[8:9], v[18:19], 1.0 op_sel_hi:[1,0]
	v_cvt_f32_f16_sdwa v13, v3 dst_sel:DWORD dst_unused:UNUSED_PAD src0_sel:WORD_1
	v_cvt_f32_f16_e32 v12, v3
	;;#ASMSTART
	v_pk_mul_f32 v[32:33], v[32:33], v[8:9]
	;;#ASMEND
	v_cvt_f32_f16_sdwa v9, v4 dst_sel:DWORD dst_unused:UNUSED_PAD src0_sel:WORD_1
	v_cvt_f32_f16_e32 v8, v4
	v_pk_add_f32 v[2:3], v[10:11], 1.0 op_sel_hi:[1,0]
	v_cvt_f32_f16_sdwa v11, v5 dst_sel:DWORD dst_unused:UNUSED_PAD src0_sel:WORD_1
	v_cvt_f32_f16_e32 v10, v5
	;;#ASMSTART
	v_pk_mul_f32 v[20:21], v[20:21], v[2:3]
	;;#ASMEND
	v_pk_add_f32 v[2:3], v[12:13], 1.0 op_sel_hi:[1,0]
	;;#ASMSTART
	v_pk_mul_f32 v[24:25], v[24:25], v[2:3]
	;;#ASMEND
	v_pk_add_f32 v[2:3], v[8:9], 1.0 op_sel_hi:[1,0]
	;; [unrolled: 4-line block ×3, first 2 shown]
	;;#ASMSTART
	v_pk_mul_f32 v[18:19], v[6:7], v[2:3]
	;;#ASMEND
	s_or_b64 exec, exec, s[26:27]
	s_mov_b64 s[2:3], -1
	s_and_b64 vcc, exec, s[22:23]
	s_cbranch_vccz .LBB889_15
.LBB889_19:
	s_and_saveexec_b64 s[2:3], s[0:1]
	s_cbranch_execz .LBB889_21
; %bb.20:
	s_mul_hi_i32 s23, s25, s6
	s_mul_i32 s22, s25, s6
	s_waitcnt vmcnt(0)
	v_cvt_f16_f32_e32 v2, v26
	v_cvt_f16_f32_e32 v3, v30
	;; [unrolled: 1-line block ×8, first 2 shown]
	s_lshl_b64 s[22:23], s[22:23], 1
	s_add_u32 s28, s14, s22
	s_addc_u32 s7, s15, s23
	s_and_b32 s29, s7, 0xffff
	s_mov_b32 s31, 0x20000
	v_pack_b32_f16 v5, v5, v6
	v_pack_b32_f16 v4, v4, v7
	v_pack_b32_f16 v3, v3, v8
	v_pack_b32_f16 v2, v2, v9
	v_lshlrev_b32_e32 v6, 5, v0
	buffer_store_dwordx4 v[2:5], v6, s[28:31], 0 offen
	v_cvt_f16_f32_e32 v7, v19
	v_cvt_f16_f32_e32 v2, v20
	;; [unrolled: 1-line block ×8, first 2 shown]
	v_pack_b32_f16 v5, v5, v7
	v_pack_b32_f16 v4, v4, v8
	;; [unrolled: 1-line block ×4, first 2 shown]
	;;#ASMSTART
	s_nop 0
	;;#ASMEND
	buffer_store_dwordx4 v[2:5], v6, s[28:31], 16 offen
	;;#ASMSTART
	s_nop 0
	;;#ASMEND
.LBB889_21:
	s_or_b64 exec, exec, s[2:3]
	s_cbranch_execnz .LBB889_16
.LBB889_22:
	s_and_saveexec_b64 s[2:3], s[0:1]
	s_cbranch_execz .LBB889_24
; %bb.23:
	s_load_dwordx2 s[0:1], s[4:5], 0x10
	s_mul_hi_i32 s23, s24, s6
	s_mul_i32 s22, s24, s6
	s_waitcnt vmcnt(0)
	v_cvt_f16_f32_e32 v2, v26
	v_cvt_f16_f32_e32 v3, v30
	;; [unrolled: 1-line block ×8, first 2 shown]
	s_lshl_b64 s[22:23], s[22:23], 1
	s_waitcnt lgkmcnt(0)
	s_add_u32 s28, s0, s22
	s_addc_u32 s0, s1, s23
	s_mov_b32 s31, 0x20000
	s_and_b32 s29, s0, 0xffff
	v_pack_b32_f16 v5, v5, v6
	v_pack_b32_f16 v4, v4, v7
	;; [unrolled: 1-line block ×4, first 2 shown]
	v_lshlrev_b32_e32 v6, 5, v0
	buffer_store_dwordx4 v[2:5], v6, s[28:31], 0 offen
	v_cvt_f16_f32_e32 v7, v19
	v_cvt_f16_f32_e32 v2, v20
	;; [unrolled: 1-line block ×8, first 2 shown]
	v_pack_b32_f16 v5, v5, v7
	v_pack_b32_f16 v4, v4, v8
	;; [unrolled: 1-line block ×4, first 2 shown]
	;;#ASMSTART
	s_nop 0
	;;#ASMEND
	buffer_store_dwordx4 v[2:5], v6, s[28:31], 16 offen
	;;#ASMSTART
	s_nop 0
	;;#ASMEND
.LBB889_24:
	s_or_b64 exec, exec, s[2:3]
	s_cmp_lt_i32 s16, 1
	s_cbranch_scc1 .LBB889_17
.LBB889_25:
	s_load_dword s0, s[4:5], 0x94
	s_waitcnt lgkmcnt(0)
	s_cmp_lg_u32 s0, 1
	s_cbranch_scc1 .LBB889_17
; %bb.26:
	s_lshl_b32 s0, s16, 1
	s_add_i32 s0, s0, 2
	v_cmp_gt_u32_e32 vcc, s16, v1
	s_and_b32 s22, s0, -4
	v_mov_b32_e32 v18, 0
	v_lshlrev_b32_e32 v1, 5, v0
	s_waitcnt vmcnt(2)
	v_mov_b32_e32 v14, 0
	v_mov_b32_e32 v15, 0
	;; [unrolled: 1-line block ×8, first 2 shown]
	s_waitcnt vmcnt(1)
	v_mov_b32_e32 v6, 0
	v_mov_b32_e32 v7, 0
	v_mov_b32_e32 v8, 0
	v_mov_b32_e32 v9, 0
	s_waitcnt vmcnt(0)
	v_mov_b32_e32 v2, 0
	v_mov_b32_e32 v3, 0
	;; [unrolled: 1-line block ×4, first 2 shown]
	s_barrier
	s_and_saveexec_b64 s[0:1], vcc
	s_cbranch_execz .LBB889_28
; %bb.27:
	s_mul_hi_i32 s3, s18, s6
	s_mul_i32 s2, s18, s6
	s_and_b32 s21, s21, 0xffff
	s_lshl_b64 s[2:3], s[2:3], 1
	s_add_u32 s28, s10, s2
	s_mov_b32 s23, 0x20000
	s_addc_u32 s2, s11, s3
	s_and_b32 s29, s2, 0xffff
	s_mov_b32 s30, s22
	s_mov_b32 s31, s23
	buffer_load_dwordx4 v[14:17], v1, s[28:31], 0 offen
	buffer_load_dwordx4 v[10:13], v1, s[28:31], 16 offen
	;; [unrolled: 1-line block ×4, first 2 shown]
.LBB889_28:
	s_or_b64 exec, exec, s[0:1]
	v_mov_b32_e32 v19, 0
	v_mov_b32_e32 v32, 0
	;; [unrolled: 1-line block ×15, first 2 shown]
	s_and_saveexec_b64 s[0:1], vcc
	s_cbranch_execz .LBB889_30
; %bb.29:
	s_waitcnt vmcnt(3)
	v_cvt_f32_f16_sdwa v19, v14 dst_sel:DWORD dst_unused:UNUSED_PAD src0_sel:WORD_1
	v_cvt_f32_f16_e32 v18, v14
	v_cvt_f32_f16_sdwa v33, v15 dst_sel:DWORD dst_unused:UNUSED_PAD src0_sel:WORD_1
	v_cvt_f32_f16_e32 v32, v15
	v_cvt_f32_f16_sdwa v31, v16 dst_sel:DWORD dst_unused:UNUSED_PAD src0_sel:WORD_1
	v_cvt_f32_f16_e32 v30, v16
	v_cvt_f32_f16_sdwa v29, v17 dst_sel:DWORD dst_unused:UNUSED_PAD src0_sel:WORD_1
	v_cvt_f32_f16_e32 v28, v17
	s_waitcnt vmcnt(2)
	v_cvt_f32_f16_sdwa v27, v10 dst_sel:DWORD dst_unused:UNUSED_PAD src0_sel:WORD_1
	v_cvt_f32_f16_e32 v26, v10
	v_cvt_f32_f16_sdwa v25, v11 dst_sel:DWORD dst_unused:UNUSED_PAD src0_sel:WORD_1
	v_cvt_f32_f16_e32 v24, v11
	;; [unrolled: 2-line block ×4, first 2 shown]
.LBB889_30:
	s_or_b64 exec, exec, s[0:1]
	s_waitcnt vmcnt(2)
	v_mul_f32_e32 v10, v19, v19
	v_fmac_f32_e32 v10, v18, v18
	v_fmac_f32_e32 v10, v32, v32
	;; [unrolled: 1-line block ×15, first 2 shown]
	s_nop 1
	v_mov_b32_dpp v11, v10 quad_perm:[1,0,3,2] row_mask:0xf bank_mask:0xf
	v_add_f32_e32 v10, v10, v11
	s_nop 1
	v_mov_b32_dpp v11, v10 quad_perm:[2,3,0,1] row_mask:0xf bank_mask:0xf
	v_add_f32_e32 v10, v10, v11
	s_nop 1
	v_mov_b32_dpp v11, v10 row_half_mirror row_mask:0xf bank_mask:0xf
	v_add_f32_e32 v10, v10, v11
	s_nop 1
	v_mov_b32_dpp v11, v10 row_mirror row_mask:0xf bank_mask:0xf
	v_add_f32_e32 v10, v10, v11
	s_nop 1
	v_mov_b32_dpp v11, v10 row_bcast:15 row_mask:0xf bank_mask:0xf
	v_add_f32_e32 v10, v10, v11
	s_nop 1
	v_mov_b32_dpp v11, v10 row_bcast:31 row_mask:0xf bank_mask:0xf
	s_and_saveexec_b64 s[0:1], s[8:9]
	s_cbranch_execz .LBB889_32
; %bb.31:
	v_lshrrev_b32_e32 v0, 4, v0
	v_add_f32_e32 v10, v10, v11
	v_and_b32_e32 v0, 60, v0
	ds_write_b32 v0, v10
.LBB889_32:
	s_or_b64 exec, exec, s[0:1]
	s_waitcnt lgkmcnt(0)
	s_barrier
	ds_read_b32 v0, v34
	s_waitcnt lgkmcnt(0)
	s_nop 0
	v_mov_b32_dpp v10, v0 quad_perm:[1,0,3,2] row_mask:0xf bank_mask:0xf
	v_add_f32_e32 v0, v0, v10
	s_nop 1
	v_mov_b32_dpp v10, v0 quad_perm:[2,3,0,1] row_mask:0xf bank_mask:0xf
	v_add_f32_e32 v0, v0, v10
	s_nop 1
	v_mov_b32_dpp v10, v0 row_half_mirror row_mask:0xf bank_mask:0xf
	s_and_saveexec_b64 s[0:1], vcc
	s_cbranch_execz .LBB889_17
; %bb.33:
	v_cvt_f32_u32_e32 v11, s16
	v_add_f32_e32 v0, v0, v10
	s_mov_b32 s23, 0x20000
	v_div_scale_f32 v10, s[0:1], v11, v11, v0
	v_rcp_f32_e32 v12, v10
	v_div_scale_f32 v13, vcc, v0, v11, v0
	s_mov_b32 s0, 0x800000
	v_fma_f32 v14, -v10, v12, 1.0
	v_fmac_f32_e32 v12, v14, v12
	v_mul_f32_e32 v14, v13, v12
	v_fma_f32 v15, -v10, v14, v13
	v_fmac_f32_e32 v14, v15, v12
	v_fma_f32 v10, -v10, v14, v13
	v_div_fmas_f32 v10, v10, v12, v14
	v_div_fixup_f32 v0, v10, v11, v0
	v_add_f32_e32 v0, s13, v0
	v_mul_f32_e32 v10, 0x4b800000, v0
	v_cmp_gt_f32_e32 vcc, s0, v0
	v_cndmask_b32_e32 v0, v0, v10, vcc
	v_rsq_f32_e32 v0, v0
	s_mul_hi_i32 s1, s25, s6
	s_mul_i32 s0, s25, s6
	s_lshl_b64 s[0:1], s[0:1], 1
	v_mul_f32_e32 v10, 0x45800000, v0
	v_cndmask_b32_e32 v10, v0, v10, vcc
	v_mov_b32_e32 v11, v10
	;;#ASMSTART
	v_pk_mul_f32 v[12:13], v[18:19], v[10:11]
	;;#ASMEND
	;;#ASMSTART
	v_pk_mul_f32 v[14:15], v[32:33], v[10:11]
	;;#ASMEND
	;;#ASMSTART
	v_pk_mul_f32 v[16:17], v[30:31], v[10:11]
	;;#ASMEND
	;;#ASMSTART
	v_pk_mul_f32 v[18:19], v[28:29], v[10:11]
	;;#ASMEND
	s_waitcnt vmcnt(1)
	v_cvt_f32_f16_sdwa v29, v6 dst_sel:DWORD dst_unused:UNUSED_PAD src0_sel:WORD_1
	v_cvt_f32_f16_e32 v28, v6
	v_cvt_f32_f16_sdwa v31, v7 dst_sel:DWORD dst_unused:UNUSED_PAD src0_sel:WORD_1
	v_cvt_f32_f16_e32 v30, v7
	;;#ASMSTART
	v_pk_mul_f32 v[26:27], v[26:27], v[10:11]
	;;#ASMEND
	;;#ASMSTART
	v_pk_mul_f32 v[24:25], v[24:25], v[10:11]
	;;#ASMEND
	;; [unrolled: 3-line block ×4, first 2 shown]
	v_cvt_f32_f16_sdwa v21, v8 dst_sel:DWORD dst_unused:UNUSED_PAD src0_sel:WORD_1
	v_cvt_f32_f16_e32 v20, v8
	v_pk_add_f32 v[10:11], v[28:29], 1.0 op_sel_hi:[1,0]
	;;#ASMSTART
	v_pk_mul_f32 v[10:11], v[12:13], v[10:11]
	;;#ASMEND
	v_pk_add_f32 v[12:13], v[30:31], 1.0 op_sel_hi:[1,0]
	v_cvt_f32_f16_sdwa v29, v9 dst_sel:DWORD dst_unused:UNUSED_PAD src0_sel:WORD_1
	v_cvt_f32_f16_e32 v28, v9
	;;#ASMSTART
	v_pk_mul_f32 v[8:9], v[14:15], v[12:13]
	;;#ASMEND
	v_pk_add_f32 v[12:13], v[20:21], 1.0 op_sel_hi:[1,0]
	;;#ASMSTART
	v_pk_mul_f32 v[12:13], v[16:17], v[12:13]
	;;#ASMEND
	s_waitcnt vmcnt(0)
	v_cvt_f32_f16_sdwa v17, v2 dst_sel:DWORD dst_unused:UNUSED_PAD src0_sel:WORD_1
	v_cvt_f32_f16_e32 v16, v2
	v_cvt_f32_f16_sdwa v21, v3 dst_sel:DWORD dst_unused:UNUSED_PAD src0_sel:WORD_1
	v_cvt_f32_f16_e32 v20, v3
	v_pk_add_f32 v[14:15], v[28:29], 1.0 op_sel_hi:[1,0]
	;;#ASMSTART
	v_pk_mul_f32 v[2:3], v[18:19], v[14:15]
	;;#ASMEND
	v_cvt_f32_f16_sdwa v19, v4 dst_sel:DWORD dst_unused:UNUSED_PAD src0_sel:WORD_1
	v_cvt_f32_f16_e32 v18, v4
	v_pk_add_f32 v[14:15], v[16:17], 1.0 op_sel_hi:[1,0]
	v_pk_add_f32 v[16:17], v[20:21], 1.0 op_sel_hi:[1,0]
	v_cvt_f32_f16_sdwa v21, v5 dst_sel:DWORD dst_unused:UNUSED_PAD src0_sel:WORD_1
	v_cvt_f32_f16_e32 v20, v5
	v_pk_add_f32 v[4:5], v[18:19], 1.0 op_sel_hi:[1,0]
	;;#ASMSTART
	v_pk_mul_f32 v[14:15], v[26:27], v[14:15]
	;;#ASMEND
	;;#ASMSTART
	v_pk_mul_f32 v[16:17], v[24:25], v[16:17]
	;;#ASMEND
	;; [unrolled: 3-line block ×3, first 2 shown]
	v_pk_add_f32 v[4:5], v[20:21], 1.0 op_sel_hi:[1,0]
	;;#ASMSTART
	v_pk_mul_f32 v[6:7], v[6:7], v[4:5]
	;;#ASMEND
	v_cvt_f16_f32_e32 v0, v10
	v_cvt_f16_f32_e32 v4, v11
	v_cvt_f16_f32_e32 v5, v8
	v_cvt_f16_f32_e32 v8, v9
	v_cvt_f16_f32_e32 v9, v12
	v_cvt_f16_f32_e32 v10, v13
	v_cvt_f16_f32_e32 v11, v2
	v_cvt_f16_f32_e32 v12, v3
	s_add_u32 s20, s14, s0
	s_addc_u32 s0, s15, s1
	s_and_b32 s21, s0, 0xffff
	v_pack_b32_f16 v2, v0, v4
	v_pack_b32_f16 v3, v5, v8
	;; [unrolled: 1-line block ×4, first 2 shown]
	buffer_store_dwordx4 v[2:5], v1, s[20:23], 0 offen
	v_cvt_f16_f32_e32 v0, v14
	v_cvt_f16_f32_e32 v2, v15
	;; [unrolled: 1-line block ×8, first 2 shown]
	v_pack_b32_f16 v2, v0, v2
	v_pack_b32_f16 v3, v3, v4
	;; [unrolled: 1-line block ×4, first 2 shown]
	;;#ASMSTART
	s_nop 0
	;;#ASMEND
	buffer_store_dwordx4 v[2:5], v1, s[20:23], 16 offen
	;;#ASMSTART
	s_nop 0
	;;#ASMEND
	s_endpgm
	.section	.rodata,"a",@progbits
	.p2align	6, 0x0
	.amdhsa_kernel _ZN5aiter35fused_qk_rmsnorm_group_quant_kernelIDF16_DB8_Li512ELi16ELi8ELb1ELb1ELb1ELb1ELb0ELb0EEEvPT0_PvPT_S6_S6_PKS5_S8_S8_S8_S8_ffiiiiiiiiiiiii
		.amdhsa_group_segment_fixed_size 64
		.amdhsa_private_segment_fixed_size 0
		.amdhsa_kernarg_size 400
		.amdhsa_user_sgpr_count 6
		.amdhsa_user_sgpr_private_segment_buffer 1
		.amdhsa_user_sgpr_dispatch_ptr 0
		.amdhsa_user_sgpr_queue_ptr 0
		.amdhsa_user_sgpr_kernarg_segment_ptr 1
		.amdhsa_user_sgpr_dispatch_id 0
		.amdhsa_user_sgpr_flat_scratch_init 0
		.amdhsa_user_sgpr_kernarg_preload_length 0
		.amdhsa_user_sgpr_kernarg_preload_offset 0
		.amdhsa_user_sgpr_private_segment_size 0
		.amdhsa_uses_dynamic_stack 0
		.amdhsa_system_sgpr_private_segment_wavefront_offset 0
		.amdhsa_system_sgpr_workgroup_id_x 1
		.amdhsa_system_sgpr_workgroup_id_y 1
		.amdhsa_system_sgpr_workgroup_id_z 0
		.amdhsa_system_sgpr_workgroup_info 0
		.amdhsa_system_vgpr_workitem_id 0
		.amdhsa_next_free_vgpr 49
		.amdhsa_next_free_sgpr 32
		.amdhsa_accum_offset 52
		.amdhsa_reserve_vcc 1
		.amdhsa_reserve_flat_scratch 0
		.amdhsa_float_round_mode_32 0
		.amdhsa_float_round_mode_16_64 0
		.amdhsa_float_denorm_mode_32 3
		.amdhsa_float_denorm_mode_16_64 3
		.amdhsa_dx10_clamp 1
		.amdhsa_ieee_mode 1
		.amdhsa_fp16_overflow 0
		.amdhsa_tg_split 0
		.amdhsa_exception_fp_ieee_invalid_op 0
		.amdhsa_exception_fp_denorm_src 0
		.amdhsa_exception_fp_ieee_div_zero 0
		.amdhsa_exception_fp_ieee_overflow 0
		.amdhsa_exception_fp_ieee_underflow 0
		.amdhsa_exception_fp_ieee_inexact 0
		.amdhsa_exception_int_div_zero 0
	.end_amdhsa_kernel
	.section	.text._ZN5aiter35fused_qk_rmsnorm_group_quant_kernelIDF16_DB8_Li512ELi16ELi8ELb1ELb1ELb1ELb1ELb0ELb0EEEvPT0_PvPT_S6_S6_PKS5_S8_S8_S8_S8_ffiiiiiiiiiiiii,"axG",@progbits,_ZN5aiter35fused_qk_rmsnorm_group_quant_kernelIDF16_DB8_Li512ELi16ELi8ELb1ELb1ELb1ELb1ELb0ELb0EEEvPT0_PvPT_S6_S6_PKS5_S8_S8_S8_S8_ffiiiiiiiiiiiii,comdat
.Lfunc_end889:
	.size	_ZN5aiter35fused_qk_rmsnorm_group_quant_kernelIDF16_DB8_Li512ELi16ELi8ELb1ELb1ELb1ELb1ELb0ELb0EEEvPT0_PvPT_S6_S6_PKS5_S8_S8_S8_S8_ffiiiiiiiiiiiii, .Lfunc_end889-_ZN5aiter35fused_qk_rmsnorm_group_quant_kernelIDF16_DB8_Li512ELi16ELi8ELb1ELb1ELb1ELb1ELb0ELb0EEEvPT0_PvPT_S6_S6_PKS5_S8_S8_S8_S8_ffiiiiiiiiiiiii
                                        ; -- End function
	.section	.AMDGPU.csdata,"",@progbits
; Kernel info:
; codeLenInByte = 3640
; NumSgprs: 36
; NumVgprs: 49
; NumAgprs: 0
; TotalNumVgprs: 49
; ScratchSize: 0
; MemoryBound: 0
; FloatMode: 240
; IeeeMode: 1
; LDSByteSize: 64 bytes/workgroup (compile time only)
; SGPRBlocks: 4
; VGPRBlocks: 6
; NumSGPRsForWavesPerEU: 36
; NumVGPRsForWavesPerEU: 49
; AccumOffset: 52
; Occupancy: 8
; WaveLimiterHint : 0
; COMPUTE_PGM_RSRC2:SCRATCH_EN: 0
; COMPUTE_PGM_RSRC2:USER_SGPR: 6
; COMPUTE_PGM_RSRC2:TRAP_HANDLER: 0
; COMPUTE_PGM_RSRC2:TGID_X_EN: 1
; COMPUTE_PGM_RSRC2:TGID_Y_EN: 1
; COMPUTE_PGM_RSRC2:TGID_Z_EN: 0
; COMPUTE_PGM_RSRC2:TIDIG_COMP_CNT: 0
; COMPUTE_PGM_RSRC3_GFX90A:ACCUM_OFFSET: 12
; COMPUTE_PGM_RSRC3_GFX90A:TG_SPLIT: 0
	.section	.text._ZN5aiter35fused_qk_rmsnorm_group_quant_kernelItDB8_Li512ELi16ELi8ELb1ELb1ELb1ELb1ELb0ELb0EEEvPT0_PvPT_S6_S6_PKS5_S8_S8_S8_S8_ffiiiiiiiiiiiii,"axG",@progbits,_ZN5aiter35fused_qk_rmsnorm_group_quant_kernelItDB8_Li512ELi16ELi8ELb1ELb1ELb1ELb1ELb0ELb0EEEvPT0_PvPT_S6_S6_PKS5_S8_S8_S8_S8_ffiiiiiiiiiiiii,comdat
	.protected	_ZN5aiter35fused_qk_rmsnorm_group_quant_kernelItDB8_Li512ELi16ELi8ELb1ELb1ELb1ELb1ELb0ELb0EEEvPT0_PvPT_S6_S6_PKS5_S8_S8_S8_S8_ffiiiiiiiiiiiii ; -- Begin function _ZN5aiter35fused_qk_rmsnorm_group_quant_kernelItDB8_Li512ELi16ELi8ELb1ELb1ELb1ELb1ELb0ELb0EEEvPT0_PvPT_S6_S6_PKS5_S8_S8_S8_S8_ffiiiiiiiiiiiii
	.globl	_ZN5aiter35fused_qk_rmsnorm_group_quant_kernelItDB8_Li512ELi16ELi8ELb1ELb1ELb1ELb1ELb0ELb0EEEvPT0_PvPT_S6_S6_PKS5_S8_S8_S8_S8_ffiiiiiiiiiiiii
	.p2align	8
	.type	_ZN5aiter35fused_qk_rmsnorm_group_quant_kernelItDB8_Li512ELi16ELi8ELb1ELb1ELb1ELb1ELb0ELb0EEEvPT0_PvPT_S6_S6_PKS5_S8_S8_S8_S8_ffiiiiiiiiiiiii,@function
_ZN5aiter35fused_qk_rmsnorm_group_quant_kernelItDB8_Li512ELi16ELi8ELb1ELb1ELb1ELb1ELb0ELb0EEEvPT0_PvPT_S6_S6_PKS5_S8_S8_S8_S8_ffiiiiiiiiiiiii: ; @_ZN5aiter35fused_qk_rmsnorm_group_quant_kernelItDB8_Li512ELi16ELi8ELb1ELb1ELb1ELb1ELb0ELb0EEEvPT0_PvPT_S6_S6_PKS5_S8_S8_S8_S8_ffiiiiiiiiiiiii
; %bb.0:
	s_load_dwordx8 s[12:19], s[4:5], 0x50
	s_waitcnt lgkmcnt(0)
	s_cmp_ge_i32 s6, s14
	s_cbranch_scc1 .LBB890_17
; %bb.1:
	s_cmp_lg_u32 s7, 0
	s_cselect_b64 s[22:23], -1, 0
	s_cmp_eq_u32 s7, 0
	s_cselect_b64 s[2:3], -1, 0
	s_and_b64 s[0:1], s[2:3], exec
	s_cselect_b32 s7, s15, s16
	s_load_dwordx2 s[10:11], s[4:5], 0x30
	s_load_dwordx2 s[20:21], s[4:5], 0x48
	s_add_i32 s0, s7, 1
	s_lshr_b32 s1, s0, 31
	s_add_i32 s0, s0, s1
	s_lshl_b32 s0, s0, 1
	v_lshlrev_b32_e32 v1, 4, v0
	s_and_b32 s30, s0, -4
	v_cmp_gt_i32_e64 s[0:1], s7, v1
	v_mov_b32_e32 v62, 0
	v_mov_b32_e32 v63, 0
	;; [unrolled: 1-line block ×16, first 2 shown]
	s_and_saveexec_b64 s[8:9], s[0:1]
	s_cbranch_execz .LBB890_3
; %bb.2:
	s_load_dwordx2 s[14:15], s[4:5], 0x28
	s_load_dwordx2 s[26:27], s[4:5], 0x40
	s_and_b64 s[24:25], s[2:3], exec
	s_cselect_b32 s17, s17, s18
	s_mov_b32 s31, 0x20000
	s_waitcnt lgkmcnt(0)
	s_cselect_b32 s25, s15, s11
	s_cselect_b32 s24, s14, s10
	s_mul_hi_i32 s15, s17, s6
	s_mul_i32 s14, s17, s6
	s_lshl_b64 s[14:15], s[14:15], 1
	s_add_u32 s24, s24, s14
	s_addc_u32 s17, s25, s15
	s_and_b64 s[14:15], s[2:3], exec
	s_cselect_b32 s28, s26, s20
	s_cselect_b32 s14, s27, s21
	s_and_b32 s25, s17, 0xffff
	s_mov_b32 s26, s30
	s_mov_b32 s27, s31
	v_lshlrev_b32_e32 v2, 5, v0
	s_and_b32 s29, s14, 0xffff
	buffer_load_dwordx4 v[66:69], v2, s[24:27], 0 offen
	buffer_load_dwordx4 v[70:73], v2, s[24:27], 16 offen
	;; [unrolled: 1-line block ×4, first 2 shown]
.LBB890_3:
	s_or_b64 exec, exec, s[8:9]
	s_load_dwordx4 s[24:27], s[4:5], 0x7c
	s_and_b64 vcc, exec, s[22:23]
	s_cbranch_vccz .LBB890_7
; %bb.4:
	v_mov_b32_e32 v75, 0
	v_mov_b32_e32 v74, 0
	;; [unrolled: 1-line block ×16, first 2 shown]
	s_and_saveexec_b64 s[8:9], s[0:1]
	s_cbranch_execz .LBB890_6
; %bb.5:
	s_waitcnt vmcnt(3)
	v_cvt_f32_u32_sdwa v2, v66 dst_sel:DWORD dst_unused:UNUSED_PAD src0_sel:WORD_0
	v_cvt_f32_u32_sdwa v3, v66 dst_sel:DWORD dst_unused:UNUSED_PAD src0_sel:WORD_1
	v_cvt_f32_u32_sdwa v6, v67 dst_sel:DWORD dst_unused:UNUSED_PAD src0_sel:WORD_0
	v_cvt_f32_u32_sdwa v7, v67 dst_sel:DWORD dst_unused:UNUSED_PAD src0_sel:WORD_1
	;; [unrolled: 2-line block ×4, first 2 shown]
	s_waitcnt vmcnt(2)
	v_cvt_f32_u32_sdwa v50, v70 dst_sel:DWORD dst_unused:UNUSED_PAD src0_sel:WORD_0
	v_cvt_f32_u32_sdwa v51, v70 dst_sel:DWORD dst_unused:UNUSED_PAD src0_sel:WORD_1
	v_cvt_f32_u32_sdwa v24, v71 dst_sel:DWORD dst_unused:UNUSED_PAD src0_sel:WORD_0
	v_cvt_f32_u32_sdwa v25, v71 dst_sel:DWORD dst_unused:UNUSED_PAD src0_sel:WORD_1
	;; [unrolled: 2-line block ×4, first 2 shown]
.LBB890_6:
	s_or_b64 exec, exec, s[8:9]
	s_cbranch_execz .LBB890_8
	s_branch .LBB890_11
.LBB890_7:
                                        ; implicit-def: $vgpr2_vgpr3_vgpr4_vgpr5_vgpr6_vgpr7_vgpr8_vgpr9_vgpr10_vgpr11_vgpr12_vgpr13_vgpr14_vgpr15_vgpr16_vgpr17
                                        ; implicit-def: $vgpr36_vgpr37_vgpr38_vgpr39_vgpr40_vgpr41_vgpr42_vgpr43_vgpr44_vgpr45_vgpr46_vgpr47_vgpr48_vgpr49_vgpr50_vgpr51
                                        ; implicit-def: $vgpr4_vgpr5_vgpr6_vgpr7_vgpr8_vgpr9_vgpr10_vgpr11_vgpr12_vgpr13_vgpr14_vgpr15_vgpr16_vgpr17_vgpr18_vgpr19
                                        ; implicit-def: $vgpr24_vgpr25_vgpr26_vgpr27_vgpr28_vgpr29_vgpr30_vgpr31_vgpr32_vgpr33_vgpr34_vgpr35_vgpr36_vgpr37_vgpr38_vgpr39
                                        ; implicit-def: $vgpr75
                                        ; implicit-def: $vgpr42_vgpr43_vgpr44_vgpr45_vgpr46_vgpr47_vgpr48_vgpr49_vgpr50_vgpr51_vgpr52_vgpr53_vgpr54_vgpr55_vgpr56_vgpr57
                                        ; implicit-def: $vgpr14_vgpr15_vgpr16_vgpr17_vgpr18_vgpr19_vgpr20_vgpr21_vgpr22_vgpr23_vgpr24_vgpr25_vgpr26_vgpr27_vgpr28_vgpr29
                                        ; implicit-def: $vgpr8_vgpr9_vgpr10_vgpr11_vgpr12_vgpr13_vgpr14_vgpr15_vgpr16_vgpr17_vgpr18_vgpr19_vgpr20_vgpr21_vgpr22_vgpr23
.LBB890_8:
	v_mov_b32_e32 v75, 0
	v_mov_b32_e32 v74, 0
	v_mov_b32_e32 v21, 0
	v_mov_b32_e32 v20, 0
	v_mov_b32_e32 v25, 0
	v_mov_b32_e32 v24, 0
	v_mov_b32_e32 v51, 0
	v_mov_b32_e32 v50, 0
	v_mov_b32_e32 v31, 0
	v_mov_b32_e32 v30, 0
	v_mov_b32_e32 v41, 0
	v_mov_b32_e32 v40, 0
	v_mov_b32_e32 v7, 0
	v_mov_b32_e32 v6, 0
	v_mov_b32_e32 v3, 0
	v_mov_b32_e32 v2, 0
	s_and_saveexec_b64 s[8:9], s[0:1]
	s_cbranch_execz .LBB890_10
; %bb.9:
	s_load_dwordx2 s[14:15], s[4:5], 0x38
	s_mul_hi_i32 s29, s19, s6
	s_mul_i32 s28, s19, s6
	s_lshl_b64 s[28:29], s[28:29], 1
	s_mov_b32 s31, 0x20000
	s_waitcnt lgkmcnt(0)
	s_add_u32 s28, s14, s28
	s_addc_u32 s14, s15, s29
	s_and_b32 s29, s14, 0xffff
	v_lshlrev_b32_e32 v38, 5, v0
	buffer_load_dwordx4 v[6:9], v38, s[28:31], 16 offen
	buffer_load_dwordx4 v[10:13], v38, s[28:31], 0 offen
	s_load_dwordx2 s[14:15], s[4:5], 0x20
	s_waitcnt vmcnt(5)
	v_cvt_f32_u32_sdwa v3, v66 dst_sel:DWORD dst_unused:UNUSED_PAD src0_sel:WORD_1
	v_cvt_f32_u32_sdwa v2, v66 dst_sel:DWORD dst_unused:UNUSED_PAD src0_sel:WORD_0
	v_cvt_f32_u32_sdwa v21, v67 dst_sel:DWORD dst_unused:UNUSED_PAD src0_sel:WORD_1
	v_cvt_f32_u32_sdwa v20, v67 dst_sel:DWORD dst_unused:UNUSED_PAD src0_sel:WORD_0
	;; [unrolled: 2-line block ×4, first 2 shown]
	s_waitcnt vmcnt(4)
	v_cvt_f32_u32_sdwa v5, v70 dst_sel:DWORD dst_unused:UNUSED_PAD src0_sel:WORD_1
	v_cvt_f32_u32_sdwa v4, v70 dst_sel:DWORD dst_unused:UNUSED_PAD src0_sel:WORD_0
	v_cvt_f32_u32_sdwa v15, v71 dst_sel:DWORD dst_unused:UNUSED_PAD src0_sel:WORD_1
	v_cvt_f32_u32_sdwa v14, v71 dst_sel:DWORD dst_unused:UNUSED_PAD src0_sel:WORD_0
	;; [unrolled: 2-line block ×3, first 2 shown]
	v_cvt_f32_u32_sdwa v18, v73 dst_sel:DWORD dst_unused:UNUSED_PAD src0_sel:WORD_0
	v_cvt_f32_u32_sdwa v19, v73 dst_sel:DWORD dst_unused:UNUSED_PAD src0_sel:WORD_1
	s_mul_hi_i32 s27, s26, s6
	s_mul_i32 s26, s26, s6
	s_lshl_b64 s[26:27], s[26:27], 1
	s_waitcnt lgkmcnt(0)
	s_add_u32 s28, s14, s26
	s_mov_b32 s17, 0x7060302
	s_addc_u32 s14, s15, s27
	s_and_b32 s29, s14, 0xffff
	s_waitcnt vmcnt(1)
	v_cvt_f32_u32_sdwa v27, v6 dst_sel:DWORD dst_unused:UNUSED_PAD src0_sel:WORD_1
	v_cvt_f32_u32_sdwa v26, v6 dst_sel:DWORD dst_unused:UNUSED_PAD src0_sel:WORD_0
	v_cvt_f32_u32_sdwa v29, v7 dst_sel:DWORD dst_unused:UNUSED_PAD src0_sel:WORD_1
	v_cvt_f32_u32_sdwa v28, v7 dst_sel:DWORD dst_unused:UNUSED_PAD src0_sel:WORD_0
	;; [unrolled: 2-line block ×3, first 2 shown]
	v_cvt_f32_u32_sdwa v34, v9 dst_sel:DWORD dst_unused:UNUSED_PAD src0_sel:WORD_0
	v_cvt_f32_u32_sdwa v35, v9 dst_sel:DWORD dst_unused:UNUSED_PAD src0_sel:WORD_1
	s_waitcnt vmcnt(0)
	v_cvt_f32_u32_sdwa v37, v10 dst_sel:DWORD dst_unused:UNUSED_PAD src0_sel:WORD_1
	v_cvt_f32_u32_sdwa v36, v10 dst_sel:DWORD dst_unused:UNUSED_PAD src0_sel:WORD_0
	v_cvt_f32_u32_sdwa v7, v12 dst_sel:DWORD dst_unused:UNUSED_PAD src0_sel:WORD_1
	v_cvt_f32_u32_sdwa v6, v12 dst_sel:DWORD dst_unused:UNUSED_PAD src0_sel:WORD_0
	;; [unrolled: 2-line block ×4, first 2 shown]
	v_pk_add_f32 v[40:41], v[22:23], v[6:7]
	v_pk_add_f32 v[30:31], v[24:25], v[8:9]
	v_pk_add_f32 v[2:3], v[2:3], v[36:37]
	v_pk_add_f32 v[6:7], v[20:21], v[12:13]
	v_perm_b32 v11, v31, v30, s17
	v_perm_b32 v10, v41, v40, s17
	;; [unrolled: 1-line block ×4, first 2 shown]
	v_pk_add_f32 v[74:75], v[18:19], v[34:35]
	v_pk_add_f32 v[20:21], v[16:17], v[32:33]
	;; [unrolled: 1-line block ×4, first 2 shown]
	buffer_store_dwordx4 v[8:11], v38, s[28:31], 0 offen
	;;#ASMSTART
	s_nop 0
	;;#ASMEND
	s_nop 0
	v_perm_b32 v11, v75, v74, s17
	v_perm_b32 v10, v21, v20, s17
	;; [unrolled: 1-line block ×4, first 2 shown]
	buffer_store_dwordx4 v[8:11], v38, s[28:31], 16 offen
	;;#ASMSTART
	s_nop 0
	;;#ASMEND
.LBB890_10:
	s_or_b64 exec, exec, s[8:9]
.LBB890_11:
	v_mul_f32_e32 v4, v3, v3
	v_fmac_f32_e32 v4, v2, v2
	v_fmac_f32_e32 v4, v6, v6
	;; [unrolled: 1-line block ×15, first 2 shown]
	s_nop 1
	v_mov_b32_dpp v5, v4 quad_perm:[1,0,3,2] row_mask:0xf bank_mask:0xf
	v_add_f32_e32 v4, v4, v5
	s_nop 1
	v_mov_b32_dpp v5, v4 quad_perm:[2,3,0,1] row_mask:0xf bank_mask:0xf
	v_add_f32_e32 v4, v4, v5
	s_nop 1
	v_mov_b32_dpp v5, v4 row_half_mirror row_mask:0xf bank_mask:0xf
	v_add_f32_e32 v4, v4, v5
	s_nop 1
	v_mov_b32_dpp v5, v4 row_mirror row_mask:0xf bank_mask:0xf
	v_add_f32_e32 v4, v4, v5
	s_nop 1
	v_mov_b32_dpp v5, v4 row_bcast:15 row_mask:0xf bank_mask:0xf
	v_add_f32_e32 v4, v4, v5
	v_and_b32_e32 v5, 63, v0
	v_cmp_eq_u32_e64 s[8:9], 63, v5
	s_nop 0
	v_mov_b32_dpp v5, v4 row_bcast:31 row_mask:0xf bank_mask:0xf
	s_and_saveexec_b64 s[14:15], s[8:9]
	s_cbranch_execz .LBB890_13
; %bb.12:
	v_add_f32_e32 v4, v4, v5
	v_lshrrev_b32_e32 v5, 4, v0
	v_and_b32_e32 v5, 60, v5
	ds_write_b32 v5, v4 offset:32
.LBB890_13:
	s_or_b64 exec, exec, s[14:15]
	v_and_b32_e32 v4, 7, v0
	v_lshlrev_b32_e32 v34, 2, v4
	s_waitcnt lgkmcnt(0)
	s_barrier
	ds_read_b32 v4, v34 offset:32
	s_load_dwordx2 s[14:15], s[4:5], 0x18
	s_waitcnt lgkmcnt(0)
	v_mov_b32_dpp v5, v4 quad_perm:[1,0,3,2] row_mask:0xf bank_mask:0xf
	v_add_f32_e32 v4, v4, v5
	s_nop 1
	v_mov_b32_dpp v5, v4 quad_perm:[2,3,0,1] row_mask:0xf bank_mask:0xf
	v_add_f32_e32 v4, v4, v5
	s_nop 1
	v_mov_b32_dpp v5, v4 row_half_mirror row_mask:0xf bank_mask:0xf
	s_and_saveexec_b64 s[26:27], s[0:1]
	s_cbranch_execnz .LBB890_18
; %bb.14:
	s_or_b64 exec, exec, s[26:27]
	s_mov_b64 s[2:3], -1
	s_and_b64 vcc, exec, s[22:23]
	s_cbranch_vccnz .LBB890_19
.LBB890_15:
	s_andn2_b64 vcc, exec, s[2:3]
	s_cbranch_vccz .LBB890_22
.LBB890_16:
	s_cmp_lt_i32 s16, 1
	s_cbranch_scc0 .LBB890_25
.LBB890_17:
	s_endpgm
.LBB890_18:
	v_add_f32_e32 v4, v4, v5
	v_cvt_f32_u32_e32 v5, s7
	s_waitcnt vmcnt(1)
	v_cvt_f32_u32_sdwa v15, v62 dst_sel:DWORD dst_unused:UNUSED_PAD src0_sel:WORD_1
	v_cvt_f32_u32_sdwa v14, v62 dst_sel:DWORD dst_unused:UNUSED_PAD src0_sel:WORD_0
	v_cvt_f32_u32_sdwa v23, v65 dst_sel:DWORD dst_unused:UNUSED_PAD src0_sel:WORD_1
	v_div_scale_f32 v8, s[28:29], v5, v5, v4
	v_rcp_f32_e32 v9, v8
	v_pk_add_f32 v[14:15], v[14:15], 1.0 op_sel_hi:[1,0]
	v_cvt_f32_u32_sdwa v22, v65 dst_sel:DWORD dst_unused:UNUSED_PAD src0_sel:WORD_0
	s_waitcnt vmcnt(0)
	v_cvt_f32_u32_sdwa v27, v60 dst_sel:DWORD dst_unused:UNUSED_PAD src0_sel:WORD_1
	v_fma_f32 v10, -v8, v9, 1.0
	v_fmac_f32_e32 v9, v10, v9
	v_div_scale_f32 v10, vcc, v4, v5, v4
	v_mul_f32_e32 v11, v10, v9
	v_fma_f32 v12, -v8, v11, v10
	v_fmac_f32_e32 v11, v12, v9
	v_fma_f32 v8, -v8, v11, v10
	v_div_fmas_f32 v8, v8, v9, v11
	v_div_fixup_f32 v4, v8, v5, v4
	v_mov_b32_e32 v5, s13
	v_mov_b32_e32 v8, s12
	v_cndmask_b32_e64 v5, v5, v8, s[2:3]
	v_add_f32_e32 v4, v5, v4
	s_mov_b32 s2, 0x800000
	v_mul_f32_e32 v5, 0x4b800000, v4
	v_cmp_gt_f32_e32 vcc, s2, v4
	v_cndmask_b32_e32 v4, v4, v5, vcc
	v_rsq_f32_e32 v4, v4
	v_cvt_f32_u32_sdwa v26, v60 dst_sel:DWORD dst_unused:UNUSED_PAD src0_sel:WORD_0
	v_cvt_f32_u32_sdwa v29, v61 dst_sel:DWORD dst_unused:UNUSED_PAD src0_sel:WORD_1
	v_cvt_f32_u32_sdwa v28, v61 dst_sel:DWORD dst_unused:UNUSED_PAD src0_sel:WORD_0
	v_mul_f32_e32 v5, 0x45800000, v4
	v_cndmask_b32_e32 v4, v4, v5, vcc
	v_mov_b32_e32 v5, v4
	;;#ASMSTART
	v_pk_mul_f32 v[2:3], v[2:3], v[4:5]
	;;#ASMEND
	;;#ASMSTART
	v_pk_mul_f32 v[6:7], v[6:7], v[4:5]
	;;#ASMEND
	;; [unrolled: 3-line block ×9, first 2 shown]
	v_cvt_f32_u32_sdwa v15, v63 dst_sel:DWORD dst_unused:UNUSED_PAD src0_sel:WORD_1
	v_cvt_f32_u32_sdwa v14, v63 dst_sel:DWORD dst_unused:UNUSED_PAD src0_sel:WORD_0
	v_cvt_f32_u32_sdwa v21, v64 dst_sel:DWORD dst_unused:UNUSED_PAD src0_sel:WORD_1
	v_cvt_f32_u32_sdwa v20, v64 dst_sel:DWORD dst_unused:UNUSED_PAD src0_sel:WORD_0
	v_cvt_f32_u32_sdwa v25, v59 dst_sel:DWORD dst_unused:UNUSED_PAD src0_sel:WORD_1
	v_pk_add_f32 v[14:15], v[14:15], 1.0 op_sel_hi:[1,0]
	v_cvt_f32_u32_sdwa v24, v59 dst_sel:DWORD dst_unused:UNUSED_PAD src0_sel:WORD_0
	;;#ASMSTART
	v_pk_mul_f32 v[6:7], v[6:7], v[14:15]
	;;#ASMEND
	v_pk_add_f32 v[14:15], v[20:21], 1.0 op_sel_hi:[1,0]
	v_pk_add_f32 v[20:21], v[22:23], 1.0 op_sel_hi:[1,0]
	v_cvt_f32_u32_sdwa v23, v58 dst_sel:DWORD dst_unused:UNUSED_PAD src0_sel:WORD_1
	v_cvt_f32_u32_sdwa v22, v58 dst_sel:DWORD dst_unused:UNUSED_PAD src0_sel:WORD_0
	v_pk_add_f32 v[24:25], v[24:25], 1.0 op_sel_hi:[1,0]
	v_pk_add_f32 v[26:27], v[26:27], 1.0 op_sel_hi:[1,0]
	;; [unrolled: 1-line block ×4, first 2 shown]
	;;#ASMSTART
	v_pk_mul_f32 v[40:41], v[8:9], v[14:15]
	;;#ASMEND
	;;#ASMSTART
	v_pk_mul_f32 v[30:31], v[10:11], v[20:21]
	;;#ASMEND
	;; [unrolled: 3-line block ×6, first 2 shown]
	s_or_b64 exec, exec, s[26:27]
	s_mov_b64 s[2:3], -1
	s_and_b64 vcc, exec, s[22:23]
	s_cbranch_vccz .LBB890_15
.LBB890_19:
	s_and_saveexec_b64 s[2:3], s[0:1]
	s_cbranch_execz .LBB890_21
; %bb.20:
	s_mul_hi_i32 s23, s25, s6
	s_mul_i32 s22, s25, s6
	s_lshl_b64 s[22:23], s[22:23], 1
	s_add_u32 s28, s14, s22
	s_addc_u32 s7, s15, s23
	s_and_b32 s29, s7, 0xffff
	s_mov_b32 s7, 0x7060302
	s_mov_b32 s31, 0x20000
	v_perm_b32 v11, v31, v30, s7
	v_perm_b32 v10, v41, v40, s7
	;; [unrolled: 1-line block ×4, first 2 shown]
	v_lshlrev_b32_e32 v4, 5, v0
	buffer_store_dwordx4 v[8:11], v4, s[28:31], 0 offen
	;;#ASMSTART
	s_nop 0
	;;#ASMEND
	s_nop 0
	v_perm_b32 v11, v75, v74, s7
	v_perm_b32 v10, v21, v20, s7
	;; [unrolled: 1-line block ×4, first 2 shown]
	buffer_store_dwordx4 v[8:11], v4, s[28:31], 16 offen
	;;#ASMSTART
	s_nop 0
	;;#ASMEND
.LBB890_21:
	s_or_b64 exec, exec, s[2:3]
	s_cbranch_execnz .LBB890_16
.LBB890_22:
	s_and_saveexec_b64 s[2:3], s[0:1]
	s_cbranch_execz .LBB890_24
; %bb.23:
	s_load_dwordx2 s[0:1], s[4:5], 0x10
	s_mul_hi_i32 s23, s24, s6
	s_mul_i32 s22, s24, s6
	s_lshl_b64 s[22:23], s[22:23], 1
	s_mov_b32 s7, 0x7060302
	s_waitcnt lgkmcnt(0)
	s_add_u32 s28, s0, s22
	s_addc_u32 s0, s1, s23
	v_perm_b32 v9, v31, v30, s7
	v_perm_b32 v8, v41, v40, s7
	;; [unrolled: 1-line block ×4, first 2 shown]
	s_and_b32 s29, s0, 0xffff
	s_mov_b32 s31, 0x20000
	v_lshlrev_b32_e32 v10, 5, v0
	v_perm_b32 v5, v75, v74, s7
	v_perm_b32 v4, v21, v20, s7
	;; [unrolled: 1-line block ×4, first 2 shown]
	buffer_store_dwordx4 v[6:9], v10, s[28:31], 0 offen
	;;#ASMSTART
	s_nop 0
	;;#ASMEND
	buffer_store_dwordx4 v[2:5], v10, s[28:31], 16 offen
	;;#ASMSTART
	s_nop 0
	;;#ASMEND
.LBB890_24:
	s_or_b64 exec, exec, s[2:3]
	s_cmp_lt_i32 s16, 1
	s_cbranch_scc1 .LBB890_17
.LBB890_25:
	s_load_dword s0, s[4:5], 0x94
	s_waitcnt lgkmcnt(0)
	s_cmp_lg_u32 s0, 1
	s_cbranch_scc1 .LBB890_17
; %bb.26:
	s_lshl_b32 s0, s16, 1
	s_add_i32 s0, s0, 2
	v_cmp_gt_u32_e32 vcc, s16, v1
	s_and_b32 s22, s0, -4
	v_mov_b32_e32 v18, 0
	v_lshlrev_b32_e32 v1, 5, v0
	v_mov_b32_e32 v14, 0
	v_mov_b32_e32 v15, 0
	;; [unrolled: 1-line block ×16, first 2 shown]
	s_barrier
	s_and_saveexec_b64 s[0:1], vcc
	s_cbranch_execz .LBB890_28
; %bb.27:
	s_mul_hi_i32 s3, s18, s6
	s_mul_i32 s2, s18, s6
	s_and_b32 s21, s21, 0xffff
	s_lshl_b64 s[2:3], s[2:3], 1
	s_add_u32 s28, s10, s2
	s_mov_b32 s23, 0x20000
	s_addc_u32 s2, s11, s3
	s_and_b32 s29, s2, 0xffff
	s_mov_b32 s30, s22
	s_mov_b32 s31, s23
	buffer_load_dwordx4 v[14:17], v1, s[28:31], 0 offen
	buffer_load_dwordx4 v[10:13], v1, s[28:31], 16 offen
	;; [unrolled: 1-line block ×4, first 2 shown]
.LBB890_28:
	s_or_b64 exec, exec, s[0:1]
	v_mov_b32_e32 v19, 0
	v_mov_b32_e32 v32, 0
	;; [unrolled: 1-line block ×15, first 2 shown]
	s_and_saveexec_b64 s[0:1], vcc
	s_cbranch_execz .LBB890_30
; %bb.29:
	s_waitcnt vmcnt(3)
	v_cvt_f32_u32_sdwa v18, v14 dst_sel:DWORD dst_unused:UNUSED_PAD src0_sel:WORD_0
	v_cvt_f32_u32_sdwa v19, v14 dst_sel:DWORD dst_unused:UNUSED_PAD src0_sel:WORD_1
	v_cvt_f32_u32_sdwa v32, v15 dst_sel:DWORD dst_unused:UNUSED_PAD src0_sel:WORD_0
	v_cvt_f32_u32_sdwa v33, v15 dst_sel:DWORD dst_unused:UNUSED_PAD src0_sel:WORD_1
	;; [unrolled: 2-line block ×4, first 2 shown]
	s_waitcnt vmcnt(2)
	v_cvt_f32_u32_sdwa v26, v10 dst_sel:DWORD dst_unused:UNUSED_PAD src0_sel:WORD_0
	v_cvt_f32_u32_sdwa v27, v10 dst_sel:DWORD dst_unused:UNUSED_PAD src0_sel:WORD_1
	v_cvt_f32_u32_sdwa v24, v11 dst_sel:DWORD dst_unused:UNUSED_PAD src0_sel:WORD_0
	v_cvt_f32_u32_sdwa v25, v11 dst_sel:DWORD dst_unused:UNUSED_PAD src0_sel:WORD_1
	;; [unrolled: 2-line block ×4, first 2 shown]
.LBB890_30:
	s_or_b64 exec, exec, s[0:1]
	s_waitcnt vmcnt(2)
	v_mul_f32_e32 v10, v19, v19
	v_fmac_f32_e32 v10, v18, v18
	v_fmac_f32_e32 v10, v32, v32
	;; [unrolled: 1-line block ×15, first 2 shown]
	s_nop 1
	v_mov_b32_dpp v11, v10 quad_perm:[1,0,3,2] row_mask:0xf bank_mask:0xf
	v_add_f32_e32 v10, v10, v11
	s_nop 1
	v_mov_b32_dpp v11, v10 quad_perm:[2,3,0,1] row_mask:0xf bank_mask:0xf
	v_add_f32_e32 v10, v10, v11
	s_nop 1
	v_mov_b32_dpp v11, v10 row_half_mirror row_mask:0xf bank_mask:0xf
	v_add_f32_e32 v10, v10, v11
	s_nop 1
	v_mov_b32_dpp v11, v10 row_mirror row_mask:0xf bank_mask:0xf
	v_add_f32_e32 v10, v10, v11
	s_nop 1
	v_mov_b32_dpp v11, v10 row_bcast:15 row_mask:0xf bank_mask:0xf
	v_add_f32_e32 v10, v10, v11
	s_nop 1
	v_mov_b32_dpp v11, v10 row_bcast:31 row_mask:0xf bank_mask:0xf
	s_and_saveexec_b64 s[0:1], s[8:9]
	s_cbranch_execz .LBB890_32
; %bb.31:
	v_lshrrev_b32_e32 v0, 4, v0
	v_add_f32_e32 v10, v10, v11
	v_and_b32_e32 v0, 60, v0
	ds_write_b32 v0, v10
.LBB890_32:
	s_or_b64 exec, exec, s[0:1]
	s_waitcnt lgkmcnt(0)
	s_barrier
	ds_read_b32 v0, v34
	s_waitcnt lgkmcnt(0)
	s_nop 0
	v_mov_b32_dpp v10, v0 quad_perm:[1,0,3,2] row_mask:0xf bank_mask:0xf
	v_add_f32_e32 v0, v0, v10
	s_nop 1
	v_mov_b32_dpp v10, v0 quad_perm:[2,3,0,1] row_mask:0xf bank_mask:0xf
	v_add_f32_e32 v0, v0, v10
	s_nop 1
	v_mov_b32_dpp v10, v0 row_half_mirror row_mask:0xf bank_mask:0xf
	s_and_saveexec_b64 s[0:1], vcc
	s_cbranch_execz .LBB890_17
; %bb.33:
	v_cvt_f32_u32_e32 v11, s16
	v_add_f32_e32 v0, v0, v10
	s_mov_b32 s23, 0x20000
	v_div_scale_f32 v10, s[0:1], v11, v11, v0
	v_rcp_f32_e32 v12, v10
	v_div_scale_f32 v13, vcc, v0, v11, v0
	s_mov_b32 s0, 0x800000
	v_fma_f32 v14, -v10, v12, 1.0
	v_fmac_f32_e32 v12, v14, v12
	v_mul_f32_e32 v14, v13, v12
	v_fma_f32 v15, -v10, v14, v13
	v_fmac_f32_e32 v14, v15, v12
	v_fma_f32 v10, -v10, v14, v13
	v_div_fmas_f32 v10, v10, v12, v14
	v_div_fixup_f32 v0, v10, v11, v0
	v_add_f32_e32 v0, s13, v0
	v_mul_f32_e32 v10, 0x4b800000, v0
	v_cmp_gt_f32_e32 vcc, s0, v0
	v_cndmask_b32_e32 v0, v0, v10, vcc
	v_rsq_f32_e32 v0, v0
	s_mul_hi_i32 s1, s25, s6
	s_mul_i32 s0, s25, s6
	s_lshl_b64 s[0:1], s[0:1], 1
	v_mul_f32_e32 v10, 0x45800000, v0
	v_cndmask_b32_e32 v10, v0, v10, vcc
	v_mov_b32_e32 v11, v10
	;;#ASMSTART
	v_pk_mul_f32 v[12:13], v[18:19], v[10:11]
	;;#ASMEND
	;;#ASMSTART
	v_pk_mul_f32 v[14:15], v[32:33], v[10:11]
	;;#ASMEND
	;; [unrolled: 3-line block ×4, first 2 shown]
	s_waitcnt vmcnt(1)
	v_cvt_f32_u32_sdwa v29, v6 dst_sel:DWORD dst_unused:UNUSED_PAD src0_sel:WORD_1
	v_cvt_f32_u32_sdwa v28, v6 dst_sel:DWORD dst_unused:UNUSED_PAD src0_sel:WORD_0
	v_cvt_f32_u32_sdwa v31, v7 dst_sel:DWORD dst_unused:UNUSED_PAD src0_sel:WORD_1
	v_cvt_f32_u32_sdwa v30, v7 dst_sel:DWORD dst_unused:UNUSED_PAD src0_sel:WORD_0
	;;#ASMSTART
	v_pk_mul_f32 v[26:27], v[26:27], v[10:11]
	;;#ASMEND
	;;#ASMSTART
	v_pk_mul_f32 v[24:25], v[24:25], v[10:11]
	;;#ASMEND
	;; [unrolled: 3-line block ×4, first 2 shown]
	v_cvt_f32_u32_sdwa v21, v8 dst_sel:DWORD dst_unused:UNUSED_PAD src0_sel:WORD_1
	v_cvt_f32_u32_sdwa v20, v8 dst_sel:DWORD dst_unused:UNUSED_PAD src0_sel:WORD_0
	v_pk_add_f32 v[10:11], v[28:29], 1.0 op_sel_hi:[1,0]
	;;#ASMSTART
	v_pk_mul_f32 v[10:11], v[12:13], v[10:11]
	;;#ASMEND
	v_pk_add_f32 v[12:13], v[30:31], 1.0 op_sel_hi:[1,0]
	v_cvt_f32_u32_sdwa v29, v9 dst_sel:DWORD dst_unused:UNUSED_PAD src0_sel:WORD_1
	v_cvt_f32_u32_sdwa v28, v9 dst_sel:DWORD dst_unused:UNUSED_PAD src0_sel:WORD_0
	;;#ASMSTART
	v_pk_mul_f32 v[8:9], v[14:15], v[12:13]
	;;#ASMEND
	v_pk_add_f32 v[12:13], v[20:21], 1.0 op_sel_hi:[1,0]
	;;#ASMSTART
	v_pk_mul_f32 v[12:13], v[16:17], v[12:13]
	;;#ASMEND
	s_waitcnt vmcnt(0)
	v_cvt_f32_u32_sdwa v17, v2 dst_sel:DWORD dst_unused:UNUSED_PAD src0_sel:WORD_1
	v_cvt_f32_u32_sdwa v16, v2 dst_sel:DWORD dst_unused:UNUSED_PAD src0_sel:WORD_0
	v_cvt_f32_u32_sdwa v21, v3 dst_sel:DWORD dst_unused:UNUSED_PAD src0_sel:WORD_1
	v_cvt_f32_u32_sdwa v20, v3 dst_sel:DWORD dst_unused:UNUSED_PAD src0_sel:WORD_0
	v_pk_add_f32 v[14:15], v[28:29], 1.0 op_sel_hi:[1,0]
	;;#ASMSTART
	v_pk_mul_f32 v[14:15], v[18:19], v[14:15]
	;;#ASMEND
	v_pk_add_f32 v[2:3], v[16:17], 1.0 op_sel_hi:[1,0]
	v_cvt_f32_u32_sdwa v19, v4 dst_sel:DWORD dst_unused:UNUSED_PAD src0_sel:WORD_1
	v_cvt_f32_u32_sdwa v18, v4 dst_sel:DWORD dst_unused:UNUSED_PAD src0_sel:WORD_0
	;;#ASMSTART
	v_pk_mul_f32 v[16:17], v[26:27], v[2:3]
	;;#ASMEND
	v_pk_add_f32 v[2:3], v[20:21], 1.0 op_sel_hi:[1,0]
	v_cvt_f32_u32_sdwa v21, v5 dst_sel:DWORD dst_unused:UNUSED_PAD src0_sel:WORD_1
	v_cvt_f32_u32_sdwa v20, v5 dst_sel:DWORD dst_unused:UNUSED_PAD src0_sel:WORD_0
	s_add_u32 s20, s14, s0
	;;#ASMSTART
	v_pk_mul_f32 v[24:25], v[24:25], v[2:3]
	;;#ASMEND
	v_pk_add_f32 v[2:3], v[18:19], 1.0 op_sel_hi:[1,0]
	s_addc_u32 s0, s15, s1
	;;#ASMSTART
	v_pk_mul_f32 v[18:19], v[22:23], v[2:3]
	;;#ASMEND
	v_pk_add_f32 v[2:3], v[20:21], 1.0 op_sel_hi:[1,0]
	s_and_b32 s21, s0, 0xffff
	s_mov_b32 s0, 0x7060302
	;;#ASMSTART
	v_pk_mul_f32 v[6:7], v[6:7], v[2:3]
	;;#ASMEND
	v_perm_b32 v2, v11, v10, s0
	v_perm_b32 v3, v9, v8, s0
	v_perm_b32 v4, v13, v12, s0
	v_perm_b32 v5, v15, v14, s0
	buffer_store_dwordx4 v[2:5], v1, s[20:23], 0 offen
	;;#ASMSTART
	s_nop 0
	;;#ASMEND
	s_nop 0
	v_perm_b32 v2, v17, v16, s0
	v_perm_b32 v3, v25, v24, s0
	;; [unrolled: 1-line block ×4, first 2 shown]
	buffer_store_dwordx4 v[2:5], v1, s[20:23], 16 offen
	;;#ASMSTART
	s_nop 0
	;;#ASMEND
	s_endpgm
	.section	.rodata,"a",@progbits
	.p2align	6, 0x0
	.amdhsa_kernel _ZN5aiter35fused_qk_rmsnorm_group_quant_kernelItDB8_Li512ELi16ELi8ELb1ELb1ELb1ELb1ELb0ELb0EEEvPT0_PvPT_S6_S6_PKS5_S8_S8_S8_S8_ffiiiiiiiiiiiii
		.amdhsa_group_segment_fixed_size 64
		.amdhsa_private_segment_fixed_size 0
		.amdhsa_kernarg_size 400
		.amdhsa_user_sgpr_count 6
		.amdhsa_user_sgpr_private_segment_buffer 1
		.amdhsa_user_sgpr_dispatch_ptr 0
		.amdhsa_user_sgpr_queue_ptr 0
		.amdhsa_user_sgpr_kernarg_segment_ptr 1
		.amdhsa_user_sgpr_dispatch_id 0
		.amdhsa_user_sgpr_flat_scratch_init 0
		.amdhsa_user_sgpr_kernarg_preload_length 0
		.amdhsa_user_sgpr_kernarg_preload_offset 0
		.amdhsa_user_sgpr_private_segment_size 0
		.amdhsa_uses_dynamic_stack 0
		.amdhsa_system_sgpr_private_segment_wavefront_offset 0
		.amdhsa_system_sgpr_workgroup_id_x 1
		.amdhsa_system_sgpr_workgroup_id_y 1
		.amdhsa_system_sgpr_workgroup_id_z 0
		.amdhsa_system_sgpr_workgroup_info 0
		.amdhsa_system_vgpr_workitem_id 0
		.amdhsa_next_free_vgpr 76
		.amdhsa_next_free_sgpr 32
		.amdhsa_accum_offset 76
		.amdhsa_reserve_vcc 1
		.amdhsa_reserve_flat_scratch 0
		.amdhsa_float_round_mode_32 0
		.amdhsa_float_round_mode_16_64 0
		.amdhsa_float_denorm_mode_32 3
		.amdhsa_float_denorm_mode_16_64 3
		.amdhsa_dx10_clamp 1
		.amdhsa_ieee_mode 1
		.amdhsa_fp16_overflow 0
		.amdhsa_tg_split 0
		.amdhsa_exception_fp_ieee_invalid_op 0
		.amdhsa_exception_fp_denorm_src 0
		.amdhsa_exception_fp_ieee_div_zero 0
		.amdhsa_exception_fp_ieee_overflow 0
		.amdhsa_exception_fp_ieee_underflow 0
		.amdhsa_exception_fp_ieee_inexact 0
		.amdhsa_exception_int_div_zero 0
	.end_amdhsa_kernel
	.section	.text._ZN5aiter35fused_qk_rmsnorm_group_quant_kernelItDB8_Li512ELi16ELi8ELb1ELb1ELb1ELb1ELb0ELb0EEEvPT0_PvPT_S6_S6_PKS5_S8_S8_S8_S8_ffiiiiiiiiiiiii,"axG",@progbits,_ZN5aiter35fused_qk_rmsnorm_group_quant_kernelItDB8_Li512ELi16ELi8ELb1ELb1ELb1ELb1ELb0ELb0EEEvPT0_PvPT_S6_S6_PKS5_S8_S8_S8_S8_ffiiiiiiiiiiiii,comdat
.Lfunc_end890:
	.size	_ZN5aiter35fused_qk_rmsnorm_group_quant_kernelItDB8_Li512ELi16ELi8ELb1ELb1ELb1ELb1ELb0ELb0EEEvPT0_PvPT_S6_S6_PKS5_S8_S8_S8_S8_ffiiiiiiiiiiiii, .Lfunc_end890-_ZN5aiter35fused_qk_rmsnorm_group_quant_kernelItDB8_Li512ELi16ELi8ELb1ELb1ELb1ELb1ELb0ELb0EEEvPT0_PvPT_S6_S6_PKS5_S8_S8_S8_S8_ffiiiiiiiiiiiii
                                        ; -- End function
	.section	.AMDGPU.csdata,"",@progbits
; Kernel info:
; codeLenInByte = 3600
; NumSgprs: 36
; NumVgprs: 76
; NumAgprs: 0
; TotalNumVgprs: 76
; ScratchSize: 0
; MemoryBound: 0
; FloatMode: 240
; IeeeMode: 1
; LDSByteSize: 64 bytes/workgroup (compile time only)
; SGPRBlocks: 4
; VGPRBlocks: 9
; NumSGPRsForWavesPerEU: 36
; NumVGPRsForWavesPerEU: 76
; AccumOffset: 76
; Occupancy: 6
; WaveLimiterHint : 0
; COMPUTE_PGM_RSRC2:SCRATCH_EN: 0
; COMPUTE_PGM_RSRC2:USER_SGPR: 6
; COMPUTE_PGM_RSRC2:TRAP_HANDLER: 0
; COMPUTE_PGM_RSRC2:TGID_X_EN: 1
; COMPUTE_PGM_RSRC2:TGID_Y_EN: 1
; COMPUTE_PGM_RSRC2:TGID_Z_EN: 0
; COMPUTE_PGM_RSRC2:TIDIG_COMP_CNT: 0
; COMPUTE_PGM_RSRC3_GFX90A:ACCUM_OFFSET: 18
; COMPUTE_PGM_RSRC3_GFX90A:TG_SPLIT: 0
	.section	.text._ZN5aiter35fused_qk_rmsnorm_group_quant_kernelIDF16_N4opus5fp4_tELi512ELi16ELi8ELb1ELb1ELb1ELb1ELb0ELb0EEEvPT0_PvPT_S7_S7_PKS6_S9_S9_S9_S9_ffiiiiiiiiiiiii,"axG",@progbits,_ZN5aiter35fused_qk_rmsnorm_group_quant_kernelIDF16_N4opus5fp4_tELi512ELi16ELi8ELb1ELb1ELb1ELb1ELb0ELb0EEEvPT0_PvPT_S7_S7_PKS6_S9_S9_S9_S9_ffiiiiiiiiiiiii,comdat
	.protected	_ZN5aiter35fused_qk_rmsnorm_group_quant_kernelIDF16_N4opus5fp4_tELi512ELi16ELi8ELb1ELb1ELb1ELb1ELb0ELb0EEEvPT0_PvPT_S7_S7_PKS6_S9_S9_S9_S9_ffiiiiiiiiiiiii ; -- Begin function _ZN5aiter35fused_qk_rmsnorm_group_quant_kernelIDF16_N4opus5fp4_tELi512ELi16ELi8ELb1ELb1ELb1ELb1ELb0ELb0EEEvPT0_PvPT_S7_S7_PKS6_S9_S9_S9_S9_ffiiiiiiiiiiiii
	.globl	_ZN5aiter35fused_qk_rmsnorm_group_quant_kernelIDF16_N4opus5fp4_tELi512ELi16ELi8ELb1ELb1ELb1ELb1ELb0ELb0EEEvPT0_PvPT_S7_S7_PKS6_S9_S9_S9_S9_ffiiiiiiiiiiiii
	.p2align	8
	.type	_ZN5aiter35fused_qk_rmsnorm_group_quant_kernelIDF16_N4opus5fp4_tELi512ELi16ELi8ELb1ELb1ELb1ELb1ELb0ELb0EEEvPT0_PvPT_S7_S7_PKS6_S9_S9_S9_S9_ffiiiiiiiiiiiii,@function
_ZN5aiter35fused_qk_rmsnorm_group_quant_kernelIDF16_N4opus5fp4_tELi512ELi16ELi8ELb1ELb1ELb1ELb1ELb0ELb0EEEvPT0_PvPT_S7_S7_PKS6_S9_S9_S9_S9_ffiiiiiiiiiiiii: ; @_ZN5aiter35fused_qk_rmsnorm_group_quant_kernelIDF16_N4opus5fp4_tELi512ELi16ELi8ELb1ELb1ELb1ELb1ELb0ELb0EEEvPT0_PvPT_S7_S7_PKS6_S9_S9_S9_S9_ffiiiiiiiiiiiii
; %bb.0:
	s_load_dwordx8 s[12:19], s[4:5], 0x50
	s_waitcnt lgkmcnt(0)
	s_cmp_ge_i32 s6, s14
	s_cbranch_scc1 .LBB891_17
; %bb.1:
	s_cmp_lg_u32 s7, 0
	s_cselect_b64 s[22:23], -1, 0
	s_cmp_eq_u32 s7, 0
	s_cselect_b64 s[2:3], -1, 0
	s_and_b64 s[0:1], s[2:3], exec
	s_cselect_b32 s7, s15, s16
	s_load_dwordx2 s[10:11], s[4:5], 0x30
	s_load_dwordx2 s[20:21], s[4:5], 0x48
	s_add_i32 s0, s7, 1
	s_lshr_b32 s1, s0, 31
	s_add_i32 s0, s0, s1
	s_lshl_b32 s0, s0, 1
	v_lshlrev_b32_e32 v1, 4, v0
	s_and_b32 s30, s0, -4
	v_cmp_gt_i32_e64 s[0:1], s7, v1
	v_mov_b32_e32 v6, 0
	v_mov_b32_e32 v7, 0
	v_mov_b32_e32 v8, 0
	v_mov_b32_e32 v9, 0
	v_mov_b32_e32 v2, 0
	v_mov_b32_e32 v3, 0
	v_mov_b32_e32 v4, 0
	v_mov_b32_e32 v5, 0
	v_mov_b32_e32 v10, 0
	v_mov_b32_e32 v11, 0
	v_mov_b32_e32 v12, 0
	v_mov_b32_e32 v13, 0
	v_mov_b32_e32 v14, 0
	v_mov_b32_e32 v15, 0
	v_mov_b32_e32 v16, 0
	v_mov_b32_e32 v17, 0
	s_and_saveexec_b64 s[8:9], s[0:1]
	s_cbranch_execz .LBB891_3
; %bb.2:
	s_load_dwordx2 s[14:15], s[4:5], 0x28
	s_load_dwordx2 s[26:27], s[4:5], 0x40
	s_and_b64 s[24:25], s[2:3], exec
	s_cselect_b32 s17, s17, s18
	s_mov_b32 s31, 0x20000
	s_waitcnt lgkmcnt(0)
	s_cselect_b32 s25, s15, s11
	s_cselect_b32 s24, s14, s10
	s_mul_hi_i32 s15, s17, s6
	s_mul_i32 s14, s17, s6
	s_lshl_b64 s[14:15], s[14:15], 1
	s_add_u32 s24, s24, s14
	s_addc_u32 s17, s25, s15
	s_and_b64 s[14:15], s[2:3], exec
	s_cselect_b32 s28, s26, s20
	s_cselect_b32 s14, s27, s21
	s_and_b32 s25, s17, 0xffff
	s_mov_b32 s26, s30
	s_mov_b32 s27, s31
	v_lshlrev_b32_e32 v18, 5, v0
	s_and_b32 s29, s14, 0xffff
	buffer_load_dwordx4 v[10:13], v18, s[24:27], 0 offen
	buffer_load_dwordx4 v[14:17], v18, s[24:27], 16 offen
	;; [unrolled: 1-line block ×4, first 2 shown]
.LBB891_3:
	s_or_b64 exec, exec, s[8:9]
	s_load_dwordx4 s[24:27], s[4:5], 0x7c
	s_and_b64 vcc, exec, s[22:23]
	s_cbranch_vccz .LBB891_7
; %bb.4:
	v_mov_b32_e32 v19, 0
	v_mov_b32_e32 v18, 0
	;; [unrolled: 1-line block ×16, first 2 shown]
	s_and_saveexec_b64 s[8:9], s[0:1]
	s_cbranch_execz .LBB891_6
; %bb.5:
	s_waitcnt vmcnt(3)
	v_cvt_f32_f16_sdwa v27, v10 dst_sel:DWORD dst_unused:UNUSED_PAD src0_sel:WORD_1
	v_cvt_f32_f16_e32 v26, v10
	v_cvt_f32_f16_sdwa v31, v11 dst_sel:DWORD dst_unused:UNUSED_PAD src0_sel:WORD_1
	v_cvt_f32_f16_e32 v30, v11
	;; [unrolled: 2-line block ×4, first 2 shown]
	s_waitcnt vmcnt(2)
	v_cvt_f32_f16_sdwa v21, v14 dst_sel:DWORD dst_unused:UNUSED_PAD src0_sel:WORD_1
	v_cvt_f32_f16_e32 v20, v14
	v_cvt_f32_f16_sdwa v25, v15 dst_sel:DWORD dst_unused:UNUSED_PAD src0_sel:WORD_1
	v_cvt_f32_f16_e32 v24, v15
	;; [unrolled: 2-line block ×4, first 2 shown]
.LBB891_6:
	s_or_b64 exec, exec, s[8:9]
	s_cbranch_execz .LBB891_8
	s_branch .LBB891_11
.LBB891_7:
                                        ; implicit-def: $vgpr19
                                        ; implicit-def: $vgpr23
                                        ; implicit-def: $vgpr25
                                        ; implicit-def: $vgpr21
                                        ; implicit-def: $vgpr33
                                        ; implicit-def: $vgpr29
                                        ; implicit-def: $vgpr31
                                        ; implicit-def: $vgpr27
.LBB891_8:
	v_mov_b32_e32 v19, 0
	v_mov_b32_e32 v18, 0
	;; [unrolled: 1-line block ×16, first 2 shown]
	s_and_saveexec_b64 s[8:9], s[0:1]
	s_cbranch_execz .LBB891_10
; %bb.9:
	s_load_dwordx2 s[14:15], s[4:5], 0x38
	s_mul_hi_i32 s29, s19, s6
	s_mul_i32 s28, s19, s6
	s_lshl_b64 s[28:29], s[28:29], 1
	s_mov_b32 s31, 0x20000
	s_waitcnt lgkmcnt(0)
	s_add_u32 s28, s14, s28
	s_addc_u32 s14, s15, s29
	s_and_b32 s29, s14, 0xffff
	v_lshlrev_b32_e32 v48, 5, v0
	buffer_load_dwordx4 v[18:21], v48, s[28:31], 16 offen
	buffer_load_dwordx4 v[22:25], v48, s[28:31], 0 offen
	s_waitcnt vmcnt(4)
	v_cvt_f32_f16_sdwa v27, v14 dst_sel:DWORD dst_unused:UNUSED_PAD src0_sel:WORD_1
	v_cvt_f32_f16_e32 v26, v14
	v_cvt_f32_f16_sdwa v29, v15 dst_sel:DWORD dst_unused:UNUSED_PAD src0_sel:WORD_1
	v_cvt_f32_f16_e32 v28, v15
	;; [unrolled: 2-line block ×8, first 2 shown]
	s_load_dwordx2 s[14:15], s[4:5], 0x20
	s_mul_hi_i32 s27, s26, s6
	s_mul_i32 s26, s26, s6
	s_lshl_b64 s[26:27], s[26:27], 1
	s_waitcnt lgkmcnt(0)
	s_add_u32 s28, s14, s26
	s_addc_u32 s14, s15, s27
	s_and_b32 s29, s14, 0xffff
	s_waitcnt vmcnt(1)
	v_cvt_f32_f16_e32 v12, v18
	v_cvt_f32_f16_sdwa v13, v18 dst_sel:DWORD dst_unused:UNUSED_PAD src0_sel:WORD_1
	v_cvt_f32_f16_e32 v18, v19
	v_cvt_f32_f16_sdwa v19, v19 dst_sel:DWORD dst_unused:UNUSED_PAD src0_sel:WORD_1
	;; [unrolled: 2-line block ×4, first 2 shown]
	s_waitcnt vmcnt(0)
	v_cvt_f32_f16_e32 v40, v22
	v_cvt_f32_f16_sdwa v41, v22 dst_sel:DWORD dst_unused:UNUSED_PAD src0_sel:WORD_1
	v_cvt_f32_f16_e32 v42, v23
	v_cvt_f32_f16_sdwa v43, v23 dst_sel:DWORD dst_unused:UNUSED_PAD src0_sel:WORD_1
	v_cvt_f32_f16_e32 v44, v24
	v_cvt_f32_f16_sdwa v45, v24 dst_sel:DWORD dst_unused:UNUSED_PAD src0_sel:WORD_1
	v_cvt_f32_f16_e32 v46, v25
	v_cvt_f32_f16_sdwa v47, v25 dst_sel:DWORD dst_unused:UNUSED_PAD src0_sel:WORD_1
	v_pk_add_f32 v[20:21], v[26:27], v[12:13]
	v_pk_add_f32 v[24:25], v[28:29], v[18:19]
	;; [unrolled: 1-line block ×8, first 2 shown]
	v_cvt_f16_f32_e32 v10, v27
	v_cvt_f16_f32_e32 v14, v26
	;; [unrolled: 1-line block ×16, first 2 shown]
	v_pack_b32_f16 v13, v17, v13
	v_pack_b32_f16 v12, v16, v12
	;; [unrolled: 1-line block ×8, first 2 shown]
	buffer_store_dwordx4 v[10:13], v48, s[28:31], 0 offen
	;;#ASMSTART
	s_nop 0
	;;#ASMEND
	buffer_store_dwordx4 v[14:17], v48, s[28:31], 16 offen
	;;#ASMSTART
	s_nop 0
	;;#ASMEND
.LBB891_10:
	s_or_b64 exec, exec, s[8:9]
.LBB891_11:
	s_waitcnt vmcnt(3)
	v_mul_f32_e32 v10, v27, v27
	v_fmac_f32_e32 v10, v26, v26
	v_fmac_f32_e32 v10, v30, v30
	;; [unrolled: 1-line block ×15, first 2 shown]
	v_and_b32_e32 v12, 63, v0
	v_cmp_eq_u32_e64 s[8:9], 63, v12
	v_mov_b32_dpp v11, v10 quad_perm:[1,0,3,2] row_mask:0xf bank_mask:0xf
	v_add_f32_e32 v10, v10, v11
	s_nop 1
	v_mov_b32_dpp v11, v10 quad_perm:[2,3,0,1] row_mask:0xf bank_mask:0xf
	v_add_f32_e32 v10, v10, v11
	s_nop 1
	v_mov_b32_dpp v11, v10 row_half_mirror row_mask:0xf bank_mask:0xf
	v_add_f32_e32 v10, v10, v11
	s_nop 1
	v_mov_b32_dpp v11, v10 row_mirror row_mask:0xf bank_mask:0xf
	v_add_f32_e32 v10, v10, v11
	s_nop 1
	v_mov_b32_dpp v11, v10 row_bcast:15 row_mask:0xf bank_mask:0xf
	v_add_f32_e32 v10, v10, v11
	s_nop 1
	v_mov_b32_dpp v11, v10 row_bcast:31 row_mask:0xf bank_mask:0xf
	s_and_saveexec_b64 s[14:15], s[8:9]
	s_cbranch_execz .LBB891_13
; %bb.12:
	v_add_f32_e32 v10, v10, v11
	v_lshrrev_b32_e32 v11, 4, v0
	v_and_b32_e32 v11, 60, v11
	ds_write_b32 v11, v10 offset:32
.LBB891_13:
	s_or_b64 exec, exec, s[14:15]
	v_and_b32_e32 v10, 7, v0
	v_lshlrev_b32_e32 v34, 2, v10
	s_waitcnt lgkmcnt(0)
	s_barrier
	ds_read_b32 v10, v34 offset:32
	s_load_dwordx2 s[14:15], s[4:5], 0x18
	s_waitcnt lgkmcnt(0)
	v_mov_b32_dpp v11, v10 quad_perm:[1,0,3,2] row_mask:0xf bank_mask:0xf
	v_add_f32_e32 v10, v10, v11
	s_nop 1
	v_mov_b32_dpp v11, v10 quad_perm:[2,3,0,1] row_mask:0xf bank_mask:0xf
	v_add_f32_e32 v10, v10, v11
	s_nop 1
	v_mov_b32_dpp v11, v10 row_half_mirror row_mask:0xf bank_mask:0xf
	s_and_saveexec_b64 s[26:27], s[0:1]
	s_cbranch_execnz .LBB891_18
; %bb.14:
	s_or_b64 exec, exec, s[26:27]
	s_mov_b64 s[2:3], -1
	s_and_b64 vcc, exec, s[22:23]
	s_cbranch_vccnz .LBB891_19
.LBB891_15:
	s_andn2_b64 vcc, exec, s[2:3]
	s_cbranch_vccz .LBB891_22
.LBB891_16:
	s_cmp_lt_i32 s16, 1
	s_cbranch_scc0 .LBB891_25
.LBB891_17:
	s_endpgm
.LBB891_18:
	v_cvt_f32_u32_e32 v12, s7
	v_add_f32_e32 v10, v10, v11
	s_waitcnt vmcnt(2)
	v_mov_b32_e32 v14, s13
	v_mov_b32_e32 v15, s12
	v_div_scale_f32 v11, s[28:29], v12, v12, v10
	v_rcp_f32_e32 v13, v11
	v_cndmask_b32_e64 v14, v14, v15, s[2:3]
	s_mov_b32 s2, 0x800000
	v_fma_f32 v15, -v11, v13, 1.0
	v_fmac_f32_e32 v13, v15, v13
	v_div_scale_f32 v15, vcc, v10, v12, v10
	v_mul_f32_e32 v16, v15, v13
	v_fma_f32 v17, -v11, v16, v15
	v_fmac_f32_e32 v16, v17, v13
	v_fma_f32 v11, -v11, v16, v15
	v_div_fmas_f32 v11, v11, v13, v16
	v_div_fixup_f32 v10, v11, v12, v10
	v_add_f32_e32 v10, v14, v10
	v_mul_f32_e32 v11, 0x4b800000, v10
	v_cmp_gt_f32_e32 vcc, s2, v10
	v_cndmask_b32_e32 v10, v10, v11, vcc
	v_rsq_f32_e32 v10, v10
	v_mul_f32_e32 v11, 0x45800000, v10
	v_cndmask_b32_e32 v10, v10, v11, vcc
	v_mov_b32_e32 v11, v10
	;;#ASMSTART
	v_pk_mul_f32 v[12:13], v[26:27], v[10:11]
	;;#ASMEND
	s_waitcnt vmcnt(1)
	v_cvt_f32_f16_sdwa v27, v6 dst_sel:DWORD dst_unused:UNUSED_PAD src0_sel:WORD_1
	v_cvt_f32_f16_e32 v26, v6
	;;#ASMSTART
	v_pk_mul_f32 v[14:15], v[30:31], v[10:11]
	;;#ASMEND
	;;#ASMSTART
	v_pk_mul_f32 v[16:17], v[28:29], v[10:11]
	;;#ASMEND
	v_cvt_f32_f16_sdwa v29, v7 dst_sel:DWORD dst_unused:UNUSED_PAD src0_sel:WORD_1
	v_cvt_f32_f16_e32 v28, v7
	;;#ASMSTART
	v_pk_mul_f32 v[32:33], v[32:33], v[10:11]
	;;#ASMEND
	;;#ASMSTART
	v_pk_mul_f32 v[20:21], v[20:21], v[10:11]
	;;#ASMEND
	;; [unrolled: 3-line block ×5, first 2 shown]
	v_pk_add_f32 v[10:11], v[26:27], 1.0 op_sel_hi:[1,0]
	;;#ASMSTART
	v_pk_mul_f32 v[26:27], v[12:13], v[10:11]
	;;#ASMEND
	v_cvt_f32_f16_sdwa v13, v8 dst_sel:DWORD dst_unused:UNUSED_PAD src0_sel:WORD_1
	v_cvt_f32_f16_e32 v12, v8
	v_cvt_f32_f16_sdwa v19, v9 dst_sel:DWORD dst_unused:UNUSED_PAD src0_sel:WORD_1
	v_cvt_f32_f16_e32 v18, v9
	v_pk_add_f32 v[10:11], v[28:29], 1.0 op_sel_hi:[1,0]
	;;#ASMSTART
	v_pk_mul_f32 v[30:31], v[14:15], v[10:11]
	;;#ASMEND
	s_waitcnt vmcnt(0)
	v_cvt_f32_f16_sdwa v11, v2 dst_sel:DWORD dst_unused:UNUSED_PAD src0_sel:WORD_1
	v_cvt_f32_f16_e32 v10, v2
	v_pk_add_f32 v[8:9], v[12:13], 1.0 op_sel_hi:[1,0]
	;;#ASMSTART
	v_pk_mul_f32 v[28:29], v[16:17], v[8:9]
	;;#ASMEND
	v_pk_add_f32 v[8:9], v[18:19], 1.0 op_sel_hi:[1,0]
	v_cvt_f32_f16_sdwa v13, v3 dst_sel:DWORD dst_unused:UNUSED_PAD src0_sel:WORD_1
	v_cvt_f32_f16_e32 v12, v3
	;;#ASMSTART
	v_pk_mul_f32 v[32:33], v[32:33], v[8:9]
	;;#ASMEND
	v_cvt_f32_f16_sdwa v9, v4 dst_sel:DWORD dst_unused:UNUSED_PAD src0_sel:WORD_1
	v_cvt_f32_f16_e32 v8, v4
	v_pk_add_f32 v[2:3], v[10:11], 1.0 op_sel_hi:[1,0]
	v_cvt_f32_f16_sdwa v11, v5 dst_sel:DWORD dst_unused:UNUSED_PAD src0_sel:WORD_1
	v_cvt_f32_f16_e32 v10, v5
	;;#ASMSTART
	v_pk_mul_f32 v[20:21], v[20:21], v[2:3]
	;;#ASMEND
	v_pk_add_f32 v[2:3], v[12:13], 1.0 op_sel_hi:[1,0]
	;;#ASMSTART
	v_pk_mul_f32 v[24:25], v[24:25], v[2:3]
	;;#ASMEND
	v_pk_add_f32 v[2:3], v[8:9], 1.0 op_sel_hi:[1,0]
	;; [unrolled: 4-line block ×3, first 2 shown]
	;;#ASMSTART
	v_pk_mul_f32 v[18:19], v[6:7], v[2:3]
	;;#ASMEND
	s_or_b64 exec, exec, s[26:27]
	s_mov_b64 s[2:3], -1
	s_and_b64 vcc, exec, s[22:23]
	s_cbranch_vccz .LBB891_15
.LBB891_19:
	s_and_saveexec_b64 s[2:3], s[0:1]
	s_cbranch_execz .LBB891_21
; %bb.20:
	s_mul_hi_i32 s23, s25, s6
	s_mul_i32 s22, s25, s6
	s_waitcnt vmcnt(0)
	v_cvt_f16_f32_e32 v2, v26
	v_cvt_f16_f32_e32 v3, v30
	;; [unrolled: 1-line block ×8, first 2 shown]
	s_lshl_b64 s[22:23], s[22:23], 1
	s_add_u32 s28, s14, s22
	s_addc_u32 s7, s15, s23
	s_and_b32 s29, s7, 0xffff
	s_mov_b32 s31, 0x20000
	v_pack_b32_f16 v5, v5, v6
	v_pack_b32_f16 v4, v4, v7
	;; [unrolled: 1-line block ×4, first 2 shown]
	v_lshlrev_b32_e32 v6, 5, v0
	buffer_store_dwordx4 v[2:5], v6, s[28:31], 0 offen
	v_cvt_f16_f32_e32 v7, v19
	v_cvt_f16_f32_e32 v2, v20
	;; [unrolled: 1-line block ×8, first 2 shown]
	v_pack_b32_f16 v5, v5, v7
	v_pack_b32_f16 v4, v4, v8
	;; [unrolled: 1-line block ×4, first 2 shown]
	;;#ASMSTART
	s_nop 0
	;;#ASMEND
	buffer_store_dwordx4 v[2:5], v6, s[28:31], 16 offen
	;;#ASMSTART
	s_nop 0
	;;#ASMEND
.LBB891_21:
	s_or_b64 exec, exec, s[2:3]
	s_cbranch_execnz .LBB891_16
.LBB891_22:
	s_and_saveexec_b64 s[2:3], s[0:1]
	s_cbranch_execz .LBB891_24
; %bb.23:
	s_load_dwordx2 s[0:1], s[4:5], 0x10
	s_mul_hi_i32 s23, s24, s6
	s_mul_i32 s22, s24, s6
	s_waitcnt vmcnt(0)
	v_cvt_f16_f32_e32 v2, v26
	v_cvt_f16_f32_e32 v3, v30
	;; [unrolled: 1-line block ×8, first 2 shown]
	s_lshl_b64 s[22:23], s[22:23], 1
	s_waitcnt lgkmcnt(0)
	s_add_u32 s28, s0, s22
	s_addc_u32 s0, s1, s23
	s_mov_b32 s31, 0x20000
	s_and_b32 s29, s0, 0xffff
	v_pack_b32_f16 v5, v5, v6
	v_pack_b32_f16 v4, v4, v7
	;; [unrolled: 1-line block ×4, first 2 shown]
	v_lshlrev_b32_e32 v6, 5, v0
	buffer_store_dwordx4 v[2:5], v6, s[28:31], 0 offen
	v_cvt_f16_f32_e32 v7, v19
	v_cvt_f16_f32_e32 v2, v20
	;; [unrolled: 1-line block ×8, first 2 shown]
	v_pack_b32_f16 v5, v5, v7
	v_pack_b32_f16 v4, v4, v8
	;; [unrolled: 1-line block ×4, first 2 shown]
	;;#ASMSTART
	s_nop 0
	;;#ASMEND
	buffer_store_dwordx4 v[2:5], v6, s[28:31], 16 offen
	;;#ASMSTART
	s_nop 0
	;;#ASMEND
.LBB891_24:
	s_or_b64 exec, exec, s[2:3]
	s_cmp_lt_i32 s16, 1
	s_cbranch_scc1 .LBB891_17
.LBB891_25:
	s_load_dword s0, s[4:5], 0x94
	s_waitcnt lgkmcnt(0)
	s_cmp_lg_u32 s0, 1
	s_cbranch_scc1 .LBB891_17
; %bb.26:
	s_lshl_b32 s0, s16, 1
	s_add_i32 s0, s0, 2
	v_cmp_gt_u32_e32 vcc, s16, v1
	s_and_b32 s22, s0, -4
	v_mov_b32_e32 v18, 0
	v_lshlrev_b32_e32 v1, 5, v0
	s_waitcnt vmcnt(2)
	v_mov_b32_e32 v14, 0
	v_mov_b32_e32 v15, 0
	;; [unrolled: 1-line block ×8, first 2 shown]
	s_waitcnt vmcnt(1)
	v_mov_b32_e32 v6, 0
	v_mov_b32_e32 v7, 0
	;; [unrolled: 1-line block ×4, first 2 shown]
	s_waitcnt vmcnt(0)
	v_mov_b32_e32 v2, 0
	v_mov_b32_e32 v3, 0
	;; [unrolled: 1-line block ×4, first 2 shown]
	s_barrier
	s_and_saveexec_b64 s[0:1], vcc
	s_cbranch_execz .LBB891_28
; %bb.27:
	s_mul_hi_i32 s3, s18, s6
	s_mul_i32 s2, s18, s6
	s_and_b32 s21, s21, 0xffff
	s_lshl_b64 s[2:3], s[2:3], 1
	s_add_u32 s28, s10, s2
	s_mov_b32 s23, 0x20000
	s_addc_u32 s2, s11, s3
	s_and_b32 s29, s2, 0xffff
	s_mov_b32 s30, s22
	s_mov_b32 s31, s23
	buffer_load_dwordx4 v[14:17], v1, s[28:31], 0 offen
	buffer_load_dwordx4 v[10:13], v1, s[28:31], 16 offen
	buffer_load_dwordx4 v[6:9], v1, s[20:23], 0 offen
	buffer_load_dwordx4 v[2:5], v1, s[20:23], 16 offen
.LBB891_28:
	s_or_b64 exec, exec, s[0:1]
	v_mov_b32_e32 v19, 0
	v_mov_b32_e32 v32, 0
	;; [unrolled: 1-line block ×15, first 2 shown]
	s_and_saveexec_b64 s[0:1], vcc
	s_cbranch_execz .LBB891_30
; %bb.29:
	s_waitcnt vmcnt(3)
	v_cvt_f32_f16_sdwa v19, v14 dst_sel:DWORD dst_unused:UNUSED_PAD src0_sel:WORD_1
	v_cvt_f32_f16_e32 v18, v14
	v_cvt_f32_f16_sdwa v33, v15 dst_sel:DWORD dst_unused:UNUSED_PAD src0_sel:WORD_1
	v_cvt_f32_f16_e32 v32, v15
	;; [unrolled: 2-line block ×4, first 2 shown]
	s_waitcnt vmcnt(2)
	v_cvt_f32_f16_sdwa v27, v10 dst_sel:DWORD dst_unused:UNUSED_PAD src0_sel:WORD_1
	v_cvt_f32_f16_e32 v26, v10
	v_cvt_f32_f16_sdwa v25, v11 dst_sel:DWORD dst_unused:UNUSED_PAD src0_sel:WORD_1
	v_cvt_f32_f16_e32 v24, v11
	;; [unrolled: 2-line block ×4, first 2 shown]
.LBB891_30:
	s_or_b64 exec, exec, s[0:1]
	s_waitcnt vmcnt(2)
	v_mul_f32_e32 v10, v19, v19
	v_fmac_f32_e32 v10, v18, v18
	v_fmac_f32_e32 v10, v32, v32
	;; [unrolled: 1-line block ×15, first 2 shown]
	s_nop 1
	v_mov_b32_dpp v11, v10 quad_perm:[1,0,3,2] row_mask:0xf bank_mask:0xf
	v_add_f32_e32 v10, v10, v11
	s_nop 1
	v_mov_b32_dpp v11, v10 quad_perm:[2,3,0,1] row_mask:0xf bank_mask:0xf
	v_add_f32_e32 v10, v10, v11
	s_nop 1
	v_mov_b32_dpp v11, v10 row_half_mirror row_mask:0xf bank_mask:0xf
	v_add_f32_e32 v10, v10, v11
	s_nop 1
	v_mov_b32_dpp v11, v10 row_mirror row_mask:0xf bank_mask:0xf
	v_add_f32_e32 v10, v10, v11
	s_nop 1
	v_mov_b32_dpp v11, v10 row_bcast:15 row_mask:0xf bank_mask:0xf
	v_add_f32_e32 v10, v10, v11
	s_nop 1
	v_mov_b32_dpp v11, v10 row_bcast:31 row_mask:0xf bank_mask:0xf
	s_and_saveexec_b64 s[0:1], s[8:9]
	s_cbranch_execz .LBB891_32
; %bb.31:
	v_lshrrev_b32_e32 v0, 4, v0
	v_add_f32_e32 v10, v10, v11
	v_and_b32_e32 v0, 60, v0
	ds_write_b32 v0, v10
.LBB891_32:
	s_or_b64 exec, exec, s[0:1]
	s_waitcnt lgkmcnt(0)
	s_barrier
	ds_read_b32 v0, v34
	s_waitcnt lgkmcnt(0)
	s_nop 0
	v_mov_b32_dpp v10, v0 quad_perm:[1,0,3,2] row_mask:0xf bank_mask:0xf
	v_add_f32_e32 v0, v0, v10
	s_nop 1
	v_mov_b32_dpp v10, v0 quad_perm:[2,3,0,1] row_mask:0xf bank_mask:0xf
	v_add_f32_e32 v0, v0, v10
	s_nop 1
	v_mov_b32_dpp v10, v0 row_half_mirror row_mask:0xf bank_mask:0xf
	s_and_saveexec_b64 s[0:1], vcc
	s_cbranch_execz .LBB891_17
; %bb.33:
	v_cvt_f32_u32_e32 v11, s16
	v_add_f32_e32 v0, v0, v10
	s_mov_b32 s23, 0x20000
	v_div_scale_f32 v10, s[0:1], v11, v11, v0
	v_rcp_f32_e32 v12, v10
	v_div_scale_f32 v13, vcc, v0, v11, v0
	s_mov_b32 s0, 0x800000
	v_fma_f32 v14, -v10, v12, 1.0
	v_fmac_f32_e32 v12, v14, v12
	v_mul_f32_e32 v14, v13, v12
	v_fma_f32 v15, -v10, v14, v13
	v_fmac_f32_e32 v14, v15, v12
	v_fma_f32 v10, -v10, v14, v13
	v_div_fmas_f32 v10, v10, v12, v14
	v_div_fixup_f32 v0, v10, v11, v0
	v_add_f32_e32 v0, s13, v0
	v_mul_f32_e32 v10, 0x4b800000, v0
	v_cmp_gt_f32_e32 vcc, s0, v0
	v_cndmask_b32_e32 v0, v0, v10, vcc
	v_rsq_f32_e32 v0, v0
	s_mul_hi_i32 s1, s25, s6
	s_mul_i32 s0, s25, s6
	s_lshl_b64 s[0:1], s[0:1], 1
	v_mul_f32_e32 v10, 0x45800000, v0
	v_cndmask_b32_e32 v10, v0, v10, vcc
	v_mov_b32_e32 v11, v10
	;;#ASMSTART
	v_pk_mul_f32 v[12:13], v[18:19], v[10:11]
	;;#ASMEND
	;;#ASMSTART
	v_pk_mul_f32 v[14:15], v[32:33], v[10:11]
	;;#ASMEND
	;; [unrolled: 3-line block ×4, first 2 shown]
	s_waitcnt vmcnt(1)
	v_cvt_f32_f16_sdwa v29, v6 dst_sel:DWORD dst_unused:UNUSED_PAD src0_sel:WORD_1
	v_cvt_f32_f16_e32 v28, v6
	v_cvt_f32_f16_sdwa v31, v7 dst_sel:DWORD dst_unused:UNUSED_PAD src0_sel:WORD_1
	v_cvt_f32_f16_e32 v30, v7
	;;#ASMSTART
	v_pk_mul_f32 v[26:27], v[26:27], v[10:11]
	;;#ASMEND
	;;#ASMSTART
	v_pk_mul_f32 v[24:25], v[24:25], v[10:11]
	;;#ASMEND
	;; [unrolled: 3-line block ×4, first 2 shown]
	v_cvt_f32_f16_sdwa v21, v8 dst_sel:DWORD dst_unused:UNUSED_PAD src0_sel:WORD_1
	v_cvt_f32_f16_e32 v20, v8
	v_pk_add_f32 v[10:11], v[28:29], 1.0 op_sel_hi:[1,0]
	;;#ASMSTART
	v_pk_mul_f32 v[10:11], v[12:13], v[10:11]
	;;#ASMEND
	v_pk_add_f32 v[12:13], v[30:31], 1.0 op_sel_hi:[1,0]
	v_cvt_f32_f16_sdwa v29, v9 dst_sel:DWORD dst_unused:UNUSED_PAD src0_sel:WORD_1
	v_cvt_f32_f16_e32 v28, v9
	;;#ASMSTART
	v_pk_mul_f32 v[8:9], v[14:15], v[12:13]
	;;#ASMEND
	v_pk_add_f32 v[12:13], v[20:21], 1.0 op_sel_hi:[1,0]
	;;#ASMSTART
	v_pk_mul_f32 v[12:13], v[16:17], v[12:13]
	;;#ASMEND
	s_waitcnt vmcnt(0)
	v_cvt_f32_f16_sdwa v17, v2 dst_sel:DWORD dst_unused:UNUSED_PAD src0_sel:WORD_1
	v_cvt_f32_f16_e32 v16, v2
	v_cvt_f32_f16_sdwa v21, v3 dst_sel:DWORD dst_unused:UNUSED_PAD src0_sel:WORD_1
	v_cvt_f32_f16_e32 v20, v3
	v_pk_add_f32 v[14:15], v[28:29], 1.0 op_sel_hi:[1,0]
	;;#ASMSTART
	v_pk_mul_f32 v[2:3], v[18:19], v[14:15]
	;;#ASMEND
	v_cvt_f32_f16_sdwa v19, v4 dst_sel:DWORD dst_unused:UNUSED_PAD src0_sel:WORD_1
	v_cvt_f32_f16_e32 v18, v4
	v_pk_add_f32 v[14:15], v[16:17], 1.0 op_sel_hi:[1,0]
	v_pk_add_f32 v[16:17], v[20:21], 1.0 op_sel_hi:[1,0]
	v_cvt_f32_f16_sdwa v21, v5 dst_sel:DWORD dst_unused:UNUSED_PAD src0_sel:WORD_1
	v_cvt_f32_f16_e32 v20, v5
	v_pk_add_f32 v[4:5], v[18:19], 1.0 op_sel_hi:[1,0]
	;;#ASMSTART
	v_pk_mul_f32 v[14:15], v[26:27], v[14:15]
	;;#ASMEND
	;;#ASMSTART
	v_pk_mul_f32 v[16:17], v[24:25], v[16:17]
	;;#ASMEND
	;; [unrolled: 3-line block ×3, first 2 shown]
	v_pk_add_f32 v[4:5], v[20:21], 1.0 op_sel_hi:[1,0]
	;;#ASMSTART
	v_pk_mul_f32 v[6:7], v[6:7], v[4:5]
	;;#ASMEND
	v_cvt_f16_f32_e32 v0, v10
	v_cvt_f16_f32_e32 v4, v11
	;; [unrolled: 1-line block ×8, first 2 shown]
	s_add_u32 s20, s14, s0
	s_addc_u32 s0, s15, s1
	s_and_b32 s21, s0, 0xffff
	v_pack_b32_f16 v2, v0, v4
	v_pack_b32_f16 v3, v5, v8
	;; [unrolled: 1-line block ×4, first 2 shown]
	buffer_store_dwordx4 v[2:5], v1, s[20:23], 0 offen
	v_cvt_f16_f32_e32 v0, v14
	v_cvt_f16_f32_e32 v2, v15
	;; [unrolled: 1-line block ×8, first 2 shown]
	v_pack_b32_f16 v2, v0, v2
	v_pack_b32_f16 v3, v3, v4
	;; [unrolled: 1-line block ×4, first 2 shown]
	;;#ASMSTART
	s_nop 0
	;;#ASMEND
	buffer_store_dwordx4 v[2:5], v1, s[20:23], 16 offen
	;;#ASMSTART
	s_nop 0
	;;#ASMEND
	s_endpgm
	.section	.rodata,"a",@progbits
	.p2align	6, 0x0
	.amdhsa_kernel _ZN5aiter35fused_qk_rmsnorm_group_quant_kernelIDF16_N4opus5fp4_tELi512ELi16ELi8ELb1ELb1ELb1ELb1ELb0ELb0EEEvPT0_PvPT_S7_S7_PKS6_S9_S9_S9_S9_ffiiiiiiiiiiiii
		.amdhsa_group_segment_fixed_size 64
		.amdhsa_private_segment_fixed_size 0
		.amdhsa_kernarg_size 400
		.amdhsa_user_sgpr_count 6
		.amdhsa_user_sgpr_private_segment_buffer 1
		.amdhsa_user_sgpr_dispatch_ptr 0
		.amdhsa_user_sgpr_queue_ptr 0
		.amdhsa_user_sgpr_kernarg_segment_ptr 1
		.amdhsa_user_sgpr_dispatch_id 0
		.amdhsa_user_sgpr_flat_scratch_init 0
		.amdhsa_user_sgpr_kernarg_preload_length 0
		.amdhsa_user_sgpr_kernarg_preload_offset 0
		.amdhsa_user_sgpr_private_segment_size 0
		.amdhsa_uses_dynamic_stack 0
		.amdhsa_system_sgpr_private_segment_wavefront_offset 0
		.amdhsa_system_sgpr_workgroup_id_x 1
		.amdhsa_system_sgpr_workgroup_id_y 1
		.amdhsa_system_sgpr_workgroup_id_z 0
		.amdhsa_system_sgpr_workgroup_info 0
		.amdhsa_system_vgpr_workitem_id 0
		.amdhsa_next_free_vgpr 49
		.amdhsa_next_free_sgpr 32
		.amdhsa_accum_offset 52
		.amdhsa_reserve_vcc 1
		.amdhsa_reserve_flat_scratch 0
		.amdhsa_float_round_mode_32 0
		.amdhsa_float_round_mode_16_64 0
		.amdhsa_float_denorm_mode_32 3
		.amdhsa_float_denorm_mode_16_64 3
		.amdhsa_dx10_clamp 1
		.amdhsa_ieee_mode 1
		.amdhsa_fp16_overflow 0
		.amdhsa_tg_split 0
		.amdhsa_exception_fp_ieee_invalid_op 0
		.amdhsa_exception_fp_denorm_src 0
		.amdhsa_exception_fp_ieee_div_zero 0
		.amdhsa_exception_fp_ieee_overflow 0
		.amdhsa_exception_fp_ieee_underflow 0
		.amdhsa_exception_fp_ieee_inexact 0
		.amdhsa_exception_int_div_zero 0
	.end_amdhsa_kernel
	.section	.text._ZN5aiter35fused_qk_rmsnorm_group_quant_kernelIDF16_N4opus5fp4_tELi512ELi16ELi8ELb1ELb1ELb1ELb1ELb0ELb0EEEvPT0_PvPT_S7_S7_PKS6_S9_S9_S9_S9_ffiiiiiiiiiiiii,"axG",@progbits,_ZN5aiter35fused_qk_rmsnorm_group_quant_kernelIDF16_N4opus5fp4_tELi512ELi16ELi8ELb1ELb1ELb1ELb1ELb0ELb0EEEvPT0_PvPT_S7_S7_PKS6_S9_S9_S9_S9_ffiiiiiiiiiiiii,comdat
.Lfunc_end891:
	.size	_ZN5aiter35fused_qk_rmsnorm_group_quant_kernelIDF16_N4opus5fp4_tELi512ELi16ELi8ELb1ELb1ELb1ELb1ELb0ELb0EEEvPT0_PvPT_S7_S7_PKS6_S9_S9_S9_S9_ffiiiiiiiiiiiii, .Lfunc_end891-_ZN5aiter35fused_qk_rmsnorm_group_quant_kernelIDF16_N4opus5fp4_tELi512ELi16ELi8ELb1ELb1ELb1ELb1ELb0ELb0EEEvPT0_PvPT_S7_S7_PKS6_S9_S9_S9_S9_ffiiiiiiiiiiiii
                                        ; -- End function
	.section	.AMDGPU.csdata,"",@progbits
; Kernel info:
; codeLenInByte = 3640
; NumSgprs: 36
; NumVgprs: 49
; NumAgprs: 0
; TotalNumVgprs: 49
; ScratchSize: 0
; MemoryBound: 0
; FloatMode: 240
; IeeeMode: 1
; LDSByteSize: 64 bytes/workgroup (compile time only)
; SGPRBlocks: 4
; VGPRBlocks: 6
; NumSGPRsForWavesPerEU: 36
; NumVGPRsForWavesPerEU: 49
; AccumOffset: 52
; Occupancy: 8
; WaveLimiterHint : 0
; COMPUTE_PGM_RSRC2:SCRATCH_EN: 0
; COMPUTE_PGM_RSRC2:USER_SGPR: 6
; COMPUTE_PGM_RSRC2:TRAP_HANDLER: 0
; COMPUTE_PGM_RSRC2:TGID_X_EN: 1
; COMPUTE_PGM_RSRC2:TGID_Y_EN: 1
; COMPUTE_PGM_RSRC2:TGID_Z_EN: 0
; COMPUTE_PGM_RSRC2:TIDIG_COMP_CNT: 0
; COMPUTE_PGM_RSRC3_GFX90A:ACCUM_OFFSET: 12
; COMPUTE_PGM_RSRC3_GFX90A:TG_SPLIT: 0
	.section	.text._ZN5aiter35fused_qk_rmsnorm_group_quant_kernelItN4opus5fp4_tELi512ELi16ELi8ELb1ELb1ELb1ELb1ELb0ELb0EEEvPT0_PvPT_S7_S7_PKS6_S9_S9_S9_S9_ffiiiiiiiiiiiii,"axG",@progbits,_ZN5aiter35fused_qk_rmsnorm_group_quant_kernelItN4opus5fp4_tELi512ELi16ELi8ELb1ELb1ELb1ELb1ELb0ELb0EEEvPT0_PvPT_S7_S7_PKS6_S9_S9_S9_S9_ffiiiiiiiiiiiii,comdat
	.protected	_ZN5aiter35fused_qk_rmsnorm_group_quant_kernelItN4opus5fp4_tELi512ELi16ELi8ELb1ELb1ELb1ELb1ELb0ELb0EEEvPT0_PvPT_S7_S7_PKS6_S9_S9_S9_S9_ffiiiiiiiiiiiii ; -- Begin function _ZN5aiter35fused_qk_rmsnorm_group_quant_kernelItN4opus5fp4_tELi512ELi16ELi8ELb1ELb1ELb1ELb1ELb0ELb0EEEvPT0_PvPT_S7_S7_PKS6_S9_S9_S9_S9_ffiiiiiiiiiiiii
	.globl	_ZN5aiter35fused_qk_rmsnorm_group_quant_kernelItN4opus5fp4_tELi512ELi16ELi8ELb1ELb1ELb1ELb1ELb0ELb0EEEvPT0_PvPT_S7_S7_PKS6_S9_S9_S9_S9_ffiiiiiiiiiiiii
	.p2align	8
	.type	_ZN5aiter35fused_qk_rmsnorm_group_quant_kernelItN4opus5fp4_tELi512ELi16ELi8ELb1ELb1ELb1ELb1ELb0ELb0EEEvPT0_PvPT_S7_S7_PKS6_S9_S9_S9_S9_ffiiiiiiiiiiiii,@function
_ZN5aiter35fused_qk_rmsnorm_group_quant_kernelItN4opus5fp4_tELi512ELi16ELi8ELb1ELb1ELb1ELb1ELb0ELb0EEEvPT0_PvPT_S7_S7_PKS6_S9_S9_S9_S9_ffiiiiiiiiiiiii: ; @_ZN5aiter35fused_qk_rmsnorm_group_quant_kernelItN4opus5fp4_tELi512ELi16ELi8ELb1ELb1ELb1ELb1ELb0ELb0EEEvPT0_PvPT_S7_S7_PKS6_S9_S9_S9_S9_ffiiiiiiiiiiiii
; %bb.0:
	s_load_dwordx8 s[12:19], s[4:5], 0x50
	s_waitcnt lgkmcnt(0)
	s_cmp_ge_i32 s6, s14
	s_cbranch_scc1 .LBB892_17
; %bb.1:
	s_cmp_lg_u32 s7, 0
	s_cselect_b64 s[22:23], -1, 0
	s_cmp_eq_u32 s7, 0
	s_cselect_b64 s[2:3], -1, 0
	s_and_b64 s[0:1], s[2:3], exec
	s_cselect_b32 s7, s15, s16
	s_load_dwordx2 s[10:11], s[4:5], 0x30
	s_load_dwordx2 s[20:21], s[4:5], 0x48
	s_add_i32 s0, s7, 1
	s_lshr_b32 s1, s0, 31
	s_add_i32 s0, s0, s1
	s_lshl_b32 s0, s0, 1
	v_lshlrev_b32_e32 v1, 4, v0
	s_and_b32 s30, s0, -4
	v_cmp_gt_i32_e64 s[0:1], s7, v1
	v_mov_b32_e32 v62, 0
	v_mov_b32_e32 v63, 0
	;; [unrolled: 1-line block ×16, first 2 shown]
	s_and_saveexec_b64 s[8:9], s[0:1]
	s_cbranch_execz .LBB892_3
; %bb.2:
	s_load_dwordx2 s[14:15], s[4:5], 0x28
	s_load_dwordx2 s[26:27], s[4:5], 0x40
	s_and_b64 s[24:25], s[2:3], exec
	s_cselect_b32 s17, s17, s18
	s_mov_b32 s31, 0x20000
	s_waitcnt lgkmcnt(0)
	s_cselect_b32 s25, s15, s11
	s_cselect_b32 s24, s14, s10
	s_mul_hi_i32 s15, s17, s6
	s_mul_i32 s14, s17, s6
	s_lshl_b64 s[14:15], s[14:15], 1
	s_add_u32 s24, s24, s14
	s_addc_u32 s17, s25, s15
	s_and_b64 s[14:15], s[2:3], exec
	s_cselect_b32 s28, s26, s20
	s_cselect_b32 s14, s27, s21
	s_and_b32 s25, s17, 0xffff
	s_mov_b32 s26, s30
	s_mov_b32 s27, s31
	v_lshlrev_b32_e32 v2, 5, v0
	s_and_b32 s29, s14, 0xffff
	buffer_load_dwordx4 v[66:69], v2, s[24:27], 0 offen
	buffer_load_dwordx4 v[70:73], v2, s[24:27], 16 offen
	buffer_load_dwordx4 v[62:65], v2, s[28:31], 0 offen
	buffer_load_dwordx4 v[58:61], v2, s[28:31], 16 offen
.LBB892_3:
	s_or_b64 exec, exec, s[8:9]
	s_load_dwordx4 s[24:27], s[4:5], 0x7c
	s_and_b64 vcc, exec, s[22:23]
	s_cbranch_vccz .LBB892_7
; %bb.4:
	v_mov_b32_e32 v75, 0
	v_mov_b32_e32 v74, 0
	;; [unrolled: 1-line block ×16, first 2 shown]
	s_and_saveexec_b64 s[8:9], s[0:1]
	s_cbranch_execz .LBB892_6
; %bb.5:
	s_waitcnt vmcnt(3)
	v_cvt_f32_u32_sdwa v2, v66 dst_sel:DWORD dst_unused:UNUSED_PAD src0_sel:WORD_0
	v_cvt_f32_u32_sdwa v3, v66 dst_sel:DWORD dst_unused:UNUSED_PAD src0_sel:WORD_1
	v_cvt_f32_u32_sdwa v6, v67 dst_sel:DWORD dst_unused:UNUSED_PAD src0_sel:WORD_0
	v_cvt_f32_u32_sdwa v7, v67 dst_sel:DWORD dst_unused:UNUSED_PAD src0_sel:WORD_1
	;; [unrolled: 2-line block ×4, first 2 shown]
	s_waitcnt vmcnt(2)
	v_cvt_f32_u32_sdwa v50, v70 dst_sel:DWORD dst_unused:UNUSED_PAD src0_sel:WORD_0
	v_cvt_f32_u32_sdwa v51, v70 dst_sel:DWORD dst_unused:UNUSED_PAD src0_sel:WORD_1
	v_cvt_f32_u32_sdwa v24, v71 dst_sel:DWORD dst_unused:UNUSED_PAD src0_sel:WORD_0
	v_cvt_f32_u32_sdwa v25, v71 dst_sel:DWORD dst_unused:UNUSED_PAD src0_sel:WORD_1
	;; [unrolled: 2-line block ×4, first 2 shown]
.LBB892_6:
	s_or_b64 exec, exec, s[8:9]
	s_cbranch_execz .LBB892_8
	s_branch .LBB892_11
.LBB892_7:
                                        ; implicit-def: $vgpr2_vgpr3_vgpr4_vgpr5_vgpr6_vgpr7_vgpr8_vgpr9_vgpr10_vgpr11_vgpr12_vgpr13_vgpr14_vgpr15_vgpr16_vgpr17
                                        ; implicit-def: $vgpr36_vgpr37_vgpr38_vgpr39_vgpr40_vgpr41_vgpr42_vgpr43_vgpr44_vgpr45_vgpr46_vgpr47_vgpr48_vgpr49_vgpr50_vgpr51
                                        ; implicit-def: $vgpr4_vgpr5_vgpr6_vgpr7_vgpr8_vgpr9_vgpr10_vgpr11_vgpr12_vgpr13_vgpr14_vgpr15_vgpr16_vgpr17_vgpr18_vgpr19
                                        ; implicit-def: $vgpr24_vgpr25_vgpr26_vgpr27_vgpr28_vgpr29_vgpr30_vgpr31_vgpr32_vgpr33_vgpr34_vgpr35_vgpr36_vgpr37_vgpr38_vgpr39
                                        ; implicit-def: $vgpr75
                                        ; implicit-def: $vgpr42_vgpr43_vgpr44_vgpr45_vgpr46_vgpr47_vgpr48_vgpr49_vgpr50_vgpr51_vgpr52_vgpr53_vgpr54_vgpr55_vgpr56_vgpr57
                                        ; implicit-def: $vgpr14_vgpr15_vgpr16_vgpr17_vgpr18_vgpr19_vgpr20_vgpr21_vgpr22_vgpr23_vgpr24_vgpr25_vgpr26_vgpr27_vgpr28_vgpr29
                                        ; implicit-def: $vgpr8_vgpr9_vgpr10_vgpr11_vgpr12_vgpr13_vgpr14_vgpr15_vgpr16_vgpr17_vgpr18_vgpr19_vgpr20_vgpr21_vgpr22_vgpr23
.LBB892_8:
	v_mov_b32_e32 v75, 0
	v_mov_b32_e32 v74, 0
	;; [unrolled: 1-line block ×16, first 2 shown]
	s_and_saveexec_b64 s[8:9], s[0:1]
	s_cbranch_execz .LBB892_10
; %bb.9:
	s_load_dwordx2 s[14:15], s[4:5], 0x38
	s_mul_hi_i32 s29, s19, s6
	s_mul_i32 s28, s19, s6
	s_lshl_b64 s[28:29], s[28:29], 1
	s_mov_b32 s31, 0x20000
	s_waitcnt lgkmcnt(0)
	s_add_u32 s28, s14, s28
	s_addc_u32 s14, s15, s29
	s_and_b32 s29, s14, 0xffff
	v_lshlrev_b32_e32 v38, 5, v0
	buffer_load_dwordx4 v[6:9], v38, s[28:31], 16 offen
	buffer_load_dwordx4 v[10:13], v38, s[28:31], 0 offen
	s_load_dwordx2 s[14:15], s[4:5], 0x20
	s_waitcnt vmcnt(5)
	v_cvt_f32_u32_sdwa v3, v66 dst_sel:DWORD dst_unused:UNUSED_PAD src0_sel:WORD_1
	v_cvt_f32_u32_sdwa v2, v66 dst_sel:DWORD dst_unused:UNUSED_PAD src0_sel:WORD_0
	v_cvt_f32_u32_sdwa v21, v67 dst_sel:DWORD dst_unused:UNUSED_PAD src0_sel:WORD_1
	v_cvt_f32_u32_sdwa v20, v67 dst_sel:DWORD dst_unused:UNUSED_PAD src0_sel:WORD_0
	;; [unrolled: 2-line block ×4, first 2 shown]
	s_waitcnt vmcnt(4)
	v_cvt_f32_u32_sdwa v5, v70 dst_sel:DWORD dst_unused:UNUSED_PAD src0_sel:WORD_1
	v_cvt_f32_u32_sdwa v4, v70 dst_sel:DWORD dst_unused:UNUSED_PAD src0_sel:WORD_0
	v_cvt_f32_u32_sdwa v15, v71 dst_sel:DWORD dst_unused:UNUSED_PAD src0_sel:WORD_1
	v_cvt_f32_u32_sdwa v14, v71 dst_sel:DWORD dst_unused:UNUSED_PAD src0_sel:WORD_0
	;; [unrolled: 2-line block ×3, first 2 shown]
	v_cvt_f32_u32_sdwa v18, v73 dst_sel:DWORD dst_unused:UNUSED_PAD src0_sel:WORD_0
	v_cvt_f32_u32_sdwa v19, v73 dst_sel:DWORD dst_unused:UNUSED_PAD src0_sel:WORD_1
	s_mul_hi_i32 s27, s26, s6
	s_mul_i32 s26, s26, s6
	s_lshl_b64 s[26:27], s[26:27], 1
	s_waitcnt lgkmcnt(0)
	s_add_u32 s28, s14, s26
	s_mov_b32 s17, 0x7060302
	s_addc_u32 s14, s15, s27
	s_and_b32 s29, s14, 0xffff
	s_waitcnt vmcnt(1)
	v_cvt_f32_u32_sdwa v27, v6 dst_sel:DWORD dst_unused:UNUSED_PAD src0_sel:WORD_1
	v_cvt_f32_u32_sdwa v26, v6 dst_sel:DWORD dst_unused:UNUSED_PAD src0_sel:WORD_0
	v_cvt_f32_u32_sdwa v29, v7 dst_sel:DWORD dst_unused:UNUSED_PAD src0_sel:WORD_1
	v_cvt_f32_u32_sdwa v28, v7 dst_sel:DWORD dst_unused:UNUSED_PAD src0_sel:WORD_0
	;; [unrolled: 2-line block ×3, first 2 shown]
	v_cvt_f32_u32_sdwa v34, v9 dst_sel:DWORD dst_unused:UNUSED_PAD src0_sel:WORD_0
	v_cvt_f32_u32_sdwa v35, v9 dst_sel:DWORD dst_unused:UNUSED_PAD src0_sel:WORD_1
	s_waitcnt vmcnt(0)
	v_cvt_f32_u32_sdwa v37, v10 dst_sel:DWORD dst_unused:UNUSED_PAD src0_sel:WORD_1
	v_cvt_f32_u32_sdwa v36, v10 dst_sel:DWORD dst_unused:UNUSED_PAD src0_sel:WORD_0
	v_cvt_f32_u32_sdwa v7, v12 dst_sel:DWORD dst_unused:UNUSED_PAD src0_sel:WORD_1
	v_cvt_f32_u32_sdwa v6, v12 dst_sel:DWORD dst_unused:UNUSED_PAD src0_sel:WORD_0
	;; [unrolled: 2-line block ×4, first 2 shown]
	v_pk_add_f32 v[40:41], v[22:23], v[6:7]
	v_pk_add_f32 v[30:31], v[24:25], v[8:9]
	;; [unrolled: 1-line block ×4, first 2 shown]
	v_perm_b32 v11, v31, v30, s17
	v_perm_b32 v10, v41, v40, s17
	;; [unrolled: 1-line block ×4, first 2 shown]
	v_pk_add_f32 v[74:75], v[18:19], v[34:35]
	v_pk_add_f32 v[20:21], v[16:17], v[32:33]
	;; [unrolled: 1-line block ×4, first 2 shown]
	buffer_store_dwordx4 v[8:11], v38, s[28:31], 0 offen
	;;#ASMSTART
	s_nop 0
	;;#ASMEND
	s_nop 0
	v_perm_b32 v11, v75, v74, s17
	v_perm_b32 v10, v21, v20, s17
	;; [unrolled: 1-line block ×4, first 2 shown]
	buffer_store_dwordx4 v[8:11], v38, s[28:31], 16 offen
	;;#ASMSTART
	s_nop 0
	;;#ASMEND
.LBB892_10:
	s_or_b64 exec, exec, s[8:9]
.LBB892_11:
	v_mul_f32_e32 v4, v3, v3
	v_fmac_f32_e32 v4, v2, v2
	v_fmac_f32_e32 v4, v6, v6
	;; [unrolled: 1-line block ×15, first 2 shown]
	s_nop 1
	v_mov_b32_dpp v5, v4 quad_perm:[1,0,3,2] row_mask:0xf bank_mask:0xf
	v_add_f32_e32 v4, v4, v5
	s_nop 1
	v_mov_b32_dpp v5, v4 quad_perm:[2,3,0,1] row_mask:0xf bank_mask:0xf
	v_add_f32_e32 v4, v4, v5
	s_nop 1
	v_mov_b32_dpp v5, v4 row_half_mirror row_mask:0xf bank_mask:0xf
	v_add_f32_e32 v4, v4, v5
	s_nop 1
	v_mov_b32_dpp v5, v4 row_mirror row_mask:0xf bank_mask:0xf
	v_add_f32_e32 v4, v4, v5
	s_nop 1
	v_mov_b32_dpp v5, v4 row_bcast:15 row_mask:0xf bank_mask:0xf
	v_add_f32_e32 v4, v4, v5
	v_and_b32_e32 v5, 63, v0
	v_cmp_eq_u32_e64 s[8:9], 63, v5
	s_nop 0
	v_mov_b32_dpp v5, v4 row_bcast:31 row_mask:0xf bank_mask:0xf
	s_and_saveexec_b64 s[14:15], s[8:9]
	s_cbranch_execz .LBB892_13
; %bb.12:
	v_add_f32_e32 v4, v4, v5
	v_lshrrev_b32_e32 v5, 4, v0
	v_and_b32_e32 v5, 60, v5
	ds_write_b32 v5, v4 offset:32
.LBB892_13:
	s_or_b64 exec, exec, s[14:15]
	v_and_b32_e32 v4, 7, v0
	v_lshlrev_b32_e32 v34, 2, v4
	s_waitcnt lgkmcnt(0)
	s_barrier
	ds_read_b32 v4, v34 offset:32
	s_load_dwordx2 s[14:15], s[4:5], 0x18
	s_waitcnt lgkmcnt(0)
	v_mov_b32_dpp v5, v4 quad_perm:[1,0,3,2] row_mask:0xf bank_mask:0xf
	v_add_f32_e32 v4, v4, v5
	s_nop 1
	v_mov_b32_dpp v5, v4 quad_perm:[2,3,0,1] row_mask:0xf bank_mask:0xf
	v_add_f32_e32 v4, v4, v5
	s_nop 1
	v_mov_b32_dpp v5, v4 row_half_mirror row_mask:0xf bank_mask:0xf
	s_and_saveexec_b64 s[26:27], s[0:1]
	s_cbranch_execnz .LBB892_18
; %bb.14:
	s_or_b64 exec, exec, s[26:27]
	s_mov_b64 s[2:3], -1
	s_and_b64 vcc, exec, s[22:23]
	s_cbranch_vccnz .LBB892_19
.LBB892_15:
	s_andn2_b64 vcc, exec, s[2:3]
	s_cbranch_vccz .LBB892_22
.LBB892_16:
	s_cmp_lt_i32 s16, 1
	s_cbranch_scc0 .LBB892_25
.LBB892_17:
	s_endpgm
.LBB892_18:
	v_add_f32_e32 v4, v4, v5
	v_cvt_f32_u32_e32 v5, s7
	s_waitcnt vmcnt(1)
	v_cvt_f32_u32_sdwa v15, v62 dst_sel:DWORD dst_unused:UNUSED_PAD src0_sel:WORD_1
	v_cvt_f32_u32_sdwa v14, v62 dst_sel:DWORD dst_unused:UNUSED_PAD src0_sel:WORD_0
	v_cvt_f32_u32_sdwa v23, v65 dst_sel:DWORD dst_unused:UNUSED_PAD src0_sel:WORD_1
	v_div_scale_f32 v8, s[28:29], v5, v5, v4
	v_rcp_f32_e32 v9, v8
	v_pk_add_f32 v[14:15], v[14:15], 1.0 op_sel_hi:[1,0]
	v_cvt_f32_u32_sdwa v22, v65 dst_sel:DWORD dst_unused:UNUSED_PAD src0_sel:WORD_0
	s_waitcnt vmcnt(0)
	v_cvt_f32_u32_sdwa v27, v60 dst_sel:DWORD dst_unused:UNUSED_PAD src0_sel:WORD_1
	v_fma_f32 v10, -v8, v9, 1.0
	v_fmac_f32_e32 v9, v10, v9
	v_div_scale_f32 v10, vcc, v4, v5, v4
	v_mul_f32_e32 v11, v10, v9
	v_fma_f32 v12, -v8, v11, v10
	v_fmac_f32_e32 v11, v12, v9
	v_fma_f32 v8, -v8, v11, v10
	v_div_fmas_f32 v8, v8, v9, v11
	v_div_fixup_f32 v4, v8, v5, v4
	v_mov_b32_e32 v5, s13
	v_mov_b32_e32 v8, s12
	v_cndmask_b32_e64 v5, v5, v8, s[2:3]
	v_add_f32_e32 v4, v5, v4
	s_mov_b32 s2, 0x800000
	v_mul_f32_e32 v5, 0x4b800000, v4
	v_cmp_gt_f32_e32 vcc, s2, v4
	v_cndmask_b32_e32 v4, v4, v5, vcc
	v_rsq_f32_e32 v4, v4
	v_cvt_f32_u32_sdwa v26, v60 dst_sel:DWORD dst_unused:UNUSED_PAD src0_sel:WORD_0
	v_cvt_f32_u32_sdwa v29, v61 dst_sel:DWORD dst_unused:UNUSED_PAD src0_sel:WORD_1
	v_cvt_f32_u32_sdwa v28, v61 dst_sel:DWORD dst_unused:UNUSED_PAD src0_sel:WORD_0
	v_mul_f32_e32 v5, 0x45800000, v4
	v_cndmask_b32_e32 v4, v4, v5, vcc
	v_mov_b32_e32 v5, v4
	;;#ASMSTART
	v_pk_mul_f32 v[2:3], v[2:3], v[4:5]
	;;#ASMEND
	;;#ASMSTART
	v_pk_mul_f32 v[6:7], v[6:7], v[4:5]
	;;#ASMEND
	;; [unrolled: 3-line block ×9, first 2 shown]
	v_cvt_f32_u32_sdwa v15, v63 dst_sel:DWORD dst_unused:UNUSED_PAD src0_sel:WORD_1
	v_cvt_f32_u32_sdwa v14, v63 dst_sel:DWORD dst_unused:UNUSED_PAD src0_sel:WORD_0
	v_cvt_f32_u32_sdwa v21, v64 dst_sel:DWORD dst_unused:UNUSED_PAD src0_sel:WORD_1
	v_cvt_f32_u32_sdwa v20, v64 dst_sel:DWORD dst_unused:UNUSED_PAD src0_sel:WORD_0
	v_cvt_f32_u32_sdwa v25, v59 dst_sel:DWORD dst_unused:UNUSED_PAD src0_sel:WORD_1
	v_pk_add_f32 v[14:15], v[14:15], 1.0 op_sel_hi:[1,0]
	v_cvt_f32_u32_sdwa v24, v59 dst_sel:DWORD dst_unused:UNUSED_PAD src0_sel:WORD_0
	;;#ASMSTART
	v_pk_mul_f32 v[6:7], v[6:7], v[14:15]
	;;#ASMEND
	v_pk_add_f32 v[14:15], v[20:21], 1.0 op_sel_hi:[1,0]
	v_pk_add_f32 v[20:21], v[22:23], 1.0 op_sel_hi:[1,0]
	v_cvt_f32_u32_sdwa v23, v58 dst_sel:DWORD dst_unused:UNUSED_PAD src0_sel:WORD_1
	v_cvt_f32_u32_sdwa v22, v58 dst_sel:DWORD dst_unused:UNUSED_PAD src0_sel:WORD_0
	v_pk_add_f32 v[24:25], v[24:25], 1.0 op_sel_hi:[1,0]
	v_pk_add_f32 v[26:27], v[26:27], 1.0 op_sel_hi:[1,0]
	;; [unrolled: 1-line block ×4, first 2 shown]
	;;#ASMSTART
	v_pk_mul_f32 v[40:41], v[8:9], v[14:15]
	;;#ASMEND
	;;#ASMSTART
	v_pk_mul_f32 v[30:31], v[10:11], v[20:21]
	;;#ASMEND
	;; [unrolled: 3-line block ×6, first 2 shown]
	s_or_b64 exec, exec, s[26:27]
	s_mov_b64 s[2:3], -1
	s_and_b64 vcc, exec, s[22:23]
	s_cbranch_vccz .LBB892_15
.LBB892_19:
	s_and_saveexec_b64 s[2:3], s[0:1]
	s_cbranch_execz .LBB892_21
; %bb.20:
	s_mul_hi_i32 s23, s25, s6
	s_mul_i32 s22, s25, s6
	s_lshl_b64 s[22:23], s[22:23], 1
	s_add_u32 s28, s14, s22
	s_addc_u32 s7, s15, s23
	s_and_b32 s29, s7, 0xffff
	s_mov_b32 s7, 0x7060302
	s_mov_b32 s31, 0x20000
	v_perm_b32 v11, v31, v30, s7
	v_perm_b32 v10, v41, v40, s7
	;; [unrolled: 1-line block ×4, first 2 shown]
	v_lshlrev_b32_e32 v4, 5, v0
	buffer_store_dwordx4 v[8:11], v4, s[28:31], 0 offen
	;;#ASMSTART
	s_nop 0
	;;#ASMEND
	s_nop 0
	v_perm_b32 v11, v75, v74, s7
	v_perm_b32 v10, v21, v20, s7
	;; [unrolled: 1-line block ×4, first 2 shown]
	buffer_store_dwordx4 v[8:11], v4, s[28:31], 16 offen
	;;#ASMSTART
	s_nop 0
	;;#ASMEND
.LBB892_21:
	s_or_b64 exec, exec, s[2:3]
	s_cbranch_execnz .LBB892_16
.LBB892_22:
	s_and_saveexec_b64 s[2:3], s[0:1]
	s_cbranch_execz .LBB892_24
; %bb.23:
	s_load_dwordx2 s[0:1], s[4:5], 0x10
	s_mul_hi_i32 s23, s24, s6
	s_mul_i32 s22, s24, s6
	s_lshl_b64 s[22:23], s[22:23], 1
	s_mov_b32 s7, 0x7060302
	s_waitcnt lgkmcnt(0)
	s_add_u32 s28, s0, s22
	s_addc_u32 s0, s1, s23
	v_perm_b32 v9, v31, v30, s7
	v_perm_b32 v8, v41, v40, s7
	;; [unrolled: 1-line block ×4, first 2 shown]
	s_and_b32 s29, s0, 0xffff
	s_mov_b32 s31, 0x20000
	v_lshlrev_b32_e32 v10, 5, v0
	v_perm_b32 v5, v75, v74, s7
	v_perm_b32 v4, v21, v20, s7
	;; [unrolled: 1-line block ×4, first 2 shown]
	buffer_store_dwordx4 v[6:9], v10, s[28:31], 0 offen
	;;#ASMSTART
	s_nop 0
	;;#ASMEND
	buffer_store_dwordx4 v[2:5], v10, s[28:31], 16 offen
	;;#ASMSTART
	s_nop 0
	;;#ASMEND
.LBB892_24:
	s_or_b64 exec, exec, s[2:3]
	s_cmp_lt_i32 s16, 1
	s_cbranch_scc1 .LBB892_17
.LBB892_25:
	s_load_dword s0, s[4:5], 0x94
	s_waitcnt lgkmcnt(0)
	s_cmp_lg_u32 s0, 1
	s_cbranch_scc1 .LBB892_17
; %bb.26:
	s_lshl_b32 s0, s16, 1
	s_add_i32 s0, s0, 2
	v_cmp_gt_u32_e32 vcc, s16, v1
	s_and_b32 s22, s0, -4
	v_mov_b32_e32 v18, 0
	v_lshlrev_b32_e32 v1, 5, v0
	v_mov_b32_e32 v14, 0
	v_mov_b32_e32 v15, 0
	v_mov_b32_e32 v16, 0
	v_mov_b32_e32 v17, 0
	v_mov_b32_e32 v10, 0
	v_mov_b32_e32 v11, 0
	v_mov_b32_e32 v12, 0
	v_mov_b32_e32 v13, 0
	v_mov_b32_e32 v6, 0
	v_mov_b32_e32 v7, 0
	v_mov_b32_e32 v8, 0
	v_mov_b32_e32 v9, 0
	v_mov_b32_e32 v2, 0
	v_mov_b32_e32 v3, 0
	v_mov_b32_e32 v4, 0
	v_mov_b32_e32 v5, 0
	s_barrier
	s_and_saveexec_b64 s[0:1], vcc
	s_cbranch_execz .LBB892_28
; %bb.27:
	s_mul_hi_i32 s3, s18, s6
	s_mul_i32 s2, s18, s6
	s_and_b32 s21, s21, 0xffff
	s_lshl_b64 s[2:3], s[2:3], 1
	s_add_u32 s28, s10, s2
	s_mov_b32 s23, 0x20000
	s_addc_u32 s2, s11, s3
	s_and_b32 s29, s2, 0xffff
	s_mov_b32 s30, s22
	s_mov_b32 s31, s23
	buffer_load_dwordx4 v[14:17], v1, s[28:31], 0 offen
	buffer_load_dwordx4 v[10:13], v1, s[28:31], 16 offen
	;; [unrolled: 1-line block ×4, first 2 shown]
.LBB892_28:
	s_or_b64 exec, exec, s[0:1]
	v_mov_b32_e32 v19, 0
	v_mov_b32_e32 v32, 0
	;; [unrolled: 1-line block ×15, first 2 shown]
	s_and_saveexec_b64 s[0:1], vcc
	s_cbranch_execz .LBB892_30
; %bb.29:
	s_waitcnt vmcnt(3)
	v_cvt_f32_u32_sdwa v18, v14 dst_sel:DWORD dst_unused:UNUSED_PAD src0_sel:WORD_0
	v_cvt_f32_u32_sdwa v19, v14 dst_sel:DWORD dst_unused:UNUSED_PAD src0_sel:WORD_1
	v_cvt_f32_u32_sdwa v32, v15 dst_sel:DWORD dst_unused:UNUSED_PAD src0_sel:WORD_0
	v_cvt_f32_u32_sdwa v33, v15 dst_sel:DWORD dst_unused:UNUSED_PAD src0_sel:WORD_1
	;; [unrolled: 2-line block ×4, first 2 shown]
	s_waitcnt vmcnt(2)
	v_cvt_f32_u32_sdwa v26, v10 dst_sel:DWORD dst_unused:UNUSED_PAD src0_sel:WORD_0
	v_cvt_f32_u32_sdwa v27, v10 dst_sel:DWORD dst_unused:UNUSED_PAD src0_sel:WORD_1
	v_cvt_f32_u32_sdwa v24, v11 dst_sel:DWORD dst_unused:UNUSED_PAD src0_sel:WORD_0
	v_cvt_f32_u32_sdwa v25, v11 dst_sel:DWORD dst_unused:UNUSED_PAD src0_sel:WORD_1
	;; [unrolled: 2-line block ×4, first 2 shown]
.LBB892_30:
	s_or_b64 exec, exec, s[0:1]
	s_waitcnt vmcnt(2)
	v_mul_f32_e32 v10, v19, v19
	v_fmac_f32_e32 v10, v18, v18
	v_fmac_f32_e32 v10, v32, v32
	;; [unrolled: 1-line block ×15, first 2 shown]
	s_nop 1
	v_mov_b32_dpp v11, v10 quad_perm:[1,0,3,2] row_mask:0xf bank_mask:0xf
	v_add_f32_e32 v10, v10, v11
	s_nop 1
	v_mov_b32_dpp v11, v10 quad_perm:[2,3,0,1] row_mask:0xf bank_mask:0xf
	v_add_f32_e32 v10, v10, v11
	s_nop 1
	v_mov_b32_dpp v11, v10 row_half_mirror row_mask:0xf bank_mask:0xf
	v_add_f32_e32 v10, v10, v11
	s_nop 1
	v_mov_b32_dpp v11, v10 row_mirror row_mask:0xf bank_mask:0xf
	v_add_f32_e32 v10, v10, v11
	s_nop 1
	v_mov_b32_dpp v11, v10 row_bcast:15 row_mask:0xf bank_mask:0xf
	v_add_f32_e32 v10, v10, v11
	s_nop 1
	v_mov_b32_dpp v11, v10 row_bcast:31 row_mask:0xf bank_mask:0xf
	s_and_saveexec_b64 s[0:1], s[8:9]
	s_cbranch_execz .LBB892_32
; %bb.31:
	v_lshrrev_b32_e32 v0, 4, v0
	v_add_f32_e32 v10, v10, v11
	v_and_b32_e32 v0, 60, v0
	ds_write_b32 v0, v10
.LBB892_32:
	s_or_b64 exec, exec, s[0:1]
	s_waitcnt lgkmcnt(0)
	s_barrier
	ds_read_b32 v0, v34
	s_waitcnt lgkmcnt(0)
	s_nop 0
	v_mov_b32_dpp v10, v0 quad_perm:[1,0,3,2] row_mask:0xf bank_mask:0xf
	v_add_f32_e32 v0, v0, v10
	s_nop 1
	v_mov_b32_dpp v10, v0 quad_perm:[2,3,0,1] row_mask:0xf bank_mask:0xf
	v_add_f32_e32 v0, v0, v10
	s_nop 1
	v_mov_b32_dpp v10, v0 row_half_mirror row_mask:0xf bank_mask:0xf
	s_and_saveexec_b64 s[0:1], vcc
	s_cbranch_execz .LBB892_17
; %bb.33:
	v_cvt_f32_u32_e32 v11, s16
	v_add_f32_e32 v0, v0, v10
	s_mov_b32 s23, 0x20000
	v_div_scale_f32 v10, s[0:1], v11, v11, v0
	v_rcp_f32_e32 v12, v10
	v_div_scale_f32 v13, vcc, v0, v11, v0
	s_mov_b32 s0, 0x800000
	v_fma_f32 v14, -v10, v12, 1.0
	v_fmac_f32_e32 v12, v14, v12
	v_mul_f32_e32 v14, v13, v12
	v_fma_f32 v15, -v10, v14, v13
	v_fmac_f32_e32 v14, v15, v12
	v_fma_f32 v10, -v10, v14, v13
	v_div_fmas_f32 v10, v10, v12, v14
	v_div_fixup_f32 v0, v10, v11, v0
	v_add_f32_e32 v0, s13, v0
	v_mul_f32_e32 v10, 0x4b800000, v0
	v_cmp_gt_f32_e32 vcc, s0, v0
	v_cndmask_b32_e32 v0, v0, v10, vcc
	v_rsq_f32_e32 v0, v0
	s_mul_hi_i32 s1, s25, s6
	s_mul_i32 s0, s25, s6
	s_lshl_b64 s[0:1], s[0:1], 1
	v_mul_f32_e32 v10, 0x45800000, v0
	v_cndmask_b32_e32 v10, v0, v10, vcc
	v_mov_b32_e32 v11, v10
	;;#ASMSTART
	v_pk_mul_f32 v[12:13], v[18:19], v[10:11]
	;;#ASMEND
	;;#ASMSTART
	v_pk_mul_f32 v[14:15], v[32:33], v[10:11]
	;;#ASMEND
	;; [unrolled: 3-line block ×4, first 2 shown]
	s_waitcnt vmcnt(1)
	v_cvt_f32_u32_sdwa v29, v6 dst_sel:DWORD dst_unused:UNUSED_PAD src0_sel:WORD_1
	v_cvt_f32_u32_sdwa v28, v6 dst_sel:DWORD dst_unused:UNUSED_PAD src0_sel:WORD_0
	v_cvt_f32_u32_sdwa v31, v7 dst_sel:DWORD dst_unused:UNUSED_PAD src0_sel:WORD_1
	v_cvt_f32_u32_sdwa v30, v7 dst_sel:DWORD dst_unused:UNUSED_PAD src0_sel:WORD_0
	;;#ASMSTART
	v_pk_mul_f32 v[26:27], v[26:27], v[10:11]
	;;#ASMEND
	;;#ASMSTART
	v_pk_mul_f32 v[24:25], v[24:25], v[10:11]
	;;#ASMEND
	;;#ASMSTART
	v_pk_mul_f32 v[22:23], v[22:23], v[10:11]
	;;#ASMEND
	;;#ASMSTART
	v_pk_mul_f32 v[6:7], v[20:21], v[10:11]
	;;#ASMEND
	v_cvt_f32_u32_sdwa v21, v8 dst_sel:DWORD dst_unused:UNUSED_PAD src0_sel:WORD_1
	v_cvt_f32_u32_sdwa v20, v8 dst_sel:DWORD dst_unused:UNUSED_PAD src0_sel:WORD_0
	v_pk_add_f32 v[10:11], v[28:29], 1.0 op_sel_hi:[1,0]
	;;#ASMSTART
	v_pk_mul_f32 v[10:11], v[12:13], v[10:11]
	;;#ASMEND
	v_pk_add_f32 v[12:13], v[30:31], 1.0 op_sel_hi:[1,0]
	v_cvt_f32_u32_sdwa v29, v9 dst_sel:DWORD dst_unused:UNUSED_PAD src0_sel:WORD_1
	v_cvt_f32_u32_sdwa v28, v9 dst_sel:DWORD dst_unused:UNUSED_PAD src0_sel:WORD_0
	;;#ASMSTART
	v_pk_mul_f32 v[8:9], v[14:15], v[12:13]
	;;#ASMEND
	v_pk_add_f32 v[12:13], v[20:21], 1.0 op_sel_hi:[1,0]
	;;#ASMSTART
	v_pk_mul_f32 v[12:13], v[16:17], v[12:13]
	;;#ASMEND
	s_waitcnt vmcnt(0)
	v_cvt_f32_u32_sdwa v17, v2 dst_sel:DWORD dst_unused:UNUSED_PAD src0_sel:WORD_1
	v_cvt_f32_u32_sdwa v16, v2 dst_sel:DWORD dst_unused:UNUSED_PAD src0_sel:WORD_0
	v_cvt_f32_u32_sdwa v21, v3 dst_sel:DWORD dst_unused:UNUSED_PAD src0_sel:WORD_1
	v_cvt_f32_u32_sdwa v20, v3 dst_sel:DWORD dst_unused:UNUSED_PAD src0_sel:WORD_0
	v_pk_add_f32 v[14:15], v[28:29], 1.0 op_sel_hi:[1,0]
	;;#ASMSTART
	v_pk_mul_f32 v[14:15], v[18:19], v[14:15]
	;;#ASMEND
	v_pk_add_f32 v[2:3], v[16:17], 1.0 op_sel_hi:[1,0]
	v_cvt_f32_u32_sdwa v19, v4 dst_sel:DWORD dst_unused:UNUSED_PAD src0_sel:WORD_1
	v_cvt_f32_u32_sdwa v18, v4 dst_sel:DWORD dst_unused:UNUSED_PAD src0_sel:WORD_0
	;;#ASMSTART
	v_pk_mul_f32 v[16:17], v[26:27], v[2:3]
	;;#ASMEND
	v_pk_add_f32 v[2:3], v[20:21], 1.0 op_sel_hi:[1,0]
	v_cvt_f32_u32_sdwa v21, v5 dst_sel:DWORD dst_unused:UNUSED_PAD src0_sel:WORD_1
	v_cvt_f32_u32_sdwa v20, v5 dst_sel:DWORD dst_unused:UNUSED_PAD src0_sel:WORD_0
	s_add_u32 s20, s14, s0
	;;#ASMSTART
	v_pk_mul_f32 v[24:25], v[24:25], v[2:3]
	;;#ASMEND
	v_pk_add_f32 v[2:3], v[18:19], 1.0 op_sel_hi:[1,0]
	s_addc_u32 s0, s15, s1
	;;#ASMSTART
	v_pk_mul_f32 v[18:19], v[22:23], v[2:3]
	;;#ASMEND
	v_pk_add_f32 v[2:3], v[20:21], 1.0 op_sel_hi:[1,0]
	s_and_b32 s21, s0, 0xffff
	s_mov_b32 s0, 0x7060302
	;;#ASMSTART
	v_pk_mul_f32 v[6:7], v[6:7], v[2:3]
	;;#ASMEND
	v_perm_b32 v2, v11, v10, s0
	v_perm_b32 v3, v9, v8, s0
	;; [unrolled: 1-line block ×4, first 2 shown]
	buffer_store_dwordx4 v[2:5], v1, s[20:23], 0 offen
	;;#ASMSTART
	s_nop 0
	;;#ASMEND
	s_nop 0
	v_perm_b32 v2, v17, v16, s0
	v_perm_b32 v3, v25, v24, s0
	;; [unrolled: 1-line block ×4, first 2 shown]
	buffer_store_dwordx4 v[2:5], v1, s[20:23], 16 offen
	;;#ASMSTART
	s_nop 0
	;;#ASMEND
	s_endpgm
	.section	.rodata,"a",@progbits
	.p2align	6, 0x0
	.amdhsa_kernel _ZN5aiter35fused_qk_rmsnorm_group_quant_kernelItN4opus5fp4_tELi512ELi16ELi8ELb1ELb1ELb1ELb1ELb0ELb0EEEvPT0_PvPT_S7_S7_PKS6_S9_S9_S9_S9_ffiiiiiiiiiiiii
		.amdhsa_group_segment_fixed_size 64
		.amdhsa_private_segment_fixed_size 0
		.amdhsa_kernarg_size 400
		.amdhsa_user_sgpr_count 6
		.amdhsa_user_sgpr_private_segment_buffer 1
		.amdhsa_user_sgpr_dispatch_ptr 0
		.amdhsa_user_sgpr_queue_ptr 0
		.amdhsa_user_sgpr_kernarg_segment_ptr 1
		.amdhsa_user_sgpr_dispatch_id 0
		.amdhsa_user_sgpr_flat_scratch_init 0
		.amdhsa_user_sgpr_kernarg_preload_length 0
		.amdhsa_user_sgpr_kernarg_preload_offset 0
		.amdhsa_user_sgpr_private_segment_size 0
		.amdhsa_uses_dynamic_stack 0
		.amdhsa_system_sgpr_private_segment_wavefront_offset 0
		.amdhsa_system_sgpr_workgroup_id_x 1
		.amdhsa_system_sgpr_workgroup_id_y 1
		.amdhsa_system_sgpr_workgroup_id_z 0
		.amdhsa_system_sgpr_workgroup_info 0
		.amdhsa_system_vgpr_workitem_id 0
		.amdhsa_next_free_vgpr 76
		.amdhsa_next_free_sgpr 32
		.amdhsa_accum_offset 76
		.amdhsa_reserve_vcc 1
		.amdhsa_reserve_flat_scratch 0
		.amdhsa_float_round_mode_32 0
		.amdhsa_float_round_mode_16_64 0
		.amdhsa_float_denorm_mode_32 3
		.amdhsa_float_denorm_mode_16_64 3
		.amdhsa_dx10_clamp 1
		.amdhsa_ieee_mode 1
		.amdhsa_fp16_overflow 0
		.amdhsa_tg_split 0
		.amdhsa_exception_fp_ieee_invalid_op 0
		.amdhsa_exception_fp_denorm_src 0
		.amdhsa_exception_fp_ieee_div_zero 0
		.amdhsa_exception_fp_ieee_overflow 0
		.amdhsa_exception_fp_ieee_underflow 0
		.amdhsa_exception_fp_ieee_inexact 0
		.amdhsa_exception_int_div_zero 0
	.end_amdhsa_kernel
	.section	.text._ZN5aiter35fused_qk_rmsnorm_group_quant_kernelItN4opus5fp4_tELi512ELi16ELi8ELb1ELb1ELb1ELb1ELb0ELb0EEEvPT0_PvPT_S7_S7_PKS6_S9_S9_S9_S9_ffiiiiiiiiiiiii,"axG",@progbits,_ZN5aiter35fused_qk_rmsnorm_group_quant_kernelItN4opus5fp4_tELi512ELi16ELi8ELb1ELb1ELb1ELb1ELb0ELb0EEEvPT0_PvPT_S7_S7_PKS6_S9_S9_S9_S9_ffiiiiiiiiiiiii,comdat
.Lfunc_end892:
	.size	_ZN5aiter35fused_qk_rmsnorm_group_quant_kernelItN4opus5fp4_tELi512ELi16ELi8ELb1ELb1ELb1ELb1ELb0ELb0EEEvPT0_PvPT_S7_S7_PKS6_S9_S9_S9_S9_ffiiiiiiiiiiiii, .Lfunc_end892-_ZN5aiter35fused_qk_rmsnorm_group_quant_kernelItN4opus5fp4_tELi512ELi16ELi8ELb1ELb1ELb1ELb1ELb0ELb0EEEvPT0_PvPT_S7_S7_PKS6_S9_S9_S9_S9_ffiiiiiiiiiiiii
                                        ; -- End function
	.section	.AMDGPU.csdata,"",@progbits
; Kernel info:
; codeLenInByte = 3600
; NumSgprs: 36
; NumVgprs: 76
; NumAgprs: 0
; TotalNumVgprs: 76
; ScratchSize: 0
; MemoryBound: 0
; FloatMode: 240
; IeeeMode: 1
; LDSByteSize: 64 bytes/workgroup (compile time only)
; SGPRBlocks: 4
; VGPRBlocks: 9
; NumSGPRsForWavesPerEU: 36
; NumVGPRsForWavesPerEU: 76
; AccumOffset: 76
; Occupancy: 6
; WaveLimiterHint : 0
; COMPUTE_PGM_RSRC2:SCRATCH_EN: 0
; COMPUTE_PGM_RSRC2:USER_SGPR: 6
; COMPUTE_PGM_RSRC2:TRAP_HANDLER: 0
; COMPUTE_PGM_RSRC2:TGID_X_EN: 1
; COMPUTE_PGM_RSRC2:TGID_Y_EN: 1
; COMPUTE_PGM_RSRC2:TGID_Z_EN: 0
; COMPUTE_PGM_RSRC2:TIDIG_COMP_CNT: 0
; COMPUTE_PGM_RSRC3_GFX90A:ACCUM_OFFSET: 18
; COMPUTE_PGM_RSRC3_GFX90A:TG_SPLIT: 0
	.section	.text._ZN5aiter35fused_qk_rmsnorm_group_quant_kernelIDF16_DB8_Li512ELi16ELi8ELb1ELb1ELb0ELb1ELb0ELb0EEEvPT0_PvPT_S6_S6_PKS5_S8_S8_S8_S8_ffiiiiiiiiiiiii,"axG",@progbits,_ZN5aiter35fused_qk_rmsnorm_group_quant_kernelIDF16_DB8_Li512ELi16ELi8ELb1ELb1ELb0ELb1ELb0ELb0EEEvPT0_PvPT_S6_S6_PKS5_S8_S8_S8_S8_ffiiiiiiiiiiiii,comdat
	.protected	_ZN5aiter35fused_qk_rmsnorm_group_quant_kernelIDF16_DB8_Li512ELi16ELi8ELb1ELb1ELb0ELb1ELb0ELb0EEEvPT0_PvPT_S6_S6_PKS5_S8_S8_S8_S8_ffiiiiiiiiiiiii ; -- Begin function _ZN5aiter35fused_qk_rmsnorm_group_quant_kernelIDF16_DB8_Li512ELi16ELi8ELb1ELb1ELb0ELb1ELb0ELb0EEEvPT0_PvPT_S6_S6_PKS5_S8_S8_S8_S8_ffiiiiiiiiiiiii
	.globl	_ZN5aiter35fused_qk_rmsnorm_group_quant_kernelIDF16_DB8_Li512ELi16ELi8ELb1ELb1ELb0ELb1ELb0ELb0EEEvPT0_PvPT_S6_S6_PKS5_S8_S8_S8_S8_ffiiiiiiiiiiiii
	.p2align	8
	.type	_ZN5aiter35fused_qk_rmsnorm_group_quant_kernelIDF16_DB8_Li512ELi16ELi8ELb1ELb1ELb0ELb1ELb0ELb0EEEvPT0_PvPT_S6_S6_PKS5_S8_S8_S8_S8_ffiiiiiiiiiiiii,@function
_ZN5aiter35fused_qk_rmsnorm_group_quant_kernelIDF16_DB8_Li512ELi16ELi8ELb1ELb1ELb0ELb1ELb0ELb0EEEvPT0_PvPT_S6_S6_PKS5_S8_S8_S8_S8_ffiiiiiiiiiiiii: ; @_ZN5aiter35fused_qk_rmsnorm_group_quant_kernelIDF16_DB8_Li512ELi16ELi8ELb1ELb1ELb0ELb1ELb0ELb0EEEvPT0_PvPT_S6_S6_PKS5_S8_S8_S8_S8_ffiiiiiiiiiiiii
; %bb.0:
	s_load_dwordx8 s[12:19], s[4:5], 0x50
	s_waitcnt lgkmcnt(0)
	s_cmp_ge_i32 s6, s14
	s_cbranch_scc1 .LBB893_17
; %bb.1:
	s_cmp_lg_u32 s7, 0
	s_cselect_b64 s[22:23], -1, 0
	s_cmp_eq_u32 s7, 0
	s_cselect_b64 s[2:3], -1, 0
	s_and_b64 s[0:1], s[2:3], exec
	s_cselect_b32 s7, s15, s16
	s_load_dwordx2 s[10:11], s[4:5], 0x30
	s_load_dwordx2 s[20:21], s[4:5], 0x48
	s_add_i32 s0, s7, 1
	s_lshr_b32 s1, s0, 31
	s_add_i32 s0, s0, s1
	s_lshl_b32 s0, s0, 1
	v_lshlrev_b32_e32 v1, 4, v0
	s_and_b32 s30, s0, -4
	v_cmp_gt_i32_e64 s[0:1], s7, v1
	v_mov_b32_e32 v6, 0
	v_mov_b32_e32 v7, 0
	;; [unrolled: 1-line block ×16, first 2 shown]
	s_and_saveexec_b64 s[8:9], s[0:1]
	s_cbranch_execz .LBB893_3
; %bb.2:
	s_load_dwordx2 s[14:15], s[4:5], 0x28
	s_load_dwordx2 s[26:27], s[4:5], 0x40
	s_and_b64 s[24:25], s[2:3], exec
	s_cselect_b32 s17, s17, s18
	s_mov_b32 s31, 0x20000
	s_waitcnt lgkmcnt(0)
	s_cselect_b32 s25, s15, s11
	s_cselect_b32 s24, s14, s10
	s_mul_hi_i32 s15, s17, s6
	s_mul_i32 s14, s17, s6
	s_lshl_b64 s[14:15], s[14:15], 1
	s_add_u32 s24, s24, s14
	s_addc_u32 s17, s25, s15
	s_and_b64 s[14:15], s[2:3], exec
	s_cselect_b32 s28, s26, s20
	s_cselect_b32 s14, s27, s21
	s_and_b32 s25, s17, 0xffff
	s_mov_b32 s26, s30
	s_mov_b32 s27, s31
	v_lshlrev_b32_e32 v18, 5, v0
	s_and_b32 s29, s14, 0xffff
	buffer_load_dwordx4 v[10:13], v18, s[24:27], 0 offen
	buffer_load_dwordx4 v[14:17], v18, s[24:27], 16 offen
	;; [unrolled: 1-line block ×4, first 2 shown]
.LBB893_3:
	s_or_b64 exec, exec, s[8:9]
	s_load_dwordx4 s[24:27], s[4:5], 0x7c
	s_and_b64 vcc, exec, s[22:23]
	s_cbranch_vccz .LBB893_7
; %bb.4:
	v_mov_b32_e32 v19, 0
	v_mov_b32_e32 v18, 0
	;; [unrolled: 1-line block ×16, first 2 shown]
	s_and_saveexec_b64 s[8:9], s[0:1]
	s_cbranch_execz .LBB893_6
; %bb.5:
	s_waitcnt vmcnt(3)
	v_cvt_f32_f16_sdwa v33, v10 dst_sel:DWORD dst_unused:UNUSED_PAD src0_sel:WORD_1
	v_cvt_f32_f16_e32 v32, v10
	v_cvt_f32_f16_sdwa v31, v11 dst_sel:DWORD dst_unused:UNUSED_PAD src0_sel:WORD_1
	v_cvt_f32_f16_e32 v30, v11
	;; [unrolled: 2-line block ×4, first 2 shown]
	s_waitcnt vmcnt(2)
	v_cvt_f32_f16_sdwa v25, v14 dst_sel:DWORD dst_unused:UNUSED_PAD src0_sel:WORD_1
	v_cvt_f32_f16_e32 v24, v14
	v_cvt_f32_f16_sdwa v23, v15 dst_sel:DWORD dst_unused:UNUSED_PAD src0_sel:WORD_1
	v_cvt_f32_f16_e32 v22, v15
	;; [unrolled: 2-line block ×4, first 2 shown]
.LBB893_6:
	s_or_b64 exec, exec, s[8:9]
	s_cbranch_execz .LBB893_8
	s_branch .LBB893_11
.LBB893_7:
                                        ; implicit-def: $vgpr19
                                        ; implicit-def: $vgpr21
                                        ; implicit-def: $vgpr23
                                        ; implicit-def: $vgpr25
                                        ; implicit-def: $vgpr29
                                        ; implicit-def: $vgpr27
                                        ; implicit-def: $vgpr31
                                        ; implicit-def: $vgpr33
.LBB893_8:
	v_mov_b32_e32 v19, 0
	v_mov_b32_e32 v18, 0
	;; [unrolled: 1-line block ×16, first 2 shown]
	s_and_saveexec_b64 s[8:9], s[0:1]
	s_cbranch_execz .LBB893_10
; %bb.9:
	s_load_dwordx2 s[14:15], s[4:5], 0x38
	s_mul_hi_i32 s29, s19, s6
	s_mul_i32 s28, s19, s6
	s_lshl_b64 s[28:29], s[28:29], 1
	s_mov_b32 s31, 0x20000
	s_waitcnt lgkmcnt(0)
	s_add_u32 s28, s14, s28
	s_addc_u32 s14, s15, s29
	s_and_b32 s29, s14, 0xffff
	v_lshlrev_b32_e32 v48, 5, v0
	buffer_load_dwordx4 v[18:21], v48, s[28:31], 16 offen
	buffer_load_dwordx4 v[22:25], v48, s[28:31], 0 offen
	s_waitcnt vmcnt(4)
	v_cvt_f32_f16_sdwa v27, v14 dst_sel:DWORD dst_unused:UNUSED_PAD src0_sel:WORD_1
	v_cvt_f32_f16_e32 v26, v14
	v_cvt_f32_f16_sdwa v29, v15 dst_sel:DWORD dst_unused:UNUSED_PAD src0_sel:WORD_1
	v_cvt_f32_f16_e32 v28, v15
	;; [unrolled: 2-line block ×8, first 2 shown]
	s_load_dwordx2 s[14:15], s[4:5], 0x20
	s_mul_hi_i32 s27, s26, s6
	s_mul_i32 s26, s26, s6
	s_lshl_b64 s[26:27], s[26:27], 1
	s_waitcnt lgkmcnt(0)
	s_add_u32 s28, s14, s26
	s_addc_u32 s14, s15, s27
	s_and_b32 s29, s14, 0xffff
	s_waitcnt vmcnt(1)
	v_cvt_f32_f16_e32 v12, v18
	v_cvt_f32_f16_sdwa v13, v18 dst_sel:DWORD dst_unused:UNUSED_PAD src0_sel:WORD_1
	v_cvt_f32_f16_e32 v18, v19
	v_cvt_f32_f16_sdwa v19, v19 dst_sel:DWORD dst_unused:UNUSED_PAD src0_sel:WORD_1
	;; [unrolled: 2-line block ×4, first 2 shown]
	s_waitcnt vmcnt(0)
	v_cvt_f32_f16_e32 v40, v22
	v_cvt_f32_f16_sdwa v41, v22 dst_sel:DWORD dst_unused:UNUSED_PAD src0_sel:WORD_1
	v_cvt_f32_f16_e32 v42, v23
	v_cvt_f32_f16_sdwa v43, v23 dst_sel:DWORD dst_unused:UNUSED_PAD src0_sel:WORD_1
	;; [unrolled: 2-line block ×4, first 2 shown]
	v_pk_add_f32 v[24:25], v[26:27], v[12:13]
	v_pk_add_f32 v[22:23], v[28:29], v[18:19]
	v_pk_add_f32 v[20:21], v[14:15], v[32:33]
	v_pk_add_f32 v[18:19], v[30:31], v[38:39]
	v_pk_add_f32 v[32:33], v[16:17], v[40:41]
	v_pk_add_f32 v[30:31], v[34:35], v[42:43]
	v_pk_add_f32 v[26:27], v[10:11], v[44:45]
	v_pk_add_f32 v[28:29], v[36:37], v[46:47]
	v_cvt_f16_f32_e32 v10, v33
	v_cvt_f16_f32_e32 v14, v32
	;; [unrolled: 1-line block ×16, first 2 shown]
	v_pack_b32_f16 v13, v17, v13
	v_pack_b32_f16 v12, v16, v12
	;; [unrolled: 1-line block ×8, first 2 shown]
	buffer_store_dwordx4 v[10:13], v48, s[28:31], 0 offen
	;;#ASMSTART
	s_nop 0
	;;#ASMEND
	buffer_store_dwordx4 v[14:17], v48, s[28:31], 16 offen
	;;#ASMSTART
	s_nop 0
	;;#ASMEND
.LBB893_10:
	s_or_b64 exec, exec, s[8:9]
.LBB893_11:
	s_waitcnt vmcnt(3)
	v_mul_f32_e32 v10, v33, v33
	v_fmac_f32_e32 v10, v32, v32
	v_fmac_f32_e32 v10, v30, v30
	;; [unrolled: 1-line block ×15, first 2 shown]
	v_and_b32_e32 v12, 63, v0
	v_cmp_eq_u32_e64 s[8:9], 63, v12
	v_mov_b32_dpp v11, v10 quad_perm:[1,0,3,2] row_mask:0xf bank_mask:0xf
	v_add_f32_e32 v10, v10, v11
	s_nop 1
	v_mov_b32_dpp v11, v10 quad_perm:[2,3,0,1] row_mask:0xf bank_mask:0xf
	v_add_f32_e32 v10, v10, v11
	s_nop 1
	v_mov_b32_dpp v11, v10 row_half_mirror row_mask:0xf bank_mask:0xf
	v_add_f32_e32 v10, v10, v11
	s_nop 1
	v_mov_b32_dpp v11, v10 row_mirror row_mask:0xf bank_mask:0xf
	v_add_f32_e32 v10, v10, v11
	s_nop 1
	v_mov_b32_dpp v11, v10 row_bcast:15 row_mask:0xf bank_mask:0xf
	v_add_f32_e32 v10, v10, v11
	s_nop 1
	v_mov_b32_dpp v11, v10 row_bcast:31 row_mask:0xf bank_mask:0xf
	s_and_saveexec_b64 s[14:15], s[8:9]
	s_cbranch_execz .LBB893_13
; %bb.12:
	v_add_f32_e32 v10, v10, v11
	v_lshrrev_b32_e32 v11, 4, v0
	v_and_b32_e32 v11, 60, v11
	ds_write_b32 v11, v10 offset:32
.LBB893_13:
	s_or_b64 exec, exec, s[14:15]
	v_and_b32_e32 v10, 7, v0
	v_lshlrev_b32_e32 v34, 2, v10
	s_waitcnt lgkmcnt(0)
	s_barrier
	ds_read_b32 v10, v34 offset:32
	s_load_dwordx2 s[14:15], s[4:5], 0x18
	s_waitcnt lgkmcnt(0)
	v_mov_b32_dpp v11, v10 quad_perm:[1,0,3,2] row_mask:0xf bank_mask:0xf
	v_add_f32_e32 v10, v10, v11
	s_nop 1
	v_mov_b32_dpp v11, v10 quad_perm:[2,3,0,1] row_mask:0xf bank_mask:0xf
	v_add_f32_e32 v10, v10, v11
	s_nop 1
	v_mov_b32_dpp v11, v10 row_half_mirror row_mask:0xf bank_mask:0xf
	s_and_saveexec_b64 s[26:27], s[0:1]
	s_cbranch_execnz .LBB893_18
; %bb.14:
	s_or_b64 exec, exec, s[26:27]
	s_mov_b64 s[2:3], -1
	s_and_b64 vcc, exec, s[22:23]
	s_cbranch_vccnz .LBB893_19
.LBB893_15:
	s_andn2_b64 vcc, exec, s[2:3]
	s_cbranch_vccz .LBB893_22
.LBB893_16:
	s_cmp_lt_i32 s16, 1
	s_cbranch_scc0 .LBB893_25
.LBB893_17:
	s_endpgm
.LBB893_18:
	v_cvt_f32_u32_e32 v12, s7
	v_add_f32_e32 v10, v10, v11
	s_waitcnt vmcnt(2)
	v_mov_b32_e32 v14, s13
	v_mov_b32_e32 v15, s12
	v_div_scale_f32 v11, s[28:29], v12, v12, v10
	v_rcp_f32_e32 v13, v11
	v_cndmask_b32_e64 v14, v14, v15, s[2:3]
	s_mov_b32 s2, 0x800000
	s_waitcnt vmcnt(1)
	v_cvt_f32_f16_sdwa v37, v9 dst_sel:DWORD dst_unused:UNUSED_PAD src0_sel:WORD_1
	v_fma_f32 v15, -v11, v13, 1.0
	v_fmac_f32_e32 v13, v15, v13
	v_div_scale_f32 v15, vcc, v10, v12, v10
	v_mul_f32_e32 v16, v15, v13
	v_fma_f32 v17, -v11, v16, v15
	v_fmac_f32_e32 v16, v17, v13
	v_fma_f32 v11, -v11, v16, v15
	v_div_fmas_f32 v11, v11, v13, v16
	v_div_fixup_f32 v10, v11, v12, v10
	v_add_f32_e32 v10, v14, v10
	v_mul_f32_e32 v11, 0x4b800000, v10
	v_cmp_gt_f32_e32 vcc, s2, v10
	v_cndmask_b32_e32 v10, v10, v11, vcc
	v_rsq_f32_e32 v10, v10
	v_cvt_f32_f16_e32 v36, v9
	s_waitcnt vmcnt(0)
	v_cvt_f32_f16_sdwa v9, v3 dst_sel:DWORD dst_unused:UNUSED_PAD src0_sel:WORD_1
	v_mul_f32_e32 v11, 0x45800000, v10
	v_cndmask_b32_e32 v10, v10, v11, vcc
	v_mov_b32_e32 v11, v10
	;;#ASMSTART
	v_pk_mul_f32 v[12:13], v[32:33], v[10:11]
	;;#ASMEND
	;;#ASMSTART
	v_pk_mul_f32 v[14:15], v[30:31], v[10:11]
	;;#ASMEND
	;; [unrolled: 3-line block ×8, first 2 shown]
	v_cvt_f32_f16_sdwa v19, v6 dst_sel:DWORD dst_unused:UNUSED_PAD src0_sel:WORD_1
	v_cvt_f32_f16_e32 v18, v6
	v_cvt_f32_f16_sdwa v27, v7 dst_sel:DWORD dst_unused:UNUSED_PAD src0_sel:WORD_1
	v_cvt_f32_f16_e32 v26, v7
	;; [unrolled: 2-line block ×3, first 2 shown]
	;;#ASMSTART
	v_pk_mul_f32 v[32:33], v[12:13], v[18:19]
	;;#ASMEND
	;;#ASMSTART
	v_pk_mul_f32 v[30:31], v[14:15], v[26:27]
	;;#ASMEND
	;; [unrolled: 3-line block ×4, first 2 shown]
	v_cvt_f32_f16_sdwa v7, v2 dst_sel:DWORD dst_unused:UNUSED_PAD src0_sel:WORD_1
	v_cvt_f32_f16_e32 v6, v2
	v_cvt_f32_f16_e32 v8, v3
	v_cvt_f32_f16_sdwa v3, v4 dst_sel:DWORD dst_unused:UNUSED_PAD src0_sel:WORD_1
	v_cvt_f32_f16_e32 v2, v4
	v_cvt_f32_f16_sdwa v13, v5 dst_sel:DWORD dst_unused:UNUSED_PAD src0_sel:WORD_1
	v_cvt_f32_f16_e32 v12, v5
	;;#ASMSTART
	v_pk_mul_f32 v[24:25], v[24:25], v[6:7]
	;;#ASMEND
	;;#ASMSTART
	v_pk_mul_f32 v[22:23], v[22:23], v[8:9]
	;;#ASMEND
	;; [unrolled: 3-line block ×4, first 2 shown]
	s_or_b64 exec, exec, s[26:27]
	s_mov_b64 s[2:3], -1
	s_and_b64 vcc, exec, s[22:23]
	s_cbranch_vccz .LBB893_15
.LBB893_19:
	s_and_saveexec_b64 s[2:3], s[0:1]
	s_cbranch_execz .LBB893_21
; %bb.20:
	s_mul_hi_i32 s23, s25, s6
	s_mul_i32 s22, s25, s6
	s_waitcnt vmcnt(0)
	v_cvt_f16_f32_e32 v2, v32
	v_cvt_f16_f32_e32 v3, v30
	;; [unrolled: 1-line block ×8, first 2 shown]
	s_lshl_b64 s[22:23], s[22:23], 1
	s_add_u32 s28, s14, s22
	s_addc_u32 s7, s15, s23
	s_and_b32 s29, s7, 0xffff
	s_mov_b32 s31, 0x20000
	v_pack_b32_f16 v5, v5, v6
	v_pack_b32_f16 v4, v4, v7
	;; [unrolled: 1-line block ×4, first 2 shown]
	v_lshlrev_b32_e32 v6, 5, v0
	buffer_store_dwordx4 v[2:5], v6, s[28:31], 0 offen
	v_cvt_f16_f32_e32 v7, v19
	v_cvt_f16_f32_e32 v2, v24
	;; [unrolled: 1-line block ×8, first 2 shown]
	v_pack_b32_f16 v5, v5, v7
	v_pack_b32_f16 v4, v4, v8
	;; [unrolled: 1-line block ×4, first 2 shown]
	;;#ASMSTART
	s_nop 0
	;;#ASMEND
	buffer_store_dwordx4 v[2:5], v6, s[28:31], 16 offen
	;;#ASMSTART
	s_nop 0
	;;#ASMEND
.LBB893_21:
	s_or_b64 exec, exec, s[2:3]
	s_cbranch_execnz .LBB893_16
.LBB893_22:
	s_and_saveexec_b64 s[2:3], s[0:1]
	s_cbranch_execz .LBB893_24
; %bb.23:
	s_load_dwordx2 s[0:1], s[4:5], 0x10
	s_mul_hi_i32 s23, s24, s6
	s_mul_i32 s22, s24, s6
	s_waitcnt vmcnt(0)
	v_cvt_f16_f32_e32 v2, v32
	v_cvt_f16_f32_e32 v3, v30
	;; [unrolled: 1-line block ×8, first 2 shown]
	s_lshl_b64 s[22:23], s[22:23], 1
	s_waitcnt lgkmcnt(0)
	s_add_u32 s28, s0, s22
	s_addc_u32 s0, s1, s23
	s_mov_b32 s31, 0x20000
	s_and_b32 s29, s0, 0xffff
	v_pack_b32_f16 v5, v5, v6
	v_pack_b32_f16 v4, v4, v7
	;; [unrolled: 1-line block ×4, first 2 shown]
	v_lshlrev_b32_e32 v6, 5, v0
	buffer_store_dwordx4 v[2:5], v6, s[28:31], 0 offen
	v_cvt_f16_f32_e32 v7, v19
	v_cvt_f16_f32_e32 v2, v24
	;; [unrolled: 1-line block ×8, first 2 shown]
	v_pack_b32_f16 v5, v5, v7
	v_pack_b32_f16 v4, v4, v8
	;; [unrolled: 1-line block ×4, first 2 shown]
	;;#ASMSTART
	s_nop 0
	;;#ASMEND
	buffer_store_dwordx4 v[2:5], v6, s[28:31], 16 offen
	;;#ASMSTART
	s_nop 0
	;;#ASMEND
.LBB893_24:
	s_or_b64 exec, exec, s[2:3]
	s_cmp_lt_i32 s16, 1
	s_cbranch_scc1 .LBB893_17
.LBB893_25:
	s_load_dword s0, s[4:5], 0x94
	s_waitcnt lgkmcnt(0)
	s_cmp_lg_u32 s0, 1
	s_cbranch_scc1 .LBB893_17
; %bb.26:
	s_lshl_b32 s0, s16, 1
	s_add_i32 s0, s0, 2
	v_cmp_gt_u32_e32 vcc, s16, v1
	s_and_b32 s22, s0, -4
	v_mov_b32_e32 v18, 0
	v_lshlrev_b32_e32 v1, 5, v0
	s_waitcnt vmcnt(2)
	v_mov_b32_e32 v14, 0
	v_mov_b32_e32 v15, 0
	;; [unrolled: 1-line block ×8, first 2 shown]
	s_waitcnt vmcnt(1)
	v_mov_b32_e32 v6, 0
	v_mov_b32_e32 v7, 0
	;; [unrolled: 1-line block ×4, first 2 shown]
	s_waitcnt vmcnt(0)
	v_mov_b32_e32 v2, 0
	v_mov_b32_e32 v3, 0
	;; [unrolled: 1-line block ×4, first 2 shown]
	s_barrier
	s_and_saveexec_b64 s[0:1], vcc
	s_cbranch_execz .LBB893_28
; %bb.27:
	s_mul_hi_i32 s3, s18, s6
	s_mul_i32 s2, s18, s6
	s_and_b32 s21, s21, 0xffff
	s_lshl_b64 s[2:3], s[2:3], 1
	s_add_u32 s28, s10, s2
	s_mov_b32 s23, 0x20000
	s_addc_u32 s2, s11, s3
	s_and_b32 s29, s2, 0xffff
	s_mov_b32 s30, s22
	s_mov_b32 s31, s23
	buffer_load_dwordx4 v[14:17], v1, s[28:31], 0 offen
	buffer_load_dwordx4 v[10:13], v1, s[28:31], 16 offen
	;; [unrolled: 1-line block ×4, first 2 shown]
.LBB893_28:
	s_or_b64 exec, exec, s[0:1]
	v_mov_b32_e32 v19, 0
	v_mov_b32_e32 v32, 0
	v_mov_b32_e32 v33, 0
	v_mov_b32_e32 v30, 0
	v_mov_b32_e32 v31, 0
	v_mov_b32_e32 v28, 0
	v_mov_b32_e32 v29, 0
	v_mov_b32_e32 v26, 0
	v_mov_b32_e32 v27, 0
	v_mov_b32_e32 v24, 0
	v_mov_b32_e32 v25, 0
	v_mov_b32_e32 v22, 0
	v_mov_b32_e32 v23, 0
	v_mov_b32_e32 v20, 0
	v_mov_b32_e32 v21, 0
	s_and_saveexec_b64 s[0:1], vcc
	s_cbranch_execz .LBB893_30
; %bb.29:
	s_waitcnt vmcnt(3)
	v_cvt_f32_f16_sdwa v19, v14 dst_sel:DWORD dst_unused:UNUSED_PAD src0_sel:WORD_1
	v_cvt_f32_f16_e32 v18, v14
	v_cvt_f32_f16_sdwa v33, v15 dst_sel:DWORD dst_unused:UNUSED_PAD src0_sel:WORD_1
	v_cvt_f32_f16_e32 v32, v15
	;; [unrolled: 2-line block ×4, first 2 shown]
	s_waitcnt vmcnt(2)
	v_cvt_f32_f16_sdwa v27, v10 dst_sel:DWORD dst_unused:UNUSED_PAD src0_sel:WORD_1
	v_cvt_f32_f16_e32 v26, v10
	v_cvt_f32_f16_sdwa v25, v11 dst_sel:DWORD dst_unused:UNUSED_PAD src0_sel:WORD_1
	v_cvt_f32_f16_e32 v24, v11
	;; [unrolled: 2-line block ×4, first 2 shown]
.LBB893_30:
	s_or_b64 exec, exec, s[0:1]
	s_waitcnt vmcnt(2)
	v_mul_f32_e32 v10, v19, v19
	v_fmac_f32_e32 v10, v18, v18
	v_fmac_f32_e32 v10, v32, v32
	v_fmac_f32_e32 v10, v33, v33
	v_fmac_f32_e32 v10, v30, v30
	v_fmac_f32_e32 v10, v31, v31
	v_fmac_f32_e32 v10, v28, v28
	v_fmac_f32_e32 v10, v29, v29
	v_fmac_f32_e32 v10, v26, v26
	v_fmac_f32_e32 v10, v27, v27
	v_fmac_f32_e32 v10, v24, v24
	v_fmac_f32_e32 v10, v25, v25
	v_fmac_f32_e32 v10, v22, v22
	v_fmac_f32_e32 v10, v23, v23
	v_fmac_f32_e32 v10, v20, v20
	v_fmac_f32_e32 v10, v21, v21
	s_nop 1
	v_mov_b32_dpp v11, v10 quad_perm:[1,0,3,2] row_mask:0xf bank_mask:0xf
	v_add_f32_e32 v10, v10, v11
	s_nop 1
	v_mov_b32_dpp v11, v10 quad_perm:[2,3,0,1] row_mask:0xf bank_mask:0xf
	v_add_f32_e32 v10, v10, v11
	s_nop 1
	v_mov_b32_dpp v11, v10 row_half_mirror row_mask:0xf bank_mask:0xf
	v_add_f32_e32 v10, v10, v11
	s_nop 1
	v_mov_b32_dpp v11, v10 row_mirror row_mask:0xf bank_mask:0xf
	v_add_f32_e32 v10, v10, v11
	s_nop 1
	v_mov_b32_dpp v11, v10 row_bcast:15 row_mask:0xf bank_mask:0xf
	v_add_f32_e32 v10, v10, v11
	s_nop 1
	v_mov_b32_dpp v11, v10 row_bcast:31 row_mask:0xf bank_mask:0xf
	s_and_saveexec_b64 s[0:1], s[8:9]
	s_cbranch_execz .LBB893_32
; %bb.31:
	v_lshrrev_b32_e32 v0, 4, v0
	v_add_f32_e32 v10, v10, v11
	v_and_b32_e32 v0, 60, v0
	ds_write_b32 v0, v10
.LBB893_32:
	s_or_b64 exec, exec, s[0:1]
	s_waitcnt lgkmcnt(0)
	s_barrier
	ds_read_b32 v0, v34
	s_waitcnt lgkmcnt(0)
	s_nop 0
	v_mov_b32_dpp v10, v0 quad_perm:[1,0,3,2] row_mask:0xf bank_mask:0xf
	v_add_f32_e32 v0, v0, v10
	s_nop 1
	v_mov_b32_dpp v10, v0 quad_perm:[2,3,0,1] row_mask:0xf bank_mask:0xf
	v_add_f32_e32 v0, v0, v10
	s_nop 1
	v_mov_b32_dpp v10, v0 row_half_mirror row_mask:0xf bank_mask:0xf
	s_and_saveexec_b64 s[0:1], vcc
	s_cbranch_execz .LBB893_17
; %bb.33:
	v_cvt_f32_u32_e32 v11, s16
	v_add_f32_e32 v0, v0, v10
	s_mov_b32 s23, 0x20000
	v_div_scale_f32 v10, s[0:1], v11, v11, v0
	v_rcp_f32_e32 v12, v10
	v_div_scale_f32 v13, vcc, v0, v11, v0
	s_mov_b32 s0, 0x800000
	v_fma_f32 v14, -v10, v12, 1.0
	v_fmac_f32_e32 v12, v14, v12
	v_mul_f32_e32 v14, v13, v12
	v_fma_f32 v15, -v10, v14, v13
	v_fmac_f32_e32 v14, v15, v12
	v_fma_f32 v10, -v10, v14, v13
	v_div_fmas_f32 v10, v10, v12, v14
	v_div_fixup_f32 v0, v10, v11, v0
	v_add_f32_e32 v0, s13, v0
	v_mul_f32_e32 v10, 0x4b800000, v0
	v_cmp_gt_f32_e32 vcc, s0, v0
	v_cndmask_b32_e32 v0, v0, v10, vcc
	v_rsq_f32_e32 v0, v0
	s_mul_hi_i32 s1, s25, s6
	s_mul_i32 s0, s25, s6
	s_lshl_b64 s[0:1], s[0:1], 1
	v_mul_f32_e32 v10, 0x45800000, v0
	v_cndmask_b32_e32 v10, v0, v10, vcc
	v_mov_b32_e32 v11, v10
	;;#ASMSTART
	v_pk_mul_f32 v[12:13], v[18:19], v[10:11]
	;;#ASMEND
	;;#ASMSTART
	v_pk_mul_f32 v[14:15], v[32:33], v[10:11]
	;;#ASMEND
	;; [unrolled: 3-line block ×8, first 2 shown]
	s_waitcnt vmcnt(1)
	v_cvt_f32_f16_sdwa v21, v6 dst_sel:DWORD dst_unused:UNUSED_PAD src0_sel:WORD_1
	v_cvt_f32_f16_e32 v20, v6
	v_cvt_f32_f16_sdwa v29, v7 dst_sel:DWORD dst_unused:UNUSED_PAD src0_sel:WORD_1
	v_cvt_f32_f16_e32 v28, v7
	;; [unrolled: 2-line block ×4, first 2 shown]
	;;#ASMSTART
	v_pk_mul_f32 v[8:9], v[12:13], v[20:21]
	;;#ASMEND
	;;#ASMSTART
	v_pk_mul_f32 v[12:13], v[14:15], v[28:29]
	;;#ASMEND
	;; [unrolled: 3-line block ×4, first 2 shown]
	s_waitcnt vmcnt(0)
	v_cvt_f32_f16_sdwa v17, v2 dst_sel:DWORD dst_unused:UNUSED_PAD src0_sel:WORD_1
	v_cvt_f32_f16_e32 v16, v2
	v_cvt_f32_f16_sdwa v19, v3 dst_sel:DWORD dst_unused:UNUSED_PAD src0_sel:WORD_1
	v_cvt_f32_f16_e32 v18, v3
	v_cvt_f32_f16_sdwa v3, v4 dst_sel:DWORD dst_unused:UNUSED_PAD src0_sel:WORD_1
	v_cvt_f32_f16_e32 v2, v4
	v_cvt_f32_f16_sdwa v21, v5 dst_sel:DWORD dst_unused:UNUSED_PAD src0_sel:WORD_1
	v_cvt_f32_f16_e32 v20, v5
	;;#ASMSTART
	v_pk_mul_f32 v[16:17], v[26:27], v[16:17]
	;;#ASMEND
	;;#ASMSTART
	v_pk_mul_f32 v[18:19], v[24:25], v[18:19]
	;;#ASMEND
	;; [unrolled: 3-line block ×3, first 2 shown]
	v_cvt_f16_f32_e32 v0, v8
	v_cvt_f16_f32_e32 v2, v9
	;; [unrolled: 1-line block ×8, first 2 shown]
	s_add_u32 s20, s14, s0
	s_addc_u32 s0, s15, s1
	s_and_b32 s21, s0, 0xffff
	v_pack_b32_f16 v2, v0, v2
	v_pack_b32_f16 v3, v3, v4
	;; [unrolled: 1-line block ×4, first 2 shown]
	;;#ASMSTART
	v_pk_mul_f32 v[10:11], v[10:11], v[20:21]
	;;#ASMEND
	buffer_store_dwordx4 v[2:5], v1, s[20:23], 0 offen
	v_cvt_f16_f32_e32 v0, v16
	v_cvt_f16_f32_e32 v2, v17
	;; [unrolled: 1-line block ×8, first 2 shown]
	v_pack_b32_f16 v2, v0, v2
	v_pack_b32_f16 v3, v3, v4
	;; [unrolled: 1-line block ×4, first 2 shown]
	;;#ASMSTART
	s_nop 0
	;;#ASMEND
	buffer_store_dwordx4 v[2:5], v1, s[20:23], 16 offen
	;;#ASMSTART
	s_nop 0
	;;#ASMEND
	s_endpgm
	.section	.rodata,"a",@progbits
	.p2align	6, 0x0
	.amdhsa_kernel _ZN5aiter35fused_qk_rmsnorm_group_quant_kernelIDF16_DB8_Li512ELi16ELi8ELb1ELb1ELb0ELb1ELb0ELb0EEEvPT0_PvPT_S6_S6_PKS5_S8_S8_S8_S8_ffiiiiiiiiiiiii
		.amdhsa_group_segment_fixed_size 64
		.amdhsa_private_segment_fixed_size 0
		.amdhsa_kernarg_size 400
		.amdhsa_user_sgpr_count 6
		.amdhsa_user_sgpr_private_segment_buffer 1
		.amdhsa_user_sgpr_dispatch_ptr 0
		.amdhsa_user_sgpr_queue_ptr 0
		.amdhsa_user_sgpr_kernarg_segment_ptr 1
		.amdhsa_user_sgpr_dispatch_id 0
		.amdhsa_user_sgpr_flat_scratch_init 0
		.amdhsa_user_sgpr_kernarg_preload_length 0
		.amdhsa_user_sgpr_kernarg_preload_offset 0
		.amdhsa_user_sgpr_private_segment_size 0
		.amdhsa_uses_dynamic_stack 0
		.amdhsa_system_sgpr_private_segment_wavefront_offset 0
		.amdhsa_system_sgpr_workgroup_id_x 1
		.amdhsa_system_sgpr_workgroup_id_y 1
		.amdhsa_system_sgpr_workgroup_id_z 0
		.amdhsa_system_sgpr_workgroup_info 0
		.amdhsa_system_vgpr_workitem_id 0
		.amdhsa_next_free_vgpr 49
		.amdhsa_next_free_sgpr 32
		.amdhsa_accum_offset 52
		.amdhsa_reserve_vcc 1
		.amdhsa_reserve_flat_scratch 0
		.amdhsa_float_round_mode_32 0
		.amdhsa_float_round_mode_16_64 0
		.amdhsa_float_denorm_mode_32 3
		.amdhsa_float_denorm_mode_16_64 3
		.amdhsa_dx10_clamp 1
		.amdhsa_ieee_mode 1
		.amdhsa_fp16_overflow 0
		.amdhsa_tg_split 0
		.amdhsa_exception_fp_ieee_invalid_op 0
		.amdhsa_exception_fp_denorm_src 0
		.amdhsa_exception_fp_ieee_div_zero 0
		.amdhsa_exception_fp_ieee_overflow 0
		.amdhsa_exception_fp_ieee_underflow 0
		.amdhsa_exception_fp_ieee_inexact 0
		.amdhsa_exception_int_div_zero 0
	.end_amdhsa_kernel
	.section	.text._ZN5aiter35fused_qk_rmsnorm_group_quant_kernelIDF16_DB8_Li512ELi16ELi8ELb1ELb1ELb0ELb1ELb0ELb0EEEvPT0_PvPT_S6_S6_PKS5_S8_S8_S8_S8_ffiiiiiiiiiiiii,"axG",@progbits,_ZN5aiter35fused_qk_rmsnorm_group_quant_kernelIDF16_DB8_Li512ELi16ELi8ELb1ELb1ELb0ELb1ELb0ELb0EEEvPT0_PvPT_S6_S6_PKS5_S8_S8_S8_S8_ffiiiiiiiiiiiii,comdat
.Lfunc_end893:
	.size	_ZN5aiter35fused_qk_rmsnorm_group_quant_kernelIDF16_DB8_Li512ELi16ELi8ELb1ELb1ELb0ELb1ELb0ELb0EEEvPT0_PvPT_S6_S6_PKS5_S8_S8_S8_S8_ffiiiiiiiiiiiii, .Lfunc_end893-_ZN5aiter35fused_qk_rmsnorm_group_quant_kernelIDF16_DB8_Li512ELi16ELi8ELb1ELb1ELb0ELb1ELb0ELb0EEEvPT0_PvPT_S6_S6_PKS5_S8_S8_S8_S8_ffiiiiiiiiiiiii
                                        ; -- End function
	.section	.AMDGPU.csdata,"",@progbits
; Kernel info:
; codeLenInByte = 3512
; NumSgprs: 36
; NumVgprs: 49
; NumAgprs: 0
; TotalNumVgprs: 49
; ScratchSize: 0
; MemoryBound: 0
; FloatMode: 240
; IeeeMode: 1
; LDSByteSize: 64 bytes/workgroup (compile time only)
; SGPRBlocks: 4
; VGPRBlocks: 6
; NumSGPRsForWavesPerEU: 36
; NumVGPRsForWavesPerEU: 49
; AccumOffset: 52
; Occupancy: 8
; WaveLimiterHint : 0
; COMPUTE_PGM_RSRC2:SCRATCH_EN: 0
; COMPUTE_PGM_RSRC2:USER_SGPR: 6
; COMPUTE_PGM_RSRC2:TRAP_HANDLER: 0
; COMPUTE_PGM_RSRC2:TGID_X_EN: 1
; COMPUTE_PGM_RSRC2:TGID_Y_EN: 1
; COMPUTE_PGM_RSRC2:TGID_Z_EN: 0
; COMPUTE_PGM_RSRC2:TIDIG_COMP_CNT: 0
; COMPUTE_PGM_RSRC3_GFX90A:ACCUM_OFFSET: 12
; COMPUTE_PGM_RSRC3_GFX90A:TG_SPLIT: 0
	.section	.text._ZN5aiter35fused_qk_rmsnorm_group_quant_kernelItDB8_Li512ELi16ELi8ELb1ELb1ELb0ELb1ELb0ELb0EEEvPT0_PvPT_S6_S6_PKS5_S8_S8_S8_S8_ffiiiiiiiiiiiii,"axG",@progbits,_ZN5aiter35fused_qk_rmsnorm_group_quant_kernelItDB8_Li512ELi16ELi8ELb1ELb1ELb0ELb1ELb0ELb0EEEvPT0_PvPT_S6_S6_PKS5_S8_S8_S8_S8_ffiiiiiiiiiiiii,comdat
	.protected	_ZN5aiter35fused_qk_rmsnorm_group_quant_kernelItDB8_Li512ELi16ELi8ELb1ELb1ELb0ELb1ELb0ELb0EEEvPT0_PvPT_S6_S6_PKS5_S8_S8_S8_S8_ffiiiiiiiiiiiii ; -- Begin function _ZN5aiter35fused_qk_rmsnorm_group_quant_kernelItDB8_Li512ELi16ELi8ELb1ELb1ELb0ELb1ELb0ELb0EEEvPT0_PvPT_S6_S6_PKS5_S8_S8_S8_S8_ffiiiiiiiiiiiii
	.globl	_ZN5aiter35fused_qk_rmsnorm_group_quant_kernelItDB8_Li512ELi16ELi8ELb1ELb1ELb0ELb1ELb0ELb0EEEvPT0_PvPT_S6_S6_PKS5_S8_S8_S8_S8_ffiiiiiiiiiiiii
	.p2align	8
	.type	_ZN5aiter35fused_qk_rmsnorm_group_quant_kernelItDB8_Li512ELi16ELi8ELb1ELb1ELb0ELb1ELb0ELb0EEEvPT0_PvPT_S6_S6_PKS5_S8_S8_S8_S8_ffiiiiiiiiiiiii,@function
_ZN5aiter35fused_qk_rmsnorm_group_quant_kernelItDB8_Li512ELi16ELi8ELb1ELb1ELb0ELb1ELb0ELb0EEEvPT0_PvPT_S6_S6_PKS5_S8_S8_S8_S8_ffiiiiiiiiiiiii: ; @_ZN5aiter35fused_qk_rmsnorm_group_quant_kernelItDB8_Li512ELi16ELi8ELb1ELb1ELb0ELb1ELb0ELb0EEEvPT0_PvPT_S6_S6_PKS5_S8_S8_S8_S8_ffiiiiiiiiiiiii
; %bb.0:
	s_load_dwordx8 s[12:19], s[4:5], 0x50
	s_waitcnt lgkmcnt(0)
	s_cmp_ge_i32 s6, s14
	s_cbranch_scc1 .LBB894_17
; %bb.1:
	s_cmp_lg_u32 s7, 0
	s_cselect_b64 s[22:23], -1, 0
	s_cmp_eq_u32 s7, 0
	s_cselect_b64 s[2:3], -1, 0
	s_and_b64 s[0:1], s[2:3], exec
	s_cselect_b32 s7, s15, s16
	s_load_dwordx2 s[10:11], s[4:5], 0x30
	s_load_dwordx2 s[20:21], s[4:5], 0x48
	s_add_i32 s0, s7, 1
	s_lshr_b32 s1, s0, 31
	s_add_i32 s0, s0, s1
	s_lshl_b32 s0, s0, 1
	v_lshlrev_b32_e32 v1, 4, v0
	s_and_b32 s30, s0, -4
	v_cmp_gt_i32_e64 s[0:1], s7, v1
	v_mov_b32_e32 v76, 0
	v_mov_b32_e32 v77, 0
	;; [unrolled: 1-line block ×16, first 2 shown]
	s_and_saveexec_b64 s[8:9], s[0:1]
	s_cbranch_execz .LBB894_3
; %bb.2:
	s_load_dwordx2 s[14:15], s[4:5], 0x28
	s_load_dwordx2 s[26:27], s[4:5], 0x40
	s_and_b64 s[24:25], s[2:3], exec
	s_cselect_b32 s17, s17, s18
	s_mov_b32 s31, 0x20000
	s_waitcnt lgkmcnt(0)
	s_cselect_b32 s25, s15, s11
	s_cselect_b32 s24, s14, s10
	s_mul_hi_i32 s15, s17, s6
	s_mul_i32 s14, s17, s6
	s_lshl_b64 s[14:15], s[14:15], 1
	s_add_u32 s24, s24, s14
	s_addc_u32 s17, s25, s15
	s_and_b64 s[14:15], s[2:3], exec
	s_cselect_b32 s28, s26, s20
	s_cselect_b32 s14, s27, s21
	s_and_b32 s25, s17, 0xffff
	s_mov_b32 s26, s30
	s_mov_b32 s27, s31
	v_lshlrev_b32_e32 v2, 5, v0
	s_and_b32 s29, s14, 0xffff
	buffer_load_dwordx4 v[80:83], v2, s[24:27], 0 offen
	buffer_load_dwordx4 v[84:87], v2, s[24:27], 16 offen
	;; [unrolled: 1-line block ×4, first 2 shown]
.LBB894_3:
	s_or_b64 exec, exec, s[8:9]
	s_load_dwordx4 s[24:27], s[4:5], 0x7c
	s_and_b64 vcc, exec, s[22:23]
	s_cbranch_vccz .LBB894_7
; %bb.4:
	v_mov_b32_e32 v89, 0
	v_mov_b32_e32 v88, 0
	;; [unrolled: 1-line block ×16, first 2 shown]
	s_and_saveexec_b64 s[8:9], s[0:1]
	s_cbranch_execz .LBB894_6
; %bb.5:
	s_waitcnt vmcnt(3)
	v_cvt_f32_u32_sdwa v18, v80 dst_sel:DWORD dst_unused:UNUSED_PAD src0_sel:WORD_0
	v_cvt_f32_u32_sdwa v19, v80 dst_sel:DWORD dst_unused:UNUSED_PAD src0_sel:WORD_1
	v_cvt_f32_u32_sdwa v4, v81 dst_sel:DWORD dst_unused:UNUSED_PAD src0_sel:WORD_0
	v_cvt_f32_u32_sdwa v5, v81 dst_sel:DWORD dst_unused:UNUSED_PAD src0_sel:WORD_1
	;; [unrolled: 2-line block ×4, first 2 shown]
	s_waitcnt vmcnt(2)
	v_cvt_f32_u32_sdwa v64, v84 dst_sel:DWORD dst_unused:UNUSED_PAD src0_sel:WORD_0
	v_cvt_f32_u32_sdwa v65, v84 dst_sel:DWORD dst_unused:UNUSED_PAD src0_sel:WORD_1
	v_cvt_f32_u32_sdwa v48, v85 dst_sel:DWORD dst_unused:UNUSED_PAD src0_sel:WORD_0
	v_cvt_f32_u32_sdwa v49, v85 dst_sel:DWORD dst_unused:UNUSED_PAD src0_sel:WORD_1
	v_cvt_f32_u32_sdwa v32, v86 dst_sel:DWORD dst_unused:UNUSED_PAD src0_sel:WORD_0
	v_cvt_f32_u32_sdwa v33, v86 dst_sel:DWORD dst_unused:UNUSED_PAD src0_sel:WORD_1
	v_cvt_f32_u32_sdwa v88, v87 dst_sel:DWORD dst_unused:UNUSED_PAD src0_sel:WORD_0
	v_cvt_f32_u32_sdwa v89, v87 dst_sel:DWORD dst_unused:UNUSED_PAD src0_sel:WORD_1
.LBB894_6:
	s_or_b64 exec, exec, s[8:9]
	s_cbranch_execz .LBB894_8
	s_branch .LBB894_11
.LBB894_7:
                                        ; implicit-def: $vgpr18_vgpr19_vgpr20_vgpr21_vgpr22_vgpr23_vgpr24_vgpr25_vgpr26_vgpr27_vgpr28_vgpr29_vgpr30_vgpr31_vgpr32_vgpr33
                                        ; implicit-def: $vgpr50_vgpr51_vgpr52_vgpr53_vgpr54_vgpr55_vgpr56_vgpr57_vgpr58_vgpr59_vgpr60_vgpr61_vgpr62_vgpr63_vgpr64_vgpr65
                                        ; implicit-def: $vgpr30_vgpr31_vgpr32_vgpr33_vgpr34_vgpr35_vgpr36_vgpr37_vgpr38_vgpr39_vgpr40_vgpr41_vgpr42_vgpr43_vgpr44_vgpr45
                                        ; implicit-def: $vgpr89
                                        ; implicit-def: $vgpr2_vgpr3_vgpr4_vgpr5_vgpr6_vgpr7_vgpr8_vgpr9_vgpr10_vgpr11_vgpr12_vgpr13_vgpr14_vgpr15_vgpr16_vgpr17
                                        ; implicit-def: $vgpr56_vgpr57_vgpr58_vgpr59_vgpr60_vgpr61_vgpr62_vgpr63_vgpr64_vgpr65_vgpr66_vgpr67_vgpr68_vgpr69_vgpr70_vgpr71
                                        ; implicit-def: $vgpr38_vgpr39_vgpr40_vgpr41_vgpr42_vgpr43_vgpr44_vgpr45_vgpr46_vgpr47_vgpr48_vgpr49_vgpr50_vgpr51_vgpr52_vgpr53
                                        ; implicit-def: $vgpr20_vgpr21_vgpr22_vgpr23_vgpr24_vgpr25_vgpr26_vgpr27_vgpr28_vgpr29_vgpr30_vgpr31_vgpr32_vgpr33_vgpr34_vgpr35
.LBB894_8:
	v_mov_b32_e32 v89, 0
	v_mov_b32_e32 v88, 0
	;; [unrolled: 1-line block ×16, first 2 shown]
	s_and_saveexec_b64 s[8:9], s[0:1]
	s_cbranch_execz .LBB894_10
; %bb.9:
	s_load_dwordx2 s[14:15], s[4:5], 0x38
	s_mul_hi_i32 s29, s19, s6
	s_mul_i32 s28, s19, s6
	s_lshl_b64 s[28:29], s[28:29], 1
	s_mov_b32 s31, 0x20000
	s_waitcnt lgkmcnt(0)
	s_add_u32 s28, s14, s28
	s_addc_u32 s14, s15, s29
	s_and_b32 s29, s14, 0xffff
	v_lshlrev_b32_e32 v38, 5, v0
	buffer_load_dwordx4 v[4:7], v38, s[28:31], 16 offen
	buffer_load_dwordx4 v[8:11], v38, s[28:31], 0 offen
	s_load_dwordx2 s[14:15], s[4:5], 0x20
	s_waitcnt vmcnt(5)
	v_cvt_f32_u32_sdwa v19, v80 dst_sel:DWORD dst_unused:UNUSED_PAD src0_sel:WORD_1
	v_cvt_f32_u32_sdwa v18, v80 dst_sel:DWORD dst_unused:UNUSED_PAD src0_sel:WORD_0
	v_cvt_f32_u32_sdwa v21, v81 dst_sel:DWORD dst_unused:UNUSED_PAD src0_sel:WORD_1
	v_cvt_f32_u32_sdwa v20, v81 dst_sel:DWORD dst_unused:UNUSED_PAD src0_sel:WORD_0
	;; [unrolled: 2-line block ×4, first 2 shown]
	s_waitcnt vmcnt(4)
	v_cvt_f32_u32_sdwa v3, v84 dst_sel:DWORD dst_unused:UNUSED_PAD src0_sel:WORD_1
	v_cvt_f32_u32_sdwa v2, v84 dst_sel:DWORD dst_unused:UNUSED_PAD src0_sel:WORD_0
	v_cvt_f32_u32_sdwa v13, v85 dst_sel:DWORD dst_unused:UNUSED_PAD src0_sel:WORD_1
	v_cvt_f32_u32_sdwa v12, v85 dst_sel:DWORD dst_unused:UNUSED_PAD src0_sel:WORD_0
	;; [unrolled: 2-line block ×3, first 2 shown]
	v_cvt_f32_u32_sdwa v16, v87 dst_sel:DWORD dst_unused:UNUSED_PAD src0_sel:WORD_0
	v_cvt_f32_u32_sdwa v17, v87 dst_sel:DWORD dst_unused:UNUSED_PAD src0_sel:WORD_1
	s_mul_hi_i32 s27, s26, s6
	s_mul_i32 s26, s26, s6
	s_lshl_b64 s[26:27], s[26:27], 1
	s_waitcnt lgkmcnt(0)
	s_add_u32 s28, s14, s26
	s_mov_b32 s17, 0x7060302
	s_addc_u32 s14, s15, s27
	s_and_b32 s29, s14, 0xffff
	s_waitcnt vmcnt(1)
	v_cvt_f32_u32_sdwa v27, v4 dst_sel:DWORD dst_unused:UNUSED_PAD src0_sel:WORD_1
	v_cvt_f32_u32_sdwa v26, v4 dst_sel:DWORD dst_unused:UNUSED_PAD src0_sel:WORD_0
	v_cvt_f32_u32_sdwa v29, v5 dst_sel:DWORD dst_unused:UNUSED_PAD src0_sel:WORD_1
	v_cvt_f32_u32_sdwa v28, v5 dst_sel:DWORD dst_unused:UNUSED_PAD src0_sel:WORD_0
	v_cvt_f32_u32_sdwa v31, v6 dst_sel:DWORD dst_unused:UNUSED_PAD src0_sel:WORD_1
	v_cvt_f32_u32_sdwa v30, v6 dst_sel:DWORD dst_unused:UNUSED_PAD src0_sel:WORD_0
	v_cvt_f32_u32_sdwa v32, v7 dst_sel:DWORD dst_unused:UNUSED_PAD src0_sel:WORD_0
	v_cvt_f32_u32_sdwa v33, v7 dst_sel:DWORD dst_unused:UNUSED_PAD src0_sel:WORD_1
	s_waitcnt vmcnt(0)
	v_cvt_f32_u32_sdwa v35, v8 dst_sel:DWORD dst_unused:UNUSED_PAD src0_sel:WORD_1
	v_cvt_f32_u32_sdwa v34, v8 dst_sel:DWORD dst_unused:UNUSED_PAD src0_sel:WORD_0
	v_cvt_f32_u32_sdwa v5, v10 dst_sel:DWORD dst_unused:UNUSED_PAD src0_sel:WORD_1
	v_cvt_f32_u32_sdwa v4, v10 dst_sel:DWORD dst_unused:UNUSED_PAD src0_sel:WORD_0
	;; [unrolled: 2-line block ×4, first 2 shown]
	v_pk_add_f32 v[54:55], v[22:23], v[4:5]
	v_pk_add_f32 v[36:37], v[24:25], v[6:7]
	;; [unrolled: 1-line block ×4, first 2 shown]
	v_perm_b32 v9, v37, v36, s17
	v_perm_b32 v8, v55, v54, s17
	;; [unrolled: 1-line block ×4, first 2 shown]
	v_pk_add_f32 v[88:89], v[16:17], v[32:33]
	v_pk_add_f32 v[32:33], v[14:15], v[30:31]
	;; [unrolled: 1-line block ×4, first 2 shown]
	buffer_store_dwordx4 v[6:9], v38, s[28:31], 0 offen
	;;#ASMSTART
	s_nop 0
	;;#ASMEND
	s_nop 0
	v_perm_b32 v9, v89, v88, s17
	v_perm_b32 v8, v33, v32, s17
	;; [unrolled: 1-line block ×4, first 2 shown]
	buffer_store_dwordx4 v[6:9], v38, s[28:31], 16 offen
	;;#ASMSTART
	s_nop 0
	;;#ASMEND
.LBB894_10:
	s_or_b64 exec, exec, s[8:9]
.LBB894_11:
	v_mul_f32_e32 v2, v19, v19
	v_fmac_f32_e32 v2, v18, v18
	v_fmac_f32_e32 v2, v4, v4
	;; [unrolled: 1-line block ×15, first 2 shown]
	s_nop 1
	v_mov_b32_dpp v3, v2 quad_perm:[1,0,3,2] row_mask:0xf bank_mask:0xf
	v_add_f32_e32 v2, v2, v3
	s_nop 1
	v_mov_b32_dpp v3, v2 quad_perm:[2,3,0,1] row_mask:0xf bank_mask:0xf
	v_add_f32_e32 v2, v2, v3
	s_nop 1
	v_mov_b32_dpp v3, v2 row_half_mirror row_mask:0xf bank_mask:0xf
	v_add_f32_e32 v2, v2, v3
	s_nop 1
	v_mov_b32_dpp v3, v2 row_mirror row_mask:0xf bank_mask:0xf
	v_add_f32_e32 v2, v2, v3
	s_nop 1
	v_mov_b32_dpp v3, v2 row_bcast:15 row_mask:0xf bank_mask:0xf
	v_add_f32_e32 v2, v2, v3
	v_and_b32_e32 v3, 63, v0
	v_cmp_eq_u32_e64 s[8:9], 63, v3
	s_nop 0
	v_mov_b32_dpp v3, v2 row_bcast:31 row_mask:0xf bank_mask:0xf
	s_and_saveexec_b64 s[14:15], s[8:9]
	s_cbranch_execz .LBB894_13
; %bb.12:
	v_add_f32_e32 v2, v2, v3
	v_lshrrev_b32_e32 v3, 4, v0
	v_and_b32_e32 v3, 60, v3
	ds_write_b32 v3, v2 offset:32
.LBB894_13:
	s_or_b64 exec, exec, s[14:15]
	v_and_b32_e32 v2, 7, v0
	v_lshlrev_b32_e32 v34, 2, v2
	s_waitcnt lgkmcnt(0)
	s_barrier
	ds_read_b32 v2, v34 offset:32
	s_load_dwordx2 s[14:15], s[4:5], 0x18
	s_waitcnt lgkmcnt(0)
	v_mov_b32_dpp v3, v2 quad_perm:[1,0,3,2] row_mask:0xf bank_mask:0xf
	v_add_f32_e32 v2, v2, v3
	s_nop 1
	v_mov_b32_dpp v3, v2 quad_perm:[2,3,0,1] row_mask:0xf bank_mask:0xf
	v_add_f32_e32 v2, v2, v3
	s_nop 1
	v_mov_b32_dpp v3, v2 row_half_mirror row_mask:0xf bank_mask:0xf
	s_and_saveexec_b64 s[26:27], s[0:1]
	s_cbranch_execnz .LBB894_18
; %bb.14:
	s_or_b64 exec, exec, s[26:27]
	s_mov_b64 s[2:3], -1
	s_and_b64 vcc, exec, s[22:23]
	s_cbranch_vccnz .LBB894_19
.LBB894_15:
	s_andn2_b64 vcc, exec, s[2:3]
	s_cbranch_vccz .LBB894_22
.LBB894_16:
	s_cmp_lt_i32 s16, 1
	s_cbranch_scc0 .LBB894_25
.LBB894_17:
	s_endpgm
.LBB894_18:
	v_add_f32_e32 v2, v2, v3
	v_cvt_f32_u32_e32 v3, s7
	s_waitcnt vmcnt(1)
	v_cvt_f32_u32_sdwa v17, v76 dst_sel:DWORD dst_unused:UNUSED_PAD src0_sel:WORD_1
	v_cvt_f32_u32_sdwa v16, v76 dst_sel:DWORD dst_unused:UNUSED_PAD src0_sel:WORD_0
	v_cvt_f32_u32_sdwa v21, v77 dst_sel:DWORD dst_unused:UNUSED_PAD src0_sel:WORD_1
	v_div_scale_f32 v6, s[28:29], v3, v3, v2
	v_rcp_f32_e32 v7, v6
	v_cvt_f32_u32_sdwa v20, v77 dst_sel:DWORD dst_unused:UNUSED_PAD src0_sel:WORD_0
	s_waitcnt vmcnt(0)
	v_cvt_f32_u32_sdwa v25, v73 dst_sel:DWORD dst_unused:UNUSED_PAD src0_sel:WORD_1
	v_cvt_f32_u32_sdwa v24, v73 dst_sel:DWORD dst_unused:UNUSED_PAD src0_sel:WORD_0
	v_fma_f32 v8, -v6, v7, 1.0
	v_fmac_f32_e32 v7, v8, v7
	v_div_scale_f32 v8, vcc, v2, v3, v2
	v_mul_f32_e32 v9, v8, v7
	v_fma_f32 v10, -v6, v9, v8
	v_fmac_f32_e32 v9, v10, v7
	v_fma_f32 v6, -v6, v9, v8
	v_div_fmas_f32 v6, v6, v7, v9
	v_div_fixup_f32 v2, v6, v3, v2
	v_mov_b32_e32 v3, s13
	v_mov_b32_e32 v6, s12
	v_cndmask_b32_e64 v3, v3, v6, s[2:3]
	v_add_f32_e32 v2, v3, v2
	s_mov_b32 s2, 0x800000
	v_mul_f32_e32 v3, 0x4b800000, v2
	v_cmp_gt_f32_e32 vcc, s2, v2
	v_cndmask_b32_e32 v2, v2, v3, vcc
	v_rsq_f32_e32 v2, v2
	v_cvt_f32_u32_sdwa v27, v74 dst_sel:DWORD dst_unused:UNUSED_PAD src0_sel:WORD_1
	v_cvt_f32_u32_sdwa v26, v74 dst_sel:DWORD dst_unused:UNUSED_PAD src0_sel:WORD_0
	v_cvt_f32_u32_sdwa v29, v75 dst_sel:DWORD dst_unused:UNUSED_PAD src0_sel:WORD_1
	v_mul_f32_e32 v3, 0x45800000, v2
	v_cndmask_b32_e32 v2, v2, v3, vcc
	v_mov_b32_e32 v3, v2
	;;#ASMSTART
	v_pk_mul_f32 v[6:7], v[18:19], v[2:3]
	;;#ASMEND
	;;#ASMSTART
	v_pk_mul_f32 v[4:5], v[4:5], v[2:3]
	;;#ASMEND
	;;#ASMSTART
	v_pk_mul_f32 v[8:9], v[54:55], v[2:3]
	;;#ASMEND
	;;#ASMSTART
	v_pk_mul_f32 v[10:11], v[36:37], v[2:3]
	;;#ASMEND
	;;#ASMSTART
	v_pk_mul_f32 v[12:13], v[64:65], v[2:3]
	;;#ASMEND
	;;#ASMSTART
	v_pk_mul_f32 v[14:15], v[48:49], v[2:3]
	;;#ASMEND
	;;#ASMSTART
	v_pk_mul_f32 v[22:23], v[32:33], v[2:3]
	;;#ASMEND
	;;#ASMSTART
	v_pk_mul_f32 v[2:3], v[88:89], v[2:3]
	;;#ASMEND
	;;#ASMSTART
	v_pk_mul_f32 v[18:19], v[6:7], v[16:17]
	;;#ASMEND
	;;#ASMSTART
	v_pk_mul_f32 v[4:5], v[4:5], v[20:21]
	;;#ASMEND
	v_cvt_f32_u32_sdwa v7, v78 dst_sel:DWORD dst_unused:UNUSED_PAD src0_sel:WORD_1
	v_cvt_f32_u32_sdwa v6, v78 dst_sel:DWORD dst_unused:UNUSED_PAD src0_sel:WORD_0
	v_cvt_f32_u32_sdwa v17, v79 dst_sel:DWORD dst_unused:UNUSED_PAD src0_sel:WORD_1
	v_cvt_f32_u32_sdwa v16, v79 dst_sel:DWORD dst_unused:UNUSED_PAD src0_sel:WORD_0
	;; [unrolled: 2-line block ×3, first 2 shown]
	v_cvt_f32_u32_sdwa v28, v75 dst_sel:DWORD dst_unused:UNUSED_PAD src0_sel:WORD_0
	;;#ASMSTART
	v_pk_mul_f32 v[54:55], v[8:9], v[6:7]
	;;#ASMEND
	;;#ASMSTART
	v_pk_mul_f32 v[36:37], v[10:11], v[16:17]
	;;#ASMEND
	;;#ASMSTART
	v_pk_mul_f32 v[64:65], v[12:13], v[20:21]
	;;#ASMEND
	;;#ASMSTART
	v_pk_mul_f32 v[48:49], v[14:15], v[24:25]
	;;#ASMEND
	;;#ASMSTART
	v_pk_mul_f32 v[32:33], v[22:23], v[26:27]
	;;#ASMEND
	;;#ASMSTART
	v_pk_mul_f32 v[88:89], v[2:3], v[28:29]
	;;#ASMEND
	s_or_b64 exec, exec, s[26:27]
	s_mov_b64 s[2:3], -1
	s_and_b64 vcc, exec, s[22:23]
	s_cbranch_vccz .LBB894_15
.LBB894_19:
	s_and_saveexec_b64 s[2:3], s[0:1]
	s_cbranch_execz .LBB894_21
; %bb.20:
	s_mul_hi_i32 s23, s25, s6
	s_mul_i32 s22, s25, s6
	s_lshl_b64 s[22:23], s[22:23], 1
	s_add_u32 s28, s14, s22
	s_addc_u32 s7, s15, s23
	s_and_b32 s29, s7, 0xffff
	s_mov_b32 s7, 0x7060302
	s_mov_b32 s31, 0x20000
	v_perm_b32 v9, v37, v36, s7
	v_perm_b32 v8, v55, v54, s7
	;; [unrolled: 1-line block ×4, first 2 shown]
	v_lshlrev_b32_e32 v2, 5, v0
	buffer_store_dwordx4 v[6:9], v2, s[28:31], 0 offen
	;;#ASMSTART
	s_nop 0
	;;#ASMEND
	s_nop 0
	v_perm_b32 v9, v89, v88, s7
	v_perm_b32 v8, v33, v32, s7
	;; [unrolled: 1-line block ×4, first 2 shown]
	buffer_store_dwordx4 v[6:9], v2, s[28:31], 16 offen
	;;#ASMSTART
	s_nop 0
	;;#ASMEND
.LBB894_21:
	s_or_b64 exec, exec, s[2:3]
	s_cbranch_execnz .LBB894_16
.LBB894_22:
	s_and_saveexec_b64 s[2:3], s[0:1]
	s_cbranch_execz .LBB894_24
; %bb.23:
	s_load_dwordx2 s[0:1], s[4:5], 0x10
	s_mul_hi_i32 s23, s24, s6
	s_mul_i32 s22, s24, s6
	s_lshl_b64 s[22:23], s[22:23], 1
	s_mov_b32 s7, 0x7060302
	s_waitcnt lgkmcnt(0)
	s_add_u32 s28, s0, s22
	s_addc_u32 s0, s1, s23
	v_perm_b32 v7, v37, v36, s7
	v_perm_b32 v6, v55, v54, s7
	;; [unrolled: 1-line block ×4, first 2 shown]
	s_and_b32 s29, s0, 0xffff
	s_mov_b32 s31, 0x20000
	v_lshlrev_b32_e32 v8, 5, v0
	buffer_store_dwordx4 v[4:7], v8, s[28:31], 0 offen
	v_perm_b32 v3, v49, v48, s7
	v_perm_b32 v5, v89, v88, s7
	;; [unrolled: 1-line block ×4, first 2 shown]
	;;#ASMSTART
	s_nop 0
	;;#ASMEND
	buffer_store_dwordx4 v[2:5], v8, s[28:31], 16 offen
	;;#ASMSTART
	s_nop 0
	;;#ASMEND
.LBB894_24:
	s_or_b64 exec, exec, s[2:3]
	s_cmp_lt_i32 s16, 1
	s_cbranch_scc1 .LBB894_17
.LBB894_25:
	s_load_dword s0, s[4:5], 0x94
	s_waitcnt lgkmcnt(0)
	s_cmp_lg_u32 s0, 1
	s_cbranch_scc1 .LBB894_17
; %bb.26:
	s_lshl_b32 s0, s16, 1
	s_add_i32 s0, s0, 2
	v_cmp_gt_u32_e32 vcc, s16, v1
	s_and_b32 s22, s0, -4
	v_mov_b32_e32 v18, 0
	v_lshlrev_b32_e32 v1, 5, v0
	v_mov_b32_e32 v14, 0
	v_mov_b32_e32 v15, 0
	v_mov_b32_e32 v16, 0
	v_mov_b32_e32 v17, 0
	v_mov_b32_e32 v10, 0
	v_mov_b32_e32 v11, 0
	v_mov_b32_e32 v12, 0
	v_mov_b32_e32 v13, 0
	v_mov_b32_e32 v6, 0
	v_mov_b32_e32 v7, 0
	v_mov_b32_e32 v8, 0
	v_mov_b32_e32 v9, 0
	v_mov_b32_e32 v2, 0
	v_mov_b32_e32 v3, 0
	v_mov_b32_e32 v4, 0
	v_mov_b32_e32 v5, 0
	s_barrier
	s_and_saveexec_b64 s[0:1], vcc
	s_cbranch_execz .LBB894_28
; %bb.27:
	s_mul_hi_i32 s3, s18, s6
	s_mul_i32 s2, s18, s6
	s_and_b32 s21, s21, 0xffff
	s_lshl_b64 s[2:3], s[2:3], 1
	s_add_u32 s28, s10, s2
	s_mov_b32 s23, 0x20000
	s_addc_u32 s2, s11, s3
	s_and_b32 s29, s2, 0xffff
	s_mov_b32 s30, s22
	s_mov_b32 s31, s23
	buffer_load_dwordx4 v[14:17], v1, s[28:31], 0 offen
	buffer_load_dwordx4 v[10:13], v1, s[28:31], 16 offen
	;; [unrolled: 1-line block ×4, first 2 shown]
.LBB894_28:
	s_or_b64 exec, exec, s[0:1]
	v_mov_b32_e32 v19, 0
	v_mov_b32_e32 v32, 0
	;; [unrolled: 1-line block ×15, first 2 shown]
	s_and_saveexec_b64 s[0:1], vcc
	s_cbranch_execz .LBB894_30
; %bb.29:
	s_waitcnt vmcnt(3)
	v_cvt_f32_u32_sdwa v18, v14 dst_sel:DWORD dst_unused:UNUSED_PAD src0_sel:WORD_0
	v_cvt_f32_u32_sdwa v19, v14 dst_sel:DWORD dst_unused:UNUSED_PAD src0_sel:WORD_1
	v_cvt_f32_u32_sdwa v32, v15 dst_sel:DWORD dst_unused:UNUSED_PAD src0_sel:WORD_0
	v_cvt_f32_u32_sdwa v33, v15 dst_sel:DWORD dst_unused:UNUSED_PAD src0_sel:WORD_1
	v_cvt_f32_u32_sdwa v30, v16 dst_sel:DWORD dst_unused:UNUSED_PAD src0_sel:WORD_0
	v_cvt_f32_u32_sdwa v31, v16 dst_sel:DWORD dst_unused:UNUSED_PAD src0_sel:WORD_1
	v_cvt_f32_u32_sdwa v28, v17 dst_sel:DWORD dst_unused:UNUSED_PAD src0_sel:WORD_0
	v_cvt_f32_u32_sdwa v29, v17 dst_sel:DWORD dst_unused:UNUSED_PAD src0_sel:WORD_1
	s_waitcnt vmcnt(2)
	v_cvt_f32_u32_sdwa v26, v10 dst_sel:DWORD dst_unused:UNUSED_PAD src0_sel:WORD_0
	v_cvt_f32_u32_sdwa v27, v10 dst_sel:DWORD dst_unused:UNUSED_PAD src0_sel:WORD_1
	v_cvt_f32_u32_sdwa v24, v11 dst_sel:DWORD dst_unused:UNUSED_PAD src0_sel:WORD_0
	v_cvt_f32_u32_sdwa v25, v11 dst_sel:DWORD dst_unused:UNUSED_PAD src0_sel:WORD_1
	;; [unrolled: 2-line block ×4, first 2 shown]
.LBB894_30:
	s_or_b64 exec, exec, s[0:1]
	s_waitcnt vmcnt(2)
	v_mul_f32_e32 v10, v19, v19
	v_fmac_f32_e32 v10, v18, v18
	v_fmac_f32_e32 v10, v32, v32
	v_fmac_f32_e32 v10, v33, v33
	v_fmac_f32_e32 v10, v30, v30
	v_fmac_f32_e32 v10, v31, v31
	v_fmac_f32_e32 v10, v28, v28
	v_fmac_f32_e32 v10, v29, v29
	v_fmac_f32_e32 v10, v26, v26
	v_fmac_f32_e32 v10, v27, v27
	v_fmac_f32_e32 v10, v24, v24
	v_fmac_f32_e32 v10, v25, v25
	v_fmac_f32_e32 v10, v22, v22
	v_fmac_f32_e32 v10, v23, v23
	v_fmac_f32_e32 v10, v20, v20
	v_fmac_f32_e32 v10, v21, v21
	s_nop 1
	v_mov_b32_dpp v11, v10 quad_perm:[1,0,3,2] row_mask:0xf bank_mask:0xf
	v_add_f32_e32 v10, v10, v11
	s_nop 1
	v_mov_b32_dpp v11, v10 quad_perm:[2,3,0,1] row_mask:0xf bank_mask:0xf
	v_add_f32_e32 v10, v10, v11
	s_nop 1
	v_mov_b32_dpp v11, v10 row_half_mirror row_mask:0xf bank_mask:0xf
	v_add_f32_e32 v10, v10, v11
	s_nop 1
	v_mov_b32_dpp v11, v10 row_mirror row_mask:0xf bank_mask:0xf
	v_add_f32_e32 v10, v10, v11
	s_nop 1
	v_mov_b32_dpp v11, v10 row_bcast:15 row_mask:0xf bank_mask:0xf
	v_add_f32_e32 v10, v10, v11
	s_nop 1
	v_mov_b32_dpp v11, v10 row_bcast:31 row_mask:0xf bank_mask:0xf
	s_and_saveexec_b64 s[0:1], s[8:9]
	s_cbranch_execz .LBB894_32
; %bb.31:
	v_lshrrev_b32_e32 v0, 4, v0
	v_add_f32_e32 v10, v10, v11
	v_and_b32_e32 v0, 60, v0
	ds_write_b32 v0, v10
.LBB894_32:
	s_or_b64 exec, exec, s[0:1]
	s_waitcnt lgkmcnt(0)
	s_barrier
	ds_read_b32 v0, v34
	s_waitcnt lgkmcnt(0)
	s_nop 0
	v_mov_b32_dpp v10, v0 quad_perm:[1,0,3,2] row_mask:0xf bank_mask:0xf
	v_add_f32_e32 v0, v0, v10
	s_nop 1
	v_mov_b32_dpp v10, v0 quad_perm:[2,3,0,1] row_mask:0xf bank_mask:0xf
	v_add_f32_e32 v0, v0, v10
	s_nop 1
	v_mov_b32_dpp v10, v0 row_half_mirror row_mask:0xf bank_mask:0xf
	s_and_saveexec_b64 s[0:1], vcc
	s_cbranch_execz .LBB894_17
; %bb.33:
	v_cvt_f32_u32_e32 v11, s16
	v_add_f32_e32 v0, v0, v10
	s_mov_b32 s23, 0x20000
	v_div_scale_f32 v10, s[0:1], v11, v11, v0
	v_rcp_f32_e32 v12, v10
	v_div_scale_f32 v13, vcc, v0, v11, v0
	s_mov_b32 s0, 0x800000
	v_fma_f32 v14, -v10, v12, 1.0
	v_fmac_f32_e32 v12, v14, v12
	v_mul_f32_e32 v14, v13, v12
	v_fma_f32 v15, -v10, v14, v13
	v_fmac_f32_e32 v14, v15, v12
	v_fma_f32 v10, -v10, v14, v13
	v_div_fmas_f32 v10, v10, v12, v14
	v_div_fixup_f32 v0, v10, v11, v0
	v_add_f32_e32 v0, s13, v0
	v_mul_f32_e32 v10, 0x4b800000, v0
	v_cmp_gt_f32_e32 vcc, s0, v0
	v_cndmask_b32_e32 v0, v0, v10, vcc
	v_rsq_f32_e32 v0, v0
	s_mul_hi_i32 s1, s25, s6
	s_mul_i32 s0, s25, s6
	s_lshl_b64 s[0:1], s[0:1], 1
	v_mul_f32_e32 v10, 0x45800000, v0
	v_cndmask_b32_e32 v10, v0, v10, vcc
	v_mov_b32_e32 v11, v10
	s_add_u32 s20, s14, s0
	;;#ASMSTART
	v_pk_mul_f32 v[12:13], v[18:19], v[10:11]
	;;#ASMEND
	;;#ASMSTART
	v_pk_mul_f32 v[14:15], v[32:33], v[10:11]
	;;#ASMEND
	;; [unrolled: 3-line block ×8, first 2 shown]
	s_waitcnt vmcnt(1)
	v_cvt_f32_u32_sdwa v21, v6 dst_sel:DWORD dst_unused:UNUSED_PAD src0_sel:WORD_1
	v_cvt_f32_u32_sdwa v20, v6 dst_sel:DWORD dst_unused:UNUSED_PAD src0_sel:WORD_0
	v_cvt_f32_u32_sdwa v29, v7 dst_sel:DWORD dst_unused:UNUSED_PAD src0_sel:WORD_1
	v_cvt_f32_u32_sdwa v28, v7 dst_sel:DWORD dst_unused:UNUSED_PAD src0_sel:WORD_0
	v_cvt_f32_u32_sdwa v7, v8 dst_sel:DWORD dst_unused:UNUSED_PAD src0_sel:WORD_1
	v_cvt_f32_u32_sdwa v6, v8 dst_sel:DWORD dst_unused:UNUSED_PAD src0_sel:WORD_0
	s_addc_u32 s0, s15, s1
	v_cvt_f32_u32_sdwa v31, v9 dst_sel:DWORD dst_unused:UNUSED_PAD src0_sel:WORD_1
	v_cvt_f32_u32_sdwa v30, v9 dst_sel:DWORD dst_unused:UNUSED_PAD src0_sel:WORD_0
	;;#ASMSTART
	v_pk_mul_f32 v[8:9], v[12:13], v[20:21]
	;;#ASMEND
	;;#ASMSTART
	v_pk_mul_f32 v[12:13], v[14:15], v[28:29]
	;;#ASMEND
	;; [unrolled: 3-line block ×4, first 2 shown]
	s_waitcnt vmcnt(0)
	v_cvt_f32_u32_sdwa v17, v2 dst_sel:DWORD dst_unused:UNUSED_PAD src0_sel:WORD_1
	v_cvt_f32_u32_sdwa v16, v2 dst_sel:DWORD dst_unused:UNUSED_PAD src0_sel:WORD_0
	v_cvt_f32_u32_sdwa v19, v3 dst_sel:DWORD dst_unused:UNUSED_PAD src0_sel:WORD_1
	v_cvt_f32_u32_sdwa v18, v3 dst_sel:DWORD dst_unused:UNUSED_PAD src0_sel:WORD_0
	;; [unrolled: 2-line block ×3, first 2 shown]
	s_and_b32 s21, s0, 0xffff
	s_mov_b32 s0, 0x7060302
	v_cvt_f32_u32_sdwa v21, v5 dst_sel:DWORD dst_unused:UNUSED_PAD src0_sel:WORD_1
	v_cvt_f32_u32_sdwa v20, v5 dst_sel:DWORD dst_unused:UNUSED_PAD src0_sel:WORD_0
	;;#ASMSTART
	v_pk_mul_f32 v[16:17], v[26:27], v[16:17]
	;;#ASMEND
	;;#ASMSTART
	v_pk_mul_f32 v[18:19], v[24:25], v[18:19]
	;;#ASMEND
	;; [unrolled: 3-line block ×3, first 2 shown]
	v_perm_b32 v2, v9, v8, s0
	v_perm_b32 v3, v13, v12, s0
	;; [unrolled: 1-line block ×4, first 2 shown]
	;;#ASMSTART
	v_pk_mul_f32 v[10:11], v[10:11], v[20:21]
	;;#ASMEND
	buffer_store_dwordx4 v[2:5], v1, s[20:23], 0 offen
	;;#ASMSTART
	s_nop 0
	;;#ASMEND
	s_nop 0
	v_perm_b32 v2, v17, v16, s0
	v_perm_b32 v3, v19, v18, s0
	;; [unrolled: 1-line block ×4, first 2 shown]
	buffer_store_dwordx4 v[2:5], v1, s[20:23], 16 offen
	;;#ASMSTART
	s_nop 0
	;;#ASMEND
	s_endpgm
	.section	.rodata,"a",@progbits
	.p2align	6, 0x0
	.amdhsa_kernel _ZN5aiter35fused_qk_rmsnorm_group_quant_kernelItDB8_Li512ELi16ELi8ELb1ELb1ELb0ELb1ELb0ELb0EEEvPT0_PvPT_S6_S6_PKS5_S8_S8_S8_S8_ffiiiiiiiiiiiii
		.amdhsa_group_segment_fixed_size 64
		.amdhsa_private_segment_fixed_size 0
		.amdhsa_kernarg_size 400
		.amdhsa_user_sgpr_count 6
		.amdhsa_user_sgpr_private_segment_buffer 1
		.amdhsa_user_sgpr_dispatch_ptr 0
		.amdhsa_user_sgpr_queue_ptr 0
		.amdhsa_user_sgpr_kernarg_segment_ptr 1
		.amdhsa_user_sgpr_dispatch_id 0
		.amdhsa_user_sgpr_flat_scratch_init 0
		.amdhsa_user_sgpr_kernarg_preload_length 0
		.amdhsa_user_sgpr_kernarg_preload_offset 0
		.amdhsa_user_sgpr_private_segment_size 0
		.amdhsa_uses_dynamic_stack 0
		.amdhsa_system_sgpr_private_segment_wavefront_offset 0
		.amdhsa_system_sgpr_workgroup_id_x 1
		.amdhsa_system_sgpr_workgroup_id_y 1
		.amdhsa_system_sgpr_workgroup_id_z 0
		.amdhsa_system_sgpr_workgroup_info 0
		.amdhsa_system_vgpr_workitem_id 0
		.amdhsa_next_free_vgpr 90
		.amdhsa_next_free_sgpr 32
		.amdhsa_accum_offset 92
		.amdhsa_reserve_vcc 1
		.amdhsa_reserve_flat_scratch 0
		.amdhsa_float_round_mode_32 0
		.amdhsa_float_round_mode_16_64 0
		.amdhsa_float_denorm_mode_32 3
		.amdhsa_float_denorm_mode_16_64 3
		.amdhsa_dx10_clamp 1
		.amdhsa_ieee_mode 1
		.amdhsa_fp16_overflow 0
		.amdhsa_tg_split 0
		.amdhsa_exception_fp_ieee_invalid_op 0
		.amdhsa_exception_fp_denorm_src 0
		.amdhsa_exception_fp_ieee_div_zero 0
		.amdhsa_exception_fp_ieee_overflow 0
		.amdhsa_exception_fp_ieee_underflow 0
		.amdhsa_exception_fp_ieee_inexact 0
		.amdhsa_exception_int_div_zero 0
	.end_amdhsa_kernel
	.section	.text._ZN5aiter35fused_qk_rmsnorm_group_quant_kernelItDB8_Li512ELi16ELi8ELb1ELb1ELb0ELb1ELb0ELb0EEEvPT0_PvPT_S6_S6_PKS5_S8_S8_S8_S8_ffiiiiiiiiiiiii,"axG",@progbits,_ZN5aiter35fused_qk_rmsnorm_group_quant_kernelItDB8_Li512ELi16ELi8ELb1ELb1ELb0ELb1ELb0ELb0EEEvPT0_PvPT_S6_S6_PKS5_S8_S8_S8_S8_ffiiiiiiiiiiiii,comdat
.Lfunc_end894:
	.size	_ZN5aiter35fused_qk_rmsnorm_group_quant_kernelItDB8_Li512ELi16ELi8ELb1ELb1ELb0ELb1ELb0ELb0EEEvPT0_PvPT_S6_S6_PKS5_S8_S8_S8_S8_ffiiiiiiiiiiiii, .Lfunc_end894-_ZN5aiter35fused_qk_rmsnorm_group_quant_kernelItDB8_Li512ELi16ELi8ELb1ELb1ELb0ELb1ELb0ELb0EEEvPT0_PvPT_S6_S6_PKS5_S8_S8_S8_S8_ffiiiiiiiiiiiii
                                        ; -- End function
	.section	.AMDGPU.csdata,"",@progbits
; Kernel info:
; codeLenInByte = 3472
; NumSgprs: 36
; NumVgprs: 90
; NumAgprs: 0
; TotalNumVgprs: 90
; ScratchSize: 0
; MemoryBound: 0
; FloatMode: 240
; IeeeMode: 1
; LDSByteSize: 64 bytes/workgroup (compile time only)
; SGPRBlocks: 4
; VGPRBlocks: 11
; NumSGPRsForWavesPerEU: 36
; NumVGPRsForWavesPerEU: 90
; AccumOffset: 92
; Occupancy: 5
; WaveLimiterHint : 0
; COMPUTE_PGM_RSRC2:SCRATCH_EN: 0
; COMPUTE_PGM_RSRC2:USER_SGPR: 6
; COMPUTE_PGM_RSRC2:TRAP_HANDLER: 0
; COMPUTE_PGM_RSRC2:TGID_X_EN: 1
; COMPUTE_PGM_RSRC2:TGID_Y_EN: 1
; COMPUTE_PGM_RSRC2:TGID_Z_EN: 0
; COMPUTE_PGM_RSRC2:TIDIG_COMP_CNT: 0
; COMPUTE_PGM_RSRC3_GFX90A:ACCUM_OFFSET: 22
; COMPUTE_PGM_RSRC3_GFX90A:TG_SPLIT: 0
	.section	.text._ZN5aiter35fused_qk_rmsnorm_group_quant_kernelIDF16_N4opus5fp4_tELi512ELi16ELi8ELb1ELb1ELb0ELb1ELb0ELb0EEEvPT0_PvPT_S7_S7_PKS6_S9_S9_S9_S9_ffiiiiiiiiiiiii,"axG",@progbits,_ZN5aiter35fused_qk_rmsnorm_group_quant_kernelIDF16_N4opus5fp4_tELi512ELi16ELi8ELb1ELb1ELb0ELb1ELb0ELb0EEEvPT0_PvPT_S7_S7_PKS6_S9_S9_S9_S9_ffiiiiiiiiiiiii,comdat
	.protected	_ZN5aiter35fused_qk_rmsnorm_group_quant_kernelIDF16_N4opus5fp4_tELi512ELi16ELi8ELb1ELb1ELb0ELb1ELb0ELb0EEEvPT0_PvPT_S7_S7_PKS6_S9_S9_S9_S9_ffiiiiiiiiiiiii ; -- Begin function _ZN5aiter35fused_qk_rmsnorm_group_quant_kernelIDF16_N4opus5fp4_tELi512ELi16ELi8ELb1ELb1ELb0ELb1ELb0ELb0EEEvPT0_PvPT_S7_S7_PKS6_S9_S9_S9_S9_ffiiiiiiiiiiiii
	.globl	_ZN5aiter35fused_qk_rmsnorm_group_quant_kernelIDF16_N4opus5fp4_tELi512ELi16ELi8ELb1ELb1ELb0ELb1ELb0ELb0EEEvPT0_PvPT_S7_S7_PKS6_S9_S9_S9_S9_ffiiiiiiiiiiiii
	.p2align	8
	.type	_ZN5aiter35fused_qk_rmsnorm_group_quant_kernelIDF16_N4opus5fp4_tELi512ELi16ELi8ELb1ELb1ELb0ELb1ELb0ELb0EEEvPT0_PvPT_S7_S7_PKS6_S9_S9_S9_S9_ffiiiiiiiiiiiii,@function
_ZN5aiter35fused_qk_rmsnorm_group_quant_kernelIDF16_N4opus5fp4_tELi512ELi16ELi8ELb1ELb1ELb0ELb1ELb0ELb0EEEvPT0_PvPT_S7_S7_PKS6_S9_S9_S9_S9_ffiiiiiiiiiiiii: ; @_ZN5aiter35fused_qk_rmsnorm_group_quant_kernelIDF16_N4opus5fp4_tELi512ELi16ELi8ELb1ELb1ELb0ELb1ELb0ELb0EEEvPT0_PvPT_S7_S7_PKS6_S9_S9_S9_S9_ffiiiiiiiiiiiii
; %bb.0:
	s_load_dwordx8 s[12:19], s[4:5], 0x50
	s_waitcnt lgkmcnt(0)
	s_cmp_ge_i32 s6, s14
	s_cbranch_scc1 .LBB895_17
; %bb.1:
	s_cmp_lg_u32 s7, 0
	s_cselect_b64 s[22:23], -1, 0
	s_cmp_eq_u32 s7, 0
	s_cselect_b64 s[2:3], -1, 0
	s_and_b64 s[0:1], s[2:3], exec
	s_cselect_b32 s7, s15, s16
	s_load_dwordx2 s[10:11], s[4:5], 0x30
	s_load_dwordx2 s[20:21], s[4:5], 0x48
	s_add_i32 s0, s7, 1
	s_lshr_b32 s1, s0, 31
	s_add_i32 s0, s0, s1
	s_lshl_b32 s0, s0, 1
	v_lshlrev_b32_e32 v1, 4, v0
	s_and_b32 s30, s0, -4
	v_cmp_gt_i32_e64 s[0:1], s7, v1
	v_mov_b32_e32 v6, 0
	v_mov_b32_e32 v7, 0
	;; [unrolled: 1-line block ×16, first 2 shown]
	s_and_saveexec_b64 s[8:9], s[0:1]
	s_cbranch_execz .LBB895_3
; %bb.2:
	s_load_dwordx2 s[14:15], s[4:5], 0x28
	s_load_dwordx2 s[26:27], s[4:5], 0x40
	s_and_b64 s[24:25], s[2:3], exec
	s_cselect_b32 s17, s17, s18
	s_mov_b32 s31, 0x20000
	s_waitcnt lgkmcnt(0)
	s_cselect_b32 s25, s15, s11
	s_cselect_b32 s24, s14, s10
	s_mul_hi_i32 s15, s17, s6
	s_mul_i32 s14, s17, s6
	s_lshl_b64 s[14:15], s[14:15], 1
	s_add_u32 s24, s24, s14
	s_addc_u32 s17, s25, s15
	s_and_b64 s[14:15], s[2:3], exec
	s_cselect_b32 s28, s26, s20
	s_cselect_b32 s14, s27, s21
	s_and_b32 s25, s17, 0xffff
	s_mov_b32 s26, s30
	s_mov_b32 s27, s31
	v_lshlrev_b32_e32 v18, 5, v0
	s_and_b32 s29, s14, 0xffff
	buffer_load_dwordx4 v[10:13], v18, s[24:27], 0 offen
	buffer_load_dwordx4 v[14:17], v18, s[24:27], 16 offen
	;; [unrolled: 1-line block ×4, first 2 shown]
.LBB895_3:
	s_or_b64 exec, exec, s[8:9]
	s_load_dwordx4 s[24:27], s[4:5], 0x7c
	s_and_b64 vcc, exec, s[22:23]
	s_cbranch_vccz .LBB895_7
; %bb.4:
	v_mov_b32_e32 v19, 0
	v_mov_b32_e32 v18, 0
	;; [unrolled: 1-line block ×16, first 2 shown]
	s_and_saveexec_b64 s[8:9], s[0:1]
	s_cbranch_execz .LBB895_6
; %bb.5:
	s_waitcnt vmcnt(3)
	v_cvt_f32_f16_sdwa v33, v10 dst_sel:DWORD dst_unused:UNUSED_PAD src0_sel:WORD_1
	v_cvt_f32_f16_e32 v32, v10
	v_cvt_f32_f16_sdwa v31, v11 dst_sel:DWORD dst_unused:UNUSED_PAD src0_sel:WORD_1
	v_cvt_f32_f16_e32 v30, v11
	;; [unrolled: 2-line block ×4, first 2 shown]
	s_waitcnt vmcnt(2)
	v_cvt_f32_f16_sdwa v25, v14 dst_sel:DWORD dst_unused:UNUSED_PAD src0_sel:WORD_1
	v_cvt_f32_f16_e32 v24, v14
	v_cvt_f32_f16_sdwa v23, v15 dst_sel:DWORD dst_unused:UNUSED_PAD src0_sel:WORD_1
	v_cvt_f32_f16_e32 v22, v15
	;; [unrolled: 2-line block ×4, first 2 shown]
.LBB895_6:
	s_or_b64 exec, exec, s[8:9]
	s_cbranch_execz .LBB895_8
	s_branch .LBB895_11
.LBB895_7:
                                        ; implicit-def: $vgpr19
                                        ; implicit-def: $vgpr21
                                        ; implicit-def: $vgpr23
                                        ; implicit-def: $vgpr25
                                        ; implicit-def: $vgpr29
                                        ; implicit-def: $vgpr27
                                        ; implicit-def: $vgpr31
                                        ; implicit-def: $vgpr33
.LBB895_8:
	v_mov_b32_e32 v19, 0
	v_mov_b32_e32 v18, 0
	;; [unrolled: 1-line block ×16, first 2 shown]
	s_and_saveexec_b64 s[8:9], s[0:1]
	s_cbranch_execz .LBB895_10
; %bb.9:
	s_load_dwordx2 s[14:15], s[4:5], 0x38
	s_mul_hi_i32 s29, s19, s6
	s_mul_i32 s28, s19, s6
	s_lshl_b64 s[28:29], s[28:29], 1
	s_mov_b32 s31, 0x20000
	s_waitcnt lgkmcnt(0)
	s_add_u32 s28, s14, s28
	s_addc_u32 s14, s15, s29
	s_and_b32 s29, s14, 0xffff
	v_lshlrev_b32_e32 v48, 5, v0
	buffer_load_dwordx4 v[18:21], v48, s[28:31], 16 offen
	buffer_load_dwordx4 v[22:25], v48, s[28:31], 0 offen
	s_waitcnt vmcnt(4)
	v_cvt_f32_f16_sdwa v27, v14 dst_sel:DWORD dst_unused:UNUSED_PAD src0_sel:WORD_1
	v_cvt_f32_f16_e32 v26, v14
	v_cvt_f32_f16_sdwa v29, v15 dst_sel:DWORD dst_unused:UNUSED_PAD src0_sel:WORD_1
	v_cvt_f32_f16_e32 v28, v15
	;; [unrolled: 2-line block ×8, first 2 shown]
	s_load_dwordx2 s[14:15], s[4:5], 0x20
	s_mul_hi_i32 s27, s26, s6
	s_mul_i32 s26, s26, s6
	s_lshl_b64 s[26:27], s[26:27], 1
	s_waitcnt lgkmcnt(0)
	s_add_u32 s28, s14, s26
	s_addc_u32 s14, s15, s27
	s_and_b32 s29, s14, 0xffff
	s_waitcnt vmcnt(1)
	v_cvt_f32_f16_e32 v12, v18
	v_cvt_f32_f16_sdwa v13, v18 dst_sel:DWORD dst_unused:UNUSED_PAD src0_sel:WORD_1
	v_cvt_f32_f16_e32 v18, v19
	v_cvt_f32_f16_sdwa v19, v19 dst_sel:DWORD dst_unused:UNUSED_PAD src0_sel:WORD_1
	;; [unrolled: 2-line block ×4, first 2 shown]
	s_waitcnt vmcnt(0)
	v_cvt_f32_f16_e32 v40, v22
	v_cvt_f32_f16_sdwa v41, v22 dst_sel:DWORD dst_unused:UNUSED_PAD src0_sel:WORD_1
	v_cvt_f32_f16_e32 v42, v23
	v_cvt_f32_f16_sdwa v43, v23 dst_sel:DWORD dst_unused:UNUSED_PAD src0_sel:WORD_1
	;; [unrolled: 2-line block ×4, first 2 shown]
	v_pk_add_f32 v[24:25], v[26:27], v[12:13]
	v_pk_add_f32 v[22:23], v[28:29], v[18:19]
	;; [unrolled: 1-line block ×8, first 2 shown]
	v_cvt_f16_f32_e32 v10, v33
	v_cvt_f16_f32_e32 v14, v32
	;; [unrolled: 1-line block ×16, first 2 shown]
	v_pack_b32_f16 v13, v17, v13
	v_pack_b32_f16 v12, v16, v12
	;; [unrolled: 1-line block ×8, first 2 shown]
	buffer_store_dwordx4 v[10:13], v48, s[28:31], 0 offen
	;;#ASMSTART
	s_nop 0
	;;#ASMEND
	buffer_store_dwordx4 v[14:17], v48, s[28:31], 16 offen
	;;#ASMSTART
	s_nop 0
	;;#ASMEND
.LBB895_10:
	s_or_b64 exec, exec, s[8:9]
.LBB895_11:
	s_waitcnt vmcnt(3)
	v_mul_f32_e32 v10, v33, v33
	v_fmac_f32_e32 v10, v32, v32
	v_fmac_f32_e32 v10, v30, v30
	;; [unrolled: 1-line block ×15, first 2 shown]
	v_and_b32_e32 v12, 63, v0
	v_cmp_eq_u32_e64 s[8:9], 63, v12
	v_mov_b32_dpp v11, v10 quad_perm:[1,0,3,2] row_mask:0xf bank_mask:0xf
	v_add_f32_e32 v10, v10, v11
	s_nop 1
	v_mov_b32_dpp v11, v10 quad_perm:[2,3,0,1] row_mask:0xf bank_mask:0xf
	v_add_f32_e32 v10, v10, v11
	s_nop 1
	v_mov_b32_dpp v11, v10 row_half_mirror row_mask:0xf bank_mask:0xf
	v_add_f32_e32 v10, v10, v11
	s_nop 1
	v_mov_b32_dpp v11, v10 row_mirror row_mask:0xf bank_mask:0xf
	v_add_f32_e32 v10, v10, v11
	s_nop 1
	v_mov_b32_dpp v11, v10 row_bcast:15 row_mask:0xf bank_mask:0xf
	v_add_f32_e32 v10, v10, v11
	s_nop 1
	v_mov_b32_dpp v11, v10 row_bcast:31 row_mask:0xf bank_mask:0xf
	s_and_saveexec_b64 s[14:15], s[8:9]
	s_cbranch_execz .LBB895_13
; %bb.12:
	v_add_f32_e32 v10, v10, v11
	v_lshrrev_b32_e32 v11, 4, v0
	v_and_b32_e32 v11, 60, v11
	ds_write_b32 v11, v10 offset:32
.LBB895_13:
	s_or_b64 exec, exec, s[14:15]
	v_and_b32_e32 v10, 7, v0
	v_lshlrev_b32_e32 v34, 2, v10
	s_waitcnt lgkmcnt(0)
	s_barrier
	ds_read_b32 v10, v34 offset:32
	s_load_dwordx2 s[14:15], s[4:5], 0x18
	s_waitcnt lgkmcnt(0)
	v_mov_b32_dpp v11, v10 quad_perm:[1,0,3,2] row_mask:0xf bank_mask:0xf
	v_add_f32_e32 v10, v10, v11
	s_nop 1
	v_mov_b32_dpp v11, v10 quad_perm:[2,3,0,1] row_mask:0xf bank_mask:0xf
	v_add_f32_e32 v10, v10, v11
	s_nop 1
	v_mov_b32_dpp v11, v10 row_half_mirror row_mask:0xf bank_mask:0xf
	s_and_saveexec_b64 s[26:27], s[0:1]
	s_cbranch_execnz .LBB895_18
; %bb.14:
	s_or_b64 exec, exec, s[26:27]
	s_mov_b64 s[2:3], -1
	s_and_b64 vcc, exec, s[22:23]
	s_cbranch_vccnz .LBB895_19
.LBB895_15:
	s_andn2_b64 vcc, exec, s[2:3]
	s_cbranch_vccz .LBB895_22
.LBB895_16:
	s_cmp_lt_i32 s16, 1
	s_cbranch_scc0 .LBB895_25
.LBB895_17:
	s_endpgm
.LBB895_18:
	v_cvt_f32_u32_e32 v12, s7
	v_add_f32_e32 v10, v10, v11
	s_waitcnt vmcnt(2)
	v_mov_b32_e32 v14, s13
	v_mov_b32_e32 v15, s12
	v_div_scale_f32 v11, s[28:29], v12, v12, v10
	v_rcp_f32_e32 v13, v11
	v_cndmask_b32_e64 v14, v14, v15, s[2:3]
	s_mov_b32 s2, 0x800000
	s_waitcnt vmcnt(1)
	v_cvt_f32_f16_sdwa v37, v9 dst_sel:DWORD dst_unused:UNUSED_PAD src0_sel:WORD_1
	v_fma_f32 v15, -v11, v13, 1.0
	v_fmac_f32_e32 v13, v15, v13
	v_div_scale_f32 v15, vcc, v10, v12, v10
	v_mul_f32_e32 v16, v15, v13
	v_fma_f32 v17, -v11, v16, v15
	v_fmac_f32_e32 v16, v17, v13
	v_fma_f32 v11, -v11, v16, v15
	v_div_fmas_f32 v11, v11, v13, v16
	v_div_fixup_f32 v10, v11, v12, v10
	v_add_f32_e32 v10, v14, v10
	v_mul_f32_e32 v11, 0x4b800000, v10
	v_cmp_gt_f32_e32 vcc, s2, v10
	v_cndmask_b32_e32 v10, v10, v11, vcc
	v_rsq_f32_e32 v10, v10
	v_cvt_f32_f16_e32 v36, v9
	s_waitcnt vmcnt(0)
	v_cvt_f32_f16_sdwa v9, v3 dst_sel:DWORD dst_unused:UNUSED_PAD src0_sel:WORD_1
	v_mul_f32_e32 v11, 0x45800000, v10
	v_cndmask_b32_e32 v10, v10, v11, vcc
	v_mov_b32_e32 v11, v10
	;;#ASMSTART
	v_pk_mul_f32 v[12:13], v[32:33], v[10:11]
	;;#ASMEND
	;;#ASMSTART
	v_pk_mul_f32 v[14:15], v[30:31], v[10:11]
	;;#ASMEND
	;; [unrolled: 3-line block ×8, first 2 shown]
	v_cvt_f32_f16_sdwa v19, v6 dst_sel:DWORD dst_unused:UNUSED_PAD src0_sel:WORD_1
	v_cvt_f32_f16_e32 v18, v6
	v_cvt_f32_f16_sdwa v27, v7 dst_sel:DWORD dst_unused:UNUSED_PAD src0_sel:WORD_1
	v_cvt_f32_f16_e32 v26, v7
	;; [unrolled: 2-line block ×3, first 2 shown]
	;;#ASMSTART
	v_pk_mul_f32 v[32:33], v[12:13], v[18:19]
	;;#ASMEND
	;;#ASMSTART
	v_pk_mul_f32 v[30:31], v[14:15], v[26:27]
	;;#ASMEND
	;; [unrolled: 3-line block ×4, first 2 shown]
	v_cvt_f32_f16_sdwa v7, v2 dst_sel:DWORD dst_unused:UNUSED_PAD src0_sel:WORD_1
	v_cvt_f32_f16_e32 v6, v2
	v_cvt_f32_f16_e32 v8, v3
	v_cvt_f32_f16_sdwa v3, v4 dst_sel:DWORD dst_unused:UNUSED_PAD src0_sel:WORD_1
	v_cvt_f32_f16_e32 v2, v4
	v_cvt_f32_f16_sdwa v13, v5 dst_sel:DWORD dst_unused:UNUSED_PAD src0_sel:WORD_1
	v_cvt_f32_f16_e32 v12, v5
	;;#ASMSTART
	v_pk_mul_f32 v[24:25], v[24:25], v[6:7]
	;;#ASMEND
	;;#ASMSTART
	v_pk_mul_f32 v[22:23], v[22:23], v[8:9]
	;;#ASMEND
	;; [unrolled: 3-line block ×4, first 2 shown]
	s_or_b64 exec, exec, s[26:27]
	s_mov_b64 s[2:3], -1
	s_and_b64 vcc, exec, s[22:23]
	s_cbranch_vccz .LBB895_15
.LBB895_19:
	s_and_saveexec_b64 s[2:3], s[0:1]
	s_cbranch_execz .LBB895_21
; %bb.20:
	s_mul_hi_i32 s23, s25, s6
	s_mul_i32 s22, s25, s6
	s_waitcnt vmcnt(0)
	v_cvt_f16_f32_e32 v2, v32
	v_cvt_f16_f32_e32 v3, v30
	;; [unrolled: 1-line block ×8, first 2 shown]
	s_lshl_b64 s[22:23], s[22:23], 1
	s_add_u32 s28, s14, s22
	s_addc_u32 s7, s15, s23
	s_and_b32 s29, s7, 0xffff
	s_mov_b32 s31, 0x20000
	v_pack_b32_f16 v5, v5, v6
	v_pack_b32_f16 v4, v4, v7
	;; [unrolled: 1-line block ×4, first 2 shown]
	v_lshlrev_b32_e32 v6, 5, v0
	buffer_store_dwordx4 v[2:5], v6, s[28:31], 0 offen
	v_cvt_f16_f32_e32 v7, v19
	v_cvt_f16_f32_e32 v2, v24
	;; [unrolled: 1-line block ×8, first 2 shown]
	v_pack_b32_f16 v5, v5, v7
	v_pack_b32_f16 v4, v4, v8
	;; [unrolled: 1-line block ×4, first 2 shown]
	;;#ASMSTART
	s_nop 0
	;;#ASMEND
	buffer_store_dwordx4 v[2:5], v6, s[28:31], 16 offen
	;;#ASMSTART
	s_nop 0
	;;#ASMEND
.LBB895_21:
	s_or_b64 exec, exec, s[2:3]
	s_cbranch_execnz .LBB895_16
.LBB895_22:
	s_and_saveexec_b64 s[2:3], s[0:1]
	s_cbranch_execz .LBB895_24
; %bb.23:
	s_load_dwordx2 s[0:1], s[4:5], 0x10
	s_mul_hi_i32 s23, s24, s6
	s_mul_i32 s22, s24, s6
	s_waitcnt vmcnt(0)
	v_cvt_f16_f32_e32 v2, v32
	v_cvt_f16_f32_e32 v3, v30
	;; [unrolled: 1-line block ×8, first 2 shown]
	s_lshl_b64 s[22:23], s[22:23], 1
	s_waitcnt lgkmcnt(0)
	s_add_u32 s28, s0, s22
	s_addc_u32 s0, s1, s23
	s_mov_b32 s31, 0x20000
	s_and_b32 s29, s0, 0xffff
	v_pack_b32_f16 v5, v5, v6
	v_pack_b32_f16 v4, v4, v7
	;; [unrolled: 1-line block ×4, first 2 shown]
	v_lshlrev_b32_e32 v6, 5, v0
	buffer_store_dwordx4 v[2:5], v6, s[28:31], 0 offen
	v_cvt_f16_f32_e32 v7, v19
	v_cvt_f16_f32_e32 v2, v24
	;; [unrolled: 1-line block ×8, first 2 shown]
	v_pack_b32_f16 v5, v5, v7
	v_pack_b32_f16 v4, v4, v8
	;; [unrolled: 1-line block ×4, first 2 shown]
	;;#ASMSTART
	s_nop 0
	;;#ASMEND
	buffer_store_dwordx4 v[2:5], v6, s[28:31], 16 offen
	;;#ASMSTART
	s_nop 0
	;;#ASMEND
.LBB895_24:
	s_or_b64 exec, exec, s[2:3]
	s_cmp_lt_i32 s16, 1
	s_cbranch_scc1 .LBB895_17
.LBB895_25:
	s_load_dword s0, s[4:5], 0x94
	s_waitcnt lgkmcnt(0)
	s_cmp_lg_u32 s0, 1
	s_cbranch_scc1 .LBB895_17
; %bb.26:
	s_lshl_b32 s0, s16, 1
	s_add_i32 s0, s0, 2
	v_cmp_gt_u32_e32 vcc, s16, v1
	s_and_b32 s22, s0, -4
	v_mov_b32_e32 v18, 0
	v_lshlrev_b32_e32 v1, 5, v0
	s_waitcnt vmcnt(2)
	v_mov_b32_e32 v14, 0
	v_mov_b32_e32 v15, 0
	;; [unrolled: 1-line block ×8, first 2 shown]
	s_waitcnt vmcnt(1)
	v_mov_b32_e32 v6, 0
	v_mov_b32_e32 v7, 0
	;; [unrolled: 1-line block ×4, first 2 shown]
	s_waitcnt vmcnt(0)
	v_mov_b32_e32 v2, 0
	v_mov_b32_e32 v3, 0
	;; [unrolled: 1-line block ×4, first 2 shown]
	s_barrier
	s_and_saveexec_b64 s[0:1], vcc
	s_cbranch_execz .LBB895_28
; %bb.27:
	s_mul_hi_i32 s3, s18, s6
	s_mul_i32 s2, s18, s6
	s_and_b32 s21, s21, 0xffff
	s_lshl_b64 s[2:3], s[2:3], 1
	s_add_u32 s28, s10, s2
	s_mov_b32 s23, 0x20000
	s_addc_u32 s2, s11, s3
	s_and_b32 s29, s2, 0xffff
	s_mov_b32 s30, s22
	s_mov_b32 s31, s23
	buffer_load_dwordx4 v[14:17], v1, s[28:31], 0 offen
	buffer_load_dwordx4 v[10:13], v1, s[28:31], 16 offen
	;; [unrolled: 1-line block ×4, first 2 shown]
.LBB895_28:
	s_or_b64 exec, exec, s[0:1]
	v_mov_b32_e32 v19, 0
	v_mov_b32_e32 v32, 0
	;; [unrolled: 1-line block ×15, first 2 shown]
	s_and_saveexec_b64 s[0:1], vcc
	s_cbranch_execz .LBB895_30
; %bb.29:
	s_waitcnt vmcnt(3)
	v_cvt_f32_f16_sdwa v19, v14 dst_sel:DWORD dst_unused:UNUSED_PAD src0_sel:WORD_1
	v_cvt_f32_f16_e32 v18, v14
	v_cvt_f32_f16_sdwa v33, v15 dst_sel:DWORD dst_unused:UNUSED_PAD src0_sel:WORD_1
	v_cvt_f32_f16_e32 v32, v15
	;; [unrolled: 2-line block ×4, first 2 shown]
	s_waitcnt vmcnt(2)
	v_cvt_f32_f16_sdwa v27, v10 dst_sel:DWORD dst_unused:UNUSED_PAD src0_sel:WORD_1
	v_cvt_f32_f16_e32 v26, v10
	v_cvt_f32_f16_sdwa v25, v11 dst_sel:DWORD dst_unused:UNUSED_PAD src0_sel:WORD_1
	v_cvt_f32_f16_e32 v24, v11
	;; [unrolled: 2-line block ×4, first 2 shown]
.LBB895_30:
	s_or_b64 exec, exec, s[0:1]
	s_waitcnt vmcnt(2)
	v_mul_f32_e32 v10, v19, v19
	v_fmac_f32_e32 v10, v18, v18
	v_fmac_f32_e32 v10, v32, v32
	;; [unrolled: 1-line block ×15, first 2 shown]
	s_nop 1
	v_mov_b32_dpp v11, v10 quad_perm:[1,0,3,2] row_mask:0xf bank_mask:0xf
	v_add_f32_e32 v10, v10, v11
	s_nop 1
	v_mov_b32_dpp v11, v10 quad_perm:[2,3,0,1] row_mask:0xf bank_mask:0xf
	v_add_f32_e32 v10, v10, v11
	s_nop 1
	v_mov_b32_dpp v11, v10 row_half_mirror row_mask:0xf bank_mask:0xf
	v_add_f32_e32 v10, v10, v11
	s_nop 1
	v_mov_b32_dpp v11, v10 row_mirror row_mask:0xf bank_mask:0xf
	v_add_f32_e32 v10, v10, v11
	s_nop 1
	v_mov_b32_dpp v11, v10 row_bcast:15 row_mask:0xf bank_mask:0xf
	v_add_f32_e32 v10, v10, v11
	s_nop 1
	v_mov_b32_dpp v11, v10 row_bcast:31 row_mask:0xf bank_mask:0xf
	s_and_saveexec_b64 s[0:1], s[8:9]
	s_cbranch_execz .LBB895_32
; %bb.31:
	v_lshrrev_b32_e32 v0, 4, v0
	v_add_f32_e32 v10, v10, v11
	v_and_b32_e32 v0, 60, v0
	ds_write_b32 v0, v10
.LBB895_32:
	s_or_b64 exec, exec, s[0:1]
	s_waitcnt lgkmcnt(0)
	s_barrier
	ds_read_b32 v0, v34
	s_waitcnt lgkmcnt(0)
	s_nop 0
	v_mov_b32_dpp v10, v0 quad_perm:[1,0,3,2] row_mask:0xf bank_mask:0xf
	v_add_f32_e32 v0, v0, v10
	s_nop 1
	v_mov_b32_dpp v10, v0 quad_perm:[2,3,0,1] row_mask:0xf bank_mask:0xf
	v_add_f32_e32 v0, v0, v10
	s_nop 1
	v_mov_b32_dpp v10, v0 row_half_mirror row_mask:0xf bank_mask:0xf
	s_and_saveexec_b64 s[0:1], vcc
	s_cbranch_execz .LBB895_17
; %bb.33:
	v_cvt_f32_u32_e32 v11, s16
	v_add_f32_e32 v0, v0, v10
	s_mov_b32 s23, 0x20000
	v_div_scale_f32 v10, s[0:1], v11, v11, v0
	v_rcp_f32_e32 v12, v10
	v_div_scale_f32 v13, vcc, v0, v11, v0
	s_mov_b32 s0, 0x800000
	v_fma_f32 v14, -v10, v12, 1.0
	v_fmac_f32_e32 v12, v14, v12
	v_mul_f32_e32 v14, v13, v12
	v_fma_f32 v15, -v10, v14, v13
	v_fmac_f32_e32 v14, v15, v12
	v_fma_f32 v10, -v10, v14, v13
	v_div_fmas_f32 v10, v10, v12, v14
	v_div_fixup_f32 v0, v10, v11, v0
	v_add_f32_e32 v0, s13, v0
	v_mul_f32_e32 v10, 0x4b800000, v0
	v_cmp_gt_f32_e32 vcc, s0, v0
	v_cndmask_b32_e32 v0, v0, v10, vcc
	v_rsq_f32_e32 v0, v0
	s_mul_hi_i32 s1, s25, s6
	s_mul_i32 s0, s25, s6
	s_lshl_b64 s[0:1], s[0:1], 1
	v_mul_f32_e32 v10, 0x45800000, v0
	v_cndmask_b32_e32 v10, v0, v10, vcc
	v_mov_b32_e32 v11, v10
	;;#ASMSTART
	v_pk_mul_f32 v[12:13], v[18:19], v[10:11]
	;;#ASMEND
	;;#ASMSTART
	v_pk_mul_f32 v[14:15], v[32:33], v[10:11]
	;;#ASMEND
	;; [unrolled: 3-line block ×8, first 2 shown]
	s_waitcnt vmcnt(1)
	v_cvt_f32_f16_sdwa v21, v6 dst_sel:DWORD dst_unused:UNUSED_PAD src0_sel:WORD_1
	v_cvt_f32_f16_e32 v20, v6
	v_cvt_f32_f16_sdwa v29, v7 dst_sel:DWORD dst_unused:UNUSED_PAD src0_sel:WORD_1
	v_cvt_f32_f16_e32 v28, v7
	;; [unrolled: 2-line block ×4, first 2 shown]
	;;#ASMSTART
	v_pk_mul_f32 v[8:9], v[12:13], v[20:21]
	;;#ASMEND
	;;#ASMSTART
	v_pk_mul_f32 v[12:13], v[14:15], v[28:29]
	;;#ASMEND
	;; [unrolled: 3-line block ×4, first 2 shown]
	s_waitcnt vmcnt(0)
	v_cvt_f32_f16_sdwa v17, v2 dst_sel:DWORD dst_unused:UNUSED_PAD src0_sel:WORD_1
	v_cvt_f32_f16_e32 v16, v2
	v_cvt_f32_f16_sdwa v19, v3 dst_sel:DWORD dst_unused:UNUSED_PAD src0_sel:WORD_1
	v_cvt_f32_f16_e32 v18, v3
	;; [unrolled: 2-line block ×4, first 2 shown]
	;;#ASMSTART
	v_pk_mul_f32 v[16:17], v[26:27], v[16:17]
	;;#ASMEND
	;;#ASMSTART
	v_pk_mul_f32 v[18:19], v[24:25], v[18:19]
	;;#ASMEND
	;; [unrolled: 3-line block ×3, first 2 shown]
	v_cvt_f16_f32_e32 v0, v8
	v_cvt_f16_f32_e32 v2, v9
	;; [unrolled: 1-line block ×8, first 2 shown]
	s_add_u32 s20, s14, s0
	s_addc_u32 s0, s15, s1
	s_and_b32 s21, s0, 0xffff
	v_pack_b32_f16 v2, v0, v2
	v_pack_b32_f16 v3, v3, v4
	;; [unrolled: 1-line block ×4, first 2 shown]
	;;#ASMSTART
	v_pk_mul_f32 v[10:11], v[10:11], v[20:21]
	;;#ASMEND
	buffer_store_dwordx4 v[2:5], v1, s[20:23], 0 offen
	v_cvt_f16_f32_e32 v0, v16
	v_cvt_f16_f32_e32 v2, v17
	;; [unrolled: 1-line block ×8, first 2 shown]
	v_pack_b32_f16 v2, v0, v2
	v_pack_b32_f16 v3, v3, v4
	;; [unrolled: 1-line block ×4, first 2 shown]
	;;#ASMSTART
	s_nop 0
	;;#ASMEND
	buffer_store_dwordx4 v[2:5], v1, s[20:23], 16 offen
	;;#ASMSTART
	s_nop 0
	;;#ASMEND
	s_endpgm
	.section	.rodata,"a",@progbits
	.p2align	6, 0x0
	.amdhsa_kernel _ZN5aiter35fused_qk_rmsnorm_group_quant_kernelIDF16_N4opus5fp4_tELi512ELi16ELi8ELb1ELb1ELb0ELb1ELb0ELb0EEEvPT0_PvPT_S7_S7_PKS6_S9_S9_S9_S9_ffiiiiiiiiiiiii
		.amdhsa_group_segment_fixed_size 64
		.amdhsa_private_segment_fixed_size 0
		.amdhsa_kernarg_size 400
		.amdhsa_user_sgpr_count 6
		.amdhsa_user_sgpr_private_segment_buffer 1
		.amdhsa_user_sgpr_dispatch_ptr 0
		.amdhsa_user_sgpr_queue_ptr 0
		.amdhsa_user_sgpr_kernarg_segment_ptr 1
		.amdhsa_user_sgpr_dispatch_id 0
		.amdhsa_user_sgpr_flat_scratch_init 0
		.amdhsa_user_sgpr_kernarg_preload_length 0
		.amdhsa_user_sgpr_kernarg_preload_offset 0
		.amdhsa_user_sgpr_private_segment_size 0
		.amdhsa_uses_dynamic_stack 0
		.amdhsa_system_sgpr_private_segment_wavefront_offset 0
		.amdhsa_system_sgpr_workgroup_id_x 1
		.amdhsa_system_sgpr_workgroup_id_y 1
		.amdhsa_system_sgpr_workgroup_id_z 0
		.amdhsa_system_sgpr_workgroup_info 0
		.amdhsa_system_vgpr_workitem_id 0
		.amdhsa_next_free_vgpr 49
		.amdhsa_next_free_sgpr 32
		.amdhsa_accum_offset 52
		.amdhsa_reserve_vcc 1
		.amdhsa_reserve_flat_scratch 0
		.amdhsa_float_round_mode_32 0
		.amdhsa_float_round_mode_16_64 0
		.amdhsa_float_denorm_mode_32 3
		.amdhsa_float_denorm_mode_16_64 3
		.amdhsa_dx10_clamp 1
		.amdhsa_ieee_mode 1
		.amdhsa_fp16_overflow 0
		.amdhsa_tg_split 0
		.amdhsa_exception_fp_ieee_invalid_op 0
		.amdhsa_exception_fp_denorm_src 0
		.amdhsa_exception_fp_ieee_div_zero 0
		.amdhsa_exception_fp_ieee_overflow 0
		.amdhsa_exception_fp_ieee_underflow 0
		.amdhsa_exception_fp_ieee_inexact 0
		.amdhsa_exception_int_div_zero 0
	.end_amdhsa_kernel
	.section	.text._ZN5aiter35fused_qk_rmsnorm_group_quant_kernelIDF16_N4opus5fp4_tELi512ELi16ELi8ELb1ELb1ELb0ELb1ELb0ELb0EEEvPT0_PvPT_S7_S7_PKS6_S9_S9_S9_S9_ffiiiiiiiiiiiii,"axG",@progbits,_ZN5aiter35fused_qk_rmsnorm_group_quant_kernelIDF16_N4opus5fp4_tELi512ELi16ELi8ELb1ELb1ELb0ELb1ELb0ELb0EEEvPT0_PvPT_S7_S7_PKS6_S9_S9_S9_S9_ffiiiiiiiiiiiii,comdat
.Lfunc_end895:
	.size	_ZN5aiter35fused_qk_rmsnorm_group_quant_kernelIDF16_N4opus5fp4_tELi512ELi16ELi8ELb1ELb1ELb0ELb1ELb0ELb0EEEvPT0_PvPT_S7_S7_PKS6_S9_S9_S9_S9_ffiiiiiiiiiiiii, .Lfunc_end895-_ZN5aiter35fused_qk_rmsnorm_group_quant_kernelIDF16_N4opus5fp4_tELi512ELi16ELi8ELb1ELb1ELb0ELb1ELb0ELb0EEEvPT0_PvPT_S7_S7_PKS6_S9_S9_S9_S9_ffiiiiiiiiiiiii
                                        ; -- End function
	.section	.AMDGPU.csdata,"",@progbits
; Kernel info:
; codeLenInByte = 3512
; NumSgprs: 36
; NumVgprs: 49
; NumAgprs: 0
; TotalNumVgprs: 49
; ScratchSize: 0
; MemoryBound: 0
; FloatMode: 240
; IeeeMode: 1
; LDSByteSize: 64 bytes/workgroup (compile time only)
; SGPRBlocks: 4
; VGPRBlocks: 6
; NumSGPRsForWavesPerEU: 36
; NumVGPRsForWavesPerEU: 49
; AccumOffset: 52
; Occupancy: 8
; WaveLimiterHint : 0
; COMPUTE_PGM_RSRC2:SCRATCH_EN: 0
; COMPUTE_PGM_RSRC2:USER_SGPR: 6
; COMPUTE_PGM_RSRC2:TRAP_HANDLER: 0
; COMPUTE_PGM_RSRC2:TGID_X_EN: 1
; COMPUTE_PGM_RSRC2:TGID_Y_EN: 1
; COMPUTE_PGM_RSRC2:TGID_Z_EN: 0
; COMPUTE_PGM_RSRC2:TIDIG_COMP_CNT: 0
; COMPUTE_PGM_RSRC3_GFX90A:ACCUM_OFFSET: 12
; COMPUTE_PGM_RSRC3_GFX90A:TG_SPLIT: 0
	.section	.text._ZN5aiter35fused_qk_rmsnorm_group_quant_kernelItN4opus5fp4_tELi512ELi16ELi8ELb1ELb1ELb0ELb1ELb0ELb0EEEvPT0_PvPT_S7_S7_PKS6_S9_S9_S9_S9_ffiiiiiiiiiiiii,"axG",@progbits,_ZN5aiter35fused_qk_rmsnorm_group_quant_kernelItN4opus5fp4_tELi512ELi16ELi8ELb1ELb1ELb0ELb1ELb0ELb0EEEvPT0_PvPT_S7_S7_PKS6_S9_S9_S9_S9_ffiiiiiiiiiiiii,comdat
	.protected	_ZN5aiter35fused_qk_rmsnorm_group_quant_kernelItN4opus5fp4_tELi512ELi16ELi8ELb1ELb1ELb0ELb1ELb0ELb0EEEvPT0_PvPT_S7_S7_PKS6_S9_S9_S9_S9_ffiiiiiiiiiiiii ; -- Begin function _ZN5aiter35fused_qk_rmsnorm_group_quant_kernelItN4opus5fp4_tELi512ELi16ELi8ELb1ELb1ELb0ELb1ELb0ELb0EEEvPT0_PvPT_S7_S7_PKS6_S9_S9_S9_S9_ffiiiiiiiiiiiii
	.globl	_ZN5aiter35fused_qk_rmsnorm_group_quant_kernelItN4opus5fp4_tELi512ELi16ELi8ELb1ELb1ELb0ELb1ELb0ELb0EEEvPT0_PvPT_S7_S7_PKS6_S9_S9_S9_S9_ffiiiiiiiiiiiii
	.p2align	8
	.type	_ZN5aiter35fused_qk_rmsnorm_group_quant_kernelItN4opus5fp4_tELi512ELi16ELi8ELb1ELb1ELb0ELb1ELb0ELb0EEEvPT0_PvPT_S7_S7_PKS6_S9_S9_S9_S9_ffiiiiiiiiiiiii,@function
_ZN5aiter35fused_qk_rmsnorm_group_quant_kernelItN4opus5fp4_tELi512ELi16ELi8ELb1ELb1ELb0ELb1ELb0ELb0EEEvPT0_PvPT_S7_S7_PKS6_S9_S9_S9_S9_ffiiiiiiiiiiiii: ; @_ZN5aiter35fused_qk_rmsnorm_group_quant_kernelItN4opus5fp4_tELi512ELi16ELi8ELb1ELb1ELb0ELb1ELb0ELb0EEEvPT0_PvPT_S7_S7_PKS6_S9_S9_S9_S9_ffiiiiiiiiiiiii
; %bb.0:
	s_load_dwordx8 s[12:19], s[4:5], 0x50
	s_waitcnt lgkmcnt(0)
	s_cmp_ge_i32 s6, s14
	s_cbranch_scc1 .LBB896_17
; %bb.1:
	s_cmp_lg_u32 s7, 0
	s_cselect_b64 s[22:23], -1, 0
	s_cmp_eq_u32 s7, 0
	s_cselect_b64 s[2:3], -1, 0
	s_and_b64 s[0:1], s[2:3], exec
	s_cselect_b32 s7, s15, s16
	s_load_dwordx2 s[10:11], s[4:5], 0x30
	s_load_dwordx2 s[20:21], s[4:5], 0x48
	s_add_i32 s0, s7, 1
	s_lshr_b32 s1, s0, 31
	s_add_i32 s0, s0, s1
	s_lshl_b32 s0, s0, 1
	v_lshlrev_b32_e32 v1, 4, v0
	s_and_b32 s30, s0, -4
	v_cmp_gt_i32_e64 s[0:1], s7, v1
	v_mov_b32_e32 v76, 0
	v_mov_b32_e32 v77, 0
	;; [unrolled: 1-line block ×16, first 2 shown]
	s_and_saveexec_b64 s[8:9], s[0:1]
	s_cbranch_execz .LBB896_3
; %bb.2:
	s_load_dwordx2 s[14:15], s[4:5], 0x28
	s_load_dwordx2 s[26:27], s[4:5], 0x40
	s_and_b64 s[24:25], s[2:3], exec
	s_cselect_b32 s17, s17, s18
	s_mov_b32 s31, 0x20000
	s_waitcnt lgkmcnt(0)
	s_cselect_b32 s25, s15, s11
	s_cselect_b32 s24, s14, s10
	s_mul_hi_i32 s15, s17, s6
	s_mul_i32 s14, s17, s6
	s_lshl_b64 s[14:15], s[14:15], 1
	s_add_u32 s24, s24, s14
	s_addc_u32 s17, s25, s15
	s_and_b64 s[14:15], s[2:3], exec
	s_cselect_b32 s28, s26, s20
	s_cselect_b32 s14, s27, s21
	s_and_b32 s25, s17, 0xffff
	s_mov_b32 s26, s30
	s_mov_b32 s27, s31
	v_lshlrev_b32_e32 v2, 5, v0
	s_and_b32 s29, s14, 0xffff
	buffer_load_dwordx4 v[80:83], v2, s[24:27], 0 offen
	buffer_load_dwordx4 v[84:87], v2, s[24:27], 16 offen
	;; [unrolled: 1-line block ×4, first 2 shown]
.LBB896_3:
	s_or_b64 exec, exec, s[8:9]
	s_load_dwordx4 s[24:27], s[4:5], 0x7c
	s_and_b64 vcc, exec, s[22:23]
	s_cbranch_vccz .LBB896_7
; %bb.4:
	v_mov_b32_e32 v89, 0
	v_mov_b32_e32 v88, 0
	;; [unrolled: 1-line block ×16, first 2 shown]
	s_and_saveexec_b64 s[8:9], s[0:1]
	s_cbranch_execz .LBB896_6
; %bb.5:
	s_waitcnt vmcnt(3)
	v_cvt_f32_u32_sdwa v18, v80 dst_sel:DWORD dst_unused:UNUSED_PAD src0_sel:WORD_0
	v_cvt_f32_u32_sdwa v19, v80 dst_sel:DWORD dst_unused:UNUSED_PAD src0_sel:WORD_1
	v_cvt_f32_u32_sdwa v4, v81 dst_sel:DWORD dst_unused:UNUSED_PAD src0_sel:WORD_0
	v_cvt_f32_u32_sdwa v5, v81 dst_sel:DWORD dst_unused:UNUSED_PAD src0_sel:WORD_1
	;; [unrolled: 2-line block ×4, first 2 shown]
	s_waitcnt vmcnt(2)
	v_cvt_f32_u32_sdwa v64, v84 dst_sel:DWORD dst_unused:UNUSED_PAD src0_sel:WORD_0
	v_cvt_f32_u32_sdwa v65, v84 dst_sel:DWORD dst_unused:UNUSED_PAD src0_sel:WORD_1
	v_cvt_f32_u32_sdwa v48, v85 dst_sel:DWORD dst_unused:UNUSED_PAD src0_sel:WORD_0
	v_cvt_f32_u32_sdwa v49, v85 dst_sel:DWORD dst_unused:UNUSED_PAD src0_sel:WORD_1
	;; [unrolled: 2-line block ×4, first 2 shown]
.LBB896_6:
	s_or_b64 exec, exec, s[8:9]
	s_cbranch_execz .LBB896_8
	s_branch .LBB896_11
.LBB896_7:
                                        ; implicit-def: $vgpr18_vgpr19_vgpr20_vgpr21_vgpr22_vgpr23_vgpr24_vgpr25_vgpr26_vgpr27_vgpr28_vgpr29_vgpr30_vgpr31_vgpr32_vgpr33
                                        ; implicit-def: $vgpr50_vgpr51_vgpr52_vgpr53_vgpr54_vgpr55_vgpr56_vgpr57_vgpr58_vgpr59_vgpr60_vgpr61_vgpr62_vgpr63_vgpr64_vgpr65
                                        ; implicit-def: $vgpr30_vgpr31_vgpr32_vgpr33_vgpr34_vgpr35_vgpr36_vgpr37_vgpr38_vgpr39_vgpr40_vgpr41_vgpr42_vgpr43_vgpr44_vgpr45
                                        ; implicit-def: $vgpr89
                                        ; implicit-def: $vgpr2_vgpr3_vgpr4_vgpr5_vgpr6_vgpr7_vgpr8_vgpr9_vgpr10_vgpr11_vgpr12_vgpr13_vgpr14_vgpr15_vgpr16_vgpr17
                                        ; implicit-def: $vgpr56_vgpr57_vgpr58_vgpr59_vgpr60_vgpr61_vgpr62_vgpr63_vgpr64_vgpr65_vgpr66_vgpr67_vgpr68_vgpr69_vgpr70_vgpr71
                                        ; implicit-def: $vgpr38_vgpr39_vgpr40_vgpr41_vgpr42_vgpr43_vgpr44_vgpr45_vgpr46_vgpr47_vgpr48_vgpr49_vgpr50_vgpr51_vgpr52_vgpr53
                                        ; implicit-def: $vgpr20_vgpr21_vgpr22_vgpr23_vgpr24_vgpr25_vgpr26_vgpr27_vgpr28_vgpr29_vgpr30_vgpr31_vgpr32_vgpr33_vgpr34_vgpr35
.LBB896_8:
	v_mov_b32_e32 v89, 0
	v_mov_b32_e32 v88, 0
	;; [unrolled: 1-line block ×16, first 2 shown]
	s_and_saveexec_b64 s[8:9], s[0:1]
	s_cbranch_execz .LBB896_10
; %bb.9:
	s_load_dwordx2 s[14:15], s[4:5], 0x38
	s_mul_hi_i32 s29, s19, s6
	s_mul_i32 s28, s19, s6
	s_lshl_b64 s[28:29], s[28:29], 1
	s_mov_b32 s31, 0x20000
	s_waitcnt lgkmcnt(0)
	s_add_u32 s28, s14, s28
	s_addc_u32 s14, s15, s29
	s_and_b32 s29, s14, 0xffff
	v_lshlrev_b32_e32 v38, 5, v0
	buffer_load_dwordx4 v[4:7], v38, s[28:31], 16 offen
	buffer_load_dwordx4 v[8:11], v38, s[28:31], 0 offen
	s_load_dwordx2 s[14:15], s[4:5], 0x20
	s_waitcnt vmcnt(5)
	v_cvt_f32_u32_sdwa v19, v80 dst_sel:DWORD dst_unused:UNUSED_PAD src0_sel:WORD_1
	v_cvt_f32_u32_sdwa v18, v80 dst_sel:DWORD dst_unused:UNUSED_PAD src0_sel:WORD_0
	v_cvt_f32_u32_sdwa v21, v81 dst_sel:DWORD dst_unused:UNUSED_PAD src0_sel:WORD_1
	v_cvt_f32_u32_sdwa v20, v81 dst_sel:DWORD dst_unused:UNUSED_PAD src0_sel:WORD_0
	;; [unrolled: 2-line block ×4, first 2 shown]
	s_waitcnt vmcnt(4)
	v_cvt_f32_u32_sdwa v3, v84 dst_sel:DWORD dst_unused:UNUSED_PAD src0_sel:WORD_1
	v_cvt_f32_u32_sdwa v2, v84 dst_sel:DWORD dst_unused:UNUSED_PAD src0_sel:WORD_0
	v_cvt_f32_u32_sdwa v13, v85 dst_sel:DWORD dst_unused:UNUSED_PAD src0_sel:WORD_1
	v_cvt_f32_u32_sdwa v12, v85 dst_sel:DWORD dst_unused:UNUSED_PAD src0_sel:WORD_0
	;; [unrolled: 2-line block ×3, first 2 shown]
	v_cvt_f32_u32_sdwa v16, v87 dst_sel:DWORD dst_unused:UNUSED_PAD src0_sel:WORD_0
	v_cvt_f32_u32_sdwa v17, v87 dst_sel:DWORD dst_unused:UNUSED_PAD src0_sel:WORD_1
	s_mul_hi_i32 s27, s26, s6
	s_mul_i32 s26, s26, s6
	s_lshl_b64 s[26:27], s[26:27], 1
	s_waitcnt lgkmcnt(0)
	s_add_u32 s28, s14, s26
	s_mov_b32 s17, 0x7060302
	s_addc_u32 s14, s15, s27
	s_and_b32 s29, s14, 0xffff
	s_waitcnt vmcnt(1)
	v_cvt_f32_u32_sdwa v27, v4 dst_sel:DWORD dst_unused:UNUSED_PAD src0_sel:WORD_1
	v_cvt_f32_u32_sdwa v26, v4 dst_sel:DWORD dst_unused:UNUSED_PAD src0_sel:WORD_0
	v_cvt_f32_u32_sdwa v29, v5 dst_sel:DWORD dst_unused:UNUSED_PAD src0_sel:WORD_1
	v_cvt_f32_u32_sdwa v28, v5 dst_sel:DWORD dst_unused:UNUSED_PAD src0_sel:WORD_0
	v_cvt_f32_u32_sdwa v31, v6 dst_sel:DWORD dst_unused:UNUSED_PAD src0_sel:WORD_1
	v_cvt_f32_u32_sdwa v30, v6 dst_sel:DWORD dst_unused:UNUSED_PAD src0_sel:WORD_0
	v_cvt_f32_u32_sdwa v32, v7 dst_sel:DWORD dst_unused:UNUSED_PAD src0_sel:WORD_0
	v_cvt_f32_u32_sdwa v33, v7 dst_sel:DWORD dst_unused:UNUSED_PAD src0_sel:WORD_1
	s_waitcnt vmcnt(0)
	v_cvt_f32_u32_sdwa v35, v8 dst_sel:DWORD dst_unused:UNUSED_PAD src0_sel:WORD_1
	v_cvt_f32_u32_sdwa v34, v8 dst_sel:DWORD dst_unused:UNUSED_PAD src0_sel:WORD_0
	v_cvt_f32_u32_sdwa v5, v10 dst_sel:DWORD dst_unused:UNUSED_PAD src0_sel:WORD_1
	v_cvt_f32_u32_sdwa v4, v10 dst_sel:DWORD dst_unused:UNUSED_PAD src0_sel:WORD_0
	;; [unrolled: 2-line block ×4, first 2 shown]
	v_pk_add_f32 v[54:55], v[22:23], v[4:5]
	v_pk_add_f32 v[36:37], v[24:25], v[6:7]
	;; [unrolled: 1-line block ×4, first 2 shown]
	v_perm_b32 v9, v37, v36, s17
	v_perm_b32 v8, v55, v54, s17
	;; [unrolled: 1-line block ×4, first 2 shown]
	v_pk_add_f32 v[88:89], v[16:17], v[32:33]
	v_pk_add_f32 v[32:33], v[14:15], v[30:31]
	v_pk_add_f32 v[48:49], v[12:13], v[28:29]
	v_pk_add_f32 v[64:65], v[2:3], v[26:27]
	buffer_store_dwordx4 v[6:9], v38, s[28:31], 0 offen
	;;#ASMSTART
	s_nop 0
	;;#ASMEND
	s_nop 0
	v_perm_b32 v9, v89, v88, s17
	v_perm_b32 v8, v33, v32, s17
	;; [unrolled: 1-line block ×4, first 2 shown]
	buffer_store_dwordx4 v[6:9], v38, s[28:31], 16 offen
	;;#ASMSTART
	s_nop 0
	;;#ASMEND
.LBB896_10:
	s_or_b64 exec, exec, s[8:9]
.LBB896_11:
	v_mul_f32_e32 v2, v19, v19
	v_fmac_f32_e32 v2, v18, v18
	v_fmac_f32_e32 v2, v4, v4
	;; [unrolled: 1-line block ×15, first 2 shown]
	s_nop 1
	v_mov_b32_dpp v3, v2 quad_perm:[1,0,3,2] row_mask:0xf bank_mask:0xf
	v_add_f32_e32 v2, v2, v3
	s_nop 1
	v_mov_b32_dpp v3, v2 quad_perm:[2,3,0,1] row_mask:0xf bank_mask:0xf
	v_add_f32_e32 v2, v2, v3
	s_nop 1
	v_mov_b32_dpp v3, v2 row_half_mirror row_mask:0xf bank_mask:0xf
	v_add_f32_e32 v2, v2, v3
	s_nop 1
	v_mov_b32_dpp v3, v2 row_mirror row_mask:0xf bank_mask:0xf
	v_add_f32_e32 v2, v2, v3
	s_nop 1
	v_mov_b32_dpp v3, v2 row_bcast:15 row_mask:0xf bank_mask:0xf
	v_add_f32_e32 v2, v2, v3
	v_and_b32_e32 v3, 63, v0
	v_cmp_eq_u32_e64 s[8:9], 63, v3
	s_nop 0
	v_mov_b32_dpp v3, v2 row_bcast:31 row_mask:0xf bank_mask:0xf
	s_and_saveexec_b64 s[14:15], s[8:9]
	s_cbranch_execz .LBB896_13
; %bb.12:
	v_add_f32_e32 v2, v2, v3
	v_lshrrev_b32_e32 v3, 4, v0
	v_and_b32_e32 v3, 60, v3
	ds_write_b32 v3, v2 offset:32
.LBB896_13:
	s_or_b64 exec, exec, s[14:15]
	v_and_b32_e32 v2, 7, v0
	v_lshlrev_b32_e32 v34, 2, v2
	s_waitcnt lgkmcnt(0)
	s_barrier
	ds_read_b32 v2, v34 offset:32
	s_load_dwordx2 s[14:15], s[4:5], 0x18
	s_waitcnt lgkmcnt(0)
	v_mov_b32_dpp v3, v2 quad_perm:[1,0,3,2] row_mask:0xf bank_mask:0xf
	v_add_f32_e32 v2, v2, v3
	s_nop 1
	v_mov_b32_dpp v3, v2 quad_perm:[2,3,0,1] row_mask:0xf bank_mask:0xf
	v_add_f32_e32 v2, v2, v3
	s_nop 1
	v_mov_b32_dpp v3, v2 row_half_mirror row_mask:0xf bank_mask:0xf
	s_and_saveexec_b64 s[26:27], s[0:1]
	s_cbranch_execnz .LBB896_18
; %bb.14:
	s_or_b64 exec, exec, s[26:27]
	s_mov_b64 s[2:3], -1
	s_and_b64 vcc, exec, s[22:23]
	s_cbranch_vccnz .LBB896_19
.LBB896_15:
	s_andn2_b64 vcc, exec, s[2:3]
	s_cbranch_vccz .LBB896_22
.LBB896_16:
	s_cmp_lt_i32 s16, 1
	s_cbranch_scc0 .LBB896_25
.LBB896_17:
	s_endpgm
.LBB896_18:
	v_add_f32_e32 v2, v2, v3
	v_cvt_f32_u32_e32 v3, s7
	s_waitcnt vmcnt(1)
	v_cvt_f32_u32_sdwa v17, v76 dst_sel:DWORD dst_unused:UNUSED_PAD src0_sel:WORD_1
	v_cvt_f32_u32_sdwa v16, v76 dst_sel:DWORD dst_unused:UNUSED_PAD src0_sel:WORD_0
	v_cvt_f32_u32_sdwa v21, v77 dst_sel:DWORD dst_unused:UNUSED_PAD src0_sel:WORD_1
	v_div_scale_f32 v6, s[28:29], v3, v3, v2
	v_rcp_f32_e32 v7, v6
	v_cvt_f32_u32_sdwa v20, v77 dst_sel:DWORD dst_unused:UNUSED_PAD src0_sel:WORD_0
	s_waitcnt vmcnt(0)
	v_cvt_f32_u32_sdwa v25, v73 dst_sel:DWORD dst_unused:UNUSED_PAD src0_sel:WORD_1
	v_cvt_f32_u32_sdwa v24, v73 dst_sel:DWORD dst_unused:UNUSED_PAD src0_sel:WORD_0
	v_fma_f32 v8, -v6, v7, 1.0
	v_fmac_f32_e32 v7, v8, v7
	v_div_scale_f32 v8, vcc, v2, v3, v2
	v_mul_f32_e32 v9, v8, v7
	v_fma_f32 v10, -v6, v9, v8
	v_fmac_f32_e32 v9, v10, v7
	v_fma_f32 v6, -v6, v9, v8
	v_div_fmas_f32 v6, v6, v7, v9
	v_div_fixup_f32 v2, v6, v3, v2
	v_mov_b32_e32 v3, s13
	v_mov_b32_e32 v6, s12
	v_cndmask_b32_e64 v3, v3, v6, s[2:3]
	v_add_f32_e32 v2, v3, v2
	s_mov_b32 s2, 0x800000
	v_mul_f32_e32 v3, 0x4b800000, v2
	v_cmp_gt_f32_e32 vcc, s2, v2
	v_cndmask_b32_e32 v2, v2, v3, vcc
	v_rsq_f32_e32 v2, v2
	v_cvt_f32_u32_sdwa v27, v74 dst_sel:DWORD dst_unused:UNUSED_PAD src0_sel:WORD_1
	v_cvt_f32_u32_sdwa v26, v74 dst_sel:DWORD dst_unused:UNUSED_PAD src0_sel:WORD_0
	v_cvt_f32_u32_sdwa v29, v75 dst_sel:DWORD dst_unused:UNUSED_PAD src0_sel:WORD_1
	v_mul_f32_e32 v3, 0x45800000, v2
	v_cndmask_b32_e32 v2, v2, v3, vcc
	v_mov_b32_e32 v3, v2
	;;#ASMSTART
	v_pk_mul_f32 v[6:7], v[18:19], v[2:3]
	;;#ASMEND
	;;#ASMSTART
	v_pk_mul_f32 v[4:5], v[4:5], v[2:3]
	;;#ASMEND
	;;#ASMSTART
	v_pk_mul_f32 v[8:9], v[54:55], v[2:3]
	;;#ASMEND
	;;#ASMSTART
	v_pk_mul_f32 v[10:11], v[36:37], v[2:3]
	;;#ASMEND
	;;#ASMSTART
	v_pk_mul_f32 v[12:13], v[64:65], v[2:3]
	;;#ASMEND
	;;#ASMSTART
	v_pk_mul_f32 v[14:15], v[48:49], v[2:3]
	;;#ASMEND
	;;#ASMSTART
	v_pk_mul_f32 v[22:23], v[32:33], v[2:3]
	;;#ASMEND
	;;#ASMSTART
	v_pk_mul_f32 v[2:3], v[88:89], v[2:3]
	;;#ASMEND
	;;#ASMSTART
	v_pk_mul_f32 v[18:19], v[6:7], v[16:17]
	;;#ASMEND
	;;#ASMSTART
	v_pk_mul_f32 v[4:5], v[4:5], v[20:21]
	;;#ASMEND
	v_cvt_f32_u32_sdwa v7, v78 dst_sel:DWORD dst_unused:UNUSED_PAD src0_sel:WORD_1
	v_cvt_f32_u32_sdwa v6, v78 dst_sel:DWORD dst_unused:UNUSED_PAD src0_sel:WORD_0
	v_cvt_f32_u32_sdwa v17, v79 dst_sel:DWORD dst_unused:UNUSED_PAD src0_sel:WORD_1
	v_cvt_f32_u32_sdwa v16, v79 dst_sel:DWORD dst_unused:UNUSED_PAD src0_sel:WORD_0
	;; [unrolled: 2-line block ×3, first 2 shown]
	v_cvt_f32_u32_sdwa v28, v75 dst_sel:DWORD dst_unused:UNUSED_PAD src0_sel:WORD_0
	;;#ASMSTART
	v_pk_mul_f32 v[54:55], v[8:9], v[6:7]
	;;#ASMEND
	;;#ASMSTART
	v_pk_mul_f32 v[36:37], v[10:11], v[16:17]
	;;#ASMEND
	;; [unrolled: 3-line block ×6, first 2 shown]
	s_or_b64 exec, exec, s[26:27]
	s_mov_b64 s[2:3], -1
	s_and_b64 vcc, exec, s[22:23]
	s_cbranch_vccz .LBB896_15
.LBB896_19:
	s_and_saveexec_b64 s[2:3], s[0:1]
	s_cbranch_execz .LBB896_21
; %bb.20:
	s_mul_hi_i32 s23, s25, s6
	s_mul_i32 s22, s25, s6
	s_lshl_b64 s[22:23], s[22:23], 1
	s_add_u32 s28, s14, s22
	s_addc_u32 s7, s15, s23
	s_and_b32 s29, s7, 0xffff
	s_mov_b32 s7, 0x7060302
	s_mov_b32 s31, 0x20000
	v_perm_b32 v9, v37, v36, s7
	v_perm_b32 v8, v55, v54, s7
	v_perm_b32 v7, v5, v4, s7
	v_perm_b32 v6, v19, v18, s7
	v_lshlrev_b32_e32 v2, 5, v0
	buffer_store_dwordx4 v[6:9], v2, s[28:31], 0 offen
	;;#ASMSTART
	s_nop 0
	;;#ASMEND
	s_nop 0
	v_perm_b32 v9, v89, v88, s7
	v_perm_b32 v8, v33, v32, s7
	;; [unrolled: 1-line block ×4, first 2 shown]
	buffer_store_dwordx4 v[6:9], v2, s[28:31], 16 offen
	;;#ASMSTART
	s_nop 0
	;;#ASMEND
.LBB896_21:
	s_or_b64 exec, exec, s[2:3]
	s_cbranch_execnz .LBB896_16
.LBB896_22:
	s_and_saveexec_b64 s[2:3], s[0:1]
	s_cbranch_execz .LBB896_24
; %bb.23:
	s_load_dwordx2 s[0:1], s[4:5], 0x10
	s_mul_hi_i32 s23, s24, s6
	s_mul_i32 s22, s24, s6
	s_lshl_b64 s[22:23], s[22:23], 1
	s_mov_b32 s7, 0x7060302
	s_waitcnt lgkmcnt(0)
	s_add_u32 s28, s0, s22
	s_addc_u32 s0, s1, s23
	v_perm_b32 v7, v37, v36, s7
	v_perm_b32 v6, v55, v54, s7
	;; [unrolled: 1-line block ×4, first 2 shown]
	s_and_b32 s29, s0, 0xffff
	s_mov_b32 s31, 0x20000
	v_lshlrev_b32_e32 v8, 5, v0
	buffer_store_dwordx4 v[4:7], v8, s[28:31], 0 offen
	v_perm_b32 v3, v49, v48, s7
	v_perm_b32 v5, v89, v88, s7
	;; [unrolled: 1-line block ×4, first 2 shown]
	;;#ASMSTART
	s_nop 0
	;;#ASMEND
	buffer_store_dwordx4 v[2:5], v8, s[28:31], 16 offen
	;;#ASMSTART
	s_nop 0
	;;#ASMEND
.LBB896_24:
	s_or_b64 exec, exec, s[2:3]
	s_cmp_lt_i32 s16, 1
	s_cbranch_scc1 .LBB896_17
.LBB896_25:
	s_load_dword s0, s[4:5], 0x94
	s_waitcnt lgkmcnt(0)
	s_cmp_lg_u32 s0, 1
	s_cbranch_scc1 .LBB896_17
; %bb.26:
	s_lshl_b32 s0, s16, 1
	s_add_i32 s0, s0, 2
	v_cmp_gt_u32_e32 vcc, s16, v1
	s_and_b32 s22, s0, -4
	v_mov_b32_e32 v18, 0
	v_lshlrev_b32_e32 v1, 5, v0
	v_mov_b32_e32 v14, 0
	v_mov_b32_e32 v15, 0
	;; [unrolled: 1-line block ×16, first 2 shown]
	s_barrier
	s_and_saveexec_b64 s[0:1], vcc
	s_cbranch_execz .LBB896_28
; %bb.27:
	s_mul_hi_i32 s3, s18, s6
	s_mul_i32 s2, s18, s6
	s_and_b32 s21, s21, 0xffff
	s_lshl_b64 s[2:3], s[2:3], 1
	s_add_u32 s28, s10, s2
	s_mov_b32 s23, 0x20000
	s_addc_u32 s2, s11, s3
	s_and_b32 s29, s2, 0xffff
	s_mov_b32 s30, s22
	s_mov_b32 s31, s23
	buffer_load_dwordx4 v[14:17], v1, s[28:31], 0 offen
	buffer_load_dwordx4 v[10:13], v1, s[28:31], 16 offen
	;; [unrolled: 1-line block ×4, first 2 shown]
.LBB896_28:
	s_or_b64 exec, exec, s[0:1]
	v_mov_b32_e32 v19, 0
	v_mov_b32_e32 v32, 0
	;; [unrolled: 1-line block ×15, first 2 shown]
	s_and_saveexec_b64 s[0:1], vcc
	s_cbranch_execz .LBB896_30
; %bb.29:
	s_waitcnt vmcnt(3)
	v_cvt_f32_u32_sdwa v18, v14 dst_sel:DWORD dst_unused:UNUSED_PAD src0_sel:WORD_0
	v_cvt_f32_u32_sdwa v19, v14 dst_sel:DWORD dst_unused:UNUSED_PAD src0_sel:WORD_1
	v_cvt_f32_u32_sdwa v32, v15 dst_sel:DWORD dst_unused:UNUSED_PAD src0_sel:WORD_0
	v_cvt_f32_u32_sdwa v33, v15 dst_sel:DWORD dst_unused:UNUSED_PAD src0_sel:WORD_1
	;; [unrolled: 2-line block ×4, first 2 shown]
	s_waitcnt vmcnt(2)
	v_cvt_f32_u32_sdwa v26, v10 dst_sel:DWORD dst_unused:UNUSED_PAD src0_sel:WORD_0
	v_cvt_f32_u32_sdwa v27, v10 dst_sel:DWORD dst_unused:UNUSED_PAD src0_sel:WORD_1
	v_cvt_f32_u32_sdwa v24, v11 dst_sel:DWORD dst_unused:UNUSED_PAD src0_sel:WORD_0
	v_cvt_f32_u32_sdwa v25, v11 dst_sel:DWORD dst_unused:UNUSED_PAD src0_sel:WORD_1
	;; [unrolled: 2-line block ×4, first 2 shown]
.LBB896_30:
	s_or_b64 exec, exec, s[0:1]
	s_waitcnt vmcnt(2)
	v_mul_f32_e32 v10, v19, v19
	v_fmac_f32_e32 v10, v18, v18
	v_fmac_f32_e32 v10, v32, v32
	v_fmac_f32_e32 v10, v33, v33
	v_fmac_f32_e32 v10, v30, v30
	v_fmac_f32_e32 v10, v31, v31
	v_fmac_f32_e32 v10, v28, v28
	v_fmac_f32_e32 v10, v29, v29
	v_fmac_f32_e32 v10, v26, v26
	v_fmac_f32_e32 v10, v27, v27
	v_fmac_f32_e32 v10, v24, v24
	v_fmac_f32_e32 v10, v25, v25
	v_fmac_f32_e32 v10, v22, v22
	v_fmac_f32_e32 v10, v23, v23
	v_fmac_f32_e32 v10, v20, v20
	v_fmac_f32_e32 v10, v21, v21
	s_nop 1
	v_mov_b32_dpp v11, v10 quad_perm:[1,0,3,2] row_mask:0xf bank_mask:0xf
	v_add_f32_e32 v10, v10, v11
	s_nop 1
	v_mov_b32_dpp v11, v10 quad_perm:[2,3,0,1] row_mask:0xf bank_mask:0xf
	v_add_f32_e32 v10, v10, v11
	s_nop 1
	v_mov_b32_dpp v11, v10 row_half_mirror row_mask:0xf bank_mask:0xf
	v_add_f32_e32 v10, v10, v11
	s_nop 1
	v_mov_b32_dpp v11, v10 row_mirror row_mask:0xf bank_mask:0xf
	v_add_f32_e32 v10, v10, v11
	s_nop 1
	v_mov_b32_dpp v11, v10 row_bcast:15 row_mask:0xf bank_mask:0xf
	v_add_f32_e32 v10, v10, v11
	s_nop 1
	v_mov_b32_dpp v11, v10 row_bcast:31 row_mask:0xf bank_mask:0xf
	s_and_saveexec_b64 s[0:1], s[8:9]
	s_cbranch_execz .LBB896_32
; %bb.31:
	v_lshrrev_b32_e32 v0, 4, v0
	v_add_f32_e32 v10, v10, v11
	v_and_b32_e32 v0, 60, v0
	ds_write_b32 v0, v10
.LBB896_32:
	s_or_b64 exec, exec, s[0:1]
	s_waitcnt lgkmcnt(0)
	s_barrier
	ds_read_b32 v0, v34
	s_waitcnt lgkmcnt(0)
	s_nop 0
	v_mov_b32_dpp v10, v0 quad_perm:[1,0,3,2] row_mask:0xf bank_mask:0xf
	v_add_f32_e32 v0, v0, v10
	s_nop 1
	v_mov_b32_dpp v10, v0 quad_perm:[2,3,0,1] row_mask:0xf bank_mask:0xf
	v_add_f32_e32 v0, v0, v10
	s_nop 1
	v_mov_b32_dpp v10, v0 row_half_mirror row_mask:0xf bank_mask:0xf
	s_and_saveexec_b64 s[0:1], vcc
	s_cbranch_execz .LBB896_17
; %bb.33:
	v_cvt_f32_u32_e32 v11, s16
	v_add_f32_e32 v0, v0, v10
	s_mov_b32 s23, 0x20000
	v_div_scale_f32 v10, s[0:1], v11, v11, v0
	v_rcp_f32_e32 v12, v10
	v_div_scale_f32 v13, vcc, v0, v11, v0
	s_mov_b32 s0, 0x800000
	v_fma_f32 v14, -v10, v12, 1.0
	v_fmac_f32_e32 v12, v14, v12
	v_mul_f32_e32 v14, v13, v12
	v_fma_f32 v15, -v10, v14, v13
	v_fmac_f32_e32 v14, v15, v12
	v_fma_f32 v10, -v10, v14, v13
	v_div_fmas_f32 v10, v10, v12, v14
	v_div_fixup_f32 v0, v10, v11, v0
	v_add_f32_e32 v0, s13, v0
	v_mul_f32_e32 v10, 0x4b800000, v0
	v_cmp_gt_f32_e32 vcc, s0, v0
	v_cndmask_b32_e32 v0, v0, v10, vcc
	v_rsq_f32_e32 v0, v0
	s_mul_hi_i32 s1, s25, s6
	s_mul_i32 s0, s25, s6
	s_lshl_b64 s[0:1], s[0:1], 1
	v_mul_f32_e32 v10, 0x45800000, v0
	v_cndmask_b32_e32 v10, v0, v10, vcc
	v_mov_b32_e32 v11, v10
	s_add_u32 s20, s14, s0
	;;#ASMSTART
	v_pk_mul_f32 v[12:13], v[18:19], v[10:11]
	;;#ASMEND
	;;#ASMSTART
	v_pk_mul_f32 v[14:15], v[32:33], v[10:11]
	;;#ASMEND
	;;#ASMSTART
	v_pk_mul_f32 v[16:17], v[30:31], v[10:11]
	;;#ASMEND
	;;#ASMSTART
	v_pk_mul_f32 v[18:19], v[28:29], v[10:11]
	;;#ASMEND
	;;#ASMSTART
	v_pk_mul_f32 v[26:27], v[26:27], v[10:11]
	;;#ASMEND
	;;#ASMSTART
	v_pk_mul_f32 v[24:25], v[24:25], v[10:11]
	;;#ASMEND
	;;#ASMSTART
	v_pk_mul_f32 v[22:23], v[22:23], v[10:11]
	;;#ASMEND
	;;#ASMSTART
	v_pk_mul_f32 v[10:11], v[20:21], v[10:11]
	;;#ASMEND
	s_waitcnt vmcnt(1)
	v_cvt_f32_u32_sdwa v21, v6 dst_sel:DWORD dst_unused:UNUSED_PAD src0_sel:WORD_1
	v_cvt_f32_u32_sdwa v20, v6 dst_sel:DWORD dst_unused:UNUSED_PAD src0_sel:WORD_0
	v_cvt_f32_u32_sdwa v29, v7 dst_sel:DWORD dst_unused:UNUSED_PAD src0_sel:WORD_1
	v_cvt_f32_u32_sdwa v28, v7 dst_sel:DWORD dst_unused:UNUSED_PAD src0_sel:WORD_0
	;; [unrolled: 2-line block ×3, first 2 shown]
	s_addc_u32 s0, s15, s1
	v_cvt_f32_u32_sdwa v31, v9 dst_sel:DWORD dst_unused:UNUSED_PAD src0_sel:WORD_1
	v_cvt_f32_u32_sdwa v30, v9 dst_sel:DWORD dst_unused:UNUSED_PAD src0_sel:WORD_0
	;;#ASMSTART
	v_pk_mul_f32 v[8:9], v[12:13], v[20:21]
	;;#ASMEND
	;;#ASMSTART
	v_pk_mul_f32 v[12:13], v[14:15], v[28:29]
	;;#ASMEND
	;;#ASMSTART
	v_pk_mul_f32 v[6:7], v[16:17], v[6:7]
	;;#ASMEND
	;;#ASMSTART
	v_pk_mul_f32 v[14:15], v[18:19], v[30:31]
	;;#ASMEND
	s_waitcnt vmcnt(0)
	v_cvt_f32_u32_sdwa v17, v2 dst_sel:DWORD dst_unused:UNUSED_PAD src0_sel:WORD_1
	v_cvt_f32_u32_sdwa v16, v2 dst_sel:DWORD dst_unused:UNUSED_PAD src0_sel:WORD_0
	v_cvt_f32_u32_sdwa v19, v3 dst_sel:DWORD dst_unused:UNUSED_PAD src0_sel:WORD_1
	v_cvt_f32_u32_sdwa v18, v3 dst_sel:DWORD dst_unused:UNUSED_PAD src0_sel:WORD_0
	;; [unrolled: 2-line block ×3, first 2 shown]
	s_and_b32 s21, s0, 0xffff
	s_mov_b32 s0, 0x7060302
	v_cvt_f32_u32_sdwa v21, v5 dst_sel:DWORD dst_unused:UNUSED_PAD src0_sel:WORD_1
	v_cvt_f32_u32_sdwa v20, v5 dst_sel:DWORD dst_unused:UNUSED_PAD src0_sel:WORD_0
	;;#ASMSTART
	v_pk_mul_f32 v[16:17], v[26:27], v[16:17]
	;;#ASMEND
	;;#ASMSTART
	v_pk_mul_f32 v[18:19], v[24:25], v[18:19]
	;;#ASMEND
	;; [unrolled: 3-line block ×3, first 2 shown]
	v_perm_b32 v2, v9, v8, s0
	v_perm_b32 v3, v13, v12, s0
	;; [unrolled: 1-line block ×4, first 2 shown]
	;;#ASMSTART
	v_pk_mul_f32 v[10:11], v[10:11], v[20:21]
	;;#ASMEND
	buffer_store_dwordx4 v[2:5], v1, s[20:23], 0 offen
	;;#ASMSTART
	s_nop 0
	;;#ASMEND
	s_nop 0
	v_perm_b32 v2, v17, v16, s0
	v_perm_b32 v3, v19, v18, s0
	v_perm_b32 v4, v23, v22, s0
	v_perm_b32 v5, v11, v10, s0
	buffer_store_dwordx4 v[2:5], v1, s[20:23], 16 offen
	;;#ASMSTART
	s_nop 0
	;;#ASMEND
	s_endpgm
	.section	.rodata,"a",@progbits
	.p2align	6, 0x0
	.amdhsa_kernel _ZN5aiter35fused_qk_rmsnorm_group_quant_kernelItN4opus5fp4_tELi512ELi16ELi8ELb1ELb1ELb0ELb1ELb0ELb0EEEvPT0_PvPT_S7_S7_PKS6_S9_S9_S9_S9_ffiiiiiiiiiiiii
		.amdhsa_group_segment_fixed_size 64
		.amdhsa_private_segment_fixed_size 0
		.amdhsa_kernarg_size 400
		.amdhsa_user_sgpr_count 6
		.amdhsa_user_sgpr_private_segment_buffer 1
		.amdhsa_user_sgpr_dispatch_ptr 0
		.amdhsa_user_sgpr_queue_ptr 0
		.amdhsa_user_sgpr_kernarg_segment_ptr 1
		.amdhsa_user_sgpr_dispatch_id 0
		.amdhsa_user_sgpr_flat_scratch_init 0
		.amdhsa_user_sgpr_kernarg_preload_length 0
		.amdhsa_user_sgpr_kernarg_preload_offset 0
		.amdhsa_user_sgpr_private_segment_size 0
		.amdhsa_uses_dynamic_stack 0
		.amdhsa_system_sgpr_private_segment_wavefront_offset 0
		.amdhsa_system_sgpr_workgroup_id_x 1
		.amdhsa_system_sgpr_workgroup_id_y 1
		.amdhsa_system_sgpr_workgroup_id_z 0
		.amdhsa_system_sgpr_workgroup_info 0
		.amdhsa_system_vgpr_workitem_id 0
		.amdhsa_next_free_vgpr 90
		.amdhsa_next_free_sgpr 32
		.amdhsa_accum_offset 92
		.amdhsa_reserve_vcc 1
		.amdhsa_reserve_flat_scratch 0
		.amdhsa_float_round_mode_32 0
		.amdhsa_float_round_mode_16_64 0
		.amdhsa_float_denorm_mode_32 3
		.amdhsa_float_denorm_mode_16_64 3
		.amdhsa_dx10_clamp 1
		.amdhsa_ieee_mode 1
		.amdhsa_fp16_overflow 0
		.amdhsa_tg_split 0
		.amdhsa_exception_fp_ieee_invalid_op 0
		.amdhsa_exception_fp_denorm_src 0
		.amdhsa_exception_fp_ieee_div_zero 0
		.amdhsa_exception_fp_ieee_overflow 0
		.amdhsa_exception_fp_ieee_underflow 0
		.amdhsa_exception_fp_ieee_inexact 0
		.amdhsa_exception_int_div_zero 0
	.end_amdhsa_kernel
	.section	.text._ZN5aiter35fused_qk_rmsnorm_group_quant_kernelItN4opus5fp4_tELi512ELi16ELi8ELb1ELb1ELb0ELb1ELb0ELb0EEEvPT0_PvPT_S7_S7_PKS6_S9_S9_S9_S9_ffiiiiiiiiiiiii,"axG",@progbits,_ZN5aiter35fused_qk_rmsnorm_group_quant_kernelItN4opus5fp4_tELi512ELi16ELi8ELb1ELb1ELb0ELb1ELb0ELb0EEEvPT0_PvPT_S7_S7_PKS6_S9_S9_S9_S9_ffiiiiiiiiiiiii,comdat
.Lfunc_end896:
	.size	_ZN5aiter35fused_qk_rmsnorm_group_quant_kernelItN4opus5fp4_tELi512ELi16ELi8ELb1ELb1ELb0ELb1ELb0ELb0EEEvPT0_PvPT_S7_S7_PKS6_S9_S9_S9_S9_ffiiiiiiiiiiiii, .Lfunc_end896-_ZN5aiter35fused_qk_rmsnorm_group_quant_kernelItN4opus5fp4_tELi512ELi16ELi8ELb1ELb1ELb0ELb1ELb0ELb0EEEvPT0_PvPT_S7_S7_PKS6_S9_S9_S9_S9_ffiiiiiiiiiiiii
                                        ; -- End function
	.section	.AMDGPU.csdata,"",@progbits
; Kernel info:
; codeLenInByte = 3472
; NumSgprs: 36
; NumVgprs: 90
; NumAgprs: 0
; TotalNumVgprs: 90
; ScratchSize: 0
; MemoryBound: 0
; FloatMode: 240
; IeeeMode: 1
; LDSByteSize: 64 bytes/workgroup (compile time only)
; SGPRBlocks: 4
; VGPRBlocks: 11
; NumSGPRsForWavesPerEU: 36
; NumVGPRsForWavesPerEU: 90
; AccumOffset: 92
; Occupancy: 5
; WaveLimiterHint : 0
; COMPUTE_PGM_RSRC2:SCRATCH_EN: 0
; COMPUTE_PGM_RSRC2:USER_SGPR: 6
; COMPUTE_PGM_RSRC2:TRAP_HANDLER: 0
; COMPUTE_PGM_RSRC2:TGID_X_EN: 1
; COMPUTE_PGM_RSRC2:TGID_Y_EN: 1
; COMPUTE_PGM_RSRC2:TGID_Z_EN: 0
; COMPUTE_PGM_RSRC2:TIDIG_COMP_CNT: 0
; COMPUTE_PGM_RSRC3_GFX90A:ACCUM_OFFSET: 22
; COMPUTE_PGM_RSRC3_GFX90A:TG_SPLIT: 0
	.section	.text._ZN5aiter35fused_qk_rmsnorm_group_quant_kernelIDF16_DB8_Li512ELi16ELi8ELb0ELb1ELb1ELb1ELb0ELb0EEEvPT0_PvPT_S6_S6_PKS5_S8_S8_S8_S8_ffiiiiiiiiiiiii,"axG",@progbits,_ZN5aiter35fused_qk_rmsnorm_group_quant_kernelIDF16_DB8_Li512ELi16ELi8ELb0ELb1ELb1ELb1ELb0ELb0EEEvPT0_PvPT_S6_S6_PKS5_S8_S8_S8_S8_ffiiiiiiiiiiiii,comdat
	.protected	_ZN5aiter35fused_qk_rmsnorm_group_quant_kernelIDF16_DB8_Li512ELi16ELi8ELb0ELb1ELb1ELb1ELb0ELb0EEEvPT0_PvPT_S6_S6_PKS5_S8_S8_S8_S8_ffiiiiiiiiiiiii ; -- Begin function _ZN5aiter35fused_qk_rmsnorm_group_quant_kernelIDF16_DB8_Li512ELi16ELi8ELb0ELb1ELb1ELb1ELb0ELb0EEEvPT0_PvPT_S6_S6_PKS5_S8_S8_S8_S8_ffiiiiiiiiiiiii
	.globl	_ZN5aiter35fused_qk_rmsnorm_group_quant_kernelIDF16_DB8_Li512ELi16ELi8ELb0ELb1ELb1ELb1ELb0ELb0EEEvPT0_PvPT_S6_S6_PKS5_S8_S8_S8_S8_ffiiiiiiiiiiiii
	.p2align	8
	.type	_ZN5aiter35fused_qk_rmsnorm_group_quant_kernelIDF16_DB8_Li512ELi16ELi8ELb0ELb1ELb1ELb1ELb0ELb0EEEvPT0_PvPT_S6_S6_PKS5_S8_S8_S8_S8_ffiiiiiiiiiiiii,@function
_ZN5aiter35fused_qk_rmsnorm_group_quant_kernelIDF16_DB8_Li512ELi16ELi8ELb0ELb1ELb1ELb1ELb0ELb0EEEvPT0_PvPT_S6_S6_PKS5_S8_S8_S8_S8_ffiiiiiiiiiiiii: ; @_ZN5aiter35fused_qk_rmsnorm_group_quant_kernelIDF16_DB8_Li512ELi16ELi8ELb0ELb1ELb1ELb1ELb0ELb0EEEvPT0_PvPT_S6_S6_PKS5_S8_S8_S8_S8_ffiiiiiiiiiiiii
; %bb.0:
	s_load_dwordx4 s[12:15], s[4:5], 0x50
	s_waitcnt lgkmcnt(0)
	s_cmp_ge_i32 s6, s14
	s_cbranch_scc1 .LBB897_12
; %bb.1:
	s_load_dwordx2 s[24:25], s[4:5], 0x30
	s_load_dwordx2 s[8:9], s[4:5], 0x48
	s_load_dwordx4 s[16:19], s[4:5], 0x60
	s_cmp_lg_u32 s7, 0
	s_cselect_b64 s[10:11], -1, 0
	s_cmp_eq_u32 s7, 0
	s_cselect_b64 vcc, -1, 0
	s_and_b64 s[0:1], vcc, exec
	s_waitcnt lgkmcnt(0)
	s_cselect_b32 s7, s15, s16
	s_add_i32 s0, s7, 1
	s_lshr_b32 s1, s0, 31
	s_add_i32 s0, s0, s1
	s_lshl_b32 s0, s0, 1
	v_lshlrev_b32_e32 v1, 4, v0
	s_and_b32 s22, s0, -4
	v_cmp_gt_i32_e64 s[2:3], s7, v1
	v_mov_b32_e32 v18, 0
	v_mov_b32_e32 v6, 0
	;; [unrolled: 1-line block ×17, first 2 shown]
	s_and_saveexec_b64 s[0:1], s[2:3]
	s_cbranch_execz .LBB897_3
; %bb.2:
	s_load_dwordx2 s[14:15], s[4:5], 0x28
	s_load_dwordx2 s[20:21], s[4:5], 0x40
	s_and_b64 s[26:27], vcc, exec
	s_cselect_b32 s17, s17, s18
	s_mov_b32 s30, s22
	s_waitcnt lgkmcnt(0)
	s_cselect_b32 s19, s15, s25
	s_cselect_b32 s23, s14, s24
	s_mul_hi_i32 s15, s17, s6
	s_mul_i32 s14, s17, s6
	s_lshl_b64 s[14:15], s[14:15], 1
	s_add_u32 s28, s23, s14
	s_addc_u32 s17, s19, s15
	s_and_b64 s[14:15], vcc, exec
	s_mov_b32 s23, 0x20000
	s_cselect_b32 s20, s20, s8
	s_cselect_b32 s14, s21, s9
	s_and_b32 s29, s17, 0xffff
	s_mov_b32 s31, s23
	v_lshlrev_b32_e32 v19, 5, v0
	s_and_b32 s21, s14, 0xffff
	buffer_load_dwordx4 v[14:17], v19, s[28:31], 0 offen
	buffer_load_dwordx4 v[10:13], v19, s[28:31], 16 offen
	;; [unrolled: 1-line block ×4, first 2 shown]
.LBB897_3:
	s_or_b64 exec, exec, s[0:1]
	v_mov_b32_e32 v19, 0
	v_mov_b32_e32 v22, 0
	;; [unrolled: 1-line block ×15, first 2 shown]
	s_and_saveexec_b64 s[0:1], s[2:3]
	s_cbranch_execz .LBB897_5
; %bb.4:
	s_waitcnt vmcnt(3)
	v_cvt_f32_f16_sdwa v19, v14 dst_sel:DWORD dst_unused:UNUSED_PAD src0_sel:WORD_1
	v_cvt_f32_f16_e32 v18, v14
	v_cvt_f32_f16_sdwa v23, v15 dst_sel:DWORD dst_unused:UNUSED_PAD src0_sel:WORD_1
	v_cvt_f32_f16_e32 v22, v15
	;; [unrolled: 2-line block ×4, first 2 shown]
	s_waitcnt vmcnt(2)
	v_cvt_f32_f16_sdwa v21, v10 dst_sel:DWORD dst_unused:UNUSED_PAD src0_sel:WORD_1
	v_cvt_f32_f16_e32 v20, v10
	v_cvt_f32_f16_sdwa v29, v11 dst_sel:DWORD dst_unused:UNUSED_PAD src0_sel:WORD_1
	v_cvt_f32_f16_e32 v28, v11
	;; [unrolled: 2-line block ×4, first 2 shown]
.LBB897_5:
	s_or_b64 exec, exec, s[0:1]
	s_waitcnt vmcnt(2)
	v_mul_f32_e32 v10, v19, v19
	v_fmac_f32_e32 v10, v18, v18
	v_fmac_f32_e32 v10, v22, v22
	v_fmac_f32_e32 v10, v23, v23
	v_fmac_f32_e32 v10, v24, v24
	v_fmac_f32_e32 v10, v25, v25
	v_fmac_f32_e32 v10, v32, v32
	v_fmac_f32_e32 v10, v33, v33
	v_fmac_f32_e32 v10, v20, v20
	v_fmac_f32_e32 v10, v21, v21
	v_fmac_f32_e32 v10, v28, v28
	v_fmac_f32_e32 v10, v29, v29
	v_fmac_f32_e32 v10, v30, v30
	v_fmac_f32_e32 v10, v31, v31
	v_fmac_f32_e32 v10, v26, v26
	v_fmac_f32_e32 v10, v27, v27
	v_and_b32_e32 v12, 63, v0
	v_cmp_eq_u32_e64 s[0:1], 63, v12
	v_mov_b32_dpp v11, v10 quad_perm:[1,0,3,2] row_mask:0xf bank_mask:0xf
	v_add_f32_e32 v10, v10, v11
	s_nop 1
	v_mov_b32_dpp v11, v10 quad_perm:[2,3,0,1] row_mask:0xf bank_mask:0xf
	v_add_f32_e32 v10, v10, v11
	s_nop 1
	v_mov_b32_dpp v11, v10 row_half_mirror row_mask:0xf bank_mask:0xf
	v_add_f32_e32 v10, v10, v11
	s_nop 1
	v_mov_b32_dpp v11, v10 row_mirror row_mask:0xf bank_mask:0xf
	v_add_f32_e32 v10, v10, v11
	s_nop 1
	v_mov_b32_dpp v11, v10 row_bcast:15 row_mask:0xf bank_mask:0xf
	v_add_f32_e32 v10, v10, v11
	s_nop 1
	v_mov_b32_dpp v11, v10 row_bcast:31 row_mask:0xf bank_mask:0xf
	s_and_saveexec_b64 s[14:15], s[0:1]
	s_cbranch_execz .LBB897_7
; %bb.6:
	v_add_f32_e32 v10, v10, v11
	v_lshrrev_b32_e32 v11, 4, v0
	v_and_b32_e32 v11, 60, v11
	ds_write_b32 v11, v10 offset:32
.LBB897_7:
	s_or_b64 exec, exec, s[14:15]
	v_and_b32_e32 v10, 7, v0
	v_lshlrev_b32_e32 v34, 2, v10
	s_waitcnt lgkmcnt(0)
	s_barrier
	ds_read_b32 v10, v34 offset:32
	s_load_dwordx2 s[14:15], s[4:5], 0x18
	s_waitcnt lgkmcnt(0)
	v_mov_b32_dpp v11, v10 quad_perm:[1,0,3,2] row_mask:0xf bank_mask:0xf
	v_add_f32_e32 v10, v10, v11
	s_nop 1
	v_mov_b32_dpp v11, v10 quad_perm:[2,3,0,1] row_mask:0xf bank_mask:0xf
	v_add_f32_e32 v10, v10, v11
	s_nop 1
	v_mov_b32_dpp v11, v10 row_half_mirror row_mask:0xf bank_mask:0xf
	s_and_saveexec_b64 s[20:21], s[2:3]
	s_cbranch_execz .LBB897_9
; %bb.8:
	v_cvt_f32_u32_e32 v12, s7
	v_add_f32_e32 v10, v10, v11
	v_mov_b32_e32 v14, s13
	v_mov_b32_e32 v15, s12
	v_div_scale_f32 v11, s[26:27], v12, v12, v10
	v_rcp_f32_e32 v13, v11
	v_cndmask_b32_e32 v14, v14, v15, vcc
	s_mov_b32 s7, 0x800000
	v_fma_f32 v15, -v11, v13, 1.0
	v_fmac_f32_e32 v13, v15, v13
	v_div_scale_f32 v15, vcc, v10, v12, v10
	v_mul_f32_e32 v16, v15, v13
	v_fma_f32 v17, -v11, v16, v15
	v_fmac_f32_e32 v16, v17, v13
	v_fma_f32 v11, -v11, v16, v15
	v_div_fmas_f32 v11, v11, v13, v16
	v_div_fixup_f32 v10, v11, v12, v10
	v_add_f32_e32 v10, v14, v10
	v_mul_f32_e32 v11, 0x4b800000, v10
	v_cmp_gt_f32_e32 vcc, s7, v10
	v_cndmask_b32_e32 v10, v10, v11, vcc
	v_rsq_f32_e32 v10, v10
	v_mul_f32_e32 v11, 0x45800000, v10
	v_cndmask_b32_e32 v10, v10, v11, vcc
	v_mov_b32_e32 v11, v10
	;;#ASMSTART
	v_pk_mul_f32 v[12:13], v[18:19], v[10:11]
	;;#ASMEND
	s_waitcnt vmcnt(1)
	v_cvt_f32_f16_sdwa v19, v6 dst_sel:DWORD dst_unused:UNUSED_PAD src0_sel:WORD_1
	v_cvt_f32_f16_e32 v18, v6
	;;#ASMSTART
	v_pk_mul_f32 v[14:15], v[22:23], v[10:11]
	;;#ASMEND
	v_cvt_f32_f16_sdwa v23, v7 dst_sel:DWORD dst_unused:UNUSED_PAD src0_sel:WORD_1
	v_cvt_f32_f16_e32 v22, v7
	;;#ASMSTART
	v_pk_mul_f32 v[16:17], v[24:25], v[10:11]
	;;#ASMEND
	;;#ASMSTART
	v_pk_mul_f32 v[32:33], v[32:33], v[10:11]
	;;#ASMEND
	;; [unrolled: 3-line block ×6, first 2 shown]
	v_pk_add_f32 v[10:11], v[18:19], 1.0 op_sel_hi:[1,0]
	;;#ASMSTART
	v_pk_mul_f32 v[18:19], v[12:13], v[10:11]
	;;#ASMEND
	v_cvt_f32_f16_sdwa v13, v8 dst_sel:DWORD dst_unused:UNUSED_PAD src0_sel:WORD_1
	v_cvt_f32_f16_e32 v12, v8
	v_cvt_f32_f16_sdwa v27, v9 dst_sel:DWORD dst_unused:UNUSED_PAD src0_sel:WORD_1
	v_cvt_f32_f16_e32 v26, v9
	v_pk_add_f32 v[10:11], v[22:23], 1.0 op_sel_hi:[1,0]
	;;#ASMSTART
	v_pk_mul_f32 v[22:23], v[14:15], v[10:11]
	;;#ASMEND
	s_waitcnt vmcnt(0)
	v_cvt_f32_f16_sdwa v11, v2 dst_sel:DWORD dst_unused:UNUSED_PAD src0_sel:WORD_1
	v_cvt_f32_f16_e32 v10, v2
	v_pk_add_f32 v[8:9], v[12:13], 1.0 op_sel_hi:[1,0]
	;;#ASMSTART
	v_pk_mul_f32 v[24:25], v[16:17], v[8:9]
	;;#ASMEND
	v_pk_add_f32 v[8:9], v[26:27], 1.0 op_sel_hi:[1,0]
	v_cvt_f32_f16_sdwa v13, v3 dst_sel:DWORD dst_unused:UNUSED_PAD src0_sel:WORD_1
	v_cvt_f32_f16_e32 v12, v3
	;;#ASMSTART
	v_pk_mul_f32 v[32:33], v[32:33], v[8:9]
	;;#ASMEND
	v_cvt_f32_f16_sdwa v9, v4 dst_sel:DWORD dst_unused:UNUSED_PAD src0_sel:WORD_1
	v_cvt_f32_f16_e32 v8, v4
	v_pk_add_f32 v[2:3], v[10:11], 1.0 op_sel_hi:[1,0]
	v_cvt_f32_f16_sdwa v11, v5 dst_sel:DWORD dst_unused:UNUSED_PAD src0_sel:WORD_1
	v_cvt_f32_f16_e32 v10, v5
	;;#ASMSTART
	v_pk_mul_f32 v[20:21], v[20:21], v[2:3]
	;;#ASMEND
	v_pk_add_f32 v[2:3], v[12:13], 1.0 op_sel_hi:[1,0]
	;;#ASMSTART
	v_pk_mul_f32 v[28:29], v[28:29], v[2:3]
	;;#ASMEND
	v_pk_add_f32 v[2:3], v[8:9], 1.0 op_sel_hi:[1,0]
	;; [unrolled: 4-line block ×3, first 2 shown]
	;;#ASMSTART
	v_pk_mul_f32 v[26:27], v[6:7], v[2:3]
	;;#ASMEND
.LBB897_9:
	s_or_b64 exec, exec, s[20:21]
	s_load_dwordx2 s[26:27], s[4:5], 0x7c
	s_mov_b64 s[20:21], -1
	s_and_b64 vcc, exec, s[10:11]
	s_cbranch_vccnz .LBB897_13
; %bb.10:
	s_andn2_b64 vcc, exec, s[20:21]
	s_cbranch_vccz .LBB897_16
.LBB897_11:
	s_cmp_lt_i32 s16, 1
	s_cbranch_scc0 .LBB897_19
.LBB897_12:
	s_endpgm
.LBB897_13:
	s_and_saveexec_b64 s[10:11], s[2:3]
	s_cbranch_execz .LBB897_15
; %bb.14:
	s_waitcnt lgkmcnt(0)
	s_mul_hi_i32 s21, s27, s6
	s_mul_i32 s20, s27, s6
	s_waitcnt vmcnt(0)
	v_cvt_f16_f32_e32 v2, v18
	v_cvt_f16_f32_e32 v3, v22
	;; [unrolled: 1-line block ×8, first 2 shown]
	s_lshl_b64 s[20:21], s[20:21], 1
	s_add_u32 s20, s14, s20
	s_addc_u32 s7, s15, s21
	s_and_b32 s21, s7, 0xffff
	s_mov_b32 s23, 0x20000
	v_pack_b32_f16 v5, v5, v6
	v_pack_b32_f16 v4, v4, v7
	;; [unrolled: 1-line block ×4, first 2 shown]
	v_lshlrev_b32_e32 v6, 5, v0
	buffer_store_dwordx4 v[2:5], v6, s[20:23], 0 offen
	v_cvt_f16_f32_e32 v7, v27
	v_cvt_f16_f32_e32 v2, v20
	;; [unrolled: 1-line block ×8, first 2 shown]
	v_pack_b32_f16 v5, v5, v7
	v_pack_b32_f16 v4, v4, v8
	;; [unrolled: 1-line block ×4, first 2 shown]
	;;#ASMSTART
	s_nop 0
	;;#ASMEND
	buffer_store_dwordx4 v[2:5], v6, s[20:23], 16 offen
	;;#ASMSTART
	s_nop 0
	;;#ASMEND
.LBB897_15:
	s_or_b64 exec, exec, s[10:11]
	s_cbranch_execnz .LBB897_11
.LBB897_16:
	s_and_saveexec_b64 s[10:11], s[2:3]
	s_cbranch_execz .LBB897_18
; %bb.17:
	s_load_dwordx2 s[2:3], s[4:5], 0x10
	s_waitcnt lgkmcnt(0)
	s_mul_hi_i32 s21, s26, s6
	s_mul_i32 s20, s26, s6
	s_waitcnt vmcnt(0)
	v_cvt_f16_f32_e32 v2, v18
	v_cvt_f16_f32_e32 v3, v22
	;; [unrolled: 1-line block ×8, first 2 shown]
	s_lshl_b64 s[20:21], s[20:21], 1
	s_add_u32 s20, s2, s20
	s_addc_u32 s2, s3, s21
	s_mov_b32 s23, 0x20000
	s_and_b32 s21, s2, 0xffff
	v_pack_b32_f16 v5, v5, v6
	v_pack_b32_f16 v4, v4, v7
	;; [unrolled: 1-line block ×4, first 2 shown]
	v_lshlrev_b32_e32 v6, 5, v0
	buffer_store_dwordx4 v[2:5], v6, s[20:23], 0 offen
	v_cvt_f16_f32_e32 v7, v27
	v_cvt_f16_f32_e32 v2, v20
	;; [unrolled: 1-line block ×8, first 2 shown]
	v_pack_b32_f16 v5, v5, v7
	v_pack_b32_f16 v4, v4, v8
	;; [unrolled: 1-line block ×4, first 2 shown]
	;;#ASMSTART
	s_nop 0
	;;#ASMEND
	buffer_store_dwordx4 v[2:5], v6, s[20:23], 16 offen
	;;#ASMSTART
	s_nop 0
	;;#ASMEND
.LBB897_18:
	s_or_b64 exec, exec, s[10:11]
	s_cmp_lt_i32 s16, 1
	s_cbranch_scc1 .LBB897_12
.LBB897_19:
	s_load_dword s2, s[4:5], 0x94
	s_waitcnt lgkmcnt(0)
	s_cmp_lg_u32 s2, 1
	s_cbranch_scc1 .LBB897_12
; %bb.20:
	s_lshl_b32 s2, s16, 1
	s_add_i32 s2, s2, 2
	v_cmp_gt_u32_e32 vcc, s16, v1
	s_and_b32 s10, s2, -4
	v_mov_b32_e32 v18, 0
	v_lshlrev_b32_e32 v1, 5, v0
	v_mov_b32_e32 v14, 0
	v_mov_b32_e32 v15, 0
	;; [unrolled: 1-line block ×8, first 2 shown]
	s_waitcnt vmcnt(1)
	v_mov_b32_e32 v6, 0
	v_mov_b32_e32 v7, 0
	;; [unrolled: 1-line block ×4, first 2 shown]
	s_waitcnt vmcnt(0)
	v_mov_b32_e32 v2, 0
	v_mov_b32_e32 v3, 0
	;; [unrolled: 1-line block ×4, first 2 shown]
	s_barrier
	s_and_saveexec_b64 s[2:3], vcc
	s_cbranch_execz .LBB897_22
; %bb.21:
	s_mul_hi_i32 s5, s18, s6
	s_mul_i32 s4, s18, s6
	s_and_b32 s9, s9, 0xffff
	s_lshl_b64 s[4:5], s[4:5], 1
	s_add_u32 s20, s24, s4
	s_mov_b32 s11, 0x20000
	s_addc_u32 s4, s25, s5
	s_and_b32 s21, s4, 0xffff
	s_mov_b32 s22, s10
	s_mov_b32 s23, s11
	buffer_load_dwordx4 v[14:17], v1, s[20:23], 0 offen
	buffer_load_dwordx4 v[10:13], v1, s[20:23], 16 offen
	;; [unrolled: 1-line block ×4, first 2 shown]
.LBB897_22:
	s_or_b64 exec, exec, s[2:3]
	v_mov_b32_e32 v19, 0
	v_mov_b32_e32 v32, 0
	;; [unrolled: 1-line block ×15, first 2 shown]
	s_and_saveexec_b64 s[2:3], vcc
	s_cbranch_execz .LBB897_24
; %bb.23:
	s_waitcnt vmcnt(3)
	v_cvt_f32_f16_sdwa v19, v14 dst_sel:DWORD dst_unused:UNUSED_PAD src0_sel:WORD_1
	v_cvt_f32_f16_e32 v18, v14
	v_cvt_f32_f16_sdwa v33, v15 dst_sel:DWORD dst_unused:UNUSED_PAD src0_sel:WORD_1
	v_cvt_f32_f16_e32 v32, v15
	;; [unrolled: 2-line block ×4, first 2 shown]
	s_waitcnt vmcnt(2)
	v_cvt_f32_f16_sdwa v27, v10 dst_sel:DWORD dst_unused:UNUSED_PAD src0_sel:WORD_1
	v_cvt_f32_f16_e32 v26, v10
	v_cvt_f32_f16_sdwa v25, v11 dst_sel:DWORD dst_unused:UNUSED_PAD src0_sel:WORD_1
	v_cvt_f32_f16_e32 v24, v11
	;; [unrolled: 2-line block ×4, first 2 shown]
.LBB897_24:
	s_or_b64 exec, exec, s[2:3]
	s_waitcnt vmcnt(2)
	v_mul_f32_e32 v10, v19, v19
	v_fmac_f32_e32 v10, v18, v18
	v_fmac_f32_e32 v10, v32, v32
	;; [unrolled: 1-line block ×15, first 2 shown]
	s_nop 1
	v_mov_b32_dpp v11, v10 quad_perm:[1,0,3,2] row_mask:0xf bank_mask:0xf
	v_add_f32_e32 v10, v10, v11
	s_nop 1
	v_mov_b32_dpp v11, v10 quad_perm:[2,3,0,1] row_mask:0xf bank_mask:0xf
	v_add_f32_e32 v10, v10, v11
	s_nop 1
	v_mov_b32_dpp v11, v10 row_half_mirror row_mask:0xf bank_mask:0xf
	v_add_f32_e32 v10, v10, v11
	s_nop 1
	v_mov_b32_dpp v11, v10 row_mirror row_mask:0xf bank_mask:0xf
	v_add_f32_e32 v10, v10, v11
	s_nop 1
	v_mov_b32_dpp v11, v10 row_bcast:15 row_mask:0xf bank_mask:0xf
	v_add_f32_e32 v10, v10, v11
	s_nop 1
	v_mov_b32_dpp v11, v10 row_bcast:31 row_mask:0xf bank_mask:0xf
	s_and_saveexec_b64 s[2:3], s[0:1]
	s_cbranch_execz .LBB897_26
; %bb.25:
	v_lshrrev_b32_e32 v0, 4, v0
	v_add_f32_e32 v10, v10, v11
	v_and_b32_e32 v0, 60, v0
	ds_write_b32 v0, v10
.LBB897_26:
	s_or_b64 exec, exec, s[2:3]
	s_waitcnt lgkmcnt(0)
	s_barrier
	ds_read_b32 v0, v34
	s_waitcnt lgkmcnt(0)
	s_nop 0
	v_mov_b32_dpp v10, v0 quad_perm:[1,0,3,2] row_mask:0xf bank_mask:0xf
	v_add_f32_e32 v0, v0, v10
	s_nop 1
	v_mov_b32_dpp v10, v0 quad_perm:[2,3,0,1] row_mask:0xf bank_mask:0xf
	v_add_f32_e32 v0, v0, v10
	s_nop 1
	v_mov_b32_dpp v10, v0 row_half_mirror row_mask:0xf bank_mask:0xf
	s_and_saveexec_b64 s[0:1], vcc
	s_cbranch_execz .LBB897_12
; %bb.27:
	v_cvt_f32_u32_e32 v11, s16
	v_add_f32_e32 v0, v0, v10
	s_mov_b32 s11, 0x20000
	v_div_scale_f32 v10, s[0:1], v11, v11, v0
	v_rcp_f32_e32 v12, v10
	v_div_scale_f32 v13, vcc, v0, v11, v0
	s_mov_b32 s0, 0x800000
	v_fma_f32 v14, -v10, v12, 1.0
	v_fmac_f32_e32 v12, v14, v12
	v_mul_f32_e32 v14, v13, v12
	v_fma_f32 v15, -v10, v14, v13
	v_fmac_f32_e32 v14, v15, v12
	v_fma_f32 v10, -v10, v14, v13
	v_div_fmas_f32 v10, v10, v12, v14
	v_div_fixup_f32 v0, v10, v11, v0
	v_add_f32_e32 v0, s13, v0
	v_mul_f32_e32 v10, 0x4b800000, v0
	v_cmp_gt_f32_e32 vcc, s0, v0
	v_cndmask_b32_e32 v0, v0, v10, vcc
	v_rsq_f32_e32 v0, v0
	s_mul_hi_i32 s1, s27, s6
	s_mul_i32 s0, s27, s6
	s_lshl_b64 s[0:1], s[0:1], 1
	v_mul_f32_e32 v10, 0x45800000, v0
	v_cndmask_b32_e32 v10, v0, v10, vcc
	v_mov_b32_e32 v11, v10
	;;#ASMSTART
	v_pk_mul_f32 v[12:13], v[18:19], v[10:11]
	;;#ASMEND
	;;#ASMSTART
	v_pk_mul_f32 v[14:15], v[32:33], v[10:11]
	;;#ASMEND
	;; [unrolled: 3-line block ×4, first 2 shown]
	s_waitcnt vmcnt(1)
	v_cvt_f32_f16_sdwa v29, v6 dst_sel:DWORD dst_unused:UNUSED_PAD src0_sel:WORD_1
	v_cvt_f32_f16_e32 v28, v6
	v_cvt_f32_f16_sdwa v31, v7 dst_sel:DWORD dst_unused:UNUSED_PAD src0_sel:WORD_1
	v_cvt_f32_f16_e32 v30, v7
	;;#ASMSTART
	v_pk_mul_f32 v[26:27], v[26:27], v[10:11]
	;;#ASMEND
	;;#ASMSTART
	v_pk_mul_f32 v[24:25], v[24:25], v[10:11]
	;;#ASMEND
	;; [unrolled: 3-line block ×4, first 2 shown]
	v_cvt_f32_f16_sdwa v21, v8 dst_sel:DWORD dst_unused:UNUSED_PAD src0_sel:WORD_1
	v_cvt_f32_f16_e32 v20, v8
	v_pk_add_f32 v[10:11], v[28:29], 1.0 op_sel_hi:[1,0]
	;;#ASMSTART
	v_pk_mul_f32 v[10:11], v[12:13], v[10:11]
	;;#ASMEND
	v_pk_add_f32 v[12:13], v[30:31], 1.0 op_sel_hi:[1,0]
	v_cvt_f32_f16_sdwa v29, v9 dst_sel:DWORD dst_unused:UNUSED_PAD src0_sel:WORD_1
	v_cvt_f32_f16_e32 v28, v9
	;;#ASMSTART
	v_pk_mul_f32 v[8:9], v[14:15], v[12:13]
	;;#ASMEND
	v_pk_add_f32 v[12:13], v[20:21], 1.0 op_sel_hi:[1,0]
	;;#ASMSTART
	v_pk_mul_f32 v[12:13], v[16:17], v[12:13]
	;;#ASMEND
	s_waitcnt vmcnt(0)
	v_cvt_f32_f16_sdwa v17, v2 dst_sel:DWORD dst_unused:UNUSED_PAD src0_sel:WORD_1
	v_cvt_f32_f16_e32 v16, v2
	v_cvt_f32_f16_sdwa v21, v3 dst_sel:DWORD dst_unused:UNUSED_PAD src0_sel:WORD_1
	v_cvt_f32_f16_e32 v20, v3
	v_pk_add_f32 v[14:15], v[28:29], 1.0 op_sel_hi:[1,0]
	;;#ASMSTART
	v_pk_mul_f32 v[2:3], v[18:19], v[14:15]
	;;#ASMEND
	v_cvt_f32_f16_sdwa v19, v4 dst_sel:DWORD dst_unused:UNUSED_PAD src0_sel:WORD_1
	v_cvt_f32_f16_e32 v18, v4
	v_pk_add_f32 v[14:15], v[16:17], 1.0 op_sel_hi:[1,0]
	v_pk_add_f32 v[16:17], v[20:21], 1.0 op_sel_hi:[1,0]
	v_cvt_f32_f16_sdwa v21, v5 dst_sel:DWORD dst_unused:UNUSED_PAD src0_sel:WORD_1
	v_cvt_f32_f16_e32 v20, v5
	v_pk_add_f32 v[4:5], v[18:19], 1.0 op_sel_hi:[1,0]
	;;#ASMSTART
	v_pk_mul_f32 v[14:15], v[26:27], v[14:15]
	;;#ASMEND
	;;#ASMSTART
	v_pk_mul_f32 v[16:17], v[24:25], v[16:17]
	;;#ASMEND
	;; [unrolled: 3-line block ×3, first 2 shown]
	v_pk_add_f32 v[4:5], v[20:21], 1.0 op_sel_hi:[1,0]
	;;#ASMSTART
	v_pk_mul_f32 v[6:7], v[6:7], v[4:5]
	;;#ASMEND
	v_cvt_f16_f32_e32 v0, v10
	v_cvt_f16_f32_e32 v4, v11
	;; [unrolled: 1-line block ×8, first 2 shown]
	s_add_u32 s8, s14, s0
	s_addc_u32 s0, s15, s1
	s_and_b32 s9, s0, 0xffff
	v_pack_b32_f16 v2, v0, v4
	v_pack_b32_f16 v3, v5, v8
	;; [unrolled: 1-line block ×4, first 2 shown]
	buffer_store_dwordx4 v[2:5], v1, s[8:11], 0 offen
	v_cvt_f16_f32_e32 v0, v14
	v_cvt_f16_f32_e32 v2, v15
	;; [unrolled: 1-line block ×8, first 2 shown]
	v_pack_b32_f16 v2, v0, v2
	v_pack_b32_f16 v3, v3, v4
	;; [unrolled: 1-line block ×4, first 2 shown]
	;;#ASMSTART
	s_nop 0
	;;#ASMEND
	buffer_store_dwordx4 v[2:5], v1, s[8:11], 16 offen
	;;#ASMSTART
	s_nop 0
	;;#ASMEND
	s_endpgm
	.section	.rodata,"a",@progbits
	.p2align	6, 0x0
	.amdhsa_kernel _ZN5aiter35fused_qk_rmsnorm_group_quant_kernelIDF16_DB8_Li512ELi16ELi8ELb0ELb1ELb1ELb1ELb0ELb0EEEvPT0_PvPT_S6_S6_PKS5_S8_S8_S8_S8_ffiiiiiiiiiiiii
		.amdhsa_group_segment_fixed_size 64
		.amdhsa_private_segment_fixed_size 0
		.amdhsa_kernarg_size 400
		.amdhsa_user_sgpr_count 6
		.amdhsa_user_sgpr_private_segment_buffer 1
		.amdhsa_user_sgpr_dispatch_ptr 0
		.amdhsa_user_sgpr_queue_ptr 0
		.amdhsa_user_sgpr_kernarg_segment_ptr 1
		.amdhsa_user_sgpr_dispatch_id 0
		.amdhsa_user_sgpr_flat_scratch_init 0
		.amdhsa_user_sgpr_kernarg_preload_length 0
		.amdhsa_user_sgpr_kernarg_preload_offset 0
		.amdhsa_user_sgpr_private_segment_size 0
		.amdhsa_uses_dynamic_stack 0
		.amdhsa_system_sgpr_private_segment_wavefront_offset 0
		.amdhsa_system_sgpr_workgroup_id_x 1
		.amdhsa_system_sgpr_workgroup_id_y 1
		.amdhsa_system_sgpr_workgroup_id_z 0
		.amdhsa_system_sgpr_workgroup_info 0
		.amdhsa_system_vgpr_workitem_id 0
		.amdhsa_next_free_vgpr 35
		.amdhsa_next_free_sgpr 32
		.amdhsa_accum_offset 36
		.amdhsa_reserve_vcc 1
		.amdhsa_reserve_flat_scratch 0
		.amdhsa_float_round_mode_32 0
		.amdhsa_float_round_mode_16_64 0
		.amdhsa_float_denorm_mode_32 3
		.amdhsa_float_denorm_mode_16_64 3
		.amdhsa_dx10_clamp 1
		.amdhsa_ieee_mode 1
		.amdhsa_fp16_overflow 0
		.amdhsa_tg_split 0
		.amdhsa_exception_fp_ieee_invalid_op 0
		.amdhsa_exception_fp_denorm_src 0
		.amdhsa_exception_fp_ieee_div_zero 0
		.amdhsa_exception_fp_ieee_overflow 0
		.amdhsa_exception_fp_ieee_underflow 0
		.amdhsa_exception_fp_ieee_inexact 0
		.amdhsa_exception_int_div_zero 0
	.end_amdhsa_kernel
	.section	.text._ZN5aiter35fused_qk_rmsnorm_group_quant_kernelIDF16_DB8_Li512ELi16ELi8ELb0ELb1ELb1ELb1ELb0ELb0EEEvPT0_PvPT_S6_S6_PKS5_S8_S8_S8_S8_ffiiiiiiiiiiiii,"axG",@progbits,_ZN5aiter35fused_qk_rmsnorm_group_quant_kernelIDF16_DB8_Li512ELi16ELi8ELb0ELb1ELb1ELb1ELb0ELb0EEEvPT0_PvPT_S6_S6_PKS5_S8_S8_S8_S8_ffiiiiiiiiiiiii,comdat
.Lfunc_end897:
	.size	_ZN5aiter35fused_qk_rmsnorm_group_quant_kernelIDF16_DB8_Li512ELi16ELi8ELb0ELb1ELb1ELb1ELb0ELb0EEEvPT0_PvPT_S6_S6_PKS5_S8_S8_S8_S8_ffiiiiiiiiiiiii, .Lfunc_end897-_ZN5aiter35fused_qk_rmsnorm_group_quant_kernelIDF16_DB8_Li512ELi16ELi8ELb0ELb1ELb1ELb1ELb0ELb0EEEvPT0_PvPT_S6_S6_PKS5_S8_S8_S8_S8_ffiiiiiiiiiiiii
                                        ; -- End function
	.section	.AMDGPU.csdata,"",@progbits
; Kernel info:
; codeLenInByte = 3000
; NumSgprs: 36
; NumVgprs: 35
; NumAgprs: 0
; TotalNumVgprs: 35
; ScratchSize: 0
; MemoryBound: 0
; FloatMode: 240
; IeeeMode: 1
; LDSByteSize: 64 bytes/workgroup (compile time only)
; SGPRBlocks: 4
; VGPRBlocks: 4
; NumSGPRsForWavesPerEU: 36
; NumVGPRsForWavesPerEU: 35
; AccumOffset: 36
; Occupancy: 8
; WaveLimiterHint : 0
; COMPUTE_PGM_RSRC2:SCRATCH_EN: 0
; COMPUTE_PGM_RSRC2:USER_SGPR: 6
; COMPUTE_PGM_RSRC2:TRAP_HANDLER: 0
; COMPUTE_PGM_RSRC2:TGID_X_EN: 1
; COMPUTE_PGM_RSRC2:TGID_Y_EN: 1
; COMPUTE_PGM_RSRC2:TGID_Z_EN: 0
; COMPUTE_PGM_RSRC2:TIDIG_COMP_CNT: 0
; COMPUTE_PGM_RSRC3_GFX90A:ACCUM_OFFSET: 8
; COMPUTE_PGM_RSRC3_GFX90A:TG_SPLIT: 0
	.section	.text._ZN5aiter35fused_qk_rmsnorm_group_quant_kernelItDB8_Li512ELi16ELi8ELb0ELb1ELb1ELb1ELb0ELb0EEEvPT0_PvPT_S6_S6_PKS5_S8_S8_S8_S8_ffiiiiiiiiiiiii,"axG",@progbits,_ZN5aiter35fused_qk_rmsnorm_group_quant_kernelItDB8_Li512ELi16ELi8ELb0ELb1ELb1ELb1ELb0ELb0EEEvPT0_PvPT_S6_S6_PKS5_S8_S8_S8_S8_ffiiiiiiiiiiiii,comdat
	.protected	_ZN5aiter35fused_qk_rmsnorm_group_quant_kernelItDB8_Li512ELi16ELi8ELb0ELb1ELb1ELb1ELb0ELb0EEEvPT0_PvPT_S6_S6_PKS5_S8_S8_S8_S8_ffiiiiiiiiiiiii ; -- Begin function _ZN5aiter35fused_qk_rmsnorm_group_quant_kernelItDB8_Li512ELi16ELi8ELb0ELb1ELb1ELb1ELb0ELb0EEEvPT0_PvPT_S6_S6_PKS5_S8_S8_S8_S8_ffiiiiiiiiiiiii
	.globl	_ZN5aiter35fused_qk_rmsnorm_group_quant_kernelItDB8_Li512ELi16ELi8ELb0ELb1ELb1ELb1ELb0ELb0EEEvPT0_PvPT_S6_S6_PKS5_S8_S8_S8_S8_ffiiiiiiiiiiiii
	.p2align	8
	.type	_ZN5aiter35fused_qk_rmsnorm_group_quant_kernelItDB8_Li512ELi16ELi8ELb0ELb1ELb1ELb1ELb0ELb0EEEvPT0_PvPT_S6_S6_PKS5_S8_S8_S8_S8_ffiiiiiiiiiiiii,@function
_ZN5aiter35fused_qk_rmsnorm_group_quant_kernelItDB8_Li512ELi16ELi8ELb0ELb1ELb1ELb1ELb0ELb0EEEvPT0_PvPT_S6_S6_PKS5_S8_S8_S8_S8_ffiiiiiiiiiiiii: ; @_ZN5aiter35fused_qk_rmsnorm_group_quant_kernelItDB8_Li512ELi16ELi8ELb0ELb1ELb1ELb1ELb0ELb0EEEvPT0_PvPT_S6_S6_PKS5_S8_S8_S8_S8_ffiiiiiiiiiiiii
; %bb.0:
	s_load_dwordx4 s[12:15], s[4:5], 0x50
	s_waitcnt lgkmcnt(0)
	s_cmp_ge_i32 s6, s14
	s_cbranch_scc1 .LBB898_12
; %bb.1:
	s_load_dwordx2 s[24:25], s[4:5], 0x30
	s_load_dwordx2 s[8:9], s[4:5], 0x48
	s_load_dwordx4 s[16:19], s[4:5], 0x60
	s_cmp_lg_u32 s7, 0
	s_cselect_b64 s[10:11], -1, 0
	s_cmp_eq_u32 s7, 0
	s_cselect_b64 vcc, -1, 0
	s_and_b64 s[0:1], vcc, exec
	s_waitcnt lgkmcnt(0)
	s_cselect_b32 s7, s15, s16
	s_add_i32 s0, s7, 1
	s_lshr_b32 s1, s0, 31
	s_add_i32 s0, s0, s1
	s_lshl_b32 s0, s0, 1
	v_lshlrev_b32_e32 v1, 4, v0
	s_and_b32 s22, s0, -4
	v_cmp_gt_i32_e64 s[2:3], s7, v1
	v_mov_b32_e32 v18, 0
	v_mov_b32_e32 v6, 0
	;; [unrolled: 1-line block ×17, first 2 shown]
	s_and_saveexec_b64 s[0:1], s[2:3]
	s_cbranch_execz .LBB898_3
; %bb.2:
	s_load_dwordx2 s[14:15], s[4:5], 0x28
	s_load_dwordx2 s[20:21], s[4:5], 0x40
	s_and_b64 s[26:27], vcc, exec
	s_cselect_b32 s17, s17, s18
	s_mov_b32 s30, s22
	s_waitcnt lgkmcnt(0)
	s_cselect_b32 s19, s15, s25
	s_cselect_b32 s23, s14, s24
	s_mul_hi_i32 s15, s17, s6
	s_mul_i32 s14, s17, s6
	s_lshl_b64 s[14:15], s[14:15], 1
	s_add_u32 s28, s23, s14
	s_addc_u32 s17, s19, s15
	s_and_b64 s[14:15], vcc, exec
	s_mov_b32 s23, 0x20000
	s_cselect_b32 s20, s20, s8
	s_cselect_b32 s14, s21, s9
	s_and_b32 s29, s17, 0xffff
	s_mov_b32 s31, s23
	v_lshlrev_b32_e32 v19, 5, v0
	s_and_b32 s21, s14, 0xffff
	buffer_load_dwordx4 v[14:17], v19, s[28:31], 0 offen
	buffer_load_dwordx4 v[10:13], v19, s[28:31], 16 offen
	buffer_load_dwordx4 v[6:9], v19, s[20:23], 0 offen
	buffer_load_dwordx4 v[2:5], v19, s[20:23], 16 offen
.LBB898_3:
	s_or_b64 exec, exec, s[0:1]
	v_mov_b32_e32 v19, 0
	v_mov_b32_e32 v20, 0
	;; [unrolled: 1-line block ×15, first 2 shown]
	s_and_saveexec_b64 s[0:1], s[2:3]
	s_cbranch_execz .LBB898_5
; %bb.4:
	s_waitcnt vmcnt(3)
	v_cvt_f32_u32_sdwa v18, v14 dst_sel:DWORD dst_unused:UNUSED_PAD src0_sel:WORD_0
	v_cvt_f32_u32_sdwa v19, v14 dst_sel:DWORD dst_unused:UNUSED_PAD src0_sel:WORD_1
	v_cvt_f32_u32_sdwa v20, v15 dst_sel:DWORD dst_unused:UNUSED_PAD src0_sel:WORD_0
	v_cvt_f32_u32_sdwa v21, v15 dst_sel:DWORD dst_unused:UNUSED_PAD src0_sel:WORD_1
	v_cvt_f32_u32_sdwa v22, v16 dst_sel:DWORD dst_unused:UNUSED_PAD src0_sel:WORD_0
	v_cvt_f32_u32_sdwa v23, v16 dst_sel:DWORD dst_unused:UNUSED_PAD src0_sel:WORD_1
	v_cvt_f32_u32_sdwa v26, v17 dst_sel:DWORD dst_unused:UNUSED_PAD src0_sel:WORD_0
	v_cvt_f32_u32_sdwa v27, v17 dst_sel:DWORD dst_unused:UNUSED_PAD src0_sel:WORD_1
	s_waitcnt vmcnt(2)
	v_cvt_f32_u32_sdwa v24, v10 dst_sel:DWORD dst_unused:UNUSED_PAD src0_sel:WORD_0
	v_cvt_f32_u32_sdwa v25, v10 dst_sel:DWORD dst_unused:UNUSED_PAD src0_sel:WORD_1
	v_cvt_f32_u32_sdwa v30, v11 dst_sel:DWORD dst_unused:UNUSED_PAD src0_sel:WORD_0
	v_cvt_f32_u32_sdwa v31, v11 dst_sel:DWORD dst_unused:UNUSED_PAD src0_sel:WORD_1
	;; [unrolled: 2-line block ×4, first 2 shown]
.LBB898_5:
	s_or_b64 exec, exec, s[0:1]
	s_waitcnt vmcnt(2)
	v_mul_f32_e32 v10, v19, v19
	v_fmac_f32_e32 v10, v18, v18
	v_fmac_f32_e32 v10, v20, v20
	;; [unrolled: 1-line block ×15, first 2 shown]
	v_and_b32_e32 v12, 63, v0
	v_cmp_eq_u32_e64 s[0:1], 63, v12
	v_mov_b32_dpp v11, v10 quad_perm:[1,0,3,2] row_mask:0xf bank_mask:0xf
	v_add_f32_e32 v10, v10, v11
	s_nop 1
	v_mov_b32_dpp v11, v10 quad_perm:[2,3,0,1] row_mask:0xf bank_mask:0xf
	v_add_f32_e32 v10, v10, v11
	s_nop 1
	v_mov_b32_dpp v11, v10 row_half_mirror row_mask:0xf bank_mask:0xf
	v_add_f32_e32 v10, v10, v11
	s_nop 1
	v_mov_b32_dpp v11, v10 row_mirror row_mask:0xf bank_mask:0xf
	v_add_f32_e32 v10, v10, v11
	s_nop 1
	v_mov_b32_dpp v11, v10 row_bcast:15 row_mask:0xf bank_mask:0xf
	v_add_f32_e32 v10, v10, v11
	s_nop 1
	v_mov_b32_dpp v11, v10 row_bcast:31 row_mask:0xf bank_mask:0xf
	s_and_saveexec_b64 s[14:15], s[0:1]
	s_cbranch_execz .LBB898_7
; %bb.6:
	v_add_f32_e32 v10, v10, v11
	v_lshrrev_b32_e32 v11, 4, v0
	v_and_b32_e32 v11, 60, v11
	ds_write_b32 v11, v10 offset:32
.LBB898_7:
	s_or_b64 exec, exec, s[14:15]
	v_and_b32_e32 v10, 7, v0
	v_lshlrev_b32_e32 v34, 2, v10
	s_waitcnt lgkmcnt(0)
	s_barrier
	ds_read_b32 v10, v34 offset:32
	s_load_dwordx2 s[14:15], s[4:5], 0x18
	s_waitcnt lgkmcnt(0)
	v_mov_b32_dpp v11, v10 quad_perm:[1,0,3,2] row_mask:0xf bank_mask:0xf
	v_add_f32_e32 v10, v10, v11
	s_nop 1
	v_mov_b32_dpp v11, v10 quad_perm:[2,3,0,1] row_mask:0xf bank_mask:0xf
	v_add_f32_e32 v10, v10, v11
	s_nop 1
	v_mov_b32_dpp v11, v10 row_half_mirror row_mask:0xf bank_mask:0xf
	s_and_saveexec_b64 s[20:21], s[2:3]
	s_cbranch_execz .LBB898_9
; %bb.8:
	v_cvt_f32_u32_e32 v12, s7
	v_add_f32_e32 v10, v10, v11
	v_mov_b32_e32 v14, s13
	v_mov_b32_e32 v15, s12
	v_div_scale_f32 v11, s[26:27], v12, v12, v10
	v_rcp_f32_e32 v13, v11
	v_cndmask_b32_e32 v14, v14, v15, vcc
	s_mov_b32 s7, 0x800000
	v_fma_f32 v15, -v11, v13, 1.0
	v_fmac_f32_e32 v13, v15, v13
	v_div_scale_f32 v15, vcc, v10, v12, v10
	v_mul_f32_e32 v16, v15, v13
	v_fma_f32 v17, -v11, v16, v15
	v_fmac_f32_e32 v16, v17, v13
	v_fma_f32 v11, -v11, v16, v15
	v_div_fmas_f32 v11, v11, v13, v16
	v_div_fixup_f32 v10, v11, v12, v10
	v_add_f32_e32 v10, v14, v10
	v_mul_f32_e32 v11, 0x4b800000, v10
	v_cmp_gt_f32_e32 vcc, s7, v10
	v_cndmask_b32_e32 v10, v10, v11, vcc
	v_rsq_f32_e32 v10, v10
	v_mul_f32_e32 v11, 0x45800000, v10
	v_cndmask_b32_e32 v10, v10, v11, vcc
	v_mov_b32_e32 v11, v10
	;;#ASMSTART
	v_pk_mul_f32 v[12:13], v[18:19], v[10:11]
	;;#ASMEND
	s_waitcnt vmcnt(1)
	v_cvt_f32_u32_sdwa v19, v6 dst_sel:DWORD dst_unused:UNUSED_PAD src0_sel:WORD_1
	v_cvt_f32_u32_sdwa v18, v6 dst_sel:DWORD dst_unused:UNUSED_PAD src0_sel:WORD_0
	;;#ASMSTART
	v_pk_mul_f32 v[14:15], v[20:21], v[10:11]
	;;#ASMEND
	v_cvt_f32_u32_sdwa v21, v7 dst_sel:DWORD dst_unused:UNUSED_PAD src0_sel:WORD_1
	v_cvt_f32_u32_sdwa v20, v7 dst_sel:DWORD dst_unused:UNUSED_PAD src0_sel:WORD_0
	;;#ASMSTART
	v_pk_mul_f32 v[16:17], v[22:23], v[10:11]
	;;#ASMEND
	;;#ASMSTART
	v_pk_mul_f32 v[26:27], v[26:27], v[10:11]
	;;#ASMEND
	;; [unrolled: 3-line block ×6, first 2 shown]
	v_pk_add_f32 v[10:11], v[18:19], 1.0 op_sel_hi:[1,0]
	;;#ASMSTART
	v_pk_mul_f32 v[18:19], v[12:13], v[10:11]
	;;#ASMEND
	v_cvt_f32_u32_sdwa v13, v8 dst_sel:DWORD dst_unused:UNUSED_PAD src0_sel:WORD_1
	v_cvt_f32_u32_sdwa v12, v8 dst_sel:DWORD dst_unused:UNUSED_PAD src0_sel:WORD_0
	v_cvt_f32_u32_sdwa v29, v9 dst_sel:DWORD dst_unused:UNUSED_PAD src0_sel:WORD_1
	v_cvt_f32_u32_sdwa v28, v9 dst_sel:DWORD dst_unused:UNUSED_PAD src0_sel:WORD_0
	v_pk_add_f32 v[10:11], v[20:21], 1.0 op_sel_hi:[1,0]
	;;#ASMSTART
	v_pk_mul_f32 v[20:21], v[14:15], v[10:11]
	;;#ASMEND
	s_waitcnt vmcnt(0)
	v_cvt_f32_u32_sdwa v11, v2 dst_sel:DWORD dst_unused:UNUSED_PAD src0_sel:WORD_1
	v_cvt_f32_u32_sdwa v10, v2 dst_sel:DWORD dst_unused:UNUSED_PAD src0_sel:WORD_0
	v_pk_add_f32 v[8:9], v[12:13], 1.0 op_sel_hi:[1,0]
	;;#ASMSTART
	v_pk_mul_f32 v[22:23], v[16:17], v[8:9]
	;;#ASMEND
	v_pk_add_f32 v[8:9], v[28:29], 1.0 op_sel_hi:[1,0]
	v_cvt_f32_u32_sdwa v13, v3 dst_sel:DWORD dst_unused:UNUSED_PAD src0_sel:WORD_1
	v_cvt_f32_u32_sdwa v12, v3 dst_sel:DWORD dst_unused:UNUSED_PAD src0_sel:WORD_0
	;;#ASMSTART
	v_pk_mul_f32 v[26:27], v[26:27], v[8:9]
	;;#ASMEND
	v_cvt_f32_u32_sdwa v9, v4 dst_sel:DWORD dst_unused:UNUSED_PAD src0_sel:WORD_1
	v_cvt_f32_u32_sdwa v8, v4 dst_sel:DWORD dst_unused:UNUSED_PAD src0_sel:WORD_0
	v_pk_add_f32 v[2:3], v[10:11], 1.0 op_sel_hi:[1,0]
	v_cvt_f32_u32_sdwa v11, v5 dst_sel:DWORD dst_unused:UNUSED_PAD src0_sel:WORD_1
	v_cvt_f32_u32_sdwa v10, v5 dst_sel:DWORD dst_unused:UNUSED_PAD src0_sel:WORD_0
	;;#ASMSTART
	v_pk_mul_f32 v[24:25], v[24:25], v[2:3]
	;;#ASMEND
	v_pk_add_f32 v[2:3], v[12:13], 1.0 op_sel_hi:[1,0]
	;;#ASMSTART
	v_pk_mul_f32 v[30:31], v[30:31], v[2:3]
	;;#ASMEND
	v_pk_add_f32 v[2:3], v[8:9], 1.0 op_sel_hi:[1,0]
	;; [unrolled: 4-line block ×3, first 2 shown]
	;;#ASMSTART
	v_pk_mul_f32 v[28:29], v[6:7], v[2:3]
	;;#ASMEND
.LBB898_9:
	s_or_b64 exec, exec, s[20:21]
	s_load_dwordx2 s[26:27], s[4:5], 0x7c
	s_mov_b64 s[20:21], -1
	s_and_b64 vcc, exec, s[10:11]
	s_cbranch_vccnz .LBB898_13
; %bb.10:
	s_andn2_b64 vcc, exec, s[20:21]
	s_cbranch_vccz .LBB898_16
.LBB898_11:
	s_cmp_lt_i32 s16, 1
	s_cbranch_scc0 .LBB898_19
.LBB898_12:
	s_endpgm
.LBB898_13:
	s_and_saveexec_b64 s[10:11], s[2:3]
	s_cbranch_execz .LBB898_15
; %bb.14:
	s_waitcnt lgkmcnt(0)
	s_mul_hi_i32 s21, s27, s6
	s_mul_i32 s20, s27, s6
	s_lshl_b64 s[20:21], s[20:21], 1
	s_add_u32 s20, s14, s20
	s_addc_u32 s7, s15, s21
	s_and_b32 s21, s7, 0xffff
	s_mov_b32 s7, 0x7060302
	s_mov_b32 s23, 0x20000
	s_waitcnt vmcnt(0)
	v_perm_b32 v5, v27, v26, s7
	v_perm_b32 v4, v23, v22, s7
	v_perm_b32 v3, v21, v20, s7
	v_perm_b32 v2, v19, v18, s7
	v_lshlrev_b32_e32 v6, 5, v0
	buffer_store_dwordx4 v[2:5], v6, s[20:23], 0 offen
	;;#ASMSTART
	s_nop 0
	;;#ASMEND
	s_nop 0
	v_perm_b32 v5, v29, v28, s7
	v_perm_b32 v4, v33, v32, s7
	;; [unrolled: 1-line block ×4, first 2 shown]
	buffer_store_dwordx4 v[2:5], v6, s[20:23], 16 offen
	;;#ASMSTART
	s_nop 0
	;;#ASMEND
.LBB898_15:
	s_or_b64 exec, exec, s[10:11]
	s_cbranch_execnz .LBB898_11
.LBB898_16:
	s_and_saveexec_b64 s[10:11], s[2:3]
	s_cbranch_execz .LBB898_18
; %bb.17:
	s_load_dwordx2 s[2:3], s[4:5], 0x10
	s_waitcnt lgkmcnt(0)
	s_mul_hi_i32 s21, s26, s6
	s_mul_i32 s20, s26, s6
	s_lshl_b64 s[20:21], s[20:21], 1
	s_mov_b32 s23, 0x20000
	s_add_u32 s20, s2, s20
	s_addc_u32 s2, s3, s21
	s_and_b32 s21, s2, 0xffff
	s_mov_b32 s2, 0x7060302
	s_waitcnt vmcnt(0)
	v_perm_b32 v5, v27, v26, s2
	v_perm_b32 v4, v23, v22, s2
	;; [unrolled: 1-line block ×4, first 2 shown]
	v_lshlrev_b32_e32 v6, 5, v0
	buffer_store_dwordx4 v[2:5], v6, s[20:23], 0 offen
	;;#ASMSTART
	s_nop 0
	;;#ASMEND
	s_nop 0
	v_perm_b32 v5, v29, v28, s2
	v_perm_b32 v4, v33, v32, s2
	;; [unrolled: 1-line block ×4, first 2 shown]
	buffer_store_dwordx4 v[2:5], v6, s[20:23], 16 offen
	;;#ASMSTART
	s_nop 0
	;;#ASMEND
.LBB898_18:
	s_or_b64 exec, exec, s[10:11]
	s_cmp_lt_i32 s16, 1
	s_cbranch_scc1 .LBB898_12
.LBB898_19:
	s_load_dword s2, s[4:5], 0x94
	s_waitcnt lgkmcnt(0)
	s_cmp_lg_u32 s2, 1
	s_cbranch_scc1 .LBB898_12
; %bb.20:
	s_lshl_b32 s2, s16, 1
	s_add_i32 s2, s2, 2
	v_cmp_gt_u32_e32 vcc, s16, v1
	s_and_b32 s10, s2, -4
	v_mov_b32_e32 v18, 0
	v_lshlrev_b32_e32 v1, 5, v0
	v_mov_b32_e32 v14, 0
	v_mov_b32_e32 v15, 0
	;; [unrolled: 1-line block ×8, first 2 shown]
	s_waitcnt vmcnt(1)
	v_mov_b32_e32 v6, 0
	v_mov_b32_e32 v7, 0
	;; [unrolled: 1-line block ×4, first 2 shown]
	s_waitcnt vmcnt(0)
	v_mov_b32_e32 v2, 0
	v_mov_b32_e32 v3, 0
	;; [unrolled: 1-line block ×4, first 2 shown]
	s_barrier
	s_and_saveexec_b64 s[2:3], vcc
	s_cbranch_execz .LBB898_22
; %bb.21:
	s_mul_hi_i32 s5, s18, s6
	s_mul_i32 s4, s18, s6
	s_and_b32 s9, s9, 0xffff
	s_lshl_b64 s[4:5], s[4:5], 1
	s_add_u32 s20, s24, s4
	s_mov_b32 s11, 0x20000
	s_addc_u32 s4, s25, s5
	s_and_b32 s21, s4, 0xffff
	s_mov_b32 s22, s10
	s_mov_b32 s23, s11
	buffer_load_dwordx4 v[14:17], v1, s[20:23], 0 offen
	buffer_load_dwordx4 v[10:13], v1, s[20:23], 16 offen
	;; [unrolled: 1-line block ×4, first 2 shown]
.LBB898_22:
	s_or_b64 exec, exec, s[2:3]
	v_mov_b32_e32 v19, 0
	v_mov_b32_e32 v32, 0
	;; [unrolled: 1-line block ×15, first 2 shown]
	s_and_saveexec_b64 s[2:3], vcc
	s_cbranch_execz .LBB898_24
; %bb.23:
	s_waitcnt vmcnt(3)
	v_cvt_f32_u32_sdwa v18, v14 dst_sel:DWORD dst_unused:UNUSED_PAD src0_sel:WORD_0
	v_cvt_f32_u32_sdwa v19, v14 dst_sel:DWORD dst_unused:UNUSED_PAD src0_sel:WORD_1
	v_cvt_f32_u32_sdwa v32, v15 dst_sel:DWORD dst_unused:UNUSED_PAD src0_sel:WORD_0
	v_cvt_f32_u32_sdwa v33, v15 dst_sel:DWORD dst_unused:UNUSED_PAD src0_sel:WORD_1
	;; [unrolled: 2-line block ×4, first 2 shown]
	s_waitcnt vmcnt(2)
	v_cvt_f32_u32_sdwa v26, v10 dst_sel:DWORD dst_unused:UNUSED_PAD src0_sel:WORD_0
	v_cvt_f32_u32_sdwa v27, v10 dst_sel:DWORD dst_unused:UNUSED_PAD src0_sel:WORD_1
	v_cvt_f32_u32_sdwa v24, v11 dst_sel:DWORD dst_unused:UNUSED_PAD src0_sel:WORD_0
	v_cvt_f32_u32_sdwa v25, v11 dst_sel:DWORD dst_unused:UNUSED_PAD src0_sel:WORD_1
	;; [unrolled: 2-line block ×4, first 2 shown]
.LBB898_24:
	s_or_b64 exec, exec, s[2:3]
	s_waitcnt vmcnt(2)
	v_mul_f32_e32 v10, v19, v19
	v_fmac_f32_e32 v10, v18, v18
	v_fmac_f32_e32 v10, v32, v32
	;; [unrolled: 1-line block ×15, first 2 shown]
	s_nop 1
	v_mov_b32_dpp v11, v10 quad_perm:[1,0,3,2] row_mask:0xf bank_mask:0xf
	v_add_f32_e32 v10, v10, v11
	s_nop 1
	v_mov_b32_dpp v11, v10 quad_perm:[2,3,0,1] row_mask:0xf bank_mask:0xf
	v_add_f32_e32 v10, v10, v11
	s_nop 1
	v_mov_b32_dpp v11, v10 row_half_mirror row_mask:0xf bank_mask:0xf
	v_add_f32_e32 v10, v10, v11
	s_nop 1
	v_mov_b32_dpp v11, v10 row_mirror row_mask:0xf bank_mask:0xf
	v_add_f32_e32 v10, v10, v11
	s_nop 1
	v_mov_b32_dpp v11, v10 row_bcast:15 row_mask:0xf bank_mask:0xf
	v_add_f32_e32 v10, v10, v11
	s_nop 1
	v_mov_b32_dpp v11, v10 row_bcast:31 row_mask:0xf bank_mask:0xf
	s_and_saveexec_b64 s[2:3], s[0:1]
	s_cbranch_execz .LBB898_26
; %bb.25:
	v_lshrrev_b32_e32 v0, 4, v0
	v_add_f32_e32 v10, v10, v11
	v_and_b32_e32 v0, 60, v0
	ds_write_b32 v0, v10
.LBB898_26:
	s_or_b64 exec, exec, s[2:3]
	s_waitcnt lgkmcnt(0)
	s_barrier
	ds_read_b32 v0, v34
	s_waitcnt lgkmcnt(0)
	s_nop 0
	v_mov_b32_dpp v10, v0 quad_perm:[1,0,3,2] row_mask:0xf bank_mask:0xf
	v_add_f32_e32 v0, v0, v10
	s_nop 1
	v_mov_b32_dpp v10, v0 quad_perm:[2,3,0,1] row_mask:0xf bank_mask:0xf
	v_add_f32_e32 v0, v0, v10
	s_nop 1
	v_mov_b32_dpp v10, v0 row_half_mirror row_mask:0xf bank_mask:0xf
	s_and_saveexec_b64 s[0:1], vcc
	s_cbranch_execz .LBB898_12
; %bb.27:
	v_cvt_f32_u32_e32 v11, s16
	v_add_f32_e32 v0, v0, v10
	s_mov_b32 s11, 0x20000
	v_div_scale_f32 v10, s[0:1], v11, v11, v0
	v_rcp_f32_e32 v12, v10
	v_div_scale_f32 v13, vcc, v0, v11, v0
	s_mov_b32 s0, 0x800000
	v_fma_f32 v14, -v10, v12, 1.0
	v_fmac_f32_e32 v12, v14, v12
	v_mul_f32_e32 v14, v13, v12
	v_fma_f32 v15, -v10, v14, v13
	v_fmac_f32_e32 v14, v15, v12
	v_fma_f32 v10, -v10, v14, v13
	v_div_fmas_f32 v10, v10, v12, v14
	v_div_fixup_f32 v0, v10, v11, v0
	v_add_f32_e32 v0, s13, v0
	v_mul_f32_e32 v10, 0x4b800000, v0
	v_cmp_gt_f32_e32 vcc, s0, v0
	v_cndmask_b32_e32 v0, v0, v10, vcc
	v_rsq_f32_e32 v0, v0
	s_mul_hi_i32 s1, s27, s6
	s_mul_i32 s0, s27, s6
	s_lshl_b64 s[0:1], s[0:1], 1
	v_mul_f32_e32 v10, 0x45800000, v0
	v_cndmask_b32_e32 v10, v0, v10, vcc
	v_mov_b32_e32 v11, v10
	;;#ASMSTART
	v_pk_mul_f32 v[12:13], v[18:19], v[10:11]
	;;#ASMEND
	;;#ASMSTART
	v_pk_mul_f32 v[14:15], v[32:33], v[10:11]
	;;#ASMEND
	;;#ASMSTART
	v_pk_mul_f32 v[16:17], v[30:31], v[10:11]
	;;#ASMEND
	;;#ASMSTART
	v_pk_mul_f32 v[18:19], v[28:29], v[10:11]
	;;#ASMEND
	s_waitcnt vmcnt(1)
	v_cvt_f32_u32_sdwa v29, v6 dst_sel:DWORD dst_unused:UNUSED_PAD src0_sel:WORD_1
	v_cvt_f32_u32_sdwa v28, v6 dst_sel:DWORD dst_unused:UNUSED_PAD src0_sel:WORD_0
	v_cvt_f32_u32_sdwa v31, v7 dst_sel:DWORD dst_unused:UNUSED_PAD src0_sel:WORD_1
	v_cvt_f32_u32_sdwa v30, v7 dst_sel:DWORD dst_unused:UNUSED_PAD src0_sel:WORD_0
	;;#ASMSTART
	v_pk_mul_f32 v[26:27], v[26:27], v[10:11]
	;;#ASMEND
	;;#ASMSTART
	v_pk_mul_f32 v[24:25], v[24:25], v[10:11]
	;;#ASMEND
	;; [unrolled: 3-line block ×4, first 2 shown]
	v_cvt_f32_u32_sdwa v21, v8 dst_sel:DWORD dst_unused:UNUSED_PAD src0_sel:WORD_1
	v_cvt_f32_u32_sdwa v20, v8 dst_sel:DWORD dst_unused:UNUSED_PAD src0_sel:WORD_0
	v_pk_add_f32 v[10:11], v[28:29], 1.0 op_sel_hi:[1,0]
	;;#ASMSTART
	v_pk_mul_f32 v[10:11], v[12:13], v[10:11]
	;;#ASMEND
	v_pk_add_f32 v[12:13], v[30:31], 1.0 op_sel_hi:[1,0]
	v_cvt_f32_u32_sdwa v29, v9 dst_sel:DWORD dst_unused:UNUSED_PAD src0_sel:WORD_1
	v_cvt_f32_u32_sdwa v28, v9 dst_sel:DWORD dst_unused:UNUSED_PAD src0_sel:WORD_0
	;;#ASMSTART
	v_pk_mul_f32 v[8:9], v[14:15], v[12:13]
	;;#ASMEND
	v_pk_add_f32 v[12:13], v[20:21], 1.0 op_sel_hi:[1,0]
	;;#ASMSTART
	v_pk_mul_f32 v[12:13], v[16:17], v[12:13]
	;;#ASMEND
	s_waitcnt vmcnt(0)
	v_cvt_f32_u32_sdwa v17, v2 dst_sel:DWORD dst_unused:UNUSED_PAD src0_sel:WORD_1
	v_cvt_f32_u32_sdwa v16, v2 dst_sel:DWORD dst_unused:UNUSED_PAD src0_sel:WORD_0
	v_cvt_f32_u32_sdwa v21, v3 dst_sel:DWORD dst_unused:UNUSED_PAD src0_sel:WORD_1
	v_cvt_f32_u32_sdwa v20, v3 dst_sel:DWORD dst_unused:UNUSED_PAD src0_sel:WORD_0
	v_pk_add_f32 v[14:15], v[28:29], 1.0 op_sel_hi:[1,0]
	;;#ASMSTART
	v_pk_mul_f32 v[14:15], v[18:19], v[14:15]
	;;#ASMEND
	v_pk_add_f32 v[2:3], v[16:17], 1.0 op_sel_hi:[1,0]
	v_cvt_f32_u32_sdwa v19, v4 dst_sel:DWORD dst_unused:UNUSED_PAD src0_sel:WORD_1
	v_cvt_f32_u32_sdwa v18, v4 dst_sel:DWORD dst_unused:UNUSED_PAD src0_sel:WORD_0
	;;#ASMSTART
	v_pk_mul_f32 v[16:17], v[26:27], v[2:3]
	;;#ASMEND
	v_pk_add_f32 v[2:3], v[20:21], 1.0 op_sel_hi:[1,0]
	v_cvt_f32_u32_sdwa v21, v5 dst_sel:DWORD dst_unused:UNUSED_PAD src0_sel:WORD_1
	v_cvt_f32_u32_sdwa v20, v5 dst_sel:DWORD dst_unused:UNUSED_PAD src0_sel:WORD_0
	s_add_u32 s8, s14, s0
	;;#ASMSTART
	v_pk_mul_f32 v[24:25], v[24:25], v[2:3]
	;;#ASMEND
	v_pk_add_f32 v[2:3], v[18:19], 1.0 op_sel_hi:[1,0]
	s_addc_u32 s0, s15, s1
	;;#ASMSTART
	v_pk_mul_f32 v[18:19], v[22:23], v[2:3]
	;;#ASMEND
	v_pk_add_f32 v[2:3], v[20:21], 1.0 op_sel_hi:[1,0]
	s_and_b32 s9, s0, 0xffff
	s_mov_b32 s0, 0x7060302
	;;#ASMSTART
	v_pk_mul_f32 v[6:7], v[6:7], v[2:3]
	;;#ASMEND
	v_perm_b32 v2, v11, v10, s0
	v_perm_b32 v3, v9, v8, s0
	;; [unrolled: 1-line block ×4, first 2 shown]
	buffer_store_dwordx4 v[2:5], v1, s[8:11], 0 offen
	;;#ASMSTART
	s_nop 0
	;;#ASMEND
	s_nop 0
	v_perm_b32 v2, v17, v16, s0
	v_perm_b32 v3, v25, v24, s0
	;; [unrolled: 1-line block ×4, first 2 shown]
	buffer_store_dwordx4 v[2:5], v1, s[8:11], 16 offen
	;;#ASMSTART
	s_nop 0
	;;#ASMEND
	s_endpgm
	.section	.rodata,"a",@progbits
	.p2align	6, 0x0
	.amdhsa_kernel _ZN5aiter35fused_qk_rmsnorm_group_quant_kernelItDB8_Li512ELi16ELi8ELb0ELb1ELb1ELb1ELb0ELb0EEEvPT0_PvPT_S6_S6_PKS5_S8_S8_S8_S8_ffiiiiiiiiiiiii
		.amdhsa_group_segment_fixed_size 64
		.amdhsa_private_segment_fixed_size 0
		.amdhsa_kernarg_size 400
		.amdhsa_user_sgpr_count 6
		.amdhsa_user_sgpr_private_segment_buffer 1
		.amdhsa_user_sgpr_dispatch_ptr 0
		.amdhsa_user_sgpr_queue_ptr 0
		.amdhsa_user_sgpr_kernarg_segment_ptr 1
		.amdhsa_user_sgpr_dispatch_id 0
		.amdhsa_user_sgpr_flat_scratch_init 0
		.amdhsa_user_sgpr_kernarg_preload_length 0
		.amdhsa_user_sgpr_kernarg_preload_offset 0
		.amdhsa_user_sgpr_private_segment_size 0
		.amdhsa_uses_dynamic_stack 0
		.amdhsa_system_sgpr_private_segment_wavefront_offset 0
		.amdhsa_system_sgpr_workgroup_id_x 1
		.amdhsa_system_sgpr_workgroup_id_y 1
		.amdhsa_system_sgpr_workgroup_id_z 0
		.amdhsa_system_sgpr_workgroup_info 0
		.amdhsa_system_vgpr_workitem_id 0
		.amdhsa_next_free_vgpr 35
		.amdhsa_next_free_sgpr 32
		.amdhsa_accum_offset 36
		.amdhsa_reserve_vcc 1
		.amdhsa_reserve_flat_scratch 0
		.amdhsa_float_round_mode_32 0
		.amdhsa_float_round_mode_16_64 0
		.amdhsa_float_denorm_mode_32 3
		.amdhsa_float_denorm_mode_16_64 3
		.amdhsa_dx10_clamp 1
		.amdhsa_ieee_mode 1
		.amdhsa_fp16_overflow 0
		.amdhsa_tg_split 0
		.amdhsa_exception_fp_ieee_invalid_op 0
		.amdhsa_exception_fp_denorm_src 0
		.amdhsa_exception_fp_ieee_div_zero 0
		.amdhsa_exception_fp_ieee_overflow 0
		.amdhsa_exception_fp_ieee_underflow 0
		.amdhsa_exception_fp_ieee_inexact 0
		.amdhsa_exception_int_div_zero 0
	.end_amdhsa_kernel
	.section	.text._ZN5aiter35fused_qk_rmsnorm_group_quant_kernelItDB8_Li512ELi16ELi8ELb0ELb1ELb1ELb1ELb0ELb0EEEvPT0_PvPT_S6_S6_PKS5_S8_S8_S8_S8_ffiiiiiiiiiiiii,"axG",@progbits,_ZN5aiter35fused_qk_rmsnorm_group_quant_kernelItDB8_Li512ELi16ELi8ELb0ELb1ELb1ELb1ELb0ELb0EEEvPT0_PvPT_S6_S6_PKS5_S8_S8_S8_S8_ffiiiiiiiiiiiii,comdat
.Lfunc_end898:
	.size	_ZN5aiter35fused_qk_rmsnorm_group_quant_kernelItDB8_Li512ELi16ELi8ELb0ELb1ELb1ELb1ELb0ELb0EEEvPT0_PvPT_S6_S6_PKS5_S8_S8_S8_S8_ffiiiiiiiiiiiii, .Lfunc_end898-_ZN5aiter35fused_qk_rmsnorm_group_quant_kernelItDB8_Li512ELi16ELi8ELb0ELb1ELb1ELb1ELb0ELb0EEEvPT0_PvPT_S6_S6_PKS5_S8_S8_S8_S8_ffiiiiiiiiiiiii
                                        ; -- End function
	.section	.AMDGPU.csdata,"",@progbits
; Kernel info:
; codeLenInByte = 2972
; NumSgprs: 36
; NumVgprs: 35
; NumAgprs: 0
; TotalNumVgprs: 35
; ScratchSize: 0
; MemoryBound: 0
; FloatMode: 240
; IeeeMode: 1
; LDSByteSize: 64 bytes/workgroup (compile time only)
; SGPRBlocks: 4
; VGPRBlocks: 4
; NumSGPRsForWavesPerEU: 36
; NumVGPRsForWavesPerEU: 35
; AccumOffset: 36
; Occupancy: 8
; WaveLimiterHint : 0
; COMPUTE_PGM_RSRC2:SCRATCH_EN: 0
; COMPUTE_PGM_RSRC2:USER_SGPR: 6
; COMPUTE_PGM_RSRC2:TRAP_HANDLER: 0
; COMPUTE_PGM_RSRC2:TGID_X_EN: 1
; COMPUTE_PGM_RSRC2:TGID_Y_EN: 1
; COMPUTE_PGM_RSRC2:TGID_Z_EN: 0
; COMPUTE_PGM_RSRC2:TIDIG_COMP_CNT: 0
; COMPUTE_PGM_RSRC3_GFX90A:ACCUM_OFFSET: 8
; COMPUTE_PGM_RSRC3_GFX90A:TG_SPLIT: 0
	.section	.text._ZN5aiter35fused_qk_rmsnorm_group_quant_kernelIDF16_N4opus5fp4_tELi512ELi16ELi8ELb0ELb1ELb1ELb1ELb0ELb0EEEvPT0_PvPT_S7_S7_PKS6_S9_S9_S9_S9_ffiiiiiiiiiiiii,"axG",@progbits,_ZN5aiter35fused_qk_rmsnorm_group_quant_kernelIDF16_N4opus5fp4_tELi512ELi16ELi8ELb0ELb1ELb1ELb1ELb0ELb0EEEvPT0_PvPT_S7_S7_PKS6_S9_S9_S9_S9_ffiiiiiiiiiiiii,comdat
	.protected	_ZN5aiter35fused_qk_rmsnorm_group_quant_kernelIDF16_N4opus5fp4_tELi512ELi16ELi8ELb0ELb1ELb1ELb1ELb0ELb0EEEvPT0_PvPT_S7_S7_PKS6_S9_S9_S9_S9_ffiiiiiiiiiiiii ; -- Begin function _ZN5aiter35fused_qk_rmsnorm_group_quant_kernelIDF16_N4opus5fp4_tELi512ELi16ELi8ELb0ELb1ELb1ELb1ELb0ELb0EEEvPT0_PvPT_S7_S7_PKS6_S9_S9_S9_S9_ffiiiiiiiiiiiii
	.globl	_ZN5aiter35fused_qk_rmsnorm_group_quant_kernelIDF16_N4opus5fp4_tELi512ELi16ELi8ELb0ELb1ELb1ELb1ELb0ELb0EEEvPT0_PvPT_S7_S7_PKS6_S9_S9_S9_S9_ffiiiiiiiiiiiii
	.p2align	8
	.type	_ZN5aiter35fused_qk_rmsnorm_group_quant_kernelIDF16_N4opus5fp4_tELi512ELi16ELi8ELb0ELb1ELb1ELb1ELb0ELb0EEEvPT0_PvPT_S7_S7_PKS6_S9_S9_S9_S9_ffiiiiiiiiiiiii,@function
_ZN5aiter35fused_qk_rmsnorm_group_quant_kernelIDF16_N4opus5fp4_tELi512ELi16ELi8ELb0ELb1ELb1ELb1ELb0ELb0EEEvPT0_PvPT_S7_S7_PKS6_S9_S9_S9_S9_ffiiiiiiiiiiiii: ; @_ZN5aiter35fused_qk_rmsnorm_group_quant_kernelIDF16_N4opus5fp4_tELi512ELi16ELi8ELb0ELb1ELb1ELb1ELb0ELb0EEEvPT0_PvPT_S7_S7_PKS6_S9_S9_S9_S9_ffiiiiiiiiiiiii
; %bb.0:
	s_load_dwordx4 s[12:15], s[4:5], 0x50
	s_waitcnt lgkmcnt(0)
	s_cmp_ge_i32 s6, s14
	s_cbranch_scc1 .LBB899_12
; %bb.1:
	s_load_dwordx2 s[24:25], s[4:5], 0x30
	s_load_dwordx2 s[8:9], s[4:5], 0x48
	s_load_dwordx4 s[16:19], s[4:5], 0x60
	s_cmp_lg_u32 s7, 0
	s_cselect_b64 s[10:11], -1, 0
	s_cmp_eq_u32 s7, 0
	s_cselect_b64 vcc, -1, 0
	s_and_b64 s[0:1], vcc, exec
	s_waitcnt lgkmcnt(0)
	s_cselect_b32 s7, s15, s16
	s_add_i32 s0, s7, 1
	s_lshr_b32 s1, s0, 31
	s_add_i32 s0, s0, s1
	s_lshl_b32 s0, s0, 1
	v_lshlrev_b32_e32 v1, 4, v0
	s_and_b32 s22, s0, -4
	v_cmp_gt_i32_e64 s[2:3], s7, v1
	v_mov_b32_e32 v18, 0
	v_mov_b32_e32 v6, 0
	;; [unrolled: 1-line block ×17, first 2 shown]
	s_and_saveexec_b64 s[0:1], s[2:3]
	s_cbranch_execz .LBB899_3
; %bb.2:
	s_load_dwordx2 s[14:15], s[4:5], 0x28
	s_load_dwordx2 s[20:21], s[4:5], 0x40
	s_and_b64 s[26:27], vcc, exec
	s_cselect_b32 s17, s17, s18
	s_mov_b32 s30, s22
	s_waitcnt lgkmcnt(0)
	s_cselect_b32 s19, s15, s25
	s_cselect_b32 s23, s14, s24
	s_mul_hi_i32 s15, s17, s6
	s_mul_i32 s14, s17, s6
	s_lshl_b64 s[14:15], s[14:15], 1
	s_add_u32 s28, s23, s14
	s_addc_u32 s17, s19, s15
	s_and_b64 s[14:15], vcc, exec
	s_mov_b32 s23, 0x20000
	s_cselect_b32 s20, s20, s8
	s_cselect_b32 s14, s21, s9
	s_and_b32 s29, s17, 0xffff
	s_mov_b32 s31, s23
	v_lshlrev_b32_e32 v19, 5, v0
	s_and_b32 s21, s14, 0xffff
	buffer_load_dwordx4 v[14:17], v19, s[28:31], 0 offen
	buffer_load_dwordx4 v[10:13], v19, s[28:31], 16 offen
	;; [unrolled: 1-line block ×4, first 2 shown]
.LBB899_3:
	s_or_b64 exec, exec, s[0:1]
	v_mov_b32_e32 v19, 0
	v_mov_b32_e32 v22, 0
	;; [unrolled: 1-line block ×15, first 2 shown]
	s_and_saveexec_b64 s[0:1], s[2:3]
	s_cbranch_execz .LBB899_5
; %bb.4:
	s_waitcnt vmcnt(3)
	v_cvt_f32_f16_sdwa v19, v14 dst_sel:DWORD dst_unused:UNUSED_PAD src0_sel:WORD_1
	v_cvt_f32_f16_e32 v18, v14
	v_cvt_f32_f16_sdwa v23, v15 dst_sel:DWORD dst_unused:UNUSED_PAD src0_sel:WORD_1
	v_cvt_f32_f16_e32 v22, v15
	;; [unrolled: 2-line block ×4, first 2 shown]
	s_waitcnt vmcnt(2)
	v_cvt_f32_f16_sdwa v21, v10 dst_sel:DWORD dst_unused:UNUSED_PAD src0_sel:WORD_1
	v_cvt_f32_f16_e32 v20, v10
	v_cvt_f32_f16_sdwa v29, v11 dst_sel:DWORD dst_unused:UNUSED_PAD src0_sel:WORD_1
	v_cvt_f32_f16_e32 v28, v11
	;; [unrolled: 2-line block ×4, first 2 shown]
.LBB899_5:
	s_or_b64 exec, exec, s[0:1]
	s_waitcnt vmcnt(2)
	v_mul_f32_e32 v10, v19, v19
	v_fmac_f32_e32 v10, v18, v18
	v_fmac_f32_e32 v10, v22, v22
	;; [unrolled: 1-line block ×15, first 2 shown]
	v_and_b32_e32 v12, 63, v0
	v_cmp_eq_u32_e64 s[0:1], 63, v12
	v_mov_b32_dpp v11, v10 quad_perm:[1,0,3,2] row_mask:0xf bank_mask:0xf
	v_add_f32_e32 v10, v10, v11
	s_nop 1
	v_mov_b32_dpp v11, v10 quad_perm:[2,3,0,1] row_mask:0xf bank_mask:0xf
	v_add_f32_e32 v10, v10, v11
	s_nop 1
	v_mov_b32_dpp v11, v10 row_half_mirror row_mask:0xf bank_mask:0xf
	v_add_f32_e32 v10, v10, v11
	s_nop 1
	v_mov_b32_dpp v11, v10 row_mirror row_mask:0xf bank_mask:0xf
	v_add_f32_e32 v10, v10, v11
	s_nop 1
	v_mov_b32_dpp v11, v10 row_bcast:15 row_mask:0xf bank_mask:0xf
	v_add_f32_e32 v10, v10, v11
	s_nop 1
	v_mov_b32_dpp v11, v10 row_bcast:31 row_mask:0xf bank_mask:0xf
	s_and_saveexec_b64 s[14:15], s[0:1]
	s_cbranch_execz .LBB899_7
; %bb.6:
	v_add_f32_e32 v10, v10, v11
	v_lshrrev_b32_e32 v11, 4, v0
	v_and_b32_e32 v11, 60, v11
	ds_write_b32 v11, v10 offset:32
.LBB899_7:
	s_or_b64 exec, exec, s[14:15]
	v_and_b32_e32 v10, 7, v0
	v_lshlrev_b32_e32 v34, 2, v10
	s_waitcnt lgkmcnt(0)
	s_barrier
	ds_read_b32 v10, v34 offset:32
	s_load_dwordx2 s[14:15], s[4:5], 0x18
	s_waitcnt lgkmcnt(0)
	v_mov_b32_dpp v11, v10 quad_perm:[1,0,3,2] row_mask:0xf bank_mask:0xf
	v_add_f32_e32 v10, v10, v11
	s_nop 1
	v_mov_b32_dpp v11, v10 quad_perm:[2,3,0,1] row_mask:0xf bank_mask:0xf
	v_add_f32_e32 v10, v10, v11
	s_nop 1
	v_mov_b32_dpp v11, v10 row_half_mirror row_mask:0xf bank_mask:0xf
	s_and_saveexec_b64 s[20:21], s[2:3]
	s_cbranch_execz .LBB899_9
; %bb.8:
	v_cvt_f32_u32_e32 v12, s7
	v_add_f32_e32 v10, v10, v11
	v_mov_b32_e32 v14, s13
	v_mov_b32_e32 v15, s12
	v_div_scale_f32 v11, s[26:27], v12, v12, v10
	v_rcp_f32_e32 v13, v11
	v_cndmask_b32_e32 v14, v14, v15, vcc
	s_mov_b32 s7, 0x800000
	v_fma_f32 v15, -v11, v13, 1.0
	v_fmac_f32_e32 v13, v15, v13
	v_div_scale_f32 v15, vcc, v10, v12, v10
	v_mul_f32_e32 v16, v15, v13
	v_fma_f32 v17, -v11, v16, v15
	v_fmac_f32_e32 v16, v17, v13
	v_fma_f32 v11, -v11, v16, v15
	v_div_fmas_f32 v11, v11, v13, v16
	v_div_fixup_f32 v10, v11, v12, v10
	v_add_f32_e32 v10, v14, v10
	v_mul_f32_e32 v11, 0x4b800000, v10
	v_cmp_gt_f32_e32 vcc, s7, v10
	v_cndmask_b32_e32 v10, v10, v11, vcc
	v_rsq_f32_e32 v10, v10
	v_mul_f32_e32 v11, 0x45800000, v10
	v_cndmask_b32_e32 v10, v10, v11, vcc
	v_mov_b32_e32 v11, v10
	;;#ASMSTART
	v_pk_mul_f32 v[12:13], v[18:19], v[10:11]
	;;#ASMEND
	s_waitcnt vmcnt(1)
	v_cvt_f32_f16_sdwa v19, v6 dst_sel:DWORD dst_unused:UNUSED_PAD src0_sel:WORD_1
	v_cvt_f32_f16_e32 v18, v6
	;;#ASMSTART
	v_pk_mul_f32 v[14:15], v[22:23], v[10:11]
	;;#ASMEND
	v_cvt_f32_f16_sdwa v23, v7 dst_sel:DWORD dst_unused:UNUSED_PAD src0_sel:WORD_1
	v_cvt_f32_f16_e32 v22, v7
	;;#ASMSTART
	v_pk_mul_f32 v[16:17], v[24:25], v[10:11]
	;;#ASMEND
	;;#ASMSTART
	v_pk_mul_f32 v[32:33], v[32:33], v[10:11]
	;;#ASMEND
	;; [unrolled: 3-line block ×6, first 2 shown]
	v_pk_add_f32 v[10:11], v[18:19], 1.0 op_sel_hi:[1,0]
	;;#ASMSTART
	v_pk_mul_f32 v[18:19], v[12:13], v[10:11]
	;;#ASMEND
	v_cvt_f32_f16_sdwa v13, v8 dst_sel:DWORD dst_unused:UNUSED_PAD src0_sel:WORD_1
	v_cvt_f32_f16_e32 v12, v8
	v_cvt_f32_f16_sdwa v27, v9 dst_sel:DWORD dst_unused:UNUSED_PAD src0_sel:WORD_1
	v_cvt_f32_f16_e32 v26, v9
	v_pk_add_f32 v[10:11], v[22:23], 1.0 op_sel_hi:[1,0]
	;;#ASMSTART
	v_pk_mul_f32 v[22:23], v[14:15], v[10:11]
	;;#ASMEND
	s_waitcnt vmcnt(0)
	v_cvt_f32_f16_sdwa v11, v2 dst_sel:DWORD dst_unused:UNUSED_PAD src0_sel:WORD_1
	v_cvt_f32_f16_e32 v10, v2
	v_pk_add_f32 v[8:9], v[12:13], 1.0 op_sel_hi:[1,0]
	;;#ASMSTART
	v_pk_mul_f32 v[24:25], v[16:17], v[8:9]
	;;#ASMEND
	v_pk_add_f32 v[8:9], v[26:27], 1.0 op_sel_hi:[1,0]
	v_cvt_f32_f16_sdwa v13, v3 dst_sel:DWORD dst_unused:UNUSED_PAD src0_sel:WORD_1
	v_cvt_f32_f16_e32 v12, v3
	;;#ASMSTART
	v_pk_mul_f32 v[32:33], v[32:33], v[8:9]
	;;#ASMEND
	v_cvt_f32_f16_sdwa v9, v4 dst_sel:DWORD dst_unused:UNUSED_PAD src0_sel:WORD_1
	v_cvt_f32_f16_e32 v8, v4
	v_pk_add_f32 v[2:3], v[10:11], 1.0 op_sel_hi:[1,0]
	v_cvt_f32_f16_sdwa v11, v5 dst_sel:DWORD dst_unused:UNUSED_PAD src0_sel:WORD_1
	v_cvt_f32_f16_e32 v10, v5
	;;#ASMSTART
	v_pk_mul_f32 v[20:21], v[20:21], v[2:3]
	;;#ASMEND
	v_pk_add_f32 v[2:3], v[12:13], 1.0 op_sel_hi:[1,0]
	;;#ASMSTART
	v_pk_mul_f32 v[28:29], v[28:29], v[2:3]
	;;#ASMEND
	v_pk_add_f32 v[2:3], v[8:9], 1.0 op_sel_hi:[1,0]
	;; [unrolled: 4-line block ×3, first 2 shown]
	;;#ASMSTART
	v_pk_mul_f32 v[26:27], v[6:7], v[2:3]
	;;#ASMEND
.LBB899_9:
	s_or_b64 exec, exec, s[20:21]
	s_load_dwordx2 s[26:27], s[4:5], 0x7c
	s_mov_b64 s[20:21], -1
	s_and_b64 vcc, exec, s[10:11]
	s_cbranch_vccnz .LBB899_13
; %bb.10:
	s_andn2_b64 vcc, exec, s[20:21]
	s_cbranch_vccz .LBB899_16
.LBB899_11:
	s_cmp_lt_i32 s16, 1
	s_cbranch_scc0 .LBB899_19
.LBB899_12:
	s_endpgm
.LBB899_13:
	s_and_saveexec_b64 s[10:11], s[2:3]
	s_cbranch_execz .LBB899_15
; %bb.14:
	s_waitcnt lgkmcnt(0)
	s_mul_hi_i32 s21, s27, s6
	s_mul_i32 s20, s27, s6
	s_waitcnt vmcnt(0)
	v_cvt_f16_f32_e32 v2, v18
	v_cvt_f16_f32_e32 v3, v22
	v_cvt_f16_f32_e32 v4, v24
	v_cvt_f16_f32_e32 v5, v32
	v_cvt_f16_f32_e32 v6, v33
	v_cvt_f16_f32_e32 v7, v25
	v_cvt_f16_f32_e32 v8, v23
	v_cvt_f16_f32_e32 v9, v19
	s_lshl_b64 s[20:21], s[20:21], 1
	s_add_u32 s20, s14, s20
	s_addc_u32 s7, s15, s21
	s_and_b32 s21, s7, 0xffff
	s_mov_b32 s23, 0x20000
	v_pack_b32_f16 v5, v5, v6
	v_pack_b32_f16 v4, v4, v7
	;; [unrolled: 1-line block ×4, first 2 shown]
	v_lshlrev_b32_e32 v6, 5, v0
	buffer_store_dwordx4 v[2:5], v6, s[20:23], 0 offen
	v_cvt_f16_f32_e32 v7, v27
	v_cvt_f16_f32_e32 v2, v20
	;; [unrolled: 1-line block ×8, first 2 shown]
	v_pack_b32_f16 v5, v5, v7
	v_pack_b32_f16 v4, v4, v8
	;; [unrolled: 1-line block ×4, first 2 shown]
	;;#ASMSTART
	s_nop 0
	;;#ASMEND
	buffer_store_dwordx4 v[2:5], v6, s[20:23], 16 offen
	;;#ASMSTART
	s_nop 0
	;;#ASMEND
.LBB899_15:
	s_or_b64 exec, exec, s[10:11]
	s_cbranch_execnz .LBB899_11
.LBB899_16:
	s_and_saveexec_b64 s[10:11], s[2:3]
	s_cbranch_execz .LBB899_18
; %bb.17:
	s_load_dwordx2 s[2:3], s[4:5], 0x10
	s_waitcnt lgkmcnt(0)
	s_mul_hi_i32 s21, s26, s6
	s_mul_i32 s20, s26, s6
	s_waitcnt vmcnt(0)
	v_cvt_f16_f32_e32 v2, v18
	v_cvt_f16_f32_e32 v3, v22
	;; [unrolled: 1-line block ×8, first 2 shown]
	s_lshl_b64 s[20:21], s[20:21], 1
	s_add_u32 s20, s2, s20
	s_addc_u32 s2, s3, s21
	s_mov_b32 s23, 0x20000
	s_and_b32 s21, s2, 0xffff
	v_pack_b32_f16 v5, v5, v6
	v_pack_b32_f16 v4, v4, v7
	;; [unrolled: 1-line block ×4, first 2 shown]
	v_lshlrev_b32_e32 v6, 5, v0
	buffer_store_dwordx4 v[2:5], v6, s[20:23], 0 offen
	v_cvt_f16_f32_e32 v7, v27
	v_cvt_f16_f32_e32 v2, v20
	;; [unrolled: 1-line block ×8, first 2 shown]
	v_pack_b32_f16 v5, v5, v7
	v_pack_b32_f16 v4, v4, v8
	v_pack_b32_f16 v3, v3, v9
	v_pack_b32_f16 v2, v2, v10
	;;#ASMSTART
	s_nop 0
	;;#ASMEND
	buffer_store_dwordx4 v[2:5], v6, s[20:23], 16 offen
	;;#ASMSTART
	s_nop 0
	;;#ASMEND
.LBB899_18:
	s_or_b64 exec, exec, s[10:11]
	s_cmp_lt_i32 s16, 1
	s_cbranch_scc1 .LBB899_12
.LBB899_19:
	s_load_dword s2, s[4:5], 0x94
	s_waitcnt lgkmcnt(0)
	s_cmp_lg_u32 s2, 1
	s_cbranch_scc1 .LBB899_12
; %bb.20:
	s_lshl_b32 s2, s16, 1
	s_add_i32 s2, s2, 2
	v_cmp_gt_u32_e32 vcc, s16, v1
	s_and_b32 s10, s2, -4
	v_mov_b32_e32 v18, 0
	v_lshlrev_b32_e32 v1, 5, v0
	v_mov_b32_e32 v14, 0
	v_mov_b32_e32 v15, 0
	v_mov_b32_e32 v16, 0
	v_mov_b32_e32 v17, 0
	v_mov_b32_e32 v10, 0
	v_mov_b32_e32 v11, 0
	v_mov_b32_e32 v12, 0
	v_mov_b32_e32 v13, 0
	s_waitcnt vmcnt(1)
	v_mov_b32_e32 v6, 0
	v_mov_b32_e32 v7, 0
	;; [unrolled: 1-line block ×4, first 2 shown]
	s_waitcnt vmcnt(0)
	v_mov_b32_e32 v2, 0
	v_mov_b32_e32 v3, 0
	;; [unrolled: 1-line block ×4, first 2 shown]
	s_barrier
	s_and_saveexec_b64 s[2:3], vcc
	s_cbranch_execz .LBB899_22
; %bb.21:
	s_mul_hi_i32 s5, s18, s6
	s_mul_i32 s4, s18, s6
	s_and_b32 s9, s9, 0xffff
	s_lshl_b64 s[4:5], s[4:5], 1
	s_add_u32 s20, s24, s4
	s_mov_b32 s11, 0x20000
	s_addc_u32 s4, s25, s5
	s_and_b32 s21, s4, 0xffff
	s_mov_b32 s22, s10
	s_mov_b32 s23, s11
	buffer_load_dwordx4 v[14:17], v1, s[20:23], 0 offen
	buffer_load_dwordx4 v[10:13], v1, s[20:23], 16 offen
	;; [unrolled: 1-line block ×4, first 2 shown]
.LBB899_22:
	s_or_b64 exec, exec, s[2:3]
	v_mov_b32_e32 v19, 0
	v_mov_b32_e32 v32, 0
	;; [unrolled: 1-line block ×15, first 2 shown]
	s_and_saveexec_b64 s[2:3], vcc
	s_cbranch_execz .LBB899_24
; %bb.23:
	s_waitcnt vmcnt(3)
	v_cvt_f32_f16_sdwa v19, v14 dst_sel:DWORD dst_unused:UNUSED_PAD src0_sel:WORD_1
	v_cvt_f32_f16_e32 v18, v14
	v_cvt_f32_f16_sdwa v33, v15 dst_sel:DWORD dst_unused:UNUSED_PAD src0_sel:WORD_1
	v_cvt_f32_f16_e32 v32, v15
	;; [unrolled: 2-line block ×4, first 2 shown]
	s_waitcnt vmcnt(2)
	v_cvt_f32_f16_sdwa v27, v10 dst_sel:DWORD dst_unused:UNUSED_PAD src0_sel:WORD_1
	v_cvt_f32_f16_e32 v26, v10
	v_cvt_f32_f16_sdwa v25, v11 dst_sel:DWORD dst_unused:UNUSED_PAD src0_sel:WORD_1
	v_cvt_f32_f16_e32 v24, v11
	;; [unrolled: 2-line block ×4, first 2 shown]
.LBB899_24:
	s_or_b64 exec, exec, s[2:3]
	s_waitcnt vmcnt(2)
	v_mul_f32_e32 v10, v19, v19
	v_fmac_f32_e32 v10, v18, v18
	v_fmac_f32_e32 v10, v32, v32
	;; [unrolled: 1-line block ×15, first 2 shown]
	s_nop 1
	v_mov_b32_dpp v11, v10 quad_perm:[1,0,3,2] row_mask:0xf bank_mask:0xf
	v_add_f32_e32 v10, v10, v11
	s_nop 1
	v_mov_b32_dpp v11, v10 quad_perm:[2,3,0,1] row_mask:0xf bank_mask:0xf
	v_add_f32_e32 v10, v10, v11
	s_nop 1
	v_mov_b32_dpp v11, v10 row_half_mirror row_mask:0xf bank_mask:0xf
	v_add_f32_e32 v10, v10, v11
	s_nop 1
	v_mov_b32_dpp v11, v10 row_mirror row_mask:0xf bank_mask:0xf
	v_add_f32_e32 v10, v10, v11
	s_nop 1
	v_mov_b32_dpp v11, v10 row_bcast:15 row_mask:0xf bank_mask:0xf
	v_add_f32_e32 v10, v10, v11
	s_nop 1
	v_mov_b32_dpp v11, v10 row_bcast:31 row_mask:0xf bank_mask:0xf
	s_and_saveexec_b64 s[2:3], s[0:1]
	s_cbranch_execz .LBB899_26
; %bb.25:
	v_lshrrev_b32_e32 v0, 4, v0
	v_add_f32_e32 v10, v10, v11
	v_and_b32_e32 v0, 60, v0
	ds_write_b32 v0, v10
.LBB899_26:
	s_or_b64 exec, exec, s[2:3]
	s_waitcnt lgkmcnt(0)
	s_barrier
	ds_read_b32 v0, v34
	s_waitcnt lgkmcnt(0)
	s_nop 0
	v_mov_b32_dpp v10, v0 quad_perm:[1,0,3,2] row_mask:0xf bank_mask:0xf
	v_add_f32_e32 v0, v0, v10
	s_nop 1
	v_mov_b32_dpp v10, v0 quad_perm:[2,3,0,1] row_mask:0xf bank_mask:0xf
	v_add_f32_e32 v0, v0, v10
	s_nop 1
	v_mov_b32_dpp v10, v0 row_half_mirror row_mask:0xf bank_mask:0xf
	s_and_saveexec_b64 s[0:1], vcc
	s_cbranch_execz .LBB899_12
; %bb.27:
	v_cvt_f32_u32_e32 v11, s16
	v_add_f32_e32 v0, v0, v10
	s_mov_b32 s11, 0x20000
	v_div_scale_f32 v10, s[0:1], v11, v11, v0
	v_rcp_f32_e32 v12, v10
	v_div_scale_f32 v13, vcc, v0, v11, v0
	s_mov_b32 s0, 0x800000
	v_fma_f32 v14, -v10, v12, 1.0
	v_fmac_f32_e32 v12, v14, v12
	v_mul_f32_e32 v14, v13, v12
	v_fma_f32 v15, -v10, v14, v13
	v_fmac_f32_e32 v14, v15, v12
	v_fma_f32 v10, -v10, v14, v13
	v_div_fmas_f32 v10, v10, v12, v14
	v_div_fixup_f32 v0, v10, v11, v0
	v_add_f32_e32 v0, s13, v0
	v_mul_f32_e32 v10, 0x4b800000, v0
	v_cmp_gt_f32_e32 vcc, s0, v0
	v_cndmask_b32_e32 v0, v0, v10, vcc
	v_rsq_f32_e32 v0, v0
	s_mul_hi_i32 s1, s27, s6
	s_mul_i32 s0, s27, s6
	s_lshl_b64 s[0:1], s[0:1], 1
	v_mul_f32_e32 v10, 0x45800000, v0
	v_cndmask_b32_e32 v10, v0, v10, vcc
	v_mov_b32_e32 v11, v10
	;;#ASMSTART
	v_pk_mul_f32 v[12:13], v[18:19], v[10:11]
	;;#ASMEND
	;;#ASMSTART
	v_pk_mul_f32 v[14:15], v[32:33], v[10:11]
	;;#ASMEND
	;; [unrolled: 3-line block ×4, first 2 shown]
	s_waitcnt vmcnt(1)
	v_cvt_f32_f16_sdwa v29, v6 dst_sel:DWORD dst_unused:UNUSED_PAD src0_sel:WORD_1
	v_cvt_f32_f16_e32 v28, v6
	v_cvt_f32_f16_sdwa v31, v7 dst_sel:DWORD dst_unused:UNUSED_PAD src0_sel:WORD_1
	v_cvt_f32_f16_e32 v30, v7
	;;#ASMSTART
	v_pk_mul_f32 v[26:27], v[26:27], v[10:11]
	;;#ASMEND
	;;#ASMSTART
	v_pk_mul_f32 v[24:25], v[24:25], v[10:11]
	;;#ASMEND
	;; [unrolled: 3-line block ×4, first 2 shown]
	v_cvt_f32_f16_sdwa v21, v8 dst_sel:DWORD dst_unused:UNUSED_PAD src0_sel:WORD_1
	v_cvt_f32_f16_e32 v20, v8
	v_pk_add_f32 v[10:11], v[28:29], 1.0 op_sel_hi:[1,0]
	;;#ASMSTART
	v_pk_mul_f32 v[10:11], v[12:13], v[10:11]
	;;#ASMEND
	v_pk_add_f32 v[12:13], v[30:31], 1.0 op_sel_hi:[1,0]
	v_cvt_f32_f16_sdwa v29, v9 dst_sel:DWORD dst_unused:UNUSED_PAD src0_sel:WORD_1
	v_cvt_f32_f16_e32 v28, v9
	;;#ASMSTART
	v_pk_mul_f32 v[8:9], v[14:15], v[12:13]
	;;#ASMEND
	v_pk_add_f32 v[12:13], v[20:21], 1.0 op_sel_hi:[1,0]
	;;#ASMSTART
	v_pk_mul_f32 v[12:13], v[16:17], v[12:13]
	;;#ASMEND
	s_waitcnt vmcnt(0)
	v_cvt_f32_f16_sdwa v17, v2 dst_sel:DWORD dst_unused:UNUSED_PAD src0_sel:WORD_1
	v_cvt_f32_f16_e32 v16, v2
	v_cvt_f32_f16_sdwa v21, v3 dst_sel:DWORD dst_unused:UNUSED_PAD src0_sel:WORD_1
	v_cvt_f32_f16_e32 v20, v3
	v_pk_add_f32 v[14:15], v[28:29], 1.0 op_sel_hi:[1,0]
	;;#ASMSTART
	v_pk_mul_f32 v[2:3], v[18:19], v[14:15]
	;;#ASMEND
	v_cvt_f32_f16_sdwa v19, v4 dst_sel:DWORD dst_unused:UNUSED_PAD src0_sel:WORD_1
	v_cvt_f32_f16_e32 v18, v4
	v_pk_add_f32 v[14:15], v[16:17], 1.0 op_sel_hi:[1,0]
	v_pk_add_f32 v[16:17], v[20:21], 1.0 op_sel_hi:[1,0]
	v_cvt_f32_f16_sdwa v21, v5 dst_sel:DWORD dst_unused:UNUSED_PAD src0_sel:WORD_1
	v_cvt_f32_f16_e32 v20, v5
	v_pk_add_f32 v[4:5], v[18:19], 1.0 op_sel_hi:[1,0]
	;;#ASMSTART
	v_pk_mul_f32 v[14:15], v[26:27], v[14:15]
	;;#ASMEND
	;;#ASMSTART
	v_pk_mul_f32 v[16:17], v[24:25], v[16:17]
	;;#ASMEND
	;; [unrolled: 3-line block ×3, first 2 shown]
	v_pk_add_f32 v[4:5], v[20:21], 1.0 op_sel_hi:[1,0]
	;;#ASMSTART
	v_pk_mul_f32 v[6:7], v[6:7], v[4:5]
	;;#ASMEND
	v_cvt_f16_f32_e32 v0, v10
	v_cvt_f16_f32_e32 v4, v11
	;; [unrolled: 1-line block ×8, first 2 shown]
	s_add_u32 s8, s14, s0
	s_addc_u32 s0, s15, s1
	s_and_b32 s9, s0, 0xffff
	v_pack_b32_f16 v2, v0, v4
	v_pack_b32_f16 v3, v5, v8
	;; [unrolled: 1-line block ×4, first 2 shown]
	buffer_store_dwordx4 v[2:5], v1, s[8:11], 0 offen
	v_cvt_f16_f32_e32 v0, v14
	v_cvt_f16_f32_e32 v2, v15
	;; [unrolled: 1-line block ×8, first 2 shown]
	v_pack_b32_f16 v2, v0, v2
	v_pack_b32_f16 v3, v3, v4
	;; [unrolled: 1-line block ×4, first 2 shown]
	;;#ASMSTART
	s_nop 0
	;;#ASMEND
	buffer_store_dwordx4 v[2:5], v1, s[8:11], 16 offen
	;;#ASMSTART
	s_nop 0
	;;#ASMEND
	s_endpgm
	.section	.rodata,"a",@progbits
	.p2align	6, 0x0
	.amdhsa_kernel _ZN5aiter35fused_qk_rmsnorm_group_quant_kernelIDF16_N4opus5fp4_tELi512ELi16ELi8ELb0ELb1ELb1ELb1ELb0ELb0EEEvPT0_PvPT_S7_S7_PKS6_S9_S9_S9_S9_ffiiiiiiiiiiiii
		.amdhsa_group_segment_fixed_size 64
		.amdhsa_private_segment_fixed_size 0
		.amdhsa_kernarg_size 400
		.amdhsa_user_sgpr_count 6
		.amdhsa_user_sgpr_private_segment_buffer 1
		.amdhsa_user_sgpr_dispatch_ptr 0
		.amdhsa_user_sgpr_queue_ptr 0
		.amdhsa_user_sgpr_kernarg_segment_ptr 1
		.amdhsa_user_sgpr_dispatch_id 0
		.amdhsa_user_sgpr_flat_scratch_init 0
		.amdhsa_user_sgpr_kernarg_preload_length 0
		.amdhsa_user_sgpr_kernarg_preload_offset 0
		.amdhsa_user_sgpr_private_segment_size 0
		.amdhsa_uses_dynamic_stack 0
		.amdhsa_system_sgpr_private_segment_wavefront_offset 0
		.amdhsa_system_sgpr_workgroup_id_x 1
		.amdhsa_system_sgpr_workgroup_id_y 1
		.amdhsa_system_sgpr_workgroup_id_z 0
		.amdhsa_system_sgpr_workgroup_info 0
		.amdhsa_system_vgpr_workitem_id 0
		.amdhsa_next_free_vgpr 35
		.amdhsa_next_free_sgpr 32
		.amdhsa_accum_offset 36
		.amdhsa_reserve_vcc 1
		.amdhsa_reserve_flat_scratch 0
		.amdhsa_float_round_mode_32 0
		.amdhsa_float_round_mode_16_64 0
		.amdhsa_float_denorm_mode_32 3
		.amdhsa_float_denorm_mode_16_64 3
		.amdhsa_dx10_clamp 1
		.amdhsa_ieee_mode 1
		.amdhsa_fp16_overflow 0
		.amdhsa_tg_split 0
		.amdhsa_exception_fp_ieee_invalid_op 0
		.amdhsa_exception_fp_denorm_src 0
		.amdhsa_exception_fp_ieee_div_zero 0
		.amdhsa_exception_fp_ieee_overflow 0
		.amdhsa_exception_fp_ieee_underflow 0
		.amdhsa_exception_fp_ieee_inexact 0
		.amdhsa_exception_int_div_zero 0
	.end_amdhsa_kernel
	.section	.text._ZN5aiter35fused_qk_rmsnorm_group_quant_kernelIDF16_N4opus5fp4_tELi512ELi16ELi8ELb0ELb1ELb1ELb1ELb0ELb0EEEvPT0_PvPT_S7_S7_PKS6_S9_S9_S9_S9_ffiiiiiiiiiiiii,"axG",@progbits,_ZN5aiter35fused_qk_rmsnorm_group_quant_kernelIDF16_N4opus5fp4_tELi512ELi16ELi8ELb0ELb1ELb1ELb1ELb0ELb0EEEvPT0_PvPT_S7_S7_PKS6_S9_S9_S9_S9_ffiiiiiiiiiiiii,comdat
.Lfunc_end899:
	.size	_ZN5aiter35fused_qk_rmsnorm_group_quant_kernelIDF16_N4opus5fp4_tELi512ELi16ELi8ELb0ELb1ELb1ELb1ELb0ELb0EEEvPT0_PvPT_S7_S7_PKS6_S9_S9_S9_S9_ffiiiiiiiiiiiii, .Lfunc_end899-_ZN5aiter35fused_qk_rmsnorm_group_quant_kernelIDF16_N4opus5fp4_tELi512ELi16ELi8ELb0ELb1ELb1ELb1ELb0ELb0EEEvPT0_PvPT_S7_S7_PKS6_S9_S9_S9_S9_ffiiiiiiiiiiiii
                                        ; -- End function
	.section	.AMDGPU.csdata,"",@progbits
; Kernel info:
; codeLenInByte = 3000
; NumSgprs: 36
; NumVgprs: 35
; NumAgprs: 0
; TotalNumVgprs: 35
; ScratchSize: 0
; MemoryBound: 0
; FloatMode: 240
; IeeeMode: 1
; LDSByteSize: 64 bytes/workgroup (compile time only)
; SGPRBlocks: 4
; VGPRBlocks: 4
; NumSGPRsForWavesPerEU: 36
; NumVGPRsForWavesPerEU: 35
; AccumOffset: 36
; Occupancy: 8
; WaveLimiterHint : 0
; COMPUTE_PGM_RSRC2:SCRATCH_EN: 0
; COMPUTE_PGM_RSRC2:USER_SGPR: 6
; COMPUTE_PGM_RSRC2:TRAP_HANDLER: 0
; COMPUTE_PGM_RSRC2:TGID_X_EN: 1
; COMPUTE_PGM_RSRC2:TGID_Y_EN: 1
; COMPUTE_PGM_RSRC2:TGID_Z_EN: 0
; COMPUTE_PGM_RSRC2:TIDIG_COMP_CNT: 0
; COMPUTE_PGM_RSRC3_GFX90A:ACCUM_OFFSET: 8
; COMPUTE_PGM_RSRC3_GFX90A:TG_SPLIT: 0
	.section	.text._ZN5aiter35fused_qk_rmsnorm_group_quant_kernelItN4opus5fp4_tELi512ELi16ELi8ELb0ELb1ELb1ELb1ELb0ELb0EEEvPT0_PvPT_S7_S7_PKS6_S9_S9_S9_S9_ffiiiiiiiiiiiii,"axG",@progbits,_ZN5aiter35fused_qk_rmsnorm_group_quant_kernelItN4opus5fp4_tELi512ELi16ELi8ELb0ELb1ELb1ELb1ELb0ELb0EEEvPT0_PvPT_S7_S7_PKS6_S9_S9_S9_S9_ffiiiiiiiiiiiii,comdat
	.protected	_ZN5aiter35fused_qk_rmsnorm_group_quant_kernelItN4opus5fp4_tELi512ELi16ELi8ELb0ELb1ELb1ELb1ELb0ELb0EEEvPT0_PvPT_S7_S7_PKS6_S9_S9_S9_S9_ffiiiiiiiiiiiii ; -- Begin function _ZN5aiter35fused_qk_rmsnorm_group_quant_kernelItN4opus5fp4_tELi512ELi16ELi8ELb0ELb1ELb1ELb1ELb0ELb0EEEvPT0_PvPT_S7_S7_PKS6_S9_S9_S9_S9_ffiiiiiiiiiiiii
	.globl	_ZN5aiter35fused_qk_rmsnorm_group_quant_kernelItN4opus5fp4_tELi512ELi16ELi8ELb0ELb1ELb1ELb1ELb0ELb0EEEvPT0_PvPT_S7_S7_PKS6_S9_S9_S9_S9_ffiiiiiiiiiiiii
	.p2align	8
	.type	_ZN5aiter35fused_qk_rmsnorm_group_quant_kernelItN4opus5fp4_tELi512ELi16ELi8ELb0ELb1ELb1ELb1ELb0ELb0EEEvPT0_PvPT_S7_S7_PKS6_S9_S9_S9_S9_ffiiiiiiiiiiiii,@function
_ZN5aiter35fused_qk_rmsnorm_group_quant_kernelItN4opus5fp4_tELi512ELi16ELi8ELb0ELb1ELb1ELb1ELb0ELb0EEEvPT0_PvPT_S7_S7_PKS6_S9_S9_S9_S9_ffiiiiiiiiiiiii: ; @_ZN5aiter35fused_qk_rmsnorm_group_quant_kernelItN4opus5fp4_tELi512ELi16ELi8ELb0ELb1ELb1ELb1ELb0ELb0EEEvPT0_PvPT_S7_S7_PKS6_S9_S9_S9_S9_ffiiiiiiiiiiiii
; %bb.0:
	s_load_dwordx4 s[12:15], s[4:5], 0x50
	s_waitcnt lgkmcnt(0)
	s_cmp_ge_i32 s6, s14
	s_cbranch_scc1 .LBB900_12
; %bb.1:
	s_load_dwordx2 s[24:25], s[4:5], 0x30
	s_load_dwordx2 s[8:9], s[4:5], 0x48
	s_load_dwordx4 s[16:19], s[4:5], 0x60
	s_cmp_lg_u32 s7, 0
	s_cselect_b64 s[10:11], -1, 0
	s_cmp_eq_u32 s7, 0
	s_cselect_b64 vcc, -1, 0
	s_and_b64 s[0:1], vcc, exec
	s_waitcnt lgkmcnt(0)
	s_cselect_b32 s7, s15, s16
	s_add_i32 s0, s7, 1
	s_lshr_b32 s1, s0, 31
	s_add_i32 s0, s0, s1
	s_lshl_b32 s0, s0, 1
	v_lshlrev_b32_e32 v1, 4, v0
	s_and_b32 s22, s0, -4
	v_cmp_gt_i32_e64 s[2:3], s7, v1
	v_mov_b32_e32 v18, 0
	v_mov_b32_e32 v6, 0
	;; [unrolled: 1-line block ×17, first 2 shown]
	s_and_saveexec_b64 s[0:1], s[2:3]
	s_cbranch_execz .LBB900_3
; %bb.2:
	s_load_dwordx2 s[14:15], s[4:5], 0x28
	s_load_dwordx2 s[20:21], s[4:5], 0x40
	s_and_b64 s[26:27], vcc, exec
	s_cselect_b32 s17, s17, s18
	s_mov_b32 s30, s22
	s_waitcnt lgkmcnt(0)
	s_cselect_b32 s19, s15, s25
	s_cselect_b32 s23, s14, s24
	s_mul_hi_i32 s15, s17, s6
	s_mul_i32 s14, s17, s6
	s_lshl_b64 s[14:15], s[14:15], 1
	s_add_u32 s28, s23, s14
	s_addc_u32 s17, s19, s15
	s_and_b64 s[14:15], vcc, exec
	s_mov_b32 s23, 0x20000
	s_cselect_b32 s20, s20, s8
	s_cselect_b32 s14, s21, s9
	s_and_b32 s29, s17, 0xffff
	s_mov_b32 s31, s23
	v_lshlrev_b32_e32 v19, 5, v0
	s_and_b32 s21, s14, 0xffff
	buffer_load_dwordx4 v[14:17], v19, s[28:31], 0 offen
	buffer_load_dwordx4 v[10:13], v19, s[28:31], 16 offen
	;; [unrolled: 1-line block ×4, first 2 shown]
.LBB900_3:
	s_or_b64 exec, exec, s[0:1]
	v_mov_b32_e32 v19, 0
	v_mov_b32_e32 v20, 0
	;; [unrolled: 1-line block ×15, first 2 shown]
	s_and_saveexec_b64 s[0:1], s[2:3]
	s_cbranch_execz .LBB900_5
; %bb.4:
	s_waitcnt vmcnt(3)
	v_cvt_f32_u32_sdwa v18, v14 dst_sel:DWORD dst_unused:UNUSED_PAD src0_sel:WORD_0
	v_cvt_f32_u32_sdwa v19, v14 dst_sel:DWORD dst_unused:UNUSED_PAD src0_sel:WORD_1
	v_cvt_f32_u32_sdwa v20, v15 dst_sel:DWORD dst_unused:UNUSED_PAD src0_sel:WORD_0
	v_cvt_f32_u32_sdwa v21, v15 dst_sel:DWORD dst_unused:UNUSED_PAD src0_sel:WORD_1
	;; [unrolled: 2-line block ×4, first 2 shown]
	s_waitcnt vmcnt(2)
	v_cvt_f32_u32_sdwa v24, v10 dst_sel:DWORD dst_unused:UNUSED_PAD src0_sel:WORD_0
	v_cvt_f32_u32_sdwa v25, v10 dst_sel:DWORD dst_unused:UNUSED_PAD src0_sel:WORD_1
	v_cvt_f32_u32_sdwa v30, v11 dst_sel:DWORD dst_unused:UNUSED_PAD src0_sel:WORD_0
	v_cvt_f32_u32_sdwa v31, v11 dst_sel:DWORD dst_unused:UNUSED_PAD src0_sel:WORD_1
	;; [unrolled: 2-line block ×4, first 2 shown]
.LBB900_5:
	s_or_b64 exec, exec, s[0:1]
	s_waitcnt vmcnt(2)
	v_mul_f32_e32 v10, v19, v19
	v_fmac_f32_e32 v10, v18, v18
	v_fmac_f32_e32 v10, v20, v20
	;; [unrolled: 1-line block ×15, first 2 shown]
	v_and_b32_e32 v12, 63, v0
	v_cmp_eq_u32_e64 s[0:1], 63, v12
	v_mov_b32_dpp v11, v10 quad_perm:[1,0,3,2] row_mask:0xf bank_mask:0xf
	v_add_f32_e32 v10, v10, v11
	s_nop 1
	v_mov_b32_dpp v11, v10 quad_perm:[2,3,0,1] row_mask:0xf bank_mask:0xf
	v_add_f32_e32 v10, v10, v11
	s_nop 1
	v_mov_b32_dpp v11, v10 row_half_mirror row_mask:0xf bank_mask:0xf
	v_add_f32_e32 v10, v10, v11
	s_nop 1
	v_mov_b32_dpp v11, v10 row_mirror row_mask:0xf bank_mask:0xf
	v_add_f32_e32 v10, v10, v11
	s_nop 1
	v_mov_b32_dpp v11, v10 row_bcast:15 row_mask:0xf bank_mask:0xf
	v_add_f32_e32 v10, v10, v11
	s_nop 1
	v_mov_b32_dpp v11, v10 row_bcast:31 row_mask:0xf bank_mask:0xf
	s_and_saveexec_b64 s[14:15], s[0:1]
	s_cbranch_execz .LBB900_7
; %bb.6:
	v_add_f32_e32 v10, v10, v11
	v_lshrrev_b32_e32 v11, 4, v0
	v_and_b32_e32 v11, 60, v11
	ds_write_b32 v11, v10 offset:32
.LBB900_7:
	s_or_b64 exec, exec, s[14:15]
	v_and_b32_e32 v10, 7, v0
	v_lshlrev_b32_e32 v34, 2, v10
	s_waitcnt lgkmcnt(0)
	s_barrier
	ds_read_b32 v10, v34 offset:32
	s_load_dwordx2 s[14:15], s[4:5], 0x18
	s_waitcnt lgkmcnt(0)
	v_mov_b32_dpp v11, v10 quad_perm:[1,0,3,2] row_mask:0xf bank_mask:0xf
	v_add_f32_e32 v10, v10, v11
	s_nop 1
	v_mov_b32_dpp v11, v10 quad_perm:[2,3,0,1] row_mask:0xf bank_mask:0xf
	v_add_f32_e32 v10, v10, v11
	s_nop 1
	v_mov_b32_dpp v11, v10 row_half_mirror row_mask:0xf bank_mask:0xf
	s_and_saveexec_b64 s[20:21], s[2:3]
	s_cbranch_execz .LBB900_9
; %bb.8:
	v_cvt_f32_u32_e32 v12, s7
	v_add_f32_e32 v10, v10, v11
	v_mov_b32_e32 v14, s13
	v_mov_b32_e32 v15, s12
	v_div_scale_f32 v11, s[26:27], v12, v12, v10
	v_rcp_f32_e32 v13, v11
	v_cndmask_b32_e32 v14, v14, v15, vcc
	s_mov_b32 s7, 0x800000
	v_fma_f32 v15, -v11, v13, 1.0
	v_fmac_f32_e32 v13, v15, v13
	v_div_scale_f32 v15, vcc, v10, v12, v10
	v_mul_f32_e32 v16, v15, v13
	v_fma_f32 v17, -v11, v16, v15
	v_fmac_f32_e32 v16, v17, v13
	v_fma_f32 v11, -v11, v16, v15
	v_div_fmas_f32 v11, v11, v13, v16
	v_div_fixup_f32 v10, v11, v12, v10
	v_add_f32_e32 v10, v14, v10
	v_mul_f32_e32 v11, 0x4b800000, v10
	v_cmp_gt_f32_e32 vcc, s7, v10
	v_cndmask_b32_e32 v10, v10, v11, vcc
	v_rsq_f32_e32 v10, v10
	v_mul_f32_e32 v11, 0x45800000, v10
	v_cndmask_b32_e32 v10, v10, v11, vcc
	v_mov_b32_e32 v11, v10
	;;#ASMSTART
	v_pk_mul_f32 v[12:13], v[18:19], v[10:11]
	;;#ASMEND
	s_waitcnt vmcnt(1)
	v_cvt_f32_u32_sdwa v19, v6 dst_sel:DWORD dst_unused:UNUSED_PAD src0_sel:WORD_1
	v_cvt_f32_u32_sdwa v18, v6 dst_sel:DWORD dst_unused:UNUSED_PAD src0_sel:WORD_0
	;;#ASMSTART
	v_pk_mul_f32 v[14:15], v[20:21], v[10:11]
	;;#ASMEND
	v_cvt_f32_u32_sdwa v21, v7 dst_sel:DWORD dst_unused:UNUSED_PAD src0_sel:WORD_1
	v_cvt_f32_u32_sdwa v20, v7 dst_sel:DWORD dst_unused:UNUSED_PAD src0_sel:WORD_0
	;;#ASMSTART
	v_pk_mul_f32 v[16:17], v[22:23], v[10:11]
	;;#ASMEND
	;;#ASMSTART
	v_pk_mul_f32 v[26:27], v[26:27], v[10:11]
	;;#ASMEND
	;; [unrolled: 3-line block ×6, first 2 shown]
	v_pk_add_f32 v[10:11], v[18:19], 1.0 op_sel_hi:[1,0]
	;;#ASMSTART
	v_pk_mul_f32 v[18:19], v[12:13], v[10:11]
	;;#ASMEND
	v_cvt_f32_u32_sdwa v13, v8 dst_sel:DWORD dst_unused:UNUSED_PAD src0_sel:WORD_1
	v_cvt_f32_u32_sdwa v12, v8 dst_sel:DWORD dst_unused:UNUSED_PAD src0_sel:WORD_0
	v_cvt_f32_u32_sdwa v29, v9 dst_sel:DWORD dst_unused:UNUSED_PAD src0_sel:WORD_1
	v_cvt_f32_u32_sdwa v28, v9 dst_sel:DWORD dst_unused:UNUSED_PAD src0_sel:WORD_0
	v_pk_add_f32 v[10:11], v[20:21], 1.0 op_sel_hi:[1,0]
	;;#ASMSTART
	v_pk_mul_f32 v[20:21], v[14:15], v[10:11]
	;;#ASMEND
	s_waitcnt vmcnt(0)
	v_cvt_f32_u32_sdwa v11, v2 dst_sel:DWORD dst_unused:UNUSED_PAD src0_sel:WORD_1
	v_cvt_f32_u32_sdwa v10, v2 dst_sel:DWORD dst_unused:UNUSED_PAD src0_sel:WORD_0
	v_pk_add_f32 v[8:9], v[12:13], 1.0 op_sel_hi:[1,0]
	;;#ASMSTART
	v_pk_mul_f32 v[22:23], v[16:17], v[8:9]
	;;#ASMEND
	v_pk_add_f32 v[8:9], v[28:29], 1.0 op_sel_hi:[1,0]
	v_cvt_f32_u32_sdwa v13, v3 dst_sel:DWORD dst_unused:UNUSED_PAD src0_sel:WORD_1
	v_cvt_f32_u32_sdwa v12, v3 dst_sel:DWORD dst_unused:UNUSED_PAD src0_sel:WORD_0
	;;#ASMSTART
	v_pk_mul_f32 v[26:27], v[26:27], v[8:9]
	;;#ASMEND
	v_cvt_f32_u32_sdwa v9, v4 dst_sel:DWORD dst_unused:UNUSED_PAD src0_sel:WORD_1
	v_cvt_f32_u32_sdwa v8, v4 dst_sel:DWORD dst_unused:UNUSED_PAD src0_sel:WORD_0
	v_pk_add_f32 v[2:3], v[10:11], 1.0 op_sel_hi:[1,0]
	v_cvt_f32_u32_sdwa v11, v5 dst_sel:DWORD dst_unused:UNUSED_PAD src0_sel:WORD_1
	v_cvt_f32_u32_sdwa v10, v5 dst_sel:DWORD dst_unused:UNUSED_PAD src0_sel:WORD_0
	;;#ASMSTART
	v_pk_mul_f32 v[24:25], v[24:25], v[2:3]
	;;#ASMEND
	v_pk_add_f32 v[2:3], v[12:13], 1.0 op_sel_hi:[1,0]
	;;#ASMSTART
	v_pk_mul_f32 v[30:31], v[30:31], v[2:3]
	;;#ASMEND
	v_pk_add_f32 v[2:3], v[8:9], 1.0 op_sel_hi:[1,0]
	;; [unrolled: 4-line block ×3, first 2 shown]
	;;#ASMSTART
	v_pk_mul_f32 v[28:29], v[6:7], v[2:3]
	;;#ASMEND
.LBB900_9:
	s_or_b64 exec, exec, s[20:21]
	s_load_dwordx2 s[26:27], s[4:5], 0x7c
	s_mov_b64 s[20:21], -1
	s_and_b64 vcc, exec, s[10:11]
	s_cbranch_vccnz .LBB900_13
; %bb.10:
	s_andn2_b64 vcc, exec, s[20:21]
	s_cbranch_vccz .LBB900_16
.LBB900_11:
	s_cmp_lt_i32 s16, 1
	s_cbranch_scc0 .LBB900_19
.LBB900_12:
	s_endpgm
.LBB900_13:
	s_and_saveexec_b64 s[10:11], s[2:3]
	s_cbranch_execz .LBB900_15
; %bb.14:
	s_waitcnt lgkmcnt(0)
	s_mul_hi_i32 s21, s27, s6
	s_mul_i32 s20, s27, s6
	s_lshl_b64 s[20:21], s[20:21], 1
	s_add_u32 s20, s14, s20
	s_addc_u32 s7, s15, s21
	s_and_b32 s21, s7, 0xffff
	s_mov_b32 s7, 0x7060302
	s_mov_b32 s23, 0x20000
	s_waitcnt vmcnt(0)
	v_perm_b32 v5, v27, v26, s7
	v_perm_b32 v4, v23, v22, s7
	;; [unrolled: 1-line block ×4, first 2 shown]
	v_lshlrev_b32_e32 v6, 5, v0
	buffer_store_dwordx4 v[2:5], v6, s[20:23], 0 offen
	;;#ASMSTART
	s_nop 0
	;;#ASMEND
	s_nop 0
	v_perm_b32 v5, v29, v28, s7
	v_perm_b32 v4, v33, v32, s7
	;; [unrolled: 1-line block ×4, first 2 shown]
	buffer_store_dwordx4 v[2:5], v6, s[20:23], 16 offen
	;;#ASMSTART
	s_nop 0
	;;#ASMEND
.LBB900_15:
	s_or_b64 exec, exec, s[10:11]
	s_cbranch_execnz .LBB900_11
.LBB900_16:
	s_and_saveexec_b64 s[10:11], s[2:3]
	s_cbranch_execz .LBB900_18
; %bb.17:
	s_load_dwordx2 s[2:3], s[4:5], 0x10
	s_waitcnt lgkmcnt(0)
	s_mul_hi_i32 s21, s26, s6
	s_mul_i32 s20, s26, s6
	s_lshl_b64 s[20:21], s[20:21], 1
	s_mov_b32 s23, 0x20000
	s_add_u32 s20, s2, s20
	s_addc_u32 s2, s3, s21
	s_and_b32 s21, s2, 0xffff
	s_mov_b32 s2, 0x7060302
	s_waitcnt vmcnt(0)
	v_perm_b32 v5, v27, v26, s2
	v_perm_b32 v4, v23, v22, s2
	;; [unrolled: 1-line block ×4, first 2 shown]
	v_lshlrev_b32_e32 v6, 5, v0
	buffer_store_dwordx4 v[2:5], v6, s[20:23], 0 offen
	;;#ASMSTART
	s_nop 0
	;;#ASMEND
	s_nop 0
	v_perm_b32 v5, v29, v28, s2
	v_perm_b32 v4, v33, v32, s2
	v_perm_b32 v3, v31, v30, s2
	v_perm_b32 v2, v25, v24, s2
	buffer_store_dwordx4 v[2:5], v6, s[20:23], 16 offen
	;;#ASMSTART
	s_nop 0
	;;#ASMEND
.LBB900_18:
	s_or_b64 exec, exec, s[10:11]
	s_cmp_lt_i32 s16, 1
	s_cbranch_scc1 .LBB900_12
.LBB900_19:
	s_load_dword s2, s[4:5], 0x94
	s_waitcnt lgkmcnt(0)
	s_cmp_lg_u32 s2, 1
	s_cbranch_scc1 .LBB900_12
; %bb.20:
	s_lshl_b32 s2, s16, 1
	s_add_i32 s2, s2, 2
	v_cmp_gt_u32_e32 vcc, s16, v1
	s_and_b32 s10, s2, -4
	v_mov_b32_e32 v18, 0
	v_lshlrev_b32_e32 v1, 5, v0
	v_mov_b32_e32 v14, 0
	v_mov_b32_e32 v15, 0
	;; [unrolled: 1-line block ×8, first 2 shown]
	s_waitcnt vmcnt(1)
	v_mov_b32_e32 v6, 0
	v_mov_b32_e32 v7, 0
	;; [unrolled: 1-line block ×4, first 2 shown]
	s_waitcnt vmcnt(0)
	v_mov_b32_e32 v2, 0
	v_mov_b32_e32 v3, 0
	v_mov_b32_e32 v4, 0
	v_mov_b32_e32 v5, 0
	s_barrier
	s_and_saveexec_b64 s[2:3], vcc
	s_cbranch_execz .LBB900_22
; %bb.21:
	s_mul_hi_i32 s5, s18, s6
	s_mul_i32 s4, s18, s6
	s_and_b32 s9, s9, 0xffff
	s_lshl_b64 s[4:5], s[4:5], 1
	s_add_u32 s20, s24, s4
	s_mov_b32 s11, 0x20000
	s_addc_u32 s4, s25, s5
	s_and_b32 s21, s4, 0xffff
	s_mov_b32 s22, s10
	s_mov_b32 s23, s11
	buffer_load_dwordx4 v[14:17], v1, s[20:23], 0 offen
	buffer_load_dwordx4 v[10:13], v1, s[20:23], 16 offen
	;; [unrolled: 1-line block ×4, first 2 shown]
.LBB900_22:
	s_or_b64 exec, exec, s[2:3]
	v_mov_b32_e32 v19, 0
	v_mov_b32_e32 v32, 0
	;; [unrolled: 1-line block ×15, first 2 shown]
	s_and_saveexec_b64 s[2:3], vcc
	s_cbranch_execz .LBB900_24
; %bb.23:
	s_waitcnt vmcnt(3)
	v_cvt_f32_u32_sdwa v18, v14 dst_sel:DWORD dst_unused:UNUSED_PAD src0_sel:WORD_0
	v_cvt_f32_u32_sdwa v19, v14 dst_sel:DWORD dst_unused:UNUSED_PAD src0_sel:WORD_1
	v_cvt_f32_u32_sdwa v32, v15 dst_sel:DWORD dst_unused:UNUSED_PAD src0_sel:WORD_0
	v_cvt_f32_u32_sdwa v33, v15 dst_sel:DWORD dst_unused:UNUSED_PAD src0_sel:WORD_1
	v_cvt_f32_u32_sdwa v30, v16 dst_sel:DWORD dst_unused:UNUSED_PAD src0_sel:WORD_0
	v_cvt_f32_u32_sdwa v31, v16 dst_sel:DWORD dst_unused:UNUSED_PAD src0_sel:WORD_1
	v_cvt_f32_u32_sdwa v28, v17 dst_sel:DWORD dst_unused:UNUSED_PAD src0_sel:WORD_0
	v_cvt_f32_u32_sdwa v29, v17 dst_sel:DWORD dst_unused:UNUSED_PAD src0_sel:WORD_1
	s_waitcnt vmcnt(2)
	v_cvt_f32_u32_sdwa v26, v10 dst_sel:DWORD dst_unused:UNUSED_PAD src0_sel:WORD_0
	v_cvt_f32_u32_sdwa v27, v10 dst_sel:DWORD dst_unused:UNUSED_PAD src0_sel:WORD_1
	v_cvt_f32_u32_sdwa v24, v11 dst_sel:DWORD dst_unused:UNUSED_PAD src0_sel:WORD_0
	v_cvt_f32_u32_sdwa v25, v11 dst_sel:DWORD dst_unused:UNUSED_PAD src0_sel:WORD_1
	v_cvt_f32_u32_sdwa v22, v12 dst_sel:DWORD dst_unused:UNUSED_PAD src0_sel:WORD_0
	v_cvt_f32_u32_sdwa v23, v12 dst_sel:DWORD dst_unused:UNUSED_PAD src0_sel:WORD_1
	v_cvt_f32_u32_sdwa v20, v13 dst_sel:DWORD dst_unused:UNUSED_PAD src0_sel:WORD_0
	v_cvt_f32_u32_sdwa v21, v13 dst_sel:DWORD dst_unused:UNUSED_PAD src0_sel:WORD_1
.LBB900_24:
	s_or_b64 exec, exec, s[2:3]
	s_waitcnt vmcnt(2)
	v_mul_f32_e32 v10, v19, v19
	v_fmac_f32_e32 v10, v18, v18
	v_fmac_f32_e32 v10, v32, v32
	;; [unrolled: 1-line block ×15, first 2 shown]
	s_nop 1
	v_mov_b32_dpp v11, v10 quad_perm:[1,0,3,2] row_mask:0xf bank_mask:0xf
	v_add_f32_e32 v10, v10, v11
	s_nop 1
	v_mov_b32_dpp v11, v10 quad_perm:[2,3,0,1] row_mask:0xf bank_mask:0xf
	v_add_f32_e32 v10, v10, v11
	s_nop 1
	v_mov_b32_dpp v11, v10 row_half_mirror row_mask:0xf bank_mask:0xf
	v_add_f32_e32 v10, v10, v11
	s_nop 1
	v_mov_b32_dpp v11, v10 row_mirror row_mask:0xf bank_mask:0xf
	v_add_f32_e32 v10, v10, v11
	s_nop 1
	v_mov_b32_dpp v11, v10 row_bcast:15 row_mask:0xf bank_mask:0xf
	v_add_f32_e32 v10, v10, v11
	s_nop 1
	v_mov_b32_dpp v11, v10 row_bcast:31 row_mask:0xf bank_mask:0xf
	s_and_saveexec_b64 s[2:3], s[0:1]
	s_cbranch_execz .LBB900_26
; %bb.25:
	v_lshrrev_b32_e32 v0, 4, v0
	v_add_f32_e32 v10, v10, v11
	v_and_b32_e32 v0, 60, v0
	ds_write_b32 v0, v10
.LBB900_26:
	s_or_b64 exec, exec, s[2:3]
	s_waitcnt lgkmcnt(0)
	s_barrier
	ds_read_b32 v0, v34
	s_waitcnt lgkmcnt(0)
	s_nop 0
	v_mov_b32_dpp v10, v0 quad_perm:[1,0,3,2] row_mask:0xf bank_mask:0xf
	v_add_f32_e32 v0, v0, v10
	s_nop 1
	v_mov_b32_dpp v10, v0 quad_perm:[2,3,0,1] row_mask:0xf bank_mask:0xf
	v_add_f32_e32 v0, v0, v10
	s_nop 1
	v_mov_b32_dpp v10, v0 row_half_mirror row_mask:0xf bank_mask:0xf
	s_and_saveexec_b64 s[0:1], vcc
	s_cbranch_execz .LBB900_12
; %bb.27:
	v_cvt_f32_u32_e32 v11, s16
	v_add_f32_e32 v0, v0, v10
	s_mov_b32 s11, 0x20000
	v_div_scale_f32 v10, s[0:1], v11, v11, v0
	v_rcp_f32_e32 v12, v10
	v_div_scale_f32 v13, vcc, v0, v11, v0
	s_mov_b32 s0, 0x800000
	v_fma_f32 v14, -v10, v12, 1.0
	v_fmac_f32_e32 v12, v14, v12
	v_mul_f32_e32 v14, v13, v12
	v_fma_f32 v15, -v10, v14, v13
	v_fmac_f32_e32 v14, v15, v12
	v_fma_f32 v10, -v10, v14, v13
	v_div_fmas_f32 v10, v10, v12, v14
	v_div_fixup_f32 v0, v10, v11, v0
	v_add_f32_e32 v0, s13, v0
	v_mul_f32_e32 v10, 0x4b800000, v0
	v_cmp_gt_f32_e32 vcc, s0, v0
	v_cndmask_b32_e32 v0, v0, v10, vcc
	v_rsq_f32_e32 v0, v0
	s_mul_hi_i32 s1, s27, s6
	s_mul_i32 s0, s27, s6
	s_lshl_b64 s[0:1], s[0:1], 1
	v_mul_f32_e32 v10, 0x45800000, v0
	v_cndmask_b32_e32 v10, v0, v10, vcc
	v_mov_b32_e32 v11, v10
	;;#ASMSTART
	v_pk_mul_f32 v[12:13], v[18:19], v[10:11]
	;;#ASMEND
	;;#ASMSTART
	v_pk_mul_f32 v[14:15], v[32:33], v[10:11]
	;;#ASMEND
	;; [unrolled: 3-line block ×4, first 2 shown]
	s_waitcnt vmcnt(1)
	v_cvt_f32_u32_sdwa v29, v6 dst_sel:DWORD dst_unused:UNUSED_PAD src0_sel:WORD_1
	v_cvt_f32_u32_sdwa v28, v6 dst_sel:DWORD dst_unused:UNUSED_PAD src0_sel:WORD_0
	v_cvt_f32_u32_sdwa v31, v7 dst_sel:DWORD dst_unused:UNUSED_PAD src0_sel:WORD_1
	v_cvt_f32_u32_sdwa v30, v7 dst_sel:DWORD dst_unused:UNUSED_PAD src0_sel:WORD_0
	;;#ASMSTART
	v_pk_mul_f32 v[26:27], v[26:27], v[10:11]
	;;#ASMEND
	;;#ASMSTART
	v_pk_mul_f32 v[24:25], v[24:25], v[10:11]
	;;#ASMEND
	;; [unrolled: 3-line block ×4, first 2 shown]
	v_cvt_f32_u32_sdwa v21, v8 dst_sel:DWORD dst_unused:UNUSED_PAD src0_sel:WORD_1
	v_cvt_f32_u32_sdwa v20, v8 dst_sel:DWORD dst_unused:UNUSED_PAD src0_sel:WORD_0
	v_pk_add_f32 v[10:11], v[28:29], 1.0 op_sel_hi:[1,0]
	;;#ASMSTART
	v_pk_mul_f32 v[10:11], v[12:13], v[10:11]
	;;#ASMEND
	v_pk_add_f32 v[12:13], v[30:31], 1.0 op_sel_hi:[1,0]
	v_cvt_f32_u32_sdwa v29, v9 dst_sel:DWORD dst_unused:UNUSED_PAD src0_sel:WORD_1
	v_cvt_f32_u32_sdwa v28, v9 dst_sel:DWORD dst_unused:UNUSED_PAD src0_sel:WORD_0
	;;#ASMSTART
	v_pk_mul_f32 v[8:9], v[14:15], v[12:13]
	;;#ASMEND
	v_pk_add_f32 v[12:13], v[20:21], 1.0 op_sel_hi:[1,0]
	;;#ASMSTART
	v_pk_mul_f32 v[12:13], v[16:17], v[12:13]
	;;#ASMEND
	s_waitcnt vmcnt(0)
	v_cvt_f32_u32_sdwa v17, v2 dst_sel:DWORD dst_unused:UNUSED_PAD src0_sel:WORD_1
	v_cvt_f32_u32_sdwa v16, v2 dst_sel:DWORD dst_unused:UNUSED_PAD src0_sel:WORD_0
	v_cvt_f32_u32_sdwa v21, v3 dst_sel:DWORD dst_unused:UNUSED_PAD src0_sel:WORD_1
	v_cvt_f32_u32_sdwa v20, v3 dst_sel:DWORD dst_unused:UNUSED_PAD src0_sel:WORD_0
	v_pk_add_f32 v[14:15], v[28:29], 1.0 op_sel_hi:[1,0]
	;;#ASMSTART
	v_pk_mul_f32 v[14:15], v[18:19], v[14:15]
	;;#ASMEND
	v_pk_add_f32 v[2:3], v[16:17], 1.0 op_sel_hi:[1,0]
	v_cvt_f32_u32_sdwa v19, v4 dst_sel:DWORD dst_unused:UNUSED_PAD src0_sel:WORD_1
	v_cvt_f32_u32_sdwa v18, v4 dst_sel:DWORD dst_unused:UNUSED_PAD src0_sel:WORD_0
	;;#ASMSTART
	v_pk_mul_f32 v[16:17], v[26:27], v[2:3]
	;;#ASMEND
	v_pk_add_f32 v[2:3], v[20:21], 1.0 op_sel_hi:[1,0]
	v_cvt_f32_u32_sdwa v21, v5 dst_sel:DWORD dst_unused:UNUSED_PAD src0_sel:WORD_1
	v_cvt_f32_u32_sdwa v20, v5 dst_sel:DWORD dst_unused:UNUSED_PAD src0_sel:WORD_0
	s_add_u32 s8, s14, s0
	;;#ASMSTART
	v_pk_mul_f32 v[24:25], v[24:25], v[2:3]
	;;#ASMEND
	v_pk_add_f32 v[2:3], v[18:19], 1.0 op_sel_hi:[1,0]
	s_addc_u32 s0, s15, s1
	;;#ASMSTART
	v_pk_mul_f32 v[18:19], v[22:23], v[2:3]
	;;#ASMEND
	v_pk_add_f32 v[2:3], v[20:21], 1.0 op_sel_hi:[1,0]
	s_and_b32 s9, s0, 0xffff
	s_mov_b32 s0, 0x7060302
	;;#ASMSTART
	v_pk_mul_f32 v[6:7], v[6:7], v[2:3]
	;;#ASMEND
	v_perm_b32 v2, v11, v10, s0
	v_perm_b32 v3, v9, v8, s0
	;; [unrolled: 1-line block ×4, first 2 shown]
	buffer_store_dwordx4 v[2:5], v1, s[8:11], 0 offen
	;;#ASMSTART
	s_nop 0
	;;#ASMEND
	s_nop 0
	v_perm_b32 v2, v17, v16, s0
	v_perm_b32 v3, v25, v24, s0
	;; [unrolled: 1-line block ×4, first 2 shown]
	buffer_store_dwordx4 v[2:5], v1, s[8:11], 16 offen
	;;#ASMSTART
	s_nop 0
	;;#ASMEND
	s_endpgm
	.section	.rodata,"a",@progbits
	.p2align	6, 0x0
	.amdhsa_kernel _ZN5aiter35fused_qk_rmsnorm_group_quant_kernelItN4opus5fp4_tELi512ELi16ELi8ELb0ELb1ELb1ELb1ELb0ELb0EEEvPT0_PvPT_S7_S7_PKS6_S9_S9_S9_S9_ffiiiiiiiiiiiii
		.amdhsa_group_segment_fixed_size 64
		.amdhsa_private_segment_fixed_size 0
		.amdhsa_kernarg_size 400
		.amdhsa_user_sgpr_count 6
		.amdhsa_user_sgpr_private_segment_buffer 1
		.amdhsa_user_sgpr_dispatch_ptr 0
		.amdhsa_user_sgpr_queue_ptr 0
		.amdhsa_user_sgpr_kernarg_segment_ptr 1
		.amdhsa_user_sgpr_dispatch_id 0
		.amdhsa_user_sgpr_flat_scratch_init 0
		.amdhsa_user_sgpr_kernarg_preload_length 0
		.amdhsa_user_sgpr_kernarg_preload_offset 0
		.amdhsa_user_sgpr_private_segment_size 0
		.amdhsa_uses_dynamic_stack 0
		.amdhsa_system_sgpr_private_segment_wavefront_offset 0
		.amdhsa_system_sgpr_workgroup_id_x 1
		.amdhsa_system_sgpr_workgroup_id_y 1
		.amdhsa_system_sgpr_workgroup_id_z 0
		.amdhsa_system_sgpr_workgroup_info 0
		.amdhsa_system_vgpr_workitem_id 0
		.amdhsa_next_free_vgpr 35
		.amdhsa_next_free_sgpr 32
		.amdhsa_accum_offset 36
		.amdhsa_reserve_vcc 1
		.amdhsa_reserve_flat_scratch 0
		.amdhsa_float_round_mode_32 0
		.amdhsa_float_round_mode_16_64 0
		.amdhsa_float_denorm_mode_32 3
		.amdhsa_float_denorm_mode_16_64 3
		.amdhsa_dx10_clamp 1
		.amdhsa_ieee_mode 1
		.amdhsa_fp16_overflow 0
		.amdhsa_tg_split 0
		.amdhsa_exception_fp_ieee_invalid_op 0
		.amdhsa_exception_fp_denorm_src 0
		.amdhsa_exception_fp_ieee_div_zero 0
		.amdhsa_exception_fp_ieee_overflow 0
		.amdhsa_exception_fp_ieee_underflow 0
		.amdhsa_exception_fp_ieee_inexact 0
		.amdhsa_exception_int_div_zero 0
	.end_amdhsa_kernel
	.section	.text._ZN5aiter35fused_qk_rmsnorm_group_quant_kernelItN4opus5fp4_tELi512ELi16ELi8ELb0ELb1ELb1ELb1ELb0ELb0EEEvPT0_PvPT_S7_S7_PKS6_S9_S9_S9_S9_ffiiiiiiiiiiiii,"axG",@progbits,_ZN5aiter35fused_qk_rmsnorm_group_quant_kernelItN4opus5fp4_tELi512ELi16ELi8ELb0ELb1ELb1ELb1ELb0ELb0EEEvPT0_PvPT_S7_S7_PKS6_S9_S9_S9_S9_ffiiiiiiiiiiiii,comdat
.Lfunc_end900:
	.size	_ZN5aiter35fused_qk_rmsnorm_group_quant_kernelItN4opus5fp4_tELi512ELi16ELi8ELb0ELb1ELb1ELb1ELb0ELb0EEEvPT0_PvPT_S7_S7_PKS6_S9_S9_S9_S9_ffiiiiiiiiiiiii, .Lfunc_end900-_ZN5aiter35fused_qk_rmsnorm_group_quant_kernelItN4opus5fp4_tELi512ELi16ELi8ELb0ELb1ELb1ELb1ELb0ELb0EEEvPT0_PvPT_S7_S7_PKS6_S9_S9_S9_S9_ffiiiiiiiiiiiii
                                        ; -- End function
	.section	.AMDGPU.csdata,"",@progbits
; Kernel info:
; codeLenInByte = 2972
; NumSgprs: 36
; NumVgprs: 35
; NumAgprs: 0
; TotalNumVgprs: 35
; ScratchSize: 0
; MemoryBound: 0
; FloatMode: 240
; IeeeMode: 1
; LDSByteSize: 64 bytes/workgroup (compile time only)
; SGPRBlocks: 4
; VGPRBlocks: 4
; NumSGPRsForWavesPerEU: 36
; NumVGPRsForWavesPerEU: 35
; AccumOffset: 36
; Occupancy: 8
; WaveLimiterHint : 0
; COMPUTE_PGM_RSRC2:SCRATCH_EN: 0
; COMPUTE_PGM_RSRC2:USER_SGPR: 6
; COMPUTE_PGM_RSRC2:TRAP_HANDLER: 0
; COMPUTE_PGM_RSRC2:TGID_X_EN: 1
; COMPUTE_PGM_RSRC2:TGID_Y_EN: 1
; COMPUTE_PGM_RSRC2:TGID_Z_EN: 0
; COMPUTE_PGM_RSRC2:TIDIG_COMP_CNT: 0
; COMPUTE_PGM_RSRC3_GFX90A:ACCUM_OFFSET: 8
; COMPUTE_PGM_RSRC3_GFX90A:TG_SPLIT: 0
	.section	.text._ZN5aiter35fused_qk_rmsnorm_group_quant_kernelIDF16_DB8_Li512ELi16ELi8ELb0ELb1ELb0ELb1ELb0ELb0EEEvPT0_PvPT_S6_S6_PKS5_S8_S8_S8_S8_ffiiiiiiiiiiiii,"axG",@progbits,_ZN5aiter35fused_qk_rmsnorm_group_quant_kernelIDF16_DB8_Li512ELi16ELi8ELb0ELb1ELb0ELb1ELb0ELb0EEEvPT0_PvPT_S6_S6_PKS5_S8_S8_S8_S8_ffiiiiiiiiiiiii,comdat
	.protected	_ZN5aiter35fused_qk_rmsnorm_group_quant_kernelIDF16_DB8_Li512ELi16ELi8ELb0ELb1ELb0ELb1ELb0ELb0EEEvPT0_PvPT_S6_S6_PKS5_S8_S8_S8_S8_ffiiiiiiiiiiiii ; -- Begin function _ZN5aiter35fused_qk_rmsnorm_group_quant_kernelIDF16_DB8_Li512ELi16ELi8ELb0ELb1ELb0ELb1ELb0ELb0EEEvPT0_PvPT_S6_S6_PKS5_S8_S8_S8_S8_ffiiiiiiiiiiiii
	.globl	_ZN5aiter35fused_qk_rmsnorm_group_quant_kernelIDF16_DB8_Li512ELi16ELi8ELb0ELb1ELb0ELb1ELb0ELb0EEEvPT0_PvPT_S6_S6_PKS5_S8_S8_S8_S8_ffiiiiiiiiiiiii
	.p2align	8
	.type	_ZN5aiter35fused_qk_rmsnorm_group_quant_kernelIDF16_DB8_Li512ELi16ELi8ELb0ELb1ELb0ELb1ELb0ELb0EEEvPT0_PvPT_S6_S6_PKS5_S8_S8_S8_S8_ffiiiiiiiiiiiii,@function
_ZN5aiter35fused_qk_rmsnorm_group_quant_kernelIDF16_DB8_Li512ELi16ELi8ELb0ELb1ELb0ELb1ELb0ELb0EEEvPT0_PvPT_S6_S6_PKS5_S8_S8_S8_S8_ffiiiiiiiiiiiii: ; @_ZN5aiter35fused_qk_rmsnorm_group_quant_kernelIDF16_DB8_Li512ELi16ELi8ELb0ELb1ELb0ELb1ELb0ELb0EEEvPT0_PvPT_S6_S6_PKS5_S8_S8_S8_S8_ffiiiiiiiiiiiii
; %bb.0:
	s_load_dwordx4 s[12:15], s[4:5], 0x50
	s_waitcnt lgkmcnt(0)
	s_cmp_ge_i32 s6, s14
	s_cbranch_scc1 .LBB901_12
; %bb.1:
	s_load_dwordx2 s[24:25], s[4:5], 0x30
	s_load_dwordx2 s[8:9], s[4:5], 0x48
	s_load_dwordx4 s[16:19], s[4:5], 0x60
	s_cmp_lg_u32 s7, 0
	s_cselect_b64 s[10:11], -1, 0
	s_cmp_eq_u32 s7, 0
	s_cselect_b64 vcc, -1, 0
	s_and_b64 s[0:1], vcc, exec
	s_waitcnt lgkmcnt(0)
	s_cselect_b32 s7, s15, s16
	s_add_i32 s0, s7, 1
	s_lshr_b32 s1, s0, 31
	s_add_i32 s0, s0, s1
	s_lshl_b32 s0, s0, 1
	v_lshlrev_b32_e32 v1, 4, v0
	s_and_b32 s22, s0, -4
	v_cmp_gt_i32_e64 s[2:3], s7, v1
	v_mov_b32_e32 v18, 0
	v_mov_b32_e32 v6, 0
	;; [unrolled: 1-line block ×17, first 2 shown]
	s_and_saveexec_b64 s[0:1], s[2:3]
	s_cbranch_execz .LBB901_3
; %bb.2:
	s_load_dwordx2 s[14:15], s[4:5], 0x28
	s_load_dwordx2 s[20:21], s[4:5], 0x40
	s_and_b64 s[26:27], vcc, exec
	s_cselect_b32 s17, s17, s18
	s_mov_b32 s30, s22
	s_waitcnt lgkmcnt(0)
	s_cselect_b32 s19, s15, s25
	s_cselect_b32 s23, s14, s24
	s_mul_hi_i32 s15, s17, s6
	s_mul_i32 s14, s17, s6
	s_lshl_b64 s[14:15], s[14:15], 1
	s_add_u32 s28, s23, s14
	s_addc_u32 s17, s19, s15
	s_and_b64 s[14:15], vcc, exec
	s_mov_b32 s23, 0x20000
	s_cselect_b32 s20, s20, s8
	s_cselect_b32 s14, s21, s9
	s_and_b32 s29, s17, 0xffff
	s_mov_b32 s31, s23
	v_lshlrev_b32_e32 v19, 5, v0
	s_and_b32 s21, s14, 0xffff
	buffer_load_dwordx4 v[14:17], v19, s[28:31], 0 offen
	buffer_load_dwordx4 v[10:13], v19, s[28:31], 16 offen
	;; [unrolled: 1-line block ×4, first 2 shown]
.LBB901_3:
	s_or_b64 exec, exec, s[0:1]
	v_mov_b32_e32 v19, 0
	v_mov_b32_e32 v20, 0
	;; [unrolled: 1-line block ×15, first 2 shown]
	s_and_saveexec_b64 s[0:1], s[2:3]
	s_cbranch_execz .LBB901_5
; %bb.4:
	s_waitcnt vmcnt(3)
	v_cvt_f32_f16_sdwa v19, v14 dst_sel:DWORD dst_unused:UNUSED_PAD src0_sel:WORD_1
	v_cvt_f32_f16_e32 v18, v14
	v_cvt_f32_f16_sdwa v21, v15 dst_sel:DWORD dst_unused:UNUSED_PAD src0_sel:WORD_1
	v_cvt_f32_f16_e32 v20, v15
	;; [unrolled: 2-line block ×4, first 2 shown]
	s_waitcnt vmcnt(2)
	v_cvt_f32_f16_sdwa v25, v10 dst_sel:DWORD dst_unused:UNUSED_PAD src0_sel:WORD_1
	v_cvt_f32_f16_e32 v24, v10
	v_cvt_f32_f16_sdwa v29, v11 dst_sel:DWORD dst_unused:UNUSED_PAD src0_sel:WORD_1
	v_cvt_f32_f16_e32 v28, v11
	;; [unrolled: 2-line block ×4, first 2 shown]
.LBB901_5:
	s_or_b64 exec, exec, s[0:1]
	s_waitcnt vmcnt(2)
	v_mul_f32_e32 v10, v19, v19
	v_fmac_f32_e32 v10, v18, v18
	v_fmac_f32_e32 v10, v20, v20
	;; [unrolled: 1-line block ×15, first 2 shown]
	v_and_b32_e32 v12, 63, v0
	v_cmp_eq_u32_e64 s[0:1], 63, v12
	v_mov_b32_dpp v11, v10 quad_perm:[1,0,3,2] row_mask:0xf bank_mask:0xf
	v_add_f32_e32 v10, v10, v11
	s_nop 1
	v_mov_b32_dpp v11, v10 quad_perm:[2,3,0,1] row_mask:0xf bank_mask:0xf
	v_add_f32_e32 v10, v10, v11
	s_nop 1
	v_mov_b32_dpp v11, v10 row_half_mirror row_mask:0xf bank_mask:0xf
	v_add_f32_e32 v10, v10, v11
	s_nop 1
	v_mov_b32_dpp v11, v10 row_mirror row_mask:0xf bank_mask:0xf
	v_add_f32_e32 v10, v10, v11
	s_nop 1
	v_mov_b32_dpp v11, v10 row_bcast:15 row_mask:0xf bank_mask:0xf
	v_add_f32_e32 v10, v10, v11
	s_nop 1
	v_mov_b32_dpp v11, v10 row_bcast:31 row_mask:0xf bank_mask:0xf
	s_and_saveexec_b64 s[14:15], s[0:1]
	s_cbranch_execz .LBB901_7
; %bb.6:
	v_add_f32_e32 v10, v10, v11
	v_lshrrev_b32_e32 v11, 4, v0
	v_and_b32_e32 v11, 60, v11
	ds_write_b32 v11, v10 offset:32
.LBB901_7:
	s_or_b64 exec, exec, s[14:15]
	v_and_b32_e32 v10, 7, v0
	v_lshlrev_b32_e32 v34, 2, v10
	s_waitcnt lgkmcnt(0)
	s_barrier
	ds_read_b32 v10, v34 offset:32
	s_load_dwordx2 s[14:15], s[4:5], 0x18
	s_waitcnt lgkmcnt(0)
	v_mov_b32_dpp v11, v10 quad_perm:[1,0,3,2] row_mask:0xf bank_mask:0xf
	v_add_f32_e32 v10, v10, v11
	s_nop 1
	v_mov_b32_dpp v11, v10 quad_perm:[2,3,0,1] row_mask:0xf bank_mask:0xf
	v_add_f32_e32 v10, v10, v11
	s_nop 1
	v_mov_b32_dpp v11, v10 row_half_mirror row_mask:0xf bank_mask:0xf
	s_and_saveexec_b64 s[20:21], s[2:3]
	s_cbranch_execz .LBB901_9
; %bb.8:
	v_cvt_f32_u32_e32 v12, s7
	v_add_f32_e32 v10, v10, v11
	v_mov_b32_e32 v14, s13
	v_mov_b32_e32 v15, s12
	v_div_scale_f32 v11, s[26:27], v12, v12, v10
	v_rcp_f32_e32 v13, v11
	v_cndmask_b32_e32 v14, v14, v15, vcc
	s_mov_b32 s7, 0x800000
	v_fma_f32 v15, -v11, v13, 1.0
	v_fmac_f32_e32 v13, v15, v13
	v_div_scale_f32 v15, vcc, v10, v12, v10
	v_mul_f32_e32 v16, v15, v13
	v_fma_f32 v17, -v11, v16, v15
	v_fmac_f32_e32 v16, v17, v13
	v_fma_f32 v11, -v11, v16, v15
	v_div_fmas_f32 v11, v11, v13, v16
	v_div_fixup_f32 v10, v11, v12, v10
	v_add_f32_e32 v10, v14, v10
	v_mul_f32_e32 v11, 0x4b800000, v10
	v_cmp_gt_f32_e32 vcc, s7, v10
	v_cndmask_b32_e32 v10, v10, v11, vcc
	v_rsq_f32_e32 v10, v10
	v_mul_f32_e32 v11, 0x45800000, v10
	v_cndmask_b32_e32 v10, v10, v11, vcc
	v_mov_b32_e32 v11, v10
	;;#ASMSTART
	v_pk_mul_f32 v[12:13], v[18:19], v[10:11]
	;;#ASMEND
	;;#ASMSTART
	v_pk_mul_f32 v[14:15], v[20:21], v[10:11]
	;;#ASMEND
	;; [unrolled: 3-line block ×8, first 2 shown]
	s_waitcnt vmcnt(1)
	v_cvt_f32_f16_sdwa v19, v6 dst_sel:DWORD dst_unused:UNUSED_PAD src0_sel:WORD_1
	v_cvt_f32_f16_e32 v18, v6
	v_cvt_f32_f16_sdwa v21, v7 dst_sel:DWORD dst_unused:UNUSED_PAD src0_sel:WORD_1
	v_cvt_f32_f16_e32 v20, v7
	;; [unrolled: 2-line block ×4, first 2 shown]
	;;#ASMSTART
	v_pk_mul_f32 v[18:19], v[12:13], v[18:19]
	;;#ASMEND
	;;#ASMSTART
	v_pk_mul_f32 v[20:21], v[14:15], v[20:21]
	;;#ASMEND
	;;#ASMSTART
	v_pk_mul_f32 v[22:23], v[16:17], v[6:7]
	;;#ASMEND
	;;#ASMSTART
	v_pk_mul_f32 v[26:27], v[26:27], v[32:33]
	;;#ASMEND
	s_waitcnt vmcnt(0)
	v_cvt_f32_f16_sdwa v7, v2 dst_sel:DWORD dst_unused:UNUSED_PAD src0_sel:WORD_1
	v_cvt_f32_f16_e32 v6, v2
	v_cvt_f32_f16_sdwa v9, v3 dst_sel:DWORD dst_unused:UNUSED_PAD src0_sel:WORD_1
	v_cvt_f32_f16_e32 v8, v3
	;; [unrolled: 2-line block ×4, first 2 shown]
	;;#ASMSTART
	v_pk_mul_f32 v[24:25], v[24:25], v[6:7]
	;;#ASMEND
	;;#ASMSTART
	v_pk_mul_f32 v[28:29], v[28:29], v[8:9]
	;;#ASMEND
	;; [unrolled: 3-line block ×4, first 2 shown]
.LBB901_9:
	s_or_b64 exec, exec, s[20:21]
	s_load_dwordx2 s[26:27], s[4:5], 0x7c
	s_mov_b64 s[20:21], -1
	s_and_b64 vcc, exec, s[10:11]
	s_cbranch_vccnz .LBB901_13
; %bb.10:
	s_andn2_b64 vcc, exec, s[20:21]
	s_cbranch_vccz .LBB901_16
.LBB901_11:
	s_cmp_lt_i32 s16, 1
	s_cbranch_scc0 .LBB901_19
.LBB901_12:
	s_endpgm
.LBB901_13:
	s_and_saveexec_b64 s[10:11], s[2:3]
	s_cbranch_execz .LBB901_15
; %bb.14:
	s_waitcnt lgkmcnt(0)
	s_mul_hi_i32 s21, s27, s6
	s_mul_i32 s20, s27, s6
	s_waitcnt vmcnt(0)
	v_cvt_f16_f32_e32 v2, v18
	v_cvt_f16_f32_e32 v3, v20
	;; [unrolled: 1-line block ×8, first 2 shown]
	s_lshl_b64 s[20:21], s[20:21], 1
	s_add_u32 s20, s14, s20
	s_addc_u32 s7, s15, s21
	s_and_b32 s21, s7, 0xffff
	s_mov_b32 s23, 0x20000
	v_pack_b32_f16 v5, v5, v6
	v_pack_b32_f16 v4, v4, v7
	;; [unrolled: 1-line block ×4, first 2 shown]
	v_lshlrev_b32_e32 v6, 5, v0
	buffer_store_dwordx4 v[2:5], v6, s[20:23], 0 offen
	v_cvt_f16_f32_e32 v7, v33
	v_cvt_f16_f32_e32 v2, v24
	;; [unrolled: 1-line block ×8, first 2 shown]
	v_pack_b32_f16 v5, v5, v7
	v_pack_b32_f16 v4, v4, v8
	;; [unrolled: 1-line block ×4, first 2 shown]
	;;#ASMSTART
	s_nop 0
	;;#ASMEND
	buffer_store_dwordx4 v[2:5], v6, s[20:23], 16 offen
	;;#ASMSTART
	s_nop 0
	;;#ASMEND
.LBB901_15:
	s_or_b64 exec, exec, s[10:11]
	s_cbranch_execnz .LBB901_11
.LBB901_16:
	s_and_saveexec_b64 s[10:11], s[2:3]
	s_cbranch_execz .LBB901_18
; %bb.17:
	s_load_dwordx2 s[2:3], s[4:5], 0x10
	s_waitcnt lgkmcnt(0)
	s_mul_hi_i32 s21, s26, s6
	s_mul_i32 s20, s26, s6
	s_waitcnt vmcnt(0)
	v_cvt_f16_f32_e32 v2, v18
	v_cvt_f16_f32_e32 v3, v20
	;; [unrolled: 1-line block ×8, first 2 shown]
	s_lshl_b64 s[20:21], s[20:21], 1
	s_add_u32 s20, s2, s20
	s_addc_u32 s2, s3, s21
	s_mov_b32 s23, 0x20000
	s_and_b32 s21, s2, 0xffff
	v_pack_b32_f16 v5, v5, v6
	v_pack_b32_f16 v4, v4, v7
	;; [unrolled: 1-line block ×4, first 2 shown]
	v_lshlrev_b32_e32 v6, 5, v0
	buffer_store_dwordx4 v[2:5], v6, s[20:23], 0 offen
	v_cvt_f16_f32_e32 v7, v33
	v_cvt_f16_f32_e32 v2, v24
	;; [unrolled: 1-line block ×8, first 2 shown]
	v_pack_b32_f16 v5, v5, v7
	v_pack_b32_f16 v4, v4, v8
	;; [unrolled: 1-line block ×4, first 2 shown]
	;;#ASMSTART
	s_nop 0
	;;#ASMEND
	buffer_store_dwordx4 v[2:5], v6, s[20:23], 16 offen
	;;#ASMSTART
	s_nop 0
	;;#ASMEND
.LBB901_18:
	s_or_b64 exec, exec, s[10:11]
	s_cmp_lt_i32 s16, 1
	s_cbranch_scc1 .LBB901_12
.LBB901_19:
	s_load_dword s2, s[4:5], 0x94
	s_waitcnt lgkmcnt(0)
	s_cmp_lg_u32 s2, 1
	s_cbranch_scc1 .LBB901_12
; %bb.20:
	s_lshl_b32 s2, s16, 1
	s_add_i32 s2, s2, 2
	v_cmp_gt_u32_e32 vcc, s16, v1
	s_and_b32 s10, s2, -4
	v_mov_b32_e32 v18, 0
	v_lshlrev_b32_e32 v1, 5, v0
	v_mov_b32_e32 v14, 0
	v_mov_b32_e32 v15, 0
	;; [unrolled: 1-line block ×8, first 2 shown]
	s_waitcnt vmcnt(1)
	v_mov_b32_e32 v6, 0
	v_mov_b32_e32 v7, 0
	;; [unrolled: 1-line block ×4, first 2 shown]
	s_waitcnt vmcnt(0)
	v_mov_b32_e32 v2, 0
	v_mov_b32_e32 v3, 0
	;; [unrolled: 1-line block ×4, first 2 shown]
	s_barrier
	s_and_saveexec_b64 s[2:3], vcc
	s_cbranch_execz .LBB901_22
; %bb.21:
	s_mul_hi_i32 s5, s18, s6
	s_mul_i32 s4, s18, s6
	s_and_b32 s9, s9, 0xffff
	s_lshl_b64 s[4:5], s[4:5], 1
	s_add_u32 s20, s24, s4
	s_mov_b32 s11, 0x20000
	s_addc_u32 s4, s25, s5
	s_and_b32 s21, s4, 0xffff
	s_mov_b32 s22, s10
	s_mov_b32 s23, s11
	buffer_load_dwordx4 v[14:17], v1, s[20:23], 0 offen
	buffer_load_dwordx4 v[10:13], v1, s[20:23], 16 offen
	;; [unrolled: 1-line block ×4, first 2 shown]
.LBB901_22:
	s_or_b64 exec, exec, s[2:3]
	v_mov_b32_e32 v19, 0
	v_mov_b32_e32 v32, 0
	;; [unrolled: 1-line block ×15, first 2 shown]
	s_and_saveexec_b64 s[2:3], vcc
	s_cbranch_execz .LBB901_24
; %bb.23:
	s_waitcnt vmcnt(3)
	v_cvt_f32_f16_sdwa v19, v14 dst_sel:DWORD dst_unused:UNUSED_PAD src0_sel:WORD_1
	v_cvt_f32_f16_e32 v18, v14
	v_cvt_f32_f16_sdwa v33, v15 dst_sel:DWORD dst_unused:UNUSED_PAD src0_sel:WORD_1
	v_cvt_f32_f16_e32 v32, v15
	;; [unrolled: 2-line block ×4, first 2 shown]
	s_waitcnt vmcnt(2)
	v_cvt_f32_f16_sdwa v27, v10 dst_sel:DWORD dst_unused:UNUSED_PAD src0_sel:WORD_1
	v_cvt_f32_f16_e32 v26, v10
	v_cvt_f32_f16_sdwa v25, v11 dst_sel:DWORD dst_unused:UNUSED_PAD src0_sel:WORD_1
	v_cvt_f32_f16_e32 v24, v11
	;; [unrolled: 2-line block ×4, first 2 shown]
.LBB901_24:
	s_or_b64 exec, exec, s[2:3]
	s_waitcnt vmcnt(2)
	v_mul_f32_e32 v10, v19, v19
	v_fmac_f32_e32 v10, v18, v18
	v_fmac_f32_e32 v10, v32, v32
	;; [unrolled: 1-line block ×15, first 2 shown]
	s_nop 1
	v_mov_b32_dpp v11, v10 quad_perm:[1,0,3,2] row_mask:0xf bank_mask:0xf
	v_add_f32_e32 v10, v10, v11
	s_nop 1
	v_mov_b32_dpp v11, v10 quad_perm:[2,3,0,1] row_mask:0xf bank_mask:0xf
	v_add_f32_e32 v10, v10, v11
	s_nop 1
	v_mov_b32_dpp v11, v10 row_half_mirror row_mask:0xf bank_mask:0xf
	v_add_f32_e32 v10, v10, v11
	s_nop 1
	v_mov_b32_dpp v11, v10 row_mirror row_mask:0xf bank_mask:0xf
	v_add_f32_e32 v10, v10, v11
	s_nop 1
	v_mov_b32_dpp v11, v10 row_bcast:15 row_mask:0xf bank_mask:0xf
	v_add_f32_e32 v10, v10, v11
	s_nop 1
	v_mov_b32_dpp v11, v10 row_bcast:31 row_mask:0xf bank_mask:0xf
	s_and_saveexec_b64 s[2:3], s[0:1]
	s_cbranch_execz .LBB901_26
; %bb.25:
	v_lshrrev_b32_e32 v0, 4, v0
	v_add_f32_e32 v10, v10, v11
	v_and_b32_e32 v0, 60, v0
	ds_write_b32 v0, v10
.LBB901_26:
	s_or_b64 exec, exec, s[2:3]
	s_waitcnt lgkmcnt(0)
	s_barrier
	ds_read_b32 v0, v34
	s_waitcnt lgkmcnt(0)
	s_nop 0
	v_mov_b32_dpp v10, v0 quad_perm:[1,0,3,2] row_mask:0xf bank_mask:0xf
	v_add_f32_e32 v0, v0, v10
	s_nop 1
	v_mov_b32_dpp v10, v0 quad_perm:[2,3,0,1] row_mask:0xf bank_mask:0xf
	v_add_f32_e32 v0, v0, v10
	s_nop 1
	v_mov_b32_dpp v10, v0 row_half_mirror row_mask:0xf bank_mask:0xf
	s_and_saveexec_b64 s[0:1], vcc
	s_cbranch_execz .LBB901_12
; %bb.27:
	v_cvt_f32_u32_e32 v11, s16
	v_add_f32_e32 v0, v0, v10
	s_mov_b32 s11, 0x20000
	v_div_scale_f32 v10, s[0:1], v11, v11, v0
	v_rcp_f32_e32 v12, v10
	v_div_scale_f32 v13, vcc, v0, v11, v0
	s_mov_b32 s0, 0x800000
	v_fma_f32 v14, -v10, v12, 1.0
	v_fmac_f32_e32 v12, v14, v12
	v_mul_f32_e32 v14, v13, v12
	v_fma_f32 v15, -v10, v14, v13
	v_fmac_f32_e32 v14, v15, v12
	v_fma_f32 v10, -v10, v14, v13
	v_div_fmas_f32 v10, v10, v12, v14
	v_div_fixup_f32 v0, v10, v11, v0
	v_add_f32_e32 v0, s13, v0
	v_mul_f32_e32 v10, 0x4b800000, v0
	v_cmp_gt_f32_e32 vcc, s0, v0
	v_cndmask_b32_e32 v0, v0, v10, vcc
	v_rsq_f32_e32 v0, v0
	s_mul_hi_i32 s1, s27, s6
	s_mul_i32 s0, s27, s6
	s_lshl_b64 s[0:1], s[0:1], 1
	v_mul_f32_e32 v10, 0x45800000, v0
	v_cndmask_b32_e32 v10, v0, v10, vcc
	v_mov_b32_e32 v11, v10
	;;#ASMSTART
	v_pk_mul_f32 v[12:13], v[18:19], v[10:11]
	;;#ASMEND
	;;#ASMSTART
	v_pk_mul_f32 v[14:15], v[32:33], v[10:11]
	;;#ASMEND
	;; [unrolled: 3-line block ×8, first 2 shown]
	s_waitcnt vmcnt(1)
	v_cvt_f32_f16_sdwa v21, v6 dst_sel:DWORD dst_unused:UNUSED_PAD src0_sel:WORD_1
	v_cvt_f32_f16_e32 v20, v6
	v_cvt_f32_f16_sdwa v29, v7 dst_sel:DWORD dst_unused:UNUSED_PAD src0_sel:WORD_1
	v_cvt_f32_f16_e32 v28, v7
	;; [unrolled: 2-line block ×4, first 2 shown]
	;;#ASMSTART
	v_pk_mul_f32 v[8:9], v[12:13], v[20:21]
	;;#ASMEND
	;;#ASMSTART
	v_pk_mul_f32 v[12:13], v[14:15], v[28:29]
	;;#ASMEND
	;; [unrolled: 3-line block ×4, first 2 shown]
	s_waitcnt vmcnt(0)
	v_cvt_f32_f16_sdwa v17, v2 dst_sel:DWORD dst_unused:UNUSED_PAD src0_sel:WORD_1
	v_cvt_f32_f16_e32 v16, v2
	v_cvt_f32_f16_sdwa v19, v3 dst_sel:DWORD dst_unused:UNUSED_PAD src0_sel:WORD_1
	v_cvt_f32_f16_e32 v18, v3
	;; [unrolled: 2-line block ×4, first 2 shown]
	;;#ASMSTART
	v_pk_mul_f32 v[16:17], v[26:27], v[16:17]
	;;#ASMEND
	;;#ASMSTART
	v_pk_mul_f32 v[18:19], v[24:25], v[18:19]
	;;#ASMEND
	;; [unrolled: 3-line block ×3, first 2 shown]
	v_cvt_f16_f32_e32 v0, v8
	v_cvt_f16_f32_e32 v2, v9
	;; [unrolled: 1-line block ×8, first 2 shown]
	s_add_u32 s8, s14, s0
	s_addc_u32 s0, s15, s1
	s_and_b32 s9, s0, 0xffff
	v_pack_b32_f16 v2, v0, v2
	v_pack_b32_f16 v3, v3, v4
	;; [unrolled: 1-line block ×4, first 2 shown]
	;;#ASMSTART
	v_pk_mul_f32 v[10:11], v[10:11], v[20:21]
	;;#ASMEND
	buffer_store_dwordx4 v[2:5], v1, s[8:11], 0 offen
	v_cvt_f16_f32_e32 v0, v16
	v_cvt_f16_f32_e32 v2, v17
	;; [unrolled: 1-line block ×8, first 2 shown]
	v_pack_b32_f16 v2, v0, v2
	v_pack_b32_f16 v3, v3, v4
	;; [unrolled: 1-line block ×4, first 2 shown]
	;;#ASMSTART
	s_nop 0
	;;#ASMEND
	buffer_store_dwordx4 v[2:5], v1, s[8:11], 16 offen
	;;#ASMSTART
	s_nop 0
	;;#ASMEND
	s_endpgm
	.section	.rodata,"a",@progbits
	.p2align	6, 0x0
	.amdhsa_kernel _ZN5aiter35fused_qk_rmsnorm_group_quant_kernelIDF16_DB8_Li512ELi16ELi8ELb0ELb1ELb0ELb1ELb0ELb0EEEvPT0_PvPT_S6_S6_PKS5_S8_S8_S8_S8_ffiiiiiiiiiiiii
		.amdhsa_group_segment_fixed_size 64
		.amdhsa_private_segment_fixed_size 0
		.amdhsa_kernarg_size 400
		.amdhsa_user_sgpr_count 6
		.amdhsa_user_sgpr_private_segment_buffer 1
		.amdhsa_user_sgpr_dispatch_ptr 0
		.amdhsa_user_sgpr_queue_ptr 0
		.amdhsa_user_sgpr_kernarg_segment_ptr 1
		.amdhsa_user_sgpr_dispatch_id 0
		.amdhsa_user_sgpr_flat_scratch_init 0
		.amdhsa_user_sgpr_kernarg_preload_length 0
		.amdhsa_user_sgpr_kernarg_preload_offset 0
		.amdhsa_user_sgpr_private_segment_size 0
		.amdhsa_uses_dynamic_stack 0
		.amdhsa_system_sgpr_private_segment_wavefront_offset 0
		.amdhsa_system_sgpr_workgroup_id_x 1
		.amdhsa_system_sgpr_workgroup_id_y 1
		.amdhsa_system_sgpr_workgroup_id_z 0
		.amdhsa_system_sgpr_workgroup_info 0
		.amdhsa_system_vgpr_workitem_id 0
		.amdhsa_next_free_vgpr 35
		.amdhsa_next_free_sgpr 32
		.amdhsa_accum_offset 36
		.amdhsa_reserve_vcc 1
		.amdhsa_reserve_flat_scratch 0
		.amdhsa_float_round_mode_32 0
		.amdhsa_float_round_mode_16_64 0
		.amdhsa_float_denorm_mode_32 3
		.amdhsa_float_denorm_mode_16_64 3
		.amdhsa_dx10_clamp 1
		.amdhsa_ieee_mode 1
		.amdhsa_fp16_overflow 0
		.amdhsa_tg_split 0
		.amdhsa_exception_fp_ieee_invalid_op 0
		.amdhsa_exception_fp_denorm_src 0
		.amdhsa_exception_fp_ieee_div_zero 0
		.amdhsa_exception_fp_ieee_overflow 0
		.amdhsa_exception_fp_ieee_underflow 0
		.amdhsa_exception_fp_ieee_inexact 0
		.amdhsa_exception_int_div_zero 0
	.end_amdhsa_kernel
	.section	.text._ZN5aiter35fused_qk_rmsnorm_group_quant_kernelIDF16_DB8_Li512ELi16ELi8ELb0ELb1ELb0ELb1ELb0ELb0EEEvPT0_PvPT_S6_S6_PKS5_S8_S8_S8_S8_ffiiiiiiiiiiiii,"axG",@progbits,_ZN5aiter35fused_qk_rmsnorm_group_quant_kernelIDF16_DB8_Li512ELi16ELi8ELb0ELb1ELb0ELb1ELb0ELb0EEEvPT0_PvPT_S6_S6_PKS5_S8_S8_S8_S8_ffiiiiiiiiiiiii,comdat
.Lfunc_end901:
	.size	_ZN5aiter35fused_qk_rmsnorm_group_quant_kernelIDF16_DB8_Li512ELi16ELi8ELb0ELb1ELb0ELb1ELb0ELb0EEEvPT0_PvPT_S6_S6_PKS5_S8_S8_S8_S8_ffiiiiiiiiiiiii, .Lfunc_end901-_ZN5aiter35fused_qk_rmsnorm_group_quant_kernelIDF16_DB8_Li512ELi16ELi8ELb0ELb1ELb0ELb1ELb0ELb0EEEvPT0_PvPT_S6_S6_PKS5_S8_S8_S8_S8_ffiiiiiiiiiiiii
                                        ; -- End function
	.section	.AMDGPU.csdata,"",@progbits
; Kernel info:
; codeLenInByte = 2872
; NumSgprs: 36
; NumVgprs: 35
; NumAgprs: 0
; TotalNumVgprs: 35
; ScratchSize: 0
; MemoryBound: 0
; FloatMode: 240
; IeeeMode: 1
; LDSByteSize: 64 bytes/workgroup (compile time only)
; SGPRBlocks: 4
; VGPRBlocks: 4
; NumSGPRsForWavesPerEU: 36
; NumVGPRsForWavesPerEU: 35
; AccumOffset: 36
; Occupancy: 8
; WaveLimiterHint : 0
; COMPUTE_PGM_RSRC2:SCRATCH_EN: 0
; COMPUTE_PGM_RSRC2:USER_SGPR: 6
; COMPUTE_PGM_RSRC2:TRAP_HANDLER: 0
; COMPUTE_PGM_RSRC2:TGID_X_EN: 1
; COMPUTE_PGM_RSRC2:TGID_Y_EN: 1
; COMPUTE_PGM_RSRC2:TGID_Z_EN: 0
; COMPUTE_PGM_RSRC2:TIDIG_COMP_CNT: 0
; COMPUTE_PGM_RSRC3_GFX90A:ACCUM_OFFSET: 8
; COMPUTE_PGM_RSRC3_GFX90A:TG_SPLIT: 0
	.section	.text._ZN5aiter35fused_qk_rmsnorm_group_quant_kernelItDB8_Li512ELi16ELi8ELb0ELb1ELb0ELb1ELb0ELb0EEEvPT0_PvPT_S6_S6_PKS5_S8_S8_S8_S8_ffiiiiiiiiiiiii,"axG",@progbits,_ZN5aiter35fused_qk_rmsnorm_group_quant_kernelItDB8_Li512ELi16ELi8ELb0ELb1ELb0ELb1ELb0ELb0EEEvPT0_PvPT_S6_S6_PKS5_S8_S8_S8_S8_ffiiiiiiiiiiiii,comdat
	.protected	_ZN5aiter35fused_qk_rmsnorm_group_quant_kernelItDB8_Li512ELi16ELi8ELb0ELb1ELb0ELb1ELb0ELb0EEEvPT0_PvPT_S6_S6_PKS5_S8_S8_S8_S8_ffiiiiiiiiiiiii ; -- Begin function _ZN5aiter35fused_qk_rmsnorm_group_quant_kernelItDB8_Li512ELi16ELi8ELb0ELb1ELb0ELb1ELb0ELb0EEEvPT0_PvPT_S6_S6_PKS5_S8_S8_S8_S8_ffiiiiiiiiiiiii
	.globl	_ZN5aiter35fused_qk_rmsnorm_group_quant_kernelItDB8_Li512ELi16ELi8ELb0ELb1ELb0ELb1ELb0ELb0EEEvPT0_PvPT_S6_S6_PKS5_S8_S8_S8_S8_ffiiiiiiiiiiiii
	.p2align	8
	.type	_ZN5aiter35fused_qk_rmsnorm_group_quant_kernelItDB8_Li512ELi16ELi8ELb0ELb1ELb0ELb1ELb0ELb0EEEvPT0_PvPT_S6_S6_PKS5_S8_S8_S8_S8_ffiiiiiiiiiiiii,@function
_ZN5aiter35fused_qk_rmsnorm_group_quant_kernelItDB8_Li512ELi16ELi8ELb0ELb1ELb0ELb1ELb0ELb0EEEvPT0_PvPT_S6_S6_PKS5_S8_S8_S8_S8_ffiiiiiiiiiiiii: ; @_ZN5aiter35fused_qk_rmsnorm_group_quant_kernelItDB8_Li512ELi16ELi8ELb0ELb1ELb0ELb1ELb0ELb0EEEvPT0_PvPT_S6_S6_PKS5_S8_S8_S8_S8_ffiiiiiiiiiiiii
; %bb.0:
	s_load_dwordx4 s[12:15], s[4:5], 0x50
	s_waitcnt lgkmcnt(0)
	s_cmp_ge_i32 s6, s14
	s_cbranch_scc1 .LBB902_12
; %bb.1:
	s_load_dwordx2 s[24:25], s[4:5], 0x30
	s_load_dwordx2 s[8:9], s[4:5], 0x48
	s_load_dwordx4 s[16:19], s[4:5], 0x60
	s_cmp_lg_u32 s7, 0
	s_cselect_b64 s[10:11], -1, 0
	s_cmp_eq_u32 s7, 0
	s_cselect_b64 vcc, -1, 0
	s_and_b64 s[0:1], vcc, exec
	s_waitcnt lgkmcnt(0)
	s_cselect_b32 s7, s15, s16
	s_add_i32 s0, s7, 1
	s_lshr_b32 s1, s0, 31
	s_add_i32 s0, s0, s1
	s_lshl_b32 s0, s0, 1
	v_lshlrev_b32_e32 v1, 4, v0
	s_and_b32 s22, s0, -4
	v_cmp_gt_i32_e64 s[2:3], s7, v1
	v_mov_b32_e32 v18, 0
	v_mov_b32_e32 v6, 0
	;; [unrolled: 1-line block ×17, first 2 shown]
	s_and_saveexec_b64 s[0:1], s[2:3]
	s_cbranch_execz .LBB902_3
; %bb.2:
	s_load_dwordx2 s[14:15], s[4:5], 0x28
	s_load_dwordx2 s[20:21], s[4:5], 0x40
	s_and_b64 s[26:27], vcc, exec
	s_cselect_b32 s17, s17, s18
	s_mov_b32 s30, s22
	s_waitcnt lgkmcnt(0)
	s_cselect_b32 s19, s15, s25
	s_cselect_b32 s23, s14, s24
	s_mul_hi_i32 s15, s17, s6
	s_mul_i32 s14, s17, s6
	s_lshl_b64 s[14:15], s[14:15], 1
	s_add_u32 s28, s23, s14
	s_addc_u32 s17, s19, s15
	s_and_b64 s[14:15], vcc, exec
	s_mov_b32 s23, 0x20000
	s_cselect_b32 s20, s20, s8
	s_cselect_b32 s14, s21, s9
	s_and_b32 s29, s17, 0xffff
	s_mov_b32 s31, s23
	v_lshlrev_b32_e32 v19, 5, v0
	s_and_b32 s21, s14, 0xffff
	buffer_load_dwordx4 v[14:17], v19, s[28:31], 0 offen
	buffer_load_dwordx4 v[10:13], v19, s[28:31], 16 offen
	buffer_load_dwordx4 v[6:9], v19, s[20:23], 0 offen
	buffer_load_dwordx4 v[2:5], v19, s[20:23], 16 offen
.LBB902_3:
	s_or_b64 exec, exec, s[0:1]
	v_mov_b32_e32 v19, 0
	v_mov_b32_e32 v20, 0
	;; [unrolled: 1-line block ×15, first 2 shown]
	s_and_saveexec_b64 s[0:1], s[2:3]
	s_cbranch_execz .LBB902_5
; %bb.4:
	s_waitcnt vmcnt(3)
	v_cvt_f32_u32_sdwa v18, v14 dst_sel:DWORD dst_unused:UNUSED_PAD src0_sel:WORD_0
	v_cvt_f32_u32_sdwa v19, v14 dst_sel:DWORD dst_unused:UNUSED_PAD src0_sel:WORD_1
	v_cvt_f32_u32_sdwa v20, v15 dst_sel:DWORD dst_unused:UNUSED_PAD src0_sel:WORD_0
	v_cvt_f32_u32_sdwa v21, v15 dst_sel:DWORD dst_unused:UNUSED_PAD src0_sel:WORD_1
	;; [unrolled: 2-line block ×4, first 2 shown]
	s_waitcnt vmcnt(2)
	v_cvt_f32_u32_sdwa v26, v10 dst_sel:DWORD dst_unused:UNUSED_PAD src0_sel:WORD_0
	v_cvt_f32_u32_sdwa v27, v10 dst_sel:DWORD dst_unused:UNUSED_PAD src0_sel:WORD_1
	v_cvt_f32_u32_sdwa v28, v11 dst_sel:DWORD dst_unused:UNUSED_PAD src0_sel:WORD_0
	v_cvt_f32_u32_sdwa v29, v11 dst_sel:DWORD dst_unused:UNUSED_PAD src0_sel:WORD_1
	;; [unrolled: 2-line block ×4, first 2 shown]
.LBB902_5:
	s_or_b64 exec, exec, s[0:1]
	s_waitcnt vmcnt(2)
	v_mul_f32_e32 v10, v19, v19
	v_fmac_f32_e32 v10, v18, v18
	v_fmac_f32_e32 v10, v20, v20
	v_fmac_f32_e32 v10, v21, v21
	v_fmac_f32_e32 v10, v22, v22
	v_fmac_f32_e32 v10, v23, v23
	v_fmac_f32_e32 v10, v24, v24
	v_fmac_f32_e32 v10, v25, v25
	v_fmac_f32_e32 v10, v26, v26
	v_fmac_f32_e32 v10, v27, v27
	v_fmac_f32_e32 v10, v28, v28
	v_fmac_f32_e32 v10, v29, v29
	v_fmac_f32_e32 v10, v30, v30
	v_fmac_f32_e32 v10, v31, v31
	v_fmac_f32_e32 v10, v32, v32
	v_fmac_f32_e32 v10, v33, v33
	v_and_b32_e32 v12, 63, v0
	v_cmp_eq_u32_e64 s[0:1], 63, v12
	v_mov_b32_dpp v11, v10 quad_perm:[1,0,3,2] row_mask:0xf bank_mask:0xf
	v_add_f32_e32 v10, v10, v11
	s_nop 1
	v_mov_b32_dpp v11, v10 quad_perm:[2,3,0,1] row_mask:0xf bank_mask:0xf
	v_add_f32_e32 v10, v10, v11
	s_nop 1
	v_mov_b32_dpp v11, v10 row_half_mirror row_mask:0xf bank_mask:0xf
	v_add_f32_e32 v10, v10, v11
	s_nop 1
	v_mov_b32_dpp v11, v10 row_mirror row_mask:0xf bank_mask:0xf
	v_add_f32_e32 v10, v10, v11
	s_nop 1
	v_mov_b32_dpp v11, v10 row_bcast:15 row_mask:0xf bank_mask:0xf
	v_add_f32_e32 v10, v10, v11
	s_nop 1
	v_mov_b32_dpp v11, v10 row_bcast:31 row_mask:0xf bank_mask:0xf
	s_and_saveexec_b64 s[14:15], s[0:1]
	s_cbranch_execz .LBB902_7
; %bb.6:
	v_add_f32_e32 v10, v10, v11
	v_lshrrev_b32_e32 v11, 4, v0
	v_and_b32_e32 v11, 60, v11
	ds_write_b32 v11, v10 offset:32
.LBB902_7:
	s_or_b64 exec, exec, s[14:15]
	v_and_b32_e32 v10, 7, v0
	v_lshlrev_b32_e32 v34, 2, v10
	s_waitcnt lgkmcnt(0)
	s_barrier
	ds_read_b32 v10, v34 offset:32
	s_load_dwordx2 s[14:15], s[4:5], 0x18
	s_waitcnt lgkmcnt(0)
	v_mov_b32_dpp v11, v10 quad_perm:[1,0,3,2] row_mask:0xf bank_mask:0xf
	v_add_f32_e32 v10, v10, v11
	s_nop 1
	v_mov_b32_dpp v11, v10 quad_perm:[2,3,0,1] row_mask:0xf bank_mask:0xf
	v_add_f32_e32 v10, v10, v11
	s_nop 1
	v_mov_b32_dpp v11, v10 row_half_mirror row_mask:0xf bank_mask:0xf
	s_and_saveexec_b64 s[20:21], s[2:3]
	s_cbranch_execz .LBB902_9
; %bb.8:
	v_cvt_f32_u32_e32 v12, s7
	v_add_f32_e32 v10, v10, v11
	v_mov_b32_e32 v14, s13
	v_mov_b32_e32 v15, s12
	v_div_scale_f32 v11, s[26:27], v12, v12, v10
	v_rcp_f32_e32 v13, v11
	v_cndmask_b32_e32 v14, v14, v15, vcc
	s_mov_b32 s7, 0x800000
	v_fma_f32 v15, -v11, v13, 1.0
	v_fmac_f32_e32 v13, v15, v13
	v_div_scale_f32 v15, vcc, v10, v12, v10
	v_mul_f32_e32 v16, v15, v13
	v_fma_f32 v17, -v11, v16, v15
	v_fmac_f32_e32 v16, v17, v13
	v_fma_f32 v11, -v11, v16, v15
	v_div_fmas_f32 v11, v11, v13, v16
	v_div_fixup_f32 v10, v11, v12, v10
	v_add_f32_e32 v10, v14, v10
	v_mul_f32_e32 v11, 0x4b800000, v10
	v_cmp_gt_f32_e32 vcc, s7, v10
	v_cndmask_b32_e32 v10, v10, v11, vcc
	v_rsq_f32_e32 v10, v10
	v_mul_f32_e32 v11, 0x45800000, v10
	v_cndmask_b32_e32 v10, v10, v11, vcc
	v_mov_b32_e32 v11, v10
	;;#ASMSTART
	v_pk_mul_f32 v[12:13], v[18:19], v[10:11]
	;;#ASMEND
	;;#ASMSTART
	v_pk_mul_f32 v[14:15], v[20:21], v[10:11]
	;;#ASMEND
	;; [unrolled: 3-line block ×8, first 2 shown]
	s_waitcnt vmcnt(1)
	v_cvt_f32_u32_sdwa v19, v6 dst_sel:DWORD dst_unused:UNUSED_PAD src0_sel:WORD_1
	v_cvt_f32_u32_sdwa v18, v6 dst_sel:DWORD dst_unused:UNUSED_PAD src0_sel:WORD_0
	v_cvt_f32_u32_sdwa v21, v7 dst_sel:DWORD dst_unused:UNUSED_PAD src0_sel:WORD_1
	v_cvt_f32_u32_sdwa v20, v7 dst_sel:DWORD dst_unused:UNUSED_PAD src0_sel:WORD_0
	v_cvt_f32_u32_sdwa v7, v8 dst_sel:DWORD dst_unused:UNUSED_PAD src0_sel:WORD_1
	v_cvt_f32_u32_sdwa v6, v8 dst_sel:DWORD dst_unused:UNUSED_PAD src0_sel:WORD_0
	v_cvt_f32_u32_sdwa v33, v9 dst_sel:DWORD dst_unused:UNUSED_PAD src0_sel:WORD_1
	v_cvt_f32_u32_sdwa v32, v9 dst_sel:DWORD dst_unused:UNUSED_PAD src0_sel:WORD_0
	;;#ASMSTART
	v_pk_mul_f32 v[18:19], v[12:13], v[18:19]
	;;#ASMEND
	;;#ASMSTART
	v_pk_mul_f32 v[20:21], v[14:15], v[20:21]
	;;#ASMEND
	;; [unrolled: 3-line block ×4, first 2 shown]
	s_waitcnt vmcnt(0)
	v_cvt_f32_u32_sdwa v7, v2 dst_sel:DWORD dst_unused:UNUSED_PAD src0_sel:WORD_1
	v_cvt_f32_u32_sdwa v6, v2 dst_sel:DWORD dst_unused:UNUSED_PAD src0_sel:WORD_0
	v_cvt_f32_u32_sdwa v9, v3 dst_sel:DWORD dst_unused:UNUSED_PAD src0_sel:WORD_1
	v_cvt_f32_u32_sdwa v8, v3 dst_sel:DWORD dst_unused:UNUSED_PAD src0_sel:WORD_0
	;; [unrolled: 2-line block ×4, first 2 shown]
	;;#ASMSTART
	v_pk_mul_f32 v[26:27], v[26:27], v[6:7]
	;;#ASMEND
	;;#ASMSTART
	v_pk_mul_f32 v[28:29], v[28:29], v[8:9]
	;;#ASMEND
	;; [unrolled: 3-line block ×4, first 2 shown]
.LBB902_9:
	s_or_b64 exec, exec, s[20:21]
	s_load_dwordx2 s[26:27], s[4:5], 0x7c
	s_mov_b64 s[20:21], -1
	s_and_b64 vcc, exec, s[10:11]
	s_cbranch_vccnz .LBB902_13
; %bb.10:
	s_andn2_b64 vcc, exec, s[20:21]
	s_cbranch_vccz .LBB902_16
.LBB902_11:
	s_cmp_lt_i32 s16, 1
	s_cbranch_scc0 .LBB902_19
.LBB902_12:
	s_endpgm
.LBB902_13:
	s_and_saveexec_b64 s[10:11], s[2:3]
	s_cbranch_execz .LBB902_15
; %bb.14:
	s_waitcnt lgkmcnt(0)
	s_mul_hi_i32 s21, s27, s6
	s_mul_i32 s20, s27, s6
	s_lshl_b64 s[20:21], s[20:21], 1
	s_add_u32 s20, s14, s20
	s_addc_u32 s7, s15, s21
	s_and_b32 s21, s7, 0xffff
	s_mov_b32 s7, 0x7060302
	s_mov_b32 s23, 0x20000
	s_waitcnt vmcnt(0)
	v_perm_b32 v5, v25, v24, s7
	v_perm_b32 v4, v23, v22, s7
	;; [unrolled: 1-line block ×4, first 2 shown]
	v_lshlrev_b32_e32 v6, 5, v0
	buffer_store_dwordx4 v[2:5], v6, s[20:23], 0 offen
	;;#ASMSTART
	s_nop 0
	;;#ASMEND
	s_nop 0
	v_perm_b32 v5, v33, v32, s7
	v_perm_b32 v4, v31, v30, s7
	;; [unrolled: 1-line block ×4, first 2 shown]
	buffer_store_dwordx4 v[2:5], v6, s[20:23], 16 offen
	;;#ASMSTART
	s_nop 0
	;;#ASMEND
.LBB902_15:
	s_or_b64 exec, exec, s[10:11]
	s_cbranch_execnz .LBB902_11
.LBB902_16:
	s_and_saveexec_b64 s[10:11], s[2:3]
	s_cbranch_execz .LBB902_18
; %bb.17:
	s_load_dwordx2 s[2:3], s[4:5], 0x10
	s_waitcnt lgkmcnt(0)
	s_mul_hi_i32 s21, s26, s6
	s_mul_i32 s20, s26, s6
	s_lshl_b64 s[20:21], s[20:21], 1
	s_mov_b32 s23, 0x20000
	s_add_u32 s20, s2, s20
	s_addc_u32 s2, s3, s21
	s_and_b32 s21, s2, 0xffff
	s_mov_b32 s2, 0x7060302
	s_waitcnt vmcnt(0)
	v_perm_b32 v5, v25, v24, s2
	v_perm_b32 v4, v23, v22, s2
	;; [unrolled: 1-line block ×4, first 2 shown]
	v_lshlrev_b32_e32 v6, 5, v0
	buffer_store_dwordx4 v[2:5], v6, s[20:23], 0 offen
	;;#ASMSTART
	s_nop 0
	;;#ASMEND
	s_nop 0
	v_perm_b32 v5, v33, v32, s2
	v_perm_b32 v4, v31, v30, s2
	v_perm_b32 v3, v29, v28, s2
	v_perm_b32 v2, v27, v26, s2
	buffer_store_dwordx4 v[2:5], v6, s[20:23], 16 offen
	;;#ASMSTART
	s_nop 0
	;;#ASMEND
.LBB902_18:
	s_or_b64 exec, exec, s[10:11]
	s_cmp_lt_i32 s16, 1
	s_cbranch_scc1 .LBB902_12
.LBB902_19:
	s_load_dword s2, s[4:5], 0x94
	s_waitcnt lgkmcnt(0)
	s_cmp_lg_u32 s2, 1
	s_cbranch_scc1 .LBB902_12
; %bb.20:
	s_lshl_b32 s2, s16, 1
	s_add_i32 s2, s2, 2
	v_cmp_gt_u32_e32 vcc, s16, v1
	s_and_b32 s10, s2, -4
	v_mov_b32_e32 v18, 0
	v_lshlrev_b32_e32 v1, 5, v0
	v_mov_b32_e32 v14, 0
	v_mov_b32_e32 v15, 0
	;; [unrolled: 1-line block ×8, first 2 shown]
	s_waitcnt vmcnt(1)
	v_mov_b32_e32 v6, 0
	v_mov_b32_e32 v7, 0
	;; [unrolled: 1-line block ×4, first 2 shown]
	s_waitcnt vmcnt(0)
	v_mov_b32_e32 v2, 0
	v_mov_b32_e32 v3, 0
	;; [unrolled: 1-line block ×4, first 2 shown]
	s_barrier
	s_and_saveexec_b64 s[2:3], vcc
	s_cbranch_execz .LBB902_22
; %bb.21:
	s_mul_hi_i32 s5, s18, s6
	s_mul_i32 s4, s18, s6
	s_and_b32 s9, s9, 0xffff
	s_lshl_b64 s[4:5], s[4:5], 1
	s_add_u32 s20, s24, s4
	s_mov_b32 s11, 0x20000
	s_addc_u32 s4, s25, s5
	s_and_b32 s21, s4, 0xffff
	s_mov_b32 s22, s10
	s_mov_b32 s23, s11
	buffer_load_dwordx4 v[14:17], v1, s[20:23], 0 offen
	buffer_load_dwordx4 v[10:13], v1, s[20:23], 16 offen
	;; [unrolled: 1-line block ×4, first 2 shown]
.LBB902_22:
	s_or_b64 exec, exec, s[2:3]
	v_mov_b32_e32 v19, 0
	v_mov_b32_e32 v32, 0
	;; [unrolled: 1-line block ×15, first 2 shown]
	s_and_saveexec_b64 s[2:3], vcc
	s_cbranch_execz .LBB902_24
; %bb.23:
	s_waitcnt vmcnt(3)
	v_cvt_f32_u32_sdwa v18, v14 dst_sel:DWORD dst_unused:UNUSED_PAD src0_sel:WORD_0
	v_cvt_f32_u32_sdwa v19, v14 dst_sel:DWORD dst_unused:UNUSED_PAD src0_sel:WORD_1
	v_cvt_f32_u32_sdwa v32, v15 dst_sel:DWORD dst_unused:UNUSED_PAD src0_sel:WORD_0
	v_cvt_f32_u32_sdwa v33, v15 dst_sel:DWORD dst_unused:UNUSED_PAD src0_sel:WORD_1
	v_cvt_f32_u32_sdwa v30, v16 dst_sel:DWORD dst_unused:UNUSED_PAD src0_sel:WORD_0
	v_cvt_f32_u32_sdwa v31, v16 dst_sel:DWORD dst_unused:UNUSED_PAD src0_sel:WORD_1
	v_cvt_f32_u32_sdwa v28, v17 dst_sel:DWORD dst_unused:UNUSED_PAD src0_sel:WORD_0
	v_cvt_f32_u32_sdwa v29, v17 dst_sel:DWORD dst_unused:UNUSED_PAD src0_sel:WORD_1
	s_waitcnt vmcnt(2)
	v_cvt_f32_u32_sdwa v26, v10 dst_sel:DWORD dst_unused:UNUSED_PAD src0_sel:WORD_0
	v_cvt_f32_u32_sdwa v27, v10 dst_sel:DWORD dst_unused:UNUSED_PAD src0_sel:WORD_1
	v_cvt_f32_u32_sdwa v24, v11 dst_sel:DWORD dst_unused:UNUSED_PAD src0_sel:WORD_0
	v_cvt_f32_u32_sdwa v25, v11 dst_sel:DWORD dst_unused:UNUSED_PAD src0_sel:WORD_1
	;; [unrolled: 2-line block ×4, first 2 shown]
.LBB902_24:
	s_or_b64 exec, exec, s[2:3]
	s_waitcnt vmcnt(2)
	v_mul_f32_e32 v10, v19, v19
	v_fmac_f32_e32 v10, v18, v18
	v_fmac_f32_e32 v10, v32, v32
	;; [unrolled: 1-line block ×15, first 2 shown]
	s_nop 1
	v_mov_b32_dpp v11, v10 quad_perm:[1,0,3,2] row_mask:0xf bank_mask:0xf
	v_add_f32_e32 v10, v10, v11
	s_nop 1
	v_mov_b32_dpp v11, v10 quad_perm:[2,3,0,1] row_mask:0xf bank_mask:0xf
	v_add_f32_e32 v10, v10, v11
	s_nop 1
	v_mov_b32_dpp v11, v10 row_half_mirror row_mask:0xf bank_mask:0xf
	v_add_f32_e32 v10, v10, v11
	s_nop 1
	v_mov_b32_dpp v11, v10 row_mirror row_mask:0xf bank_mask:0xf
	v_add_f32_e32 v10, v10, v11
	s_nop 1
	v_mov_b32_dpp v11, v10 row_bcast:15 row_mask:0xf bank_mask:0xf
	v_add_f32_e32 v10, v10, v11
	s_nop 1
	v_mov_b32_dpp v11, v10 row_bcast:31 row_mask:0xf bank_mask:0xf
	s_and_saveexec_b64 s[2:3], s[0:1]
	s_cbranch_execz .LBB902_26
; %bb.25:
	v_lshrrev_b32_e32 v0, 4, v0
	v_add_f32_e32 v10, v10, v11
	v_and_b32_e32 v0, 60, v0
	ds_write_b32 v0, v10
.LBB902_26:
	s_or_b64 exec, exec, s[2:3]
	s_waitcnt lgkmcnt(0)
	s_barrier
	ds_read_b32 v0, v34
	s_waitcnt lgkmcnt(0)
	s_nop 0
	v_mov_b32_dpp v10, v0 quad_perm:[1,0,3,2] row_mask:0xf bank_mask:0xf
	v_add_f32_e32 v0, v0, v10
	s_nop 1
	v_mov_b32_dpp v10, v0 quad_perm:[2,3,0,1] row_mask:0xf bank_mask:0xf
	v_add_f32_e32 v0, v0, v10
	s_nop 1
	v_mov_b32_dpp v10, v0 row_half_mirror row_mask:0xf bank_mask:0xf
	s_and_saveexec_b64 s[0:1], vcc
	s_cbranch_execz .LBB902_12
; %bb.27:
	v_cvt_f32_u32_e32 v11, s16
	v_add_f32_e32 v0, v0, v10
	s_mov_b32 s11, 0x20000
	v_div_scale_f32 v10, s[0:1], v11, v11, v0
	v_rcp_f32_e32 v12, v10
	v_div_scale_f32 v13, vcc, v0, v11, v0
	s_mov_b32 s0, 0x800000
	v_fma_f32 v14, -v10, v12, 1.0
	v_fmac_f32_e32 v12, v14, v12
	v_mul_f32_e32 v14, v13, v12
	v_fma_f32 v15, -v10, v14, v13
	v_fmac_f32_e32 v14, v15, v12
	v_fma_f32 v10, -v10, v14, v13
	v_div_fmas_f32 v10, v10, v12, v14
	v_div_fixup_f32 v0, v10, v11, v0
	v_add_f32_e32 v0, s13, v0
	v_mul_f32_e32 v10, 0x4b800000, v0
	v_cmp_gt_f32_e32 vcc, s0, v0
	v_cndmask_b32_e32 v0, v0, v10, vcc
	v_rsq_f32_e32 v0, v0
	s_mul_hi_i32 s1, s27, s6
	s_mul_i32 s0, s27, s6
	s_lshl_b64 s[0:1], s[0:1], 1
	v_mul_f32_e32 v10, 0x45800000, v0
	v_cndmask_b32_e32 v10, v0, v10, vcc
	v_mov_b32_e32 v11, v10
	s_add_u32 s8, s14, s0
	;;#ASMSTART
	v_pk_mul_f32 v[12:13], v[18:19], v[10:11]
	;;#ASMEND
	;;#ASMSTART
	v_pk_mul_f32 v[14:15], v[32:33], v[10:11]
	;;#ASMEND
	;; [unrolled: 3-line block ×8, first 2 shown]
	s_waitcnt vmcnt(1)
	v_cvt_f32_u32_sdwa v21, v6 dst_sel:DWORD dst_unused:UNUSED_PAD src0_sel:WORD_1
	v_cvt_f32_u32_sdwa v20, v6 dst_sel:DWORD dst_unused:UNUSED_PAD src0_sel:WORD_0
	v_cvt_f32_u32_sdwa v29, v7 dst_sel:DWORD dst_unused:UNUSED_PAD src0_sel:WORD_1
	v_cvt_f32_u32_sdwa v28, v7 dst_sel:DWORD dst_unused:UNUSED_PAD src0_sel:WORD_0
	v_cvt_f32_u32_sdwa v7, v8 dst_sel:DWORD dst_unused:UNUSED_PAD src0_sel:WORD_1
	v_cvt_f32_u32_sdwa v6, v8 dst_sel:DWORD dst_unused:UNUSED_PAD src0_sel:WORD_0
	s_addc_u32 s0, s15, s1
	v_cvt_f32_u32_sdwa v31, v9 dst_sel:DWORD dst_unused:UNUSED_PAD src0_sel:WORD_1
	v_cvt_f32_u32_sdwa v30, v9 dst_sel:DWORD dst_unused:UNUSED_PAD src0_sel:WORD_0
	;;#ASMSTART
	v_pk_mul_f32 v[8:9], v[12:13], v[20:21]
	;;#ASMEND
	;;#ASMSTART
	v_pk_mul_f32 v[12:13], v[14:15], v[28:29]
	;;#ASMEND
	;;#ASMSTART
	v_pk_mul_f32 v[6:7], v[16:17], v[6:7]
	;;#ASMEND
	;;#ASMSTART
	v_pk_mul_f32 v[14:15], v[18:19], v[30:31]
	;;#ASMEND
	s_waitcnt vmcnt(0)
	v_cvt_f32_u32_sdwa v17, v2 dst_sel:DWORD dst_unused:UNUSED_PAD src0_sel:WORD_1
	v_cvt_f32_u32_sdwa v16, v2 dst_sel:DWORD dst_unused:UNUSED_PAD src0_sel:WORD_0
	v_cvt_f32_u32_sdwa v19, v3 dst_sel:DWORD dst_unused:UNUSED_PAD src0_sel:WORD_1
	v_cvt_f32_u32_sdwa v18, v3 dst_sel:DWORD dst_unused:UNUSED_PAD src0_sel:WORD_0
	;; [unrolled: 2-line block ×3, first 2 shown]
	s_and_b32 s9, s0, 0xffff
	s_mov_b32 s0, 0x7060302
	v_cvt_f32_u32_sdwa v21, v5 dst_sel:DWORD dst_unused:UNUSED_PAD src0_sel:WORD_1
	v_cvt_f32_u32_sdwa v20, v5 dst_sel:DWORD dst_unused:UNUSED_PAD src0_sel:WORD_0
	;;#ASMSTART
	v_pk_mul_f32 v[16:17], v[26:27], v[16:17]
	;;#ASMEND
	;;#ASMSTART
	v_pk_mul_f32 v[18:19], v[24:25], v[18:19]
	;;#ASMEND
	;; [unrolled: 3-line block ×3, first 2 shown]
	v_perm_b32 v2, v9, v8, s0
	v_perm_b32 v3, v13, v12, s0
	;; [unrolled: 1-line block ×4, first 2 shown]
	;;#ASMSTART
	v_pk_mul_f32 v[10:11], v[10:11], v[20:21]
	;;#ASMEND
	buffer_store_dwordx4 v[2:5], v1, s[8:11], 0 offen
	;;#ASMSTART
	s_nop 0
	;;#ASMEND
	s_nop 0
	v_perm_b32 v2, v17, v16, s0
	v_perm_b32 v3, v19, v18, s0
	;; [unrolled: 1-line block ×4, first 2 shown]
	buffer_store_dwordx4 v[2:5], v1, s[8:11], 16 offen
	;;#ASMSTART
	s_nop 0
	;;#ASMEND
	s_endpgm
	.section	.rodata,"a",@progbits
	.p2align	6, 0x0
	.amdhsa_kernel _ZN5aiter35fused_qk_rmsnorm_group_quant_kernelItDB8_Li512ELi16ELi8ELb0ELb1ELb0ELb1ELb0ELb0EEEvPT0_PvPT_S6_S6_PKS5_S8_S8_S8_S8_ffiiiiiiiiiiiii
		.amdhsa_group_segment_fixed_size 64
		.amdhsa_private_segment_fixed_size 0
		.amdhsa_kernarg_size 400
		.amdhsa_user_sgpr_count 6
		.amdhsa_user_sgpr_private_segment_buffer 1
		.amdhsa_user_sgpr_dispatch_ptr 0
		.amdhsa_user_sgpr_queue_ptr 0
		.amdhsa_user_sgpr_kernarg_segment_ptr 1
		.amdhsa_user_sgpr_dispatch_id 0
		.amdhsa_user_sgpr_flat_scratch_init 0
		.amdhsa_user_sgpr_kernarg_preload_length 0
		.amdhsa_user_sgpr_kernarg_preload_offset 0
		.amdhsa_user_sgpr_private_segment_size 0
		.amdhsa_uses_dynamic_stack 0
		.amdhsa_system_sgpr_private_segment_wavefront_offset 0
		.amdhsa_system_sgpr_workgroup_id_x 1
		.amdhsa_system_sgpr_workgroup_id_y 1
		.amdhsa_system_sgpr_workgroup_id_z 0
		.amdhsa_system_sgpr_workgroup_info 0
		.amdhsa_system_vgpr_workitem_id 0
		.amdhsa_next_free_vgpr 35
		.amdhsa_next_free_sgpr 32
		.amdhsa_accum_offset 36
		.amdhsa_reserve_vcc 1
		.amdhsa_reserve_flat_scratch 0
		.amdhsa_float_round_mode_32 0
		.amdhsa_float_round_mode_16_64 0
		.amdhsa_float_denorm_mode_32 3
		.amdhsa_float_denorm_mode_16_64 3
		.amdhsa_dx10_clamp 1
		.amdhsa_ieee_mode 1
		.amdhsa_fp16_overflow 0
		.amdhsa_tg_split 0
		.amdhsa_exception_fp_ieee_invalid_op 0
		.amdhsa_exception_fp_denorm_src 0
		.amdhsa_exception_fp_ieee_div_zero 0
		.amdhsa_exception_fp_ieee_overflow 0
		.amdhsa_exception_fp_ieee_underflow 0
		.amdhsa_exception_fp_ieee_inexact 0
		.amdhsa_exception_int_div_zero 0
	.end_amdhsa_kernel
	.section	.text._ZN5aiter35fused_qk_rmsnorm_group_quant_kernelItDB8_Li512ELi16ELi8ELb0ELb1ELb0ELb1ELb0ELb0EEEvPT0_PvPT_S6_S6_PKS5_S8_S8_S8_S8_ffiiiiiiiiiiiii,"axG",@progbits,_ZN5aiter35fused_qk_rmsnorm_group_quant_kernelItDB8_Li512ELi16ELi8ELb0ELb1ELb0ELb1ELb0ELb0EEEvPT0_PvPT_S6_S6_PKS5_S8_S8_S8_S8_ffiiiiiiiiiiiii,comdat
.Lfunc_end902:
	.size	_ZN5aiter35fused_qk_rmsnorm_group_quant_kernelItDB8_Li512ELi16ELi8ELb0ELb1ELb0ELb1ELb0ELb0EEEvPT0_PvPT_S6_S6_PKS5_S8_S8_S8_S8_ffiiiiiiiiiiiii, .Lfunc_end902-_ZN5aiter35fused_qk_rmsnorm_group_quant_kernelItDB8_Li512ELi16ELi8ELb0ELb1ELb0ELb1ELb0ELb0EEEvPT0_PvPT_S6_S6_PKS5_S8_S8_S8_S8_ffiiiiiiiiiiiii
                                        ; -- End function
	.section	.AMDGPU.csdata,"",@progbits
; Kernel info:
; codeLenInByte = 2844
; NumSgprs: 36
; NumVgprs: 35
; NumAgprs: 0
; TotalNumVgprs: 35
; ScratchSize: 0
; MemoryBound: 0
; FloatMode: 240
; IeeeMode: 1
; LDSByteSize: 64 bytes/workgroup (compile time only)
; SGPRBlocks: 4
; VGPRBlocks: 4
; NumSGPRsForWavesPerEU: 36
; NumVGPRsForWavesPerEU: 35
; AccumOffset: 36
; Occupancy: 8
; WaveLimiterHint : 0
; COMPUTE_PGM_RSRC2:SCRATCH_EN: 0
; COMPUTE_PGM_RSRC2:USER_SGPR: 6
; COMPUTE_PGM_RSRC2:TRAP_HANDLER: 0
; COMPUTE_PGM_RSRC2:TGID_X_EN: 1
; COMPUTE_PGM_RSRC2:TGID_Y_EN: 1
; COMPUTE_PGM_RSRC2:TGID_Z_EN: 0
; COMPUTE_PGM_RSRC2:TIDIG_COMP_CNT: 0
; COMPUTE_PGM_RSRC3_GFX90A:ACCUM_OFFSET: 8
; COMPUTE_PGM_RSRC3_GFX90A:TG_SPLIT: 0
	.section	.text._ZN5aiter35fused_qk_rmsnorm_group_quant_kernelIDF16_N4opus5fp4_tELi512ELi16ELi8ELb0ELb1ELb0ELb1ELb0ELb0EEEvPT0_PvPT_S7_S7_PKS6_S9_S9_S9_S9_ffiiiiiiiiiiiii,"axG",@progbits,_ZN5aiter35fused_qk_rmsnorm_group_quant_kernelIDF16_N4opus5fp4_tELi512ELi16ELi8ELb0ELb1ELb0ELb1ELb0ELb0EEEvPT0_PvPT_S7_S7_PKS6_S9_S9_S9_S9_ffiiiiiiiiiiiii,comdat
	.protected	_ZN5aiter35fused_qk_rmsnorm_group_quant_kernelIDF16_N4opus5fp4_tELi512ELi16ELi8ELb0ELb1ELb0ELb1ELb0ELb0EEEvPT0_PvPT_S7_S7_PKS6_S9_S9_S9_S9_ffiiiiiiiiiiiii ; -- Begin function _ZN5aiter35fused_qk_rmsnorm_group_quant_kernelIDF16_N4opus5fp4_tELi512ELi16ELi8ELb0ELb1ELb0ELb1ELb0ELb0EEEvPT0_PvPT_S7_S7_PKS6_S9_S9_S9_S9_ffiiiiiiiiiiiii
	.globl	_ZN5aiter35fused_qk_rmsnorm_group_quant_kernelIDF16_N4opus5fp4_tELi512ELi16ELi8ELb0ELb1ELb0ELb1ELb0ELb0EEEvPT0_PvPT_S7_S7_PKS6_S9_S9_S9_S9_ffiiiiiiiiiiiii
	.p2align	8
	.type	_ZN5aiter35fused_qk_rmsnorm_group_quant_kernelIDF16_N4opus5fp4_tELi512ELi16ELi8ELb0ELb1ELb0ELb1ELb0ELb0EEEvPT0_PvPT_S7_S7_PKS6_S9_S9_S9_S9_ffiiiiiiiiiiiii,@function
_ZN5aiter35fused_qk_rmsnorm_group_quant_kernelIDF16_N4opus5fp4_tELi512ELi16ELi8ELb0ELb1ELb0ELb1ELb0ELb0EEEvPT0_PvPT_S7_S7_PKS6_S9_S9_S9_S9_ffiiiiiiiiiiiii: ; @_ZN5aiter35fused_qk_rmsnorm_group_quant_kernelIDF16_N4opus5fp4_tELi512ELi16ELi8ELb0ELb1ELb0ELb1ELb0ELb0EEEvPT0_PvPT_S7_S7_PKS6_S9_S9_S9_S9_ffiiiiiiiiiiiii
; %bb.0:
	s_load_dwordx4 s[12:15], s[4:5], 0x50
	s_waitcnt lgkmcnt(0)
	s_cmp_ge_i32 s6, s14
	s_cbranch_scc1 .LBB903_12
; %bb.1:
	s_load_dwordx2 s[24:25], s[4:5], 0x30
	s_load_dwordx2 s[8:9], s[4:5], 0x48
	s_load_dwordx4 s[16:19], s[4:5], 0x60
	s_cmp_lg_u32 s7, 0
	s_cselect_b64 s[10:11], -1, 0
	s_cmp_eq_u32 s7, 0
	s_cselect_b64 vcc, -1, 0
	s_and_b64 s[0:1], vcc, exec
	s_waitcnt lgkmcnt(0)
	s_cselect_b32 s7, s15, s16
	s_add_i32 s0, s7, 1
	s_lshr_b32 s1, s0, 31
	s_add_i32 s0, s0, s1
	s_lshl_b32 s0, s0, 1
	v_lshlrev_b32_e32 v1, 4, v0
	s_and_b32 s22, s0, -4
	v_cmp_gt_i32_e64 s[2:3], s7, v1
	v_mov_b32_e32 v18, 0
	v_mov_b32_e32 v6, 0
	;; [unrolled: 1-line block ×17, first 2 shown]
	s_and_saveexec_b64 s[0:1], s[2:3]
	s_cbranch_execz .LBB903_3
; %bb.2:
	s_load_dwordx2 s[14:15], s[4:5], 0x28
	s_load_dwordx2 s[20:21], s[4:5], 0x40
	s_and_b64 s[26:27], vcc, exec
	s_cselect_b32 s17, s17, s18
	s_mov_b32 s30, s22
	s_waitcnt lgkmcnt(0)
	s_cselect_b32 s19, s15, s25
	s_cselect_b32 s23, s14, s24
	s_mul_hi_i32 s15, s17, s6
	s_mul_i32 s14, s17, s6
	s_lshl_b64 s[14:15], s[14:15], 1
	s_add_u32 s28, s23, s14
	s_addc_u32 s17, s19, s15
	s_and_b64 s[14:15], vcc, exec
	s_mov_b32 s23, 0x20000
	s_cselect_b32 s20, s20, s8
	s_cselect_b32 s14, s21, s9
	s_and_b32 s29, s17, 0xffff
	s_mov_b32 s31, s23
	v_lshlrev_b32_e32 v19, 5, v0
	s_and_b32 s21, s14, 0xffff
	buffer_load_dwordx4 v[14:17], v19, s[28:31], 0 offen
	buffer_load_dwordx4 v[10:13], v19, s[28:31], 16 offen
	;; [unrolled: 1-line block ×4, first 2 shown]
.LBB903_3:
	s_or_b64 exec, exec, s[0:1]
	v_mov_b32_e32 v19, 0
	v_mov_b32_e32 v20, 0
	;; [unrolled: 1-line block ×15, first 2 shown]
	s_and_saveexec_b64 s[0:1], s[2:3]
	s_cbranch_execz .LBB903_5
; %bb.4:
	s_waitcnt vmcnt(3)
	v_cvt_f32_f16_sdwa v19, v14 dst_sel:DWORD dst_unused:UNUSED_PAD src0_sel:WORD_1
	v_cvt_f32_f16_e32 v18, v14
	v_cvt_f32_f16_sdwa v21, v15 dst_sel:DWORD dst_unused:UNUSED_PAD src0_sel:WORD_1
	v_cvt_f32_f16_e32 v20, v15
	;; [unrolled: 2-line block ×4, first 2 shown]
	s_waitcnt vmcnt(2)
	v_cvt_f32_f16_sdwa v25, v10 dst_sel:DWORD dst_unused:UNUSED_PAD src0_sel:WORD_1
	v_cvt_f32_f16_e32 v24, v10
	v_cvt_f32_f16_sdwa v29, v11 dst_sel:DWORD dst_unused:UNUSED_PAD src0_sel:WORD_1
	v_cvt_f32_f16_e32 v28, v11
	;; [unrolled: 2-line block ×4, first 2 shown]
.LBB903_5:
	s_or_b64 exec, exec, s[0:1]
	s_waitcnt vmcnt(2)
	v_mul_f32_e32 v10, v19, v19
	v_fmac_f32_e32 v10, v18, v18
	v_fmac_f32_e32 v10, v20, v20
	;; [unrolled: 1-line block ×15, first 2 shown]
	v_and_b32_e32 v12, 63, v0
	v_cmp_eq_u32_e64 s[0:1], 63, v12
	v_mov_b32_dpp v11, v10 quad_perm:[1,0,3,2] row_mask:0xf bank_mask:0xf
	v_add_f32_e32 v10, v10, v11
	s_nop 1
	v_mov_b32_dpp v11, v10 quad_perm:[2,3,0,1] row_mask:0xf bank_mask:0xf
	v_add_f32_e32 v10, v10, v11
	s_nop 1
	v_mov_b32_dpp v11, v10 row_half_mirror row_mask:0xf bank_mask:0xf
	v_add_f32_e32 v10, v10, v11
	s_nop 1
	v_mov_b32_dpp v11, v10 row_mirror row_mask:0xf bank_mask:0xf
	v_add_f32_e32 v10, v10, v11
	s_nop 1
	v_mov_b32_dpp v11, v10 row_bcast:15 row_mask:0xf bank_mask:0xf
	v_add_f32_e32 v10, v10, v11
	s_nop 1
	v_mov_b32_dpp v11, v10 row_bcast:31 row_mask:0xf bank_mask:0xf
	s_and_saveexec_b64 s[14:15], s[0:1]
	s_cbranch_execz .LBB903_7
; %bb.6:
	v_add_f32_e32 v10, v10, v11
	v_lshrrev_b32_e32 v11, 4, v0
	v_and_b32_e32 v11, 60, v11
	ds_write_b32 v11, v10 offset:32
.LBB903_7:
	s_or_b64 exec, exec, s[14:15]
	v_and_b32_e32 v10, 7, v0
	v_lshlrev_b32_e32 v34, 2, v10
	s_waitcnt lgkmcnt(0)
	s_barrier
	ds_read_b32 v10, v34 offset:32
	s_load_dwordx2 s[14:15], s[4:5], 0x18
	s_waitcnt lgkmcnt(0)
	v_mov_b32_dpp v11, v10 quad_perm:[1,0,3,2] row_mask:0xf bank_mask:0xf
	v_add_f32_e32 v10, v10, v11
	s_nop 1
	v_mov_b32_dpp v11, v10 quad_perm:[2,3,0,1] row_mask:0xf bank_mask:0xf
	v_add_f32_e32 v10, v10, v11
	s_nop 1
	v_mov_b32_dpp v11, v10 row_half_mirror row_mask:0xf bank_mask:0xf
	s_and_saveexec_b64 s[20:21], s[2:3]
	s_cbranch_execz .LBB903_9
; %bb.8:
	v_cvt_f32_u32_e32 v12, s7
	v_add_f32_e32 v10, v10, v11
	v_mov_b32_e32 v14, s13
	v_mov_b32_e32 v15, s12
	v_div_scale_f32 v11, s[26:27], v12, v12, v10
	v_rcp_f32_e32 v13, v11
	v_cndmask_b32_e32 v14, v14, v15, vcc
	s_mov_b32 s7, 0x800000
	v_fma_f32 v15, -v11, v13, 1.0
	v_fmac_f32_e32 v13, v15, v13
	v_div_scale_f32 v15, vcc, v10, v12, v10
	v_mul_f32_e32 v16, v15, v13
	v_fma_f32 v17, -v11, v16, v15
	v_fmac_f32_e32 v16, v17, v13
	v_fma_f32 v11, -v11, v16, v15
	v_div_fmas_f32 v11, v11, v13, v16
	v_div_fixup_f32 v10, v11, v12, v10
	v_add_f32_e32 v10, v14, v10
	v_mul_f32_e32 v11, 0x4b800000, v10
	v_cmp_gt_f32_e32 vcc, s7, v10
	v_cndmask_b32_e32 v10, v10, v11, vcc
	v_rsq_f32_e32 v10, v10
	v_mul_f32_e32 v11, 0x45800000, v10
	v_cndmask_b32_e32 v10, v10, v11, vcc
	v_mov_b32_e32 v11, v10
	;;#ASMSTART
	v_pk_mul_f32 v[12:13], v[18:19], v[10:11]
	;;#ASMEND
	;;#ASMSTART
	v_pk_mul_f32 v[14:15], v[20:21], v[10:11]
	;;#ASMEND
	;; [unrolled: 3-line block ×8, first 2 shown]
	s_waitcnt vmcnt(1)
	v_cvt_f32_f16_sdwa v19, v6 dst_sel:DWORD dst_unused:UNUSED_PAD src0_sel:WORD_1
	v_cvt_f32_f16_e32 v18, v6
	v_cvt_f32_f16_sdwa v21, v7 dst_sel:DWORD dst_unused:UNUSED_PAD src0_sel:WORD_1
	v_cvt_f32_f16_e32 v20, v7
	;; [unrolled: 2-line block ×4, first 2 shown]
	;;#ASMSTART
	v_pk_mul_f32 v[18:19], v[12:13], v[18:19]
	;;#ASMEND
	;;#ASMSTART
	v_pk_mul_f32 v[20:21], v[14:15], v[20:21]
	;;#ASMEND
	;; [unrolled: 3-line block ×4, first 2 shown]
	s_waitcnt vmcnt(0)
	v_cvt_f32_f16_sdwa v7, v2 dst_sel:DWORD dst_unused:UNUSED_PAD src0_sel:WORD_1
	v_cvt_f32_f16_e32 v6, v2
	v_cvt_f32_f16_sdwa v9, v3 dst_sel:DWORD dst_unused:UNUSED_PAD src0_sel:WORD_1
	v_cvt_f32_f16_e32 v8, v3
	;; [unrolled: 2-line block ×4, first 2 shown]
	;;#ASMSTART
	v_pk_mul_f32 v[24:25], v[24:25], v[6:7]
	;;#ASMEND
	;;#ASMSTART
	v_pk_mul_f32 v[28:29], v[28:29], v[8:9]
	;;#ASMEND
	;;#ASMSTART
	v_pk_mul_f32 v[30:31], v[30:31], v[2:3]
	;;#ASMEND
	;;#ASMSTART
	v_pk_mul_f32 v[32:33], v[10:11], v[12:13]
	;;#ASMEND
.LBB903_9:
	s_or_b64 exec, exec, s[20:21]
	s_load_dwordx2 s[26:27], s[4:5], 0x7c
	s_mov_b64 s[20:21], -1
	s_and_b64 vcc, exec, s[10:11]
	s_cbranch_vccnz .LBB903_13
; %bb.10:
	s_andn2_b64 vcc, exec, s[20:21]
	s_cbranch_vccz .LBB903_16
.LBB903_11:
	s_cmp_lt_i32 s16, 1
	s_cbranch_scc0 .LBB903_19
.LBB903_12:
	s_endpgm
.LBB903_13:
	s_and_saveexec_b64 s[10:11], s[2:3]
	s_cbranch_execz .LBB903_15
; %bb.14:
	s_waitcnt lgkmcnt(0)
	s_mul_hi_i32 s21, s27, s6
	s_mul_i32 s20, s27, s6
	s_waitcnt vmcnt(0)
	v_cvt_f16_f32_e32 v2, v18
	v_cvt_f16_f32_e32 v3, v20
	;; [unrolled: 1-line block ×8, first 2 shown]
	s_lshl_b64 s[20:21], s[20:21], 1
	s_add_u32 s20, s14, s20
	s_addc_u32 s7, s15, s21
	s_and_b32 s21, s7, 0xffff
	s_mov_b32 s23, 0x20000
	v_pack_b32_f16 v5, v5, v6
	v_pack_b32_f16 v4, v4, v7
	;; [unrolled: 1-line block ×4, first 2 shown]
	v_lshlrev_b32_e32 v6, 5, v0
	buffer_store_dwordx4 v[2:5], v6, s[20:23], 0 offen
	v_cvt_f16_f32_e32 v7, v33
	v_cvt_f16_f32_e32 v2, v24
	;; [unrolled: 1-line block ×8, first 2 shown]
	v_pack_b32_f16 v5, v5, v7
	v_pack_b32_f16 v4, v4, v8
	;; [unrolled: 1-line block ×4, first 2 shown]
	;;#ASMSTART
	s_nop 0
	;;#ASMEND
	buffer_store_dwordx4 v[2:5], v6, s[20:23], 16 offen
	;;#ASMSTART
	s_nop 0
	;;#ASMEND
.LBB903_15:
	s_or_b64 exec, exec, s[10:11]
	s_cbranch_execnz .LBB903_11
.LBB903_16:
	s_and_saveexec_b64 s[10:11], s[2:3]
	s_cbranch_execz .LBB903_18
; %bb.17:
	s_load_dwordx2 s[2:3], s[4:5], 0x10
	s_waitcnt lgkmcnt(0)
	s_mul_hi_i32 s21, s26, s6
	s_mul_i32 s20, s26, s6
	s_waitcnt vmcnt(0)
	v_cvt_f16_f32_e32 v2, v18
	v_cvt_f16_f32_e32 v3, v20
	;; [unrolled: 1-line block ×8, first 2 shown]
	s_lshl_b64 s[20:21], s[20:21], 1
	s_add_u32 s20, s2, s20
	s_addc_u32 s2, s3, s21
	s_mov_b32 s23, 0x20000
	s_and_b32 s21, s2, 0xffff
	v_pack_b32_f16 v5, v5, v6
	v_pack_b32_f16 v4, v4, v7
	;; [unrolled: 1-line block ×4, first 2 shown]
	v_lshlrev_b32_e32 v6, 5, v0
	buffer_store_dwordx4 v[2:5], v6, s[20:23], 0 offen
	v_cvt_f16_f32_e32 v7, v33
	v_cvt_f16_f32_e32 v2, v24
	;; [unrolled: 1-line block ×8, first 2 shown]
	v_pack_b32_f16 v5, v5, v7
	v_pack_b32_f16 v4, v4, v8
	;; [unrolled: 1-line block ×4, first 2 shown]
	;;#ASMSTART
	s_nop 0
	;;#ASMEND
	buffer_store_dwordx4 v[2:5], v6, s[20:23], 16 offen
	;;#ASMSTART
	s_nop 0
	;;#ASMEND
.LBB903_18:
	s_or_b64 exec, exec, s[10:11]
	s_cmp_lt_i32 s16, 1
	s_cbranch_scc1 .LBB903_12
.LBB903_19:
	s_load_dword s2, s[4:5], 0x94
	s_waitcnt lgkmcnt(0)
	s_cmp_lg_u32 s2, 1
	s_cbranch_scc1 .LBB903_12
; %bb.20:
	s_lshl_b32 s2, s16, 1
	s_add_i32 s2, s2, 2
	v_cmp_gt_u32_e32 vcc, s16, v1
	s_and_b32 s10, s2, -4
	v_mov_b32_e32 v18, 0
	v_lshlrev_b32_e32 v1, 5, v0
	v_mov_b32_e32 v14, 0
	v_mov_b32_e32 v15, 0
	;; [unrolled: 1-line block ×8, first 2 shown]
	s_waitcnt vmcnt(1)
	v_mov_b32_e32 v6, 0
	v_mov_b32_e32 v7, 0
	;; [unrolled: 1-line block ×4, first 2 shown]
	s_waitcnt vmcnt(0)
	v_mov_b32_e32 v2, 0
	v_mov_b32_e32 v3, 0
	;; [unrolled: 1-line block ×4, first 2 shown]
	s_barrier
	s_and_saveexec_b64 s[2:3], vcc
	s_cbranch_execz .LBB903_22
; %bb.21:
	s_mul_hi_i32 s5, s18, s6
	s_mul_i32 s4, s18, s6
	s_and_b32 s9, s9, 0xffff
	s_lshl_b64 s[4:5], s[4:5], 1
	s_add_u32 s20, s24, s4
	s_mov_b32 s11, 0x20000
	s_addc_u32 s4, s25, s5
	s_and_b32 s21, s4, 0xffff
	s_mov_b32 s22, s10
	s_mov_b32 s23, s11
	buffer_load_dwordx4 v[14:17], v1, s[20:23], 0 offen
	buffer_load_dwordx4 v[10:13], v1, s[20:23], 16 offen
	;; [unrolled: 1-line block ×4, first 2 shown]
.LBB903_22:
	s_or_b64 exec, exec, s[2:3]
	v_mov_b32_e32 v19, 0
	v_mov_b32_e32 v32, 0
	;; [unrolled: 1-line block ×15, first 2 shown]
	s_and_saveexec_b64 s[2:3], vcc
	s_cbranch_execz .LBB903_24
; %bb.23:
	s_waitcnt vmcnt(3)
	v_cvt_f32_f16_sdwa v19, v14 dst_sel:DWORD dst_unused:UNUSED_PAD src0_sel:WORD_1
	v_cvt_f32_f16_e32 v18, v14
	v_cvt_f32_f16_sdwa v33, v15 dst_sel:DWORD dst_unused:UNUSED_PAD src0_sel:WORD_1
	v_cvt_f32_f16_e32 v32, v15
	;; [unrolled: 2-line block ×4, first 2 shown]
	s_waitcnt vmcnt(2)
	v_cvt_f32_f16_sdwa v27, v10 dst_sel:DWORD dst_unused:UNUSED_PAD src0_sel:WORD_1
	v_cvt_f32_f16_e32 v26, v10
	v_cvt_f32_f16_sdwa v25, v11 dst_sel:DWORD dst_unused:UNUSED_PAD src0_sel:WORD_1
	v_cvt_f32_f16_e32 v24, v11
	;; [unrolled: 2-line block ×4, first 2 shown]
.LBB903_24:
	s_or_b64 exec, exec, s[2:3]
	s_waitcnt vmcnt(2)
	v_mul_f32_e32 v10, v19, v19
	v_fmac_f32_e32 v10, v18, v18
	v_fmac_f32_e32 v10, v32, v32
	;; [unrolled: 1-line block ×15, first 2 shown]
	s_nop 1
	v_mov_b32_dpp v11, v10 quad_perm:[1,0,3,2] row_mask:0xf bank_mask:0xf
	v_add_f32_e32 v10, v10, v11
	s_nop 1
	v_mov_b32_dpp v11, v10 quad_perm:[2,3,0,1] row_mask:0xf bank_mask:0xf
	v_add_f32_e32 v10, v10, v11
	s_nop 1
	v_mov_b32_dpp v11, v10 row_half_mirror row_mask:0xf bank_mask:0xf
	v_add_f32_e32 v10, v10, v11
	s_nop 1
	v_mov_b32_dpp v11, v10 row_mirror row_mask:0xf bank_mask:0xf
	v_add_f32_e32 v10, v10, v11
	s_nop 1
	v_mov_b32_dpp v11, v10 row_bcast:15 row_mask:0xf bank_mask:0xf
	v_add_f32_e32 v10, v10, v11
	s_nop 1
	v_mov_b32_dpp v11, v10 row_bcast:31 row_mask:0xf bank_mask:0xf
	s_and_saveexec_b64 s[2:3], s[0:1]
	s_cbranch_execz .LBB903_26
; %bb.25:
	v_lshrrev_b32_e32 v0, 4, v0
	v_add_f32_e32 v10, v10, v11
	v_and_b32_e32 v0, 60, v0
	ds_write_b32 v0, v10
.LBB903_26:
	s_or_b64 exec, exec, s[2:3]
	s_waitcnt lgkmcnt(0)
	s_barrier
	ds_read_b32 v0, v34
	s_waitcnt lgkmcnt(0)
	s_nop 0
	v_mov_b32_dpp v10, v0 quad_perm:[1,0,3,2] row_mask:0xf bank_mask:0xf
	v_add_f32_e32 v0, v0, v10
	s_nop 1
	v_mov_b32_dpp v10, v0 quad_perm:[2,3,0,1] row_mask:0xf bank_mask:0xf
	v_add_f32_e32 v0, v0, v10
	s_nop 1
	v_mov_b32_dpp v10, v0 row_half_mirror row_mask:0xf bank_mask:0xf
	s_and_saveexec_b64 s[0:1], vcc
	s_cbranch_execz .LBB903_12
; %bb.27:
	v_cvt_f32_u32_e32 v11, s16
	v_add_f32_e32 v0, v0, v10
	s_mov_b32 s11, 0x20000
	v_div_scale_f32 v10, s[0:1], v11, v11, v0
	v_rcp_f32_e32 v12, v10
	v_div_scale_f32 v13, vcc, v0, v11, v0
	s_mov_b32 s0, 0x800000
	v_fma_f32 v14, -v10, v12, 1.0
	v_fmac_f32_e32 v12, v14, v12
	v_mul_f32_e32 v14, v13, v12
	v_fma_f32 v15, -v10, v14, v13
	v_fmac_f32_e32 v14, v15, v12
	v_fma_f32 v10, -v10, v14, v13
	v_div_fmas_f32 v10, v10, v12, v14
	v_div_fixup_f32 v0, v10, v11, v0
	v_add_f32_e32 v0, s13, v0
	v_mul_f32_e32 v10, 0x4b800000, v0
	v_cmp_gt_f32_e32 vcc, s0, v0
	v_cndmask_b32_e32 v0, v0, v10, vcc
	v_rsq_f32_e32 v0, v0
	s_mul_hi_i32 s1, s27, s6
	s_mul_i32 s0, s27, s6
	s_lshl_b64 s[0:1], s[0:1], 1
	v_mul_f32_e32 v10, 0x45800000, v0
	v_cndmask_b32_e32 v10, v0, v10, vcc
	v_mov_b32_e32 v11, v10
	;;#ASMSTART
	v_pk_mul_f32 v[12:13], v[18:19], v[10:11]
	;;#ASMEND
	;;#ASMSTART
	v_pk_mul_f32 v[14:15], v[32:33], v[10:11]
	;;#ASMEND
	;; [unrolled: 3-line block ×8, first 2 shown]
	s_waitcnt vmcnt(1)
	v_cvt_f32_f16_sdwa v21, v6 dst_sel:DWORD dst_unused:UNUSED_PAD src0_sel:WORD_1
	v_cvt_f32_f16_e32 v20, v6
	v_cvt_f32_f16_sdwa v29, v7 dst_sel:DWORD dst_unused:UNUSED_PAD src0_sel:WORD_1
	v_cvt_f32_f16_e32 v28, v7
	;; [unrolled: 2-line block ×4, first 2 shown]
	;;#ASMSTART
	v_pk_mul_f32 v[8:9], v[12:13], v[20:21]
	;;#ASMEND
	;;#ASMSTART
	v_pk_mul_f32 v[12:13], v[14:15], v[28:29]
	;;#ASMEND
	;; [unrolled: 3-line block ×4, first 2 shown]
	s_waitcnt vmcnt(0)
	v_cvt_f32_f16_sdwa v17, v2 dst_sel:DWORD dst_unused:UNUSED_PAD src0_sel:WORD_1
	v_cvt_f32_f16_e32 v16, v2
	v_cvt_f32_f16_sdwa v19, v3 dst_sel:DWORD dst_unused:UNUSED_PAD src0_sel:WORD_1
	v_cvt_f32_f16_e32 v18, v3
	;; [unrolled: 2-line block ×4, first 2 shown]
	;;#ASMSTART
	v_pk_mul_f32 v[16:17], v[26:27], v[16:17]
	;;#ASMEND
	;;#ASMSTART
	v_pk_mul_f32 v[18:19], v[24:25], v[18:19]
	;;#ASMEND
	;; [unrolled: 3-line block ×3, first 2 shown]
	v_cvt_f16_f32_e32 v0, v8
	v_cvt_f16_f32_e32 v2, v9
	;; [unrolled: 1-line block ×8, first 2 shown]
	s_add_u32 s8, s14, s0
	s_addc_u32 s0, s15, s1
	s_and_b32 s9, s0, 0xffff
	v_pack_b32_f16 v2, v0, v2
	v_pack_b32_f16 v3, v3, v4
	;; [unrolled: 1-line block ×4, first 2 shown]
	;;#ASMSTART
	v_pk_mul_f32 v[10:11], v[10:11], v[20:21]
	;;#ASMEND
	buffer_store_dwordx4 v[2:5], v1, s[8:11], 0 offen
	v_cvt_f16_f32_e32 v0, v16
	v_cvt_f16_f32_e32 v2, v17
	;; [unrolled: 1-line block ×8, first 2 shown]
	v_pack_b32_f16 v2, v0, v2
	v_pack_b32_f16 v3, v3, v4
	;; [unrolled: 1-line block ×4, first 2 shown]
	;;#ASMSTART
	s_nop 0
	;;#ASMEND
	buffer_store_dwordx4 v[2:5], v1, s[8:11], 16 offen
	;;#ASMSTART
	s_nop 0
	;;#ASMEND
	s_endpgm
	.section	.rodata,"a",@progbits
	.p2align	6, 0x0
	.amdhsa_kernel _ZN5aiter35fused_qk_rmsnorm_group_quant_kernelIDF16_N4opus5fp4_tELi512ELi16ELi8ELb0ELb1ELb0ELb1ELb0ELb0EEEvPT0_PvPT_S7_S7_PKS6_S9_S9_S9_S9_ffiiiiiiiiiiiii
		.amdhsa_group_segment_fixed_size 64
		.amdhsa_private_segment_fixed_size 0
		.amdhsa_kernarg_size 400
		.amdhsa_user_sgpr_count 6
		.amdhsa_user_sgpr_private_segment_buffer 1
		.amdhsa_user_sgpr_dispatch_ptr 0
		.amdhsa_user_sgpr_queue_ptr 0
		.amdhsa_user_sgpr_kernarg_segment_ptr 1
		.amdhsa_user_sgpr_dispatch_id 0
		.amdhsa_user_sgpr_flat_scratch_init 0
		.amdhsa_user_sgpr_kernarg_preload_length 0
		.amdhsa_user_sgpr_kernarg_preload_offset 0
		.amdhsa_user_sgpr_private_segment_size 0
		.amdhsa_uses_dynamic_stack 0
		.amdhsa_system_sgpr_private_segment_wavefront_offset 0
		.amdhsa_system_sgpr_workgroup_id_x 1
		.amdhsa_system_sgpr_workgroup_id_y 1
		.amdhsa_system_sgpr_workgroup_id_z 0
		.amdhsa_system_sgpr_workgroup_info 0
		.amdhsa_system_vgpr_workitem_id 0
		.amdhsa_next_free_vgpr 35
		.amdhsa_next_free_sgpr 32
		.amdhsa_accum_offset 36
		.amdhsa_reserve_vcc 1
		.amdhsa_reserve_flat_scratch 0
		.amdhsa_float_round_mode_32 0
		.amdhsa_float_round_mode_16_64 0
		.amdhsa_float_denorm_mode_32 3
		.amdhsa_float_denorm_mode_16_64 3
		.amdhsa_dx10_clamp 1
		.amdhsa_ieee_mode 1
		.amdhsa_fp16_overflow 0
		.amdhsa_tg_split 0
		.amdhsa_exception_fp_ieee_invalid_op 0
		.amdhsa_exception_fp_denorm_src 0
		.amdhsa_exception_fp_ieee_div_zero 0
		.amdhsa_exception_fp_ieee_overflow 0
		.amdhsa_exception_fp_ieee_underflow 0
		.amdhsa_exception_fp_ieee_inexact 0
		.amdhsa_exception_int_div_zero 0
	.end_amdhsa_kernel
	.section	.text._ZN5aiter35fused_qk_rmsnorm_group_quant_kernelIDF16_N4opus5fp4_tELi512ELi16ELi8ELb0ELb1ELb0ELb1ELb0ELb0EEEvPT0_PvPT_S7_S7_PKS6_S9_S9_S9_S9_ffiiiiiiiiiiiii,"axG",@progbits,_ZN5aiter35fused_qk_rmsnorm_group_quant_kernelIDF16_N4opus5fp4_tELi512ELi16ELi8ELb0ELb1ELb0ELb1ELb0ELb0EEEvPT0_PvPT_S7_S7_PKS6_S9_S9_S9_S9_ffiiiiiiiiiiiii,comdat
.Lfunc_end903:
	.size	_ZN5aiter35fused_qk_rmsnorm_group_quant_kernelIDF16_N4opus5fp4_tELi512ELi16ELi8ELb0ELb1ELb0ELb1ELb0ELb0EEEvPT0_PvPT_S7_S7_PKS6_S9_S9_S9_S9_ffiiiiiiiiiiiii, .Lfunc_end903-_ZN5aiter35fused_qk_rmsnorm_group_quant_kernelIDF16_N4opus5fp4_tELi512ELi16ELi8ELb0ELb1ELb0ELb1ELb0ELb0EEEvPT0_PvPT_S7_S7_PKS6_S9_S9_S9_S9_ffiiiiiiiiiiiii
                                        ; -- End function
	.section	.AMDGPU.csdata,"",@progbits
; Kernel info:
; codeLenInByte = 2872
; NumSgprs: 36
; NumVgprs: 35
; NumAgprs: 0
; TotalNumVgprs: 35
; ScratchSize: 0
; MemoryBound: 0
; FloatMode: 240
; IeeeMode: 1
; LDSByteSize: 64 bytes/workgroup (compile time only)
; SGPRBlocks: 4
; VGPRBlocks: 4
; NumSGPRsForWavesPerEU: 36
; NumVGPRsForWavesPerEU: 35
; AccumOffset: 36
; Occupancy: 8
; WaveLimiterHint : 0
; COMPUTE_PGM_RSRC2:SCRATCH_EN: 0
; COMPUTE_PGM_RSRC2:USER_SGPR: 6
; COMPUTE_PGM_RSRC2:TRAP_HANDLER: 0
; COMPUTE_PGM_RSRC2:TGID_X_EN: 1
; COMPUTE_PGM_RSRC2:TGID_Y_EN: 1
; COMPUTE_PGM_RSRC2:TGID_Z_EN: 0
; COMPUTE_PGM_RSRC2:TIDIG_COMP_CNT: 0
; COMPUTE_PGM_RSRC3_GFX90A:ACCUM_OFFSET: 8
; COMPUTE_PGM_RSRC3_GFX90A:TG_SPLIT: 0
	.section	.text._ZN5aiter35fused_qk_rmsnorm_group_quant_kernelItN4opus5fp4_tELi512ELi16ELi8ELb0ELb1ELb0ELb1ELb0ELb0EEEvPT0_PvPT_S7_S7_PKS6_S9_S9_S9_S9_ffiiiiiiiiiiiii,"axG",@progbits,_ZN5aiter35fused_qk_rmsnorm_group_quant_kernelItN4opus5fp4_tELi512ELi16ELi8ELb0ELb1ELb0ELb1ELb0ELb0EEEvPT0_PvPT_S7_S7_PKS6_S9_S9_S9_S9_ffiiiiiiiiiiiii,comdat
	.protected	_ZN5aiter35fused_qk_rmsnorm_group_quant_kernelItN4opus5fp4_tELi512ELi16ELi8ELb0ELb1ELb0ELb1ELb0ELb0EEEvPT0_PvPT_S7_S7_PKS6_S9_S9_S9_S9_ffiiiiiiiiiiiii ; -- Begin function _ZN5aiter35fused_qk_rmsnorm_group_quant_kernelItN4opus5fp4_tELi512ELi16ELi8ELb0ELb1ELb0ELb1ELb0ELb0EEEvPT0_PvPT_S7_S7_PKS6_S9_S9_S9_S9_ffiiiiiiiiiiiii
	.globl	_ZN5aiter35fused_qk_rmsnorm_group_quant_kernelItN4opus5fp4_tELi512ELi16ELi8ELb0ELb1ELb0ELb1ELb0ELb0EEEvPT0_PvPT_S7_S7_PKS6_S9_S9_S9_S9_ffiiiiiiiiiiiii
	.p2align	8
	.type	_ZN5aiter35fused_qk_rmsnorm_group_quant_kernelItN4opus5fp4_tELi512ELi16ELi8ELb0ELb1ELb0ELb1ELb0ELb0EEEvPT0_PvPT_S7_S7_PKS6_S9_S9_S9_S9_ffiiiiiiiiiiiii,@function
_ZN5aiter35fused_qk_rmsnorm_group_quant_kernelItN4opus5fp4_tELi512ELi16ELi8ELb0ELb1ELb0ELb1ELb0ELb0EEEvPT0_PvPT_S7_S7_PKS6_S9_S9_S9_S9_ffiiiiiiiiiiiii: ; @_ZN5aiter35fused_qk_rmsnorm_group_quant_kernelItN4opus5fp4_tELi512ELi16ELi8ELb0ELb1ELb0ELb1ELb0ELb0EEEvPT0_PvPT_S7_S7_PKS6_S9_S9_S9_S9_ffiiiiiiiiiiiii
; %bb.0:
	s_load_dwordx4 s[12:15], s[4:5], 0x50
	s_waitcnt lgkmcnt(0)
	s_cmp_ge_i32 s6, s14
	s_cbranch_scc1 .LBB904_12
; %bb.1:
	s_load_dwordx2 s[24:25], s[4:5], 0x30
	s_load_dwordx2 s[8:9], s[4:5], 0x48
	s_load_dwordx4 s[16:19], s[4:5], 0x60
	s_cmp_lg_u32 s7, 0
	s_cselect_b64 s[10:11], -1, 0
	s_cmp_eq_u32 s7, 0
	s_cselect_b64 vcc, -1, 0
	s_and_b64 s[0:1], vcc, exec
	s_waitcnt lgkmcnt(0)
	s_cselect_b32 s7, s15, s16
	s_add_i32 s0, s7, 1
	s_lshr_b32 s1, s0, 31
	s_add_i32 s0, s0, s1
	s_lshl_b32 s0, s0, 1
	v_lshlrev_b32_e32 v1, 4, v0
	s_and_b32 s22, s0, -4
	v_cmp_gt_i32_e64 s[2:3], s7, v1
	v_mov_b32_e32 v18, 0
	v_mov_b32_e32 v6, 0
	;; [unrolled: 1-line block ×17, first 2 shown]
	s_and_saveexec_b64 s[0:1], s[2:3]
	s_cbranch_execz .LBB904_3
; %bb.2:
	s_load_dwordx2 s[14:15], s[4:5], 0x28
	s_load_dwordx2 s[20:21], s[4:5], 0x40
	s_and_b64 s[26:27], vcc, exec
	s_cselect_b32 s17, s17, s18
	s_mov_b32 s30, s22
	s_waitcnt lgkmcnt(0)
	s_cselect_b32 s19, s15, s25
	s_cselect_b32 s23, s14, s24
	s_mul_hi_i32 s15, s17, s6
	s_mul_i32 s14, s17, s6
	s_lshl_b64 s[14:15], s[14:15], 1
	s_add_u32 s28, s23, s14
	s_addc_u32 s17, s19, s15
	s_and_b64 s[14:15], vcc, exec
	s_mov_b32 s23, 0x20000
	s_cselect_b32 s20, s20, s8
	s_cselect_b32 s14, s21, s9
	s_and_b32 s29, s17, 0xffff
	s_mov_b32 s31, s23
	v_lshlrev_b32_e32 v19, 5, v0
	s_and_b32 s21, s14, 0xffff
	buffer_load_dwordx4 v[14:17], v19, s[28:31], 0 offen
	buffer_load_dwordx4 v[10:13], v19, s[28:31], 16 offen
	;; [unrolled: 1-line block ×4, first 2 shown]
.LBB904_3:
	s_or_b64 exec, exec, s[0:1]
	v_mov_b32_e32 v19, 0
	v_mov_b32_e32 v20, 0
	;; [unrolled: 1-line block ×15, first 2 shown]
	s_and_saveexec_b64 s[0:1], s[2:3]
	s_cbranch_execz .LBB904_5
; %bb.4:
	s_waitcnt vmcnt(3)
	v_cvt_f32_u32_sdwa v18, v14 dst_sel:DWORD dst_unused:UNUSED_PAD src0_sel:WORD_0
	v_cvt_f32_u32_sdwa v19, v14 dst_sel:DWORD dst_unused:UNUSED_PAD src0_sel:WORD_1
	v_cvt_f32_u32_sdwa v20, v15 dst_sel:DWORD dst_unused:UNUSED_PAD src0_sel:WORD_0
	v_cvt_f32_u32_sdwa v21, v15 dst_sel:DWORD dst_unused:UNUSED_PAD src0_sel:WORD_1
	;; [unrolled: 2-line block ×4, first 2 shown]
	s_waitcnt vmcnt(2)
	v_cvt_f32_u32_sdwa v26, v10 dst_sel:DWORD dst_unused:UNUSED_PAD src0_sel:WORD_0
	v_cvt_f32_u32_sdwa v27, v10 dst_sel:DWORD dst_unused:UNUSED_PAD src0_sel:WORD_1
	v_cvt_f32_u32_sdwa v28, v11 dst_sel:DWORD dst_unused:UNUSED_PAD src0_sel:WORD_0
	v_cvt_f32_u32_sdwa v29, v11 dst_sel:DWORD dst_unused:UNUSED_PAD src0_sel:WORD_1
	;; [unrolled: 2-line block ×4, first 2 shown]
.LBB904_5:
	s_or_b64 exec, exec, s[0:1]
	s_waitcnt vmcnt(2)
	v_mul_f32_e32 v10, v19, v19
	v_fmac_f32_e32 v10, v18, v18
	v_fmac_f32_e32 v10, v20, v20
	;; [unrolled: 1-line block ×15, first 2 shown]
	v_and_b32_e32 v12, 63, v0
	v_cmp_eq_u32_e64 s[0:1], 63, v12
	v_mov_b32_dpp v11, v10 quad_perm:[1,0,3,2] row_mask:0xf bank_mask:0xf
	v_add_f32_e32 v10, v10, v11
	s_nop 1
	v_mov_b32_dpp v11, v10 quad_perm:[2,3,0,1] row_mask:0xf bank_mask:0xf
	v_add_f32_e32 v10, v10, v11
	s_nop 1
	v_mov_b32_dpp v11, v10 row_half_mirror row_mask:0xf bank_mask:0xf
	v_add_f32_e32 v10, v10, v11
	s_nop 1
	v_mov_b32_dpp v11, v10 row_mirror row_mask:0xf bank_mask:0xf
	v_add_f32_e32 v10, v10, v11
	s_nop 1
	v_mov_b32_dpp v11, v10 row_bcast:15 row_mask:0xf bank_mask:0xf
	v_add_f32_e32 v10, v10, v11
	s_nop 1
	v_mov_b32_dpp v11, v10 row_bcast:31 row_mask:0xf bank_mask:0xf
	s_and_saveexec_b64 s[14:15], s[0:1]
	s_cbranch_execz .LBB904_7
; %bb.6:
	v_add_f32_e32 v10, v10, v11
	v_lshrrev_b32_e32 v11, 4, v0
	v_and_b32_e32 v11, 60, v11
	ds_write_b32 v11, v10 offset:32
.LBB904_7:
	s_or_b64 exec, exec, s[14:15]
	v_and_b32_e32 v10, 7, v0
	v_lshlrev_b32_e32 v34, 2, v10
	s_waitcnt lgkmcnt(0)
	s_barrier
	ds_read_b32 v10, v34 offset:32
	s_load_dwordx2 s[14:15], s[4:5], 0x18
	s_waitcnt lgkmcnt(0)
	v_mov_b32_dpp v11, v10 quad_perm:[1,0,3,2] row_mask:0xf bank_mask:0xf
	v_add_f32_e32 v10, v10, v11
	s_nop 1
	v_mov_b32_dpp v11, v10 quad_perm:[2,3,0,1] row_mask:0xf bank_mask:0xf
	v_add_f32_e32 v10, v10, v11
	s_nop 1
	v_mov_b32_dpp v11, v10 row_half_mirror row_mask:0xf bank_mask:0xf
	s_and_saveexec_b64 s[20:21], s[2:3]
	s_cbranch_execz .LBB904_9
; %bb.8:
	v_cvt_f32_u32_e32 v12, s7
	v_add_f32_e32 v10, v10, v11
	v_mov_b32_e32 v14, s13
	v_mov_b32_e32 v15, s12
	v_div_scale_f32 v11, s[26:27], v12, v12, v10
	v_rcp_f32_e32 v13, v11
	v_cndmask_b32_e32 v14, v14, v15, vcc
	s_mov_b32 s7, 0x800000
	v_fma_f32 v15, -v11, v13, 1.0
	v_fmac_f32_e32 v13, v15, v13
	v_div_scale_f32 v15, vcc, v10, v12, v10
	v_mul_f32_e32 v16, v15, v13
	v_fma_f32 v17, -v11, v16, v15
	v_fmac_f32_e32 v16, v17, v13
	v_fma_f32 v11, -v11, v16, v15
	v_div_fmas_f32 v11, v11, v13, v16
	v_div_fixup_f32 v10, v11, v12, v10
	v_add_f32_e32 v10, v14, v10
	v_mul_f32_e32 v11, 0x4b800000, v10
	v_cmp_gt_f32_e32 vcc, s7, v10
	v_cndmask_b32_e32 v10, v10, v11, vcc
	v_rsq_f32_e32 v10, v10
	v_mul_f32_e32 v11, 0x45800000, v10
	v_cndmask_b32_e32 v10, v10, v11, vcc
	v_mov_b32_e32 v11, v10
	;;#ASMSTART
	v_pk_mul_f32 v[12:13], v[18:19], v[10:11]
	;;#ASMEND
	;;#ASMSTART
	v_pk_mul_f32 v[14:15], v[20:21], v[10:11]
	;;#ASMEND
	;; [unrolled: 3-line block ×8, first 2 shown]
	s_waitcnt vmcnt(1)
	v_cvt_f32_u32_sdwa v19, v6 dst_sel:DWORD dst_unused:UNUSED_PAD src0_sel:WORD_1
	v_cvt_f32_u32_sdwa v18, v6 dst_sel:DWORD dst_unused:UNUSED_PAD src0_sel:WORD_0
	v_cvt_f32_u32_sdwa v21, v7 dst_sel:DWORD dst_unused:UNUSED_PAD src0_sel:WORD_1
	v_cvt_f32_u32_sdwa v20, v7 dst_sel:DWORD dst_unused:UNUSED_PAD src0_sel:WORD_0
	;; [unrolled: 2-line block ×4, first 2 shown]
	;;#ASMSTART
	v_pk_mul_f32 v[18:19], v[12:13], v[18:19]
	;;#ASMEND
	;;#ASMSTART
	v_pk_mul_f32 v[20:21], v[14:15], v[20:21]
	;;#ASMEND
	;;#ASMSTART
	v_pk_mul_f32 v[22:23], v[16:17], v[6:7]
	;;#ASMEND
	;;#ASMSTART
	v_pk_mul_f32 v[24:25], v[24:25], v[32:33]
	;;#ASMEND
	s_waitcnt vmcnt(0)
	v_cvt_f32_u32_sdwa v7, v2 dst_sel:DWORD dst_unused:UNUSED_PAD src0_sel:WORD_1
	v_cvt_f32_u32_sdwa v6, v2 dst_sel:DWORD dst_unused:UNUSED_PAD src0_sel:WORD_0
	v_cvt_f32_u32_sdwa v9, v3 dst_sel:DWORD dst_unused:UNUSED_PAD src0_sel:WORD_1
	v_cvt_f32_u32_sdwa v8, v3 dst_sel:DWORD dst_unused:UNUSED_PAD src0_sel:WORD_0
	;; [unrolled: 2-line block ×4, first 2 shown]
	;;#ASMSTART
	v_pk_mul_f32 v[26:27], v[26:27], v[6:7]
	;;#ASMEND
	;;#ASMSTART
	v_pk_mul_f32 v[28:29], v[28:29], v[8:9]
	;;#ASMEND
	;; [unrolled: 3-line block ×4, first 2 shown]
.LBB904_9:
	s_or_b64 exec, exec, s[20:21]
	s_load_dwordx2 s[26:27], s[4:5], 0x7c
	s_mov_b64 s[20:21], -1
	s_and_b64 vcc, exec, s[10:11]
	s_cbranch_vccnz .LBB904_13
; %bb.10:
	s_andn2_b64 vcc, exec, s[20:21]
	s_cbranch_vccz .LBB904_16
.LBB904_11:
	s_cmp_lt_i32 s16, 1
	s_cbranch_scc0 .LBB904_19
.LBB904_12:
	s_endpgm
.LBB904_13:
	s_and_saveexec_b64 s[10:11], s[2:3]
	s_cbranch_execz .LBB904_15
; %bb.14:
	s_waitcnt lgkmcnt(0)
	s_mul_hi_i32 s21, s27, s6
	s_mul_i32 s20, s27, s6
	s_lshl_b64 s[20:21], s[20:21], 1
	s_add_u32 s20, s14, s20
	s_addc_u32 s7, s15, s21
	s_and_b32 s21, s7, 0xffff
	s_mov_b32 s7, 0x7060302
	s_mov_b32 s23, 0x20000
	s_waitcnt vmcnt(0)
	v_perm_b32 v5, v25, v24, s7
	v_perm_b32 v4, v23, v22, s7
	;; [unrolled: 1-line block ×4, first 2 shown]
	v_lshlrev_b32_e32 v6, 5, v0
	buffer_store_dwordx4 v[2:5], v6, s[20:23], 0 offen
	;;#ASMSTART
	s_nop 0
	;;#ASMEND
	s_nop 0
	v_perm_b32 v5, v33, v32, s7
	v_perm_b32 v4, v31, v30, s7
	;; [unrolled: 1-line block ×4, first 2 shown]
	buffer_store_dwordx4 v[2:5], v6, s[20:23], 16 offen
	;;#ASMSTART
	s_nop 0
	;;#ASMEND
.LBB904_15:
	s_or_b64 exec, exec, s[10:11]
	s_cbranch_execnz .LBB904_11
.LBB904_16:
	s_and_saveexec_b64 s[10:11], s[2:3]
	s_cbranch_execz .LBB904_18
; %bb.17:
	s_load_dwordx2 s[2:3], s[4:5], 0x10
	s_waitcnt lgkmcnt(0)
	s_mul_hi_i32 s21, s26, s6
	s_mul_i32 s20, s26, s6
	s_lshl_b64 s[20:21], s[20:21], 1
	s_mov_b32 s23, 0x20000
	s_add_u32 s20, s2, s20
	s_addc_u32 s2, s3, s21
	s_and_b32 s21, s2, 0xffff
	s_mov_b32 s2, 0x7060302
	s_waitcnt vmcnt(0)
	v_perm_b32 v5, v25, v24, s2
	v_perm_b32 v4, v23, v22, s2
	;; [unrolled: 1-line block ×4, first 2 shown]
	v_lshlrev_b32_e32 v6, 5, v0
	buffer_store_dwordx4 v[2:5], v6, s[20:23], 0 offen
	;;#ASMSTART
	s_nop 0
	;;#ASMEND
	s_nop 0
	v_perm_b32 v5, v33, v32, s2
	v_perm_b32 v4, v31, v30, s2
	v_perm_b32 v3, v29, v28, s2
	v_perm_b32 v2, v27, v26, s2
	buffer_store_dwordx4 v[2:5], v6, s[20:23], 16 offen
	;;#ASMSTART
	s_nop 0
	;;#ASMEND
.LBB904_18:
	s_or_b64 exec, exec, s[10:11]
	s_cmp_lt_i32 s16, 1
	s_cbranch_scc1 .LBB904_12
.LBB904_19:
	s_load_dword s2, s[4:5], 0x94
	s_waitcnt lgkmcnt(0)
	s_cmp_lg_u32 s2, 1
	s_cbranch_scc1 .LBB904_12
; %bb.20:
	s_lshl_b32 s2, s16, 1
	s_add_i32 s2, s2, 2
	v_cmp_gt_u32_e32 vcc, s16, v1
	s_and_b32 s10, s2, -4
	v_mov_b32_e32 v18, 0
	v_lshlrev_b32_e32 v1, 5, v0
	v_mov_b32_e32 v14, 0
	v_mov_b32_e32 v15, 0
	;; [unrolled: 1-line block ×8, first 2 shown]
	s_waitcnt vmcnt(1)
	v_mov_b32_e32 v6, 0
	v_mov_b32_e32 v7, 0
	;; [unrolled: 1-line block ×4, first 2 shown]
	s_waitcnt vmcnt(0)
	v_mov_b32_e32 v2, 0
	v_mov_b32_e32 v3, 0
	v_mov_b32_e32 v4, 0
	v_mov_b32_e32 v5, 0
	s_barrier
	s_and_saveexec_b64 s[2:3], vcc
	s_cbranch_execz .LBB904_22
; %bb.21:
	s_mul_hi_i32 s5, s18, s6
	s_mul_i32 s4, s18, s6
	s_and_b32 s9, s9, 0xffff
	s_lshl_b64 s[4:5], s[4:5], 1
	s_add_u32 s20, s24, s4
	s_mov_b32 s11, 0x20000
	s_addc_u32 s4, s25, s5
	s_and_b32 s21, s4, 0xffff
	s_mov_b32 s22, s10
	s_mov_b32 s23, s11
	buffer_load_dwordx4 v[14:17], v1, s[20:23], 0 offen
	buffer_load_dwordx4 v[10:13], v1, s[20:23], 16 offen
	;; [unrolled: 1-line block ×4, first 2 shown]
.LBB904_22:
	s_or_b64 exec, exec, s[2:3]
	v_mov_b32_e32 v19, 0
	v_mov_b32_e32 v32, 0
	;; [unrolled: 1-line block ×15, first 2 shown]
	s_and_saveexec_b64 s[2:3], vcc
	s_cbranch_execz .LBB904_24
; %bb.23:
	s_waitcnt vmcnt(3)
	v_cvt_f32_u32_sdwa v18, v14 dst_sel:DWORD dst_unused:UNUSED_PAD src0_sel:WORD_0
	v_cvt_f32_u32_sdwa v19, v14 dst_sel:DWORD dst_unused:UNUSED_PAD src0_sel:WORD_1
	v_cvt_f32_u32_sdwa v32, v15 dst_sel:DWORD dst_unused:UNUSED_PAD src0_sel:WORD_0
	v_cvt_f32_u32_sdwa v33, v15 dst_sel:DWORD dst_unused:UNUSED_PAD src0_sel:WORD_1
	;; [unrolled: 2-line block ×4, first 2 shown]
	s_waitcnt vmcnt(2)
	v_cvt_f32_u32_sdwa v26, v10 dst_sel:DWORD dst_unused:UNUSED_PAD src0_sel:WORD_0
	v_cvt_f32_u32_sdwa v27, v10 dst_sel:DWORD dst_unused:UNUSED_PAD src0_sel:WORD_1
	v_cvt_f32_u32_sdwa v24, v11 dst_sel:DWORD dst_unused:UNUSED_PAD src0_sel:WORD_0
	v_cvt_f32_u32_sdwa v25, v11 dst_sel:DWORD dst_unused:UNUSED_PAD src0_sel:WORD_1
	;; [unrolled: 2-line block ×4, first 2 shown]
.LBB904_24:
	s_or_b64 exec, exec, s[2:3]
	s_waitcnt vmcnt(2)
	v_mul_f32_e32 v10, v19, v19
	v_fmac_f32_e32 v10, v18, v18
	v_fmac_f32_e32 v10, v32, v32
	;; [unrolled: 1-line block ×15, first 2 shown]
	s_nop 1
	v_mov_b32_dpp v11, v10 quad_perm:[1,0,3,2] row_mask:0xf bank_mask:0xf
	v_add_f32_e32 v10, v10, v11
	s_nop 1
	v_mov_b32_dpp v11, v10 quad_perm:[2,3,0,1] row_mask:0xf bank_mask:0xf
	v_add_f32_e32 v10, v10, v11
	s_nop 1
	v_mov_b32_dpp v11, v10 row_half_mirror row_mask:0xf bank_mask:0xf
	v_add_f32_e32 v10, v10, v11
	s_nop 1
	v_mov_b32_dpp v11, v10 row_mirror row_mask:0xf bank_mask:0xf
	v_add_f32_e32 v10, v10, v11
	s_nop 1
	v_mov_b32_dpp v11, v10 row_bcast:15 row_mask:0xf bank_mask:0xf
	v_add_f32_e32 v10, v10, v11
	s_nop 1
	v_mov_b32_dpp v11, v10 row_bcast:31 row_mask:0xf bank_mask:0xf
	s_and_saveexec_b64 s[2:3], s[0:1]
	s_cbranch_execz .LBB904_26
; %bb.25:
	v_lshrrev_b32_e32 v0, 4, v0
	v_add_f32_e32 v10, v10, v11
	v_and_b32_e32 v0, 60, v0
	ds_write_b32 v0, v10
.LBB904_26:
	s_or_b64 exec, exec, s[2:3]
	s_waitcnt lgkmcnt(0)
	s_barrier
	ds_read_b32 v0, v34
	s_waitcnt lgkmcnt(0)
	s_nop 0
	v_mov_b32_dpp v10, v0 quad_perm:[1,0,3,2] row_mask:0xf bank_mask:0xf
	v_add_f32_e32 v0, v0, v10
	s_nop 1
	v_mov_b32_dpp v10, v0 quad_perm:[2,3,0,1] row_mask:0xf bank_mask:0xf
	v_add_f32_e32 v0, v0, v10
	s_nop 1
	v_mov_b32_dpp v10, v0 row_half_mirror row_mask:0xf bank_mask:0xf
	s_and_saveexec_b64 s[0:1], vcc
	s_cbranch_execz .LBB904_12
; %bb.27:
	v_cvt_f32_u32_e32 v11, s16
	v_add_f32_e32 v0, v0, v10
	s_mov_b32 s11, 0x20000
	v_div_scale_f32 v10, s[0:1], v11, v11, v0
	v_rcp_f32_e32 v12, v10
	v_div_scale_f32 v13, vcc, v0, v11, v0
	s_mov_b32 s0, 0x800000
	v_fma_f32 v14, -v10, v12, 1.0
	v_fmac_f32_e32 v12, v14, v12
	v_mul_f32_e32 v14, v13, v12
	v_fma_f32 v15, -v10, v14, v13
	v_fmac_f32_e32 v14, v15, v12
	v_fma_f32 v10, -v10, v14, v13
	v_div_fmas_f32 v10, v10, v12, v14
	v_div_fixup_f32 v0, v10, v11, v0
	v_add_f32_e32 v0, s13, v0
	v_mul_f32_e32 v10, 0x4b800000, v0
	v_cmp_gt_f32_e32 vcc, s0, v0
	v_cndmask_b32_e32 v0, v0, v10, vcc
	v_rsq_f32_e32 v0, v0
	s_mul_hi_i32 s1, s27, s6
	s_mul_i32 s0, s27, s6
	s_lshl_b64 s[0:1], s[0:1], 1
	v_mul_f32_e32 v10, 0x45800000, v0
	v_cndmask_b32_e32 v10, v0, v10, vcc
	v_mov_b32_e32 v11, v10
	s_add_u32 s8, s14, s0
	;;#ASMSTART
	v_pk_mul_f32 v[12:13], v[18:19], v[10:11]
	;;#ASMEND
	;;#ASMSTART
	v_pk_mul_f32 v[14:15], v[32:33], v[10:11]
	;;#ASMEND
	;; [unrolled: 3-line block ×8, first 2 shown]
	s_waitcnt vmcnt(1)
	v_cvt_f32_u32_sdwa v21, v6 dst_sel:DWORD dst_unused:UNUSED_PAD src0_sel:WORD_1
	v_cvt_f32_u32_sdwa v20, v6 dst_sel:DWORD dst_unused:UNUSED_PAD src0_sel:WORD_0
	v_cvt_f32_u32_sdwa v29, v7 dst_sel:DWORD dst_unused:UNUSED_PAD src0_sel:WORD_1
	v_cvt_f32_u32_sdwa v28, v7 dst_sel:DWORD dst_unused:UNUSED_PAD src0_sel:WORD_0
	;; [unrolled: 2-line block ×3, first 2 shown]
	s_addc_u32 s0, s15, s1
	v_cvt_f32_u32_sdwa v31, v9 dst_sel:DWORD dst_unused:UNUSED_PAD src0_sel:WORD_1
	v_cvt_f32_u32_sdwa v30, v9 dst_sel:DWORD dst_unused:UNUSED_PAD src0_sel:WORD_0
	;;#ASMSTART
	v_pk_mul_f32 v[8:9], v[12:13], v[20:21]
	;;#ASMEND
	;;#ASMSTART
	v_pk_mul_f32 v[12:13], v[14:15], v[28:29]
	;;#ASMEND
	;; [unrolled: 3-line block ×4, first 2 shown]
	s_waitcnt vmcnt(0)
	v_cvt_f32_u32_sdwa v17, v2 dst_sel:DWORD dst_unused:UNUSED_PAD src0_sel:WORD_1
	v_cvt_f32_u32_sdwa v16, v2 dst_sel:DWORD dst_unused:UNUSED_PAD src0_sel:WORD_0
	v_cvt_f32_u32_sdwa v19, v3 dst_sel:DWORD dst_unused:UNUSED_PAD src0_sel:WORD_1
	v_cvt_f32_u32_sdwa v18, v3 dst_sel:DWORD dst_unused:UNUSED_PAD src0_sel:WORD_0
	;; [unrolled: 2-line block ×3, first 2 shown]
	s_and_b32 s9, s0, 0xffff
	s_mov_b32 s0, 0x7060302
	v_cvt_f32_u32_sdwa v21, v5 dst_sel:DWORD dst_unused:UNUSED_PAD src0_sel:WORD_1
	v_cvt_f32_u32_sdwa v20, v5 dst_sel:DWORD dst_unused:UNUSED_PAD src0_sel:WORD_0
	;;#ASMSTART
	v_pk_mul_f32 v[16:17], v[26:27], v[16:17]
	;;#ASMEND
	;;#ASMSTART
	v_pk_mul_f32 v[18:19], v[24:25], v[18:19]
	;;#ASMEND
	;; [unrolled: 3-line block ×3, first 2 shown]
	v_perm_b32 v2, v9, v8, s0
	v_perm_b32 v3, v13, v12, s0
	;; [unrolled: 1-line block ×4, first 2 shown]
	;;#ASMSTART
	v_pk_mul_f32 v[10:11], v[10:11], v[20:21]
	;;#ASMEND
	buffer_store_dwordx4 v[2:5], v1, s[8:11], 0 offen
	;;#ASMSTART
	s_nop 0
	;;#ASMEND
	s_nop 0
	v_perm_b32 v2, v17, v16, s0
	v_perm_b32 v3, v19, v18, s0
	;; [unrolled: 1-line block ×4, first 2 shown]
	buffer_store_dwordx4 v[2:5], v1, s[8:11], 16 offen
	;;#ASMSTART
	s_nop 0
	;;#ASMEND
	s_endpgm
	.section	.rodata,"a",@progbits
	.p2align	6, 0x0
	.amdhsa_kernel _ZN5aiter35fused_qk_rmsnorm_group_quant_kernelItN4opus5fp4_tELi512ELi16ELi8ELb0ELb1ELb0ELb1ELb0ELb0EEEvPT0_PvPT_S7_S7_PKS6_S9_S9_S9_S9_ffiiiiiiiiiiiii
		.amdhsa_group_segment_fixed_size 64
		.amdhsa_private_segment_fixed_size 0
		.amdhsa_kernarg_size 400
		.amdhsa_user_sgpr_count 6
		.amdhsa_user_sgpr_private_segment_buffer 1
		.amdhsa_user_sgpr_dispatch_ptr 0
		.amdhsa_user_sgpr_queue_ptr 0
		.amdhsa_user_sgpr_kernarg_segment_ptr 1
		.amdhsa_user_sgpr_dispatch_id 0
		.amdhsa_user_sgpr_flat_scratch_init 0
		.amdhsa_user_sgpr_kernarg_preload_length 0
		.amdhsa_user_sgpr_kernarg_preload_offset 0
		.amdhsa_user_sgpr_private_segment_size 0
		.amdhsa_uses_dynamic_stack 0
		.amdhsa_system_sgpr_private_segment_wavefront_offset 0
		.amdhsa_system_sgpr_workgroup_id_x 1
		.amdhsa_system_sgpr_workgroup_id_y 1
		.amdhsa_system_sgpr_workgroup_id_z 0
		.amdhsa_system_sgpr_workgroup_info 0
		.amdhsa_system_vgpr_workitem_id 0
		.amdhsa_next_free_vgpr 35
		.amdhsa_next_free_sgpr 32
		.amdhsa_accum_offset 36
		.amdhsa_reserve_vcc 1
		.amdhsa_reserve_flat_scratch 0
		.amdhsa_float_round_mode_32 0
		.amdhsa_float_round_mode_16_64 0
		.amdhsa_float_denorm_mode_32 3
		.amdhsa_float_denorm_mode_16_64 3
		.amdhsa_dx10_clamp 1
		.amdhsa_ieee_mode 1
		.amdhsa_fp16_overflow 0
		.amdhsa_tg_split 0
		.amdhsa_exception_fp_ieee_invalid_op 0
		.amdhsa_exception_fp_denorm_src 0
		.amdhsa_exception_fp_ieee_div_zero 0
		.amdhsa_exception_fp_ieee_overflow 0
		.amdhsa_exception_fp_ieee_underflow 0
		.amdhsa_exception_fp_ieee_inexact 0
		.amdhsa_exception_int_div_zero 0
	.end_amdhsa_kernel
	.section	.text._ZN5aiter35fused_qk_rmsnorm_group_quant_kernelItN4opus5fp4_tELi512ELi16ELi8ELb0ELb1ELb0ELb1ELb0ELb0EEEvPT0_PvPT_S7_S7_PKS6_S9_S9_S9_S9_ffiiiiiiiiiiiii,"axG",@progbits,_ZN5aiter35fused_qk_rmsnorm_group_quant_kernelItN4opus5fp4_tELi512ELi16ELi8ELb0ELb1ELb0ELb1ELb0ELb0EEEvPT0_PvPT_S7_S7_PKS6_S9_S9_S9_S9_ffiiiiiiiiiiiii,comdat
.Lfunc_end904:
	.size	_ZN5aiter35fused_qk_rmsnorm_group_quant_kernelItN4opus5fp4_tELi512ELi16ELi8ELb0ELb1ELb0ELb1ELb0ELb0EEEvPT0_PvPT_S7_S7_PKS6_S9_S9_S9_S9_ffiiiiiiiiiiiii, .Lfunc_end904-_ZN5aiter35fused_qk_rmsnorm_group_quant_kernelItN4opus5fp4_tELi512ELi16ELi8ELb0ELb1ELb0ELb1ELb0ELb0EEEvPT0_PvPT_S7_S7_PKS6_S9_S9_S9_S9_ffiiiiiiiiiiiii
                                        ; -- End function
	.section	.AMDGPU.csdata,"",@progbits
; Kernel info:
; codeLenInByte = 2844
; NumSgprs: 36
; NumVgprs: 35
; NumAgprs: 0
; TotalNumVgprs: 35
; ScratchSize: 0
; MemoryBound: 0
; FloatMode: 240
; IeeeMode: 1
; LDSByteSize: 64 bytes/workgroup (compile time only)
; SGPRBlocks: 4
; VGPRBlocks: 4
; NumSGPRsForWavesPerEU: 36
; NumVGPRsForWavesPerEU: 35
; AccumOffset: 36
; Occupancy: 8
; WaveLimiterHint : 0
; COMPUTE_PGM_RSRC2:SCRATCH_EN: 0
; COMPUTE_PGM_RSRC2:USER_SGPR: 6
; COMPUTE_PGM_RSRC2:TRAP_HANDLER: 0
; COMPUTE_PGM_RSRC2:TGID_X_EN: 1
; COMPUTE_PGM_RSRC2:TGID_Y_EN: 1
; COMPUTE_PGM_RSRC2:TGID_Z_EN: 0
; COMPUTE_PGM_RSRC2:TIDIG_COMP_CNT: 0
; COMPUTE_PGM_RSRC3_GFX90A:ACCUM_OFFSET: 8
; COMPUTE_PGM_RSRC3_GFX90A:TG_SPLIT: 0
	.section	.text._ZN5aiter35fused_qk_rmsnorm_group_quant_kernelIDF16_DB8_Li512ELi16ELi8ELb1ELb1ELb1ELb0ELb0ELb0EEEvPT0_PvPT_S6_S6_PKS5_S8_S8_S8_S8_ffiiiiiiiiiiiii,"axG",@progbits,_ZN5aiter35fused_qk_rmsnorm_group_quant_kernelIDF16_DB8_Li512ELi16ELi8ELb1ELb1ELb1ELb0ELb0ELb0EEEvPT0_PvPT_S6_S6_PKS5_S8_S8_S8_S8_ffiiiiiiiiiiiii,comdat
	.protected	_ZN5aiter35fused_qk_rmsnorm_group_quant_kernelIDF16_DB8_Li512ELi16ELi8ELb1ELb1ELb1ELb0ELb0ELb0EEEvPT0_PvPT_S6_S6_PKS5_S8_S8_S8_S8_ffiiiiiiiiiiiii ; -- Begin function _ZN5aiter35fused_qk_rmsnorm_group_quant_kernelIDF16_DB8_Li512ELi16ELi8ELb1ELb1ELb1ELb0ELb0ELb0EEEvPT0_PvPT_S6_S6_PKS5_S8_S8_S8_S8_ffiiiiiiiiiiiii
	.globl	_ZN5aiter35fused_qk_rmsnorm_group_quant_kernelIDF16_DB8_Li512ELi16ELi8ELb1ELb1ELb1ELb0ELb0ELb0EEEvPT0_PvPT_S6_S6_PKS5_S8_S8_S8_S8_ffiiiiiiiiiiiii
	.p2align	8
	.type	_ZN5aiter35fused_qk_rmsnorm_group_quant_kernelIDF16_DB8_Li512ELi16ELi8ELb1ELb1ELb1ELb0ELb0ELb0EEEvPT0_PvPT_S6_S6_PKS5_S8_S8_S8_S8_ffiiiiiiiiiiiii,@function
_ZN5aiter35fused_qk_rmsnorm_group_quant_kernelIDF16_DB8_Li512ELi16ELi8ELb1ELb1ELb1ELb0ELb0ELb0EEEvPT0_PvPT_S6_S6_PKS5_S8_S8_S8_S8_ffiiiiiiiiiiiii: ; @_ZN5aiter35fused_qk_rmsnorm_group_quant_kernelIDF16_DB8_Li512ELi16ELi8ELb1ELb1ELb1ELb0ELb0ELb0EEEvPT0_PvPT_S6_S6_PKS5_S8_S8_S8_S8_ffiiiiiiiiiiiii
; %bb.0:
	s_load_dwordx8 s[20:27], s[4:5], 0x50
	s_waitcnt lgkmcnt(0)
	s_cmp_ge_i32 s6, s22
	s_cbranch_scc1 .LBB905_17
; %bb.1:
	s_cmp_lg_u32 s7, 0
	s_cselect_b64 s[10:11], -1, 0
	s_cmp_eq_u32 s7, 0
	s_cselect_b64 s[8:9], -1, 0
	s_and_b64 s[0:1], s[8:9], exec
	s_load_dwordx2 s[28:29], s[4:5], 0x48
	s_load_dwordx2 s[34:35], s[4:5], 0x30
	s_load_dwordx8 s[12:19], s[4:5], 0x70
	s_cselect_b32 s7, s23, s24
	s_add_i32 s0, s7, 1
	s_lshr_b32 s1, s0, 31
	s_add_i32 s0, s0, s1
	s_lshl_b32 s0, s0, 1
	v_lshlrev_b32_e32 v1, 4, v0
	s_and_b32 s38, s0, -4
	v_cmp_gt_i32_e64 s[0:1], s7, v1
	v_mov_b32_e32 v76, 0
	v_mov_b32_e32 v77, 0
	;; [unrolled: 1-line block ×16, first 2 shown]
	s_and_saveexec_b64 s[2:3], s[0:1]
	s_cbranch_execz .LBB905_3
; %bb.2:
	s_waitcnt lgkmcnt(0)
	s_load_dwordx2 s[18:19], s[4:5], 0x28
	s_load_dwordx2 s[30:31], s[4:5], 0x40
	s_and_b64 s[36:37], s[8:9], exec
	s_cselect_b32 s22, s25, s26
	s_mov_b32 s39, 0x20000
	s_waitcnt lgkmcnt(0)
	s_cselect_b32 s25, s19, s35
	s_cselect_b32 s33, s18, s34
	s_mul_hi_i32 s19, s22, s6
	s_mul_i32 s18, s22, s6
	s_lshl_b64 s[18:19], s[18:19], 1
	s_add_u32 s40, s33, s18
	s_addc_u32 s22, s25, s19
	s_and_b64 s[18:19], s[8:9], exec
	s_cselect_b32 s36, s30, s28
	s_cselect_b32 s18, s31, s29
	s_and_b32 s41, s22, 0xffff
	s_mov_b32 s42, s38
	s_mov_b32 s43, s39
	v_lshlrev_b32_e32 v2, 5, v0
	s_and_b32 s37, s18, 0xffff
	buffer_load_dwordx4 v[80:83], v2, s[40:43], 0 offen
	buffer_load_dwordx4 v[84:87], v2, s[40:43], 16 offen
	;; [unrolled: 1-line block ×4, first 2 shown]
.LBB905_3:
	s_or_b64 exec, exec, s[2:3]
	s_and_b64 vcc, exec, s[10:11]
	s_cbranch_vccz .LBB905_7
; %bb.4:
	v_mov_b32_e32 v89, 0
	v_mov_b32_e32 v88, 0
	;; [unrolled: 1-line block ×16, first 2 shown]
	s_and_saveexec_b64 s[2:3], s[0:1]
	s_cbranch_execz .LBB905_6
; %bb.5:
	s_waitcnt vmcnt(3)
	v_cvt_f32_f16_sdwa v49, v80 dst_sel:DWORD dst_unused:UNUSED_PAD src0_sel:WORD_1
	v_cvt_f32_f16_e32 v48, v80
	v_cvt_f32_f16_sdwa v35, v81 dst_sel:DWORD dst_unused:UNUSED_PAD src0_sel:WORD_1
	v_cvt_f32_f16_e32 v34, v81
	;; [unrolled: 2-line block ×4, first 2 shown]
	s_waitcnt vmcnt(2)
	v_cvt_f32_f16_sdwa v65, v84 dst_sel:DWORD dst_unused:UNUSED_PAD src0_sel:WORD_1
	v_cvt_f32_f16_e32 v64, v84
	v_cvt_f32_f16_sdwa v19, v85 dst_sel:DWORD dst_unused:UNUSED_PAD src0_sel:WORD_1
	v_cvt_f32_f16_e32 v18, v85
	;; [unrolled: 2-line block ×4, first 2 shown]
.LBB905_6:
	s_or_b64 exec, exec, s[2:3]
	s_cbranch_execz .LBB905_8
	s_branch .LBB905_11
.LBB905_7:
                                        ; implicit-def: $vgpr32_vgpr33_vgpr34_vgpr35_vgpr36_vgpr37_vgpr38_vgpr39_vgpr40_vgpr41_vgpr42_vgpr43_vgpr44_vgpr45_vgpr46_vgpr47
                                        ; implicit-def: $vgpr48_vgpr49_vgpr50_vgpr51_vgpr52_vgpr53_vgpr54_vgpr55_vgpr56_vgpr57_vgpr58_vgpr59_vgpr60_vgpr61_vgpr62_vgpr63
                                        ; implicit-def: $vgpr18_vgpr19_vgpr20_vgpr21_vgpr22_vgpr23_vgpr24_vgpr25_vgpr26_vgpr27_vgpr28_vgpr29_vgpr30_vgpr31_vgpr32_vgpr33
                                        ; implicit-def: $vgpr50_vgpr51_vgpr52_vgpr53_vgpr54_vgpr55_vgpr56_vgpr57_vgpr58_vgpr59_vgpr60_vgpr61_vgpr62_vgpr63_vgpr64_vgpr65
                                        ; implicit-def: $vgpr89
                                        ; implicit-def: $vgpr8_vgpr9_vgpr10_vgpr11_vgpr12_vgpr13_vgpr14_vgpr15_vgpr16_vgpr17_vgpr18_vgpr19_vgpr20_vgpr21_vgpr22_vgpr23
                                        ; implicit-def: $vgpr56_vgpr57_vgpr58_vgpr59_vgpr60_vgpr61_vgpr62_vgpr63_vgpr64_vgpr65_vgpr66_vgpr67_vgpr68_vgpr69_vgpr70_vgpr71
                                        ; implicit-def: $vgpr2_vgpr3_vgpr4_vgpr5_vgpr6_vgpr7_vgpr8_vgpr9_vgpr10_vgpr11_vgpr12_vgpr13_vgpr14_vgpr15_vgpr16_vgpr17
.LBB905_8:
	v_mov_b32_e32 v89, 0
	v_mov_b32_e32 v88, 0
	;; [unrolled: 1-line block ×16, first 2 shown]
	s_and_saveexec_b64 s[2:3], s[0:1]
	s_cbranch_execz .LBB905_10
; %bb.9:
	s_waitcnt lgkmcnt(0)
	s_load_dwordx2 s[18:19], s[4:5], 0x38
	s_mul_hi_i32 s31, s27, s6
	s_mul_i32 s30, s27, s6
	s_lshl_b64 s[30:31], s[30:31], 1
	s_mov_b32 s39, 0x20000
	s_waitcnt lgkmcnt(0)
	s_add_u32 s36, s18, s30
	s_addc_u32 s18, s19, s31
	s_and_b32 s37, s18, 0xffff
	v_lshlrev_b32_e32 v38, 5, v0
	buffer_load_dwordx4 v[6:9], v38, s[36:39], 16 offen
	buffer_load_dwordx4 v[10:13], v38, s[36:39], 0 offen
	s_waitcnt vmcnt(5)
	v_cvt_f32_f16_sdwa v23, v82 dst_sel:DWORD dst_unused:UNUSED_PAD src0_sel:WORD_1
	v_cvt_f32_f16_e32 v22, v82
	v_cvt_f32_f16_sdwa v25, v83 dst_sel:DWORD dst_unused:UNUSED_PAD src0_sel:WORD_1
	v_cvt_f32_f16_e32 v24, v83
	;; [unrolled: 2-line block ×4, first 2 shown]
	s_load_dwordx2 s[18:19], s[4:5], 0x20
	s_waitcnt vmcnt(4)
	v_cvt_f32_f16_sdwa v3, v84 dst_sel:DWORD dst_unused:UNUSED_PAD src0_sel:WORD_1
	v_cvt_f32_f16_e32 v2, v84
	v_cvt_f32_f16_sdwa v5, v85 dst_sel:DWORD dst_unused:UNUSED_PAD src0_sel:WORD_1
	v_cvt_f32_f16_e32 v4, v85
	;; [unrolled: 2-line block ×4, first 2 shown]
	s_mul_hi_i32 s31, s17, s6
	s_mul_i32 s30, s17, s6
	s_lshl_b64 s[30:31], s[30:31], 1
	s_waitcnt lgkmcnt(0)
	s_add_u32 s36, s18, s30
	s_addc_u32 s17, s19, s31
	s_and_b32 s37, s17, 0xffff
	s_waitcnt vmcnt(1)
	v_cvt_f32_f16_e32 v26, v6
	v_cvt_f32_f16_sdwa v27, v6 dst_sel:DWORD dst_unused:UNUSED_PAD src0_sel:WORD_1
	v_cvt_f32_f16_e32 v28, v7
	v_cvt_f32_f16_sdwa v29, v7 dst_sel:DWORD dst_unused:UNUSED_PAD src0_sel:WORD_1
	;; [unrolled: 2-line block ×4, first 2 shown]
	s_waitcnt vmcnt(0)
	v_cvt_f32_f16_e32 v6, v12
	v_cvt_f32_f16_sdwa v7, v12 dst_sel:DWORD dst_unused:UNUSED_PAD src0_sel:WORD_1
	v_cvt_f32_f16_e32 v8, v13
	v_cvt_f32_f16_sdwa v9, v13 dst_sel:DWORD dst_unused:UNUSED_PAD src0_sel:WORD_1
	;; [unrolled: 2-line block ×4, first 2 shown]
	v_pk_add_f32 v[54:55], v[22:23], v[6:7]
	v_pk_add_f32 v[24:25], v[24:25], v[8:9]
	v_cvt_f16_f32_e32 v6, v55
	v_cvt_f16_f32_e32 v7, v25
	;; [unrolled: 1-line block ×4, first 2 shown]
	v_pk_add_f32 v[34:35], v[20:21], v[10:11]
	v_pk_add_f32 v[48:49], v[18:19], v[36:37]
	v_pack_b32_f16 v9, v8, v7
	v_pack_b32_f16 v8, v12, v6
	v_cvt_f16_f32_e32 v6, v35
	v_cvt_f16_f32_e32 v7, v34
	;; [unrolled: 1-line block ×3, first 2 shown]
	v_pk_add_f32 v[88:89], v[16:17], v[32:33]
	v_pk_add_f32 v[14:15], v[14:15], v[30:31]
	v_pack_b32_f16 v7, v7, v6
	v_cvt_f16_f32_e32 v6, v49
	v_pk_add_f32 v[18:19], v[4:5], v[28:29]
	v_pk_add_f32 v[64:65], v[2:3], v[26:27]
	v_cvt_f16_f32_e32 v4, v18
	v_pack_b32_f16 v6, v10, v6
	buffer_store_dwordx4 v[6:9], v38, s[36:39], 0 offen
	v_cvt_f16_f32_e32 v5, v19
	v_cvt_f16_f32_e32 v6, v14
	;; [unrolled: 1-line block ×7, first 2 shown]
	v_pack_b32_f16 v7, v7, v8
	v_pack_b32_f16 v6, v6, v9
	;; [unrolled: 1-line block ×4, first 2 shown]
	;;#ASMSTART
	s_nop 0
	;;#ASMEND
	buffer_store_dwordx4 v[4:7], v38, s[36:39], 16 offen
	;;#ASMSTART
	s_nop 0
	;;#ASMEND
.LBB905_10:
	s_or_b64 exec, exec, s[2:3]
.LBB905_11:
	v_mul_f32_e32 v2, v49, v49
	v_fmac_f32_e32 v2, v48, v48
	v_fmac_f32_e32 v2, v34, v34
	;; [unrolled: 1-line block ×15, first 2 shown]
	s_nop 1
	v_mov_b32_dpp v3, v2 quad_perm:[1,0,3,2] row_mask:0xf bank_mask:0xf
	v_add_f32_e32 v2, v2, v3
	s_nop 1
	v_mov_b32_dpp v3, v2 quad_perm:[2,3,0,1] row_mask:0xf bank_mask:0xf
	v_add_f32_e32 v2, v2, v3
	s_nop 1
	v_mov_b32_dpp v3, v2 row_half_mirror row_mask:0xf bank_mask:0xf
	v_add_f32_e32 v2, v2, v3
	s_nop 1
	v_mov_b32_dpp v3, v2 row_mirror row_mask:0xf bank_mask:0xf
	v_add_f32_e32 v2, v2, v3
	s_nop 1
	v_mov_b32_dpp v3, v2 row_bcast:15 row_mask:0xf bank_mask:0xf
	v_add_f32_e32 v2, v2, v3
	v_and_b32_e32 v3, 63, v0
	v_cmp_eq_u32_e64 s[2:3], 63, v3
	s_nop 0
	v_mov_b32_dpp v3, v2 row_bcast:31 row_mask:0xf bank_mask:0xf
	s_waitcnt lgkmcnt(0)
	s_and_saveexec_b64 s[18:19], s[2:3]
	s_cbranch_execz .LBB905_13
; %bb.12:
	v_add_f32_e32 v2, v2, v3
	v_lshrrev_b32_e32 v3, 4, v0
	v_and_b32_e32 v3, 60, v3
	ds_write_b32 v3, v2 offset:32
.LBB905_13:
	s_or_b64 exec, exec, s[18:19]
	v_and_b32_e32 v2, 7, v0
	v_lshlrev_b32_e32 v36, 2, v2
	s_waitcnt lgkmcnt(0)
	s_barrier
	ds_read_b32 v3, v36 offset:32
	s_load_dwordx2 s[18:19], s[4:5], 0x18
	s_waitcnt lgkmcnt(0)
	v_mov_b32_dpp v4, v3 quad_perm:[1,0,3,2] row_mask:0xf bank_mask:0xf
	v_add_f32_e32 v3, v3, v4
	s_nop 1
	v_mov_b32_dpp v4, v3 quad_perm:[2,3,0,1] row_mask:0xf bank_mask:0xf
	v_add_f32_e32 v3, v3, v4
	s_nop 1
	v_mov_b32_dpp v4, v3 row_half_mirror row_mask:0xf bank_mask:0xf
	s_and_saveexec_b64 s[30:31], s[0:1]
	s_cbranch_execnz .LBB905_18
; %bb.14:
	s_or_b64 exec, exec, s[30:31]
	s_mov_b64 s[8:9], -1
	s_and_b64 vcc, exec, s[10:11]
	s_cbranch_vccnz .LBB905_19
.LBB905_15:
	s_andn2_b64 vcc, exec, s[8:9]
	s_cbranch_vccz .LBB905_22
.LBB905_16:
	s_cmp_lt_i32 s24, 1
	s_cbranch_scc0 .LBB905_31
.LBB905_17:
	s_endpgm
.LBB905_18:
	v_add_f32_e32 v3, v3, v4
	v_cvt_f32_u32_e32 v4, s7
	s_mov_b32 s7, 0x800000
	s_waitcnt vmcnt(1)
	v_cvt_f32_f16_sdwa v21, v76 dst_sel:DWORD dst_unused:UNUSED_PAD src0_sel:WORD_1
	v_cvt_f32_f16_e32 v20, v76
	v_div_scale_f32 v5, s[36:37], v4, v4, v3
	v_rcp_f32_e32 v6, v5
	v_pk_add_f32 v[20:21], v[20:21], 1.0 op_sel_hi:[1,0]
	v_cvt_f32_f16_sdwa v23, v79 dst_sel:DWORD dst_unused:UNUSED_PAD src0_sel:WORD_1
	v_cvt_f32_f16_e32 v22, v79
	v_fma_f32 v7, -v5, v6, 1.0
	v_fmac_f32_e32 v6, v7, v6
	v_div_scale_f32 v7, vcc, v3, v4, v3
	v_mul_f32_e32 v8, v7, v6
	v_fma_f32 v9, -v5, v8, v7
	v_fmac_f32_e32 v8, v9, v6
	v_fma_f32 v5, -v5, v8, v7
	v_div_fmas_f32 v5, v5, v6, v8
	v_div_fixup_f32 v3, v5, v4, v3
	v_mov_b32_e32 v4, s21
	v_mov_b32_e32 v5, s20
	v_cndmask_b32_e64 v4, v4, v5, s[8:9]
	v_add_f32_e32 v3, v4, v3
	v_mul_f32_e32 v4, 0x4b800000, v3
	v_cmp_gt_f32_e32 vcc, s7, v3
	v_cndmask_b32_e32 v3, v3, v4, vcc
	v_rsq_f32_e32 v3, v3
	s_waitcnt vmcnt(0)
	v_cvt_f32_f16_sdwa v27, v75 dst_sel:DWORD dst_unused:UNUSED_PAD src0_sel:WORD_1
	v_cvt_f32_f16_e32 v26, v75
	v_mul_f32_e32 v4, 0x45800000, v3
	v_cndmask_b32_e32 v4, v3, v4, vcc
	v_mov_b32_e32 v5, v4
	;;#ASMSTART
	v_pk_mul_f32 v[6:7], v[48:49], v[4:5]
	;;#ASMEND
	;;#ASMSTART
	v_pk_mul_f32 v[8:9], v[34:35], v[4:5]
	;;#ASMEND
	;; [unrolled: 3-line block ×9, first 2 shown]
	v_cvt_f32_f16_sdwa v7, v77 dst_sel:DWORD dst_unused:UNUSED_PAD src0_sel:WORD_1
	v_cvt_f32_f16_e32 v6, v77
	v_cvt_f32_f16_sdwa v21, v78 dst_sel:DWORD dst_unused:UNUSED_PAD src0_sel:WORD_1
	v_cvt_f32_f16_e32 v20, v78
	v_cvt_f32_f16_sdwa v25, v74 dst_sel:DWORD dst_unused:UNUSED_PAD src0_sel:WORD_1
	v_pk_add_f32 v[6:7], v[6:7], 1.0 op_sel_hi:[1,0]
	;;#ASMSTART
	v_pk_mul_f32 v[34:35], v[8:9], v[6:7]
	;;#ASMEND
	v_pk_add_f32 v[6:7], v[20:21], 1.0 op_sel_hi:[1,0]
	v_pk_add_f32 v[8:9], v[22:23], 1.0 op_sel_hi:[1,0]
	v_cvt_f32_f16_sdwa v21, v72 dst_sel:DWORD dst_unused:UNUSED_PAD src0_sel:WORD_1
	v_cvt_f32_f16_e32 v20, v72
	v_cvt_f32_f16_sdwa v23, v73 dst_sel:DWORD dst_unused:UNUSED_PAD src0_sel:WORD_1
	v_cvt_f32_f16_e32 v22, v73
	v_cvt_f32_f16_e32 v24, v74
	v_pk_add_f32 v[20:21], v[20:21], 1.0 op_sel_hi:[1,0]
	v_pk_add_f32 v[26:27], v[26:27], 1.0 op_sel_hi:[1,0]
	;; [unrolled: 1-line block ×4, first 2 shown]
	;;#ASMSTART
	v_pk_mul_f32 v[54:55], v[10:11], v[6:7]
	;;#ASMEND
	;;#ASMSTART
	v_pk_mul_f32 v[24:25], v[12:13], v[8:9]
	;;#ASMEND
	;; [unrolled: 3-line block ×6, first 2 shown]
	s_or_b64 exec, exec, s[30:31]
	s_mov_b64 s[8:9], -1
	s_and_b64 vcc, exec, s[10:11]
	s_cbranch_vccz .LBB905_15
.LBB905_19:
	s_and_saveexec_b64 s[8:9], s[0:1]
	s_cbranch_execz .LBB905_21
; %bb.20:
	v_cvt_f16_f32_e32 v3, v54
	v_cvt_f16_f32_e32 v4, v24
	;; [unrolled: 1-line block ×4, first 2 shown]
	s_mul_hi_i32 s11, s16, s6
	s_mul_i32 s10, s16, s6
	v_pack_b32_f16 v7, v4, v5
	v_pack_b32_f16 v6, v3, v6
	v_cvt_f16_f32_e32 v3, v34
	v_cvt_f16_f32_e32 v4, v35
	s_lshl_b64 s[10:11], s[10:11], 1
	s_add_u32 s36, s18, s10
	s_addc_u32 s7, s19, s11
	v_pack_b32_f16 v5, v3, v4
	v_cvt_f16_f32_e32 v3, v48
	v_cvt_f16_f32_e32 v4, v49
	s_and_b32 s37, s7, 0xffff
	s_mov_b32 s39, 0x20000
	v_cvt_f16_f32_e32 v8, v15
	v_pack_b32_f16 v4, v3, v4
	v_lshlrev_b32_e32 v3, 5, v0
	buffer_store_dwordx4 v[4:7], v3, s[36:39], 0 offen
	;;#ASMSTART
	s_nop 0
	;;#ASMEND
	s_nop 0
	v_cvt_f16_f32_e32 v4, v14
	v_cvt_f16_f32_e32 v5, v88
	v_cvt_f16_f32_e32 v6, v89
	v_pack_b32_f16 v7, v5, v6
	v_pack_b32_f16 v6, v4, v8
	v_cvt_f16_f32_e32 v4, v18
	v_cvt_f16_f32_e32 v5, v19
	;; [unrolled: 1-line block ×3, first 2 shown]
	v_pack_b32_f16 v5, v4, v5
	v_cvt_f16_f32_e32 v4, v64
	v_pack_b32_f16 v4, v4, v8
	buffer_store_dwordx4 v[4:7], v3, s[36:39], 16 offen
	;;#ASMSTART
	s_nop 0
	;;#ASMEND
.LBB905_21:
	s_or_b64 exec, exec, s[8:9]
	s_cbranch_execnz .LBB905_16
.LBB905_22:
	v_mov_b32_e32 v3, 0
	s_and_saveexec_b64 s[8:9], s[0:1]
	s_cbranch_execz .LBB905_24
; %bb.23:
	v_cvt_f16_f32_e32 v3, v54
	v_cvt_f16_f32_e32 v4, v24
	;; [unrolled: 1-line block ×4, first 2 shown]
	s_load_dwordx2 s[10:11], s[4:5], 0x10
	s_mul_hi_i32 s31, s15, s6
	v_pack_b32_f16 v7, v4, v5
	v_pack_b32_f16 v6, v3, v6
	v_cvt_f16_f32_e32 v3, v34
	v_cvt_f16_f32_e32 v4, v35
	s_mul_i32 s30, s15, s6
	s_lshl_b64 s[30:31], s[30:31], 1
	s_waitcnt lgkmcnt(0)
	s_add_u32 s36, s10, s30
	v_pack_b32_f16 v5, v3, v4
	v_cvt_f16_f32_e32 v3, v48
	v_cvt_f16_f32_e32 v4, v49
	s_addc_u32 s7, s11, s31
	s_and_b32 s37, s7, 0xffff
	s_mov_b32 s39, 0x20000
	v_pack_b32_f16 v4, v3, v4
	v_lshlrev_b32_e32 v3, 5, v0
	buffer_store_dwordx4 v[4:7], v3, s[36:39], 0 offen
	v_cvt_f16_f32_e32 v8, v15
	v_cvt_f16_f32_e32 v4, v14
	;; [unrolled: 1-line block ×4, first 2 shown]
	;;#ASMSTART
	s_nop 0
	;;#ASMEND
	v_pack_b32_f16 v7, v5, v6
	v_pack_b32_f16 v6, v4, v8
	v_cvt_f16_f32_e32 v4, v18
	v_cvt_f16_f32_e32 v5, v19
	;; [unrolled: 1-line block ×3, first 2 shown]
	v_pack_b32_f16 v5, v4, v5
	v_cvt_f16_f32_e32 v4, v64
	v_pack_b32_f16 v4, v4, v8
	buffer_store_dwordx4 v[4:7], v3, s[36:39], 16 offen
	v_mov_b32_e32 v3, 0x2edbe6ff
	;;#ASMSTART
	s_nop 0
	;;#ASMEND
.LBB905_24:
	s_or_b64 exec, exec, s[8:9]
	s_and_saveexec_b64 s[8:9], s[0:1]
	s_cbranch_execz .LBB905_26
; %bb.25:
	v_and_b32_e32 v4, 0x7fffffff, v48
	v_and_b32_e32 v5, 0x7fffffff, v49
	;;#ASMSTART
	v_max3_f32 v3, v3, v4, v5

	;;#ASMEND
	v_and_b32_e32 v4, 0x7fffffff, v34
	v_and_b32_e32 v5, 0x7fffffff, v35
	;;#ASMSTART
	v_max3_f32 v3, v3, v4, v5

	;;#ASMEND
	;; [unrolled: 6-line block ×8, first 2 shown]
.LBB905_26:
	s_or_b64 exec, exec, s[8:9]
	;;#ASMSTART
	v_max_f32 v4, v3, v3 quad_perm:[1,0,3,2] row_mask:0xf bank_mask:0xf bound_ctrl:1
	;;#ASMEND
	;;#ASMSTART
	v_max_f32 v3, v4, v4 quad_perm:[2,3,0,1] row_mask:0xf bank_mask:0xf bound_ctrl:1
	;;#ASMEND
	v_cmp_eq_u32_e32 vcc, 0, v2
	v_cmp_gt_i32_e64 s[8:9], s23, v1
	;;#ASMSTART
	v_max_f32 v4, v3, v3 row_half_mirror row_mask:0xf bank_mask:0xf bound_ctrl:1
	;;#ASMEND
	v_mul_f32_e32 v3, 0x3b124925, v4
	s_and_b64 s[10:11], vcc, s[8:9]
	s_and_saveexec_b64 s[8:9], s[10:11]
	s_cbranch_execz .LBB905_28
; %bb.27:
	s_load_dwordx2 s[10:11], s[4:5], 0x8
	v_lshrrev_b32_e32 v2, 3, v0
	s_mul_hi_i32 s31, s13, s6
	s_mul_i32 s30, s13, s6
	v_mad_i64_i32 v[4:5], s[14:15], s14, v2, 0
	s_lshl_b64 s[14:15], s[30:31], 2
	s_waitcnt lgkmcnt(0)
	s_add_u32 s7, s10, s14
	s_addc_u32 s10, s11, s15
	v_lshlrev_b64 v[4:5], 2, v[4:5]
	v_mov_b32_e32 v2, s10
	v_add_co_u32_e32 v4, vcc, s7, v4
	v_addc_co_u32_e32 v5, vcc, v2, v5, vcc
	global_store_dword v[4:5], v3, off
.LBB905_28:
	s_or_b64 exec, exec, s[8:9]
	;;#ASMSTART
	v_rcp_f32 v2, v3
	;;#ASMEND
	s_and_saveexec_b64 s[14:15], s[0:1]
	s_cbranch_execz .LBB905_30
; %bb.29:
	v_mov_b32_e32 v3, v2
	;;#ASMSTART
	v_pk_mul_f32 v[4:5], v[48:49], v[2:3]
	;;#ASMEND
	v_mov_b32_e32 v10, 0xc3e00000
	v_mov_b32_e32 v11, 0x43e00000
	;;#ASMSTART
	v_med3_f32 v4, v4, v10, v11
v_med3_f32 v5, v5, v10, v11
v_cvt_pk_fp8_f32 v6, v4, v5
	;;#ASMEND
	;;#ASMSTART
	v_pk_mul_f32 v[4:5], v[34:35], v[2:3]
	;;#ASMEND
	;;#ASMSTART
	v_med3_f32 v4, v4, v10, v11
v_med3_f32 v5, v5, v10, v11
v_cvt_pk_fp8_f32 v7, v4, v5
	;;#ASMEND
	;;#ASMSTART
	v_pk_mul_f32 v[4:5], v[54:55], v[2:3]
	;;#ASMEND
	;;#ASMSTART
	v_med3_f32 v4, v4, v10, v11
v_med3_f32 v5, v5, v10, v11
v_cvt_pk_fp8_f32 v8, v4, v5
	;;#ASMEND
	;;#ASMSTART
	v_pk_mul_f32 v[4:5], v[24:25], v[2:3]
	;;#ASMEND
	;;#ASMSTART
	v_med3_f32 v4, v4, v10, v11
v_med3_f32 v5, v5, v10, v11
v_cvt_pk_fp8_f32 v9, v4, v5
	;;#ASMEND
	s_mov_b32 s0, 0x5040100
	v_perm_b32 v4, v7, v6, s0
	s_mov_b32 s0, 0x1060504
	v_perm_b32 v4, v4, v7, s0
	s_load_dwordx2 s[0:1], s[4:5], 0x0
	s_mov_b32 s7, 0x1000504
	;;#ASMSTART
	v_pk_mul_f32 v[6:7], v[64:65], v[2:3]
	;;#ASMEND
	v_perm_b32 v5, v8, v9, s7
	s_mul_i32 s8, s12, s6
	;;#ASMSTART
	v_med3_f32 v6, v6, v10, v11
v_med3_f32 v7, v7, v10, v11
v_cvt_pk_fp8_f32 v8, v6, v7
	;;#ASMEND
	s_mul_hi_i32 s9, s12, s6
	s_waitcnt lgkmcnt(0)
	s_add_u32 s8, s0, s8
	;;#ASMSTART
	v_pk_mul_f32 v[6:7], v[18:19], v[2:3]
	;;#ASMEND
	s_addc_u32 s0, s1, s9
	s_add_i32 s1, s23, 3
	;;#ASMSTART
	v_med3_f32 v6, v6, v10, v11
v_med3_f32 v7, v7, v10, v11
v_cvt_pk_fp8_f32 v9, v6, v7
	;;#ASMEND
	s_ashr_i32 s9, s1, 31
	v_perm_b32 v6, v8, v9, s7
	;;#ASMSTART
	v_pk_mul_f32 v[8:9], v[14:15], v[2:3]
	;;#ASMEND
	v_mov_b32_e32 v7, v9
	s_lshr_b32 s9, s9, 30
	;;#ASMSTART
	v_med3_f32 v8, v8, v10, v11
v_med3_f32 v7, v7, v10, v11
v_cvt_pk_fp8_f32 v9, v8, v7
	;;#ASMEND
	;;#ASMSTART
	v_pk_mul_f32 v[2:3], v[88:89], v[2:3]
	;;#ASMEND
	s_add_i32 s1, s1, s9
	;;#ASMSTART
	v_med3_f32 v2, v2, v10, v11
v_med3_f32 v3, v3, v10, v11
v_cvt_pk_fp8_f32 v7, v2, v3
	;;#ASMEND
	s_and_b32 s10, s1, -4
	s_and_b32 s9, s0, 0xffff
	s_mov_b32 s11, 0x20000
	v_perm_b32 v7, v9, v7, s7
	buffer_store_dwordx4 v[4:7], v1, s[8:11], 0 offen
	;;#ASMSTART
	s_nop 0
	;;#ASMEND
.LBB905_30:
	s_or_b64 exec, exec, s[14:15]
	s_cmp_lt_i32 s24, 1
	s_cbranch_scc1 .LBB905_17
.LBB905_31:
	s_load_dword s0, s[4:5], 0x94
	s_waitcnt lgkmcnt(0)
	s_cmp_lg_u32 s0, 1
	s_cbranch_scc1 .LBB905_17
; %bb.32:
	s_lshl_b32 s0, s24, 1
	s_add_i32 s0, s0, 2
	v_cmp_gt_u32_e32 vcc, s24, v1
	s_and_b32 s30, s0, -4
	v_mov_b32_e32 v18, 0
	v_lshlrev_b32_e32 v1, 5, v0
	v_mov_b32_e32 v14, 0
	v_mov_b32_e32 v15, 0
	;; [unrolled: 1-line block ×16, first 2 shown]
	s_barrier
	s_and_saveexec_b64 s[0:1], vcc
	s_cbranch_execz .LBB905_34
; %bb.33:
	s_mul_hi_i32 s5, s26, s6
	s_mul_i32 s4, s26, s6
	s_and_b32 s29, s29, 0xffff
	s_lshl_b64 s[4:5], s[4:5], 1
	s_add_u32 s8, s34, s4
	s_mov_b32 s31, 0x20000
	s_addc_u32 s4, s35, s5
	s_and_b32 s9, s4, 0xffff
	s_mov_b32 s10, s30
	s_mov_b32 s11, s31
	buffer_load_dwordx4 v[14:17], v1, s[8:11], 0 offen
	buffer_load_dwordx4 v[10:13], v1, s[8:11], 16 offen
	;; [unrolled: 1-line block ×4, first 2 shown]
.LBB905_34:
	s_or_b64 exec, exec, s[0:1]
	v_mov_b32_e32 v19, 0
	v_mov_b32_e32 v32, 0
	;; [unrolled: 1-line block ×15, first 2 shown]
	s_and_saveexec_b64 s[0:1], vcc
	s_cbranch_execz .LBB905_36
; %bb.35:
	s_waitcnt vmcnt(3)
	v_cvt_f32_f16_sdwa v19, v14 dst_sel:DWORD dst_unused:UNUSED_PAD src0_sel:WORD_1
	v_cvt_f32_f16_e32 v18, v14
	v_cvt_f32_f16_sdwa v33, v15 dst_sel:DWORD dst_unused:UNUSED_PAD src0_sel:WORD_1
	v_cvt_f32_f16_e32 v32, v15
	;; [unrolled: 2-line block ×4, first 2 shown]
	s_waitcnt vmcnt(2)
	v_cvt_f32_f16_sdwa v27, v10 dst_sel:DWORD dst_unused:UNUSED_PAD src0_sel:WORD_1
	v_cvt_f32_f16_e32 v26, v10
	v_cvt_f32_f16_sdwa v25, v11 dst_sel:DWORD dst_unused:UNUSED_PAD src0_sel:WORD_1
	v_cvt_f32_f16_e32 v24, v11
	;; [unrolled: 2-line block ×4, first 2 shown]
.LBB905_36:
	s_or_b64 exec, exec, s[0:1]
	s_waitcnt vmcnt(2)
	v_mul_f32_e32 v10, v19, v19
	v_fmac_f32_e32 v10, v18, v18
	v_fmac_f32_e32 v10, v32, v32
	;; [unrolled: 1-line block ×15, first 2 shown]
	s_nop 1
	v_mov_b32_dpp v11, v10 quad_perm:[1,0,3,2] row_mask:0xf bank_mask:0xf
	v_add_f32_e32 v10, v10, v11
	s_nop 1
	v_mov_b32_dpp v11, v10 quad_perm:[2,3,0,1] row_mask:0xf bank_mask:0xf
	v_add_f32_e32 v10, v10, v11
	s_nop 1
	v_mov_b32_dpp v11, v10 row_half_mirror row_mask:0xf bank_mask:0xf
	v_add_f32_e32 v10, v10, v11
	s_nop 1
	v_mov_b32_dpp v11, v10 row_mirror row_mask:0xf bank_mask:0xf
	v_add_f32_e32 v10, v10, v11
	s_nop 1
	v_mov_b32_dpp v11, v10 row_bcast:15 row_mask:0xf bank_mask:0xf
	v_add_f32_e32 v10, v10, v11
	s_nop 1
	v_mov_b32_dpp v11, v10 row_bcast:31 row_mask:0xf bank_mask:0xf
	s_and_saveexec_b64 s[0:1], s[2:3]
	s_cbranch_execz .LBB905_38
; %bb.37:
	v_lshrrev_b32_e32 v0, 4, v0
	v_add_f32_e32 v10, v10, v11
	v_and_b32_e32 v0, 60, v0
	ds_write_b32 v0, v10
.LBB905_38:
	s_or_b64 exec, exec, s[0:1]
	s_waitcnt lgkmcnt(0)
	s_barrier
	ds_read_b32 v0, v36
	s_waitcnt lgkmcnt(0)
	s_nop 0
	v_mov_b32_dpp v10, v0 quad_perm:[1,0,3,2] row_mask:0xf bank_mask:0xf
	v_add_f32_e32 v0, v0, v10
	s_nop 1
	v_mov_b32_dpp v10, v0 quad_perm:[2,3,0,1] row_mask:0xf bank_mask:0xf
	v_add_f32_e32 v0, v0, v10
	s_nop 1
	v_mov_b32_dpp v10, v0 row_half_mirror row_mask:0xf bank_mask:0xf
	s_and_saveexec_b64 s[0:1], vcc
	s_cbranch_execz .LBB905_17
; %bb.39:
	v_cvt_f32_u32_e32 v11, s24
	v_add_f32_e32 v0, v0, v10
	s_mov_b32 s31, 0x20000
	v_div_scale_f32 v10, s[0:1], v11, v11, v0
	v_rcp_f32_e32 v12, v10
	v_div_scale_f32 v13, vcc, v0, v11, v0
	s_mov_b32 s0, 0x800000
	v_fma_f32 v14, -v10, v12, 1.0
	v_fmac_f32_e32 v12, v14, v12
	v_mul_f32_e32 v14, v13, v12
	v_fma_f32 v15, -v10, v14, v13
	v_fmac_f32_e32 v14, v15, v12
	v_fma_f32 v10, -v10, v14, v13
	v_div_fmas_f32 v10, v10, v12, v14
	v_div_fixup_f32 v0, v10, v11, v0
	v_add_f32_e32 v0, s21, v0
	v_mul_f32_e32 v10, 0x4b800000, v0
	v_cmp_gt_f32_e32 vcc, s0, v0
	v_cndmask_b32_e32 v0, v0, v10, vcc
	v_rsq_f32_e32 v0, v0
	s_mul_hi_i32 s1, s16, s6
	s_mul_i32 s0, s16, s6
	s_lshl_b64 s[0:1], s[0:1], 1
	v_mul_f32_e32 v10, 0x45800000, v0
	v_cndmask_b32_e32 v10, v0, v10, vcc
	v_mov_b32_e32 v11, v10
	;;#ASMSTART
	v_pk_mul_f32 v[12:13], v[18:19], v[10:11]
	;;#ASMEND
	;;#ASMSTART
	v_pk_mul_f32 v[14:15], v[32:33], v[10:11]
	;;#ASMEND
	;;#ASMSTART
	v_pk_mul_f32 v[16:17], v[30:31], v[10:11]
	;;#ASMEND
	;;#ASMSTART
	v_pk_mul_f32 v[18:19], v[28:29], v[10:11]
	;;#ASMEND
	s_waitcnt vmcnt(1)
	v_cvt_f32_f16_sdwa v29, v6 dst_sel:DWORD dst_unused:UNUSED_PAD src0_sel:WORD_1
	v_cvt_f32_f16_e32 v28, v6
	v_cvt_f32_f16_sdwa v31, v7 dst_sel:DWORD dst_unused:UNUSED_PAD src0_sel:WORD_1
	v_cvt_f32_f16_e32 v30, v7
	;;#ASMSTART
	v_pk_mul_f32 v[26:27], v[26:27], v[10:11]
	;;#ASMEND
	;;#ASMSTART
	v_pk_mul_f32 v[24:25], v[24:25], v[10:11]
	;;#ASMEND
	;; [unrolled: 3-line block ×4, first 2 shown]
	v_cvt_f32_f16_sdwa v21, v8 dst_sel:DWORD dst_unused:UNUSED_PAD src0_sel:WORD_1
	v_cvt_f32_f16_e32 v20, v8
	v_pk_add_f32 v[10:11], v[28:29], 1.0 op_sel_hi:[1,0]
	;;#ASMSTART
	v_pk_mul_f32 v[10:11], v[12:13], v[10:11]
	;;#ASMEND
	v_pk_add_f32 v[12:13], v[30:31], 1.0 op_sel_hi:[1,0]
	v_cvt_f32_f16_sdwa v29, v9 dst_sel:DWORD dst_unused:UNUSED_PAD src0_sel:WORD_1
	v_cvt_f32_f16_e32 v28, v9
	;;#ASMSTART
	v_pk_mul_f32 v[8:9], v[14:15], v[12:13]
	;;#ASMEND
	v_pk_add_f32 v[12:13], v[20:21], 1.0 op_sel_hi:[1,0]
	;;#ASMSTART
	v_pk_mul_f32 v[12:13], v[16:17], v[12:13]
	;;#ASMEND
	s_waitcnt vmcnt(0)
	v_cvt_f32_f16_sdwa v17, v2 dst_sel:DWORD dst_unused:UNUSED_PAD src0_sel:WORD_1
	v_cvt_f32_f16_e32 v16, v2
	v_cvt_f32_f16_sdwa v21, v3 dst_sel:DWORD dst_unused:UNUSED_PAD src0_sel:WORD_1
	v_cvt_f32_f16_e32 v20, v3
	v_pk_add_f32 v[14:15], v[28:29], 1.0 op_sel_hi:[1,0]
	;;#ASMSTART
	v_pk_mul_f32 v[2:3], v[18:19], v[14:15]
	;;#ASMEND
	v_cvt_f32_f16_sdwa v19, v4 dst_sel:DWORD dst_unused:UNUSED_PAD src0_sel:WORD_1
	v_cvt_f32_f16_e32 v18, v4
	v_pk_add_f32 v[14:15], v[16:17], 1.0 op_sel_hi:[1,0]
	v_pk_add_f32 v[16:17], v[20:21], 1.0 op_sel_hi:[1,0]
	v_cvt_f32_f16_sdwa v21, v5 dst_sel:DWORD dst_unused:UNUSED_PAD src0_sel:WORD_1
	v_cvt_f32_f16_e32 v20, v5
	v_pk_add_f32 v[4:5], v[18:19], 1.0 op_sel_hi:[1,0]
	;;#ASMSTART
	v_pk_mul_f32 v[14:15], v[26:27], v[14:15]
	;;#ASMEND
	;;#ASMSTART
	v_pk_mul_f32 v[16:17], v[24:25], v[16:17]
	;;#ASMEND
	;; [unrolled: 3-line block ×3, first 2 shown]
	v_pk_add_f32 v[4:5], v[20:21], 1.0 op_sel_hi:[1,0]
	;;#ASMSTART
	v_pk_mul_f32 v[6:7], v[6:7], v[4:5]
	;;#ASMEND
	v_cvt_f16_f32_e32 v0, v10
	v_cvt_f16_f32_e32 v4, v11
	;; [unrolled: 1-line block ×8, first 2 shown]
	s_add_u32 s28, s18, s0
	s_addc_u32 s0, s19, s1
	s_and_b32 s29, s0, 0xffff
	v_pack_b32_f16 v2, v0, v4
	v_pack_b32_f16 v3, v5, v8
	;; [unrolled: 1-line block ×4, first 2 shown]
	buffer_store_dwordx4 v[2:5], v1, s[28:31], 0 offen
	v_cvt_f16_f32_e32 v0, v14
	v_cvt_f16_f32_e32 v2, v15
	;; [unrolled: 1-line block ×8, first 2 shown]
	v_pack_b32_f16 v2, v0, v2
	v_pack_b32_f16 v3, v3, v4
	;; [unrolled: 1-line block ×4, first 2 shown]
	;;#ASMSTART
	s_nop 0
	;;#ASMEND
	buffer_store_dwordx4 v[2:5], v1, s[28:31], 16 offen
	;;#ASMSTART
	s_nop 0
	;;#ASMEND
	s_endpgm
	.section	.rodata,"a",@progbits
	.p2align	6, 0x0
	.amdhsa_kernel _ZN5aiter35fused_qk_rmsnorm_group_quant_kernelIDF16_DB8_Li512ELi16ELi8ELb1ELb1ELb1ELb0ELb0ELb0EEEvPT0_PvPT_S6_S6_PKS5_S8_S8_S8_S8_ffiiiiiiiiiiiii
		.amdhsa_group_segment_fixed_size 64
		.amdhsa_private_segment_fixed_size 0
		.amdhsa_kernarg_size 400
		.amdhsa_user_sgpr_count 6
		.amdhsa_user_sgpr_private_segment_buffer 1
		.amdhsa_user_sgpr_dispatch_ptr 0
		.amdhsa_user_sgpr_queue_ptr 0
		.amdhsa_user_sgpr_kernarg_segment_ptr 1
		.amdhsa_user_sgpr_dispatch_id 0
		.amdhsa_user_sgpr_flat_scratch_init 0
		.amdhsa_user_sgpr_kernarg_preload_length 0
		.amdhsa_user_sgpr_kernarg_preload_offset 0
		.amdhsa_user_sgpr_private_segment_size 0
		.amdhsa_uses_dynamic_stack 0
		.amdhsa_system_sgpr_private_segment_wavefront_offset 0
		.amdhsa_system_sgpr_workgroup_id_x 1
		.amdhsa_system_sgpr_workgroup_id_y 1
		.amdhsa_system_sgpr_workgroup_id_z 0
		.amdhsa_system_sgpr_workgroup_info 0
		.amdhsa_system_vgpr_workitem_id 0
		.amdhsa_next_free_vgpr 90
		.amdhsa_next_free_sgpr 44
		.amdhsa_accum_offset 92
		.amdhsa_reserve_vcc 1
		.amdhsa_reserve_flat_scratch 0
		.amdhsa_float_round_mode_32 0
		.amdhsa_float_round_mode_16_64 0
		.amdhsa_float_denorm_mode_32 3
		.amdhsa_float_denorm_mode_16_64 3
		.amdhsa_dx10_clamp 1
		.amdhsa_ieee_mode 1
		.amdhsa_fp16_overflow 0
		.amdhsa_tg_split 0
		.amdhsa_exception_fp_ieee_invalid_op 0
		.amdhsa_exception_fp_denorm_src 0
		.amdhsa_exception_fp_ieee_div_zero 0
		.amdhsa_exception_fp_ieee_overflow 0
		.amdhsa_exception_fp_ieee_underflow 0
		.amdhsa_exception_fp_ieee_inexact 0
		.amdhsa_exception_int_div_zero 0
	.end_amdhsa_kernel
	.section	.text._ZN5aiter35fused_qk_rmsnorm_group_quant_kernelIDF16_DB8_Li512ELi16ELi8ELb1ELb1ELb1ELb0ELb0ELb0EEEvPT0_PvPT_S6_S6_PKS5_S8_S8_S8_S8_ffiiiiiiiiiiiii,"axG",@progbits,_ZN5aiter35fused_qk_rmsnorm_group_quant_kernelIDF16_DB8_Li512ELi16ELi8ELb1ELb1ELb1ELb0ELb0ELb0EEEvPT0_PvPT_S6_S6_PKS5_S8_S8_S8_S8_ffiiiiiiiiiiiii,comdat
.Lfunc_end905:
	.size	_ZN5aiter35fused_qk_rmsnorm_group_quant_kernelIDF16_DB8_Li512ELi16ELi8ELb1ELb1ELb1ELb0ELb0ELb0EEEvPT0_PvPT_S6_S6_PKS5_S8_S8_S8_S8_ffiiiiiiiiiiiii, .Lfunc_end905-_ZN5aiter35fused_qk_rmsnorm_group_quant_kernelIDF16_DB8_Li512ELi16ELi8ELb1ELb1ELb1ELb0ELb0ELb0EEEvPT0_PvPT_S6_S6_PKS5_S8_S8_S8_S8_ffiiiiiiiiiiiii
                                        ; -- End function
	.section	.AMDGPU.csdata,"",@progbits
; Kernel info:
; codeLenInByte = 4428
; NumSgprs: 48
; NumVgprs: 90
; NumAgprs: 0
; TotalNumVgprs: 90
; ScratchSize: 0
; MemoryBound: 0
; FloatMode: 240
; IeeeMode: 1
; LDSByteSize: 64 bytes/workgroup (compile time only)
; SGPRBlocks: 5
; VGPRBlocks: 11
; NumSGPRsForWavesPerEU: 48
; NumVGPRsForWavesPerEU: 90
; AccumOffset: 92
; Occupancy: 5
; WaveLimiterHint : 0
; COMPUTE_PGM_RSRC2:SCRATCH_EN: 0
; COMPUTE_PGM_RSRC2:USER_SGPR: 6
; COMPUTE_PGM_RSRC2:TRAP_HANDLER: 0
; COMPUTE_PGM_RSRC2:TGID_X_EN: 1
; COMPUTE_PGM_RSRC2:TGID_Y_EN: 1
; COMPUTE_PGM_RSRC2:TGID_Z_EN: 0
; COMPUTE_PGM_RSRC2:TIDIG_COMP_CNT: 0
; COMPUTE_PGM_RSRC3_GFX90A:ACCUM_OFFSET: 22
; COMPUTE_PGM_RSRC3_GFX90A:TG_SPLIT: 0
	.section	.text._ZN5aiter35fused_qk_rmsnorm_group_quant_kernelItDB8_Li512ELi16ELi8ELb1ELb1ELb1ELb0ELb0ELb0EEEvPT0_PvPT_S6_S6_PKS5_S8_S8_S8_S8_ffiiiiiiiiiiiii,"axG",@progbits,_ZN5aiter35fused_qk_rmsnorm_group_quant_kernelItDB8_Li512ELi16ELi8ELb1ELb1ELb1ELb0ELb0ELb0EEEvPT0_PvPT_S6_S6_PKS5_S8_S8_S8_S8_ffiiiiiiiiiiiii,comdat
	.protected	_ZN5aiter35fused_qk_rmsnorm_group_quant_kernelItDB8_Li512ELi16ELi8ELb1ELb1ELb1ELb0ELb0ELb0EEEvPT0_PvPT_S6_S6_PKS5_S8_S8_S8_S8_ffiiiiiiiiiiiii ; -- Begin function _ZN5aiter35fused_qk_rmsnorm_group_quant_kernelItDB8_Li512ELi16ELi8ELb1ELb1ELb1ELb0ELb0ELb0EEEvPT0_PvPT_S6_S6_PKS5_S8_S8_S8_S8_ffiiiiiiiiiiiii
	.globl	_ZN5aiter35fused_qk_rmsnorm_group_quant_kernelItDB8_Li512ELi16ELi8ELb1ELb1ELb1ELb0ELb0ELb0EEEvPT0_PvPT_S6_S6_PKS5_S8_S8_S8_S8_ffiiiiiiiiiiiii
	.p2align	8
	.type	_ZN5aiter35fused_qk_rmsnorm_group_quant_kernelItDB8_Li512ELi16ELi8ELb1ELb1ELb1ELb0ELb0ELb0EEEvPT0_PvPT_S6_S6_PKS5_S8_S8_S8_S8_ffiiiiiiiiiiiii,@function
_ZN5aiter35fused_qk_rmsnorm_group_quant_kernelItDB8_Li512ELi16ELi8ELb1ELb1ELb1ELb0ELb0ELb0EEEvPT0_PvPT_S6_S6_PKS5_S8_S8_S8_S8_ffiiiiiiiiiiiii: ; @_ZN5aiter35fused_qk_rmsnorm_group_quant_kernelItDB8_Li512ELi16ELi8ELb1ELb1ELb1ELb0ELb0ELb0EEEvPT0_PvPT_S6_S6_PKS5_S8_S8_S8_S8_ffiiiiiiiiiiiii
; %bb.0:
	s_load_dwordx8 s[20:27], s[4:5], 0x50
	s_waitcnt lgkmcnt(0)
	s_cmp_ge_i32 s6, s22
	s_cbranch_scc1 .LBB906_17
; %bb.1:
	s_cmp_lg_u32 s7, 0
	s_cselect_b64 s[10:11], -1, 0
	s_cmp_eq_u32 s7, 0
	s_cselect_b64 s[8:9], -1, 0
	s_and_b64 s[0:1], s[8:9], exec
	s_load_dwordx2 s[28:29], s[4:5], 0x48
	s_load_dwordx2 s[34:35], s[4:5], 0x30
	s_load_dwordx8 s[12:19], s[4:5], 0x70
	s_cselect_b32 s7, s23, s24
	s_add_i32 s0, s7, 1
	s_lshr_b32 s1, s0, 31
	s_add_i32 s0, s0, s1
	s_lshl_b32 s0, s0, 1
	v_lshlrev_b32_e32 v1, 4, v0
	s_and_b32 s38, s0, -4
	v_cmp_gt_i32_e64 s[0:1], s7, v1
	v_mov_b32_e32 v74, 0
	v_mov_b32_e32 v75, 0
	;; [unrolled: 1-line block ×16, first 2 shown]
	s_and_saveexec_b64 s[2:3], s[0:1]
	s_cbranch_execz .LBB906_3
; %bb.2:
	s_waitcnt lgkmcnt(0)
	s_load_dwordx2 s[18:19], s[4:5], 0x28
	s_load_dwordx2 s[30:31], s[4:5], 0x40
	s_and_b64 s[36:37], s[8:9], exec
	s_cselect_b32 s22, s25, s26
	s_mov_b32 s39, 0x20000
	s_waitcnt lgkmcnt(0)
	s_cselect_b32 s25, s19, s35
	s_cselect_b32 s33, s18, s34
	s_mul_hi_i32 s19, s22, s6
	s_mul_i32 s18, s22, s6
	s_lshl_b64 s[18:19], s[18:19], 1
	s_add_u32 s40, s33, s18
	s_addc_u32 s22, s25, s19
	s_and_b64 s[18:19], s[8:9], exec
	s_cselect_b32 s36, s30, s28
	s_cselect_b32 s18, s31, s29
	s_and_b32 s41, s22, 0xffff
	s_mov_b32 s42, s38
	s_mov_b32 s43, s39
	v_lshlrev_b32_e32 v2, 5, v0
	s_and_b32 s37, s18, 0xffff
	buffer_load_dwordx4 v[78:81], v2, s[40:43], 0 offen
	buffer_load_dwordx4 v[82:85], v2, s[40:43], 16 offen
	;; [unrolled: 1-line block ×4, first 2 shown]
.LBB906_3:
	s_or_b64 exec, exec, s[2:3]
	s_and_b64 vcc, exec, s[10:11]
	s_cbranch_vccz .LBB906_7
; %bb.4:
	v_mov_b32_e32 v87, 0
	v_mov_b32_e32 v86, 0
	;; [unrolled: 1-line block ×16, first 2 shown]
	s_and_saveexec_b64 s[2:3], s[0:1]
	s_cbranch_execz .LBB906_6
; %bb.5:
	s_waitcnt vmcnt(3)
	v_cvt_f32_u32_sdwa v52, v78 dst_sel:DWORD dst_unused:UNUSED_PAD src0_sel:WORD_0
	v_cvt_f32_u32_sdwa v53, v78 dst_sel:DWORD dst_unused:UNUSED_PAD src0_sel:WORD_1
	v_cvt_f32_u32_sdwa v34, v79 dst_sel:DWORD dst_unused:UNUSED_PAD src0_sel:WORD_0
	v_cvt_f32_u32_sdwa v35, v79 dst_sel:DWORD dst_unused:UNUSED_PAD src0_sel:WORD_1
	;; [unrolled: 2-line block ×4, first 2 shown]
	s_waitcnt vmcnt(2)
	v_cvt_f32_u32_sdwa v44, v82 dst_sel:DWORD dst_unused:UNUSED_PAD src0_sel:WORD_0
	v_cvt_f32_u32_sdwa v45, v82 dst_sel:DWORD dst_unused:UNUSED_PAD src0_sel:WORD_1
	v_cvt_f32_u32_sdwa v18, v83 dst_sel:DWORD dst_unused:UNUSED_PAD src0_sel:WORD_0
	v_cvt_f32_u32_sdwa v19, v83 dst_sel:DWORD dst_unused:UNUSED_PAD src0_sel:WORD_1
	;; [unrolled: 2-line block ×4, first 2 shown]
.LBB906_6:
	s_or_b64 exec, exec, s[2:3]
	s_cbranch_execz .LBB906_8
	s_branch .LBB906_11
.LBB906_7:
                                        ; implicit-def: $vgpr32_vgpr33_vgpr34_vgpr35_vgpr36_vgpr37_vgpr38_vgpr39_vgpr40_vgpr41_vgpr42_vgpr43_vgpr44_vgpr45_vgpr46_vgpr47
                                        ; implicit-def: $vgpr18_vgpr19_vgpr20_vgpr21_vgpr22_vgpr23_vgpr24_vgpr25_vgpr26_vgpr27_vgpr28_vgpr29_vgpr30_vgpr31_vgpr32_vgpr33
                                        ; implicit-def: $vgpr52_vgpr53_vgpr54_vgpr55_vgpr56_vgpr57_vgpr58_vgpr59_vgpr60_vgpr61_vgpr62_vgpr63_vgpr64_vgpr65_vgpr66_vgpr67
                                        ; implicit-def: $vgpr87
                                        ; implicit-def: $vgpr54_vgpr55_vgpr56_vgpr57_vgpr58_vgpr59_vgpr60_vgpr61_vgpr62_vgpr63_vgpr64_vgpr65_vgpr66_vgpr67_vgpr68_vgpr69
                                        ; implicit-def: $vgpr8_vgpr9_vgpr10_vgpr11_vgpr12_vgpr13_vgpr14_vgpr15_vgpr16_vgpr17_vgpr18_vgpr19_vgpr20_vgpr21_vgpr22_vgpr23
                                        ; implicit-def: $vgpr36_vgpr37_vgpr38_vgpr39_vgpr40_vgpr41_vgpr42_vgpr43_vgpr44_vgpr45_vgpr46_vgpr47_vgpr48_vgpr49_vgpr50_vgpr51
                                        ; implicit-def: $vgpr2_vgpr3_vgpr4_vgpr5_vgpr6_vgpr7_vgpr8_vgpr9_vgpr10_vgpr11_vgpr12_vgpr13_vgpr14_vgpr15_vgpr16_vgpr17
.LBB906_8:
	v_mov_b32_e32 v87, 0
	v_mov_b32_e32 v86, 0
	;; [unrolled: 1-line block ×16, first 2 shown]
	s_and_saveexec_b64 s[2:3], s[0:1]
	s_cbranch_execz .LBB906_10
; %bb.9:
	s_waitcnt lgkmcnt(0)
	s_load_dwordx2 s[18:19], s[4:5], 0x38
	s_mul_hi_i32 s31, s27, s6
	s_mul_i32 s30, s27, s6
	s_lshl_b64 s[30:31], s[30:31], 1
	s_mov_b32 s39, 0x20000
	s_waitcnt lgkmcnt(0)
	s_add_u32 s36, s18, s30
	s_addc_u32 s18, s19, s31
	s_and_b32 s37, s18, 0xffff
	v_lshlrev_b32_e32 v38, 5, v0
	buffer_load_dwordx4 v[4:7], v38, s[36:39], 16 offen
	buffer_load_dwordx4 v[8:11], v38, s[36:39], 0 offen
	s_load_dwordx2 s[18:19], s[4:5], 0x20
	s_waitcnt vmcnt(5)
	v_cvt_f32_u32_sdwa v19, v78 dst_sel:DWORD dst_unused:UNUSED_PAD src0_sel:WORD_1
	v_cvt_f32_u32_sdwa v18, v78 dst_sel:DWORD dst_unused:UNUSED_PAD src0_sel:WORD_0
	v_cvt_f32_u32_sdwa v21, v79 dst_sel:DWORD dst_unused:UNUSED_PAD src0_sel:WORD_1
	v_cvt_f32_u32_sdwa v20, v79 dst_sel:DWORD dst_unused:UNUSED_PAD src0_sel:WORD_0
	;; [unrolled: 2-line block ×4, first 2 shown]
	s_waitcnt vmcnt(4)
	v_cvt_f32_u32_sdwa v3, v82 dst_sel:DWORD dst_unused:UNUSED_PAD src0_sel:WORD_1
	v_cvt_f32_u32_sdwa v2, v82 dst_sel:DWORD dst_unused:UNUSED_PAD src0_sel:WORD_0
	v_cvt_f32_u32_sdwa v13, v83 dst_sel:DWORD dst_unused:UNUSED_PAD src0_sel:WORD_1
	v_cvt_f32_u32_sdwa v12, v83 dst_sel:DWORD dst_unused:UNUSED_PAD src0_sel:WORD_0
	v_cvt_f32_u32_sdwa v15, v84 dst_sel:DWORD dst_unused:UNUSED_PAD src0_sel:WORD_1
	v_cvt_f32_u32_sdwa v14, v84 dst_sel:DWORD dst_unused:UNUSED_PAD src0_sel:WORD_0
	v_cvt_f32_u32_sdwa v16, v85 dst_sel:DWORD dst_unused:UNUSED_PAD src0_sel:WORD_0
	v_cvt_f32_u32_sdwa v17, v85 dst_sel:DWORD dst_unused:UNUSED_PAD src0_sel:WORD_1
	s_mul_hi_i32 s31, s17, s6
	s_mul_i32 s30, s17, s6
	s_lshl_b64 s[30:31], s[30:31], 1
	s_waitcnt lgkmcnt(0)
	s_add_u32 s36, s18, s30
	s_mov_b32 s17, 0x7060302
	s_addc_u32 s18, s19, s31
	s_and_b32 s37, s18, 0xffff
	s_waitcnt vmcnt(1)
	v_cvt_f32_u32_sdwa v27, v4 dst_sel:DWORD dst_unused:UNUSED_PAD src0_sel:WORD_1
	v_cvt_f32_u32_sdwa v26, v4 dst_sel:DWORD dst_unused:UNUSED_PAD src0_sel:WORD_0
	v_cvt_f32_u32_sdwa v29, v5 dst_sel:DWORD dst_unused:UNUSED_PAD src0_sel:WORD_1
	v_cvt_f32_u32_sdwa v28, v5 dst_sel:DWORD dst_unused:UNUSED_PAD src0_sel:WORD_0
	;; [unrolled: 2-line block ×3, first 2 shown]
	v_cvt_f32_u32_sdwa v32, v7 dst_sel:DWORD dst_unused:UNUSED_PAD src0_sel:WORD_0
	v_cvt_f32_u32_sdwa v33, v7 dst_sel:DWORD dst_unused:UNUSED_PAD src0_sel:WORD_1
	s_waitcnt vmcnt(0)
	v_cvt_f32_u32_sdwa v37, v8 dst_sel:DWORD dst_unused:UNUSED_PAD src0_sel:WORD_1
	v_cvt_f32_u32_sdwa v36, v8 dst_sel:DWORD dst_unused:UNUSED_PAD src0_sel:WORD_0
	v_cvt_f32_u32_sdwa v5, v10 dst_sel:DWORD dst_unused:UNUSED_PAD src0_sel:WORD_1
	v_cvt_f32_u32_sdwa v4, v10 dst_sel:DWORD dst_unused:UNUSED_PAD src0_sel:WORD_0
	v_cvt_f32_u32_sdwa v7, v11 dst_sel:DWORD dst_unused:UNUSED_PAD src0_sel:WORD_1
	v_cvt_f32_u32_sdwa v6, v11 dst_sel:DWORD dst_unused:UNUSED_PAD src0_sel:WORD_0
	v_cvt_f32_u32_sdwa v11, v9 dst_sel:DWORD dst_unused:UNUSED_PAD src0_sel:WORD_1
	v_cvt_f32_u32_sdwa v10, v9 dst_sel:DWORD dst_unused:UNUSED_PAD src0_sel:WORD_0
	v_pk_add_f32 v[58:59], v[22:23], v[4:5]
	v_pk_add_f32 v[24:25], v[24:25], v[6:7]
	;; [unrolled: 1-line block ×4, first 2 shown]
	v_perm_b32 v7, v25, v24, s17
	v_perm_b32 v6, v59, v58, s17
	;; [unrolled: 1-line block ×4, first 2 shown]
	v_pk_add_f32 v[86:87], v[16:17], v[32:33]
	v_pk_add_f32 v[14:15], v[14:15], v[30:31]
	;; [unrolled: 1-line block ×4, first 2 shown]
	buffer_store_dwordx4 v[4:7], v38, s[36:39], 0 offen
	;;#ASMSTART
	s_nop 0
	;;#ASMEND
	s_nop 0
	v_perm_b32 v7, v87, v86, s17
	v_perm_b32 v6, v15, v14, s17
	;; [unrolled: 1-line block ×4, first 2 shown]
	buffer_store_dwordx4 v[4:7], v38, s[36:39], 16 offen
	;;#ASMSTART
	s_nop 0
	;;#ASMEND
.LBB906_10:
	s_or_b64 exec, exec, s[2:3]
.LBB906_11:
	v_mul_f32_e32 v2, v53, v53
	v_fmac_f32_e32 v2, v52, v52
	v_fmac_f32_e32 v2, v34, v34
	;; [unrolled: 1-line block ×15, first 2 shown]
	s_nop 1
	v_mov_b32_dpp v3, v2 quad_perm:[1,0,3,2] row_mask:0xf bank_mask:0xf
	v_add_f32_e32 v2, v2, v3
	s_nop 1
	v_mov_b32_dpp v3, v2 quad_perm:[2,3,0,1] row_mask:0xf bank_mask:0xf
	v_add_f32_e32 v2, v2, v3
	s_nop 1
	v_mov_b32_dpp v3, v2 row_half_mirror row_mask:0xf bank_mask:0xf
	v_add_f32_e32 v2, v2, v3
	s_nop 1
	v_mov_b32_dpp v3, v2 row_mirror row_mask:0xf bank_mask:0xf
	v_add_f32_e32 v2, v2, v3
	s_nop 1
	v_mov_b32_dpp v3, v2 row_bcast:15 row_mask:0xf bank_mask:0xf
	v_add_f32_e32 v2, v2, v3
	v_and_b32_e32 v3, 63, v0
	v_cmp_eq_u32_e64 s[2:3], 63, v3
	s_nop 0
	v_mov_b32_dpp v3, v2 row_bcast:31 row_mask:0xf bank_mask:0xf
	s_waitcnt lgkmcnt(0)
	s_and_saveexec_b64 s[18:19], s[2:3]
	s_cbranch_execz .LBB906_13
; %bb.12:
	v_add_f32_e32 v2, v2, v3
	v_lshrrev_b32_e32 v3, 4, v0
	v_and_b32_e32 v3, 60, v3
	ds_write_b32 v3, v2 offset:32
.LBB906_13:
	s_or_b64 exec, exec, s[18:19]
	v_and_b32_e32 v2, 7, v0
	v_lshlrev_b32_e32 v36, 2, v2
	s_waitcnt lgkmcnt(0)
	s_barrier
	ds_read_b32 v3, v36 offset:32
	s_load_dwordx2 s[18:19], s[4:5], 0x18
	s_waitcnt lgkmcnt(0)
	v_mov_b32_dpp v4, v3 quad_perm:[1,0,3,2] row_mask:0xf bank_mask:0xf
	v_add_f32_e32 v3, v3, v4
	s_nop 1
	v_mov_b32_dpp v4, v3 quad_perm:[2,3,0,1] row_mask:0xf bank_mask:0xf
	v_add_f32_e32 v3, v3, v4
	s_nop 1
	v_mov_b32_dpp v4, v3 row_half_mirror row_mask:0xf bank_mask:0xf
	s_and_saveexec_b64 s[30:31], s[0:1]
	s_cbranch_execnz .LBB906_18
; %bb.14:
	s_or_b64 exec, exec, s[30:31]
	s_mov_b64 s[8:9], -1
	s_and_b64 vcc, exec, s[10:11]
	s_cbranch_vccnz .LBB906_19
.LBB906_15:
	s_andn2_b64 vcc, exec, s[8:9]
	s_cbranch_vccz .LBB906_22
.LBB906_16:
	s_cmp_lt_i32 s24, 1
	s_cbranch_scc0 .LBB906_31
.LBB906_17:
	s_endpgm
.LBB906_18:
	v_add_f32_e32 v3, v3, v4
	v_cvt_f32_u32_e32 v4, s7
	s_mov_b32 s7, 0x800000
	s_waitcnt vmcnt(1)
	v_cvt_f32_u32_sdwa v21, v74 dst_sel:DWORD dst_unused:UNUSED_PAD src0_sel:WORD_1
	v_cvt_f32_u32_sdwa v20, v74 dst_sel:DWORD dst_unused:UNUSED_PAD src0_sel:WORD_0
	v_div_scale_f32 v5, s[36:37], v4, v4, v3
	v_rcp_f32_e32 v6, v5
	v_pk_add_f32 v[20:21], v[20:21], 1.0 op_sel_hi:[1,0]
	v_cvt_f32_u32_sdwa v23, v77 dst_sel:DWORD dst_unused:UNUSED_PAD src0_sel:WORD_1
	v_cvt_f32_u32_sdwa v22, v77 dst_sel:DWORD dst_unused:UNUSED_PAD src0_sel:WORD_0
	v_fma_f32 v7, -v5, v6, 1.0
	v_fmac_f32_e32 v6, v7, v6
	v_div_scale_f32 v7, vcc, v3, v4, v3
	v_mul_f32_e32 v8, v7, v6
	v_fma_f32 v9, -v5, v8, v7
	v_fmac_f32_e32 v8, v9, v6
	v_fma_f32 v5, -v5, v8, v7
	v_div_fmas_f32 v5, v5, v6, v8
	v_div_fixup_f32 v3, v5, v4, v3
	v_mov_b32_e32 v4, s21
	v_mov_b32_e32 v5, s20
	v_cndmask_b32_e64 v4, v4, v5, s[8:9]
	v_add_f32_e32 v3, v4, v3
	v_mul_f32_e32 v4, 0x4b800000, v3
	v_cmp_gt_f32_e32 vcc, s7, v3
	v_cndmask_b32_e32 v3, v3, v4, vcc
	v_rsq_f32_e32 v3, v3
	s_waitcnt vmcnt(0)
	v_cvt_f32_u32_sdwa v27, v73 dst_sel:DWORD dst_unused:UNUSED_PAD src0_sel:WORD_1
	v_cvt_f32_u32_sdwa v26, v73 dst_sel:DWORD dst_unused:UNUSED_PAD src0_sel:WORD_0
	v_mul_f32_e32 v4, 0x45800000, v3
	v_cndmask_b32_e32 v4, v3, v4, vcc
	v_mov_b32_e32 v5, v4
	;;#ASMSTART
	v_pk_mul_f32 v[6:7], v[52:53], v[4:5]
	;;#ASMEND
	;;#ASMSTART
	v_pk_mul_f32 v[8:9], v[34:35], v[4:5]
	;;#ASMEND
	;; [unrolled: 3-line block ×9, first 2 shown]
	v_cvt_f32_u32_sdwa v7, v75 dst_sel:DWORD dst_unused:UNUSED_PAD src0_sel:WORD_1
	v_cvt_f32_u32_sdwa v6, v75 dst_sel:DWORD dst_unused:UNUSED_PAD src0_sel:WORD_0
	v_cvt_f32_u32_sdwa v21, v76 dst_sel:DWORD dst_unused:UNUSED_PAD src0_sel:WORD_1
	v_cvt_f32_u32_sdwa v20, v76 dst_sel:DWORD dst_unused:UNUSED_PAD src0_sel:WORD_0
	v_cvt_f32_u32_sdwa v25, v72 dst_sel:DWORD dst_unused:UNUSED_PAD src0_sel:WORD_1
	v_pk_add_f32 v[6:7], v[6:7], 1.0 op_sel_hi:[1,0]
	;;#ASMSTART
	v_pk_mul_f32 v[34:35], v[8:9], v[6:7]
	;;#ASMEND
	v_pk_add_f32 v[6:7], v[20:21], 1.0 op_sel_hi:[1,0]
	v_pk_add_f32 v[8:9], v[22:23], 1.0 op_sel_hi:[1,0]
	v_cvt_f32_u32_sdwa v21, v70 dst_sel:DWORD dst_unused:UNUSED_PAD src0_sel:WORD_1
	v_cvt_f32_u32_sdwa v20, v70 dst_sel:DWORD dst_unused:UNUSED_PAD src0_sel:WORD_0
	v_cvt_f32_u32_sdwa v23, v71 dst_sel:DWORD dst_unused:UNUSED_PAD src0_sel:WORD_1
	v_cvt_f32_u32_sdwa v22, v71 dst_sel:DWORD dst_unused:UNUSED_PAD src0_sel:WORD_0
	v_cvt_f32_u32_sdwa v24, v72 dst_sel:DWORD dst_unused:UNUSED_PAD src0_sel:WORD_0
	v_pk_add_f32 v[20:21], v[20:21], 1.0 op_sel_hi:[1,0]
	v_pk_add_f32 v[26:27], v[26:27], 1.0 op_sel_hi:[1,0]
	v_pk_add_f32 v[22:23], v[22:23], 1.0 op_sel_hi:[1,0]
	v_pk_add_f32 v[28:29], v[24:25], 1.0 op_sel_hi:[1,0]
	;;#ASMSTART
	v_pk_mul_f32 v[58:59], v[10:11], v[6:7]
	;;#ASMEND
	;;#ASMSTART
	v_pk_mul_f32 v[24:25], v[12:13], v[8:9]
	;;#ASMEND
	;; [unrolled: 3-line block ×6, first 2 shown]
	s_or_b64 exec, exec, s[30:31]
	s_mov_b64 s[8:9], -1
	s_and_b64 vcc, exec, s[10:11]
	s_cbranch_vccz .LBB906_15
.LBB906_19:
	s_and_saveexec_b64 s[8:9], s[0:1]
	s_cbranch_execz .LBB906_21
; %bb.20:
	s_mul_hi_i32 s11, s16, s6
	s_mul_i32 s10, s16, s6
	s_lshl_b64 s[10:11], s[10:11], 1
	s_add_u32 s36, s18, s10
	s_addc_u32 s7, s19, s11
	s_and_b32 s37, s7, 0xffff
	s_mov_b32 s7, 0x7060302
	s_mov_b32 s39, 0x20000
	v_perm_b32 v7, v25, v24, s7
	v_perm_b32 v6, v59, v58, s7
	;; [unrolled: 1-line block ×4, first 2 shown]
	v_lshlrev_b32_e32 v3, 5, v0
	buffer_store_dwordx4 v[4:7], v3, s[36:39], 0 offen
	;;#ASMSTART
	s_nop 0
	;;#ASMEND
	s_nop 0
	v_perm_b32 v7, v87, v86, s7
	v_perm_b32 v6, v15, v14, s7
	;; [unrolled: 1-line block ×4, first 2 shown]
	buffer_store_dwordx4 v[4:7], v3, s[36:39], 16 offen
	;;#ASMSTART
	s_nop 0
	;;#ASMEND
.LBB906_21:
	s_or_b64 exec, exec, s[8:9]
	s_cbranch_execnz .LBB906_16
.LBB906_22:
	v_mov_b32_e32 v3, 0
	s_and_saveexec_b64 s[8:9], s[0:1]
	s_cbranch_execz .LBB906_24
; %bb.23:
	s_load_dwordx2 s[10:11], s[4:5], 0x10
	s_mul_hi_i32 s31, s15, s6
	s_mul_i32 s30, s15, s6
	s_lshl_b64 s[30:31], s[30:31], 1
	s_mov_b32 s39, 0x20000
	s_waitcnt lgkmcnt(0)
	s_add_u32 s36, s10, s30
	s_addc_u32 s7, s11, s31
	s_and_b32 s37, s7, 0xffff
	s_mov_b32 s7, 0x7060302
	v_perm_b32 v7, v25, v24, s7
	v_perm_b32 v6, v59, v58, s7
	;; [unrolled: 1-line block ×4, first 2 shown]
	v_lshlrev_b32_e32 v3, 5, v0
	buffer_store_dwordx4 v[4:7], v3, s[36:39], 0 offen
	;;#ASMSTART
	s_nop 0
	;;#ASMEND
	s_nop 0
	v_perm_b32 v7, v87, v86, s7
	v_perm_b32 v6, v15, v14, s7
	;; [unrolled: 1-line block ×4, first 2 shown]
	buffer_store_dwordx4 v[4:7], v3, s[36:39], 16 offen
	v_mov_b32_e32 v3, 0x2edbe6ff
	;;#ASMSTART
	s_nop 0
	;;#ASMEND
.LBB906_24:
	s_or_b64 exec, exec, s[8:9]
	s_and_saveexec_b64 s[8:9], s[0:1]
	s_cbranch_execz .LBB906_26
; %bb.25:
	v_and_b32_e32 v4, 0x7fffffff, v52
	v_and_b32_e32 v5, 0x7fffffff, v53
	;;#ASMSTART
	v_max3_f32 v3, v3, v4, v5

	;;#ASMEND
	v_and_b32_e32 v4, 0x7fffffff, v34
	v_and_b32_e32 v5, 0x7fffffff, v35
	;;#ASMSTART
	v_max3_f32 v3, v3, v4, v5

	;;#ASMEND
	;; [unrolled: 6-line block ×8, first 2 shown]
.LBB906_26:
	s_or_b64 exec, exec, s[8:9]
	;;#ASMSTART
	v_max_f32 v4, v3, v3 quad_perm:[1,0,3,2] row_mask:0xf bank_mask:0xf bound_ctrl:1
	;;#ASMEND
	;;#ASMSTART
	v_max_f32 v3, v4, v4 quad_perm:[2,3,0,1] row_mask:0xf bank_mask:0xf bound_ctrl:1
	;;#ASMEND
	v_cmp_eq_u32_e32 vcc, 0, v2
	v_cmp_gt_i32_e64 s[8:9], s23, v1
	;;#ASMSTART
	v_max_f32 v4, v3, v3 row_half_mirror row_mask:0xf bank_mask:0xf bound_ctrl:1
	;;#ASMEND
	v_mul_f32_e32 v3, 0x3b124925, v4
	s_and_b64 s[10:11], vcc, s[8:9]
	s_and_saveexec_b64 s[8:9], s[10:11]
	s_cbranch_execz .LBB906_28
; %bb.27:
	s_load_dwordx2 s[10:11], s[4:5], 0x8
	v_lshrrev_b32_e32 v2, 3, v0
	s_mul_hi_i32 s31, s13, s6
	s_mul_i32 s30, s13, s6
	v_mad_i64_i32 v[4:5], s[14:15], s14, v2, 0
	s_lshl_b64 s[14:15], s[30:31], 2
	s_waitcnt lgkmcnt(0)
	s_add_u32 s7, s10, s14
	s_addc_u32 s10, s11, s15
	v_lshlrev_b64 v[4:5], 2, v[4:5]
	v_mov_b32_e32 v2, s10
	v_add_co_u32_e32 v4, vcc, s7, v4
	v_addc_co_u32_e32 v5, vcc, v2, v5, vcc
	global_store_dword v[4:5], v3, off
.LBB906_28:
	s_or_b64 exec, exec, s[8:9]
	;;#ASMSTART
	v_rcp_f32 v2, v3
	;;#ASMEND
	s_and_saveexec_b64 s[14:15], s[0:1]
	s_cbranch_execz .LBB906_30
; %bb.29:
	v_mov_b32_e32 v3, v2
	;;#ASMSTART
	v_pk_mul_f32 v[4:5], v[52:53], v[2:3]
	;;#ASMEND
	v_mov_b32_e32 v10, 0xc3e00000
	v_mov_b32_e32 v11, 0x43e00000
	;;#ASMSTART
	v_med3_f32 v4, v4, v10, v11
v_med3_f32 v5, v5, v10, v11
v_cvt_pk_fp8_f32 v6, v4, v5
	;;#ASMEND
	;;#ASMSTART
	v_pk_mul_f32 v[4:5], v[34:35], v[2:3]
	;;#ASMEND
	;;#ASMSTART
	v_med3_f32 v4, v4, v10, v11
v_med3_f32 v5, v5, v10, v11
v_cvt_pk_fp8_f32 v7, v4, v5
	;;#ASMEND
	;;#ASMSTART
	v_pk_mul_f32 v[4:5], v[58:59], v[2:3]
	;;#ASMEND
	;; [unrolled: 8-line block ×3, first 2 shown]
	;;#ASMSTART
	v_med3_f32 v4, v4, v10, v11
v_med3_f32 v5, v5, v10, v11
v_cvt_pk_fp8_f32 v9, v4, v5
	;;#ASMEND
	s_mov_b32 s0, 0x5040100
	v_perm_b32 v4, v7, v6, s0
	s_mov_b32 s0, 0x1060504
	v_perm_b32 v4, v4, v7, s0
	s_load_dwordx2 s[0:1], s[4:5], 0x0
	s_mov_b32 s7, 0x1000504
	;;#ASMSTART
	v_pk_mul_f32 v[6:7], v[44:45], v[2:3]
	;;#ASMEND
	v_perm_b32 v5, v8, v9, s7
	s_mul_i32 s8, s12, s6
	;;#ASMSTART
	v_med3_f32 v6, v6, v10, v11
v_med3_f32 v7, v7, v10, v11
v_cvt_pk_fp8_f32 v8, v6, v7
	;;#ASMEND
	s_mul_hi_i32 s9, s12, s6
	s_waitcnt lgkmcnt(0)
	s_add_u32 s8, s0, s8
	;;#ASMSTART
	v_pk_mul_f32 v[6:7], v[18:19], v[2:3]
	;;#ASMEND
	s_addc_u32 s0, s1, s9
	s_add_i32 s1, s23, 3
	;;#ASMSTART
	v_med3_f32 v6, v6, v10, v11
v_med3_f32 v7, v7, v10, v11
v_cvt_pk_fp8_f32 v9, v6, v7
	;;#ASMEND
	s_ashr_i32 s9, s1, 31
	v_perm_b32 v6, v8, v9, s7
	;;#ASMSTART
	v_pk_mul_f32 v[8:9], v[14:15], v[2:3]
	;;#ASMEND
	v_mov_b32_e32 v7, v8
	s_lshr_b32 s9, s9, 30
	;;#ASMSTART
	v_med3_f32 v7, v7, v10, v11
v_med3_f32 v9, v9, v10, v11
v_cvt_pk_fp8_f32 v8, v7, v9
	;;#ASMEND
	;;#ASMSTART
	v_pk_mul_f32 v[2:3], v[86:87], v[2:3]
	;;#ASMEND
	s_add_i32 s1, s1, s9
	;;#ASMSTART
	v_med3_f32 v2, v2, v10, v11
v_med3_f32 v3, v3, v10, v11
v_cvt_pk_fp8_f32 v7, v2, v3
	;;#ASMEND
	s_and_b32 s10, s1, -4
	s_and_b32 s9, s0, 0xffff
	s_mov_b32 s11, 0x20000
	v_perm_b32 v7, v8, v7, s7
	buffer_store_dwordx4 v[4:7], v1, s[8:11], 0 offen
	;;#ASMSTART
	s_nop 0
	;;#ASMEND
.LBB906_30:
	s_or_b64 exec, exec, s[14:15]
	s_cmp_lt_i32 s24, 1
	s_cbranch_scc1 .LBB906_17
.LBB906_31:
	s_load_dword s0, s[4:5], 0x94
	s_waitcnt lgkmcnt(0)
	s_cmp_lg_u32 s0, 1
	s_cbranch_scc1 .LBB906_17
; %bb.32:
	s_lshl_b32 s0, s24, 1
	s_add_i32 s0, s0, 2
	v_cmp_gt_u32_e32 vcc, s24, v1
	s_and_b32 s30, s0, -4
	v_mov_b32_e32 v18, 0
	v_lshlrev_b32_e32 v1, 5, v0
	v_mov_b32_e32 v14, 0
	v_mov_b32_e32 v15, 0
	;; [unrolled: 1-line block ×16, first 2 shown]
	s_barrier
	s_and_saveexec_b64 s[0:1], vcc
	s_cbranch_execz .LBB906_34
; %bb.33:
	s_mul_hi_i32 s5, s26, s6
	s_mul_i32 s4, s26, s6
	s_and_b32 s29, s29, 0xffff
	s_lshl_b64 s[4:5], s[4:5], 1
	s_add_u32 s8, s34, s4
	s_mov_b32 s31, 0x20000
	s_addc_u32 s4, s35, s5
	s_and_b32 s9, s4, 0xffff
	s_mov_b32 s10, s30
	s_mov_b32 s11, s31
	buffer_load_dwordx4 v[14:17], v1, s[8:11], 0 offen
	buffer_load_dwordx4 v[10:13], v1, s[8:11], 16 offen
	;; [unrolled: 1-line block ×4, first 2 shown]
.LBB906_34:
	s_or_b64 exec, exec, s[0:1]
	v_mov_b32_e32 v19, 0
	v_mov_b32_e32 v32, 0
	;; [unrolled: 1-line block ×15, first 2 shown]
	s_and_saveexec_b64 s[0:1], vcc
	s_cbranch_execz .LBB906_36
; %bb.35:
	s_waitcnt vmcnt(3)
	v_cvt_f32_u32_sdwa v18, v14 dst_sel:DWORD dst_unused:UNUSED_PAD src0_sel:WORD_0
	v_cvt_f32_u32_sdwa v19, v14 dst_sel:DWORD dst_unused:UNUSED_PAD src0_sel:WORD_1
	v_cvt_f32_u32_sdwa v32, v15 dst_sel:DWORD dst_unused:UNUSED_PAD src0_sel:WORD_0
	v_cvt_f32_u32_sdwa v33, v15 dst_sel:DWORD dst_unused:UNUSED_PAD src0_sel:WORD_1
	v_cvt_f32_u32_sdwa v30, v16 dst_sel:DWORD dst_unused:UNUSED_PAD src0_sel:WORD_0
	v_cvt_f32_u32_sdwa v31, v16 dst_sel:DWORD dst_unused:UNUSED_PAD src0_sel:WORD_1
	v_cvt_f32_u32_sdwa v28, v17 dst_sel:DWORD dst_unused:UNUSED_PAD src0_sel:WORD_0
	v_cvt_f32_u32_sdwa v29, v17 dst_sel:DWORD dst_unused:UNUSED_PAD src0_sel:WORD_1
	s_waitcnt vmcnt(2)
	v_cvt_f32_u32_sdwa v26, v10 dst_sel:DWORD dst_unused:UNUSED_PAD src0_sel:WORD_0
	v_cvt_f32_u32_sdwa v27, v10 dst_sel:DWORD dst_unused:UNUSED_PAD src0_sel:WORD_1
	v_cvt_f32_u32_sdwa v24, v11 dst_sel:DWORD dst_unused:UNUSED_PAD src0_sel:WORD_0
	v_cvt_f32_u32_sdwa v25, v11 dst_sel:DWORD dst_unused:UNUSED_PAD src0_sel:WORD_1
	;; [unrolled: 2-line block ×4, first 2 shown]
.LBB906_36:
	s_or_b64 exec, exec, s[0:1]
	s_waitcnt vmcnt(2)
	v_mul_f32_e32 v10, v19, v19
	v_fmac_f32_e32 v10, v18, v18
	v_fmac_f32_e32 v10, v32, v32
	;; [unrolled: 1-line block ×15, first 2 shown]
	s_nop 1
	v_mov_b32_dpp v11, v10 quad_perm:[1,0,3,2] row_mask:0xf bank_mask:0xf
	v_add_f32_e32 v10, v10, v11
	s_nop 1
	v_mov_b32_dpp v11, v10 quad_perm:[2,3,0,1] row_mask:0xf bank_mask:0xf
	v_add_f32_e32 v10, v10, v11
	s_nop 1
	v_mov_b32_dpp v11, v10 row_half_mirror row_mask:0xf bank_mask:0xf
	v_add_f32_e32 v10, v10, v11
	s_nop 1
	v_mov_b32_dpp v11, v10 row_mirror row_mask:0xf bank_mask:0xf
	v_add_f32_e32 v10, v10, v11
	s_nop 1
	v_mov_b32_dpp v11, v10 row_bcast:15 row_mask:0xf bank_mask:0xf
	v_add_f32_e32 v10, v10, v11
	s_nop 1
	v_mov_b32_dpp v11, v10 row_bcast:31 row_mask:0xf bank_mask:0xf
	s_and_saveexec_b64 s[0:1], s[2:3]
	s_cbranch_execz .LBB906_38
; %bb.37:
	v_lshrrev_b32_e32 v0, 4, v0
	v_add_f32_e32 v10, v10, v11
	v_and_b32_e32 v0, 60, v0
	ds_write_b32 v0, v10
.LBB906_38:
	s_or_b64 exec, exec, s[0:1]
	s_waitcnt lgkmcnt(0)
	s_barrier
	ds_read_b32 v0, v36
	s_waitcnt lgkmcnt(0)
	s_nop 0
	v_mov_b32_dpp v10, v0 quad_perm:[1,0,3,2] row_mask:0xf bank_mask:0xf
	v_add_f32_e32 v0, v0, v10
	s_nop 1
	v_mov_b32_dpp v10, v0 quad_perm:[2,3,0,1] row_mask:0xf bank_mask:0xf
	v_add_f32_e32 v0, v0, v10
	s_nop 1
	v_mov_b32_dpp v10, v0 row_half_mirror row_mask:0xf bank_mask:0xf
	s_and_saveexec_b64 s[0:1], vcc
	s_cbranch_execz .LBB906_17
; %bb.39:
	v_cvt_f32_u32_e32 v11, s24
	v_add_f32_e32 v0, v0, v10
	s_mov_b32 s31, 0x20000
	v_div_scale_f32 v10, s[0:1], v11, v11, v0
	v_rcp_f32_e32 v12, v10
	v_div_scale_f32 v13, vcc, v0, v11, v0
	s_mov_b32 s0, 0x800000
	v_fma_f32 v14, -v10, v12, 1.0
	v_fmac_f32_e32 v12, v14, v12
	v_mul_f32_e32 v14, v13, v12
	v_fma_f32 v15, -v10, v14, v13
	v_fmac_f32_e32 v14, v15, v12
	v_fma_f32 v10, -v10, v14, v13
	v_div_fmas_f32 v10, v10, v12, v14
	v_div_fixup_f32 v0, v10, v11, v0
	v_add_f32_e32 v0, s21, v0
	v_mul_f32_e32 v10, 0x4b800000, v0
	v_cmp_gt_f32_e32 vcc, s0, v0
	v_cndmask_b32_e32 v0, v0, v10, vcc
	v_rsq_f32_e32 v0, v0
	s_mul_hi_i32 s1, s16, s6
	s_mul_i32 s0, s16, s6
	s_lshl_b64 s[0:1], s[0:1], 1
	v_mul_f32_e32 v10, 0x45800000, v0
	v_cndmask_b32_e32 v10, v0, v10, vcc
	v_mov_b32_e32 v11, v10
	;;#ASMSTART
	v_pk_mul_f32 v[12:13], v[18:19], v[10:11]
	;;#ASMEND
	;;#ASMSTART
	v_pk_mul_f32 v[14:15], v[32:33], v[10:11]
	;;#ASMEND
	;;#ASMSTART
	v_pk_mul_f32 v[16:17], v[30:31], v[10:11]
	;;#ASMEND
	;;#ASMSTART
	v_pk_mul_f32 v[18:19], v[28:29], v[10:11]
	;;#ASMEND
	s_waitcnt vmcnt(1)
	v_cvt_f32_u32_sdwa v29, v6 dst_sel:DWORD dst_unused:UNUSED_PAD src0_sel:WORD_1
	v_cvt_f32_u32_sdwa v28, v6 dst_sel:DWORD dst_unused:UNUSED_PAD src0_sel:WORD_0
	v_cvt_f32_u32_sdwa v31, v7 dst_sel:DWORD dst_unused:UNUSED_PAD src0_sel:WORD_1
	v_cvt_f32_u32_sdwa v30, v7 dst_sel:DWORD dst_unused:UNUSED_PAD src0_sel:WORD_0
	;;#ASMSTART
	v_pk_mul_f32 v[26:27], v[26:27], v[10:11]
	;;#ASMEND
	;;#ASMSTART
	v_pk_mul_f32 v[24:25], v[24:25], v[10:11]
	;;#ASMEND
	;; [unrolled: 3-line block ×4, first 2 shown]
	v_cvt_f32_u32_sdwa v21, v8 dst_sel:DWORD dst_unused:UNUSED_PAD src0_sel:WORD_1
	v_cvt_f32_u32_sdwa v20, v8 dst_sel:DWORD dst_unused:UNUSED_PAD src0_sel:WORD_0
	v_pk_add_f32 v[10:11], v[28:29], 1.0 op_sel_hi:[1,0]
	;;#ASMSTART
	v_pk_mul_f32 v[10:11], v[12:13], v[10:11]
	;;#ASMEND
	v_pk_add_f32 v[12:13], v[30:31], 1.0 op_sel_hi:[1,0]
	v_cvt_f32_u32_sdwa v29, v9 dst_sel:DWORD dst_unused:UNUSED_PAD src0_sel:WORD_1
	v_cvt_f32_u32_sdwa v28, v9 dst_sel:DWORD dst_unused:UNUSED_PAD src0_sel:WORD_0
	;;#ASMSTART
	v_pk_mul_f32 v[8:9], v[14:15], v[12:13]
	;;#ASMEND
	v_pk_add_f32 v[12:13], v[20:21], 1.0 op_sel_hi:[1,0]
	;;#ASMSTART
	v_pk_mul_f32 v[12:13], v[16:17], v[12:13]
	;;#ASMEND
	s_waitcnt vmcnt(0)
	v_cvt_f32_u32_sdwa v17, v2 dst_sel:DWORD dst_unused:UNUSED_PAD src0_sel:WORD_1
	v_cvt_f32_u32_sdwa v16, v2 dst_sel:DWORD dst_unused:UNUSED_PAD src0_sel:WORD_0
	v_cvt_f32_u32_sdwa v21, v3 dst_sel:DWORD dst_unused:UNUSED_PAD src0_sel:WORD_1
	v_cvt_f32_u32_sdwa v20, v3 dst_sel:DWORD dst_unused:UNUSED_PAD src0_sel:WORD_0
	v_pk_add_f32 v[14:15], v[28:29], 1.0 op_sel_hi:[1,0]
	;;#ASMSTART
	v_pk_mul_f32 v[14:15], v[18:19], v[14:15]
	;;#ASMEND
	v_pk_add_f32 v[2:3], v[16:17], 1.0 op_sel_hi:[1,0]
	v_cvt_f32_u32_sdwa v19, v4 dst_sel:DWORD dst_unused:UNUSED_PAD src0_sel:WORD_1
	v_cvt_f32_u32_sdwa v18, v4 dst_sel:DWORD dst_unused:UNUSED_PAD src0_sel:WORD_0
	;;#ASMSTART
	v_pk_mul_f32 v[16:17], v[26:27], v[2:3]
	;;#ASMEND
	v_pk_add_f32 v[2:3], v[20:21], 1.0 op_sel_hi:[1,0]
	v_cvt_f32_u32_sdwa v21, v5 dst_sel:DWORD dst_unused:UNUSED_PAD src0_sel:WORD_1
	v_cvt_f32_u32_sdwa v20, v5 dst_sel:DWORD dst_unused:UNUSED_PAD src0_sel:WORD_0
	s_add_u32 s28, s18, s0
	;;#ASMSTART
	v_pk_mul_f32 v[24:25], v[24:25], v[2:3]
	;;#ASMEND
	v_pk_add_f32 v[2:3], v[18:19], 1.0 op_sel_hi:[1,0]
	s_addc_u32 s0, s19, s1
	;;#ASMSTART
	v_pk_mul_f32 v[18:19], v[22:23], v[2:3]
	;;#ASMEND
	v_pk_add_f32 v[2:3], v[20:21], 1.0 op_sel_hi:[1,0]
	s_and_b32 s29, s0, 0xffff
	s_mov_b32 s0, 0x7060302
	;;#ASMSTART
	v_pk_mul_f32 v[6:7], v[6:7], v[2:3]
	;;#ASMEND
	v_perm_b32 v2, v11, v10, s0
	v_perm_b32 v3, v9, v8, s0
	v_perm_b32 v4, v13, v12, s0
	v_perm_b32 v5, v15, v14, s0
	buffer_store_dwordx4 v[2:5], v1, s[28:31], 0 offen
	;;#ASMSTART
	s_nop 0
	;;#ASMEND
	s_nop 0
	v_perm_b32 v2, v17, v16, s0
	v_perm_b32 v3, v25, v24, s0
	;; [unrolled: 1-line block ×4, first 2 shown]
	buffer_store_dwordx4 v[2:5], v1, s[28:31], 16 offen
	;;#ASMSTART
	s_nop 0
	;;#ASMEND
	s_endpgm
	.section	.rodata,"a",@progbits
	.p2align	6, 0x0
	.amdhsa_kernel _ZN5aiter35fused_qk_rmsnorm_group_quant_kernelItDB8_Li512ELi16ELi8ELb1ELb1ELb1ELb0ELb0ELb0EEEvPT0_PvPT_S6_S6_PKS5_S8_S8_S8_S8_ffiiiiiiiiiiiii
		.amdhsa_group_segment_fixed_size 64
		.amdhsa_private_segment_fixed_size 0
		.amdhsa_kernarg_size 400
		.amdhsa_user_sgpr_count 6
		.amdhsa_user_sgpr_private_segment_buffer 1
		.amdhsa_user_sgpr_dispatch_ptr 0
		.amdhsa_user_sgpr_queue_ptr 0
		.amdhsa_user_sgpr_kernarg_segment_ptr 1
		.amdhsa_user_sgpr_dispatch_id 0
		.amdhsa_user_sgpr_flat_scratch_init 0
		.amdhsa_user_sgpr_kernarg_preload_length 0
		.amdhsa_user_sgpr_kernarg_preload_offset 0
		.amdhsa_user_sgpr_private_segment_size 0
		.amdhsa_uses_dynamic_stack 0
		.amdhsa_system_sgpr_private_segment_wavefront_offset 0
		.amdhsa_system_sgpr_workgroup_id_x 1
		.amdhsa_system_sgpr_workgroup_id_y 1
		.amdhsa_system_sgpr_workgroup_id_z 0
		.amdhsa_system_sgpr_workgroup_info 0
		.amdhsa_system_vgpr_workitem_id 0
		.amdhsa_next_free_vgpr 88
		.amdhsa_next_free_sgpr 44
		.amdhsa_accum_offset 88
		.amdhsa_reserve_vcc 1
		.amdhsa_reserve_flat_scratch 0
		.amdhsa_float_round_mode_32 0
		.amdhsa_float_round_mode_16_64 0
		.amdhsa_float_denorm_mode_32 3
		.amdhsa_float_denorm_mode_16_64 3
		.amdhsa_dx10_clamp 1
		.amdhsa_ieee_mode 1
		.amdhsa_fp16_overflow 0
		.amdhsa_tg_split 0
		.amdhsa_exception_fp_ieee_invalid_op 0
		.amdhsa_exception_fp_denorm_src 0
		.amdhsa_exception_fp_ieee_div_zero 0
		.amdhsa_exception_fp_ieee_overflow 0
		.amdhsa_exception_fp_ieee_underflow 0
		.amdhsa_exception_fp_ieee_inexact 0
		.amdhsa_exception_int_div_zero 0
	.end_amdhsa_kernel
	.section	.text._ZN5aiter35fused_qk_rmsnorm_group_quant_kernelItDB8_Li512ELi16ELi8ELb1ELb1ELb1ELb0ELb0ELb0EEEvPT0_PvPT_S6_S6_PKS5_S8_S8_S8_S8_ffiiiiiiiiiiiii,"axG",@progbits,_ZN5aiter35fused_qk_rmsnorm_group_quant_kernelItDB8_Li512ELi16ELi8ELb1ELb1ELb1ELb0ELb0ELb0EEEvPT0_PvPT_S6_S6_PKS5_S8_S8_S8_S8_ffiiiiiiiiiiiii,comdat
.Lfunc_end906:
	.size	_ZN5aiter35fused_qk_rmsnorm_group_quant_kernelItDB8_Li512ELi16ELi8ELb1ELb1ELb1ELb0ELb0ELb0EEEvPT0_PvPT_S6_S6_PKS5_S8_S8_S8_S8_ffiiiiiiiiiiiii, .Lfunc_end906-_ZN5aiter35fused_qk_rmsnorm_group_quant_kernelItDB8_Li512ELi16ELi8ELb1ELb1ELb1ELb0ELb0ELb0EEEvPT0_PvPT_S6_S6_PKS5_S8_S8_S8_S8_ffiiiiiiiiiiiii
                                        ; -- End function
	.section	.AMDGPU.csdata,"",@progbits
; Kernel info:
; codeLenInByte = 4408
; NumSgprs: 48
; NumVgprs: 88
; NumAgprs: 0
; TotalNumVgprs: 88
; ScratchSize: 0
; MemoryBound: 0
; FloatMode: 240
; IeeeMode: 1
; LDSByteSize: 64 bytes/workgroup (compile time only)
; SGPRBlocks: 5
; VGPRBlocks: 10
; NumSGPRsForWavesPerEU: 48
; NumVGPRsForWavesPerEU: 88
; AccumOffset: 88
; Occupancy: 5
; WaveLimiterHint : 0
; COMPUTE_PGM_RSRC2:SCRATCH_EN: 0
; COMPUTE_PGM_RSRC2:USER_SGPR: 6
; COMPUTE_PGM_RSRC2:TRAP_HANDLER: 0
; COMPUTE_PGM_RSRC2:TGID_X_EN: 1
; COMPUTE_PGM_RSRC2:TGID_Y_EN: 1
; COMPUTE_PGM_RSRC2:TGID_Z_EN: 0
; COMPUTE_PGM_RSRC2:TIDIG_COMP_CNT: 0
; COMPUTE_PGM_RSRC3_GFX90A:ACCUM_OFFSET: 21
; COMPUTE_PGM_RSRC3_GFX90A:TG_SPLIT: 0
	.section	.text._ZN5aiter35fused_qk_rmsnorm_group_quant_kernelIDF16_N4opus5fp4_tELi512ELi16ELi8ELb1ELb1ELb1ELb0ELb0ELb0EEEvPT0_PvPT_S7_S7_PKS6_S9_S9_S9_S9_ffiiiiiiiiiiiii,"axG",@progbits,_ZN5aiter35fused_qk_rmsnorm_group_quant_kernelIDF16_N4opus5fp4_tELi512ELi16ELi8ELb1ELb1ELb1ELb0ELb0ELb0EEEvPT0_PvPT_S7_S7_PKS6_S9_S9_S9_S9_ffiiiiiiiiiiiii,comdat
	.protected	_ZN5aiter35fused_qk_rmsnorm_group_quant_kernelIDF16_N4opus5fp4_tELi512ELi16ELi8ELb1ELb1ELb1ELb0ELb0ELb0EEEvPT0_PvPT_S7_S7_PKS6_S9_S9_S9_S9_ffiiiiiiiiiiiii ; -- Begin function _ZN5aiter35fused_qk_rmsnorm_group_quant_kernelIDF16_N4opus5fp4_tELi512ELi16ELi8ELb1ELb1ELb1ELb0ELb0ELb0EEEvPT0_PvPT_S7_S7_PKS6_S9_S9_S9_S9_ffiiiiiiiiiiiii
	.globl	_ZN5aiter35fused_qk_rmsnorm_group_quant_kernelIDF16_N4opus5fp4_tELi512ELi16ELi8ELb1ELb1ELb1ELb0ELb0ELb0EEEvPT0_PvPT_S7_S7_PKS6_S9_S9_S9_S9_ffiiiiiiiiiiiii
	.p2align	8
	.type	_ZN5aiter35fused_qk_rmsnorm_group_quant_kernelIDF16_N4opus5fp4_tELi512ELi16ELi8ELb1ELb1ELb1ELb0ELb0ELb0EEEvPT0_PvPT_S7_S7_PKS6_S9_S9_S9_S9_ffiiiiiiiiiiiii,@function
_ZN5aiter35fused_qk_rmsnorm_group_quant_kernelIDF16_N4opus5fp4_tELi512ELi16ELi8ELb1ELb1ELb1ELb0ELb0ELb0EEEvPT0_PvPT_S7_S7_PKS6_S9_S9_S9_S9_ffiiiiiiiiiiiii: ; @_ZN5aiter35fused_qk_rmsnorm_group_quant_kernelIDF16_N4opus5fp4_tELi512ELi16ELi8ELb1ELb1ELb1ELb0ELb0ELb0EEEvPT0_PvPT_S7_S7_PKS6_S9_S9_S9_S9_ffiiiiiiiiiiiii
; %bb.0:
	s_load_dwordx8 s[20:27], s[4:5], 0x50
	s_waitcnt lgkmcnt(0)
	s_cmp_ge_i32 s6, s22
	s_cbranch_scc1 .LBB907_17
; %bb.1:
	s_cmp_lg_u32 s7, 0
	s_cselect_b64 s[30:31], -1, 0
	s_cmp_eq_u32 s7, 0
	s_cselect_b64 s[8:9], -1, 0
	s_and_b64 s[0:1], s[8:9], exec
	s_load_dwordx2 s[28:29], s[4:5], 0x48
	s_load_dwordx2 s[10:11], s[4:5], 0x30
	s_load_dwordx8 s[12:19], s[4:5], 0x70
	s_cselect_b32 s7, s23, s24
	s_add_i32 s0, s7, 1
	s_lshr_b32 s1, s0, 31
	s_add_i32 s0, s0, s1
	s_lshl_b32 s0, s0, 1
	v_lshlrev_b32_e32 v1, 4, v0
	s_and_b32 s38, s0, -4
	v_cmp_gt_i32_e64 s[0:1], s7, v1
	v_mov_b32_e32 v6, 0
	v_mov_b32_e32 v7, 0
	;; [unrolled: 1-line block ×16, first 2 shown]
	s_and_saveexec_b64 s[2:3], s[0:1]
	s_cbranch_execz .LBB907_3
; %bb.2:
	s_waitcnt lgkmcnt(0)
	s_load_dwordx2 s[18:19], s[4:5], 0x28
	s_load_dwordx2 s[34:35], s[4:5], 0x40
	s_and_b64 s[36:37], s[8:9], exec
	s_cselect_b32 s22, s25, s26
	s_mov_b32 s39, 0x20000
	s_waitcnt lgkmcnt(0)
	s_cselect_b32 s25, s19, s11
	s_cselect_b32 s33, s18, s10
	s_mul_hi_i32 s19, s22, s6
	s_mul_i32 s18, s22, s6
	s_lshl_b64 s[18:19], s[18:19], 1
	s_add_u32 s40, s33, s18
	s_addc_u32 s22, s25, s19
	s_and_b64 s[18:19], s[8:9], exec
	s_cselect_b32 s36, s34, s28
	s_cselect_b32 s18, s35, s29
	s_and_b32 s41, s22, 0xffff
	s_mov_b32 s42, s38
	s_mov_b32 s43, s39
	v_lshlrev_b32_e32 v18, 5, v0
	s_and_b32 s37, s18, 0xffff
	buffer_load_dwordx4 v[10:13], v18, s[40:43], 0 offen
	buffer_load_dwordx4 v[14:17], v18, s[40:43], 16 offen
	;; [unrolled: 1-line block ×4, first 2 shown]
.LBB907_3:
	s_or_b64 exec, exec, s[2:3]
	s_and_b64 vcc, exec, s[30:31]
	s_cbranch_vccz .LBB907_7
; %bb.4:
	v_mov_b32_e32 v19, 0
	v_mov_b32_e32 v18, 0
	;; [unrolled: 1-line block ×16, first 2 shown]
	s_and_saveexec_b64 s[2:3], s[0:1]
	s_cbranch_execz .LBB907_6
; %bb.5:
	s_waitcnt vmcnt(3)
	v_cvt_f32_f16_sdwa v29, v10 dst_sel:DWORD dst_unused:UNUSED_PAD src0_sel:WORD_1
	v_cvt_f32_f16_e32 v28, v10
	v_cvt_f32_f16_sdwa v33, v11 dst_sel:DWORD dst_unused:UNUSED_PAD src0_sel:WORD_1
	v_cvt_f32_f16_e32 v32, v11
	;; [unrolled: 2-line block ×4, first 2 shown]
	s_waitcnt vmcnt(2)
	v_cvt_f32_f16_sdwa v23, v14 dst_sel:DWORD dst_unused:UNUSED_PAD src0_sel:WORD_1
	v_cvt_f32_f16_e32 v22, v14
	v_cvt_f32_f16_sdwa v25, v15 dst_sel:DWORD dst_unused:UNUSED_PAD src0_sel:WORD_1
	v_cvt_f32_f16_e32 v24, v15
	;; [unrolled: 2-line block ×4, first 2 shown]
.LBB907_6:
	s_or_b64 exec, exec, s[2:3]
	s_cbranch_execz .LBB907_8
	s_branch .LBB907_11
.LBB907_7:
                                        ; implicit-def: $vgpr19
                                        ; implicit-def: $vgpr21
                                        ; implicit-def: $vgpr25
                                        ; implicit-def: $vgpr23
                                        ; implicit-def: $vgpr31
                                        ; implicit-def: $vgpr27
                                        ; implicit-def: $vgpr33
                                        ; implicit-def: $vgpr29
.LBB907_8:
	v_mov_b32_e32 v19, 0
	v_mov_b32_e32 v18, 0
	;; [unrolled: 1-line block ×16, first 2 shown]
	s_and_saveexec_b64 s[2:3], s[0:1]
	s_cbranch_execz .LBB907_10
; %bb.9:
	s_waitcnt lgkmcnt(0)
	s_load_dwordx2 s[18:19], s[4:5], 0x38
	s_mul_hi_i32 s35, s27, s6
	s_mul_i32 s34, s27, s6
	s_lshl_b64 s[34:35], s[34:35], 1
	s_mov_b32 s39, 0x20000
	s_waitcnt lgkmcnt(0)
	s_add_u32 s36, s18, s34
	s_addc_u32 s18, s19, s35
	s_and_b32 s37, s18, 0xffff
	v_lshlrev_b32_e32 v48, 5, v0
	buffer_load_dwordx4 v[18:21], v48, s[36:39], 16 offen
	buffer_load_dwordx4 v[22:25], v48, s[36:39], 0 offen
	s_waitcnt vmcnt(4)
	v_cvt_f32_f16_sdwa v27, v14 dst_sel:DWORD dst_unused:UNUSED_PAD src0_sel:WORD_1
	v_cvt_f32_f16_e32 v26, v14
	v_cvt_f32_f16_sdwa v29, v15 dst_sel:DWORD dst_unused:UNUSED_PAD src0_sel:WORD_1
	v_cvt_f32_f16_e32 v28, v15
	;; [unrolled: 2-line block ×8, first 2 shown]
	s_load_dwordx2 s[18:19], s[4:5], 0x20
	s_mul_hi_i32 s35, s17, s6
	s_mul_i32 s34, s17, s6
	s_lshl_b64 s[34:35], s[34:35], 1
	s_waitcnt lgkmcnt(0)
	s_add_u32 s36, s18, s34
	s_addc_u32 s17, s19, s35
	s_and_b32 s37, s17, 0xffff
	s_waitcnt vmcnt(1)
	v_cvt_f32_f16_e32 v12, v18
	v_cvt_f32_f16_sdwa v13, v18 dst_sel:DWORD dst_unused:UNUSED_PAD src0_sel:WORD_1
	v_cvt_f32_f16_e32 v18, v19
	v_cvt_f32_f16_sdwa v19, v19 dst_sel:DWORD dst_unused:UNUSED_PAD src0_sel:WORD_1
	;; [unrolled: 2-line block ×4, first 2 shown]
	s_waitcnt vmcnt(0)
	v_cvt_f32_f16_e32 v40, v22
	v_cvt_f32_f16_sdwa v41, v22 dst_sel:DWORD dst_unused:UNUSED_PAD src0_sel:WORD_1
	v_cvt_f32_f16_e32 v42, v23
	v_cvt_f32_f16_sdwa v43, v23 dst_sel:DWORD dst_unused:UNUSED_PAD src0_sel:WORD_1
	;; [unrolled: 2-line block ×4, first 2 shown]
	v_pk_add_f32 v[22:23], v[26:27], v[12:13]
	v_pk_add_f32 v[24:25], v[28:29], v[18:19]
	v_pk_add_f32 v[20:21], v[14:15], v[36:37]
	v_pk_add_f32 v[18:19], v[30:31], v[38:39]
	v_pk_add_f32 v[28:29], v[16:17], v[40:41]
	v_pk_add_f32 v[32:33], v[32:33], v[42:43]
	v_pk_add_f32 v[26:27], v[10:11], v[44:45]
	v_pk_add_f32 v[30:31], v[34:35], v[46:47]
	v_cvt_f16_f32_e32 v10, v29
	v_cvt_f16_f32_e32 v14, v28
	;; [unrolled: 1-line block ×16, first 2 shown]
	v_pack_b32_f16 v13, v17, v13
	v_pack_b32_f16 v12, v16, v12
	;; [unrolled: 1-line block ×8, first 2 shown]
	buffer_store_dwordx4 v[10:13], v48, s[36:39], 0 offen
	;;#ASMSTART
	s_nop 0
	;;#ASMEND
	buffer_store_dwordx4 v[14:17], v48, s[36:39], 16 offen
	;;#ASMSTART
	s_nop 0
	;;#ASMEND
.LBB907_10:
	s_or_b64 exec, exec, s[2:3]
.LBB907_11:
	s_waitcnt vmcnt(3)
	v_mul_f32_e32 v10, v29, v29
	v_fmac_f32_e32 v10, v28, v28
	v_fmac_f32_e32 v10, v32, v32
	;; [unrolled: 1-line block ×15, first 2 shown]
	v_and_b32_e32 v12, 63, v0
	v_cmp_eq_u32_e64 s[2:3], 63, v12
	v_mov_b32_dpp v11, v10 quad_perm:[1,0,3,2] row_mask:0xf bank_mask:0xf
	v_add_f32_e32 v10, v10, v11
	s_nop 1
	v_mov_b32_dpp v11, v10 quad_perm:[2,3,0,1] row_mask:0xf bank_mask:0xf
	v_add_f32_e32 v10, v10, v11
	s_nop 1
	v_mov_b32_dpp v11, v10 row_half_mirror row_mask:0xf bank_mask:0xf
	v_add_f32_e32 v10, v10, v11
	s_nop 1
	v_mov_b32_dpp v11, v10 row_mirror row_mask:0xf bank_mask:0xf
	v_add_f32_e32 v10, v10, v11
	s_nop 1
	v_mov_b32_dpp v11, v10 row_bcast:15 row_mask:0xf bank_mask:0xf
	v_add_f32_e32 v10, v10, v11
	s_nop 1
	v_mov_b32_dpp v11, v10 row_bcast:31 row_mask:0xf bank_mask:0xf
	s_waitcnt lgkmcnt(0)
	s_and_saveexec_b64 s[18:19], s[2:3]
	s_cbranch_execz .LBB907_13
; %bb.12:
	v_add_f32_e32 v10, v10, v11
	v_lshrrev_b32_e32 v11, 4, v0
	v_and_b32_e32 v11, 60, v11
	ds_write_b32 v11, v10 offset:32
.LBB907_13:
	s_or_b64 exec, exec, s[18:19]
	v_and_b32_e32 v10, 7, v0
	v_lshlrev_b32_e32 v34, 2, v10
	s_waitcnt lgkmcnt(0)
	s_barrier
	ds_read_b32 v11, v34 offset:32
	s_load_dwordx2 s[18:19], s[4:5], 0x18
	s_waitcnt lgkmcnt(0)
	v_mov_b32_dpp v12, v11 quad_perm:[1,0,3,2] row_mask:0xf bank_mask:0xf
	v_add_f32_e32 v11, v11, v12
	s_nop 1
	v_mov_b32_dpp v12, v11 quad_perm:[2,3,0,1] row_mask:0xf bank_mask:0xf
	v_add_f32_e32 v11, v11, v12
	s_nop 1
	v_mov_b32_dpp v12, v11 row_half_mirror row_mask:0xf bank_mask:0xf
	s_and_saveexec_b64 s[34:35], s[0:1]
	s_cbranch_execnz .LBB907_18
; %bb.14:
	s_or_b64 exec, exec, s[34:35]
	s_mov_b64 s[8:9], -1
	s_and_b64 vcc, exec, s[30:31]
	s_cbranch_vccnz .LBB907_19
.LBB907_15:
	s_andn2_b64 vcc, exec, s[8:9]
	s_cbranch_vccz .LBB907_22
.LBB907_16:
	s_cmp_lt_i32 s24, 1
	s_cbranch_scc0 .LBB907_31
.LBB907_17:
	s_endpgm
.LBB907_18:
	v_cvt_f32_u32_e32 v13, s7
	v_add_f32_e32 v11, v11, v12
	s_waitcnt vmcnt(2)
	v_mov_b32_e32 v15, s21
	v_mov_b32_e32 v16, s20
	v_div_scale_f32 v12, s[36:37], v13, v13, v11
	v_rcp_f32_e32 v14, v12
	v_cndmask_b32_e64 v15, v15, v16, s[8:9]
	s_mov_b32 s7, 0x800000
	v_fma_f32 v16, -v12, v14, 1.0
	v_fmac_f32_e32 v14, v16, v14
	v_div_scale_f32 v16, vcc, v11, v13, v11
	v_mul_f32_e32 v17, v16, v14
	v_fma_f32 v35, -v12, v17, v16
	v_fmac_f32_e32 v17, v35, v14
	v_fma_f32 v12, -v12, v17, v16
	v_div_fmas_f32 v12, v12, v14, v17
	v_div_fixup_f32 v11, v12, v13, v11
	v_add_f32_e32 v11, v15, v11
	v_mul_f32_e32 v12, 0x4b800000, v11
	v_cmp_gt_f32_e32 vcc, s7, v11
	v_cndmask_b32_e32 v11, v11, v12, vcc
	v_rsq_f32_e32 v11, v11
	v_mul_f32_e32 v12, 0x45800000, v11
	v_cndmask_b32_e32 v12, v11, v12, vcc
	v_mov_b32_e32 v13, v12
	;;#ASMSTART
	v_pk_mul_f32 v[14:15], v[28:29], v[12:13]
	;;#ASMEND
	s_waitcnt vmcnt(1)
	v_cvt_f32_f16_sdwa v29, v6 dst_sel:DWORD dst_unused:UNUSED_PAD src0_sel:WORD_1
	v_cvt_f32_f16_e32 v28, v6
	;;#ASMSTART
	v_pk_mul_f32 v[16:17], v[32:33], v[12:13]
	;;#ASMEND
	v_cvt_f32_f16_sdwa v33, v7 dst_sel:DWORD dst_unused:UNUSED_PAD src0_sel:WORD_1
	v_cvt_f32_f16_e32 v32, v7
	;;#ASMSTART
	v_pk_mul_f32 v[26:27], v[26:27], v[12:13]
	;;#ASMEND
	;;#ASMSTART
	v_pk_mul_f32 v[30:31], v[30:31], v[12:13]
	;;#ASMEND
	;; [unrolled: 3-line block ×6, first 2 shown]
	v_pk_add_f32 v[12:13], v[28:29], 1.0 op_sel_hi:[1,0]
	;;#ASMSTART
	v_pk_mul_f32 v[28:29], v[14:15], v[12:13]
	;;#ASMEND
	v_cvt_f32_f16_sdwa v15, v8 dst_sel:DWORD dst_unused:UNUSED_PAD src0_sel:WORD_1
	v_cvt_f32_f16_e32 v14, v8
	v_cvt_f32_f16_sdwa v19, v9 dst_sel:DWORD dst_unused:UNUSED_PAD src0_sel:WORD_1
	v_cvt_f32_f16_e32 v18, v9
	v_pk_add_f32 v[12:13], v[32:33], 1.0 op_sel_hi:[1,0]
	;;#ASMSTART
	v_pk_mul_f32 v[32:33], v[16:17], v[12:13]
	;;#ASMEND
	s_waitcnt vmcnt(0)
	v_cvt_f32_f16_sdwa v13, v2 dst_sel:DWORD dst_unused:UNUSED_PAD src0_sel:WORD_1
	v_cvt_f32_f16_e32 v12, v2
	v_pk_add_f32 v[8:9], v[14:15], 1.0 op_sel_hi:[1,0]
	;;#ASMSTART
	v_pk_mul_f32 v[26:27], v[26:27], v[8:9]
	;;#ASMEND
	v_pk_add_f32 v[8:9], v[18:19], 1.0 op_sel_hi:[1,0]
	v_cvt_f32_f16_sdwa v15, v3 dst_sel:DWORD dst_unused:UNUSED_PAD src0_sel:WORD_1
	v_cvt_f32_f16_e32 v14, v3
	;;#ASMSTART
	v_pk_mul_f32 v[30:31], v[30:31], v[8:9]
	;;#ASMEND
	v_cvt_f32_f16_sdwa v9, v4 dst_sel:DWORD dst_unused:UNUSED_PAD src0_sel:WORD_1
	v_cvt_f32_f16_e32 v8, v4
	v_pk_add_f32 v[2:3], v[12:13], 1.0 op_sel_hi:[1,0]
	v_cvt_f32_f16_sdwa v13, v5 dst_sel:DWORD dst_unused:UNUSED_PAD src0_sel:WORD_1
	v_cvt_f32_f16_e32 v12, v5
	;;#ASMSTART
	v_pk_mul_f32 v[22:23], v[22:23], v[2:3]
	;;#ASMEND
	v_pk_add_f32 v[2:3], v[14:15], 1.0 op_sel_hi:[1,0]
	;;#ASMSTART
	v_pk_mul_f32 v[24:25], v[24:25], v[2:3]
	;;#ASMEND
	v_pk_add_f32 v[2:3], v[8:9], 1.0 op_sel_hi:[1,0]
	;; [unrolled: 4-line block ×3, first 2 shown]
	;;#ASMSTART
	v_pk_mul_f32 v[18:19], v[6:7], v[2:3]
	;;#ASMEND
	s_or_b64 exec, exec, s[34:35]
	s_mov_b64 s[8:9], -1
	s_and_b64 vcc, exec, s[30:31]
	s_cbranch_vccz .LBB907_15
.LBB907_19:
	s_and_saveexec_b64 s[8:9], s[0:1]
	s_cbranch_execz .LBB907_21
; %bb.20:
	s_mul_hi_i32 s31, s16, s6
	s_mul_i32 s30, s16, s6
	s_waitcnt vmcnt(0)
	v_cvt_f16_f32_e32 v2, v28
	v_cvt_f16_f32_e32 v3, v32
	;; [unrolled: 1-line block ×8, first 2 shown]
	s_lshl_b64 s[30:31], s[30:31], 1
	s_add_u32 s36, s18, s30
	s_addc_u32 s7, s19, s31
	s_and_b32 s37, s7, 0xffff
	s_mov_b32 s39, 0x20000
	v_pack_b32_f16 v5, v5, v6
	v_pack_b32_f16 v4, v4, v7
	;; [unrolled: 1-line block ×4, first 2 shown]
	v_lshlrev_b32_e32 v6, 5, v0
	buffer_store_dwordx4 v[2:5], v6, s[36:39], 0 offen
	v_cvt_f16_f32_e32 v7, v19
	v_cvt_f16_f32_e32 v2, v22
	;; [unrolled: 1-line block ×8, first 2 shown]
	v_pack_b32_f16 v5, v5, v7
	v_pack_b32_f16 v4, v4, v8
	;; [unrolled: 1-line block ×4, first 2 shown]
	;;#ASMSTART
	s_nop 0
	;;#ASMEND
	buffer_store_dwordx4 v[2:5], v6, s[36:39], 16 offen
	;;#ASMSTART
	s_nop 0
	;;#ASMEND
.LBB907_21:
	s_or_b64 exec, exec, s[8:9]
	s_cbranch_execnz .LBB907_16
.LBB907_22:
	s_waitcnt vmcnt(0)
	v_mov_b32_e32 v2, 0
	s_and_saveexec_b64 s[8:9], s[0:1]
	s_cbranch_execz .LBB907_24
; %bb.23:
	s_load_dwordx2 s[30:31], s[4:5], 0x10
	s_mul_hi_i32 s35, s15, s6
	s_mul_i32 s34, s15, s6
	v_cvt_f16_f32_e32 v2, v28
	v_cvt_f16_f32_e32 v3, v32
	;; [unrolled: 1-line block ×8, first 2 shown]
	s_lshl_b64 s[34:35], s[34:35], 1
	s_waitcnt lgkmcnt(0)
	s_add_u32 s36, s30, s34
	s_addc_u32 s7, s31, s35
	s_mov_b32 s39, 0x20000
	s_and_b32 s37, s7, 0xffff
	v_pack_b32_f16 v5, v5, v6
	v_pack_b32_f16 v4, v4, v7
	;; [unrolled: 1-line block ×4, first 2 shown]
	v_lshlrev_b32_e32 v6, 5, v0
	buffer_store_dwordx4 v[2:5], v6, s[36:39], 0 offen
	v_cvt_f16_f32_e32 v7, v19
	v_cvt_f16_f32_e32 v2, v22
	;; [unrolled: 1-line block ×8, first 2 shown]
	v_pack_b32_f16 v5, v5, v7
	v_pack_b32_f16 v4, v4, v8
	;; [unrolled: 1-line block ×4, first 2 shown]
	;;#ASMSTART
	s_nop 0
	;;#ASMEND
	buffer_store_dwordx4 v[2:5], v6, s[36:39], 16 offen
	;;#ASMSTART
	s_nop 0
	;;#ASMEND
	s_nop 0
	v_mov_b32_e32 v2, 0x2edbe6ff
.LBB907_24:
	s_or_b64 exec, exec, s[8:9]
	s_and_saveexec_b64 s[8:9], s[0:1]
	s_cbranch_execz .LBB907_26
; %bb.25:
	v_and_b32_e32 v3, 0x7fffffff, v28
	v_and_b32_e32 v4, 0x7fffffff, v29
	;;#ASMSTART
	v_max3_f32 v2, v2, v3, v4

	;;#ASMEND
	v_and_b32_e32 v3, 0x7fffffff, v32
	v_and_b32_e32 v4, 0x7fffffff, v33
	;;#ASMSTART
	v_max3_f32 v2, v2, v3, v4

	;;#ASMEND
	v_and_b32_e32 v3, 0x7fffffff, v26
	v_and_b32_e32 v4, 0x7fffffff, v27
	;;#ASMSTART
	v_max3_f32 v2, v2, v3, v4

	;;#ASMEND
	v_and_b32_e32 v3, 0x7fffffff, v30
	v_and_b32_e32 v4, 0x7fffffff, v31
	;;#ASMSTART
	v_max3_f32 v2, v2, v3, v4

	;;#ASMEND
	v_and_b32_e32 v3, 0x7fffffff, v22
	v_and_b32_e32 v4, 0x7fffffff, v23
	;;#ASMSTART
	v_max3_f32 v2, v2, v3, v4

	;;#ASMEND
	v_and_b32_e32 v3, 0x7fffffff, v24
	v_and_b32_e32 v4, 0x7fffffff, v25
	;;#ASMSTART
	v_max3_f32 v2, v2, v3, v4

	;;#ASMEND
	v_and_b32_e32 v3, 0x7fffffff, v20
	v_and_b32_e32 v4, 0x7fffffff, v21
	;;#ASMSTART
	v_max3_f32 v2, v2, v3, v4

	;;#ASMEND
	v_and_b32_e32 v3, 0x7fffffff, v18
	v_and_b32_e32 v4, 0x7fffffff, v19
	;;#ASMSTART
	v_max3_f32 v2, v2, v3, v4

	;;#ASMEND
.LBB907_26:
	s_or_b64 exec, exec, s[8:9]
	v_cmp_eq_u32_e32 vcc, 0, v10
	v_cmp_gt_i32_e64 s[8:9], s23, v1
	s_and_b64 s[30:31], vcc, s[8:9]
	;;#ASMSTART
	v_max_f32 v3, v2, v2 quad_perm:[1,0,3,2] row_mask:0xf bank_mask:0xf bound_ctrl:1
	;;#ASMEND
	;;#ASMSTART
	v_max_f32 v4, v3, v3 quad_perm:[2,3,0,1] row_mask:0xf bank_mask:0xf bound_ctrl:1
	;;#ASMEND
	;;#ASMSTART
	v_max_f32 v2, v4, v4 row_half_mirror row_mask:0xf bank_mask:0xf bound_ctrl:1
	;;#ASMEND
	s_and_saveexec_b64 s[8:9], s[30:31]
	s_cbranch_execz .LBB907_28
; %bb.27:
	s_load_dwordx2 s[30:31], s[4:5], 0x8
	v_mul_f32_e32 v2, 0x3e2aaaab, v2
	v_lshrrev_b32_e32 v3, 23, v2
	v_and_b32_e32 v4, 0x7f800000, v2
	v_and_b32_e32 v2, 0x7fffff, v2
	v_cmp_ne_u32_e32 vcc, 0, v2
	s_mul_hi_i32 s15, s13, s6
	s_mul_i32 s13, s13, s6
	s_mov_b32 s7, 0x7f800000
	v_addc_co_u32_e32 v2, vcc, 0, v3, vcc
	s_waitcnt lgkmcnt(0)
	s_add_u32 s30, s30, s13
	v_cmp_ne_u32_e32 vcc, s7, v4
	s_addc_u32 s31, s31, s15
	v_lshrrev_b32_e32 v5, 3, v0
	v_cndmask_b32_e32 v4, -1, v2, vcc
	v_pk_mov_b32 v[2:3], s[30:31], s[30:31] op_sel:[0,1]
	v_mad_i64_i32 v[2:3], s[14:15], s14, v5, v[2:3]
	global_store_byte v[2:3], v4, off
.LBB907_28:
	s_or_b64 exec, exec, s[8:9]
	s_and_saveexec_b64 s[8:9], s[0:1]
	s_cbranch_execz .LBB907_30
; %bb.29:
	s_load_dwordx2 s[0:1], s[4:5], 0x0
	s_mul_hi_i32 s7, s12, s6
	s_mul_i32 s12, s12, s6
	v_mov_b32_e32 v2, 0
	v_lshlrev_b32_e32 v4, 3, v0
	s_waitcnt lgkmcnt(0)
	s_add_u32 s12, s0, s12
	s_addc_u32 s0, s1, s7
	s_lshr_b32 s1, s23, 31
	s_add_i32 s1, s23, s1
	s_ashr_i32 s1, s1, 1
	s_add_i32 s1, s1, 3
	s_ashr_i32 s7, s1, 31
	s_lshr_b32 s7, s7, 30
	s_add_i32 s1, s1, s7
	s_and_b32 s14, s1, -4
	s_and_b32 s13, s0, 0xffff
	s_mov_b32 s15, 0x20000
	v_mov_b32_e32 v3, v2
	buffer_store_dwordx2 v[2:3], v4, s[12:15], 0 offen
	;;#ASMSTART
	s_nop 0
	;;#ASMEND
.LBB907_30:
	s_or_b64 exec, exec, s[8:9]
	s_cmp_lt_i32 s24, 1
	s_cbranch_scc1 .LBB907_17
.LBB907_31:
	s_load_dword s0, s[4:5], 0x94
	s_waitcnt lgkmcnt(0)
	s_cmp_lg_u32 s0, 1
	s_cbranch_scc1 .LBB907_17
; %bb.32:
	s_lshl_b32 s0, s24, 1
	s_add_i32 s0, s0, 2
	v_cmp_gt_u32_e32 vcc, s24, v1
	s_and_b32 s30, s0, -4
	v_mov_b32_e32 v18, 0
	v_lshlrev_b32_e32 v1, 5, v0
	s_waitcnt vmcnt(2)
	v_mov_b32_e32 v14, 0
	v_mov_b32_e32 v15, 0
	;; [unrolled: 1-line block ×8, first 2 shown]
	s_waitcnt vmcnt(1)
	v_mov_b32_e32 v6, 0
	v_mov_b32_e32 v7, 0
	;; [unrolled: 1-line block ×4, first 2 shown]
	s_waitcnt vmcnt(0)
	v_mov_b32_e32 v2, 0
	v_mov_b32_e32 v3, 0
	;; [unrolled: 1-line block ×4, first 2 shown]
	s_barrier
	s_and_saveexec_b64 s[0:1], vcc
	s_cbranch_execz .LBB907_34
; %bb.33:
	s_mul_hi_i32 s5, s26, s6
	s_mul_i32 s4, s26, s6
	s_and_b32 s29, s29, 0xffff
	s_lshl_b64 s[4:5], s[4:5], 1
	s_add_u32 s8, s10, s4
	s_mov_b32 s31, 0x20000
	s_addc_u32 s4, s11, s5
	s_and_b32 s9, s4, 0xffff
	s_mov_b32 s10, s30
	s_mov_b32 s11, s31
	buffer_load_dwordx4 v[14:17], v1, s[8:11], 0 offen
	buffer_load_dwordx4 v[10:13], v1, s[8:11], 16 offen
	;; [unrolled: 1-line block ×4, first 2 shown]
.LBB907_34:
	s_or_b64 exec, exec, s[0:1]
	v_mov_b32_e32 v19, 0
	v_mov_b32_e32 v32, 0
	;; [unrolled: 1-line block ×15, first 2 shown]
	s_and_saveexec_b64 s[0:1], vcc
	s_cbranch_execz .LBB907_36
; %bb.35:
	s_waitcnt vmcnt(3)
	v_cvt_f32_f16_sdwa v19, v14 dst_sel:DWORD dst_unused:UNUSED_PAD src0_sel:WORD_1
	v_cvt_f32_f16_e32 v18, v14
	v_cvt_f32_f16_sdwa v33, v15 dst_sel:DWORD dst_unused:UNUSED_PAD src0_sel:WORD_1
	v_cvt_f32_f16_e32 v32, v15
	v_cvt_f32_f16_sdwa v31, v16 dst_sel:DWORD dst_unused:UNUSED_PAD src0_sel:WORD_1
	v_cvt_f32_f16_e32 v30, v16
	v_cvt_f32_f16_sdwa v29, v17 dst_sel:DWORD dst_unused:UNUSED_PAD src0_sel:WORD_1
	v_cvt_f32_f16_e32 v28, v17
	s_waitcnt vmcnt(2)
	v_cvt_f32_f16_sdwa v27, v10 dst_sel:DWORD dst_unused:UNUSED_PAD src0_sel:WORD_1
	v_cvt_f32_f16_e32 v26, v10
	v_cvt_f32_f16_sdwa v25, v11 dst_sel:DWORD dst_unused:UNUSED_PAD src0_sel:WORD_1
	v_cvt_f32_f16_e32 v24, v11
	;; [unrolled: 2-line block ×4, first 2 shown]
.LBB907_36:
	s_or_b64 exec, exec, s[0:1]
	s_waitcnt vmcnt(2)
	v_mul_f32_e32 v10, v19, v19
	v_fmac_f32_e32 v10, v18, v18
	v_fmac_f32_e32 v10, v32, v32
	;; [unrolled: 1-line block ×15, first 2 shown]
	s_nop 1
	v_mov_b32_dpp v11, v10 quad_perm:[1,0,3,2] row_mask:0xf bank_mask:0xf
	v_add_f32_e32 v10, v10, v11
	s_nop 1
	v_mov_b32_dpp v11, v10 quad_perm:[2,3,0,1] row_mask:0xf bank_mask:0xf
	v_add_f32_e32 v10, v10, v11
	s_nop 1
	v_mov_b32_dpp v11, v10 row_half_mirror row_mask:0xf bank_mask:0xf
	v_add_f32_e32 v10, v10, v11
	s_nop 1
	v_mov_b32_dpp v11, v10 row_mirror row_mask:0xf bank_mask:0xf
	v_add_f32_e32 v10, v10, v11
	s_nop 1
	v_mov_b32_dpp v11, v10 row_bcast:15 row_mask:0xf bank_mask:0xf
	v_add_f32_e32 v10, v10, v11
	s_nop 1
	v_mov_b32_dpp v11, v10 row_bcast:31 row_mask:0xf bank_mask:0xf
	s_and_saveexec_b64 s[0:1], s[2:3]
	s_cbranch_execz .LBB907_38
; %bb.37:
	v_lshrrev_b32_e32 v0, 4, v0
	v_add_f32_e32 v10, v10, v11
	v_and_b32_e32 v0, 60, v0
	ds_write_b32 v0, v10
.LBB907_38:
	s_or_b64 exec, exec, s[0:1]
	s_waitcnt lgkmcnt(0)
	s_barrier
	ds_read_b32 v0, v34
	s_waitcnt lgkmcnt(0)
	s_nop 0
	v_mov_b32_dpp v10, v0 quad_perm:[1,0,3,2] row_mask:0xf bank_mask:0xf
	v_add_f32_e32 v0, v0, v10
	s_nop 1
	v_mov_b32_dpp v10, v0 quad_perm:[2,3,0,1] row_mask:0xf bank_mask:0xf
	v_add_f32_e32 v0, v0, v10
	s_nop 1
	v_mov_b32_dpp v10, v0 row_half_mirror row_mask:0xf bank_mask:0xf
	s_and_saveexec_b64 s[0:1], vcc
	s_cbranch_execz .LBB907_17
; %bb.39:
	v_cvt_f32_u32_e32 v11, s24
	v_add_f32_e32 v0, v0, v10
	s_mov_b32 s31, 0x20000
	v_div_scale_f32 v10, s[0:1], v11, v11, v0
	v_rcp_f32_e32 v12, v10
	v_div_scale_f32 v13, vcc, v0, v11, v0
	s_mov_b32 s0, 0x800000
	v_fma_f32 v14, -v10, v12, 1.0
	v_fmac_f32_e32 v12, v14, v12
	v_mul_f32_e32 v14, v13, v12
	v_fma_f32 v15, -v10, v14, v13
	v_fmac_f32_e32 v14, v15, v12
	v_fma_f32 v10, -v10, v14, v13
	v_div_fmas_f32 v10, v10, v12, v14
	v_div_fixup_f32 v0, v10, v11, v0
	v_add_f32_e32 v0, s21, v0
	v_mul_f32_e32 v10, 0x4b800000, v0
	v_cmp_gt_f32_e32 vcc, s0, v0
	v_cndmask_b32_e32 v0, v0, v10, vcc
	v_rsq_f32_e32 v0, v0
	s_mul_hi_i32 s1, s16, s6
	s_mul_i32 s0, s16, s6
	s_lshl_b64 s[0:1], s[0:1], 1
	v_mul_f32_e32 v10, 0x45800000, v0
	v_cndmask_b32_e32 v10, v0, v10, vcc
	v_mov_b32_e32 v11, v10
	;;#ASMSTART
	v_pk_mul_f32 v[12:13], v[18:19], v[10:11]
	;;#ASMEND
	;;#ASMSTART
	v_pk_mul_f32 v[14:15], v[32:33], v[10:11]
	;;#ASMEND
	;; [unrolled: 3-line block ×4, first 2 shown]
	s_waitcnt vmcnt(1)
	v_cvt_f32_f16_sdwa v29, v6 dst_sel:DWORD dst_unused:UNUSED_PAD src0_sel:WORD_1
	v_cvt_f32_f16_e32 v28, v6
	v_cvt_f32_f16_sdwa v31, v7 dst_sel:DWORD dst_unused:UNUSED_PAD src0_sel:WORD_1
	v_cvt_f32_f16_e32 v30, v7
	;;#ASMSTART
	v_pk_mul_f32 v[26:27], v[26:27], v[10:11]
	;;#ASMEND
	;;#ASMSTART
	v_pk_mul_f32 v[24:25], v[24:25], v[10:11]
	;;#ASMEND
	;; [unrolled: 3-line block ×4, first 2 shown]
	v_cvt_f32_f16_sdwa v21, v8 dst_sel:DWORD dst_unused:UNUSED_PAD src0_sel:WORD_1
	v_cvt_f32_f16_e32 v20, v8
	v_pk_add_f32 v[10:11], v[28:29], 1.0 op_sel_hi:[1,0]
	;;#ASMSTART
	v_pk_mul_f32 v[10:11], v[12:13], v[10:11]
	;;#ASMEND
	v_pk_add_f32 v[12:13], v[30:31], 1.0 op_sel_hi:[1,0]
	v_cvt_f32_f16_sdwa v29, v9 dst_sel:DWORD dst_unused:UNUSED_PAD src0_sel:WORD_1
	v_cvt_f32_f16_e32 v28, v9
	;;#ASMSTART
	v_pk_mul_f32 v[8:9], v[14:15], v[12:13]
	;;#ASMEND
	v_pk_add_f32 v[12:13], v[20:21], 1.0 op_sel_hi:[1,0]
	;;#ASMSTART
	v_pk_mul_f32 v[12:13], v[16:17], v[12:13]
	;;#ASMEND
	s_waitcnt vmcnt(0)
	v_cvt_f32_f16_sdwa v17, v2 dst_sel:DWORD dst_unused:UNUSED_PAD src0_sel:WORD_1
	v_cvt_f32_f16_e32 v16, v2
	v_cvt_f32_f16_sdwa v21, v3 dst_sel:DWORD dst_unused:UNUSED_PAD src0_sel:WORD_1
	v_cvt_f32_f16_e32 v20, v3
	v_pk_add_f32 v[14:15], v[28:29], 1.0 op_sel_hi:[1,0]
	;;#ASMSTART
	v_pk_mul_f32 v[2:3], v[18:19], v[14:15]
	;;#ASMEND
	v_cvt_f32_f16_sdwa v19, v4 dst_sel:DWORD dst_unused:UNUSED_PAD src0_sel:WORD_1
	v_cvt_f32_f16_e32 v18, v4
	v_pk_add_f32 v[14:15], v[16:17], 1.0 op_sel_hi:[1,0]
	v_pk_add_f32 v[16:17], v[20:21], 1.0 op_sel_hi:[1,0]
	v_cvt_f32_f16_sdwa v21, v5 dst_sel:DWORD dst_unused:UNUSED_PAD src0_sel:WORD_1
	v_cvt_f32_f16_e32 v20, v5
	v_pk_add_f32 v[4:5], v[18:19], 1.0 op_sel_hi:[1,0]
	;;#ASMSTART
	v_pk_mul_f32 v[14:15], v[26:27], v[14:15]
	;;#ASMEND
	;;#ASMSTART
	v_pk_mul_f32 v[16:17], v[24:25], v[16:17]
	;;#ASMEND
	;; [unrolled: 3-line block ×3, first 2 shown]
	v_pk_add_f32 v[4:5], v[20:21], 1.0 op_sel_hi:[1,0]
	;;#ASMSTART
	v_pk_mul_f32 v[6:7], v[6:7], v[4:5]
	;;#ASMEND
	v_cvt_f16_f32_e32 v0, v10
	v_cvt_f16_f32_e32 v4, v11
	v_cvt_f16_f32_e32 v5, v8
	v_cvt_f16_f32_e32 v8, v9
	v_cvt_f16_f32_e32 v9, v12
	v_cvt_f16_f32_e32 v10, v13
	v_cvt_f16_f32_e32 v11, v2
	v_cvt_f16_f32_e32 v12, v3
	s_add_u32 s28, s18, s0
	s_addc_u32 s0, s19, s1
	s_and_b32 s29, s0, 0xffff
	v_pack_b32_f16 v2, v0, v4
	v_pack_b32_f16 v3, v5, v8
	v_pack_b32_f16 v4, v9, v10
	v_pack_b32_f16 v5, v11, v12
	buffer_store_dwordx4 v[2:5], v1, s[28:31], 0 offen
	v_cvt_f16_f32_e32 v0, v14
	v_cvt_f16_f32_e32 v2, v15
	v_cvt_f16_f32_e32 v3, v16
	v_cvt_f16_f32_e32 v4, v17
	v_cvt_f16_f32_e32 v5, v18
	v_cvt_f16_f32_e32 v8, v19
	v_cvt_f16_f32_e32 v6, v6
	v_cvt_f16_f32_e32 v7, v7
	v_pack_b32_f16 v2, v0, v2
	v_pack_b32_f16 v3, v3, v4
	;; [unrolled: 1-line block ×4, first 2 shown]
	;;#ASMSTART
	s_nop 0
	;;#ASMEND
	buffer_store_dwordx4 v[2:5], v1, s[28:31], 16 offen
	;;#ASMSTART
	s_nop 0
	;;#ASMEND
	s_endpgm
	.section	.rodata,"a",@progbits
	.p2align	6, 0x0
	.amdhsa_kernel _ZN5aiter35fused_qk_rmsnorm_group_quant_kernelIDF16_N4opus5fp4_tELi512ELi16ELi8ELb1ELb1ELb1ELb0ELb0ELb0EEEvPT0_PvPT_S7_S7_PKS6_S9_S9_S9_S9_ffiiiiiiiiiiiii
		.amdhsa_group_segment_fixed_size 64
		.amdhsa_private_segment_fixed_size 0
		.amdhsa_kernarg_size 400
		.amdhsa_user_sgpr_count 6
		.amdhsa_user_sgpr_private_segment_buffer 1
		.amdhsa_user_sgpr_dispatch_ptr 0
		.amdhsa_user_sgpr_queue_ptr 0
		.amdhsa_user_sgpr_kernarg_segment_ptr 1
		.amdhsa_user_sgpr_dispatch_id 0
		.amdhsa_user_sgpr_flat_scratch_init 0
		.amdhsa_user_sgpr_kernarg_preload_length 0
		.amdhsa_user_sgpr_kernarg_preload_offset 0
		.amdhsa_user_sgpr_private_segment_size 0
		.amdhsa_uses_dynamic_stack 0
		.amdhsa_system_sgpr_private_segment_wavefront_offset 0
		.amdhsa_system_sgpr_workgroup_id_x 1
		.amdhsa_system_sgpr_workgroup_id_y 1
		.amdhsa_system_sgpr_workgroup_id_z 0
		.amdhsa_system_sgpr_workgroup_info 0
		.amdhsa_system_vgpr_workitem_id 0
		.amdhsa_next_free_vgpr 49
		.amdhsa_next_free_sgpr 44
		.amdhsa_accum_offset 52
		.amdhsa_reserve_vcc 1
		.amdhsa_reserve_flat_scratch 0
		.amdhsa_float_round_mode_32 0
		.amdhsa_float_round_mode_16_64 0
		.amdhsa_float_denorm_mode_32 3
		.amdhsa_float_denorm_mode_16_64 3
		.amdhsa_dx10_clamp 1
		.amdhsa_ieee_mode 1
		.amdhsa_fp16_overflow 0
		.amdhsa_tg_split 0
		.amdhsa_exception_fp_ieee_invalid_op 0
		.amdhsa_exception_fp_denorm_src 0
		.amdhsa_exception_fp_ieee_div_zero 0
		.amdhsa_exception_fp_ieee_overflow 0
		.amdhsa_exception_fp_ieee_underflow 0
		.amdhsa_exception_fp_ieee_inexact 0
		.amdhsa_exception_int_div_zero 0
	.end_amdhsa_kernel
	.section	.text._ZN5aiter35fused_qk_rmsnorm_group_quant_kernelIDF16_N4opus5fp4_tELi512ELi16ELi8ELb1ELb1ELb1ELb0ELb0ELb0EEEvPT0_PvPT_S7_S7_PKS6_S9_S9_S9_S9_ffiiiiiiiiiiiii,"axG",@progbits,_ZN5aiter35fused_qk_rmsnorm_group_quant_kernelIDF16_N4opus5fp4_tELi512ELi16ELi8ELb1ELb1ELb1ELb0ELb0ELb0EEEvPT0_PvPT_S7_S7_PKS6_S9_S9_S9_S9_ffiiiiiiiiiiiii,comdat
.Lfunc_end907:
	.size	_ZN5aiter35fused_qk_rmsnorm_group_quant_kernelIDF16_N4opus5fp4_tELi512ELi16ELi8ELb1ELb1ELb1ELb0ELb0ELb0EEEvPT0_PvPT_S7_S7_PKS6_S9_S9_S9_S9_ffiiiiiiiiiiiii, .Lfunc_end907-_ZN5aiter35fused_qk_rmsnorm_group_quant_kernelIDF16_N4opus5fp4_tELi512ELi16ELi8ELb1ELb1ELb1ELb0ELb0ELb0EEEvPT0_PvPT_S7_S7_PKS6_S9_S9_S9_S9_ffiiiiiiiiiiiii
                                        ; -- End function
	.section	.AMDGPU.csdata,"",@progbits
; Kernel info:
; codeLenInByte = 4148
; NumSgprs: 48
; NumVgprs: 49
; NumAgprs: 0
; TotalNumVgprs: 49
; ScratchSize: 0
; MemoryBound: 0
; FloatMode: 240
; IeeeMode: 1
; LDSByteSize: 64 bytes/workgroup (compile time only)
; SGPRBlocks: 5
; VGPRBlocks: 6
; NumSGPRsForWavesPerEU: 48
; NumVGPRsForWavesPerEU: 49
; AccumOffset: 52
; Occupancy: 8
; WaveLimiterHint : 0
; COMPUTE_PGM_RSRC2:SCRATCH_EN: 0
; COMPUTE_PGM_RSRC2:USER_SGPR: 6
; COMPUTE_PGM_RSRC2:TRAP_HANDLER: 0
; COMPUTE_PGM_RSRC2:TGID_X_EN: 1
; COMPUTE_PGM_RSRC2:TGID_Y_EN: 1
; COMPUTE_PGM_RSRC2:TGID_Z_EN: 0
; COMPUTE_PGM_RSRC2:TIDIG_COMP_CNT: 0
; COMPUTE_PGM_RSRC3_GFX90A:ACCUM_OFFSET: 12
; COMPUTE_PGM_RSRC3_GFX90A:TG_SPLIT: 0
	.section	.text._ZN5aiter35fused_qk_rmsnorm_group_quant_kernelItN4opus5fp4_tELi512ELi16ELi8ELb1ELb1ELb1ELb0ELb0ELb0EEEvPT0_PvPT_S7_S7_PKS6_S9_S9_S9_S9_ffiiiiiiiiiiiii,"axG",@progbits,_ZN5aiter35fused_qk_rmsnorm_group_quant_kernelItN4opus5fp4_tELi512ELi16ELi8ELb1ELb1ELb1ELb0ELb0ELb0EEEvPT0_PvPT_S7_S7_PKS6_S9_S9_S9_S9_ffiiiiiiiiiiiii,comdat
	.protected	_ZN5aiter35fused_qk_rmsnorm_group_quant_kernelItN4opus5fp4_tELi512ELi16ELi8ELb1ELb1ELb1ELb0ELb0ELb0EEEvPT0_PvPT_S7_S7_PKS6_S9_S9_S9_S9_ffiiiiiiiiiiiii ; -- Begin function _ZN5aiter35fused_qk_rmsnorm_group_quant_kernelItN4opus5fp4_tELi512ELi16ELi8ELb1ELb1ELb1ELb0ELb0ELb0EEEvPT0_PvPT_S7_S7_PKS6_S9_S9_S9_S9_ffiiiiiiiiiiiii
	.globl	_ZN5aiter35fused_qk_rmsnorm_group_quant_kernelItN4opus5fp4_tELi512ELi16ELi8ELb1ELb1ELb1ELb0ELb0ELb0EEEvPT0_PvPT_S7_S7_PKS6_S9_S9_S9_S9_ffiiiiiiiiiiiii
	.p2align	8
	.type	_ZN5aiter35fused_qk_rmsnorm_group_quant_kernelItN4opus5fp4_tELi512ELi16ELi8ELb1ELb1ELb1ELb0ELb0ELb0EEEvPT0_PvPT_S7_S7_PKS6_S9_S9_S9_S9_ffiiiiiiiiiiiii,@function
_ZN5aiter35fused_qk_rmsnorm_group_quant_kernelItN4opus5fp4_tELi512ELi16ELi8ELb1ELb1ELb1ELb0ELb0ELb0EEEvPT0_PvPT_S7_S7_PKS6_S9_S9_S9_S9_ffiiiiiiiiiiiii: ; @_ZN5aiter35fused_qk_rmsnorm_group_quant_kernelItN4opus5fp4_tELi512ELi16ELi8ELb1ELb1ELb1ELb0ELb0ELb0EEEvPT0_PvPT_S7_S7_PKS6_S9_S9_S9_S9_ffiiiiiiiiiiiii
; %bb.0:
	s_load_dwordx8 s[20:27], s[4:5], 0x50
	s_waitcnt lgkmcnt(0)
	s_cmp_ge_i32 s6, s22
	s_cbranch_scc1 .LBB908_17
; %bb.1:
	s_load_dwordx2 s[28:29], s[4:5], 0x48
	s_load_dwordx2 s[10:11], s[4:5], 0x30
	s_load_dwordx8 s[12:19], s[4:5], 0x70
	s_cmp_lg_u32 s7, 0
	s_waitcnt lgkmcnt(0)
	s_cselect_b64 s[18:19], -1, 0
	s_cmp_eq_u32 s7, 0
	s_cselect_b64 s[8:9], -1, 0
	s_and_b64 s[0:1], s[8:9], exec
	s_cselect_b32 s7, s23, s24
	s_add_i32 s0, s7, 1
	s_lshr_b32 s1, s0, 31
	s_add_i32 s0, s0, s1
	s_lshl_b32 s0, s0, 1
	v_lshlrev_b32_e32 v1, 4, v0
	s_and_b32 s38, s0, -4
	v_cmp_gt_i32_e64 s[0:1], s7, v1
	v_mov_b32_e32 v62, 0
	v_mov_b32_e32 v63, 0
	;; [unrolled: 1-line block ×16, first 2 shown]
	s_and_saveexec_b64 s[2:3], s[0:1]
	s_cbranch_execz .LBB908_3
; %bb.2:
	s_load_dwordx2 s[30:31], s[4:5], 0x28
	s_load_dwordx2 s[34:35], s[4:5], 0x40
	s_and_b64 s[36:37], s[8:9], exec
	s_cselect_b32 s22, s25, s26
	s_mov_b32 s39, 0x20000
	s_waitcnt lgkmcnt(0)
	s_cselect_b32 s25, s31, s11
	s_cselect_b32 s33, s30, s10
	s_mul_hi_i32 s31, s22, s6
	s_mul_i32 s30, s22, s6
	s_lshl_b64 s[30:31], s[30:31], 1
	s_add_u32 s40, s33, s30
	s_addc_u32 s22, s25, s31
	s_and_b64 s[30:31], s[8:9], exec
	s_cselect_b32 s36, s34, s28
	s_cselect_b32 s25, s35, s29
	s_and_b32 s41, s22, 0xffff
	s_mov_b32 s42, s38
	s_mov_b32 s43, s39
	v_lshlrev_b32_e32 v2, 5, v0
	s_and_b32 s37, s25, 0xffff
	buffer_load_dwordx4 v[66:69], v2, s[40:43], 0 offen
	buffer_load_dwordx4 v[70:73], v2, s[40:43], 16 offen
	buffer_load_dwordx4 v[62:65], v2, s[36:39], 0 offen
	buffer_load_dwordx4 v[58:61], v2, s[36:39], 16 offen
.LBB908_3:
	s_or_b64 exec, exec, s[2:3]
	s_and_b64 vcc, exec, s[18:19]
	s_cbranch_vccz .LBB908_7
; %bb.4:
	v_mov_b32_e32 v75, 0
	v_mov_b32_e32 v74, 0
	;; [unrolled: 1-line block ×16, first 2 shown]
	s_and_saveexec_b64 s[2:3], s[0:1]
	s_cbranch_execz .LBB908_6
; %bb.5:
	s_waitcnt vmcnt(3)
	v_cvt_f32_u32_sdwa v2, v66 dst_sel:DWORD dst_unused:UNUSED_PAD src0_sel:WORD_0
	v_cvt_f32_u32_sdwa v3, v66 dst_sel:DWORD dst_unused:UNUSED_PAD src0_sel:WORD_1
	v_cvt_f32_u32_sdwa v6, v67 dst_sel:DWORD dst_unused:UNUSED_PAD src0_sel:WORD_0
	v_cvt_f32_u32_sdwa v7, v67 dst_sel:DWORD dst_unused:UNUSED_PAD src0_sel:WORD_1
	;; [unrolled: 2-line block ×4, first 2 shown]
	s_waitcnt vmcnt(2)
	v_cvt_f32_u32_sdwa v50, v70 dst_sel:DWORD dst_unused:UNUSED_PAD src0_sel:WORD_0
	v_cvt_f32_u32_sdwa v51, v70 dst_sel:DWORD dst_unused:UNUSED_PAD src0_sel:WORD_1
	v_cvt_f32_u32_sdwa v24, v71 dst_sel:DWORD dst_unused:UNUSED_PAD src0_sel:WORD_0
	v_cvt_f32_u32_sdwa v25, v71 dst_sel:DWORD dst_unused:UNUSED_PAD src0_sel:WORD_1
	;; [unrolled: 2-line block ×4, first 2 shown]
.LBB908_6:
	s_or_b64 exec, exec, s[2:3]
	s_cbranch_execz .LBB908_8
	s_branch .LBB908_11
.LBB908_7:
                                        ; implicit-def: $vgpr2_vgpr3_vgpr4_vgpr5_vgpr6_vgpr7_vgpr8_vgpr9_vgpr10_vgpr11_vgpr12_vgpr13_vgpr14_vgpr15_vgpr16_vgpr17
                                        ; implicit-def: $vgpr36_vgpr37_vgpr38_vgpr39_vgpr40_vgpr41_vgpr42_vgpr43_vgpr44_vgpr45_vgpr46_vgpr47_vgpr48_vgpr49_vgpr50_vgpr51
                                        ; implicit-def: $vgpr4_vgpr5_vgpr6_vgpr7_vgpr8_vgpr9_vgpr10_vgpr11_vgpr12_vgpr13_vgpr14_vgpr15_vgpr16_vgpr17_vgpr18_vgpr19
                                        ; implicit-def: $vgpr24_vgpr25_vgpr26_vgpr27_vgpr28_vgpr29_vgpr30_vgpr31_vgpr32_vgpr33_vgpr34_vgpr35_vgpr36_vgpr37_vgpr38_vgpr39
                                        ; implicit-def: $vgpr75
                                        ; implicit-def: $vgpr42_vgpr43_vgpr44_vgpr45_vgpr46_vgpr47_vgpr48_vgpr49_vgpr50_vgpr51_vgpr52_vgpr53_vgpr54_vgpr55_vgpr56_vgpr57
                                        ; implicit-def: $vgpr14_vgpr15_vgpr16_vgpr17_vgpr18_vgpr19_vgpr20_vgpr21_vgpr22_vgpr23_vgpr24_vgpr25_vgpr26_vgpr27_vgpr28_vgpr29
                                        ; implicit-def: $vgpr8_vgpr9_vgpr10_vgpr11_vgpr12_vgpr13_vgpr14_vgpr15_vgpr16_vgpr17_vgpr18_vgpr19_vgpr20_vgpr21_vgpr22_vgpr23
.LBB908_8:
	v_mov_b32_e32 v75, 0
	v_mov_b32_e32 v74, 0
	;; [unrolled: 1-line block ×16, first 2 shown]
	s_and_saveexec_b64 s[2:3], s[0:1]
	s_cbranch_execz .LBB908_10
; %bb.9:
	s_load_dwordx2 s[30:31], s[4:5], 0x38
	s_mul_hi_i32 s35, s27, s6
	s_mul_i32 s34, s27, s6
	s_lshl_b64 s[34:35], s[34:35], 1
	s_mov_b32 s39, 0x20000
	s_waitcnt lgkmcnt(0)
	s_add_u32 s36, s30, s34
	s_addc_u32 s22, s31, s35
	s_and_b32 s37, s22, 0xffff
	v_lshlrev_b32_e32 v38, 5, v0
	buffer_load_dwordx4 v[6:9], v38, s[36:39], 16 offen
	buffer_load_dwordx4 v[10:13], v38, s[36:39], 0 offen
	s_load_dwordx2 s[30:31], s[4:5], 0x20
	s_waitcnt vmcnt(5)
	v_cvt_f32_u32_sdwa v3, v66 dst_sel:DWORD dst_unused:UNUSED_PAD src0_sel:WORD_1
	v_cvt_f32_u32_sdwa v2, v66 dst_sel:DWORD dst_unused:UNUSED_PAD src0_sel:WORD_0
	v_cvt_f32_u32_sdwa v21, v67 dst_sel:DWORD dst_unused:UNUSED_PAD src0_sel:WORD_1
	v_cvt_f32_u32_sdwa v20, v67 dst_sel:DWORD dst_unused:UNUSED_PAD src0_sel:WORD_0
	;; [unrolled: 2-line block ×4, first 2 shown]
	s_waitcnt vmcnt(4)
	v_cvt_f32_u32_sdwa v5, v70 dst_sel:DWORD dst_unused:UNUSED_PAD src0_sel:WORD_1
	v_cvt_f32_u32_sdwa v4, v70 dst_sel:DWORD dst_unused:UNUSED_PAD src0_sel:WORD_0
	v_cvt_f32_u32_sdwa v15, v71 dst_sel:DWORD dst_unused:UNUSED_PAD src0_sel:WORD_1
	v_cvt_f32_u32_sdwa v14, v71 dst_sel:DWORD dst_unused:UNUSED_PAD src0_sel:WORD_0
	;; [unrolled: 2-line block ×3, first 2 shown]
	v_cvt_f32_u32_sdwa v18, v73 dst_sel:DWORD dst_unused:UNUSED_PAD src0_sel:WORD_0
	v_cvt_f32_u32_sdwa v19, v73 dst_sel:DWORD dst_unused:UNUSED_PAD src0_sel:WORD_1
	s_mul_hi_i32 s35, s17, s6
	s_mul_i32 s34, s17, s6
	s_lshl_b64 s[34:35], s[34:35], 1
	s_waitcnt lgkmcnt(0)
	s_add_u32 s36, s30, s34
	s_mov_b32 s17, 0x7060302
	s_addc_u32 s22, s31, s35
	s_and_b32 s37, s22, 0xffff
	s_waitcnt vmcnt(1)
	v_cvt_f32_u32_sdwa v27, v6 dst_sel:DWORD dst_unused:UNUSED_PAD src0_sel:WORD_1
	v_cvt_f32_u32_sdwa v26, v6 dst_sel:DWORD dst_unused:UNUSED_PAD src0_sel:WORD_0
	v_cvt_f32_u32_sdwa v29, v7 dst_sel:DWORD dst_unused:UNUSED_PAD src0_sel:WORD_1
	v_cvt_f32_u32_sdwa v28, v7 dst_sel:DWORD dst_unused:UNUSED_PAD src0_sel:WORD_0
	;; [unrolled: 2-line block ×3, first 2 shown]
	v_cvt_f32_u32_sdwa v34, v9 dst_sel:DWORD dst_unused:UNUSED_PAD src0_sel:WORD_0
	v_cvt_f32_u32_sdwa v35, v9 dst_sel:DWORD dst_unused:UNUSED_PAD src0_sel:WORD_1
	s_waitcnt vmcnt(0)
	v_cvt_f32_u32_sdwa v37, v10 dst_sel:DWORD dst_unused:UNUSED_PAD src0_sel:WORD_1
	v_cvt_f32_u32_sdwa v36, v10 dst_sel:DWORD dst_unused:UNUSED_PAD src0_sel:WORD_0
	v_cvt_f32_u32_sdwa v7, v12 dst_sel:DWORD dst_unused:UNUSED_PAD src0_sel:WORD_1
	v_cvt_f32_u32_sdwa v6, v12 dst_sel:DWORD dst_unused:UNUSED_PAD src0_sel:WORD_0
	;; [unrolled: 2-line block ×4, first 2 shown]
	v_pk_add_f32 v[40:41], v[22:23], v[6:7]
	v_pk_add_f32 v[30:31], v[24:25], v[8:9]
	;; [unrolled: 1-line block ×4, first 2 shown]
	v_perm_b32 v11, v31, v30, s17
	v_perm_b32 v10, v41, v40, s17
	v_perm_b32 v9, v7, v6, s17
	v_perm_b32 v8, v3, v2, s17
	v_pk_add_f32 v[74:75], v[18:19], v[34:35]
	v_pk_add_f32 v[20:21], v[16:17], v[32:33]
	;; [unrolled: 1-line block ×4, first 2 shown]
	buffer_store_dwordx4 v[8:11], v38, s[36:39], 0 offen
	;;#ASMSTART
	s_nop 0
	;;#ASMEND
	s_nop 0
	v_perm_b32 v11, v75, v74, s17
	v_perm_b32 v10, v21, v20, s17
	;; [unrolled: 1-line block ×4, first 2 shown]
	buffer_store_dwordx4 v[8:11], v38, s[36:39], 16 offen
	;;#ASMSTART
	s_nop 0
	;;#ASMEND
.LBB908_10:
	s_or_b64 exec, exec, s[2:3]
.LBB908_11:
	v_mul_f32_e32 v4, v3, v3
	v_fmac_f32_e32 v4, v2, v2
	v_fmac_f32_e32 v4, v6, v6
	;; [unrolled: 1-line block ×15, first 2 shown]
	s_nop 1
	v_mov_b32_dpp v5, v4 quad_perm:[1,0,3,2] row_mask:0xf bank_mask:0xf
	v_add_f32_e32 v4, v4, v5
	s_nop 1
	v_mov_b32_dpp v5, v4 quad_perm:[2,3,0,1] row_mask:0xf bank_mask:0xf
	v_add_f32_e32 v4, v4, v5
	s_nop 1
	v_mov_b32_dpp v5, v4 row_half_mirror row_mask:0xf bank_mask:0xf
	v_add_f32_e32 v4, v4, v5
	s_nop 1
	v_mov_b32_dpp v5, v4 row_mirror row_mask:0xf bank_mask:0xf
	v_add_f32_e32 v4, v4, v5
	s_nop 1
	v_mov_b32_dpp v5, v4 row_bcast:15 row_mask:0xf bank_mask:0xf
	v_add_f32_e32 v4, v4, v5
	v_and_b32_e32 v5, 63, v0
	v_cmp_eq_u32_e64 s[2:3], 63, v5
	s_nop 0
	v_mov_b32_dpp v5, v4 row_bcast:31 row_mask:0xf bank_mask:0xf
	s_and_saveexec_b64 s[30:31], s[2:3]
	s_cbranch_execz .LBB908_13
; %bb.12:
	v_add_f32_e32 v4, v4, v5
	v_lshrrev_b32_e32 v5, 4, v0
	v_and_b32_e32 v5, 60, v5
	ds_write_b32 v5, v4 offset:32
.LBB908_13:
	s_or_b64 exec, exec, s[30:31]
	v_and_b32_e32 v4, 7, v0
	v_lshlrev_b32_e32 v34, 2, v4
	s_waitcnt lgkmcnt(0)
	s_barrier
	ds_read_b32 v5, v34 offset:32
	s_load_dwordx2 s[34:35], s[4:5], 0x18
	s_waitcnt lgkmcnt(0)
	v_mov_b32_dpp v8, v5 quad_perm:[1,0,3,2] row_mask:0xf bank_mask:0xf
	v_add_f32_e32 v5, v5, v8
	s_nop 1
	v_mov_b32_dpp v8, v5 quad_perm:[2,3,0,1] row_mask:0xf bank_mask:0xf
	v_add_f32_e32 v5, v5, v8
	s_nop 1
	v_mov_b32_dpp v8, v5 row_half_mirror row_mask:0xf bank_mask:0xf
	s_and_saveexec_b64 s[30:31], s[0:1]
	s_cbranch_execnz .LBB908_18
; %bb.14:
	s_or_b64 exec, exec, s[30:31]
	s_mov_b64 s[8:9], -1
	s_and_b64 vcc, exec, s[18:19]
	s_cbranch_vccnz .LBB908_19
.LBB908_15:
	s_andn2_b64 vcc, exec, s[8:9]
	s_cbranch_vccz .LBB908_22
.LBB908_16:
	s_cmp_lt_i32 s24, 1
	s_cbranch_scc0 .LBB908_31
.LBB908_17:
	s_endpgm
.LBB908_18:
	v_add_f32_e32 v5, v5, v8
	v_cvt_f32_u32_e32 v8, s7
	s_mov_b32 s7, 0x800000
	s_waitcnt vmcnt(1)
	v_cvt_f32_u32_sdwa v17, v62 dst_sel:DWORD dst_unused:UNUSED_PAD src0_sel:WORD_1
	v_cvt_f32_u32_sdwa v16, v62 dst_sel:DWORD dst_unused:UNUSED_PAD src0_sel:WORD_0
	v_div_scale_f32 v9, s[36:37], v8, v8, v5
	v_rcp_f32_e32 v10, v9
	v_pk_add_f32 v[16:17], v[16:17], 1.0 op_sel_hi:[1,0]
	v_cvt_f32_u32_sdwa v23, v64 dst_sel:DWORD dst_unused:UNUSED_PAD src0_sel:WORD_1
	v_cvt_f32_u32_sdwa v22, v64 dst_sel:DWORD dst_unused:UNUSED_PAD src0_sel:WORD_0
	v_fma_f32 v11, -v9, v10, 1.0
	v_fmac_f32_e32 v10, v11, v10
	v_div_scale_f32 v11, vcc, v5, v8, v5
	v_mul_f32_e32 v12, v11, v10
	v_fma_f32 v13, -v9, v12, v11
	v_fmac_f32_e32 v12, v13, v10
	v_fma_f32 v9, -v9, v12, v11
	v_div_fmas_f32 v9, v9, v10, v12
	v_div_fixup_f32 v5, v9, v8, v5
	v_mov_b32_e32 v8, s21
	v_mov_b32_e32 v9, s20
	v_cndmask_b32_e64 v8, v8, v9, s[8:9]
	v_add_f32_e32 v5, v8, v5
	v_mul_f32_e32 v8, 0x4b800000, v5
	v_cmp_gt_f32_e32 vcc, s7, v5
	v_cndmask_b32_e32 v5, v5, v8, vcc
	v_rsq_f32_e32 v5, v5
	s_waitcnt vmcnt(0)
	v_cvt_f32_u32_sdwa v27, v59 dst_sel:DWORD dst_unused:UNUSED_PAD src0_sel:WORD_1
	v_cvt_f32_u32_sdwa v26, v59 dst_sel:DWORD dst_unused:UNUSED_PAD src0_sel:WORD_0
	v_cvt_f32_u32_sdwa v29, v60 dst_sel:DWORD dst_unused:UNUSED_PAD src0_sel:WORD_1
	v_mul_f32_e32 v8, 0x45800000, v5
	v_cndmask_b32_e32 v8, v5, v8, vcc
	v_mov_b32_e32 v9, v8
	;;#ASMSTART
	v_pk_mul_f32 v[2:3], v[2:3], v[8:9]
	;;#ASMEND
	;;#ASMSTART
	v_pk_mul_f32 v[6:7], v[6:7], v[8:9]
	;;#ASMEND
	;; [unrolled: 3-line block ×9, first 2 shown]
	v_cvt_f32_u32_sdwa v17, v63 dst_sel:DWORD dst_unused:UNUSED_PAD src0_sel:WORD_1
	v_cvt_f32_u32_sdwa v16, v63 dst_sel:DWORD dst_unused:UNUSED_PAD src0_sel:WORD_0
	v_cvt_f32_u32_sdwa v25, v65 dst_sel:DWORD dst_unused:UNUSED_PAD src0_sel:WORD_1
	v_cvt_f32_u32_sdwa v24, v65 dst_sel:DWORD dst_unused:UNUSED_PAD src0_sel:WORD_0
	v_cvt_f32_u32_sdwa v28, v60 dst_sel:DWORD dst_unused:UNUSED_PAD src0_sel:WORD_0
	v_pk_add_f32 v[16:17], v[16:17], 1.0 op_sel_hi:[1,0]
	;;#ASMSTART
	v_pk_mul_f32 v[6:7], v[6:7], v[16:17]
	;;#ASMEND
	v_pk_add_f32 v[16:17], v[22:23], 1.0 op_sel_hi:[1,0]
	v_pk_add_f32 v[22:23], v[24:25], 1.0 op_sel_hi:[1,0]
	v_cvt_f32_u32_sdwa v25, v58 dst_sel:DWORD dst_unused:UNUSED_PAD src0_sel:WORD_1
	v_cvt_f32_u32_sdwa v24, v58 dst_sel:DWORD dst_unused:UNUSED_PAD src0_sel:WORD_0
	v_cvt_f32_u32_sdwa v31, v61 dst_sel:DWORD dst_unused:UNUSED_PAD src0_sel:WORD_1
	v_cvt_f32_u32_sdwa v30, v61 dst_sel:DWORD dst_unused:UNUSED_PAD src0_sel:WORD_0
	v_pk_add_f32 v[26:27], v[26:27], 1.0 op_sel_hi:[1,0]
	v_pk_add_f32 v[24:25], v[24:25], 1.0 op_sel_hi:[1,0]
	;; [unrolled: 1-line block ×4, first 2 shown]
	;;#ASMSTART
	v_pk_mul_f32 v[40:41], v[10:11], v[16:17]
	;;#ASMEND
	;;#ASMSTART
	v_pk_mul_f32 v[30:31], v[12:13], v[22:23]
	;;#ASMEND
	;; [unrolled: 3-line block ×6, first 2 shown]
	s_or_b64 exec, exec, s[30:31]
	s_mov_b64 s[8:9], -1
	s_and_b64 vcc, exec, s[18:19]
	s_cbranch_vccz .LBB908_15
.LBB908_19:
	s_and_saveexec_b64 s[8:9], s[0:1]
	s_cbranch_execz .LBB908_21
; %bb.20:
	s_mul_hi_i32 s19, s16, s6
	s_mul_i32 s18, s16, s6
	s_lshl_b64 s[18:19], s[18:19], 1
	s_add_u32 s36, s34, s18
	s_addc_u32 s7, s35, s19
	s_and_b32 s37, s7, 0xffff
	s_mov_b32 s7, 0x7060302
	s_mov_b32 s39, 0x20000
	v_perm_b32 v11, v31, v30, s7
	v_perm_b32 v10, v41, v40, s7
	;; [unrolled: 1-line block ×4, first 2 shown]
	v_lshlrev_b32_e32 v5, 5, v0
	buffer_store_dwordx4 v[8:11], v5, s[36:39], 0 offen
	;;#ASMSTART
	s_nop 0
	;;#ASMEND
	s_nop 0
	v_perm_b32 v11, v75, v74, s7
	v_perm_b32 v10, v21, v20, s7
	;; [unrolled: 1-line block ×4, first 2 shown]
	buffer_store_dwordx4 v[8:11], v5, s[36:39], 16 offen
	;;#ASMSTART
	s_nop 0
	;;#ASMEND
.LBB908_21:
	s_or_b64 exec, exec, s[8:9]
	s_cbranch_execnz .LBB908_16
.LBB908_22:
	v_mov_b32_e32 v5, 0
	s_and_saveexec_b64 s[8:9], s[0:1]
	s_cbranch_execz .LBB908_24
; %bb.23:
	s_load_dwordx2 s[18:19], s[4:5], 0x10
	s_mul_hi_i32 s31, s15, s6
	s_mul_i32 s30, s15, s6
	s_lshl_b64 s[30:31], s[30:31], 1
	s_mov_b32 s39, 0x20000
	s_waitcnt lgkmcnt(0)
	s_add_u32 s36, s18, s30
	s_addc_u32 s7, s19, s31
	s_and_b32 s37, s7, 0xffff
	s_mov_b32 s7, 0x7060302
	v_perm_b32 v11, v31, v30, s7
	v_perm_b32 v10, v41, v40, s7
	;; [unrolled: 1-line block ×4, first 2 shown]
	v_lshlrev_b32_e32 v5, 5, v0
	buffer_store_dwordx4 v[8:11], v5, s[36:39], 0 offen
	;;#ASMSTART
	s_nop 0
	;;#ASMEND
	s_nop 0
	v_perm_b32 v11, v75, v74, s7
	v_perm_b32 v10, v21, v20, s7
	;; [unrolled: 1-line block ×4, first 2 shown]
	buffer_store_dwordx4 v[8:11], v5, s[36:39], 16 offen
	v_mov_b32_e32 v5, 0x2edbe6ff
	;;#ASMSTART
	s_nop 0
	;;#ASMEND
.LBB908_24:
	s_or_b64 exec, exec, s[8:9]
	s_and_saveexec_b64 s[8:9], s[0:1]
	s_cbranch_execz .LBB908_26
; %bb.25:
	v_and_b32_e32 v2, 0x7fffffff, v2
	v_and_b32_e32 v3, 0x7fffffff, v3
	;;#ASMSTART
	v_max3_f32 v2, v5, v2, v3

	;;#ASMEND
	v_and_b32_e32 v6, 0x7fffffff, v6
	v_and_b32_e32 v7, 0x7fffffff, v7
	;;#ASMSTART
	v_max3_f32 v2, v2, v6, v7

	;;#ASMEND
	;; [unrolled: 6-line block ×8, first 2 shown]
.LBB908_26:
	s_or_b64 exec, exec, s[8:9]
	v_cmp_eq_u32_e32 vcc, 0, v4
	v_cmp_gt_i32_e64 s[8:9], s23, v1
	;;#ASMSTART
	v_max_f32 v2, v5, v5 quad_perm:[1,0,3,2] row_mask:0xf bank_mask:0xf bound_ctrl:1
	;;#ASMEND
	s_and_b64 s[18:19], vcc, s[8:9]
	;;#ASMSTART
	v_max_f32 v3, v2, v2 quad_perm:[2,3,0,1] row_mask:0xf bank_mask:0xf bound_ctrl:1
	;;#ASMEND
	;;#ASMSTART
	v_max_f32 v2, v3, v3 row_half_mirror row_mask:0xf bank_mask:0xf bound_ctrl:1
	;;#ASMEND
	s_and_saveexec_b64 s[8:9], s[18:19]
	s_cbranch_execz .LBB908_28
; %bb.27:
	s_load_dwordx2 s[18:19], s[4:5], 0x8
	v_mul_f32_e32 v2, 0x3e2aaaab, v2
	v_lshrrev_b32_e32 v3, 23, v2
	v_and_b32_e32 v4, 0x7f800000, v2
	v_and_b32_e32 v2, 0x7fffff, v2
	v_cmp_ne_u32_e32 vcc, 0, v2
	s_mul_hi_i32 s15, s13, s6
	s_mul_i32 s13, s13, s6
	s_mov_b32 s7, 0x7f800000
	v_addc_co_u32_e32 v2, vcc, 0, v3, vcc
	s_waitcnt lgkmcnt(0)
	s_add_u32 s18, s18, s13
	v_cmp_ne_u32_e32 vcc, s7, v4
	s_addc_u32 s19, s19, s15
	v_lshrrev_b32_e32 v5, 3, v0
	v_cndmask_b32_e32 v4, -1, v2, vcc
	v_pk_mov_b32 v[2:3], s[18:19], s[18:19] op_sel:[0,1]
	v_mad_i64_i32 v[2:3], s[14:15], s14, v5, v[2:3]
	global_store_byte v[2:3], v4, off
.LBB908_28:
	s_or_b64 exec, exec, s[8:9]
	s_and_saveexec_b64 s[8:9], s[0:1]
	s_cbranch_execz .LBB908_30
; %bb.29:
	s_load_dwordx2 s[0:1], s[4:5], 0x0
	s_mul_hi_i32 s7, s12, s6
	s_mul_i32 s12, s12, s6
	v_mov_b32_e32 v2, 0
	v_lshlrev_b32_e32 v4, 3, v0
	s_waitcnt lgkmcnt(0)
	s_add_u32 s12, s0, s12
	s_addc_u32 s0, s1, s7
	s_lshr_b32 s1, s23, 31
	s_add_i32 s1, s23, s1
	s_ashr_i32 s1, s1, 1
	s_add_i32 s1, s1, 3
	s_ashr_i32 s7, s1, 31
	s_lshr_b32 s7, s7, 30
	s_add_i32 s1, s1, s7
	s_and_b32 s14, s1, -4
	s_and_b32 s13, s0, 0xffff
	s_mov_b32 s15, 0x20000
	v_mov_b32_e32 v3, v2
	buffer_store_dwordx2 v[2:3], v4, s[12:15], 0 offen
	;;#ASMSTART
	s_nop 0
	;;#ASMEND
.LBB908_30:
	s_or_b64 exec, exec, s[8:9]
	s_cmp_lt_i32 s24, 1
	s_cbranch_scc1 .LBB908_17
.LBB908_31:
	s_load_dword s0, s[4:5], 0x94
	s_waitcnt lgkmcnt(0)
	s_cmp_lg_u32 s0, 1
	s_cbranch_scc1 .LBB908_17
; %bb.32:
	s_lshl_b32 s0, s24, 1
	s_add_i32 s0, s0, 2
	v_cmp_gt_u32_e32 vcc, s24, v1
	s_and_b32 s30, s0, -4
	v_mov_b32_e32 v18, 0
	v_lshlrev_b32_e32 v1, 5, v0
	v_mov_b32_e32 v14, 0
	v_mov_b32_e32 v15, 0
	;; [unrolled: 1-line block ×16, first 2 shown]
	s_barrier
	s_and_saveexec_b64 s[0:1], vcc
	s_cbranch_execz .LBB908_34
; %bb.33:
	s_mul_hi_i32 s5, s26, s6
	s_mul_i32 s4, s26, s6
	s_and_b32 s29, s29, 0xffff
	s_lshl_b64 s[4:5], s[4:5], 1
	s_add_u32 s8, s10, s4
	s_mov_b32 s31, 0x20000
	s_addc_u32 s4, s11, s5
	s_and_b32 s9, s4, 0xffff
	s_mov_b32 s10, s30
	s_mov_b32 s11, s31
	buffer_load_dwordx4 v[14:17], v1, s[8:11], 0 offen
	buffer_load_dwordx4 v[10:13], v1, s[8:11], 16 offen
	;; [unrolled: 1-line block ×4, first 2 shown]
.LBB908_34:
	s_or_b64 exec, exec, s[0:1]
	v_mov_b32_e32 v19, 0
	v_mov_b32_e32 v32, 0
	;; [unrolled: 1-line block ×15, first 2 shown]
	s_and_saveexec_b64 s[0:1], vcc
	s_cbranch_execz .LBB908_36
; %bb.35:
	s_waitcnt vmcnt(3)
	v_cvt_f32_u32_sdwa v18, v14 dst_sel:DWORD dst_unused:UNUSED_PAD src0_sel:WORD_0
	v_cvt_f32_u32_sdwa v19, v14 dst_sel:DWORD dst_unused:UNUSED_PAD src0_sel:WORD_1
	v_cvt_f32_u32_sdwa v32, v15 dst_sel:DWORD dst_unused:UNUSED_PAD src0_sel:WORD_0
	v_cvt_f32_u32_sdwa v33, v15 dst_sel:DWORD dst_unused:UNUSED_PAD src0_sel:WORD_1
	;; [unrolled: 2-line block ×4, first 2 shown]
	s_waitcnt vmcnt(2)
	v_cvt_f32_u32_sdwa v26, v10 dst_sel:DWORD dst_unused:UNUSED_PAD src0_sel:WORD_0
	v_cvt_f32_u32_sdwa v27, v10 dst_sel:DWORD dst_unused:UNUSED_PAD src0_sel:WORD_1
	v_cvt_f32_u32_sdwa v24, v11 dst_sel:DWORD dst_unused:UNUSED_PAD src0_sel:WORD_0
	v_cvt_f32_u32_sdwa v25, v11 dst_sel:DWORD dst_unused:UNUSED_PAD src0_sel:WORD_1
	;; [unrolled: 2-line block ×4, first 2 shown]
.LBB908_36:
	s_or_b64 exec, exec, s[0:1]
	s_waitcnt vmcnt(2)
	v_mul_f32_e32 v10, v19, v19
	v_fmac_f32_e32 v10, v18, v18
	v_fmac_f32_e32 v10, v32, v32
	;; [unrolled: 1-line block ×15, first 2 shown]
	s_nop 1
	v_mov_b32_dpp v11, v10 quad_perm:[1,0,3,2] row_mask:0xf bank_mask:0xf
	v_add_f32_e32 v10, v10, v11
	s_nop 1
	v_mov_b32_dpp v11, v10 quad_perm:[2,3,0,1] row_mask:0xf bank_mask:0xf
	v_add_f32_e32 v10, v10, v11
	s_nop 1
	v_mov_b32_dpp v11, v10 row_half_mirror row_mask:0xf bank_mask:0xf
	v_add_f32_e32 v10, v10, v11
	s_nop 1
	v_mov_b32_dpp v11, v10 row_mirror row_mask:0xf bank_mask:0xf
	v_add_f32_e32 v10, v10, v11
	s_nop 1
	v_mov_b32_dpp v11, v10 row_bcast:15 row_mask:0xf bank_mask:0xf
	v_add_f32_e32 v10, v10, v11
	s_nop 1
	v_mov_b32_dpp v11, v10 row_bcast:31 row_mask:0xf bank_mask:0xf
	s_and_saveexec_b64 s[0:1], s[2:3]
	s_cbranch_execz .LBB908_38
; %bb.37:
	v_lshrrev_b32_e32 v0, 4, v0
	v_add_f32_e32 v10, v10, v11
	v_and_b32_e32 v0, 60, v0
	ds_write_b32 v0, v10
.LBB908_38:
	s_or_b64 exec, exec, s[0:1]
	s_waitcnt lgkmcnt(0)
	s_barrier
	ds_read_b32 v0, v34
	s_waitcnt lgkmcnt(0)
	s_nop 0
	v_mov_b32_dpp v10, v0 quad_perm:[1,0,3,2] row_mask:0xf bank_mask:0xf
	v_add_f32_e32 v0, v0, v10
	s_nop 1
	v_mov_b32_dpp v10, v0 quad_perm:[2,3,0,1] row_mask:0xf bank_mask:0xf
	v_add_f32_e32 v0, v0, v10
	s_nop 1
	v_mov_b32_dpp v10, v0 row_half_mirror row_mask:0xf bank_mask:0xf
	s_and_saveexec_b64 s[0:1], vcc
	s_cbranch_execz .LBB908_17
; %bb.39:
	v_cvt_f32_u32_e32 v11, s24
	v_add_f32_e32 v0, v0, v10
	s_mov_b32 s31, 0x20000
	v_div_scale_f32 v10, s[0:1], v11, v11, v0
	v_rcp_f32_e32 v12, v10
	v_div_scale_f32 v13, vcc, v0, v11, v0
	s_mov_b32 s0, 0x800000
	v_fma_f32 v14, -v10, v12, 1.0
	v_fmac_f32_e32 v12, v14, v12
	v_mul_f32_e32 v14, v13, v12
	v_fma_f32 v15, -v10, v14, v13
	v_fmac_f32_e32 v14, v15, v12
	v_fma_f32 v10, -v10, v14, v13
	v_div_fmas_f32 v10, v10, v12, v14
	v_div_fixup_f32 v0, v10, v11, v0
	v_add_f32_e32 v0, s21, v0
	v_mul_f32_e32 v10, 0x4b800000, v0
	v_cmp_gt_f32_e32 vcc, s0, v0
	v_cndmask_b32_e32 v0, v0, v10, vcc
	v_rsq_f32_e32 v0, v0
	s_mul_hi_i32 s1, s16, s6
	s_mul_i32 s0, s16, s6
	s_lshl_b64 s[0:1], s[0:1], 1
	v_mul_f32_e32 v10, 0x45800000, v0
	v_cndmask_b32_e32 v10, v0, v10, vcc
	v_mov_b32_e32 v11, v10
	;;#ASMSTART
	v_pk_mul_f32 v[12:13], v[18:19], v[10:11]
	;;#ASMEND
	;;#ASMSTART
	v_pk_mul_f32 v[14:15], v[32:33], v[10:11]
	;;#ASMEND
	;; [unrolled: 3-line block ×4, first 2 shown]
	s_waitcnt vmcnt(1)
	v_cvt_f32_u32_sdwa v29, v6 dst_sel:DWORD dst_unused:UNUSED_PAD src0_sel:WORD_1
	v_cvt_f32_u32_sdwa v28, v6 dst_sel:DWORD dst_unused:UNUSED_PAD src0_sel:WORD_0
	v_cvt_f32_u32_sdwa v31, v7 dst_sel:DWORD dst_unused:UNUSED_PAD src0_sel:WORD_1
	v_cvt_f32_u32_sdwa v30, v7 dst_sel:DWORD dst_unused:UNUSED_PAD src0_sel:WORD_0
	;;#ASMSTART
	v_pk_mul_f32 v[26:27], v[26:27], v[10:11]
	;;#ASMEND
	;;#ASMSTART
	v_pk_mul_f32 v[24:25], v[24:25], v[10:11]
	;;#ASMEND
	;; [unrolled: 3-line block ×4, first 2 shown]
	v_cvt_f32_u32_sdwa v21, v8 dst_sel:DWORD dst_unused:UNUSED_PAD src0_sel:WORD_1
	v_cvt_f32_u32_sdwa v20, v8 dst_sel:DWORD dst_unused:UNUSED_PAD src0_sel:WORD_0
	v_pk_add_f32 v[10:11], v[28:29], 1.0 op_sel_hi:[1,0]
	;;#ASMSTART
	v_pk_mul_f32 v[10:11], v[12:13], v[10:11]
	;;#ASMEND
	v_pk_add_f32 v[12:13], v[30:31], 1.0 op_sel_hi:[1,0]
	v_cvt_f32_u32_sdwa v29, v9 dst_sel:DWORD dst_unused:UNUSED_PAD src0_sel:WORD_1
	v_cvt_f32_u32_sdwa v28, v9 dst_sel:DWORD dst_unused:UNUSED_PAD src0_sel:WORD_0
	;;#ASMSTART
	v_pk_mul_f32 v[8:9], v[14:15], v[12:13]
	;;#ASMEND
	v_pk_add_f32 v[12:13], v[20:21], 1.0 op_sel_hi:[1,0]
	;;#ASMSTART
	v_pk_mul_f32 v[12:13], v[16:17], v[12:13]
	;;#ASMEND
	s_waitcnt vmcnt(0)
	v_cvt_f32_u32_sdwa v17, v2 dst_sel:DWORD dst_unused:UNUSED_PAD src0_sel:WORD_1
	v_cvt_f32_u32_sdwa v16, v2 dst_sel:DWORD dst_unused:UNUSED_PAD src0_sel:WORD_0
	v_cvt_f32_u32_sdwa v21, v3 dst_sel:DWORD dst_unused:UNUSED_PAD src0_sel:WORD_1
	v_cvt_f32_u32_sdwa v20, v3 dst_sel:DWORD dst_unused:UNUSED_PAD src0_sel:WORD_0
	v_pk_add_f32 v[14:15], v[28:29], 1.0 op_sel_hi:[1,0]
	;;#ASMSTART
	v_pk_mul_f32 v[14:15], v[18:19], v[14:15]
	;;#ASMEND
	v_pk_add_f32 v[2:3], v[16:17], 1.0 op_sel_hi:[1,0]
	v_cvt_f32_u32_sdwa v19, v4 dst_sel:DWORD dst_unused:UNUSED_PAD src0_sel:WORD_1
	v_cvt_f32_u32_sdwa v18, v4 dst_sel:DWORD dst_unused:UNUSED_PAD src0_sel:WORD_0
	;;#ASMSTART
	v_pk_mul_f32 v[16:17], v[26:27], v[2:3]
	;;#ASMEND
	v_pk_add_f32 v[2:3], v[20:21], 1.0 op_sel_hi:[1,0]
	v_cvt_f32_u32_sdwa v21, v5 dst_sel:DWORD dst_unused:UNUSED_PAD src0_sel:WORD_1
	v_cvt_f32_u32_sdwa v20, v5 dst_sel:DWORD dst_unused:UNUSED_PAD src0_sel:WORD_0
	s_add_u32 s28, s34, s0
	;;#ASMSTART
	v_pk_mul_f32 v[24:25], v[24:25], v[2:3]
	;;#ASMEND
	v_pk_add_f32 v[2:3], v[18:19], 1.0 op_sel_hi:[1,0]
	s_addc_u32 s0, s35, s1
	;;#ASMSTART
	v_pk_mul_f32 v[18:19], v[22:23], v[2:3]
	;;#ASMEND
	v_pk_add_f32 v[2:3], v[20:21], 1.0 op_sel_hi:[1,0]
	s_and_b32 s29, s0, 0xffff
	s_mov_b32 s0, 0x7060302
	;;#ASMSTART
	v_pk_mul_f32 v[6:7], v[6:7], v[2:3]
	;;#ASMEND
	v_perm_b32 v2, v11, v10, s0
	v_perm_b32 v3, v9, v8, s0
	v_perm_b32 v4, v13, v12, s0
	v_perm_b32 v5, v15, v14, s0
	buffer_store_dwordx4 v[2:5], v1, s[28:31], 0 offen
	;;#ASMSTART
	s_nop 0
	;;#ASMEND
	s_nop 0
	v_perm_b32 v2, v17, v16, s0
	v_perm_b32 v3, v25, v24, s0
	;; [unrolled: 1-line block ×4, first 2 shown]
	buffer_store_dwordx4 v[2:5], v1, s[28:31], 16 offen
	;;#ASMSTART
	s_nop 0
	;;#ASMEND
	s_endpgm
	.section	.rodata,"a",@progbits
	.p2align	6, 0x0
	.amdhsa_kernel _ZN5aiter35fused_qk_rmsnorm_group_quant_kernelItN4opus5fp4_tELi512ELi16ELi8ELb1ELb1ELb1ELb0ELb0ELb0EEEvPT0_PvPT_S7_S7_PKS6_S9_S9_S9_S9_ffiiiiiiiiiiiii
		.amdhsa_group_segment_fixed_size 64
		.amdhsa_private_segment_fixed_size 0
		.amdhsa_kernarg_size 400
		.amdhsa_user_sgpr_count 6
		.amdhsa_user_sgpr_private_segment_buffer 1
		.amdhsa_user_sgpr_dispatch_ptr 0
		.amdhsa_user_sgpr_queue_ptr 0
		.amdhsa_user_sgpr_kernarg_segment_ptr 1
		.amdhsa_user_sgpr_dispatch_id 0
		.amdhsa_user_sgpr_flat_scratch_init 0
		.amdhsa_user_sgpr_kernarg_preload_length 0
		.amdhsa_user_sgpr_kernarg_preload_offset 0
		.amdhsa_user_sgpr_private_segment_size 0
		.amdhsa_uses_dynamic_stack 0
		.amdhsa_system_sgpr_private_segment_wavefront_offset 0
		.amdhsa_system_sgpr_workgroup_id_x 1
		.amdhsa_system_sgpr_workgroup_id_y 1
		.amdhsa_system_sgpr_workgroup_id_z 0
		.amdhsa_system_sgpr_workgroup_info 0
		.amdhsa_system_vgpr_workitem_id 0
		.amdhsa_next_free_vgpr 76
		.amdhsa_next_free_sgpr 44
		.amdhsa_accum_offset 76
		.amdhsa_reserve_vcc 1
		.amdhsa_reserve_flat_scratch 0
		.amdhsa_float_round_mode_32 0
		.amdhsa_float_round_mode_16_64 0
		.amdhsa_float_denorm_mode_32 3
		.amdhsa_float_denorm_mode_16_64 3
		.amdhsa_dx10_clamp 1
		.amdhsa_ieee_mode 1
		.amdhsa_fp16_overflow 0
		.amdhsa_tg_split 0
		.amdhsa_exception_fp_ieee_invalid_op 0
		.amdhsa_exception_fp_denorm_src 0
		.amdhsa_exception_fp_ieee_div_zero 0
		.amdhsa_exception_fp_ieee_overflow 0
		.amdhsa_exception_fp_ieee_underflow 0
		.amdhsa_exception_fp_ieee_inexact 0
		.amdhsa_exception_int_div_zero 0
	.end_amdhsa_kernel
	.section	.text._ZN5aiter35fused_qk_rmsnorm_group_quant_kernelItN4opus5fp4_tELi512ELi16ELi8ELb1ELb1ELb1ELb0ELb0ELb0EEEvPT0_PvPT_S7_S7_PKS6_S9_S9_S9_S9_ffiiiiiiiiiiiii,"axG",@progbits,_ZN5aiter35fused_qk_rmsnorm_group_quant_kernelItN4opus5fp4_tELi512ELi16ELi8ELb1ELb1ELb1ELb0ELb0ELb0EEEvPT0_PvPT_S7_S7_PKS6_S9_S9_S9_S9_ffiiiiiiiiiiiii,comdat
.Lfunc_end908:
	.size	_ZN5aiter35fused_qk_rmsnorm_group_quant_kernelItN4opus5fp4_tELi512ELi16ELi8ELb1ELb1ELb1ELb0ELb0ELb0EEEvPT0_PvPT_S7_S7_PKS6_S9_S9_S9_S9_ffiiiiiiiiiiiii, .Lfunc_end908-_ZN5aiter35fused_qk_rmsnorm_group_quant_kernelItN4opus5fp4_tELi512ELi16ELi8ELb1ELb1ELb1ELb0ELb0ELb0EEEvPT0_PvPT_S7_S7_PKS6_S9_S9_S9_S9_ffiiiiiiiiiiiii
                                        ; -- End function
	.section	.AMDGPU.csdata,"",@progbits
; Kernel info:
; codeLenInByte = 4100
; NumSgprs: 48
; NumVgprs: 76
; NumAgprs: 0
; TotalNumVgprs: 76
; ScratchSize: 0
; MemoryBound: 0
; FloatMode: 240
; IeeeMode: 1
; LDSByteSize: 64 bytes/workgroup (compile time only)
; SGPRBlocks: 5
; VGPRBlocks: 9
; NumSGPRsForWavesPerEU: 48
; NumVGPRsForWavesPerEU: 76
; AccumOffset: 76
; Occupancy: 6
; WaveLimiterHint : 0
; COMPUTE_PGM_RSRC2:SCRATCH_EN: 0
; COMPUTE_PGM_RSRC2:USER_SGPR: 6
; COMPUTE_PGM_RSRC2:TRAP_HANDLER: 0
; COMPUTE_PGM_RSRC2:TGID_X_EN: 1
; COMPUTE_PGM_RSRC2:TGID_Y_EN: 1
; COMPUTE_PGM_RSRC2:TGID_Z_EN: 0
; COMPUTE_PGM_RSRC2:TIDIG_COMP_CNT: 0
; COMPUTE_PGM_RSRC3_GFX90A:ACCUM_OFFSET: 18
; COMPUTE_PGM_RSRC3_GFX90A:TG_SPLIT: 0
	.section	.text._ZN5aiter35fused_qk_rmsnorm_group_quant_kernelIDF16_DB8_Li512ELi16ELi8ELb1ELb1ELb0ELb0ELb0ELb0EEEvPT0_PvPT_S6_S6_PKS5_S8_S8_S8_S8_ffiiiiiiiiiiiii,"axG",@progbits,_ZN5aiter35fused_qk_rmsnorm_group_quant_kernelIDF16_DB8_Li512ELi16ELi8ELb1ELb1ELb0ELb0ELb0ELb0EEEvPT0_PvPT_S6_S6_PKS5_S8_S8_S8_S8_ffiiiiiiiiiiiii,comdat
	.protected	_ZN5aiter35fused_qk_rmsnorm_group_quant_kernelIDF16_DB8_Li512ELi16ELi8ELb1ELb1ELb0ELb0ELb0ELb0EEEvPT0_PvPT_S6_S6_PKS5_S8_S8_S8_S8_ffiiiiiiiiiiiii ; -- Begin function _ZN5aiter35fused_qk_rmsnorm_group_quant_kernelIDF16_DB8_Li512ELi16ELi8ELb1ELb1ELb0ELb0ELb0ELb0EEEvPT0_PvPT_S6_S6_PKS5_S8_S8_S8_S8_ffiiiiiiiiiiiii
	.globl	_ZN5aiter35fused_qk_rmsnorm_group_quant_kernelIDF16_DB8_Li512ELi16ELi8ELb1ELb1ELb0ELb0ELb0ELb0EEEvPT0_PvPT_S6_S6_PKS5_S8_S8_S8_S8_ffiiiiiiiiiiiii
	.p2align	8
	.type	_ZN5aiter35fused_qk_rmsnorm_group_quant_kernelIDF16_DB8_Li512ELi16ELi8ELb1ELb1ELb0ELb0ELb0ELb0EEEvPT0_PvPT_S6_S6_PKS5_S8_S8_S8_S8_ffiiiiiiiiiiiii,@function
_ZN5aiter35fused_qk_rmsnorm_group_quant_kernelIDF16_DB8_Li512ELi16ELi8ELb1ELb1ELb0ELb0ELb0ELb0EEEvPT0_PvPT_S6_S6_PKS5_S8_S8_S8_S8_ffiiiiiiiiiiiii: ; @_ZN5aiter35fused_qk_rmsnorm_group_quant_kernelIDF16_DB8_Li512ELi16ELi8ELb1ELb1ELb0ELb0ELb0ELb0EEEvPT0_PvPT_S6_S6_PKS5_S8_S8_S8_S8_ffiiiiiiiiiiiii
; %bb.0:
	s_load_dwordx8 s[20:27], s[4:5], 0x50
	s_waitcnt lgkmcnt(0)
	s_cmp_ge_i32 s6, s22
	s_cbranch_scc1 .LBB909_17
; %bb.1:
	s_cmp_lg_u32 s7, 0
	s_cselect_b64 s[10:11], -1, 0
	s_cmp_eq_u32 s7, 0
	s_cselect_b64 s[8:9], -1, 0
	s_and_b64 s[0:1], s[8:9], exec
	s_load_dwordx2 s[28:29], s[4:5], 0x48
	s_load_dwordx2 s[34:35], s[4:5], 0x30
	s_load_dwordx8 s[12:19], s[4:5], 0x70
	s_cselect_b32 s7, s23, s24
	s_add_i32 s0, s7, 1
	s_lshr_b32 s1, s0, 31
	s_add_i32 s0, s0, s1
	s_lshl_b32 s0, s0, 1
	v_lshlrev_b32_e32 v1, 4, v0
	s_and_b32 s38, s0, -4
	v_cmp_gt_i32_e64 s[0:1], s7, v1
	v_mov_b32_e32 v80, 0
	v_mov_b32_e32 v81, 0
	;; [unrolled: 1-line block ×16, first 2 shown]
	s_and_saveexec_b64 s[2:3], s[0:1]
	s_cbranch_execz .LBB909_3
; %bb.2:
	s_waitcnt lgkmcnt(0)
	s_load_dwordx2 s[18:19], s[4:5], 0x28
	s_load_dwordx2 s[30:31], s[4:5], 0x40
	s_and_b64 s[36:37], s[8:9], exec
	s_cselect_b32 s22, s25, s26
	s_mov_b32 s39, 0x20000
	s_waitcnt lgkmcnt(0)
	s_cselect_b32 s25, s19, s35
	s_cselect_b32 s33, s18, s34
	s_mul_hi_i32 s19, s22, s6
	s_mul_i32 s18, s22, s6
	s_lshl_b64 s[18:19], s[18:19], 1
	s_add_u32 s40, s33, s18
	s_addc_u32 s22, s25, s19
	s_and_b64 s[18:19], s[8:9], exec
	s_cselect_b32 s36, s30, s28
	s_cselect_b32 s18, s31, s29
	s_and_b32 s41, s22, 0xffff
	s_mov_b32 s42, s38
	s_mov_b32 s43, s39
	v_lshlrev_b32_e32 v2, 5, v0
	s_and_b32 s37, s18, 0xffff
	buffer_load_dwordx4 v[84:87], v2, s[40:43], 0 offen
	buffer_load_dwordx4 v[88:91], v2, s[40:43], 16 offen
	buffer_load_dwordx4 v[80:83], v2, s[36:39], 0 offen
	buffer_load_dwordx4 v[76:79], v2, s[36:39], 16 offen
.LBB909_3:
	s_or_b64 exec, exec, s[2:3]
	s_and_b64 vcc, exec, s[10:11]
	s_cbranch_vccz .LBB909_7
; %bb.4:
	v_mov_b32_e32 v93, 0
	v_mov_b32_e32 v92, 0
	;; [unrolled: 1-line block ×16, first 2 shown]
	s_and_saveexec_b64 s[2:3], s[0:1]
	s_cbranch_execz .LBB909_6
; %bb.5:
	s_waitcnt vmcnt(3)
	v_cvt_f32_f16_sdwa v59, v84 dst_sel:DWORD dst_unused:UNUSED_PAD src0_sel:WORD_1
	v_cvt_f32_f16_e32 v58, v84
	v_cvt_f32_f16_sdwa v29, v85 dst_sel:DWORD dst_unused:UNUSED_PAD src0_sel:WORD_1
	v_cvt_f32_f16_e32 v28, v85
	v_cvt_f32_f16_sdwa v47, v86 dst_sel:DWORD dst_unused:UNUSED_PAD src0_sel:WORD_1
	v_cvt_f32_f16_e32 v46, v86
	v_cvt_f32_f16_sdwa v19, v87 dst_sel:DWORD dst_unused:UNUSED_PAD src0_sel:WORD_1
	v_cvt_f32_f16_e32 v18, v87
	s_waitcnt vmcnt(2)
	v_cvt_f32_f16_sdwa v69, v88 dst_sel:DWORD dst_unused:UNUSED_PAD src0_sel:WORD_1
	v_cvt_f32_f16_e32 v68, v88
	v_cvt_f32_f16_sdwa v41, v89 dst_sel:DWORD dst_unused:UNUSED_PAD src0_sel:WORD_1
	v_cvt_f32_f16_e32 v40, v89
	;; [unrolled: 2-line block ×4, first 2 shown]
.LBB909_6:
	s_or_b64 exec, exec, s[2:3]
	s_cbranch_execz .LBB909_8
	s_branch .LBB909_11
.LBB909_7:
                                        ; implicit-def: $vgpr26_vgpr27_vgpr28_vgpr29_vgpr30_vgpr31_vgpr32_vgpr33_vgpr34_vgpr35_vgpr36_vgpr37_vgpr38_vgpr39_vgpr40_vgpr41
                                        ; implicit-def: $vgpr58_vgpr59_vgpr60_vgpr61_vgpr62_vgpr63_vgpr64_vgpr65_vgpr66_vgpr67_vgpr68_vgpr69_vgpr70_vgpr71_vgpr72_vgpr73
                                        ; implicit-def: $vgpr42_vgpr43_vgpr44_vgpr45_vgpr46_vgpr47_vgpr48_vgpr49_vgpr50_vgpr51_vgpr52_vgpr53_vgpr54_vgpr55_vgpr56_vgpr57
                                        ; implicit-def: $vgpr12_vgpr13_vgpr14_vgpr15_vgpr16_vgpr17_vgpr18_vgpr19_vgpr20_vgpr21_vgpr22_vgpr23_vgpr24_vgpr25_vgpr26_vgpr27
                                        ; implicit-def: $vgpr93
                                        ; implicit-def: $vgpr60_vgpr61_vgpr62_vgpr63_vgpr64_vgpr65_vgpr66_vgpr67_vgpr68_vgpr69_vgpr70_vgpr71_vgpr72_vgpr73_vgpr74_vgpr75
                                        ; implicit-def: $vgpr30_vgpr31_vgpr32_vgpr33_vgpr34_vgpr35_vgpr36_vgpr37_vgpr38_vgpr39_vgpr40_vgpr41_vgpr42_vgpr43_vgpr44_vgpr45
                                        ; implicit-def: $vgpr2_vgpr3_vgpr4_vgpr5_vgpr6_vgpr7_vgpr8_vgpr9_vgpr10_vgpr11_vgpr12_vgpr13_vgpr14_vgpr15_vgpr16_vgpr17
.LBB909_8:
	v_mov_b32_e32 v93, 0
	v_mov_b32_e32 v92, 0
	;; [unrolled: 1-line block ×16, first 2 shown]
	s_and_saveexec_b64 s[2:3], s[0:1]
	s_cbranch_execz .LBB909_10
; %bb.9:
	s_waitcnt lgkmcnt(0)
	s_load_dwordx2 s[18:19], s[4:5], 0x38
	s_mul_hi_i32 s31, s27, s6
	s_mul_i32 s30, s27, s6
	s_lshl_b64 s[30:31], s[30:31], 1
	s_mov_b32 s39, 0x20000
	s_waitcnt lgkmcnt(0)
	s_add_u32 s36, s18, s30
	s_addc_u32 s18, s19, s31
	s_and_b32 s37, s18, 0xffff
	v_lshlrev_b32_e32 v38, 5, v0
	buffer_load_dwordx4 v[6:9], v38, s[36:39], 16 offen
	buffer_load_dwordx4 v[10:13], v38, s[36:39], 0 offen
	s_waitcnt vmcnt(5)
	v_cvt_f32_f16_sdwa v19, v86 dst_sel:DWORD dst_unused:UNUSED_PAD src0_sel:WORD_1
	v_cvt_f32_f16_e32 v18, v86
	v_cvt_f32_f16_sdwa v25, v87 dst_sel:DWORD dst_unused:UNUSED_PAD src0_sel:WORD_1
	v_cvt_f32_f16_e32 v24, v87
	;; [unrolled: 2-line block ×4, first 2 shown]
	s_load_dwordx2 s[18:19], s[4:5], 0x20
	s_waitcnt vmcnt(4)
	v_cvt_f32_f16_sdwa v3, v88 dst_sel:DWORD dst_unused:UNUSED_PAD src0_sel:WORD_1
	v_cvt_f32_f16_e32 v2, v88
	v_cvt_f32_f16_sdwa v5, v89 dst_sel:DWORD dst_unused:UNUSED_PAD src0_sel:WORD_1
	v_cvt_f32_f16_e32 v4, v89
	;; [unrolled: 2-line block ×4, first 2 shown]
	s_mul_hi_i32 s31, s17, s6
	s_mul_i32 s30, s17, s6
	s_lshl_b64 s[30:31], s[30:31], 1
	s_waitcnt lgkmcnt(0)
	s_add_u32 s36, s18, s30
	s_addc_u32 s17, s19, s31
	s_and_b32 s37, s17, 0xffff
	s_waitcnt vmcnt(1)
	v_cvt_f32_f16_e32 v26, v6
	v_cvt_f32_f16_sdwa v27, v6 dst_sel:DWORD dst_unused:UNUSED_PAD src0_sel:WORD_1
	v_cvt_f32_f16_e32 v30, v7
	v_cvt_f32_f16_sdwa v31, v7 dst_sel:DWORD dst_unused:UNUSED_PAD src0_sel:WORD_1
	;; [unrolled: 2-line block ×4, first 2 shown]
	s_waitcnt vmcnt(0)
	v_cvt_f32_f16_e32 v6, v12
	v_cvt_f32_f16_sdwa v7, v12 dst_sel:DWORD dst_unused:UNUSED_PAD src0_sel:WORD_1
	v_cvt_f32_f16_e32 v8, v13
	v_cvt_f32_f16_sdwa v9, v13 dst_sel:DWORD dst_unused:UNUSED_PAD src0_sel:WORD_1
	;; [unrolled: 2-line block ×4, first 2 shown]
	v_pk_add_f32 v[46:47], v[18:19], v[6:7]
	v_pk_add_f32 v[18:19], v[24:25], v[8:9]
	v_cvt_f16_f32_e32 v6, v47
	v_cvt_f16_f32_e32 v7, v19
	;; [unrolled: 1-line block ×4, first 2 shown]
	v_pk_add_f32 v[28:29], v[22:23], v[10:11]
	v_pk_add_f32 v[58:59], v[20:21], v[36:37]
	v_pack_b32_f16 v9, v8, v7
	v_pack_b32_f16 v8, v12, v6
	v_cvt_f16_f32_e32 v6, v29
	v_cvt_f16_f32_e32 v7, v28
	;; [unrolled: 1-line block ×3, first 2 shown]
	v_pk_add_f32 v[92:93], v[16:17], v[34:35]
	v_pk_add_f32 v[14:15], v[14:15], v[32:33]
	v_pack_b32_f16 v7, v7, v6
	v_cvt_f16_f32_e32 v6, v59
	v_pk_add_f32 v[40:41], v[4:5], v[30:31]
	v_pk_add_f32 v[68:69], v[2:3], v[26:27]
	v_cvt_f16_f32_e32 v4, v40
	v_pack_b32_f16 v6, v10, v6
	buffer_store_dwordx4 v[6:9], v38, s[36:39], 0 offen
	v_cvt_f16_f32_e32 v5, v41
	v_cvt_f16_f32_e32 v6, v14
	;; [unrolled: 1-line block ×7, first 2 shown]
	v_pack_b32_f16 v7, v7, v8
	v_pack_b32_f16 v6, v6, v9
	v_pack_b32_f16 v5, v4, v5
	v_pack_b32_f16 v4, v2, v3
	;;#ASMSTART
	s_nop 0
	;;#ASMEND
	buffer_store_dwordx4 v[4:7], v38, s[36:39], 16 offen
	;;#ASMSTART
	s_nop 0
	;;#ASMEND
.LBB909_10:
	s_or_b64 exec, exec, s[2:3]
.LBB909_11:
	v_mul_f32_e32 v2, v59, v59
	v_fmac_f32_e32 v2, v58, v58
	v_fmac_f32_e32 v2, v28, v28
	;; [unrolled: 1-line block ×15, first 2 shown]
	s_nop 1
	v_mov_b32_dpp v3, v2 quad_perm:[1,0,3,2] row_mask:0xf bank_mask:0xf
	v_add_f32_e32 v2, v2, v3
	s_nop 1
	v_mov_b32_dpp v3, v2 quad_perm:[2,3,0,1] row_mask:0xf bank_mask:0xf
	v_add_f32_e32 v2, v2, v3
	s_nop 1
	v_mov_b32_dpp v3, v2 row_half_mirror row_mask:0xf bank_mask:0xf
	v_add_f32_e32 v2, v2, v3
	s_nop 1
	v_mov_b32_dpp v3, v2 row_mirror row_mask:0xf bank_mask:0xf
	v_add_f32_e32 v2, v2, v3
	s_nop 1
	v_mov_b32_dpp v3, v2 row_bcast:15 row_mask:0xf bank_mask:0xf
	v_add_f32_e32 v2, v2, v3
	v_and_b32_e32 v3, 63, v0
	v_cmp_eq_u32_e64 s[2:3], 63, v3
	s_nop 0
	v_mov_b32_dpp v3, v2 row_bcast:31 row_mask:0xf bank_mask:0xf
	s_waitcnt lgkmcnt(0)
	s_and_saveexec_b64 s[18:19], s[2:3]
	s_cbranch_execz .LBB909_13
; %bb.12:
	v_add_f32_e32 v2, v2, v3
	v_lshrrev_b32_e32 v3, 4, v0
	v_and_b32_e32 v3, 60, v3
	ds_write_b32 v3, v2 offset:32
.LBB909_13:
	s_or_b64 exec, exec, s[18:19]
	v_and_b32_e32 v2, 7, v0
	v_lshlrev_b32_e32 v34, 2, v2
	s_waitcnt lgkmcnt(0)
	s_barrier
	ds_read_b32 v3, v34 offset:32
	s_load_dwordx2 s[18:19], s[4:5], 0x18
	s_waitcnt lgkmcnt(0)
	v_mov_b32_dpp v4, v3 quad_perm:[1,0,3,2] row_mask:0xf bank_mask:0xf
	v_add_f32_e32 v3, v3, v4
	s_nop 1
	v_mov_b32_dpp v4, v3 quad_perm:[2,3,0,1] row_mask:0xf bank_mask:0xf
	v_add_f32_e32 v3, v3, v4
	s_nop 1
	v_mov_b32_dpp v4, v3 row_half_mirror row_mask:0xf bank_mask:0xf
	s_and_saveexec_b64 s[30:31], s[0:1]
	s_cbranch_execnz .LBB909_18
; %bb.14:
	s_or_b64 exec, exec, s[30:31]
	s_mov_b64 s[8:9], -1
	s_and_b64 vcc, exec, s[10:11]
	s_cbranch_vccnz .LBB909_19
.LBB909_15:
	s_andn2_b64 vcc, exec, s[8:9]
	s_cbranch_vccz .LBB909_22
.LBB909_16:
	s_cmp_lt_i32 s24, 1
	s_cbranch_scc0 .LBB909_31
.LBB909_17:
	s_endpgm
.LBB909_18:
	v_add_f32_e32 v3, v3, v4
	v_cvt_f32_u32_e32 v4, s7
	s_mov_b32 s7, 0x800000
	s_waitcnt vmcnt(1)
	v_cvt_f32_f16_sdwa v23, v81 dst_sel:DWORD dst_unused:UNUSED_PAD src0_sel:WORD_1
	v_cvt_f32_f16_e32 v22, v81
	v_div_scale_f32 v5, s[36:37], v4, v4, v3
	v_rcp_f32_e32 v6, v5
	s_waitcnt vmcnt(0)
	v_cvt_f32_f16_sdwa v25, v77 dst_sel:DWORD dst_unused:UNUSED_PAD src0_sel:WORD_1
	v_cvt_f32_f16_e32 v24, v77
	v_cvt_f32_f16_sdwa v27, v78 dst_sel:DWORD dst_unused:UNUSED_PAD src0_sel:WORD_1
	v_fma_f32 v7, -v5, v6, 1.0
	v_fmac_f32_e32 v6, v7, v6
	v_div_scale_f32 v7, vcc, v3, v4, v3
	v_mul_f32_e32 v8, v7, v6
	v_fma_f32 v9, -v5, v8, v7
	v_fmac_f32_e32 v8, v9, v6
	v_fma_f32 v5, -v5, v8, v7
	v_div_fmas_f32 v5, v5, v6, v8
	v_div_fixup_f32 v3, v5, v4, v3
	v_mov_b32_e32 v4, s21
	v_mov_b32_e32 v5, s20
	v_cndmask_b32_e64 v4, v4, v5, s[8:9]
	v_add_f32_e32 v3, v4, v3
	v_mul_f32_e32 v4, 0x4b800000, v3
	v_cmp_gt_f32_e32 vcc, s7, v3
	v_cndmask_b32_e32 v3, v3, v4, vcc
	v_rsq_f32_e32 v3, v3
	v_cvt_f32_f16_e32 v26, v78
	v_cvt_f32_f16_sdwa v31, v79 dst_sel:DWORD dst_unused:UNUSED_PAD src0_sel:WORD_1
	v_cvt_f32_f16_e32 v30, v79
	v_mul_f32_e32 v4, 0x45800000, v3
	v_cndmask_b32_e32 v4, v3, v4, vcc
	v_mov_b32_e32 v5, v4
	;;#ASMSTART
	v_pk_mul_f32 v[6:7], v[58:59], v[4:5]
	;;#ASMEND
	;;#ASMSTART
	v_pk_mul_f32 v[8:9], v[28:29], v[4:5]
	;;#ASMEND
	;; [unrolled: 3-line block ×6, first 2 shown]
	v_cvt_f32_f16_sdwa v19, v80 dst_sel:DWORD dst_unused:UNUSED_PAD src0_sel:WORD_1
	v_cvt_f32_f16_e32 v18, v80
	;;#ASMSTART
	v_pk_mul_f32 v[14:15], v[14:15], v[4:5]
	;;#ASMEND
	;;#ASMSTART
	v_pk_mul_f32 v[4:5], v[92:93], v[4:5]
	;;#ASMEND
	;; [unrolled: 3-line block ×4, first 2 shown]
	v_cvt_f32_f16_sdwa v7, v82 dst_sel:DWORD dst_unused:UNUSED_PAD src0_sel:WORD_1
	v_cvt_f32_f16_e32 v6, v82
	v_cvt_f32_f16_sdwa v9, v83 dst_sel:DWORD dst_unused:UNUSED_PAD src0_sel:WORD_1
	v_cvt_f32_f16_e32 v8, v83
	;; [unrolled: 2-line block ×3, first 2 shown]
	;;#ASMSTART
	v_pk_mul_f32 v[46:47], v[10:11], v[6:7]
	;;#ASMEND
	;;#ASMSTART
	v_pk_mul_f32 v[18:19], v[12:13], v[8:9]
	;;#ASMEND
	;; [unrolled: 3-line block ×6, first 2 shown]
	s_or_b64 exec, exec, s[30:31]
	s_mov_b64 s[8:9], -1
	s_and_b64 vcc, exec, s[10:11]
	s_cbranch_vccz .LBB909_15
.LBB909_19:
	s_and_saveexec_b64 s[8:9], s[0:1]
	s_cbranch_execz .LBB909_21
; %bb.20:
	v_cvt_f16_f32_e32 v3, v46
	v_cvt_f16_f32_e32 v4, v18
	;; [unrolled: 1-line block ×4, first 2 shown]
	s_mul_hi_i32 s11, s16, s6
	s_mul_i32 s10, s16, s6
	v_pack_b32_f16 v7, v4, v5
	v_pack_b32_f16 v6, v3, v6
	v_cvt_f16_f32_e32 v3, v28
	v_cvt_f16_f32_e32 v4, v29
	s_lshl_b64 s[10:11], s[10:11], 1
	s_add_u32 s36, s18, s10
	s_addc_u32 s7, s19, s11
	v_pack_b32_f16 v5, v3, v4
	v_cvt_f16_f32_e32 v3, v58
	v_cvt_f16_f32_e32 v4, v59
	s_and_b32 s37, s7, 0xffff
	s_mov_b32 s39, 0x20000
	v_cvt_f16_f32_e32 v8, v15
	v_pack_b32_f16 v4, v3, v4
	v_lshlrev_b32_e32 v3, 5, v0
	buffer_store_dwordx4 v[4:7], v3, s[36:39], 0 offen
	;;#ASMSTART
	s_nop 0
	;;#ASMEND
	s_nop 0
	v_cvt_f16_f32_e32 v4, v14
	v_cvt_f16_f32_e32 v5, v92
	v_cvt_f16_f32_e32 v6, v93
	v_pack_b32_f16 v7, v5, v6
	v_pack_b32_f16 v6, v4, v8
	v_cvt_f16_f32_e32 v4, v40
	v_cvt_f16_f32_e32 v5, v41
	;; [unrolled: 1-line block ×3, first 2 shown]
	v_pack_b32_f16 v5, v4, v5
	v_cvt_f16_f32_e32 v4, v68
	v_pack_b32_f16 v4, v4, v8
	buffer_store_dwordx4 v[4:7], v3, s[36:39], 16 offen
	;;#ASMSTART
	s_nop 0
	;;#ASMEND
.LBB909_21:
	s_or_b64 exec, exec, s[8:9]
	s_cbranch_execnz .LBB909_16
.LBB909_22:
	v_mov_b32_e32 v3, 0
	s_and_saveexec_b64 s[8:9], s[0:1]
	s_cbranch_execz .LBB909_24
; %bb.23:
	v_cvt_f16_f32_e32 v3, v46
	v_cvt_f16_f32_e32 v4, v18
	;; [unrolled: 1-line block ×4, first 2 shown]
	s_load_dwordx2 s[10:11], s[4:5], 0x10
	s_mul_hi_i32 s31, s15, s6
	v_pack_b32_f16 v7, v4, v5
	v_pack_b32_f16 v6, v3, v6
	v_cvt_f16_f32_e32 v3, v28
	v_cvt_f16_f32_e32 v4, v29
	s_mul_i32 s30, s15, s6
	s_lshl_b64 s[30:31], s[30:31], 1
	s_waitcnt lgkmcnt(0)
	s_add_u32 s36, s10, s30
	v_pack_b32_f16 v5, v3, v4
	v_cvt_f16_f32_e32 v3, v58
	v_cvt_f16_f32_e32 v4, v59
	s_addc_u32 s7, s11, s31
	s_and_b32 s37, s7, 0xffff
	s_mov_b32 s39, 0x20000
	v_pack_b32_f16 v4, v3, v4
	v_lshlrev_b32_e32 v3, 5, v0
	buffer_store_dwordx4 v[4:7], v3, s[36:39], 0 offen
	v_cvt_f16_f32_e32 v8, v15
	v_cvt_f16_f32_e32 v4, v14
	;; [unrolled: 1-line block ×4, first 2 shown]
	;;#ASMSTART
	s_nop 0
	;;#ASMEND
	v_pack_b32_f16 v7, v5, v6
	v_pack_b32_f16 v6, v4, v8
	v_cvt_f16_f32_e32 v4, v40
	v_cvt_f16_f32_e32 v5, v41
	;; [unrolled: 1-line block ×3, first 2 shown]
	v_pack_b32_f16 v5, v4, v5
	v_cvt_f16_f32_e32 v4, v68
	v_pack_b32_f16 v4, v4, v8
	buffer_store_dwordx4 v[4:7], v3, s[36:39], 16 offen
	v_mov_b32_e32 v3, 0x2edbe6ff
	;;#ASMSTART
	s_nop 0
	;;#ASMEND
.LBB909_24:
	s_or_b64 exec, exec, s[8:9]
	s_and_saveexec_b64 s[8:9], s[0:1]
	s_cbranch_execz .LBB909_26
; %bb.25:
	v_and_b32_e32 v4, 0x7fffffff, v58
	v_and_b32_e32 v5, 0x7fffffff, v59
	;;#ASMSTART
	v_max3_f32 v3, v3, v4, v5

	;;#ASMEND
	v_and_b32_e32 v4, 0x7fffffff, v28
	v_and_b32_e32 v5, 0x7fffffff, v29
	;;#ASMSTART
	v_max3_f32 v3, v3, v4, v5

	;;#ASMEND
	;; [unrolled: 6-line block ×8, first 2 shown]
.LBB909_26:
	s_or_b64 exec, exec, s[8:9]
	;;#ASMSTART
	v_max_f32 v4, v3, v3 quad_perm:[1,0,3,2] row_mask:0xf bank_mask:0xf bound_ctrl:1
	;;#ASMEND
	;;#ASMSTART
	v_max_f32 v3, v4, v4 quad_perm:[2,3,0,1] row_mask:0xf bank_mask:0xf bound_ctrl:1
	;;#ASMEND
	v_cmp_eq_u32_e32 vcc, 0, v2
	v_cmp_gt_i32_e64 s[8:9], s23, v1
	;;#ASMSTART
	v_max_f32 v4, v3, v3 row_half_mirror row_mask:0xf bank_mask:0xf bound_ctrl:1
	;;#ASMEND
	v_mul_f32_e32 v3, 0x3b124925, v4
	s_and_b64 s[10:11], vcc, s[8:9]
	s_and_saveexec_b64 s[8:9], s[10:11]
	s_cbranch_execz .LBB909_28
; %bb.27:
	s_load_dwordx2 s[10:11], s[4:5], 0x8
	v_lshrrev_b32_e32 v2, 3, v0
	s_mul_hi_i32 s31, s13, s6
	s_mul_i32 s30, s13, s6
	v_mad_i64_i32 v[4:5], s[14:15], s14, v2, 0
	s_lshl_b64 s[14:15], s[30:31], 2
	s_waitcnt lgkmcnt(0)
	s_add_u32 s7, s10, s14
	s_addc_u32 s10, s11, s15
	v_lshlrev_b64 v[4:5], 2, v[4:5]
	v_mov_b32_e32 v2, s10
	v_add_co_u32_e32 v4, vcc, s7, v4
	v_addc_co_u32_e32 v5, vcc, v2, v5, vcc
	global_store_dword v[4:5], v3, off
.LBB909_28:
	s_or_b64 exec, exec, s[8:9]
	;;#ASMSTART
	v_rcp_f32 v2, v3
	;;#ASMEND
	s_and_saveexec_b64 s[14:15], s[0:1]
	s_cbranch_execz .LBB909_30
; %bb.29:
	v_mov_b32_e32 v3, v2
	;;#ASMSTART
	v_pk_mul_f32 v[4:5], v[58:59], v[2:3]
	;;#ASMEND
	v_mov_b32_e32 v10, 0xc3e00000
	v_mov_b32_e32 v11, 0x43e00000
	;;#ASMSTART
	v_med3_f32 v4, v4, v10, v11
v_med3_f32 v5, v5, v10, v11
v_cvt_pk_fp8_f32 v6, v4, v5
	;;#ASMEND
	;;#ASMSTART
	v_pk_mul_f32 v[4:5], v[28:29], v[2:3]
	;;#ASMEND
	;;#ASMSTART
	v_med3_f32 v4, v4, v10, v11
v_med3_f32 v5, v5, v10, v11
v_cvt_pk_fp8_f32 v7, v4, v5
	;;#ASMEND
	;;#ASMSTART
	v_pk_mul_f32 v[4:5], v[46:47], v[2:3]
	;;#ASMEND
	;; [unrolled: 8-line block ×3, first 2 shown]
	;;#ASMSTART
	v_med3_f32 v4, v4, v10, v11
v_med3_f32 v5, v5, v10, v11
v_cvt_pk_fp8_f32 v9, v4, v5
	;;#ASMEND
	s_mov_b32 s0, 0x5040100
	v_perm_b32 v4, v7, v6, s0
	s_mov_b32 s0, 0x1060504
	v_perm_b32 v4, v4, v7, s0
	s_load_dwordx2 s[0:1], s[4:5], 0x0
	s_mov_b32 s7, 0x1000504
	;;#ASMSTART
	v_pk_mul_f32 v[6:7], v[68:69], v[2:3]
	;;#ASMEND
	v_perm_b32 v5, v8, v9, s7
	s_mul_i32 s8, s12, s6
	;;#ASMSTART
	v_med3_f32 v6, v6, v10, v11
v_med3_f32 v7, v7, v10, v11
v_cvt_pk_fp8_f32 v8, v6, v7
	;;#ASMEND
	s_mul_hi_i32 s9, s12, s6
	s_waitcnt lgkmcnt(0)
	s_add_u32 s8, s0, s8
	;;#ASMSTART
	v_pk_mul_f32 v[6:7], v[40:41], v[2:3]
	;;#ASMEND
	s_addc_u32 s0, s1, s9
	s_add_i32 s1, s23, 3
	;;#ASMSTART
	v_med3_f32 v6, v6, v10, v11
v_med3_f32 v7, v7, v10, v11
v_cvt_pk_fp8_f32 v9, v6, v7
	;;#ASMEND
	s_ashr_i32 s9, s1, 31
	v_perm_b32 v6, v8, v9, s7
	;;#ASMSTART
	v_pk_mul_f32 v[8:9], v[14:15], v[2:3]
	;;#ASMEND
	v_mov_b32_e32 v7, v9
	s_lshr_b32 s9, s9, 30
	;;#ASMSTART
	v_med3_f32 v8, v8, v10, v11
v_med3_f32 v7, v7, v10, v11
v_cvt_pk_fp8_f32 v9, v8, v7
	;;#ASMEND
	;;#ASMSTART
	v_pk_mul_f32 v[2:3], v[92:93], v[2:3]
	;;#ASMEND
	s_add_i32 s1, s1, s9
	;;#ASMSTART
	v_med3_f32 v2, v2, v10, v11
v_med3_f32 v3, v3, v10, v11
v_cvt_pk_fp8_f32 v7, v2, v3
	;;#ASMEND
	s_and_b32 s10, s1, -4
	s_and_b32 s9, s0, 0xffff
	s_mov_b32 s11, 0x20000
	v_perm_b32 v7, v9, v7, s7
	buffer_store_dwordx4 v[4:7], v1, s[8:11], 0 offen
	;;#ASMSTART
	s_nop 0
	;;#ASMEND
.LBB909_30:
	s_or_b64 exec, exec, s[14:15]
	s_cmp_lt_i32 s24, 1
	s_cbranch_scc1 .LBB909_17
.LBB909_31:
	s_load_dword s0, s[4:5], 0x94
	s_waitcnt lgkmcnt(0)
	s_cmp_lg_u32 s0, 1
	s_cbranch_scc1 .LBB909_17
; %bb.32:
	s_lshl_b32 s0, s24, 1
	s_add_i32 s0, s0, 2
	v_cmp_gt_u32_e32 vcc, s24, v1
	s_and_b32 s30, s0, -4
	v_mov_b32_e32 v18, 0
	v_lshlrev_b32_e32 v1, 5, v0
	v_mov_b32_e32 v14, 0
	v_mov_b32_e32 v15, 0
	;; [unrolled: 1-line block ×16, first 2 shown]
	s_barrier
	s_and_saveexec_b64 s[0:1], vcc
	s_cbranch_execz .LBB909_34
; %bb.33:
	s_mul_hi_i32 s5, s26, s6
	s_mul_i32 s4, s26, s6
	s_and_b32 s29, s29, 0xffff
	s_lshl_b64 s[4:5], s[4:5], 1
	s_add_u32 s8, s34, s4
	s_mov_b32 s31, 0x20000
	s_addc_u32 s4, s35, s5
	s_and_b32 s9, s4, 0xffff
	s_mov_b32 s10, s30
	s_mov_b32 s11, s31
	buffer_load_dwordx4 v[14:17], v1, s[8:11], 0 offen
	buffer_load_dwordx4 v[10:13], v1, s[8:11], 16 offen
	;; [unrolled: 1-line block ×4, first 2 shown]
.LBB909_34:
	s_or_b64 exec, exec, s[0:1]
	v_mov_b32_e32 v19, 0
	v_mov_b32_e32 v32, 0
	;; [unrolled: 1-line block ×15, first 2 shown]
	s_and_saveexec_b64 s[0:1], vcc
	s_cbranch_execz .LBB909_36
; %bb.35:
	s_waitcnt vmcnt(3)
	v_cvt_f32_f16_sdwa v19, v14 dst_sel:DWORD dst_unused:UNUSED_PAD src0_sel:WORD_1
	v_cvt_f32_f16_e32 v18, v14
	v_cvt_f32_f16_sdwa v33, v15 dst_sel:DWORD dst_unused:UNUSED_PAD src0_sel:WORD_1
	v_cvt_f32_f16_e32 v32, v15
	;; [unrolled: 2-line block ×4, first 2 shown]
	s_waitcnt vmcnt(2)
	v_cvt_f32_f16_sdwa v27, v10 dst_sel:DWORD dst_unused:UNUSED_PAD src0_sel:WORD_1
	v_cvt_f32_f16_e32 v26, v10
	v_cvt_f32_f16_sdwa v25, v11 dst_sel:DWORD dst_unused:UNUSED_PAD src0_sel:WORD_1
	v_cvt_f32_f16_e32 v24, v11
	;; [unrolled: 2-line block ×4, first 2 shown]
.LBB909_36:
	s_or_b64 exec, exec, s[0:1]
	s_waitcnt vmcnt(2)
	v_mul_f32_e32 v10, v19, v19
	v_fmac_f32_e32 v10, v18, v18
	v_fmac_f32_e32 v10, v32, v32
	;; [unrolled: 1-line block ×15, first 2 shown]
	s_nop 1
	v_mov_b32_dpp v11, v10 quad_perm:[1,0,3,2] row_mask:0xf bank_mask:0xf
	v_add_f32_e32 v10, v10, v11
	s_nop 1
	v_mov_b32_dpp v11, v10 quad_perm:[2,3,0,1] row_mask:0xf bank_mask:0xf
	v_add_f32_e32 v10, v10, v11
	s_nop 1
	v_mov_b32_dpp v11, v10 row_half_mirror row_mask:0xf bank_mask:0xf
	v_add_f32_e32 v10, v10, v11
	s_nop 1
	v_mov_b32_dpp v11, v10 row_mirror row_mask:0xf bank_mask:0xf
	v_add_f32_e32 v10, v10, v11
	s_nop 1
	v_mov_b32_dpp v11, v10 row_bcast:15 row_mask:0xf bank_mask:0xf
	v_add_f32_e32 v10, v10, v11
	s_nop 1
	v_mov_b32_dpp v11, v10 row_bcast:31 row_mask:0xf bank_mask:0xf
	s_and_saveexec_b64 s[0:1], s[2:3]
	s_cbranch_execz .LBB909_38
; %bb.37:
	v_lshrrev_b32_e32 v0, 4, v0
	v_add_f32_e32 v10, v10, v11
	v_and_b32_e32 v0, 60, v0
	ds_write_b32 v0, v10
.LBB909_38:
	s_or_b64 exec, exec, s[0:1]
	s_waitcnt lgkmcnt(0)
	s_barrier
	ds_read_b32 v0, v34
	s_waitcnt lgkmcnt(0)
	s_nop 0
	v_mov_b32_dpp v10, v0 quad_perm:[1,0,3,2] row_mask:0xf bank_mask:0xf
	v_add_f32_e32 v0, v0, v10
	s_nop 1
	v_mov_b32_dpp v10, v0 quad_perm:[2,3,0,1] row_mask:0xf bank_mask:0xf
	v_add_f32_e32 v0, v0, v10
	s_nop 1
	v_mov_b32_dpp v10, v0 row_half_mirror row_mask:0xf bank_mask:0xf
	s_and_saveexec_b64 s[0:1], vcc
	s_cbranch_execz .LBB909_17
; %bb.39:
	v_cvt_f32_u32_e32 v11, s24
	v_add_f32_e32 v0, v0, v10
	s_mov_b32 s31, 0x20000
	v_div_scale_f32 v10, s[0:1], v11, v11, v0
	v_rcp_f32_e32 v12, v10
	v_div_scale_f32 v13, vcc, v0, v11, v0
	s_mov_b32 s0, 0x800000
	v_fma_f32 v14, -v10, v12, 1.0
	v_fmac_f32_e32 v12, v14, v12
	v_mul_f32_e32 v14, v13, v12
	v_fma_f32 v15, -v10, v14, v13
	v_fmac_f32_e32 v14, v15, v12
	v_fma_f32 v10, -v10, v14, v13
	v_div_fmas_f32 v10, v10, v12, v14
	v_div_fixup_f32 v0, v10, v11, v0
	v_add_f32_e32 v0, s21, v0
	v_mul_f32_e32 v10, 0x4b800000, v0
	v_cmp_gt_f32_e32 vcc, s0, v0
	v_cndmask_b32_e32 v0, v0, v10, vcc
	v_rsq_f32_e32 v0, v0
	s_mul_hi_i32 s1, s16, s6
	s_mul_i32 s0, s16, s6
	s_lshl_b64 s[0:1], s[0:1], 1
	v_mul_f32_e32 v10, 0x45800000, v0
	v_cndmask_b32_e32 v10, v0, v10, vcc
	v_mov_b32_e32 v11, v10
	;;#ASMSTART
	v_pk_mul_f32 v[12:13], v[18:19], v[10:11]
	;;#ASMEND
	;;#ASMSTART
	v_pk_mul_f32 v[14:15], v[32:33], v[10:11]
	;;#ASMEND
	;; [unrolled: 3-line block ×8, first 2 shown]
	s_waitcnt vmcnt(1)
	v_cvt_f32_f16_sdwa v21, v6 dst_sel:DWORD dst_unused:UNUSED_PAD src0_sel:WORD_1
	v_cvt_f32_f16_e32 v20, v6
	v_cvt_f32_f16_sdwa v29, v7 dst_sel:DWORD dst_unused:UNUSED_PAD src0_sel:WORD_1
	v_cvt_f32_f16_e32 v28, v7
	;; [unrolled: 2-line block ×4, first 2 shown]
	;;#ASMSTART
	v_pk_mul_f32 v[8:9], v[12:13], v[20:21]
	;;#ASMEND
	;;#ASMSTART
	v_pk_mul_f32 v[12:13], v[14:15], v[28:29]
	;;#ASMEND
	;; [unrolled: 3-line block ×4, first 2 shown]
	s_waitcnt vmcnt(0)
	v_cvt_f32_f16_sdwa v17, v2 dst_sel:DWORD dst_unused:UNUSED_PAD src0_sel:WORD_1
	v_cvt_f32_f16_e32 v16, v2
	v_cvt_f32_f16_sdwa v19, v3 dst_sel:DWORD dst_unused:UNUSED_PAD src0_sel:WORD_1
	v_cvt_f32_f16_e32 v18, v3
	;; [unrolled: 2-line block ×4, first 2 shown]
	;;#ASMSTART
	v_pk_mul_f32 v[16:17], v[26:27], v[16:17]
	;;#ASMEND
	;;#ASMSTART
	v_pk_mul_f32 v[18:19], v[24:25], v[18:19]
	;;#ASMEND
	;;#ASMSTART
	v_pk_mul_f32 v[22:23], v[22:23], v[2:3]
	;;#ASMEND
	v_cvt_f16_f32_e32 v0, v8
	v_cvt_f16_f32_e32 v2, v9
	;; [unrolled: 1-line block ×8, first 2 shown]
	s_add_u32 s28, s18, s0
	s_addc_u32 s0, s19, s1
	s_and_b32 s29, s0, 0xffff
	v_pack_b32_f16 v2, v0, v2
	v_pack_b32_f16 v3, v3, v4
	v_pack_b32_f16 v4, v5, v6
	v_pack_b32_f16 v5, v7, v8
	;;#ASMSTART
	v_pk_mul_f32 v[10:11], v[10:11], v[20:21]
	;;#ASMEND
	buffer_store_dwordx4 v[2:5], v1, s[28:31], 0 offen
	v_cvt_f16_f32_e32 v0, v16
	v_cvt_f16_f32_e32 v2, v17
	;; [unrolled: 1-line block ×8, first 2 shown]
	v_pack_b32_f16 v2, v0, v2
	v_pack_b32_f16 v3, v3, v4
	;; [unrolled: 1-line block ×4, first 2 shown]
	;;#ASMSTART
	s_nop 0
	;;#ASMEND
	buffer_store_dwordx4 v[2:5], v1, s[28:31], 16 offen
	;;#ASMSTART
	s_nop 0
	;;#ASMEND
	s_endpgm
	.section	.rodata,"a",@progbits
	.p2align	6, 0x0
	.amdhsa_kernel _ZN5aiter35fused_qk_rmsnorm_group_quant_kernelIDF16_DB8_Li512ELi16ELi8ELb1ELb1ELb0ELb0ELb0ELb0EEEvPT0_PvPT_S6_S6_PKS5_S8_S8_S8_S8_ffiiiiiiiiiiiii
		.amdhsa_group_segment_fixed_size 64
		.amdhsa_private_segment_fixed_size 0
		.amdhsa_kernarg_size 400
		.amdhsa_user_sgpr_count 6
		.amdhsa_user_sgpr_private_segment_buffer 1
		.amdhsa_user_sgpr_dispatch_ptr 0
		.amdhsa_user_sgpr_queue_ptr 0
		.amdhsa_user_sgpr_kernarg_segment_ptr 1
		.amdhsa_user_sgpr_dispatch_id 0
		.amdhsa_user_sgpr_flat_scratch_init 0
		.amdhsa_user_sgpr_kernarg_preload_length 0
		.amdhsa_user_sgpr_kernarg_preload_offset 0
		.amdhsa_user_sgpr_private_segment_size 0
		.amdhsa_uses_dynamic_stack 0
		.amdhsa_system_sgpr_private_segment_wavefront_offset 0
		.amdhsa_system_sgpr_workgroup_id_x 1
		.amdhsa_system_sgpr_workgroup_id_y 1
		.amdhsa_system_sgpr_workgroup_id_z 0
		.amdhsa_system_sgpr_workgroup_info 0
		.amdhsa_system_vgpr_workitem_id 0
		.amdhsa_next_free_vgpr 94
		.amdhsa_next_free_sgpr 44
		.amdhsa_accum_offset 96
		.amdhsa_reserve_vcc 1
		.amdhsa_reserve_flat_scratch 0
		.amdhsa_float_round_mode_32 0
		.amdhsa_float_round_mode_16_64 0
		.amdhsa_float_denorm_mode_32 3
		.amdhsa_float_denorm_mode_16_64 3
		.amdhsa_dx10_clamp 1
		.amdhsa_ieee_mode 1
		.amdhsa_fp16_overflow 0
		.amdhsa_tg_split 0
		.amdhsa_exception_fp_ieee_invalid_op 0
		.amdhsa_exception_fp_denorm_src 0
		.amdhsa_exception_fp_ieee_div_zero 0
		.amdhsa_exception_fp_ieee_overflow 0
		.amdhsa_exception_fp_ieee_underflow 0
		.amdhsa_exception_fp_ieee_inexact 0
		.amdhsa_exception_int_div_zero 0
	.end_amdhsa_kernel
	.section	.text._ZN5aiter35fused_qk_rmsnorm_group_quant_kernelIDF16_DB8_Li512ELi16ELi8ELb1ELb1ELb0ELb0ELb0ELb0EEEvPT0_PvPT_S6_S6_PKS5_S8_S8_S8_S8_ffiiiiiiiiiiiii,"axG",@progbits,_ZN5aiter35fused_qk_rmsnorm_group_quant_kernelIDF16_DB8_Li512ELi16ELi8ELb1ELb1ELb0ELb0ELb0ELb0EEEvPT0_PvPT_S6_S6_PKS5_S8_S8_S8_S8_ffiiiiiiiiiiiii,comdat
.Lfunc_end909:
	.size	_ZN5aiter35fused_qk_rmsnorm_group_quant_kernelIDF16_DB8_Li512ELi16ELi8ELb1ELb1ELb0ELb0ELb0ELb0EEEvPT0_PvPT_S6_S6_PKS5_S8_S8_S8_S8_ffiiiiiiiiiiiii, .Lfunc_end909-_ZN5aiter35fused_qk_rmsnorm_group_quant_kernelIDF16_DB8_Li512ELi16ELi8ELb1ELb1ELb0ELb0ELb0ELb0EEEvPT0_PvPT_S6_S6_PKS5_S8_S8_S8_S8_ffiiiiiiiiiiiii
                                        ; -- End function
	.section	.AMDGPU.csdata,"",@progbits
; Kernel info:
; codeLenInByte = 4300
; NumSgprs: 48
; NumVgprs: 94
; NumAgprs: 0
; TotalNumVgprs: 94
; ScratchSize: 0
; MemoryBound: 0
; FloatMode: 240
; IeeeMode: 1
; LDSByteSize: 64 bytes/workgroup (compile time only)
; SGPRBlocks: 5
; VGPRBlocks: 11
; NumSGPRsForWavesPerEU: 48
; NumVGPRsForWavesPerEU: 94
; AccumOffset: 96
; Occupancy: 5
; WaveLimiterHint : 0
; COMPUTE_PGM_RSRC2:SCRATCH_EN: 0
; COMPUTE_PGM_RSRC2:USER_SGPR: 6
; COMPUTE_PGM_RSRC2:TRAP_HANDLER: 0
; COMPUTE_PGM_RSRC2:TGID_X_EN: 1
; COMPUTE_PGM_RSRC2:TGID_Y_EN: 1
; COMPUTE_PGM_RSRC2:TGID_Z_EN: 0
; COMPUTE_PGM_RSRC2:TIDIG_COMP_CNT: 0
; COMPUTE_PGM_RSRC3_GFX90A:ACCUM_OFFSET: 23
; COMPUTE_PGM_RSRC3_GFX90A:TG_SPLIT: 0
	.section	.text._ZN5aiter35fused_qk_rmsnorm_group_quant_kernelItDB8_Li512ELi16ELi8ELb1ELb1ELb0ELb0ELb0ELb0EEEvPT0_PvPT_S6_S6_PKS5_S8_S8_S8_S8_ffiiiiiiiiiiiii,"axG",@progbits,_ZN5aiter35fused_qk_rmsnorm_group_quant_kernelItDB8_Li512ELi16ELi8ELb1ELb1ELb0ELb0ELb0ELb0EEEvPT0_PvPT_S6_S6_PKS5_S8_S8_S8_S8_ffiiiiiiiiiiiii,comdat
	.protected	_ZN5aiter35fused_qk_rmsnorm_group_quant_kernelItDB8_Li512ELi16ELi8ELb1ELb1ELb0ELb0ELb0ELb0EEEvPT0_PvPT_S6_S6_PKS5_S8_S8_S8_S8_ffiiiiiiiiiiiii ; -- Begin function _ZN5aiter35fused_qk_rmsnorm_group_quant_kernelItDB8_Li512ELi16ELi8ELb1ELb1ELb0ELb0ELb0ELb0EEEvPT0_PvPT_S6_S6_PKS5_S8_S8_S8_S8_ffiiiiiiiiiiiii
	.globl	_ZN5aiter35fused_qk_rmsnorm_group_quant_kernelItDB8_Li512ELi16ELi8ELb1ELb1ELb0ELb0ELb0ELb0EEEvPT0_PvPT_S6_S6_PKS5_S8_S8_S8_S8_ffiiiiiiiiiiiii
	.p2align	8
	.type	_ZN5aiter35fused_qk_rmsnorm_group_quant_kernelItDB8_Li512ELi16ELi8ELb1ELb1ELb0ELb0ELb0ELb0EEEvPT0_PvPT_S6_S6_PKS5_S8_S8_S8_S8_ffiiiiiiiiiiiii,@function
_ZN5aiter35fused_qk_rmsnorm_group_quant_kernelItDB8_Li512ELi16ELi8ELb1ELb1ELb0ELb0ELb0ELb0EEEvPT0_PvPT_S6_S6_PKS5_S8_S8_S8_S8_ffiiiiiiiiiiiii: ; @_ZN5aiter35fused_qk_rmsnorm_group_quant_kernelItDB8_Li512ELi16ELi8ELb1ELb1ELb0ELb0ELb0ELb0EEEvPT0_PvPT_S6_S6_PKS5_S8_S8_S8_S8_ffiiiiiiiiiiiii
; %bb.0:
	s_load_dwordx8 s[20:27], s[4:5], 0x50
	s_waitcnt lgkmcnt(0)
	s_cmp_ge_i32 s6, s22
	s_cbranch_scc1 .LBB910_17
; %bb.1:
	s_cmp_lg_u32 s7, 0
	s_cselect_b64 s[10:11], -1, 0
	s_cmp_eq_u32 s7, 0
	s_cselect_b64 s[8:9], -1, 0
	s_and_b64 s[0:1], s[8:9], exec
	s_load_dwordx2 s[28:29], s[4:5], 0x48
	s_load_dwordx2 s[34:35], s[4:5], 0x30
	s_load_dwordx8 s[12:19], s[4:5], 0x70
	s_cselect_b32 s7, s23, s24
	s_add_i32 s0, s7, 1
	s_lshr_b32 s1, s0, 31
	s_add_i32 s0, s0, s1
	s_lshl_b32 s0, s0, 1
	v_lshlrev_b32_e32 v1, 4, v0
	s_and_b32 s38, s0, -4
	v_cmp_gt_i32_e64 s[0:1], s7, v1
	v_mov_b32_e32 v82, 0
	v_mov_b32_e32 v83, 0
	v_mov_b32_e32 v84, 0
	v_mov_b32_e32 v85, 0
	v_mov_b32_e32 v78, 0
	v_mov_b32_e32 v79, 0
	v_mov_b32_e32 v80, 0
	v_mov_b32_e32 v81, 0
	v_mov_b32_e32 v86, 0
	v_mov_b32_e32 v87, 0
	v_mov_b32_e32 v88, 0
	v_mov_b32_e32 v89, 0
	v_mov_b32_e32 v90, 0
	v_mov_b32_e32 v91, 0
	v_mov_b32_e32 v92, 0
	v_mov_b32_e32 v93, 0
	s_and_saveexec_b64 s[2:3], s[0:1]
	s_cbranch_execz .LBB910_3
; %bb.2:
	s_waitcnt lgkmcnt(0)
	s_load_dwordx2 s[18:19], s[4:5], 0x28
	s_load_dwordx2 s[30:31], s[4:5], 0x40
	s_and_b64 s[36:37], s[8:9], exec
	s_cselect_b32 s22, s25, s26
	s_mov_b32 s39, 0x20000
	s_waitcnt lgkmcnt(0)
	s_cselect_b32 s25, s19, s35
	s_cselect_b32 s33, s18, s34
	s_mul_hi_i32 s19, s22, s6
	s_mul_i32 s18, s22, s6
	s_lshl_b64 s[18:19], s[18:19], 1
	s_add_u32 s40, s33, s18
	s_addc_u32 s22, s25, s19
	s_and_b64 s[18:19], s[8:9], exec
	s_cselect_b32 s36, s30, s28
	s_cselect_b32 s18, s31, s29
	s_and_b32 s41, s22, 0xffff
	s_mov_b32 s42, s38
	s_mov_b32 s43, s39
	v_lshlrev_b32_e32 v2, 5, v0
	s_and_b32 s37, s18, 0xffff
	buffer_load_dwordx4 v[86:89], v2, s[40:43], 0 offen
	buffer_load_dwordx4 v[90:93], v2, s[40:43], 16 offen
	;; [unrolled: 1-line block ×4, first 2 shown]
.LBB910_3:
	s_or_b64 exec, exec, s[2:3]
	s_and_b64 vcc, exec, s[10:11]
	s_cbranch_vccz .LBB910_7
; %bb.4:
	v_mov_b32_e32 v95, 0
	v_mov_b32_e32 v94, 0
	;; [unrolled: 1-line block ×16, first 2 shown]
	s_and_saveexec_b64 s[2:3], s[0:1]
	s_cbranch_execz .LBB910_6
; %bb.5:
	s_waitcnt vmcnt(3)
	v_cvt_f32_u32_sdwa v62, v86 dst_sel:DWORD dst_unused:UNUSED_PAD src0_sel:WORD_0
	v_cvt_f32_u32_sdwa v63, v86 dst_sel:DWORD dst_unused:UNUSED_PAD src0_sel:WORD_1
	v_cvt_f32_u32_sdwa v24, v87 dst_sel:DWORD dst_unused:UNUSED_PAD src0_sel:WORD_0
	v_cvt_f32_u32_sdwa v25, v87 dst_sel:DWORD dst_unused:UNUSED_PAD src0_sel:WORD_1
	;; [unrolled: 2-line block ×4, first 2 shown]
	s_waitcnt vmcnt(2)
	v_cvt_f32_u32_sdwa v42, v90 dst_sel:DWORD dst_unused:UNUSED_PAD src0_sel:WORD_0
	v_cvt_f32_u32_sdwa v43, v90 dst_sel:DWORD dst_unused:UNUSED_PAD src0_sel:WORD_1
	v_cvt_f32_u32_sdwa v18, v91 dst_sel:DWORD dst_unused:UNUSED_PAD src0_sel:WORD_0
	v_cvt_f32_u32_sdwa v19, v91 dst_sel:DWORD dst_unused:UNUSED_PAD src0_sel:WORD_1
	v_cvt_f32_u32_sdwa v14, v92 dst_sel:DWORD dst_unused:UNUSED_PAD src0_sel:WORD_0
	v_cvt_f32_u32_sdwa v15, v92 dst_sel:DWORD dst_unused:UNUSED_PAD src0_sel:WORD_1
	v_cvt_f32_u32_sdwa v94, v93 dst_sel:DWORD dst_unused:UNUSED_PAD src0_sel:WORD_0
	v_cvt_f32_u32_sdwa v95, v93 dst_sel:DWORD dst_unused:UNUSED_PAD src0_sel:WORD_1
.LBB910_6:
	s_or_b64 exec, exec, s[2:3]
	s_cbranch_execz .LBB910_8
	s_branch .LBB910_11
.LBB910_7:
                                        ; implicit-def: $vgpr22_vgpr23_vgpr24_vgpr25_vgpr26_vgpr27_vgpr28_vgpr29_vgpr30_vgpr31_vgpr32_vgpr33_vgpr34_vgpr35_vgpr36_vgpr37
                                        ; implicit-def: $vgpr46_vgpr47_vgpr48_vgpr49_vgpr50_vgpr51_vgpr52_vgpr53_vgpr54_vgpr55_vgpr56_vgpr57_vgpr58_vgpr59_vgpr60_vgpr61
                                        ; implicit-def: $vgpr26_vgpr27_vgpr28_vgpr29_vgpr30_vgpr31_vgpr32_vgpr33_vgpr34_vgpr35_vgpr36_vgpr37_vgpr38_vgpr39_vgpr40_vgpr41
                                        ; implicit-def: $vgpr8_vgpr9_vgpr10_vgpr11_vgpr12_vgpr13_vgpr14_vgpr15_vgpr16_vgpr17_vgpr18_vgpr19_vgpr20_vgpr21_vgpr22_vgpr23
                                        ; implicit-def: $vgpr95
                                        ; implicit-def: $vgpr62_vgpr63_vgpr64_vgpr65_vgpr66_vgpr67_vgpr68_vgpr69_vgpr70_vgpr71_vgpr72_vgpr73_vgpr74_vgpr75_vgpr76_vgpr77
                                        ; implicit-def: $vgpr34_vgpr35_vgpr36_vgpr37_vgpr38_vgpr39_vgpr40_vgpr41_vgpr42_vgpr43_vgpr44_vgpr45_vgpr46_vgpr47_vgpr48_vgpr49
                                        ; implicit-def: $vgpr2_vgpr3_vgpr4_vgpr5_vgpr6_vgpr7_vgpr8_vgpr9_vgpr10_vgpr11_vgpr12_vgpr13_vgpr14_vgpr15_vgpr16_vgpr17
.LBB910_8:
	v_mov_b32_e32 v95, 0
	v_mov_b32_e32 v94, 0
	;; [unrolled: 1-line block ×16, first 2 shown]
	s_and_saveexec_b64 s[2:3], s[0:1]
	s_cbranch_execz .LBB910_10
; %bb.9:
	s_waitcnt lgkmcnt(0)
	s_load_dwordx2 s[18:19], s[4:5], 0x38
	s_mul_hi_i32 s31, s27, s6
	s_mul_i32 s30, s27, s6
	s_lshl_b64 s[30:31], s[30:31], 1
	s_mov_b32 s39, 0x20000
	s_waitcnt lgkmcnt(0)
	s_add_u32 s36, s18, s30
	s_addc_u32 s18, s19, s31
	s_and_b32 s37, s18, 0xffff
	v_lshlrev_b32_e32 v38, 5, v0
	buffer_load_dwordx4 v[4:7], v38, s[36:39], 16 offen
	buffer_load_dwordx4 v[8:11], v38, s[36:39], 0 offen
	s_load_dwordx2 s[18:19], s[4:5], 0x20
	s_waitcnt vmcnt(5)
	v_cvt_f32_u32_sdwa v19, v86 dst_sel:DWORD dst_unused:UNUSED_PAD src0_sel:WORD_1
	v_cvt_f32_u32_sdwa v18, v86 dst_sel:DWORD dst_unused:UNUSED_PAD src0_sel:WORD_0
	v_cvt_f32_u32_sdwa v21, v87 dst_sel:DWORD dst_unused:UNUSED_PAD src0_sel:WORD_1
	v_cvt_f32_u32_sdwa v20, v87 dst_sel:DWORD dst_unused:UNUSED_PAD src0_sel:WORD_0
	;; [unrolled: 2-line block ×4, first 2 shown]
	s_waitcnt vmcnt(4)
	v_cvt_f32_u32_sdwa v3, v90 dst_sel:DWORD dst_unused:UNUSED_PAD src0_sel:WORD_1
	v_cvt_f32_u32_sdwa v2, v90 dst_sel:DWORD dst_unused:UNUSED_PAD src0_sel:WORD_0
	v_cvt_f32_u32_sdwa v13, v91 dst_sel:DWORD dst_unused:UNUSED_PAD src0_sel:WORD_1
	v_cvt_f32_u32_sdwa v12, v91 dst_sel:DWORD dst_unused:UNUSED_PAD src0_sel:WORD_0
	;; [unrolled: 2-line block ×3, first 2 shown]
	v_cvt_f32_u32_sdwa v16, v93 dst_sel:DWORD dst_unused:UNUSED_PAD src0_sel:WORD_0
	v_cvt_f32_u32_sdwa v17, v93 dst_sel:DWORD dst_unused:UNUSED_PAD src0_sel:WORD_1
	s_mul_hi_i32 s31, s17, s6
	s_mul_i32 s30, s17, s6
	s_lshl_b64 s[30:31], s[30:31], 1
	s_waitcnt lgkmcnt(0)
	s_add_u32 s36, s18, s30
	s_mov_b32 s17, 0x7060302
	s_addc_u32 s18, s19, s31
	s_and_b32 s37, s18, 0xffff
	s_waitcnt vmcnt(1)
	v_cvt_f32_u32_sdwa v27, v4 dst_sel:DWORD dst_unused:UNUSED_PAD src0_sel:WORD_1
	v_cvt_f32_u32_sdwa v26, v4 dst_sel:DWORD dst_unused:UNUSED_PAD src0_sel:WORD_0
	v_cvt_f32_u32_sdwa v29, v5 dst_sel:DWORD dst_unused:UNUSED_PAD src0_sel:WORD_1
	v_cvt_f32_u32_sdwa v28, v5 dst_sel:DWORD dst_unused:UNUSED_PAD src0_sel:WORD_0
	;; [unrolled: 2-line block ×3, first 2 shown]
	v_cvt_f32_u32_sdwa v34, v7 dst_sel:DWORD dst_unused:UNUSED_PAD src0_sel:WORD_0
	v_cvt_f32_u32_sdwa v35, v7 dst_sel:DWORD dst_unused:UNUSED_PAD src0_sel:WORD_1
	s_waitcnt vmcnt(0)
	v_cvt_f32_u32_sdwa v37, v8 dst_sel:DWORD dst_unused:UNUSED_PAD src0_sel:WORD_1
	v_cvt_f32_u32_sdwa v36, v8 dst_sel:DWORD dst_unused:UNUSED_PAD src0_sel:WORD_0
	v_cvt_f32_u32_sdwa v5, v10 dst_sel:DWORD dst_unused:UNUSED_PAD src0_sel:WORD_1
	v_cvt_f32_u32_sdwa v4, v10 dst_sel:DWORD dst_unused:UNUSED_PAD src0_sel:WORD_0
	;; [unrolled: 2-line block ×4, first 2 shown]
	v_pk_add_f32 v[50:51], v[22:23], v[4:5]
	v_pk_add_f32 v[32:33], v[24:25], v[6:7]
	;; [unrolled: 1-line block ×4, first 2 shown]
	v_perm_b32 v7, v33, v32, s17
	v_perm_b32 v6, v51, v50, s17
	;; [unrolled: 1-line block ×4, first 2 shown]
	v_pk_add_f32 v[94:95], v[16:17], v[34:35]
	v_pk_add_f32 v[14:15], v[14:15], v[30:31]
	;; [unrolled: 1-line block ×4, first 2 shown]
	buffer_store_dwordx4 v[4:7], v38, s[36:39], 0 offen
	;;#ASMSTART
	s_nop 0
	;;#ASMEND
	s_nop 0
	v_perm_b32 v7, v95, v94, s17
	v_perm_b32 v6, v15, v14, s17
	v_perm_b32 v5, v19, v18, s17
	v_perm_b32 v4, v43, v42, s17
	buffer_store_dwordx4 v[4:7], v38, s[36:39], 16 offen
	;;#ASMSTART
	s_nop 0
	;;#ASMEND
.LBB910_10:
	s_or_b64 exec, exec, s[2:3]
.LBB910_11:
	v_mul_f32_e32 v2, v63, v63
	v_fmac_f32_e32 v2, v62, v62
	v_fmac_f32_e32 v2, v24, v24
	;; [unrolled: 1-line block ×15, first 2 shown]
	s_nop 1
	v_mov_b32_dpp v3, v2 quad_perm:[1,0,3,2] row_mask:0xf bank_mask:0xf
	v_add_f32_e32 v2, v2, v3
	s_nop 1
	v_mov_b32_dpp v3, v2 quad_perm:[2,3,0,1] row_mask:0xf bank_mask:0xf
	v_add_f32_e32 v2, v2, v3
	s_nop 1
	v_mov_b32_dpp v3, v2 row_half_mirror row_mask:0xf bank_mask:0xf
	v_add_f32_e32 v2, v2, v3
	s_nop 1
	v_mov_b32_dpp v3, v2 row_mirror row_mask:0xf bank_mask:0xf
	v_add_f32_e32 v2, v2, v3
	s_nop 1
	v_mov_b32_dpp v3, v2 row_bcast:15 row_mask:0xf bank_mask:0xf
	v_add_f32_e32 v2, v2, v3
	v_and_b32_e32 v3, 63, v0
	v_cmp_eq_u32_e64 s[2:3], 63, v3
	s_nop 0
	v_mov_b32_dpp v3, v2 row_bcast:31 row_mask:0xf bank_mask:0xf
	s_waitcnt lgkmcnt(0)
	s_and_saveexec_b64 s[18:19], s[2:3]
	s_cbranch_execz .LBB910_13
; %bb.12:
	v_add_f32_e32 v2, v2, v3
	v_lshrrev_b32_e32 v3, 4, v0
	v_and_b32_e32 v3, 60, v3
	ds_write_b32 v3, v2 offset:32
.LBB910_13:
	s_or_b64 exec, exec, s[18:19]
	v_and_b32_e32 v2, 7, v0
	v_lshlrev_b32_e32 v34, 2, v2
	s_waitcnt lgkmcnt(0)
	s_barrier
	ds_read_b32 v3, v34 offset:32
	s_load_dwordx2 s[18:19], s[4:5], 0x18
	s_waitcnt lgkmcnt(0)
	v_mov_b32_dpp v4, v3 quad_perm:[1,0,3,2] row_mask:0xf bank_mask:0xf
	v_add_f32_e32 v3, v3, v4
	s_nop 1
	v_mov_b32_dpp v4, v3 quad_perm:[2,3,0,1] row_mask:0xf bank_mask:0xf
	v_add_f32_e32 v3, v3, v4
	s_nop 1
	v_mov_b32_dpp v4, v3 row_half_mirror row_mask:0xf bank_mask:0xf
	s_and_saveexec_b64 s[30:31], s[0:1]
	s_cbranch_execnz .LBB910_18
; %bb.14:
	s_or_b64 exec, exec, s[30:31]
	s_mov_b64 s[8:9], -1
	s_and_b64 vcc, exec, s[10:11]
	s_cbranch_vccnz .LBB910_19
.LBB910_15:
	s_andn2_b64 vcc, exec, s[8:9]
	s_cbranch_vccz .LBB910_22
.LBB910_16:
	s_cmp_lt_i32 s24, 1
	s_cbranch_scc0 .LBB910_31
.LBB910_17:
	s_endpgm
.LBB910_18:
	v_add_f32_e32 v3, v3, v4
	v_cvt_f32_u32_e32 v4, s7
	s_mov_b32 s7, 0x800000
	s_waitcnt vmcnt(1)
	v_cvt_f32_u32_sdwa v21, v82 dst_sel:DWORD dst_unused:UNUSED_PAD src0_sel:WORD_1
	v_cvt_f32_u32_sdwa v20, v82 dst_sel:DWORD dst_unused:UNUSED_PAD src0_sel:WORD_0
	v_div_scale_f32 v5, s[36:37], v4, v4, v3
	v_rcp_f32_e32 v6, v5
	v_cvt_f32_u32_sdwa v23, v83 dst_sel:DWORD dst_unused:UNUSED_PAD src0_sel:WORD_1
	v_cvt_f32_u32_sdwa v22, v83 dst_sel:DWORD dst_unused:UNUSED_PAD src0_sel:WORD_0
	s_waitcnt vmcnt(0)
	v_cvt_f32_u32_sdwa v27, v80 dst_sel:DWORD dst_unused:UNUSED_PAD src0_sel:WORD_1
	v_fma_f32 v7, -v5, v6, 1.0
	v_fmac_f32_e32 v6, v7, v6
	v_div_scale_f32 v7, vcc, v3, v4, v3
	v_mul_f32_e32 v8, v7, v6
	v_fma_f32 v9, -v5, v8, v7
	v_fmac_f32_e32 v8, v9, v6
	v_fma_f32 v5, -v5, v8, v7
	v_div_fmas_f32 v5, v5, v6, v8
	v_div_fixup_f32 v3, v5, v4, v3
	v_mov_b32_e32 v4, s21
	v_mov_b32_e32 v5, s20
	v_cndmask_b32_e64 v4, v4, v5, s[8:9]
	v_add_f32_e32 v3, v4, v3
	v_mul_f32_e32 v4, 0x4b800000, v3
	v_cmp_gt_f32_e32 vcc, s7, v3
	v_cndmask_b32_e32 v3, v3, v4, vcc
	v_rsq_f32_e32 v3, v3
	v_cvt_f32_u32_sdwa v26, v80 dst_sel:DWORD dst_unused:UNUSED_PAD src0_sel:WORD_0
	v_cvt_f32_u32_sdwa v29, v81 dst_sel:DWORD dst_unused:UNUSED_PAD src0_sel:WORD_1
	v_cvt_f32_u32_sdwa v28, v81 dst_sel:DWORD dst_unused:UNUSED_PAD src0_sel:WORD_0
	v_mul_f32_e32 v4, 0x45800000, v3
	v_cndmask_b32_e32 v4, v3, v4, vcc
	v_mov_b32_e32 v5, v4
	;;#ASMSTART
	v_pk_mul_f32 v[6:7], v[62:63], v[4:5]
	;;#ASMEND
	;;#ASMSTART
	v_pk_mul_f32 v[8:9], v[24:25], v[4:5]
	;;#ASMEND
	;; [unrolled: 3-line block ×10, first 2 shown]
	v_cvt_f32_u32_sdwa v7, v84 dst_sel:DWORD dst_unused:UNUSED_PAD src0_sel:WORD_1
	v_cvt_f32_u32_sdwa v6, v84 dst_sel:DWORD dst_unused:UNUSED_PAD src0_sel:WORD_0
	v_cvt_f32_u32_sdwa v9, v85 dst_sel:DWORD dst_unused:UNUSED_PAD src0_sel:WORD_1
	v_cvt_f32_u32_sdwa v8, v85 dst_sel:DWORD dst_unused:UNUSED_PAD src0_sel:WORD_0
	;; [unrolled: 2-line block ×4, first 2 shown]
	;;#ASMSTART
	v_pk_mul_f32 v[50:51], v[10:11], v[6:7]
	;;#ASMEND
	;;#ASMSTART
	v_pk_mul_f32 v[32:33], v[12:13], v[8:9]
	;;#ASMEND
	;;#ASMSTART
	v_pk_mul_f32 v[42:43], v[16:17], v[20:21]
	;;#ASMEND
	;;#ASMSTART
	v_pk_mul_f32 v[18:19], v[18:19], v[22:23]
	;;#ASMEND
	;;#ASMSTART
	v_pk_mul_f32 v[14:15], v[14:15], v[26:27]
	;;#ASMEND
	;;#ASMSTART
	v_pk_mul_f32 v[94:95], v[4:5], v[28:29]
	;;#ASMEND
	s_or_b64 exec, exec, s[30:31]
	s_mov_b64 s[8:9], -1
	s_and_b64 vcc, exec, s[10:11]
	s_cbranch_vccz .LBB910_15
.LBB910_19:
	s_and_saveexec_b64 s[8:9], s[0:1]
	s_cbranch_execz .LBB910_21
; %bb.20:
	s_mul_hi_i32 s11, s16, s6
	s_mul_i32 s10, s16, s6
	s_lshl_b64 s[10:11], s[10:11], 1
	s_add_u32 s36, s18, s10
	s_addc_u32 s7, s19, s11
	s_and_b32 s37, s7, 0xffff
	s_mov_b32 s7, 0x7060302
	s_mov_b32 s39, 0x20000
	v_perm_b32 v7, v33, v32, s7
	v_perm_b32 v6, v51, v50, s7
	;; [unrolled: 1-line block ×4, first 2 shown]
	v_lshlrev_b32_e32 v3, 5, v0
	buffer_store_dwordx4 v[4:7], v3, s[36:39], 0 offen
	;;#ASMSTART
	s_nop 0
	;;#ASMEND
	s_nop 0
	v_perm_b32 v7, v95, v94, s7
	v_perm_b32 v6, v15, v14, s7
	;; [unrolled: 1-line block ×4, first 2 shown]
	buffer_store_dwordx4 v[4:7], v3, s[36:39], 16 offen
	;;#ASMSTART
	s_nop 0
	;;#ASMEND
.LBB910_21:
	s_or_b64 exec, exec, s[8:9]
	s_cbranch_execnz .LBB910_16
.LBB910_22:
	v_mov_b32_e32 v3, 0
	s_and_saveexec_b64 s[8:9], s[0:1]
	s_cbranch_execz .LBB910_24
; %bb.23:
	s_load_dwordx2 s[10:11], s[4:5], 0x10
	s_mul_hi_i32 s31, s15, s6
	s_mul_i32 s30, s15, s6
	s_lshl_b64 s[30:31], s[30:31], 1
	s_mov_b32 s39, 0x20000
	s_waitcnt lgkmcnt(0)
	s_add_u32 s36, s10, s30
	s_addc_u32 s7, s11, s31
	s_and_b32 s37, s7, 0xffff
	s_mov_b32 s7, 0x7060302
	v_perm_b32 v7, v33, v32, s7
	v_perm_b32 v6, v51, v50, s7
	;; [unrolled: 1-line block ×4, first 2 shown]
	v_lshlrev_b32_e32 v3, 5, v0
	buffer_store_dwordx4 v[4:7], v3, s[36:39], 0 offen
	;;#ASMSTART
	s_nop 0
	;;#ASMEND
	s_nop 0
	v_perm_b32 v7, v95, v94, s7
	v_perm_b32 v6, v15, v14, s7
	;; [unrolled: 1-line block ×4, first 2 shown]
	buffer_store_dwordx4 v[4:7], v3, s[36:39], 16 offen
	v_mov_b32_e32 v3, 0x2edbe6ff
	;;#ASMSTART
	s_nop 0
	;;#ASMEND
.LBB910_24:
	s_or_b64 exec, exec, s[8:9]
	s_and_saveexec_b64 s[8:9], s[0:1]
	s_cbranch_execz .LBB910_26
; %bb.25:
	v_and_b32_e32 v4, 0x7fffffff, v62
	v_and_b32_e32 v5, 0x7fffffff, v63
	;;#ASMSTART
	v_max3_f32 v3, v3, v4, v5

	;;#ASMEND
	v_and_b32_e32 v4, 0x7fffffff, v24
	v_and_b32_e32 v5, 0x7fffffff, v25
	;;#ASMSTART
	v_max3_f32 v3, v3, v4, v5

	;;#ASMEND
	;; [unrolled: 6-line block ×8, first 2 shown]
.LBB910_26:
	s_or_b64 exec, exec, s[8:9]
	;;#ASMSTART
	v_max_f32 v4, v3, v3 quad_perm:[1,0,3,2] row_mask:0xf bank_mask:0xf bound_ctrl:1
	;;#ASMEND
	;;#ASMSTART
	v_max_f32 v3, v4, v4 quad_perm:[2,3,0,1] row_mask:0xf bank_mask:0xf bound_ctrl:1
	;;#ASMEND
	v_cmp_eq_u32_e32 vcc, 0, v2
	v_cmp_gt_i32_e64 s[8:9], s23, v1
	;;#ASMSTART
	v_max_f32 v4, v3, v3 row_half_mirror row_mask:0xf bank_mask:0xf bound_ctrl:1
	;;#ASMEND
	v_mul_f32_e32 v3, 0x3b124925, v4
	s_and_b64 s[10:11], vcc, s[8:9]
	s_and_saveexec_b64 s[8:9], s[10:11]
	s_cbranch_execz .LBB910_28
; %bb.27:
	s_load_dwordx2 s[10:11], s[4:5], 0x8
	v_lshrrev_b32_e32 v2, 3, v0
	s_mul_hi_i32 s31, s13, s6
	s_mul_i32 s30, s13, s6
	v_mad_i64_i32 v[4:5], s[14:15], s14, v2, 0
	s_lshl_b64 s[14:15], s[30:31], 2
	s_waitcnt lgkmcnt(0)
	s_add_u32 s7, s10, s14
	s_addc_u32 s10, s11, s15
	v_lshlrev_b64 v[4:5], 2, v[4:5]
	v_mov_b32_e32 v2, s10
	v_add_co_u32_e32 v4, vcc, s7, v4
	v_addc_co_u32_e32 v5, vcc, v2, v5, vcc
	global_store_dword v[4:5], v3, off
.LBB910_28:
	s_or_b64 exec, exec, s[8:9]
	;;#ASMSTART
	v_rcp_f32 v2, v3
	;;#ASMEND
	s_and_saveexec_b64 s[14:15], s[0:1]
	s_cbranch_execz .LBB910_30
; %bb.29:
	v_mov_b32_e32 v3, v2
	;;#ASMSTART
	v_pk_mul_f32 v[4:5], v[62:63], v[2:3]
	;;#ASMEND
	v_mov_b32_e32 v10, 0xc3e00000
	v_mov_b32_e32 v11, 0x43e00000
	;;#ASMSTART
	v_med3_f32 v4, v4, v10, v11
v_med3_f32 v5, v5, v10, v11
v_cvt_pk_fp8_f32 v6, v4, v5
	;;#ASMEND
	;;#ASMSTART
	v_pk_mul_f32 v[4:5], v[24:25], v[2:3]
	;;#ASMEND
	;;#ASMSTART
	v_med3_f32 v4, v4, v10, v11
v_med3_f32 v5, v5, v10, v11
v_cvt_pk_fp8_f32 v7, v4, v5
	;;#ASMEND
	;;#ASMSTART
	v_pk_mul_f32 v[4:5], v[50:51], v[2:3]
	;;#ASMEND
	;; [unrolled: 8-line block ×3, first 2 shown]
	;;#ASMSTART
	v_med3_f32 v4, v4, v10, v11
v_med3_f32 v5, v5, v10, v11
v_cvt_pk_fp8_f32 v9, v4, v5
	;;#ASMEND
	s_mov_b32 s0, 0x5040100
	v_perm_b32 v4, v7, v6, s0
	s_mov_b32 s0, 0x1060504
	v_perm_b32 v4, v4, v7, s0
	s_load_dwordx2 s[0:1], s[4:5], 0x0
	s_mov_b32 s7, 0x1000504
	;;#ASMSTART
	v_pk_mul_f32 v[6:7], v[42:43], v[2:3]
	;;#ASMEND
	v_perm_b32 v5, v8, v9, s7
	s_mul_i32 s8, s12, s6
	;;#ASMSTART
	v_med3_f32 v6, v6, v10, v11
v_med3_f32 v7, v7, v10, v11
v_cvt_pk_fp8_f32 v8, v6, v7
	;;#ASMEND
	s_mul_hi_i32 s9, s12, s6
	s_waitcnt lgkmcnt(0)
	s_add_u32 s8, s0, s8
	;;#ASMSTART
	v_pk_mul_f32 v[6:7], v[18:19], v[2:3]
	;;#ASMEND
	s_addc_u32 s0, s1, s9
	s_add_i32 s1, s23, 3
	;;#ASMSTART
	v_med3_f32 v6, v6, v10, v11
v_med3_f32 v7, v7, v10, v11
v_cvt_pk_fp8_f32 v9, v6, v7
	;;#ASMEND
	s_ashr_i32 s9, s1, 31
	v_perm_b32 v6, v8, v9, s7
	;;#ASMSTART
	v_pk_mul_f32 v[8:9], v[14:15], v[2:3]
	;;#ASMEND
	v_mov_b32_e32 v7, v8
	s_lshr_b32 s9, s9, 30
	;;#ASMSTART
	v_med3_f32 v7, v7, v10, v11
v_med3_f32 v9, v9, v10, v11
v_cvt_pk_fp8_f32 v8, v7, v9
	;;#ASMEND
	;;#ASMSTART
	v_pk_mul_f32 v[2:3], v[94:95], v[2:3]
	;;#ASMEND
	s_add_i32 s1, s1, s9
	;;#ASMSTART
	v_med3_f32 v2, v2, v10, v11
v_med3_f32 v3, v3, v10, v11
v_cvt_pk_fp8_f32 v7, v2, v3
	;;#ASMEND
	s_and_b32 s10, s1, -4
	s_and_b32 s9, s0, 0xffff
	s_mov_b32 s11, 0x20000
	v_perm_b32 v7, v8, v7, s7
	buffer_store_dwordx4 v[4:7], v1, s[8:11], 0 offen
	;;#ASMSTART
	s_nop 0
	;;#ASMEND
.LBB910_30:
	s_or_b64 exec, exec, s[14:15]
	s_cmp_lt_i32 s24, 1
	s_cbranch_scc1 .LBB910_17
.LBB910_31:
	s_load_dword s0, s[4:5], 0x94
	s_waitcnt lgkmcnt(0)
	s_cmp_lg_u32 s0, 1
	s_cbranch_scc1 .LBB910_17
; %bb.32:
	s_lshl_b32 s0, s24, 1
	s_add_i32 s0, s0, 2
	v_cmp_gt_u32_e32 vcc, s24, v1
	s_and_b32 s30, s0, -4
	v_mov_b32_e32 v18, 0
	v_lshlrev_b32_e32 v1, 5, v0
	v_mov_b32_e32 v14, 0
	v_mov_b32_e32 v15, 0
	;; [unrolled: 1-line block ×16, first 2 shown]
	s_barrier
	s_and_saveexec_b64 s[0:1], vcc
	s_cbranch_execz .LBB910_34
; %bb.33:
	s_mul_hi_i32 s5, s26, s6
	s_mul_i32 s4, s26, s6
	s_and_b32 s29, s29, 0xffff
	s_lshl_b64 s[4:5], s[4:5], 1
	s_add_u32 s8, s34, s4
	s_mov_b32 s31, 0x20000
	s_addc_u32 s4, s35, s5
	s_and_b32 s9, s4, 0xffff
	s_mov_b32 s10, s30
	s_mov_b32 s11, s31
	buffer_load_dwordx4 v[14:17], v1, s[8:11], 0 offen
	buffer_load_dwordx4 v[10:13], v1, s[8:11], 16 offen
	;; [unrolled: 1-line block ×4, first 2 shown]
.LBB910_34:
	s_or_b64 exec, exec, s[0:1]
	v_mov_b32_e32 v19, 0
	v_mov_b32_e32 v32, 0
	;; [unrolled: 1-line block ×15, first 2 shown]
	s_and_saveexec_b64 s[0:1], vcc
	s_cbranch_execz .LBB910_36
; %bb.35:
	s_waitcnt vmcnt(3)
	v_cvt_f32_u32_sdwa v18, v14 dst_sel:DWORD dst_unused:UNUSED_PAD src0_sel:WORD_0
	v_cvt_f32_u32_sdwa v19, v14 dst_sel:DWORD dst_unused:UNUSED_PAD src0_sel:WORD_1
	v_cvt_f32_u32_sdwa v32, v15 dst_sel:DWORD dst_unused:UNUSED_PAD src0_sel:WORD_0
	v_cvt_f32_u32_sdwa v33, v15 dst_sel:DWORD dst_unused:UNUSED_PAD src0_sel:WORD_1
	;; [unrolled: 2-line block ×4, first 2 shown]
	s_waitcnt vmcnt(2)
	v_cvt_f32_u32_sdwa v26, v10 dst_sel:DWORD dst_unused:UNUSED_PAD src0_sel:WORD_0
	v_cvt_f32_u32_sdwa v27, v10 dst_sel:DWORD dst_unused:UNUSED_PAD src0_sel:WORD_1
	v_cvt_f32_u32_sdwa v24, v11 dst_sel:DWORD dst_unused:UNUSED_PAD src0_sel:WORD_0
	v_cvt_f32_u32_sdwa v25, v11 dst_sel:DWORD dst_unused:UNUSED_PAD src0_sel:WORD_1
	;; [unrolled: 2-line block ×4, first 2 shown]
.LBB910_36:
	s_or_b64 exec, exec, s[0:1]
	s_waitcnt vmcnt(2)
	v_mul_f32_e32 v10, v19, v19
	v_fmac_f32_e32 v10, v18, v18
	v_fmac_f32_e32 v10, v32, v32
	;; [unrolled: 1-line block ×15, first 2 shown]
	s_nop 1
	v_mov_b32_dpp v11, v10 quad_perm:[1,0,3,2] row_mask:0xf bank_mask:0xf
	v_add_f32_e32 v10, v10, v11
	s_nop 1
	v_mov_b32_dpp v11, v10 quad_perm:[2,3,0,1] row_mask:0xf bank_mask:0xf
	v_add_f32_e32 v10, v10, v11
	s_nop 1
	v_mov_b32_dpp v11, v10 row_half_mirror row_mask:0xf bank_mask:0xf
	v_add_f32_e32 v10, v10, v11
	s_nop 1
	v_mov_b32_dpp v11, v10 row_mirror row_mask:0xf bank_mask:0xf
	v_add_f32_e32 v10, v10, v11
	s_nop 1
	v_mov_b32_dpp v11, v10 row_bcast:15 row_mask:0xf bank_mask:0xf
	v_add_f32_e32 v10, v10, v11
	s_nop 1
	v_mov_b32_dpp v11, v10 row_bcast:31 row_mask:0xf bank_mask:0xf
	s_and_saveexec_b64 s[0:1], s[2:3]
	s_cbranch_execz .LBB910_38
; %bb.37:
	v_lshrrev_b32_e32 v0, 4, v0
	v_add_f32_e32 v10, v10, v11
	v_and_b32_e32 v0, 60, v0
	ds_write_b32 v0, v10
.LBB910_38:
	s_or_b64 exec, exec, s[0:1]
	s_waitcnt lgkmcnt(0)
	s_barrier
	ds_read_b32 v0, v34
	s_waitcnt lgkmcnt(0)
	s_nop 0
	v_mov_b32_dpp v10, v0 quad_perm:[1,0,3,2] row_mask:0xf bank_mask:0xf
	v_add_f32_e32 v0, v0, v10
	s_nop 1
	v_mov_b32_dpp v10, v0 quad_perm:[2,3,0,1] row_mask:0xf bank_mask:0xf
	v_add_f32_e32 v0, v0, v10
	s_nop 1
	v_mov_b32_dpp v10, v0 row_half_mirror row_mask:0xf bank_mask:0xf
	s_and_saveexec_b64 s[0:1], vcc
	s_cbranch_execz .LBB910_17
; %bb.39:
	v_cvt_f32_u32_e32 v11, s24
	v_add_f32_e32 v0, v0, v10
	s_mov_b32 s31, 0x20000
	v_div_scale_f32 v10, s[0:1], v11, v11, v0
	v_rcp_f32_e32 v12, v10
	v_div_scale_f32 v13, vcc, v0, v11, v0
	s_mov_b32 s0, 0x800000
	v_fma_f32 v14, -v10, v12, 1.0
	v_fmac_f32_e32 v12, v14, v12
	v_mul_f32_e32 v14, v13, v12
	v_fma_f32 v15, -v10, v14, v13
	v_fmac_f32_e32 v14, v15, v12
	v_fma_f32 v10, -v10, v14, v13
	v_div_fmas_f32 v10, v10, v12, v14
	v_div_fixup_f32 v0, v10, v11, v0
	v_add_f32_e32 v0, s21, v0
	v_mul_f32_e32 v10, 0x4b800000, v0
	v_cmp_gt_f32_e32 vcc, s0, v0
	v_cndmask_b32_e32 v0, v0, v10, vcc
	v_rsq_f32_e32 v0, v0
	s_mul_hi_i32 s1, s16, s6
	s_mul_i32 s0, s16, s6
	s_lshl_b64 s[0:1], s[0:1], 1
	v_mul_f32_e32 v10, 0x45800000, v0
	v_cndmask_b32_e32 v10, v0, v10, vcc
	v_mov_b32_e32 v11, v10
	s_add_u32 s28, s18, s0
	;;#ASMSTART
	v_pk_mul_f32 v[12:13], v[18:19], v[10:11]
	;;#ASMEND
	;;#ASMSTART
	v_pk_mul_f32 v[14:15], v[32:33], v[10:11]
	;;#ASMEND
	;; [unrolled: 3-line block ×8, first 2 shown]
	s_waitcnt vmcnt(1)
	v_cvt_f32_u32_sdwa v21, v6 dst_sel:DWORD dst_unused:UNUSED_PAD src0_sel:WORD_1
	v_cvt_f32_u32_sdwa v20, v6 dst_sel:DWORD dst_unused:UNUSED_PAD src0_sel:WORD_0
	v_cvt_f32_u32_sdwa v29, v7 dst_sel:DWORD dst_unused:UNUSED_PAD src0_sel:WORD_1
	v_cvt_f32_u32_sdwa v28, v7 dst_sel:DWORD dst_unused:UNUSED_PAD src0_sel:WORD_0
	;; [unrolled: 2-line block ×3, first 2 shown]
	s_addc_u32 s0, s19, s1
	v_cvt_f32_u32_sdwa v31, v9 dst_sel:DWORD dst_unused:UNUSED_PAD src0_sel:WORD_1
	v_cvt_f32_u32_sdwa v30, v9 dst_sel:DWORD dst_unused:UNUSED_PAD src0_sel:WORD_0
	;;#ASMSTART
	v_pk_mul_f32 v[8:9], v[12:13], v[20:21]
	;;#ASMEND
	;;#ASMSTART
	v_pk_mul_f32 v[12:13], v[14:15], v[28:29]
	;;#ASMEND
	;; [unrolled: 3-line block ×4, first 2 shown]
	s_waitcnt vmcnt(0)
	v_cvt_f32_u32_sdwa v17, v2 dst_sel:DWORD dst_unused:UNUSED_PAD src0_sel:WORD_1
	v_cvt_f32_u32_sdwa v16, v2 dst_sel:DWORD dst_unused:UNUSED_PAD src0_sel:WORD_0
	v_cvt_f32_u32_sdwa v19, v3 dst_sel:DWORD dst_unused:UNUSED_PAD src0_sel:WORD_1
	v_cvt_f32_u32_sdwa v18, v3 dst_sel:DWORD dst_unused:UNUSED_PAD src0_sel:WORD_0
	;; [unrolled: 2-line block ×3, first 2 shown]
	s_and_b32 s29, s0, 0xffff
	s_mov_b32 s0, 0x7060302
	v_cvt_f32_u32_sdwa v21, v5 dst_sel:DWORD dst_unused:UNUSED_PAD src0_sel:WORD_1
	v_cvt_f32_u32_sdwa v20, v5 dst_sel:DWORD dst_unused:UNUSED_PAD src0_sel:WORD_0
	;;#ASMSTART
	v_pk_mul_f32 v[16:17], v[26:27], v[16:17]
	;;#ASMEND
	;;#ASMSTART
	v_pk_mul_f32 v[18:19], v[24:25], v[18:19]
	;;#ASMEND
	;;#ASMSTART
	v_pk_mul_f32 v[22:23], v[22:23], v[2:3]
	;;#ASMEND
	v_perm_b32 v2, v9, v8, s0
	v_perm_b32 v3, v13, v12, s0
	;; [unrolled: 1-line block ×4, first 2 shown]
	;;#ASMSTART
	v_pk_mul_f32 v[10:11], v[10:11], v[20:21]
	;;#ASMEND
	buffer_store_dwordx4 v[2:5], v1, s[28:31], 0 offen
	;;#ASMSTART
	s_nop 0
	;;#ASMEND
	s_nop 0
	v_perm_b32 v2, v17, v16, s0
	v_perm_b32 v3, v19, v18, s0
	;; [unrolled: 1-line block ×4, first 2 shown]
	buffer_store_dwordx4 v[2:5], v1, s[28:31], 16 offen
	;;#ASMSTART
	s_nop 0
	;;#ASMEND
	s_endpgm
	.section	.rodata,"a",@progbits
	.p2align	6, 0x0
	.amdhsa_kernel _ZN5aiter35fused_qk_rmsnorm_group_quant_kernelItDB8_Li512ELi16ELi8ELb1ELb1ELb0ELb0ELb0ELb0EEEvPT0_PvPT_S6_S6_PKS5_S8_S8_S8_S8_ffiiiiiiiiiiiii
		.amdhsa_group_segment_fixed_size 64
		.amdhsa_private_segment_fixed_size 0
		.amdhsa_kernarg_size 400
		.amdhsa_user_sgpr_count 6
		.amdhsa_user_sgpr_private_segment_buffer 1
		.amdhsa_user_sgpr_dispatch_ptr 0
		.amdhsa_user_sgpr_queue_ptr 0
		.amdhsa_user_sgpr_kernarg_segment_ptr 1
		.amdhsa_user_sgpr_dispatch_id 0
		.amdhsa_user_sgpr_flat_scratch_init 0
		.amdhsa_user_sgpr_kernarg_preload_length 0
		.amdhsa_user_sgpr_kernarg_preload_offset 0
		.amdhsa_user_sgpr_private_segment_size 0
		.amdhsa_uses_dynamic_stack 0
		.amdhsa_system_sgpr_private_segment_wavefront_offset 0
		.amdhsa_system_sgpr_workgroup_id_x 1
		.amdhsa_system_sgpr_workgroup_id_y 1
		.amdhsa_system_sgpr_workgroup_id_z 0
		.amdhsa_system_sgpr_workgroup_info 0
		.amdhsa_system_vgpr_workitem_id 0
		.amdhsa_next_free_vgpr 96
		.amdhsa_next_free_sgpr 44
		.amdhsa_accum_offset 96
		.amdhsa_reserve_vcc 1
		.amdhsa_reserve_flat_scratch 0
		.amdhsa_float_round_mode_32 0
		.amdhsa_float_round_mode_16_64 0
		.amdhsa_float_denorm_mode_32 3
		.amdhsa_float_denorm_mode_16_64 3
		.amdhsa_dx10_clamp 1
		.amdhsa_ieee_mode 1
		.amdhsa_fp16_overflow 0
		.amdhsa_tg_split 0
		.amdhsa_exception_fp_ieee_invalid_op 0
		.amdhsa_exception_fp_denorm_src 0
		.amdhsa_exception_fp_ieee_div_zero 0
		.amdhsa_exception_fp_ieee_overflow 0
		.amdhsa_exception_fp_ieee_underflow 0
		.amdhsa_exception_fp_ieee_inexact 0
		.amdhsa_exception_int_div_zero 0
	.end_amdhsa_kernel
	.section	.text._ZN5aiter35fused_qk_rmsnorm_group_quant_kernelItDB8_Li512ELi16ELi8ELb1ELb1ELb0ELb0ELb0ELb0EEEvPT0_PvPT_S6_S6_PKS5_S8_S8_S8_S8_ffiiiiiiiiiiiii,"axG",@progbits,_ZN5aiter35fused_qk_rmsnorm_group_quant_kernelItDB8_Li512ELi16ELi8ELb1ELb1ELb0ELb0ELb0ELb0EEEvPT0_PvPT_S6_S6_PKS5_S8_S8_S8_S8_ffiiiiiiiiiiiii,comdat
.Lfunc_end910:
	.size	_ZN5aiter35fused_qk_rmsnorm_group_quant_kernelItDB8_Li512ELi16ELi8ELb1ELb1ELb0ELb0ELb0ELb0EEEvPT0_PvPT_S6_S6_PKS5_S8_S8_S8_S8_ffiiiiiiiiiiiii, .Lfunc_end910-_ZN5aiter35fused_qk_rmsnorm_group_quant_kernelItDB8_Li512ELi16ELi8ELb1ELb1ELb0ELb0ELb0ELb0EEEvPT0_PvPT_S6_S6_PKS5_S8_S8_S8_S8_ffiiiiiiiiiiiii
                                        ; -- End function
	.section	.AMDGPU.csdata,"",@progbits
; Kernel info:
; codeLenInByte = 4280
; NumSgprs: 48
; NumVgprs: 96
; NumAgprs: 0
; TotalNumVgprs: 96
; ScratchSize: 0
; MemoryBound: 0
; FloatMode: 240
; IeeeMode: 1
; LDSByteSize: 64 bytes/workgroup (compile time only)
; SGPRBlocks: 5
; VGPRBlocks: 11
; NumSGPRsForWavesPerEU: 48
; NumVGPRsForWavesPerEU: 96
; AccumOffset: 96
; Occupancy: 5
; WaveLimiterHint : 0
; COMPUTE_PGM_RSRC2:SCRATCH_EN: 0
; COMPUTE_PGM_RSRC2:USER_SGPR: 6
; COMPUTE_PGM_RSRC2:TRAP_HANDLER: 0
; COMPUTE_PGM_RSRC2:TGID_X_EN: 1
; COMPUTE_PGM_RSRC2:TGID_Y_EN: 1
; COMPUTE_PGM_RSRC2:TGID_Z_EN: 0
; COMPUTE_PGM_RSRC2:TIDIG_COMP_CNT: 0
; COMPUTE_PGM_RSRC3_GFX90A:ACCUM_OFFSET: 23
; COMPUTE_PGM_RSRC3_GFX90A:TG_SPLIT: 0
	.section	.text._ZN5aiter35fused_qk_rmsnorm_group_quant_kernelIDF16_N4opus5fp4_tELi512ELi16ELi8ELb1ELb1ELb0ELb0ELb0ELb0EEEvPT0_PvPT_S7_S7_PKS6_S9_S9_S9_S9_ffiiiiiiiiiiiii,"axG",@progbits,_ZN5aiter35fused_qk_rmsnorm_group_quant_kernelIDF16_N4opus5fp4_tELi512ELi16ELi8ELb1ELb1ELb0ELb0ELb0ELb0EEEvPT0_PvPT_S7_S7_PKS6_S9_S9_S9_S9_ffiiiiiiiiiiiii,comdat
	.protected	_ZN5aiter35fused_qk_rmsnorm_group_quant_kernelIDF16_N4opus5fp4_tELi512ELi16ELi8ELb1ELb1ELb0ELb0ELb0ELb0EEEvPT0_PvPT_S7_S7_PKS6_S9_S9_S9_S9_ffiiiiiiiiiiiii ; -- Begin function _ZN5aiter35fused_qk_rmsnorm_group_quant_kernelIDF16_N4opus5fp4_tELi512ELi16ELi8ELb1ELb1ELb0ELb0ELb0ELb0EEEvPT0_PvPT_S7_S7_PKS6_S9_S9_S9_S9_ffiiiiiiiiiiiii
	.globl	_ZN5aiter35fused_qk_rmsnorm_group_quant_kernelIDF16_N4opus5fp4_tELi512ELi16ELi8ELb1ELb1ELb0ELb0ELb0ELb0EEEvPT0_PvPT_S7_S7_PKS6_S9_S9_S9_S9_ffiiiiiiiiiiiii
	.p2align	8
	.type	_ZN5aiter35fused_qk_rmsnorm_group_quant_kernelIDF16_N4opus5fp4_tELi512ELi16ELi8ELb1ELb1ELb0ELb0ELb0ELb0EEEvPT0_PvPT_S7_S7_PKS6_S9_S9_S9_S9_ffiiiiiiiiiiiii,@function
_ZN5aiter35fused_qk_rmsnorm_group_quant_kernelIDF16_N4opus5fp4_tELi512ELi16ELi8ELb1ELb1ELb0ELb0ELb0ELb0EEEvPT0_PvPT_S7_S7_PKS6_S9_S9_S9_S9_ffiiiiiiiiiiiii: ; @_ZN5aiter35fused_qk_rmsnorm_group_quant_kernelIDF16_N4opus5fp4_tELi512ELi16ELi8ELb1ELb1ELb0ELb0ELb0ELb0EEEvPT0_PvPT_S7_S7_PKS6_S9_S9_S9_S9_ffiiiiiiiiiiiii
; %bb.0:
	s_load_dwordx8 s[20:27], s[4:5], 0x50
	s_waitcnt lgkmcnt(0)
	s_cmp_ge_i32 s6, s22
	s_cbranch_scc1 .LBB911_17
; %bb.1:
	s_cmp_lg_u32 s7, 0
	s_cselect_b64 s[30:31], -1, 0
	s_cmp_eq_u32 s7, 0
	s_cselect_b64 s[8:9], -1, 0
	s_and_b64 s[0:1], s[8:9], exec
	s_load_dwordx2 s[28:29], s[4:5], 0x48
	s_load_dwordx2 s[10:11], s[4:5], 0x30
	s_load_dwordx8 s[12:19], s[4:5], 0x70
	s_cselect_b32 s7, s23, s24
	s_add_i32 s0, s7, 1
	s_lshr_b32 s1, s0, 31
	s_add_i32 s0, s0, s1
	s_lshl_b32 s0, s0, 1
	v_lshlrev_b32_e32 v1, 4, v0
	s_and_b32 s38, s0, -4
	v_cmp_gt_i32_e64 s[0:1], s7, v1
	v_mov_b32_e32 v6, 0
	v_mov_b32_e32 v7, 0
	;; [unrolled: 1-line block ×16, first 2 shown]
	s_and_saveexec_b64 s[2:3], s[0:1]
	s_cbranch_execz .LBB911_3
; %bb.2:
	s_waitcnt lgkmcnt(0)
	s_load_dwordx2 s[18:19], s[4:5], 0x28
	s_load_dwordx2 s[34:35], s[4:5], 0x40
	s_and_b64 s[36:37], s[8:9], exec
	s_cselect_b32 s22, s25, s26
	s_mov_b32 s39, 0x20000
	s_waitcnt lgkmcnt(0)
	s_cselect_b32 s25, s19, s11
	s_cselect_b32 s33, s18, s10
	s_mul_hi_i32 s19, s22, s6
	s_mul_i32 s18, s22, s6
	s_lshl_b64 s[18:19], s[18:19], 1
	s_add_u32 s40, s33, s18
	s_addc_u32 s22, s25, s19
	s_and_b64 s[18:19], s[8:9], exec
	s_cselect_b32 s36, s34, s28
	s_cselect_b32 s18, s35, s29
	s_and_b32 s41, s22, 0xffff
	s_mov_b32 s42, s38
	s_mov_b32 s43, s39
	v_lshlrev_b32_e32 v18, 5, v0
	s_and_b32 s37, s18, 0xffff
	buffer_load_dwordx4 v[10:13], v18, s[40:43], 0 offen
	buffer_load_dwordx4 v[14:17], v18, s[40:43], 16 offen
	;; [unrolled: 1-line block ×4, first 2 shown]
.LBB911_3:
	s_or_b64 exec, exec, s[2:3]
	s_and_b64 vcc, exec, s[30:31]
	s_cbranch_vccz .LBB911_7
; %bb.4:
	v_mov_b32_e32 v19, 0
	v_mov_b32_e32 v18, 0
	;; [unrolled: 1-line block ×16, first 2 shown]
	s_and_saveexec_b64 s[2:3], s[0:1]
	s_cbranch_execz .LBB911_6
; %bb.5:
	s_waitcnt vmcnt(3)
	v_cvt_f32_f16_sdwa v33, v10 dst_sel:DWORD dst_unused:UNUSED_PAD src0_sel:WORD_1
	v_cvt_f32_f16_e32 v32, v10
	v_cvt_f32_f16_sdwa v31, v11 dst_sel:DWORD dst_unused:UNUSED_PAD src0_sel:WORD_1
	v_cvt_f32_f16_e32 v30, v11
	;; [unrolled: 2-line block ×4, first 2 shown]
	s_waitcnt vmcnt(2)
	v_cvt_f32_f16_sdwa v27, v14 dst_sel:DWORD dst_unused:UNUSED_PAD src0_sel:WORD_1
	v_cvt_f32_f16_e32 v26, v14
	v_cvt_f32_f16_sdwa v23, v15 dst_sel:DWORD dst_unused:UNUSED_PAD src0_sel:WORD_1
	v_cvt_f32_f16_e32 v22, v15
	;; [unrolled: 2-line block ×4, first 2 shown]
.LBB911_6:
	s_or_b64 exec, exec, s[2:3]
	s_cbranch_execz .LBB911_8
	s_branch .LBB911_11
.LBB911_7:
                                        ; implicit-def: $vgpr19
                                        ; implicit-def: $vgpr21
                                        ; implicit-def: $vgpr23
                                        ; implicit-def: $vgpr27
                                        ; implicit-def: $vgpr25
                                        ; implicit-def: $vgpr29
                                        ; implicit-def: $vgpr31
                                        ; implicit-def: $vgpr33
.LBB911_8:
	v_mov_b32_e32 v19, 0
	v_mov_b32_e32 v18, 0
	;; [unrolled: 1-line block ×16, first 2 shown]
	s_and_saveexec_b64 s[2:3], s[0:1]
	s_cbranch_execz .LBB911_10
; %bb.9:
	s_waitcnt lgkmcnt(0)
	s_load_dwordx2 s[18:19], s[4:5], 0x38
	s_mul_hi_i32 s35, s27, s6
	s_mul_i32 s34, s27, s6
	s_lshl_b64 s[34:35], s[34:35], 1
	s_mov_b32 s39, 0x20000
	s_waitcnt lgkmcnt(0)
	s_add_u32 s36, s18, s34
	s_addc_u32 s18, s19, s35
	s_and_b32 s37, s18, 0xffff
	v_lshlrev_b32_e32 v46, 5, v0
	buffer_load_dwordx4 v[18:21], v46, s[36:39], 16 offen
	buffer_load_dwordx4 v[22:25], v46, s[36:39], 0 offen
	s_waitcnt vmcnt(4)
	v_cvt_f32_f16_sdwa v27, v14 dst_sel:DWORD dst_unused:UNUSED_PAD src0_sel:WORD_1
	v_cvt_f32_f16_e32 v26, v14
	v_cvt_f32_f16_sdwa v29, v15 dst_sel:DWORD dst_unused:UNUSED_PAD src0_sel:WORD_1
	v_cvt_f32_f16_e32 v28, v15
	;; [unrolled: 2-line block ×8, first 2 shown]
	s_load_dwordx2 s[18:19], s[4:5], 0x20
	s_mul_hi_i32 s35, s17, s6
	s_mul_i32 s34, s17, s6
	s_lshl_b64 s[34:35], s[34:35], 1
	s_waitcnt lgkmcnt(0)
	s_add_u32 s36, s18, s34
	s_addc_u32 s17, s19, s35
	s_and_b32 s37, s17, 0xffff
	s_waitcnt vmcnt(1)
	v_cvt_f32_f16_e32 v12, v18
	v_cvt_f32_f16_sdwa v13, v18 dst_sel:DWORD dst_unused:UNUSED_PAD src0_sel:WORD_1
	v_cvt_f32_f16_e32 v18, v19
	v_cvt_f32_f16_sdwa v19, v19 dst_sel:DWORD dst_unused:UNUSED_PAD src0_sel:WORD_1
	;; [unrolled: 2-line block ×4, first 2 shown]
	s_waitcnt vmcnt(0)
	v_cvt_f32_f16_e32 v40, v22
	v_cvt_f32_f16_sdwa v41, v22 dst_sel:DWORD dst_unused:UNUSED_PAD src0_sel:WORD_1
	v_cvt_f32_f16_e32 v42, v23
	v_cvt_f32_f16_sdwa v43, v23 dst_sel:DWORD dst_unused:UNUSED_PAD src0_sel:WORD_1
	;; [unrolled: 2-line block ×4, first 2 shown]
	v_pk_add_f32 v[26:27], v[26:27], v[12:13]
	v_pk_add_f32 v[22:23], v[28:29], v[18:19]
	;; [unrolled: 1-line block ×8, first 2 shown]
	v_cvt_f16_f32_e32 v10, v33
	v_cvt_f16_f32_e32 v14, v32
	;; [unrolled: 1-line block ×16, first 2 shown]
	v_pack_b32_f16 v13, v17, v13
	v_pack_b32_f16 v12, v16, v12
	;; [unrolled: 1-line block ×8, first 2 shown]
	buffer_store_dwordx4 v[10:13], v46, s[36:39], 0 offen
	;;#ASMSTART
	s_nop 0
	;;#ASMEND
	buffer_store_dwordx4 v[14:17], v46, s[36:39], 16 offen
	;;#ASMSTART
	s_nop 0
	;;#ASMEND
.LBB911_10:
	s_or_b64 exec, exec, s[2:3]
.LBB911_11:
	s_waitcnt vmcnt(3)
	v_mul_f32_e32 v10, v33, v33
	v_fmac_f32_e32 v10, v32, v32
	v_fmac_f32_e32 v10, v30, v30
	v_fmac_f32_e32 v10, v31, v31
	v_fmac_f32_e32 v10, v28, v28
	v_fmac_f32_e32 v10, v29, v29
	v_fmac_f32_e32 v10, v24, v24
	v_fmac_f32_e32 v10, v25, v25
	v_fmac_f32_e32 v10, v26, v26
	v_fmac_f32_e32 v10, v27, v27
	v_fmac_f32_e32 v10, v22, v22
	v_fmac_f32_e32 v10, v23, v23
	v_fmac_f32_e32 v10, v20, v20
	v_fmac_f32_e32 v10, v21, v21
	v_fmac_f32_e32 v10, v18, v18
	v_fmac_f32_e32 v10, v19, v19
	v_and_b32_e32 v12, 63, v0
	v_cmp_eq_u32_e64 s[2:3], 63, v12
	v_mov_b32_dpp v11, v10 quad_perm:[1,0,3,2] row_mask:0xf bank_mask:0xf
	v_add_f32_e32 v10, v10, v11
	s_nop 1
	v_mov_b32_dpp v11, v10 quad_perm:[2,3,0,1] row_mask:0xf bank_mask:0xf
	v_add_f32_e32 v10, v10, v11
	s_nop 1
	v_mov_b32_dpp v11, v10 row_half_mirror row_mask:0xf bank_mask:0xf
	v_add_f32_e32 v10, v10, v11
	s_nop 1
	v_mov_b32_dpp v11, v10 row_mirror row_mask:0xf bank_mask:0xf
	v_add_f32_e32 v10, v10, v11
	s_nop 1
	v_mov_b32_dpp v11, v10 row_bcast:15 row_mask:0xf bank_mask:0xf
	v_add_f32_e32 v10, v10, v11
	s_nop 1
	v_mov_b32_dpp v11, v10 row_bcast:31 row_mask:0xf bank_mask:0xf
	s_waitcnt lgkmcnt(0)
	s_and_saveexec_b64 s[18:19], s[2:3]
	s_cbranch_execz .LBB911_13
; %bb.12:
	v_add_f32_e32 v10, v10, v11
	v_lshrrev_b32_e32 v11, 4, v0
	v_and_b32_e32 v11, 60, v11
	ds_write_b32 v11, v10 offset:32
.LBB911_13:
	s_or_b64 exec, exec, s[18:19]
	v_and_b32_e32 v10, 7, v0
	v_lshlrev_b32_e32 v34, 2, v10
	s_waitcnt lgkmcnt(0)
	s_barrier
	ds_read_b32 v11, v34 offset:32
	s_load_dwordx2 s[18:19], s[4:5], 0x18
	s_waitcnt lgkmcnt(0)
	v_mov_b32_dpp v12, v11 quad_perm:[1,0,3,2] row_mask:0xf bank_mask:0xf
	v_add_f32_e32 v11, v11, v12
	s_nop 1
	v_mov_b32_dpp v12, v11 quad_perm:[2,3,0,1] row_mask:0xf bank_mask:0xf
	v_add_f32_e32 v11, v11, v12
	s_nop 1
	v_mov_b32_dpp v12, v11 row_half_mirror row_mask:0xf bank_mask:0xf
	s_and_saveexec_b64 s[34:35], s[0:1]
	s_cbranch_execnz .LBB911_18
; %bb.14:
	s_or_b64 exec, exec, s[34:35]
	s_mov_b64 s[8:9], -1
	s_and_b64 vcc, exec, s[30:31]
	s_cbranch_vccnz .LBB911_19
.LBB911_15:
	s_andn2_b64 vcc, exec, s[8:9]
	s_cbranch_vccz .LBB911_22
.LBB911_16:
	s_cmp_lt_i32 s24, 1
	s_cbranch_scc0 .LBB911_31
.LBB911_17:
	s_endpgm
.LBB911_18:
	v_cvt_f32_u32_e32 v13, s7
	v_add_f32_e32 v11, v11, v12
	s_waitcnt vmcnt(2)
	v_mov_b32_e32 v15, s21
	v_mov_b32_e32 v16, s20
	v_div_scale_f32 v12, s[36:37], v13, v13, v11
	v_rcp_f32_e32 v14, v12
	v_cndmask_b32_e64 v15, v15, v16, s[8:9]
	s_mov_b32 s7, 0x800000
	s_waitcnt vmcnt(1)
	v_cvt_f32_f16_sdwa v37, v9 dst_sel:DWORD dst_unused:UNUSED_PAD src0_sel:WORD_1
	v_fma_f32 v16, -v12, v14, 1.0
	v_fmac_f32_e32 v14, v16, v14
	v_div_scale_f32 v16, vcc, v11, v13, v11
	v_mul_f32_e32 v17, v16, v14
	v_fma_f32 v35, -v12, v17, v16
	v_fmac_f32_e32 v17, v35, v14
	v_fma_f32 v12, -v12, v17, v16
	v_div_fmas_f32 v12, v12, v14, v17
	v_div_fixup_f32 v11, v12, v13, v11
	v_add_f32_e32 v11, v15, v11
	v_mul_f32_e32 v12, 0x4b800000, v11
	v_cmp_gt_f32_e32 vcc, s7, v11
	v_cndmask_b32_e32 v11, v11, v12, vcc
	v_rsq_f32_e32 v11, v11
	v_cvt_f32_f16_e32 v36, v9
	s_waitcnt vmcnt(0)
	v_cvt_f32_f16_sdwa v9, v3 dst_sel:DWORD dst_unused:UNUSED_PAD src0_sel:WORD_1
	v_mul_f32_e32 v12, 0x45800000, v11
	v_cndmask_b32_e32 v12, v11, v12, vcc
	v_mov_b32_e32 v13, v12
	;;#ASMSTART
	v_pk_mul_f32 v[14:15], v[32:33], v[12:13]
	;;#ASMEND
	;;#ASMSTART
	v_pk_mul_f32 v[16:17], v[30:31], v[12:13]
	;;#ASMEND
	;; [unrolled: 3-line block ×8, first 2 shown]
	v_cvt_f32_f16_sdwa v19, v6 dst_sel:DWORD dst_unused:UNUSED_PAD src0_sel:WORD_1
	v_cvt_f32_f16_e32 v18, v6
	v_cvt_f32_f16_sdwa v31, v7 dst_sel:DWORD dst_unused:UNUSED_PAD src0_sel:WORD_1
	v_cvt_f32_f16_e32 v30, v7
	;; [unrolled: 2-line block ×3, first 2 shown]
	;;#ASMSTART
	v_pk_mul_f32 v[32:33], v[14:15], v[18:19]
	;;#ASMEND
	;;#ASMSTART
	v_pk_mul_f32 v[30:31], v[16:17], v[30:31]
	;;#ASMEND
	;;#ASMSTART
	v_pk_mul_f32 v[28:29], v[28:29], v[6:7]
	;;#ASMEND
	;;#ASMSTART
	v_pk_mul_f32 v[24:25], v[24:25], v[36:37]
	;;#ASMEND
	v_cvt_f32_f16_sdwa v7, v2 dst_sel:DWORD dst_unused:UNUSED_PAD src0_sel:WORD_1
	v_cvt_f32_f16_e32 v6, v2
	v_cvt_f32_f16_e32 v8, v3
	v_cvt_f32_f16_sdwa v3, v4 dst_sel:DWORD dst_unused:UNUSED_PAD src0_sel:WORD_1
	v_cvt_f32_f16_e32 v2, v4
	v_cvt_f32_f16_sdwa v15, v5 dst_sel:DWORD dst_unused:UNUSED_PAD src0_sel:WORD_1
	v_cvt_f32_f16_e32 v14, v5
	;;#ASMSTART
	v_pk_mul_f32 v[26:27], v[26:27], v[6:7]
	;;#ASMEND
	;;#ASMSTART
	v_pk_mul_f32 v[22:23], v[22:23], v[8:9]
	;;#ASMEND
	;; [unrolled: 3-line block ×4, first 2 shown]
	s_or_b64 exec, exec, s[34:35]
	s_mov_b64 s[8:9], -1
	s_and_b64 vcc, exec, s[30:31]
	s_cbranch_vccz .LBB911_15
.LBB911_19:
	s_and_saveexec_b64 s[8:9], s[0:1]
	s_cbranch_execz .LBB911_21
; %bb.20:
	s_mul_hi_i32 s31, s16, s6
	s_mul_i32 s30, s16, s6
	s_waitcnt vmcnt(0)
	v_cvt_f16_f32_e32 v2, v32
	v_cvt_f16_f32_e32 v3, v30
	;; [unrolled: 1-line block ×8, first 2 shown]
	s_lshl_b64 s[30:31], s[30:31], 1
	s_add_u32 s36, s18, s30
	s_addc_u32 s7, s19, s31
	s_and_b32 s37, s7, 0xffff
	s_mov_b32 s39, 0x20000
	v_pack_b32_f16 v5, v5, v6
	v_pack_b32_f16 v4, v4, v7
	;; [unrolled: 1-line block ×4, first 2 shown]
	v_lshlrev_b32_e32 v6, 5, v0
	buffer_store_dwordx4 v[2:5], v6, s[36:39], 0 offen
	v_cvt_f16_f32_e32 v7, v19
	v_cvt_f16_f32_e32 v2, v26
	;; [unrolled: 1-line block ×8, first 2 shown]
	v_pack_b32_f16 v5, v5, v7
	v_pack_b32_f16 v4, v4, v8
	;; [unrolled: 1-line block ×4, first 2 shown]
	;;#ASMSTART
	s_nop 0
	;;#ASMEND
	buffer_store_dwordx4 v[2:5], v6, s[36:39], 16 offen
	;;#ASMSTART
	s_nop 0
	;;#ASMEND
.LBB911_21:
	s_or_b64 exec, exec, s[8:9]
	s_cbranch_execnz .LBB911_16
.LBB911_22:
	s_waitcnt vmcnt(0)
	v_mov_b32_e32 v2, 0
	s_and_saveexec_b64 s[8:9], s[0:1]
	s_cbranch_execz .LBB911_24
; %bb.23:
	s_load_dwordx2 s[30:31], s[4:5], 0x10
	s_mul_hi_i32 s35, s15, s6
	s_mul_i32 s34, s15, s6
	v_cvt_f16_f32_e32 v2, v32
	v_cvt_f16_f32_e32 v3, v30
	;; [unrolled: 1-line block ×8, first 2 shown]
	s_lshl_b64 s[34:35], s[34:35], 1
	s_waitcnt lgkmcnt(0)
	s_add_u32 s36, s30, s34
	s_addc_u32 s7, s31, s35
	s_mov_b32 s39, 0x20000
	s_and_b32 s37, s7, 0xffff
	v_pack_b32_f16 v5, v5, v6
	v_pack_b32_f16 v4, v4, v7
	;; [unrolled: 1-line block ×4, first 2 shown]
	v_lshlrev_b32_e32 v6, 5, v0
	buffer_store_dwordx4 v[2:5], v6, s[36:39], 0 offen
	v_cvt_f16_f32_e32 v7, v19
	v_cvt_f16_f32_e32 v2, v26
	;; [unrolled: 1-line block ×8, first 2 shown]
	v_pack_b32_f16 v5, v5, v7
	v_pack_b32_f16 v4, v4, v8
	;; [unrolled: 1-line block ×4, first 2 shown]
	;;#ASMSTART
	s_nop 0
	;;#ASMEND
	buffer_store_dwordx4 v[2:5], v6, s[36:39], 16 offen
	;;#ASMSTART
	s_nop 0
	;;#ASMEND
	s_nop 0
	v_mov_b32_e32 v2, 0x2edbe6ff
.LBB911_24:
	s_or_b64 exec, exec, s[8:9]
	s_and_saveexec_b64 s[8:9], s[0:1]
	s_cbranch_execz .LBB911_26
; %bb.25:
	v_and_b32_e32 v3, 0x7fffffff, v32
	v_and_b32_e32 v4, 0x7fffffff, v33
	;;#ASMSTART
	v_max3_f32 v2, v2, v3, v4

	;;#ASMEND
	v_and_b32_e32 v3, 0x7fffffff, v30
	v_and_b32_e32 v4, 0x7fffffff, v31
	;;#ASMSTART
	v_max3_f32 v2, v2, v3, v4

	;;#ASMEND
	;; [unrolled: 6-line block ×8, first 2 shown]
.LBB911_26:
	s_or_b64 exec, exec, s[8:9]
	v_cmp_eq_u32_e32 vcc, 0, v10
	v_cmp_gt_i32_e64 s[8:9], s23, v1
	s_and_b64 s[30:31], vcc, s[8:9]
	;;#ASMSTART
	v_max_f32 v3, v2, v2 quad_perm:[1,0,3,2] row_mask:0xf bank_mask:0xf bound_ctrl:1
	;;#ASMEND
	;;#ASMSTART
	v_max_f32 v4, v3, v3 quad_perm:[2,3,0,1] row_mask:0xf bank_mask:0xf bound_ctrl:1
	;;#ASMEND
	;;#ASMSTART
	v_max_f32 v2, v4, v4 row_half_mirror row_mask:0xf bank_mask:0xf bound_ctrl:1
	;;#ASMEND
	s_and_saveexec_b64 s[8:9], s[30:31]
	s_cbranch_execz .LBB911_28
; %bb.27:
	s_load_dwordx2 s[30:31], s[4:5], 0x8
	v_mul_f32_e32 v2, 0x3e2aaaab, v2
	v_lshrrev_b32_e32 v3, 23, v2
	v_and_b32_e32 v4, 0x7f800000, v2
	v_and_b32_e32 v2, 0x7fffff, v2
	v_cmp_ne_u32_e32 vcc, 0, v2
	s_mul_hi_i32 s15, s13, s6
	s_mul_i32 s13, s13, s6
	s_mov_b32 s7, 0x7f800000
	v_addc_co_u32_e32 v2, vcc, 0, v3, vcc
	s_waitcnt lgkmcnt(0)
	s_add_u32 s30, s30, s13
	v_cmp_ne_u32_e32 vcc, s7, v4
	s_addc_u32 s31, s31, s15
	v_lshrrev_b32_e32 v5, 3, v0
	v_cndmask_b32_e32 v4, -1, v2, vcc
	v_pk_mov_b32 v[2:3], s[30:31], s[30:31] op_sel:[0,1]
	v_mad_i64_i32 v[2:3], s[14:15], s14, v5, v[2:3]
	global_store_byte v[2:3], v4, off
.LBB911_28:
	s_or_b64 exec, exec, s[8:9]
	s_and_saveexec_b64 s[8:9], s[0:1]
	s_cbranch_execz .LBB911_30
; %bb.29:
	s_load_dwordx2 s[0:1], s[4:5], 0x0
	s_mul_hi_i32 s7, s12, s6
	s_mul_i32 s12, s12, s6
	v_mov_b32_e32 v2, 0
	v_lshlrev_b32_e32 v4, 3, v0
	s_waitcnt lgkmcnt(0)
	s_add_u32 s12, s0, s12
	s_addc_u32 s0, s1, s7
	s_lshr_b32 s1, s23, 31
	s_add_i32 s1, s23, s1
	s_ashr_i32 s1, s1, 1
	s_add_i32 s1, s1, 3
	s_ashr_i32 s7, s1, 31
	s_lshr_b32 s7, s7, 30
	s_add_i32 s1, s1, s7
	s_and_b32 s14, s1, -4
	s_and_b32 s13, s0, 0xffff
	s_mov_b32 s15, 0x20000
	v_mov_b32_e32 v3, v2
	buffer_store_dwordx2 v[2:3], v4, s[12:15], 0 offen
	;;#ASMSTART
	s_nop 0
	;;#ASMEND
.LBB911_30:
	s_or_b64 exec, exec, s[8:9]
	s_cmp_lt_i32 s24, 1
	s_cbranch_scc1 .LBB911_17
.LBB911_31:
	s_load_dword s0, s[4:5], 0x94
	s_waitcnt lgkmcnt(0)
	s_cmp_lg_u32 s0, 1
	s_cbranch_scc1 .LBB911_17
; %bb.32:
	s_lshl_b32 s0, s24, 1
	s_add_i32 s0, s0, 2
	v_cmp_gt_u32_e32 vcc, s24, v1
	s_and_b32 s30, s0, -4
	v_mov_b32_e32 v18, 0
	v_lshlrev_b32_e32 v1, 5, v0
	s_waitcnt vmcnt(2)
	v_mov_b32_e32 v14, 0
	v_mov_b32_e32 v15, 0
	;; [unrolled: 1-line block ×8, first 2 shown]
	s_waitcnt vmcnt(1)
	v_mov_b32_e32 v6, 0
	v_mov_b32_e32 v7, 0
	;; [unrolled: 1-line block ×4, first 2 shown]
	s_waitcnt vmcnt(0)
	v_mov_b32_e32 v2, 0
	v_mov_b32_e32 v3, 0
	;; [unrolled: 1-line block ×4, first 2 shown]
	s_barrier
	s_and_saveexec_b64 s[0:1], vcc
	s_cbranch_execz .LBB911_34
; %bb.33:
	s_mul_hi_i32 s5, s26, s6
	s_mul_i32 s4, s26, s6
	s_and_b32 s29, s29, 0xffff
	s_lshl_b64 s[4:5], s[4:5], 1
	s_add_u32 s8, s10, s4
	s_mov_b32 s31, 0x20000
	s_addc_u32 s4, s11, s5
	s_and_b32 s9, s4, 0xffff
	s_mov_b32 s10, s30
	s_mov_b32 s11, s31
	buffer_load_dwordx4 v[14:17], v1, s[8:11], 0 offen
	buffer_load_dwordx4 v[10:13], v1, s[8:11], 16 offen
	;; [unrolled: 1-line block ×4, first 2 shown]
.LBB911_34:
	s_or_b64 exec, exec, s[0:1]
	v_mov_b32_e32 v19, 0
	v_mov_b32_e32 v32, 0
	;; [unrolled: 1-line block ×15, first 2 shown]
	s_and_saveexec_b64 s[0:1], vcc
	s_cbranch_execz .LBB911_36
; %bb.35:
	s_waitcnt vmcnt(3)
	v_cvt_f32_f16_sdwa v19, v14 dst_sel:DWORD dst_unused:UNUSED_PAD src0_sel:WORD_1
	v_cvt_f32_f16_e32 v18, v14
	v_cvt_f32_f16_sdwa v33, v15 dst_sel:DWORD dst_unused:UNUSED_PAD src0_sel:WORD_1
	v_cvt_f32_f16_e32 v32, v15
	;; [unrolled: 2-line block ×4, first 2 shown]
	s_waitcnt vmcnt(2)
	v_cvt_f32_f16_sdwa v27, v10 dst_sel:DWORD dst_unused:UNUSED_PAD src0_sel:WORD_1
	v_cvt_f32_f16_e32 v26, v10
	v_cvt_f32_f16_sdwa v25, v11 dst_sel:DWORD dst_unused:UNUSED_PAD src0_sel:WORD_1
	v_cvt_f32_f16_e32 v24, v11
	;; [unrolled: 2-line block ×4, first 2 shown]
.LBB911_36:
	s_or_b64 exec, exec, s[0:1]
	s_waitcnt vmcnt(2)
	v_mul_f32_e32 v10, v19, v19
	v_fmac_f32_e32 v10, v18, v18
	v_fmac_f32_e32 v10, v32, v32
	;; [unrolled: 1-line block ×15, first 2 shown]
	s_nop 1
	v_mov_b32_dpp v11, v10 quad_perm:[1,0,3,2] row_mask:0xf bank_mask:0xf
	v_add_f32_e32 v10, v10, v11
	s_nop 1
	v_mov_b32_dpp v11, v10 quad_perm:[2,3,0,1] row_mask:0xf bank_mask:0xf
	v_add_f32_e32 v10, v10, v11
	s_nop 1
	v_mov_b32_dpp v11, v10 row_half_mirror row_mask:0xf bank_mask:0xf
	v_add_f32_e32 v10, v10, v11
	s_nop 1
	v_mov_b32_dpp v11, v10 row_mirror row_mask:0xf bank_mask:0xf
	v_add_f32_e32 v10, v10, v11
	s_nop 1
	v_mov_b32_dpp v11, v10 row_bcast:15 row_mask:0xf bank_mask:0xf
	v_add_f32_e32 v10, v10, v11
	s_nop 1
	v_mov_b32_dpp v11, v10 row_bcast:31 row_mask:0xf bank_mask:0xf
	s_and_saveexec_b64 s[0:1], s[2:3]
	s_cbranch_execz .LBB911_38
; %bb.37:
	v_lshrrev_b32_e32 v0, 4, v0
	v_add_f32_e32 v10, v10, v11
	v_and_b32_e32 v0, 60, v0
	ds_write_b32 v0, v10
.LBB911_38:
	s_or_b64 exec, exec, s[0:1]
	s_waitcnt lgkmcnt(0)
	s_barrier
	ds_read_b32 v0, v34
	s_waitcnt lgkmcnt(0)
	s_nop 0
	v_mov_b32_dpp v10, v0 quad_perm:[1,0,3,2] row_mask:0xf bank_mask:0xf
	v_add_f32_e32 v0, v0, v10
	s_nop 1
	v_mov_b32_dpp v10, v0 quad_perm:[2,3,0,1] row_mask:0xf bank_mask:0xf
	v_add_f32_e32 v0, v0, v10
	s_nop 1
	v_mov_b32_dpp v10, v0 row_half_mirror row_mask:0xf bank_mask:0xf
	s_and_saveexec_b64 s[0:1], vcc
	s_cbranch_execz .LBB911_17
; %bb.39:
	v_cvt_f32_u32_e32 v11, s24
	v_add_f32_e32 v0, v0, v10
	s_mov_b32 s31, 0x20000
	v_div_scale_f32 v10, s[0:1], v11, v11, v0
	v_rcp_f32_e32 v12, v10
	v_div_scale_f32 v13, vcc, v0, v11, v0
	s_mov_b32 s0, 0x800000
	v_fma_f32 v14, -v10, v12, 1.0
	v_fmac_f32_e32 v12, v14, v12
	v_mul_f32_e32 v14, v13, v12
	v_fma_f32 v15, -v10, v14, v13
	v_fmac_f32_e32 v14, v15, v12
	v_fma_f32 v10, -v10, v14, v13
	v_div_fmas_f32 v10, v10, v12, v14
	v_div_fixup_f32 v0, v10, v11, v0
	v_add_f32_e32 v0, s21, v0
	v_mul_f32_e32 v10, 0x4b800000, v0
	v_cmp_gt_f32_e32 vcc, s0, v0
	v_cndmask_b32_e32 v0, v0, v10, vcc
	v_rsq_f32_e32 v0, v0
	s_mul_hi_i32 s1, s16, s6
	s_mul_i32 s0, s16, s6
	s_lshl_b64 s[0:1], s[0:1], 1
	v_mul_f32_e32 v10, 0x45800000, v0
	v_cndmask_b32_e32 v10, v0, v10, vcc
	v_mov_b32_e32 v11, v10
	;;#ASMSTART
	v_pk_mul_f32 v[12:13], v[18:19], v[10:11]
	;;#ASMEND
	;;#ASMSTART
	v_pk_mul_f32 v[14:15], v[32:33], v[10:11]
	;;#ASMEND
	;; [unrolled: 3-line block ×8, first 2 shown]
	s_waitcnt vmcnt(1)
	v_cvt_f32_f16_sdwa v21, v6 dst_sel:DWORD dst_unused:UNUSED_PAD src0_sel:WORD_1
	v_cvt_f32_f16_e32 v20, v6
	v_cvt_f32_f16_sdwa v29, v7 dst_sel:DWORD dst_unused:UNUSED_PAD src0_sel:WORD_1
	v_cvt_f32_f16_e32 v28, v7
	;; [unrolled: 2-line block ×4, first 2 shown]
	;;#ASMSTART
	v_pk_mul_f32 v[8:9], v[12:13], v[20:21]
	;;#ASMEND
	;;#ASMSTART
	v_pk_mul_f32 v[12:13], v[14:15], v[28:29]
	;;#ASMEND
	;; [unrolled: 3-line block ×4, first 2 shown]
	s_waitcnt vmcnt(0)
	v_cvt_f32_f16_sdwa v17, v2 dst_sel:DWORD dst_unused:UNUSED_PAD src0_sel:WORD_1
	v_cvt_f32_f16_e32 v16, v2
	v_cvt_f32_f16_sdwa v19, v3 dst_sel:DWORD dst_unused:UNUSED_PAD src0_sel:WORD_1
	v_cvt_f32_f16_e32 v18, v3
	;; [unrolled: 2-line block ×4, first 2 shown]
	;;#ASMSTART
	v_pk_mul_f32 v[16:17], v[26:27], v[16:17]
	;;#ASMEND
	;;#ASMSTART
	v_pk_mul_f32 v[18:19], v[24:25], v[18:19]
	;;#ASMEND
	;; [unrolled: 3-line block ×3, first 2 shown]
	v_cvt_f16_f32_e32 v0, v8
	v_cvt_f16_f32_e32 v2, v9
	;; [unrolled: 1-line block ×8, first 2 shown]
	s_add_u32 s28, s18, s0
	s_addc_u32 s0, s19, s1
	s_and_b32 s29, s0, 0xffff
	v_pack_b32_f16 v2, v0, v2
	v_pack_b32_f16 v3, v3, v4
	;; [unrolled: 1-line block ×4, first 2 shown]
	;;#ASMSTART
	v_pk_mul_f32 v[10:11], v[10:11], v[20:21]
	;;#ASMEND
	buffer_store_dwordx4 v[2:5], v1, s[28:31], 0 offen
	v_cvt_f16_f32_e32 v0, v16
	v_cvt_f16_f32_e32 v2, v17
	;; [unrolled: 1-line block ×8, first 2 shown]
	v_pack_b32_f16 v2, v0, v2
	v_pack_b32_f16 v3, v3, v4
	;; [unrolled: 1-line block ×4, first 2 shown]
	;;#ASMSTART
	s_nop 0
	;;#ASMEND
	buffer_store_dwordx4 v[2:5], v1, s[28:31], 16 offen
	;;#ASMSTART
	s_nop 0
	;;#ASMEND
	s_endpgm
	.section	.rodata,"a",@progbits
	.p2align	6, 0x0
	.amdhsa_kernel _ZN5aiter35fused_qk_rmsnorm_group_quant_kernelIDF16_N4opus5fp4_tELi512ELi16ELi8ELb1ELb1ELb0ELb0ELb0ELb0EEEvPT0_PvPT_S7_S7_PKS6_S9_S9_S9_S9_ffiiiiiiiiiiiii
		.amdhsa_group_segment_fixed_size 64
		.amdhsa_private_segment_fixed_size 0
		.amdhsa_kernarg_size 400
		.amdhsa_user_sgpr_count 6
		.amdhsa_user_sgpr_private_segment_buffer 1
		.amdhsa_user_sgpr_dispatch_ptr 0
		.amdhsa_user_sgpr_queue_ptr 0
		.amdhsa_user_sgpr_kernarg_segment_ptr 1
		.amdhsa_user_sgpr_dispatch_id 0
		.amdhsa_user_sgpr_flat_scratch_init 0
		.amdhsa_user_sgpr_kernarg_preload_length 0
		.amdhsa_user_sgpr_kernarg_preload_offset 0
		.amdhsa_user_sgpr_private_segment_size 0
		.amdhsa_uses_dynamic_stack 0
		.amdhsa_system_sgpr_private_segment_wavefront_offset 0
		.amdhsa_system_sgpr_workgroup_id_x 1
		.amdhsa_system_sgpr_workgroup_id_y 1
		.amdhsa_system_sgpr_workgroup_id_z 0
		.amdhsa_system_sgpr_workgroup_info 0
		.amdhsa_system_vgpr_workitem_id 0
		.amdhsa_next_free_vgpr 47
		.amdhsa_next_free_sgpr 44
		.amdhsa_accum_offset 48
		.amdhsa_reserve_vcc 1
		.amdhsa_reserve_flat_scratch 0
		.amdhsa_float_round_mode_32 0
		.amdhsa_float_round_mode_16_64 0
		.amdhsa_float_denorm_mode_32 3
		.amdhsa_float_denorm_mode_16_64 3
		.amdhsa_dx10_clamp 1
		.amdhsa_ieee_mode 1
		.amdhsa_fp16_overflow 0
		.amdhsa_tg_split 0
		.amdhsa_exception_fp_ieee_invalid_op 0
		.amdhsa_exception_fp_denorm_src 0
		.amdhsa_exception_fp_ieee_div_zero 0
		.amdhsa_exception_fp_ieee_overflow 0
		.amdhsa_exception_fp_ieee_underflow 0
		.amdhsa_exception_fp_ieee_inexact 0
		.amdhsa_exception_int_div_zero 0
	.end_amdhsa_kernel
	.section	.text._ZN5aiter35fused_qk_rmsnorm_group_quant_kernelIDF16_N4opus5fp4_tELi512ELi16ELi8ELb1ELb1ELb0ELb0ELb0ELb0EEEvPT0_PvPT_S7_S7_PKS6_S9_S9_S9_S9_ffiiiiiiiiiiiii,"axG",@progbits,_ZN5aiter35fused_qk_rmsnorm_group_quant_kernelIDF16_N4opus5fp4_tELi512ELi16ELi8ELb1ELb1ELb0ELb0ELb0ELb0EEEvPT0_PvPT_S7_S7_PKS6_S9_S9_S9_S9_ffiiiiiiiiiiiii,comdat
.Lfunc_end911:
	.size	_ZN5aiter35fused_qk_rmsnorm_group_quant_kernelIDF16_N4opus5fp4_tELi512ELi16ELi8ELb1ELb1ELb0ELb0ELb0ELb0EEEvPT0_PvPT_S7_S7_PKS6_S9_S9_S9_S9_ffiiiiiiiiiiiii, .Lfunc_end911-_ZN5aiter35fused_qk_rmsnorm_group_quant_kernelIDF16_N4opus5fp4_tELi512ELi16ELi8ELb1ELb1ELb0ELb0ELb0ELb0EEEvPT0_PvPT_S7_S7_PKS6_S9_S9_S9_S9_ffiiiiiiiiiiiii
                                        ; -- End function
	.section	.AMDGPU.csdata,"",@progbits
; Kernel info:
; codeLenInByte = 4020
; NumSgprs: 48
; NumVgprs: 47
; NumAgprs: 0
; TotalNumVgprs: 47
; ScratchSize: 0
; MemoryBound: 0
; FloatMode: 240
; IeeeMode: 1
; LDSByteSize: 64 bytes/workgroup (compile time only)
; SGPRBlocks: 5
; VGPRBlocks: 5
; NumSGPRsForWavesPerEU: 48
; NumVGPRsForWavesPerEU: 47
; AccumOffset: 48
; Occupancy: 8
; WaveLimiterHint : 0
; COMPUTE_PGM_RSRC2:SCRATCH_EN: 0
; COMPUTE_PGM_RSRC2:USER_SGPR: 6
; COMPUTE_PGM_RSRC2:TRAP_HANDLER: 0
; COMPUTE_PGM_RSRC2:TGID_X_EN: 1
; COMPUTE_PGM_RSRC2:TGID_Y_EN: 1
; COMPUTE_PGM_RSRC2:TGID_Z_EN: 0
; COMPUTE_PGM_RSRC2:TIDIG_COMP_CNT: 0
; COMPUTE_PGM_RSRC3_GFX90A:ACCUM_OFFSET: 11
; COMPUTE_PGM_RSRC3_GFX90A:TG_SPLIT: 0
	.section	.text._ZN5aiter35fused_qk_rmsnorm_group_quant_kernelItN4opus5fp4_tELi512ELi16ELi8ELb1ELb1ELb0ELb0ELb0ELb0EEEvPT0_PvPT_S7_S7_PKS6_S9_S9_S9_S9_ffiiiiiiiiiiiii,"axG",@progbits,_ZN5aiter35fused_qk_rmsnorm_group_quant_kernelItN4opus5fp4_tELi512ELi16ELi8ELb1ELb1ELb0ELb0ELb0ELb0EEEvPT0_PvPT_S7_S7_PKS6_S9_S9_S9_S9_ffiiiiiiiiiiiii,comdat
	.protected	_ZN5aiter35fused_qk_rmsnorm_group_quant_kernelItN4opus5fp4_tELi512ELi16ELi8ELb1ELb1ELb0ELb0ELb0ELb0EEEvPT0_PvPT_S7_S7_PKS6_S9_S9_S9_S9_ffiiiiiiiiiiiii ; -- Begin function _ZN5aiter35fused_qk_rmsnorm_group_quant_kernelItN4opus5fp4_tELi512ELi16ELi8ELb1ELb1ELb0ELb0ELb0ELb0EEEvPT0_PvPT_S7_S7_PKS6_S9_S9_S9_S9_ffiiiiiiiiiiiii
	.globl	_ZN5aiter35fused_qk_rmsnorm_group_quant_kernelItN4opus5fp4_tELi512ELi16ELi8ELb1ELb1ELb0ELb0ELb0ELb0EEEvPT0_PvPT_S7_S7_PKS6_S9_S9_S9_S9_ffiiiiiiiiiiiii
	.p2align	8
	.type	_ZN5aiter35fused_qk_rmsnorm_group_quant_kernelItN4opus5fp4_tELi512ELi16ELi8ELb1ELb1ELb0ELb0ELb0ELb0EEEvPT0_PvPT_S7_S7_PKS6_S9_S9_S9_S9_ffiiiiiiiiiiiii,@function
_ZN5aiter35fused_qk_rmsnorm_group_quant_kernelItN4opus5fp4_tELi512ELi16ELi8ELb1ELb1ELb0ELb0ELb0ELb0EEEvPT0_PvPT_S7_S7_PKS6_S9_S9_S9_S9_ffiiiiiiiiiiiii: ; @_ZN5aiter35fused_qk_rmsnorm_group_quant_kernelItN4opus5fp4_tELi512ELi16ELi8ELb1ELb1ELb0ELb0ELb0ELb0EEEvPT0_PvPT_S7_S7_PKS6_S9_S9_S9_S9_ffiiiiiiiiiiiii
; %bb.0:
	s_load_dwordx8 s[20:27], s[4:5], 0x50
	s_waitcnt lgkmcnt(0)
	s_cmp_ge_i32 s6, s22
	s_cbranch_scc1 .LBB912_17
; %bb.1:
	s_load_dwordx2 s[28:29], s[4:5], 0x48
	s_load_dwordx2 s[10:11], s[4:5], 0x30
	s_load_dwordx8 s[12:19], s[4:5], 0x70
	s_cmp_lg_u32 s7, 0
	s_waitcnt lgkmcnt(0)
	s_cselect_b64 s[18:19], -1, 0
	s_cmp_eq_u32 s7, 0
	s_cselect_b64 s[8:9], -1, 0
	s_and_b64 s[0:1], s[8:9], exec
	s_cselect_b32 s7, s23, s24
	s_add_i32 s0, s7, 1
	s_lshr_b32 s1, s0, 31
	s_add_i32 s0, s0, s1
	s_lshl_b32 s0, s0, 1
	v_lshlrev_b32_e32 v1, 4, v0
	s_and_b32 s38, s0, -4
	v_cmp_gt_i32_e64 s[0:1], s7, v1
	v_mov_b32_e32 v80, 0
	v_mov_b32_e32 v81, 0
	;; [unrolled: 1-line block ×16, first 2 shown]
	s_and_saveexec_b64 s[2:3], s[0:1]
	s_cbranch_execz .LBB912_3
; %bb.2:
	s_load_dwordx2 s[30:31], s[4:5], 0x28
	s_load_dwordx2 s[34:35], s[4:5], 0x40
	s_and_b64 s[36:37], s[8:9], exec
	s_cselect_b32 s22, s25, s26
	s_mov_b32 s39, 0x20000
	s_waitcnt lgkmcnt(0)
	s_cselect_b32 s25, s31, s11
	s_cselect_b32 s33, s30, s10
	s_mul_hi_i32 s31, s22, s6
	s_mul_i32 s30, s22, s6
	s_lshl_b64 s[30:31], s[30:31], 1
	s_add_u32 s40, s33, s30
	s_addc_u32 s22, s25, s31
	s_and_b64 s[30:31], s[8:9], exec
	s_cselect_b32 s36, s34, s28
	s_cselect_b32 s25, s35, s29
	s_and_b32 s41, s22, 0xffff
	s_mov_b32 s42, s38
	s_mov_b32 s43, s39
	v_lshlrev_b32_e32 v2, 5, v0
	s_and_b32 s37, s25, 0xffff
	buffer_load_dwordx4 v[84:87], v2, s[40:43], 0 offen
	buffer_load_dwordx4 v[88:91], v2, s[40:43], 16 offen
	;; [unrolled: 1-line block ×4, first 2 shown]
.LBB912_3:
	s_or_b64 exec, exec, s[2:3]
	s_and_b64 vcc, exec, s[18:19]
	s_cbranch_vccz .LBB912_7
; %bb.4:
	v_mov_b32_e32 v93, 0
	v_mov_b32_e32 v92, 0
	;; [unrolled: 1-line block ×16, first 2 shown]
	s_and_saveexec_b64 s[2:3], s[0:1]
	s_cbranch_execz .LBB912_6
; %bb.5:
	s_waitcnt vmcnt(3)
	v_cvt_f32_u32_sdwa v32, v84 dst_sel:DWORD dst_unused:UNUSED_PAD src0_sel:WORD_0
	v_cvt_f32_u32_sdwa v33, v84 dst_sel:DWORD dst_unused:UNUSED_PAD src0_sel:WORD_1
	v_cvt_f32_u32_sdwa v18, v85 dst_sel:DWORD dst_unused:UNUSED_PAD src0_sel:WORD_0
	v_cvt_f32_u32_sdwa v19, v85 dst_sel:DWORD dst_unused:UNUSED_PAD src0_sel:WORD_1
	;; [unrolled: 2-line block ×4, first 2 shown]
	s_waitcnt vmcnt(2)
	v_cvt_f32_u32_sdwa v68, v88 dst_sel:DWORD dst_unused:UNUSED_PAD src0_sel:WORD_0
	v_cvt_f32_u32_sdwa v69, v88 dst_sel:DWORD dst_unused:UNUSED_PAD src0_sel:WORD_1
	v_cvt_f32_u32_sdwa v62, v89 dst_sel:DWORD dst_unused:UNUSED_PAD src0_sel:WORD_0
	v_cvt_f32_u32_sdwa v63, v89 dst_sel:DWORD dst_unused:UNUSED_PAD src0_sel:WORD_1
	;; [unrolled: 2-line block ×4, first 2 shown]
.LBB912_6:
	s_or_b64 exec, exec, s[2:3]
	s_cbranch_execz .LBB912_8
	s_branch .LBB912_11
.LBB912_7:
                                        ; implicit-def: $vgpr32_vgpr33_vgpr34_vgpr35_vgpr36_vgpr37_vgpr38_vgpr39_vgpr40_vgpr41_vgpr42_vgpr43_vgpr44_vgpr45_vgpr46_vgpr47
                                        ; implicit-def: $vgpr46_vgpr47_vgpr48_vgpr49_vgpr50_vgpr51_vgpr52_vgpr53_vgpr54_vgpr55_vgpr56_vgpr57_vgpr58_vgpr59_vgpr60_vgpr61
                                        ; implicit-def: $vgpr16_vgpr17_vgpr18_vgpr19_vgpr20_vgpr21_vgpr22_vgpr23_vgpr24_vgpr25_vgpr26_vgpr27_vgpr28_vgpr29_vgpr30_vgpr31
                                        ; implicit-def: $vgpr93
                                        ; implicit-def: $vgpr2_vgpr3_vgpr4_vgpr5_vgpr6_vgpr7_vgpr8_vgpr9_vgpr10_vgpr11_vgpr12_vgpr13_vgpr14_vgpr15_vgpr16_vgpr17
                                        ; implicit-def: $vgpr60_vgpr61_vgpr62_vgpr63_vgpr64_vgpr65_vgpr66_vgpr67_vgpr68_vgpr69_vgpr70_vgpr71_vgpr72_vgpr73_vgpr74_vgpr75
                                        ; implicit-def: $vgpr34_vgpr35_vgpr36_vgpr37_vgpr38_vgpr39_vgpr40_vgpr41_vgpr42_vgpr43_vgpr44_vgpr45_vgpr46_vgpr47_vgpr48_vgpr49
                                        ; implicit-def: $vgpr52_vgpr53_vgpr54_vgpr55_vgpr56_vgpr57_vgpr58_vgpr59_vgpr60_vgpr61_vgpr62_vgpr63_vgpr64_vgpr65_vgpr66_vgpr67
.LBB912_8:
	v_mov_b32_e32 v93, 0
	v_mov_b32_e32 v92, 0
	;; [unrolled: 1-line block ×16, first 2 shown]
	s_and_saveexec_b64 s[2:3], s[0:1]
	s_cbranch_execz .LBB912_10
; %bb.9:
	s_load_dwordx2 s[30:31], s[4:5], 0x38
	s_mul_hi_i32 s35, s27, s6
	s_mul_i32 s34, s27, s6
	s_lshl_b64 s[34:35], s[34:35], 1
	s_mov_b32 s39, 0x20000
	s_waitcnt lgkmcnt(0)
	s_add_u32 s36, s30, s34
	s_addc_u32 s22, s31, s35
	s_and_b32 s37, s22, 0xffff
	v_lshlrev_b32_e32 v36, 5, v0
	buffer_load_dwordx4 v[4:7], v36, s[36:39], 16 offen
	buffer_load_dwordx4 v[8:11], v36, s[36:39], 0 offen
	s_load_dwordx2 s[30:31], s[4:5], 0x20
	s_waitcnt vmcnt(5)
	v_cvt_f32_u32_sdwa v21, v84 dst_sel:DWORD dst_unused:UNUSED_PAD src0_sel:WORD_1
	v_cvt_f32_u32_sdwa v20, v84 dst_sel:DWORD dst_unused:UNUSED_PAD src0_sel:WORD_0
	v_cvt_f32_u32_sdwa v19, v85 dst_sel:DWORD dst_unused:UNUSED_PAD src0_sel:WORD_1
	v_cvt_f32_u32_sdwa v18, v85 dst_sel:DWORD dst_unused:UNUSED_PAD src0_sel:WORD_0
	;; [unrolled: 2-line block ×4, first 2 shown]
	s_waitcnt vmcnt(4)
	v_cvt_f32_u32_sdwa v3, v88 dst_sel:DWORD dst_unused:UNUSED_PAD src0_sel:WORD_1
	v_cvt_f32_u32_sdwa v2, v88 dst_sel:DWORD dst_unused:UNUSED_PAD src0_sel:WORD_0
	v_cvt_f32_u32_sdwa v13, v89 dst_sel:DWORD dst_unused:UNUSED_PAD src0_sel:WORD_1
	v_cvt_f32_u32_sdwa v12, v89 dst_sel:DWORD dst_unused:UNUSED_PAD src0_sel:WORD_0
	;; [unrolled: 2-line block ×3, first 2 shown]
	v_cvt_f32_u32_sdwa v16, v91 dst_sel:DWORD dst_unused:UNUSED_PAD src0_sel:WORD_0
	v_cvt_f32_u32_sdwa v17, v91 dst_sel:DWORD dst_unused:UNUSED_PAD src0_sel:WORD_1
	s_mul_hi_i32 s35, s17, s6
	s_mul_i32 s34, s17, s6
	s_lshl_b64 s[34:35], s[34:35], 1
	s_waitcnt lgkmcnt(0)
	s_add_u32 s36, s30, s34
	s_mov_b32 s17, 0x7060302
	s_addc_u32 s22, s31, s35
	s_and_b32 s37, s22, 0xffff
	s_waitcnt vmcnt(1)
	v_cvt_f32_u32_sdwa v27, v4 dst_sel:DWORD dst_unused:UNUSED_PAD src0_sel:WORD_1
	v_cvt_f32_u32_sdwa v26, v4 dst_sel:DWORD dst_unused:UNUSED_PAD src0_sel:WORD_0
	v_cvt_f32_u32_sdwa v29, v5 dst_sel:DWORD dst_unused:UNUSED_PAD src0_sel:WORD_1
	v_cvt_f32_u32_sdwa v28, v5 dst_sel:DWORD dst_unused:UNUSED_PAD src0_sel:WORD_0
	;; [unrolled: 2-line block ×3, first 2 shown]
	v_cvt_f32_u32_sdwa v34, v7 dst_sel:DWORD dst_unused:UNUSED_PAD src0_sel:WORD_0
	v_cvt_f32_u32_sdwa v35, v7 dst_sel:DWORD dst_unused:UNUSED_PAD src0_sel:WORD_1
	s_waitcnt vmcnt(0)
	v_cvt_f32_u32_sdwa v33, v8 dst_sel:DWORD dst_unused:UNUSED_PAD src0_sel:WORD_1
	v_cvt_f32_u32_sdwa v32, v8 dst_sel:DWORD dst_unused:UNUSED_PAD src0_sel:WORD_0
	v_cvt_f32_u32_sdwa v5, v10 dst_sel:DWORD dst_unused:UNUSED_PAD src0_sel:WORD_1
	v_cvt_f32_u32_sdwa v4, v10 dst_sel:DWORD dst_unused:UNUSED_PAD src0_sel:WORD_0
	;; [unrolled: 2-line block ×4, first 2 shown]
	v_pk_add_f32 v[50:51], v[22:23], v[4:5]
	v_pk_add_f32 v[40:41], v[24:25], v[6:7]
	;; [unrolled: 1-line block ×4, first 2 shown]
	v_perm_b32 v7, v41, v40, s17
	v_perm_b32 v6, v51, v50, s17
	;; [unrolled: 1-line block ×4, first 2 shown]
	v_pk_add_f32 v[92:93], v[16:17], v[34:35]
	v_pk_add_f32 v[14:15], v[14:15], v[30:31]
	;; [unrolled: 1-line block ×4, first 2 shown]
	buffer_store_dwordx4 v[4:7], v36, s[36:39], 0 offen
	;;#ASMSTART
	s_nop 0
	;;#ASMEND
	s_nop 0
	v_perm_b32 v7, v93, v92, s17
	v_perm_b32 v6, v15, v14, s17
	;; [unrolled: 1-line block ×4, first 2 shown]
	buffer_store_dwordx4 v[4:7], v36, s[36:39], 16 offen
	;;#ASMSTART
	s_nop 0
	;;#ASMEND
.LBB912_10:
	s_or_b64 exec, exec, s[2:3]
.LBB912_11:
	v_mul_f32_e32 v2, v33, v33
	v_fmac_f32_e32 v2, v32, v32
	v_fmac_f32_e32 v2, v18, v18
	;; [unrolled: 1-line block ×15, first 2 shown]
	s_nop 1
	v_mov_b32_dpp v3, v2 quad_perm:[1,0,3,2] row_mask:0xf bank_mask:0xf
	v_add_f32_e32 v2, v2, v3
	s_nop 1
	v_mov_b32_dpp v3, v2 quad_perm:[2,3,0,1] row_mask:0xf bank_mask:0xf
	v_add_f32_e32 v2, v2, v3
	s_nop 1
	v_mov_b32_dpp v3, v2 row_half_mirror row_mask:0xf bank_mask:0xf
	v_add_f32_e32 v2, v2, v3
	s_nop 1
	v_mov_b32_dpp v3, v2 row_mirror row_mask:0xf bank_mask:0xf
	v_add_f32_e32 v2, v2, v3
	s_nop 1
	v_mov_b32_dpp v3, v2 row_bcast:15 row_mask:0xf bank_mask:0xf
	v_add_f32_e32 v2, v2, v3
	v_and_b32_e32 v3, 63, v0
	v_cmp_eq_u32_e64 s[2:3], 63, v3
	s_nop 0
	v_mov_b32_dpp v3, v2 row_bcast:31 row_mask:0xf bank_mask:0xf
	s_and_saveexec_b64 s[30:31], s[2:3]
	s_cbranch_execz .LBB912_13
; %bb.12:
	v_add_f32_e32 v2, v2, v3
	v_lshrrev_b32_e32 v3, 4, v0
	v_and_b32_e32 v3, 60, v3
	ds_write_b32 v3, v2 offset:32
.LBB912_13:
	s_or_b64 exec, exec, s[30:31]
	v_and_b32_e32 v2, 7, v0
	v_lshlrev_b32_e32 v34, 2, v2
	s_waitcnt lgkmcnt(0)
	s_barrier
	ds_read_b32 v3, v34 offset:32
	s_load_dwordx2 s[34:35], s[4:5], 0x18
	s_waitcnt lgkmcnt(0)
	v_mov_b32_dpp v4, v3 quad_perm:[1,0,3,2] row_mask:0xf bank_mask:0xf
	v_add_f32_e32 v3, v3, v4
	s_nop 1
	v_mov_b32_dpp v4, v3 quad_perm:[2,3,0,1] row_mask:0xf bank_mask:0xf
	v_add_f32_e32 v3, v3, v4
	s_nop 1
	v_mov_b32_dpp v4, v3 row_half_mirror row_mask:0xf bank_mask:0xf
	s_and_saveexec_b64 s[30:31], s[0:1]
	s_cbranch_execnz .LBB912_18
; %bb.14:
	s_or_b64 exec, exec, s[30:31]
	s_mov_b64 s[8:9], -1
	s_and_b64 vcc, exec, s[18:19]
	s_cbranch_vccnz .LBB912_19
.LBB912_15:
	s_andn2_b64 vcc, exec, s[8:9]
	s_cbranch_vccz .LBB912_22
.LBB912_16:
	s_cmp_lt_i32 s24, 1
	s_cbranch_scc0 .LBB912_31
.LBB912_17:
	s_endpgm
.LBB912_18:
	v_add_f32_e32 v3, v3, v4
	v_cvt_f32_u32_e32 v4, s7
	s_mov_b32 s7, 0x800000
	s_waitcnt vmcnt(1)
	v_cvt_f32_u32_sdwa v23, v81 dst_sel:DWORD dst_unused:UNUSED_PAD src0_sel:WORD_1
	v_cvt_f32_u32_sdwa v22, v81 dst_sel:DWORD dst_unused:UNUSED_PAD src0_sel:WORD_0
	v_div_scale_f32 v5, s[36:37], v4, v4, v3
	v_rcp_f32_e32 v6, v5
	s_waitcnt vmcnt(0)
	v_cvt_f32_u32_sdwa v25, v77 dst_sel:DWORD dst_unused:UNUSED_PAD src0_sel:WORD_1
	v_cvt_f32_u32_sdwa v24, v77 dst_sel:DWORD dst_unused:UNUSED_PAD src0_sel:WORD_0
	v_cvt_f32_u32_sdwa v27, v78 dst_sel:DWORD dst_unused:UNUSED_PAD src0_sel:WORD_1
	v_fma_f32 v7, -v5, v6, 1.0
	v_fmac_f32_e32 v6, v7, v6
	v_div_scale_f32 v7, vcc, v3, v4, v3
	v_mul_f32_e32 v8, v7, v6
	v_fma_f32 v9, -v5, v8, v7
	v_fmac_f32_e32 v8, v9, v6
	v_fma_f32 v5, -v5, v8, v7
	v_div_fmas_f32 v5, v5, v6, v8
	v_div_fixup_f32 v3, v5, v4, v3
	v_mov_b32_e32 v4, s21
	v_mov_b32_e32 v5, s20
	v_cndmask_b32_e64 v4, v4, v5, s[8:9]
	v_add_f32_e32 v3, v4, v3
	v_mul_f32_e32 v4, 0x4b800000, v3
	v_cmp_gt_f32_e32 vcc, s7, v3
	v_cndmask_b32_e32 v3, v3, v4, vcc
	v_rsq_f32_e32 v3, v3
	v_cvt_f32_u32_sdwa v26, v78 dst_sel:DWORD dst_unused:UNUSED_PAD src0_sel:WORD_0
	v_cvt_f32_u32_sdwa v29, v79 dst_sel:DWORD dst_unused:UNUSED_PAD src0_sel:WORD_1
	v_cvt_f32_u32_sdwa v28, v79 dst_sel:DWORD dst_unused:UNUSED_PAD src0_sel:WORD_0
	v_mul_f32_e32 v4, 0x45800000, v3
	v_cndmask_b32_e32 v4, v3, v4, vcc
	v_mov_b32_e32 v5, v4
	;;#ASMSTART
	v_pk_mul_f32 v[6:7], v[32:33], v[4:5]
	;;#ASMEND
	;;#ASMSTART
	v_pk_mul_f32 v[8:9], v[18:19], v[4:5]
	;;#ASMEND
	;; [unrolled: 3-line block ×6, first 2 shown]
	v_cvt_f32_u32_sdwa v19, v80 dst_sel:DWORD dst_unused:UNUSED_PAD src0_sel:WORD_1
	v_cvt_f32_u32_sdwa v18, v80 dst_sel:DWORD dst_unused:UNUSED_PAD src0_sel:WORD_0
	;;#ASMSTART
	v_pk_mul_f32 v[14:15], v[14:15], v[4:5]
	;;#ASMEND
	;;#ASMSTART
	v_pk_mul_f32 v[4:5], v[92:93], v[4:5]
	;;#ASMEND
	;; [unrolled: 3-line block ×4, first 2 shown]
	v_cvt_f32_u32_sdwa v7, v82 dst_sel:DWORD dst_unused:UNUSED_PAD src0_sel:WORD_1
	v_cvt_f32_u32_sdwa v6, v82 dst_sel:DWORD dst_unused:UNUSED_PAD src0_sel:WORD_0
	v_cvt_f32_u32_sdwa v9, v83 dst_sel:DWORD dst_unused:UNUSED_PAD src0_sel:WORD_1
	v_cvt_f32_u32_sdwa v8, v83 dst_sel:DWORD dst_unused:UNUSED_PAD src0_sel:WORD_0
	;; [unrolled: 2-line block ×3, first 2 shown]
	;;#ASMSTART
	v_pk_mul_f32 v[50:51], v[10:11], v[6:7]
	;;#ASMEND
	;;#ASMSTART
	v_pk_mul_f32 v[40:41], v[12:13], v[8:9]
	;;#ASMEND
	;; [unrolled: 3-line block ×6, first 2 shown]
	s_or_b64 exec, exec, s[30:31]
	s_mov_b64 s[8:9], -1
	s_and_b64 vcc, exec, s[18:19]
	s_cbranch_vccz .LBB912_15
.LBB912_19:
	s_and_saveexec_b64 s[8:9], s[0:1]
	s_cbranch_execz .LBB912_21
; %bb.20:
	s_mul_hi_i32 s19, s16, s6
	s_mul_i32 s18, s16, s6
	s_lshl_b64 s[18:19], s[18:19], 1
	s_add_u32 s36, s34, s18
	s_addc_u32 s7, s35, s19
	s_and_b32 s37, s7, 0xffff
	s_mov_b32 s7, 0x7060302
	s_mov_b32 s39, 0x20000
	v_perm_b32 v7, v41, v40, s7
	v_perm_b32 v6, v51, v50, s7
	;; [unrolled: 1-line block ×4, first 2 shown]
	v_lshlrev_b32_e32 v3, 5, v0
	buffer_store_dwordx4 v[4:7], v3, s[36:39], 0 offen
	;;#ASMSTART
	s_nop 0
	;;#ASMEND
	s_nop 0
	v_perm_b32 v7, v93, v92, s7
	v_perm_b32 v6, v15, v14, s7
	v_perm_b32 v5, v63, v62, s7
	v_perm_b32 v4, v69, v68, s7
	buffer_store_dwordx4 v[4:7], v3, s[36:39], 16 offen
	;;#ASMSTART
	s_nop 0
	;;#ASMEND
.LBB912_21:
	s_or_b64 exec, exec, s[8:9]
	s_cbranch_execnz .LBB912_16
.LBB912_22:
	v_mov_b32_e32 v3, 0
	s_and_saveexec_b64 s[8:9], s[0:1]
	s_cbranch_execz .LBB912_24
; %bb.23:
	s_load_dwordx2 s[18:19], s[4:5], 0x10
	s_mul_hi_i32 s31, s15, s6
	s_mul_i32 s30, s15, s6
	s_lshl_b64 s[30:31], s[30:31], 1
	s_mov_b32 s39, 0x20000
	s_waitcnt lgkmcnt(0)
	s_add_u32 s36, s18, s30
	s_addc_u32 s7, s19, s31
	s_and_b32 s37, s7, 0xffff
	s_mov_b32 s7, 0x7060302
	v_perm_b32 v7, v41, v40, s7
	v_perm_b32 v6, v51, v50, s7
	;; [unrolled: 1-line block ×4, first 2 shown]
	v_lshlrev_b32_e32 v3, 5, v0
	buffer_store_dwordx4 v[4:7], v3, s[36:39], 0 offen
	;;#ASMSTART
	s_nop 0
	;;#ASMEND
	s_nop 0
	v_perm_b32 v7, v93, v92, s7
	v_perm_b32 v6, v15, v14, s7
	;; [unrolled: 1-line block ×4, first 2 shown]
	buffer_store_dwordx4 v[4:7], v3, s[36:39], 16 offen
	v_mov_b32_e32 v3, 0x2edbe6ff
	;;#ASMSTART
	s_nop 0
	;;#ASMEND
.LBB912_24:
	s_or_b64 exec, exec, s[8:9]
	s_and_saveexec_b64 s[8:9], s[0:1]
	s_cbranch_execz .LBB912_26
; %bb.25:
	v_and_b32_e32 v4, 0x7fffffff, v32
	v_and_b32_e32 v5, 0x7fffffff, v33
	;;#ASMSTART
	v_max3_f32 v3, v3, v4, v5

	;;#ASMEND
	v_and_b32_e32 v6, 0x7fffffff, v18
	v_and_b32_e32 v7, 0x7fffffff, v19
	;;#ASMSTART
	v_max3_f32 v3, v3, v6, v7

	;;#ASMEND
	;; [unrolled: 6-line block ×8, first 2 shown]
.LBB912_26:
	s_or_b64 exec, exec, s[8:9]
	v_cmp_eq_u32_e32 vcc, 0, v2
	v_cmp_gt_i32_e64 s[8:9], s23, v1
	s_and_b64 s[18:19], vcc, s[8:9]
	;;#ASMSTART
	v_max_f32 v4, v3, v3 quad_perm:[1,0,3,2] row_mask:0xf bank_mask:0xf bound_ctrl:1
	;;#ASMEND
	;;#ASMSTART
	v_max_f32 v5, v4, v4 quad_perm:[2,3,0,1] row_mask:0xf bank_mask:0xf bound_ctrl:1
	;;#ASMEND
	;;#ASMSTART
	v_max_f32 v3, v5, v5 row_half_mirror row_mask:0xf bank_mask:0xf bound_ctrl:1
	;;#ASMEND
	s_and_saveexec_b64 s[8:9], s[18:19]
	s_cbranch_execz .LBB912_28
; %bb.27:
	s_load_dwordx2 s[18:19], s[4:5], 0x8
	v_mul_f32_e32 v2, 0x3e2aaaab, v3
	v_lshrrev_b32_e32 v3, 23, v2
	v_and_b32_e32 v4, 0x7f800000, v2
	v_and_b32_e32 v2, 0x7fffff, v2
	v_cmp_ne_u32_e32 vcc, 0, v2
	s_mul_hi_i32 s15, s13, s6
	s_mul_i32 s13, s13, s6
	s_mov_b32 s7, 0x7f800000
	v_addc_co_u32_e32 v2, vcc, 0, v3, vcc
	s_waitcnt lgkmcnt(0)
	s_add_u32 s18, s18, s13
	v_cmp_ne_u32_e32 vcc, s7, v4
	s_addc_u32 s19, s19, s15
	v_lshrrev_b32_e32 v5, 3, v0
	v_cndmask_b32_e32 v4, -1, v2, vcc
	v_pk_mov_b32 v[2:3], s[18:19], s[18:19] op_sel:[0,1]
	v_mad_i64_i32 v[2:3], s[14:15], s14, v5, v[2:3]
	global_store_byte v[2:3], v4, off
.LBB912_28:
	s_or_b64 exec, exec, s[8:9]
	s_and_saveexec_b64 s[8:9], s[0:1]
	s_cbranch_execz .LBB912_30
; %bb.29:
	s_load_dwordx2 s[0:1], s[4:5], 0x0
	s_mul_hi_i32 s7, s12, s6
	s_mul_i32 s12, s12, s6
	v_mov_b32_e32 v2, 0
	v_lshlrev_b32_e32 v4, 3, v0
	s_waitcnt lgkmcnt(0)
	s_add_u32 s12, s0, s12
	s_addc_u32 s0, s1, s7
	s_lshr_b32 s1, s23, 31
	s_add_i32 s1, s23, s1
	s_ashr_i32 s1, s1, 1
	s_add_i32 s1, s1, 3
	s_ashr_i32 s7, s1, 31
	s_lshr_b32 s7, s7, 30
	s_add_i32 s1, s1, s7
	s_and_b32 s14, s1, -4
	s_and_b32 s13, s0, 0xffff
	s_mov_b32 s15, 0x20000
	v_mov_b32_e32 v3, v2
	buffer_store_dwordx2 v[2:3], v4, s[12:15], 0 offen
	;;#ASMSTART
	s_nop 0
	;;#ASMEND
.LBB912_30:
	s_or_b64 exec, exec, s[8:9]
	s_cmp_lt_i32 s24, 1
	s_cbranch_scc1 .LBB912_17
.LBB912_31:
	s_load_dword s0, s[4:5], 0x94
	s_waitcnt lgkmcnt(0)
	s_cmp_lg_u32 s0, 1
	s_cbranch_scc1 .LBB912_17
; %bb.32:
	s_lshl_b32 s0, s24, 1
	s_add_i32 s0, s0, 2
	v_cmp_gt_u32_e32 vcc, s24, v1
	s_and_b32 s30, s0, -4
	v_mov_b32_e32 v18, 0
	v_lshlrev_b32_e32 v1, 5, v0
	v_mov_b32_e32 v14, 0
	v_mov_b32_e32 v15, 0
	;; [unrolled: 1-line block ×16, first 2 shown]
	s_barrier
	s_and_saveexec_b64 s[0:1], vcc
	s_cbranch_execz .LBB912_34
; %bb.33:
	s_mul_hi_i32 s5, s26, s6
	s_mul_i32 s4, s26, s6
	s_and_b32 s29, s29, 0xffff
	s_lshl_b64 s[4:5], s[4:5], 1
	s_add_u32 s8, s10, s4
	s_mov_b32 s31, 0x20000
	s_addc_u32 s4, s11, s5
	s_and_b32 s9, s4, 0xffff
	s_mov_b32 s10, s30
	s_mov_b32 s11, s31
	buffer_load_dwordx4 v[14:17], v1, s[8:11], 0 offen
	buffer_load_dwordx4 v[10:13], v1, s[8:11], 16 offen
	buffer_load_dwordx4 v[6:9], v1, s[28:31], 0 offen
	buffer_load_dwordx4 v[2:5], v1, s[28:31], 16 offen
.LBB912_34:
	s_or_b64 exec, exec, s[0:1]
	v_mov_b32_e32 v19, 0
	v_mov_b32_e32 v32, 0
	;; [unrolled: 1-line block ×15, first 2 shown]
	s_and_saveexec_b64 s[0:1], vcc
	s_cbranch_execz .LBB912_36
; %bb.35:
	s_waitcnt vmcnt(3)
	v_cvt_f32_u32_sdwa v18, v14 dst_sel:DWORD dst_unused:UNUSED_PAD src0_sel:WORD_0
	v_cvt_f32_u32_sdwa v19, v14 dst_sel:DWORD dst_unused:UNUSED_PAD src0_sel:WORD_1
	v_cvt_f32_u32_sdwa v32, v15 dst_sel:DWORD dst_unused:UNUSED_PAD src0_sel:WORD_0
	v_cvt_f32_u32_sdwa v33, v15 dst_sel:DWORD dst_unused:UNUSED_PAD src0_sel:WORD_1
	v_cvt_f32_u32_sdwa v30, v16 dst_sel:DWORD dst_unused:UNUSED_PAD src0_sel:WORD_0
	v_cvt_f32_u32_sdwa v31, v16 dst_sel:DWORD dst_unused:UNUSED_PAD src0_sel:WORD_1
	v_cvt_f32_u32_sdwa v28, v17 dst_sel:DWORD dst_unused:UNUSED_PAD src0_sel:WORD_0
	v_cvt_f32_u32_sdwa v29, v17 dst_sel:DWORD dst_unused:UNUSED_PAD src0_sel:WORD_1
	s_waitcnt vmcnt(2)
	v_cvt_f32_u32_sdwa v26, v10 dst_sel:DWORD dst_unused:UNUSED_PAD src0_sel:WORD_0
	v_cvt_f32_u32_sdwa v27, v10 dst_sel:DWORD dst_unused:UNUSED_PAD src0_sel:WORD_1
	v_cvt_f32_u32_sdwa v24, v11 dst_sel:DWORD dst_unused:UNUSED_PAD src0_sel:WORD_0
	v_cvt_f32_u32_sdwa v25, v11 dst_sel:DWORD dst_unused:UNUSED_PAD src0_sel:WORD_1
	;; [unrolled: 2-line block ×4, first 2 shown]
.LBB912_36:
	s_or_b64 exec, exec, s[0:1]
	s_waitcnt vmcnt(2)
	v_mul_f32_e32 v10, v19, v19
	v_fmac_f32_e32 v10, v18, v18
	v_fmac_f32_e32 v10, v32, v32
	;; [unrolled: 1-line block ×15, first 2 shown]
	s_nop 1
	v_mov_b32_dpp v11, v10 quad_perm:[1,0,3,2] row_mask:0xf bank_mask:0xf
	v_add_f32_e32 v10, v10, v11
	s_nop 1
	v_mov_b32_dpp v11, v10 quad_perm:[2,3,0,1] row_mask:0xf bank_mask:0xf
	v_add_f32_e32 v10, v10, v11
	s_nop 1
	v_mov_b32_dpp v11, v10 row_half_mirror row_mask:0xf bank_mask:0xf
	v_add_f32_e32 v10, v10, v11
	s_nop 1
	v_mov_b32_dpp v11, v10 row_mirror row_mask:0xf bank_mask:0xf
	v_add_f32_e32 v10, v10, v11
	s_nop 1
	v_mov_b32_dpp v11, v10 row_bcast:15 row_mask:0xf bank_mask:0xf
	v_add_f32_e32 v10, v10, v11
	s_nop 1
	v_mov_b32_dpp v11, v10 row_bcast:31 row_mask:0xf bank_mask:0xf
	s_and_saveexec_b64 s[0:1], s[2:3]
	s_cbranch_execz .LBB912_38
; %bb.37:
	v_lshrrev_b32_e32 v0, 4, v0
	v_add_f32_e32 v10, v10, v11
	v_and_b32_e32 v0, 60, v0
	ds_write_b32 v0, v10
.LBB912_38:
	s_or_b64 exec, exec, s[0:1]
	s_waitcnt lgkmcnt(0)
	s_barrier
	ds_read_b32 v0, v34
	s_waitcnt lgkmcnt(0)
	s_nop 0
	v_mov_b32_dpp v10, v0 quad_perm:[1,0,3,2] row_mask:0xf bank_mask:0xf
	v_add_f32_e32 v0, v0, v10
	s_nop 1
	v_mov_b32_dpp v10, v0 quad_perm:[2,3,0,1] row_mask:0xf bank_mask:0xf
	v_add_f32_e32 v0, v0, v10
	s_nop 1
	v_mov_b32_dpp v10, v0 row_half_mirror row_mask:0xf bank_mask:0xf
	s_and_saveexec_b64 s[0:1], vcc
	s_cbranch_execz .LBB912_17
; %bb.39:
	v_cvt_f32_u32_e32 v11, s24
	v_add_f32_e32 v0, v0, v10
	s_mov_b32 s31, 0x20000
	v_div_scale_f32 v10, s[0:1], v11, v11, v0
	v_rcp_f32_e32 v12, v10
	v_div_scale_f32 v13, vcc, v0, v11, v0
	s_mov_b32 s0, 0x800000
	v_fma_f32 v14, -v10, v12, 1.0
	v_fmac_f32_e32 v12, v14, v12
	v_mul_f32_e32 v14, v13, v12
	v_fma_f32 v15, -v10, v14, v13
	v_fmac_f32_e32 v14, v15, v12
	v_fma_f32 v10, -v10, v14, v13
	v_div_fmas_f32 v10, v10, v12, v14
	v_div_fixup_f32 v0, v10, v11, v0
	v_add_f32_e32 v0, s21, v0
	v_mul_f32_e32 v10, 0x4b800000, v0
	v_cmp_gt_f32_e32 vcc, s0, v0
	v_cndmask_b32_e32 v0, v0, v10, vcc
	v_rsq_f32_e32 v0, v0
	s_mul_hi_i32 s1, s16, s6
	s_mul_i32 s0, s16, s6
	s_lshl_b64 s[0:1], s[0:1], 1
	v_mul_f32_e32 v10, 0x45800000, v0
	v_cndmask_b32_e32 v10, v0, v10, vcc
	v_mov_b32_e32 v11, v10
	s_add_u32 s28, s34, s0
	;;#ASMSTART
	v_pk_mul_f32 v[12:13], v[18:19], v[10:11]
	;;#ASMEND
	;;#ASMSTART
	v_pk_mul_f32 v[14:15], v[32:33], v[10:11]
	;;#ASMEND
	;; [unrolled: 3-line block ×8, first 2 shown]
	s_waitcnt vmcnt(1)
	v_cvt_f32_u32_sdwa v21, v6 dst_sel:DWORD dst_unused:UNUSED_PAD src0_sel:WORD_1
	v_cvt_f32_u32_sdwa v20, v6 dst_sel:DWORD dst_unused:UNUSED_PAD src0_sel:WORD_0
	v_cvt_f32_u32_sdwa v29, v7 dst_sel:DWORD dst_unused:UNUSED_PAD src0_sel:WORD_1
	v_cvt_f32_u32_sdwa v28, v7 dst_sel:DWORD dst_unused:UNUSED_PAD src0_sel:WORD_0
	;; [unrolled: 2-line block ×3, first 2 shown]
	s_addc_u32 s0, s35, s1
	v_cvt_f32_u32_sdwa v31, v9 dst_sel:DWORD dst_unused:UNUSED_PAD src0_sel:WORD_1
	v_cvt_f32_u32_sdwa v30, v9 dst_sel:DWORD dst_unused:UNUSED_PAD src0_sel:WORD_0
	;;#ASMSTART
	v_pk_mul_f32 v[8:9], v[12:13], v[20:21]
	;;#ASMEND
	;;#ASMSTART
	v_pk_mul_f32 v[12:13], v[14:15], v[28:29]
	;;#ASMEND
	;; [unrolled: 3-line block ×4, first 2 shown]
	s_waitcnt vmcnt(0)
	v_cvt_f32_u32_sdwa v17, v2 dst_sel:DWORD dst_unused:UNUSED_PAD src0_sel:WORD_1
	v_cvt_f32_u32_sdwa v16, v2 dst_sel:DWORD dst_unused:UNUSED_PAD src0_sel:WORD_0
	v_cvt_f32_u32_sdwa v19, v3 dst_sel:DWORD dst_unused:UNUSED_PAD src0_sel:WORD_1
	v_cvt_f32_u32_sdwa v18, v3 dst_sel:DWORD dst_unused:UNUSED_PAD src0_sel:WORD_0
	;; [unrolled: 2-line block ×3, first 2 shown]
	s_and_b32 s29, s0, 0xffff
	s_mov_b32 s0, 0x7060302
	v_cvt_f32_u32_sdwa v21, v5 dst_sel:DWORD dst_unused:UNUSED_PAD src0_sel:WORD_1
	v_cvt_f32_u32_sdwa v20, v5 dst_sel:DWORD dst_unused:UNUSED_PAD src0_sel:WORD_0
	;;#ASMSTART
	v_pk_mul_f32 v[16:17], v[26:27], v[16:17]
	;;#ASMEND
	;;#ASMSTART
	v_pk_mul_f32 v[18:19], v[24:25], v[18:19]
	;;#ASMEND
	;; [unrolled: 3-line block ×3, first 2 shown]
	v_perm_b32 v2, v9, v8, s0
	v_perm_b32 v3, v13, v12, s0
	;; [unrolled: 1-line block ×4, first 2 shown]
	;;#ASMSTART
	v_pk_mul_f32 v[10:11], v[10:11], v[20:21]
	;;#ASMEND
	buffer_store_dwordx4 v[2:5], v1, s[28:31], 0 offen
	;;#ASMSTART
	s_nop 0
	;;#ASMEND
	s_nop 0
	v_perm_b32 v2, v17, v16, s0
	v_perm_b32 v3, v19, v18, s0
	v_perm_b32 v4, v23, v22, s0
	v_perm_b32 v5, v11, v10, s0
	buffer_store_dwordx4 v[2:5], v1, s[28:31], 16 offen
	;;#ASMSTART
	s_nop 0
	;;#ASMEND
	s_endpgm
	.section	.rodata,"a",@progbits
	.p2align	6, 0x0
	.amdhsa_kernel _ZN5aiter35fused_qk_rmsnorm_group_quant_kernelItN4opus5fp4_tELi512ELi16ELi8ELb1ELb1ELb0ELb0ELb0ELb0EEEvPT0_PvPT_S7_S7_PKS6_S9_S9_S9_S9_ffiiiiiiiiiiiii
		.amdhsa_group_segment_fixed_size 64
		.amdhsa_private_segment_fixed_size 0
		.amdhsa_kernarg_size 400
		.amdhsa_user_sgpr_count 6
		.amdhsa_user_sgpr_private_segment_buffer 1
		.amdhsa_user_sgpr_dispatch_ptr 0
		.amdhsa_user_sgpr_queue_ptr 0
		.amdhsa_user_sgpr_kernarg_segment_ptr 1
		.amdhsa_user_sgpr_dispatch_id 0
		.amdhsa_user_sgpr_flat_scratch_init 0
		.amdhsa_user_sgpr_kernarg_preload_length 0
		.amdhsa_user_sgpr_kernarg_preload_offset 0
		.amdhsa_user_sgpr_private_segment_size 0
		.amdhsa_uses_dynamic_stack 0
		.amdhsa_system_sgpr_private_segment_wavefront_offset 0
		.amdhsa_system_sgpr_workgroup_id_x 1
		.amdhsa_system_sgpr_workgroup_id_y 1
		.amdhsa_system_sgpr_workgroup_id_z 0
		.amdhsa_system_sgpr_workgroup_info 0
		.amdhsa_system_vgpr_workitem_id 0
		.amdhsa_next_free_vgpr 94
		.amdhsa_next_free_sgpr 44
		.amdhsa_accum_offset 96
		.amdhsa_reserve_vcc 1
		.amdhsa_reserve_flat_scratch 0
		.amdhsa_float_round_mode_32 0
		.amdhsa_float_round_mode_16_64 0
		.amdhsa_float_denorm_mode_32 3
		.amdhsa_float_denorm_mode_16_64 3
		.amdhsa_dx10_clamp 1
		.amdhsa_ieee_mode 1
		.amdhsa_fp16_overflow 0
		.amdhsa_tg_split 0
		.amdhsa_exception_fp_ieee_invalid_op 0
		.amdhsa_exception_fp_denorm_src 0
		.amdhsa_exception_fp_ieee_div_zero 0
		.amdhsa_exception_fp_ieee_overflow 0
		.amdhsa_exception_fp_ieee_underflow 0
		.amdhsa_exception_fp_ieee_inexact 0
		.amdhsa_exception_int_div_zero 0
	.end_amdhsa_kernel
	.section	.text._ZN5aiter35fused_qk_rmsnorm_group_quant_kernelItN4opus5fp4_tELi512ELi16ELi8ELb1ELb1ELb0ELb0ELb0ELb0EEEvPT0_PvPT_S7_S7_PKS6_S9_S9_S9_S9_ffiiiiiiiiiiiii,"axG",@progbits,_ZN5aiter35fused_qk_rmsnorm_group_quant_kernelItN4opus5fp4_tELi512ELi16ELi8ELb1ELb1ELb0ELb0ELb0ELb0EEEvPT0_PvPT_S7_S7_PKS6_S9_S9_S9_S9_ffiiiiiiiiiiiii,comdat
.Lfunc_end912:
	.size	_ZN5aiter35fused_qk_rmsnorm_group_quant_kernelItN4opus5fp4_tELi512ELi16ELi8ELb1ELb1ELb0ELb0ELb0ELb0EEEvPT0_PvPT_S7_S7_PKS6_S9_S9_S9_S9_ffiiiiiiiiiiiii, .Lfunc_end912-_ZN5aiter35fused_qk_rmsnorm_group_quant_kernelItN4opus5fp4_tELi512ELi16ELi8ELb1ELb1ELb0ELb0ELb0ELb0EEEvPT0_PvPT_S7_S7_PKS6_S9_S9_S9_S9_ffiiiiiiiiiiiii
                                        ; -- End function
	.section	.AMDGPU.csdata,"",@progbits
; Kernel info:
; codeLenInByte = 3972
; NumSgprs: 48
; NumVgprs: 94
; NumAgprs: 0
; TotalNumVgprs: 94
; ScratchSize: 0
; MemoryBound: 0
; FloatMode: 240
; IeeeMode: 1
; LDSByteSize: 64 bytes/workgroup (compile time only)
; SGPRBlocks: 5
; VGPRBlocks: 11
; NumSGPRsForWavesPerEU: 48
; NumVGPRsForWavesPerEU: 94
; AccumOffset: 96
; Occupancy: 5
; WaveLimiterHint : 0
; COMPUTE_PGM_RSRC2:SCRATCH_EN: 0
; COMPUTE_PGM_RSRC2:USER_SGPR: 6
; COMPUTE_PGM_RSRC2:TRAP_HANDLER: 0
; COMPUTE_PGM_RSRC2:TGID_X_EN: 1
; COMPUTE_PGM_RSRC2:TGID_Y_EN: 1
; COMPUTE_PGM_RSRC2:TGID_Z_EN: 0
; COMPUTE_PGM_RSRC2:TIDIG_COMP_CNT: 0
; COMPUTE_PGM_RSRC3_GFX90A:ACCUM_OFFSET: 23
; COMPUTE_PGM_RSRC3_GFX90A:TG_SPLIT: 0
	.section	.text._ZN5aiter35fused_qk_rmsnorm_group_quant_kernelIDF16_DB8_Li512ELi16ELi8ELb1ELb0ELb1ELb0ELb0ELb0EEEvPT0_PvPT_S6_S6_PKS5_S8_S8_S8_S8_ffiiiiiiiiiiiii,"axG",@progbits,_ZN5aiter35fused_qk_rmsnorm_group_quant_kernelIDF16_DB8_Li512ELi16ELi8ELb1ELb0ELb1ELb0ELb0ELb0EEEvPT0_PvPT_S6_S6_PKS5_S8_S8_S8_S8_ffiiiiiiiiiiiii,comdat
	.protected	_ZN5aiter35fused_qk_rmsnorm_group_quant_kernelIDF16_DB8_Li512ELi16ELi8ELb1ELb0ELb1ELb0ELb0ELb0EEEvPT0_PvPT_S6_S6_PKS5_S8_S8_S8_S8_ffiiiiiiiiiiiii ; -- Begin function _ZN5aiter35fused_qk_rmsnorm_group_quant_kernelIDF16_DB8_Li512ELi16ELi8ELb1ELb0ELb1ELb0ELb0ELb0EEEvPT0_PvPT_S6_S6_PKS5_S8_S8_S8_S8_ffiiiiiiiiiiiii
	.globl	_ZN5aiter35fused_qk_rmsnorm_group_quant_kernelIDF16_DB8_Li512ELi16ELi8ELb1ELb0ELb1ELb0ELb0ELb0EEEvPT0_PvPT_S6_S6_PKS5_S8_S8_S8_S8_ffiiiiiiiiiiiii
	.p2align	8
	.type	_ZN5aiter35fused_qk_rmsnorm_group_quant_kernelIDF16_DB8_Li512ELi16ELi8ELb1ELb0ELb1ELb0ELb0ELb0EEEvPT0_PvPT_S6_S6_PKS5_S8_S8_S8_S8_ffiiiiiiiiiiiii,@function
_ZN5aiter35fused_qk_rmsnorm_group_quant_kernelIDF16_DB8_Li512ELi16ELi8ELb1ELb0ELb1ELb0ELb0ELb0EEEvPT0_PvPT_S6_S6_PKS5_S8_S8_S8_S8_ffiiiiiiiiiiiii: ; @_ZN5aiter35fused_qk_rmsnorm_group_quant_kernelIDF16_DB8_Li512ELi16ELi8ELb1ELb0ELb1ELb0ELb0ELb0EEEvPT0_PvPT_S6_S6_PKS5_S8_S8_S8_S8_ffiiiiiiiiiiiii
; %bb.0:
	s_load_dwordx8 s[12:19], s[4:5], 0x50
	s_waitcnt lgkmcnt(0)
	s_cmp_ge_i32 s6, s14
	s_cbranch_scc1 .LBB913_17
; %bb.1:
	s_cmp_lg_u32 s7, 0
	s_cselect_b64 s[10:11], -1, 0
	s_cmp_eq_u32 s7, 0
	s_cselect_b64 s[8:9], -1, 0
	s_and_b64 s[0:1], s[8:9], exec
	s_load_dwordx2 s[20:21], s[4:5], 0x48
	s_load_dwordx2 s[36:37], s[4:5], 0x30
	s_load_dwordx4 s[24:27], s[4:5], 0x70
	s_cselect_b32 s7, s15, s16
	s_add_i32 s0, s7, 1
	s_lshr_b32 s1, s0, 31
	s_add_i32 s0, s0, s1
	s_lshl_b32 s0, s0, 1
	v_lshlrev_b32_e32 v1, 4, v0
	s_and_b32 s30, s0, -4
	v_cmp_gt_i32_e64 s[0:1], s7, v1
	v_mov_b32_e32 v76, 0
	v_mov_b32_e32 v77, 0
	;; [unrolled: 1-line block ×16, first 2 shown]
	s_and_saveexec_b64 s[2:3], s[0:1]
	s_cbranch_execz .LBB913_3
; %bb.2:
	s_load_dwordx2 s[22:23], s[4:5], 0x28
	s_load_dwordx2 s[28:29], s[4:5], 0x40
	s_and_b64 s[34:35], s[8:9], exec
	s_cselect_b32 s14, s17, s18
	s_mov_b32 s31, 0x20000
	s_waitcnt lgkmcnt(0)
	s_cselect_b32 s17, s23, s37
	s_cselect_b32 s27, s22, s36
	s_mul_hi_i32 s23, s14, s6
	s_mul_i32 s22, s14, s6
	s_lshl_b64 s[22:23], s[22:23], 1
	s_add_u32 s40, s27, s22
	s_addc_u32 s14, s17, s23
	s_and_b64 s[22:23], s[8:9], exec
	s_cselect_b32 s28, s28, s20
	s_cselect_b32 s17, s29, s21
	s_and_b32 s41, s14, 0xffff
	s_mov_b32 s42, s30
	s_mov_b32 s43, s31
	v_lshlrev_b32_e32 v2, 5, v0
	s_and_b32 s29, s17, 0xffff
	buffer_load_dwordx4 v[80:83], v2, s[40:43], 0 offen
	buffer_load_dwordx4 v[84:87], v2, s[40:43], 16 offen
	;; [unrolled: 1-line block ×4, first 2 shown]
.LBB913_3:
	s_or_b64 exec, exec, s[2:3]
	s_load_dwordx2 s[34:35], s[4:5], 0x80
	s_and_b64 vcc, exec, s[10:11]
	s_cbranch_vccz .LBB913_7
; %bb.4:
	v_mov_b32_e32 v89, 0
	v_mov_b32_e32 v88, 0
	;; [unrolled: 1-line block ×16, first 2 shown]
	s_and_saveexec_b64 s[2:3], s[0:1]
	s_cbranch_execz .LBB913_6
; %bb.5:
	s_waitcnt vmcnt(3)
	v_cvt_f32_f16_sdwa v49, v80 dst_sel:DWORD dst_unused:UNUSED_PAD src0_sel:WORD_1
	v_cvt_f32_f16_e32 v48, v80
	v_cvt_f32_f16_sdwa v35, v81 dst_sel:DWORD dst_unused:UNUSED_PAD src0_sel:WORD_1
	v_cvt_f32_f16_e32 v34, v81
	;; [unrolled: 2-line block ×4, first 2 shown]
	s_waitcnt vmcnt(2)
	v_cvt_f32_f16_sdwa v65, v84 dst_sel:DWORD dst_unused:UNUSED_PAD src0_sel:WORD_1
	v_cvt_f32_f16_e32 v64, v84
	v_cvt_f32_f16_sdwa v19, v85 dst_sel:DWORD dst_unused:UNUSED_PAD src0_sel:WORD_1
	v_cvt_f32_f16_e32 v18, v85
	;; [unrolled: 2-line block ×4, first 2 shown]
.LBB913_6:
	s_or_b64 exec, exec, s[2:3]
	s_cbranch_execz .LBB913_8
	s_branch .LBB913_11
.LBB913_7:
                                        ; implicit-def: $vgpr32_vgpr33_vgpr34_vgpr35_vgpr36_vgpr37_vgpr38_vgpr39_vgpr40_vgpr41_vgpr42_vgpr43_vgpr44_vgpr45_vgpr46_vgpr47
                                        ; implicit-def: $vgpr48_vgpr49_vgpr50_vgpr51_vgpr52_vgpr53_vgpr54_vgpr55_vgpr56_vgpr57_vgpr58_vgpr59_vgpr60_vgpr61_vgpr62_vgpr63
                                        ; implicit-def: $vgpr18_vgpr19_vgpr20_vgpr21_vgpr22_vgpr23_vgpr24_vgpr25_vgpr26_vgpr27_vgpr28_vgpr29_vgpr30_vgpr31_vgpr32_vgpr33
                                        ; implicit-def: $vgpr50_vgpr51_vgpr52_vgpr53_vgpr54_vgpr55_vgpr56_vgpr57_vgpr58_vgpr59_vgpr60_vgpr61_vgpr62_vgpr63_vgpr64_vgpr65
                                        ; implicit-def: $vgpr89
                                        ; implicit-def: $vgpr8_vgpr9_vgpr10_vgpr11_vgpr12_vgpr13_vgpr14_vgpr15_vgpr16_vgpr17_vgpr18_vgpr19_vgpr20_vgpr21_vgpr22_vgpr23
                                        ; implicit-def: $vgpr56_vgpr57_vgpr58_vgpr59_vgpr60_vgpr61_vgpr62_vgpr63_vgpr64_vgpr65_vgpr66_vgpr67_vgpr68_vgpr69_vgpr70_vgpr71
                                        ; implicit-def: $vgpr2_vgpr3_vgpr4_vgpr5_vgpr6_vgpr7_vgpr8_vgpr9_vgpr10_vgpr11_vgpr12_vgpr13_vgpr14_vgpr15_vgpr16_vgpr17
.LBB913_8:
	v_mov_b32_e32 v89, 0
	v_mov_b32_e32 v88, 0
	;; [unrolled: 1-line block ×16, first 2 shown]
	s_and_saveexec_b64 s[2:3], s[0:1]
	s_cbranch_execz .LBB913_10
; %bb.9:
	s_load_dwordx2 s[22:23], s[4:5], 0x38
	s_mul_hi_i32 s29, s19, s6
	s_mul_i32 s28, s19, s6
	s_lshl_b64 s[28:29], s[28:29], 1
	s_mov_b32 s31, 0x20000
	s_waitcnt lgkmcnt(0)
	s_add_u32 s28, s22, s28
	s_addc_u32 s14, s23, s29
	s_and_b32 s29, s14, 0xffff
	v_lshlrev_b32_e32 v38, 5, v0
	buffer_load_dwordx4 v[6:9], v38, s[28:31], 16 offen
	buffer_load_dwordx4 v[10:13], v38, s[28:31], 0 offen
	s_waitcnt vmcnt(5)
	v_cvt_f32_f16_sdwa v23, v82 dst_sel:DWORD dst_unused:UNUSED_PAD src0_sel:WORD_1
	v_cvt_f32_f16_e32 v22, v82
	v_cvt_f32_f16_sdwa v25, v83 dst_sel:DWORD dst_unused:UNUSED_PAD src0_sel:WORD_1
	v_cvt_f32_f16_e32 v24, v83
	v_cvt_f32_f16_sdwa v21, v81 dst_sel:DWORD dst_unused:UNUSED_PAD src0_sel:WORD_1
	v_cvt_f32_f16_e32 v20, v81
	v_cvt_f32_f16_sdwa v19, v80 dst_sel:DWORD dst_unused:UNUSED_PAD src0_sel:WORD_1
	v_cvt_f32_f16_e32 v18, v80
	s_load_dwordx2 s[22:23], s[4:5], 0x20
	s_waitcnt vmcnt(4)
	v_cvt_f32_f16_sdwa v3, v84 dst_sel:DWORD dst_unused:UNUSED_PAD src0_sel:WORD_1
	v_cvt_f32_f16_e32 v2, v84
	v_cvt_f32_f16_sdwa v5, v85 dst_sel:DWORD dst_unused:UNUSED_PAD src0_sel:WORD_1
	v_cvt_f32_f16_e32 v4, v85
	;; [unrolled: 2-line block ×4, first 2 shown]
	s_mul_hi_i32 s29, s35, s6
	s_mul_i32 s28, s35, s6
	s_lshl_b64 s[28:29], s[28:29], 1
	s_waitcnt lgkmcnt(0)
	s_add_u32 s28, s22, s28
	s_addc_u32 s14, s23, s29
	s_and_b32 s29, s14, 0xffff
	s_waitcnt vmcnt(1)
	v_cvt_f32_f16_e32 v26, v6
	v_cvt_f32_f16_sdwa v27, v6 dst_sel:DWORD dst_unused:UNUSED_PAD src0_sel:WORD_1
	v_cvt_f32_f16_e32 v28, v7
	v_cvt_f32_f16_sdwa v29, v7 dst_sel:DWORD dst_unused:UNUSED_PAD src0_sel:WORD_1
	v_cvt_f32_f16_e32 v30, v8
	v_cvt_f32_f16_sdwa v31, v8 dst_sel:DWORD dst_unused:UNUSED_PAD src0_sel:WORD_1
	v_cvt_f32_f16_e32 v32, v9
	v_cvt_f32_f16_sdwa v33, v9 dst_sel:DWORD dst_unused:UNUSED_PAD src0_sel:WORD_1
	s_waitcnt vmcnt(0)
	v_cvt_f32_f16_e32 v6, v12
	v_cvt_f32_f16_sdwa v7, v12 dst_sel:DWORD dst_unused:UNUSED_PAD src0_sel:WORD_1
	v_cvt_f32_f16_e32 v8, v13
	v_cvt_f32_f16_sdwa v9, v13 dst_sel:DWORD dst_unused:UNUSED_PAD src0_sel:WORD_1
	;; [unrolled: 2-line block ×4, first 2 shown]
	v_pk_add_f32 v[54:55], v[22:23], v[6:7]
	v_pk_add_f32 v[24:25], v[24:25], v[8:9]
	v_cvt_f16_f32_e32 v6, v55
	v_cvt_f16_f32_e32 v7, v25
	;; [unrolled: 1-line block ×4, first 2 shown]
	v_pk_add_f32 v[34:35], v[20:21], v[10:11]
	v_pk_add_f32 v[48:49], v[18:19], v[36:37]
	v_pack_b32_f16 v9, v8, v7
	v_pack_b32_f16 v8, v12, v6
	v_cvt_f16_f32_e32 v6, v35
	v_cvt_f16_f32_e32 v7, v34
	;; [unrolled: 1-line block ×3, first 2 shown]
	v_pk_add_f32 v[88:89], v[16:17], v[32:33]
	v_pk_add_f32 v[14:15], v[14:15], v[30:31]
	v_pack_b32_f16 v7, v7, v6
	v_cvt_f16_f32_e32 v6, v49
	v_pk_add_f32 v[18:19], v[4:5], v[28:29]
	v_pk_add_f32 v[64:65], v[2:3], v[26:27]
	v_cvt_f16_f32_e32 v4, v18
	v_pack_b32_f16 v6, v10, v6
	buffer_store_dwordx4 v[6:9], v38, s[28:31], 0 offen
	v_cvt_f16_f32_e32 v5, v19
	v_cvt_f16_f32_e32 v6, v14
	v_cvt_f16_f32_e32 v7, v88
	v_cvt_f16_f32_e32 v8, v89
	v_cvt_f16_f32_e32 v9, v15
	v_cvt_f16_f32_e32 v2, v64
	v_cvt_f16_f32_e32 v3, v65
	v_pack_b32_f16 v7, v7, v8
	v_pack_b32_f16 v6, v6, v9
	;; [unrolled: 1-line block ×4, first 2 shown]
	;;#ASMSTART
	s_nop 0
	;;#ASMEND
	buffer_store_dwordx4 v[4:7], v38, s[28:31], 16 offen
	;;#ASMSTART
	s_nop 0
	;;#ASMEND
.LBB913_10:
	s_or_b64 exec, exec, s[2:3]
.LBB913_11:
	v_mul_f32_e32 v2, v49, v49
	v_fmac_f32_e32 v2, v48, v48
	v_fmac_f32_e32 v2, v34, v34
	;; [unrolled: 1-line block ×15, first 2 shown]
	s_nop 1
	v_mov_b32_dpp v3, v2 quad_perm:[1,0,3,2] row_mask:0xf bank_mask:0xf
	v_add_f32_e32 v2, v2, v3
	s_nop 1
	v_mov_b32_dpp v3, v2 quad_perm:[2,3,0,1] row_mask:0xf bank_mask:0xf
	v_add_f32_e32 v2, v2, v3
	s_nop 1
	v_mov_b32_dpp v3, v2 row_half_mirror row_mask:0xf bank_mask:0xf
	v_add_f32_e32 v2, v2, v3
	s_nop 1
	v_mov_b32_dpp v3, v2 row_mirror row_mask:0xf bank_mask:0xf
	v_add_f32_e32 v2, v2, v3
	s_nop 1
	v_mov_b32_dpp v3, v2 row_bcast:15 row_mask:0xf bank_mask:0xf
	v_add_f32_e32 v2, v2, v3
	v_and_b32_e32 v3, 63, v0
	v_cmp_eq_u32_e64 s[2:3], 63, v3
	s_nop 0
	v_mov_b32_dpp v3, v2 row_bcast:31 row_mask:0xf bank_mask:0xf
	s_and_saveexec_b64 s[22:23], s[2:3]
	s_cbranch_execz .LBB913_13
; %bb.12:
	v_add_f32_e32 v2, v2, v3
	v_lshrrev_b32_e32 v3, 4, v0
	v_and_b32_e32 v3, 60, v3
	ds_write_b32 v3, v2 offset:32
.LBB913_13:
	s_or_b64 exec, exec, s[22:23]
	v_and_b32_e32 v2, 7, v0
	v_lshlrev_b32_e32 v36, 2, v2
	s_waitcnt lgkmcnt(0)
	s_barrier
	ds_read_b32 v3, v36 offset:32
	s_load_dwordx2 s[38:39], s[4:5], 0x18
	s_waitcnt lgkmcnt(0)
	v_mov_b32_dpp v4, v3 quad_perm:[1,0,3,2] row_mask:0xf bank_mask:0xf
	v_add_f32_e32 v3, v3, v4
	s_nop 1
	v_mov_b32_dpp v4, v3 quad_perm:[2,3,0,1] row_mask:0xf bank_mask:0xf
	v_add_f32_e32 v3, v3, v4
	s_nop 1
	v_mov_b32_dpp v4, v3 row_half_mirror row_mask:0xf bank_mask:0xf
	s_and_saveexec_b64 s[22:23], s[0:1]
	s_cbranch_execnz .LBB913_18
; %bb.14:
	s_or_b64 exec, exec, s[22:23]
	s_mov_b64 s[8:9], -1
	s_and_b64 vcc, exec, s[10:11]
	s_cbranch_vccnz .LBB913_19
.LBB913_15:
	s_andn2_b64 vcc, exec, s[8:9]
	s_cbranch_vccz .LBB913_22
.LBB913_16:
	s_cmp_lt_i32 s16, 1
	s_cbranch_scc0 .LBB913_29
.LBB913_17:
	s_endpgm
.LBB913_18:
	v_add_f32_e32 v3, v3, v4
	v_cvt_f32_u32_e32 v4, s7
	s_mov_b32 s7, 0x800000
	s_waitcnt vmcnt(1)
	v_cvt_f32_f16_sdwa v21, v76 dst_sel:DWORD dst_unused:UNUSED_PAD src0_sel:WORD_1
	v_cvt_f32_f16_e32 v20, v76
	v_div_scale_f32 v5, s[28:29], v4, v4, v3
	v_rcp_f32_e32 v6, v5
	v_pk_add_f32 v[20:21], v[20:21], 1.0 op_sel_hi:[1,0]
	v_cvt_f32_f16_sdwa v23, v79 dst_sel:DWORD dst_unused:UNUSED_PAD src0_sel:WORD_1
	v_cvt_f32_f16_e32 v22, v79
	v_fma_f32 v7, -v5, v6, 1.0
	v_fmac_f32_e32 v6, v7, v6
	v_div_scale_f32 v7, vcc, v3, v4, v3
	v_mul_f32_e32 v8, v7, v6
	v_fma_f32 v9, -v5, v8, v7
	v_fmac_f32_e32 v8, v9, v6
	v_fma_f32 v5, -v5, v8, v7
	v_div_fmas_f32 v5, v5, v6, v8
	v_div_fixup_f32 v3, v5, v4, v3
	v_mov_b32_e32 v4, s13
	v_mov_b32_e32 v5, s12
	v_cndmask_b32_e64 v4, v4, v5, s[8:9]
	v_add_f32_e32 v3, v4, v3
	v_mul_f32_e32 v4, 0x4b800000, v3
	v_cmp_gt_f32_e32 vcc, s7, v3
	v_cndmask_b32_e32 v3, v3, v4, vcc
	v_rsq_f32_e32 v3, v3
	s_waitcnt vmcnt(0)
	v_cvt_f32_f16_sdwa v27, v75 dst_sel:DWORD dst_unused:UNUSED_PAD src0_sel:WORD_1
	v_cvt_f32_f16_e32 v26, v75
	v_mul_f32_e32 v4, 0x45800000, v3
	v_cndmask_b32_e32 v4, v3, v4, vcc
	v_mov_b32_e32 v5, v4
	;;#ASMSTART
	v_pk_mul_f32 v[6:7], v[48:49], v[4:5]
	;;#ASMEND
	;;#ASMSTART
	v_pk_mul_f32 v[8:9], v[34:35], v[4:5]
	;;#ASMEND
	;; [unrolled: 3-line block ×9, first 2 shown]
	v_cvt_f32_f16_sdwa v7, v77 dst_sel:DWORD dst_unused:UNUSED_PAD src0_sel:WORD_1
	v_cvt_f32_f16_e32 v6, v77
	v_cvt_f32_f16_sdwa v21, v78 dst_sel:DWORD dst_unused:UNUSED_PAD src0_sel:WORD_1
	v_cvt_f32_f16_e32 v20, v78
	v_cvt_f32_f16_sdwa v25, v74 dst_sel:DWORD dst_unused:UNUSED_PAD src0_sel:WORD_1
	v_pk_add_f32 v[6:7], v[6:7], 1.0 op_sel_hi:[1,0]
	;;#ASMSTART
	v_pk_mul_f32 v[34:35], v[8:9], v[6:7]
	;;#ASMEND
	v_pk_add_f32 v[6:7], v[20:21], 1.0 op_sel_hi:[1,0]
	v_pk_add_f32 v[8:9], v[22:23], 1.0 op_sel_hi:[1,0]
	v_cvt_f32_f16_sdwa v21, v72 dst_sel:DWORD dst_unused:UNUSED_PAD src0_sel:WORD_1
	v_cvt_f32_f16_e32 v20, v72
	v_cvt_f32_f16_sdwa v23, v73 dst_sel:DWORD dst_unused:UNUSED_PAD src0_sel:WORD_1
	v_cvt_f32_f16_e32 v22, v73
	v_cvt_f32_f16_e32 v24, v74
	v_pk_add_f32 v[20:21], v[20:21], 1.0 op_sel_hi:[1,0]
	v_pk_add_f32 v[26:27], v[26:27], 1.0 op_sel_hi:[1,0]
	;; [unrolled: 1-line block ×4, first 2 shown]
	;;#ASMSTART
	v_pk_mul_f32 v[54:55], v[10:11], v[6:7]
	;;#ASMEND
	;;#ASMSTART
	v_pk_mul_f32 v[24:25], v[12:13], v[8:9]
	;;#ASMEND
	;; [unrolled: 3-line block ×6, first 2 shown]
	s_or_b64 exec, exec, s[22:23]
	s_mov_b64 s[8:9], -1
	s_and_b64 vcc, exec, s[10:11]
	s_cbranch_vccz .LBB913_15
.LBB913_19:
	s_and_saveexec_b64 s[8:9], s[0:1]
	s_cbranch_execz .LBB913_21
; %bb.20:
	v_cvt_f16_f32_e32 v3, v54
	v_cvt_f16_f32_e32 v4, v24
	;; [unrolled: 1-line block ×4, first 2 shown]
	s_mul_hi_i32 s11, s34, s6
	s_mul_i32 s10, s34, s6
	v_pack_b32_f16 v7, v4, v5
	v_pack_b32_f16 v6, v3, v6
	v_cvt_f16_f32_e32 v3, v34
	v_cvt_f16_f32_e32 v4, v35
	s_lshl_b64 s[10:11], s[10:11], 1
	s_add_u32 s28, s38, s10
	s_addc_u32 s7, s39, s11
	v_pack_b32_f16 v5, v3, v4
	v_cvt_f16_f32_e32 v3, v48
	v_cvt_f16_f32_e32 v4, v49
	s_and_b32 s29, s7, 0xffff
	s_mov_b32 s31, 0x20000
	v_cvt_f16_f32_e32 v8, v15
	v_pack_b32_f16 v4, v3, v4
	v_lshlrev_b32_e32 v3, 5, v0
	buffer_store_dwordx4 v[4:7], v3, s[28:31], 0 offen
	;;#ASMSTART
	s_nop 0
	;;#ASMEND
	s_nop 0
	v_cvt_f16_f32_e32 v4, v14
	v_cvt_f16_f32_e32 v5, v88
	v_cvt_f16_f32_e32 v6, v89
	v_pack_b32_f16 v7, v5, v6
	v_pack_b32_f16 v6, v4, v8
	v_cvt_f16_f32_e32 v4, v18
	v_cvt_f16_f32_e32 v5, v19
	v_cvt_f16_f32_e32 v8, v65
	v_pack_b32_f16 v5, v4, v5
	v_cvt_f16_f32_e32 v4, v64
	v_pack_b32_f16 v4, v4, v8
	buffer_store_dwordx4 v[4:7], v3, s[28:31], 16 offen
	;;#ASMSTART
	s_nop 0
	;;#ASMEND
.LBB913_21:
	s_or_b64 exec, exec, s[8:9]
	s_cbranch_execnz .LBB913_16
.LBB913_22:
	v_mov_b32_e32 v3, 0
	s_and_saveexec_b64 s[8:9], s[0:1]
	s_cbranch_execz .LBB913_24
; %bb.23:
	v_and_b32_e32 v3, 0x7fffffff, v48
	v_and_b32_e32 v4, 0x7fffffff, v49
	v_mov_b32_e32 v5, 0x2edbe6ff
	;;#ASMSTART
	v_max3_f32 v3, v5, v3, v4

	;;#ASMEND
	v_and_b32_e32 v4, 0x7fffffff, v34
	v_and_b32_e32 v5, 0x7fffffff, v35
	;;#ASMSTART
	v_max3_f32 v3, v3, v4, v5

	;;#ASMEND
	v_and_b32_e32 v4, 0x7fffffff, v54
	v_and_b32_e32 v5, 0x7fffffff, v55
	;; [unrolled: 6-line block ×7, first 2 shown]
	;;#ASMSTART
	v_max3_f32 v3, v3, v4, v5

	;;#ASMEND
.LBB913_24:
	s_or_b64 exec, exec, s[8:9]
	;;#ASMSTART
	v_max_f32 v4, v3, v3 quad_perm:[1,0,3,2] row_mask:0xf bank_mask:0xf bound_ctrl:1
	;;#ASMEND
	;;#ASMSTART
	v_max_f32 v3, v4, v4 quad_perm:[2,3,0,1] row_mask:0xf bank_mask:0xf bound_ctrl:1
	;;#ASMEND
	v_cmp_eq_u32_e32 vcc, 0, v2
	v_cmp_gt_i32_e64 s[8:9], s15, v1
	;;#ASMSTART
	v_max_f32 v4, v3, v3 row_half_mirror row_mask:0xf bank_mask:0xf bound_ctrl:1
	;;#ASMEND
	v_mul_f32_e32 v3, 0x3b124925, v4
	s_and_b64 s[10:11], vcc, s[8:9]
	s_and_saveexec_b64 s[8:9], s[10:11]
	s_cbranch_execz .LBB913_26
; %bb.25:
	s_load_dwordx2 s[10:11], s[4:5], 0x8
	s_mul_hi_i32 s23, s25, s6
	s_mul_i32 s22, s25, s6
	v_lshrrev_b32_e32 v2, 3, v0
	s_lshl_b64 s[22:23], s[22:23], 2
	v_mad_i64_i32 v[4:5], s[26:27], s26, v2, 0
	s_waitcnt lgkmcnt(0)
	s_add_u32 s7, s10, s22
	s_addc_u32 s10, s11, s23
	v_lshlrev_b64 v[4:5], 2, v[4:5]
	v_mov_b32_e32 v2, s10
	v_add_co_u32_e32 v4, vcc, s7, v4
	v_addc_co_u32_e32 v5, vcc, v2, v5, vcc
	global_store_dword v[4:5], v3, off
.LBB913_26:
	s_or_b64 exec, exec, s[8:9]
	;;#ASMSTART
	v_rcp_f32 v2, v3
	;;#ASMEND
	s_and_saveexec_b64 s[22:23], s[0:1]
	s_cbranch_execz .LBB913_28
; %bb.27:
	v_mov_b32_e32 v3, v2
	;;#ASMSTART
	v_pk_mul_f32 v[4:5], v[48:49], v[2:3]
	;;#ASMEND
	v_mov_b32_e32 v10, 0xc3e00000
	v_mov_b32_e32 v11, 0x43e00000
	;;#ASMSTART
	v_med3_f32 v4, v4, v10, v11
v_med3_f32 v5, v5, v10, v11
v_cvt_pk_fp8_f32 v6, v4, v5
	;;#ASMEND
	;;#ASMSTART
	v_pk_mul_f32 v[4:5], v[34:35], v[2:3]
	;;#ASMEND
	;;#ASMSTART
	v_med3_f32 v4, v4, v10, v11
v_med3_f32 v5, v5, v10, v11
v_cvt_pk_fp8_f32 v7, v4, v5
	;;#ASMEND
	;;#ASMSTART
	v_pk_mul_f32 v[4:5], v[54:55], v[2:3]
	;;#ASMEND
	;;#ASMSTART
	v_med3_f32 v4, v4, v10, v11
v_med3_f32 v5, v5, v10, v11
v_cvt_pk_fp8_f32 v8, v4, v5
	;;#ASMEND
	;;#ASMSTART
	v_pk_mul_f32 v[4:5], v[24:25], v[2:3]
	;;#ASMEND
	;;#ASMSTART
	v_med3_f32 v4, v4, v10, v11
v_med3_f32 v5, v5, v10, v11
v_cvt_pk_fp8_f32 v9, v4, v5
	;;#ASMEND
	s_mov_b32 s0, 0x5040100
	v_perm_b32 v4, v7, v6, s0
	s_mov_b32 s0, 0x1060504
	v_perm_b32 v4, v4, v7, s0
	s_load_dwordx2 s[0:1], s[4:5], 0x0
	s_mov_b32 s7, 0x1000504
	;;#ASMSTART
	v_pk_mul_f32 v[6:7], v[64:65], v[2:3]
	;;#ASMEND
	v_perm_b32 v5, v8, v9, s7
	s_mul_i32 s8, s24, s6
	;;#ASMSTART
	v_med3_f32 v6, v6, v10, v11
v_med3_f32 v7, v7, v10, v11
v_cvt_pk_fp8_f32 v8, v6, v7
	;;#ASMEND
	s_mul_hi_i32 s9, s24, s6
	s_waitcnt lgkmcnt(0)
	s_add_u32 s8, s0, s8
	;;#ASMSTART
	v_pk_mul_f32 v[6:7], v[18:19], v[2:3]
	;;#ASMEND
	s_addc_u32 s0, s1, s9
	s_add_i32 s1, s15, 3
	;;#ASMSTART
	v_med3_f32 v6, v6, v10, v11
v_med3_f32 v7, v7, v10, v11
v_cvt_pk_fp8_f32 v9, v6, v7
	;;#ASMEND
	s_ashr_i32 s9, s1, 31
	v_perm_b32 v6, v8, v9, s7
	;;#ASMSTART
	v_pk_mul_f32 v[8:9], v[14:15], v[2:3]
	;;#ASMEND
	v_mov_b32_e32 v7, v9
	s_lshr_b32 s9, s9, 30
	;;#ASMSTART
	v_med3_f32 v8, v8, v10, v11
v_med3_f32 v7, v7, v10, v11
v_cvt_pk_fp8_f32 v9, v8, v7
	;;#ASMEND
	;;#ASMSTART
	v_pk_mul_f32 v[2:3], v[88:89], v[2:3]
	;;#ASMEND
	s_add_i32 s1, s1, s9
	;;#ASMSTART
	v_med3_f32 v2, v2, v10, v11
v_med3_f32 v3, v3, v10, v11
v_cvt_pk_fp8_f32 v7, v2, v3
	;;#ASMEND
	s_and_b32 s10, s1, -4
	s_and_b32 s9, s0, 0xffff
	s_mov_b32 s11, 0x20000
	v_perm_b32 v7, v9, v7, s7
	buffer_store_dwordx4 v[4:7], v1, s[8:11], 0 offen
	;;#ASMSTART
	s_nop 0
	;;#ASMEND
.LBB913_28:
	s_or_b64 exec, exec, s[22:23]
	s_cmp_lt_i32 s16, 1
	s_cbranch_scc1 .LBB913_17
.LBB913_29:
	s_load_dword s0, s[4:5], 0x94
	s_waitcnt lgkmcnt(0)
	s_cmp_lg_u32 s0, 1
	s_cbranch_scc1 .LBB913_17
; %bb.30:
	s_lshl_b32 s0, s16, 1
	s_add_i32 s0, s0, 2
	v_cmp_gt_u32_e32 vcc, s16, v1
	s_and_b32 s22, s0, -4
	v_mov_b32_e32 v18, 0
	v_lshlrev_b32_e32 v1, 5, v0
	v_mov_b32_e32 v14, 0
	v_mov_b32_e32 v15, 0
	v_mov_b32_e32 v16, 0
	v_mov_b32_e32 v17, 0
	v_mov_b32_e32 v10, 0
	v_mov_b32_e32 v11, 0
	v_mov_b32_e32 v12, 0
	v_mov_b32_e32 v13, 0
	v_mov_b32_e32 v6, 0
	v_mov_b32_e32 v7, 0
	v_mov_b32_e32 v8, 0
	v_mov_b32_e32 v9, 0
	v_mov_b32_e32 v2, 0
	v_mov_b32_e32 v3, 0
	v_mov_b32_e32 v4, 0
	v_mov_b32_e32 v5, 0
	s_barrier
	s_and_saveexec_b64 s[0:1], vcc
	s_cbranch_execz .LBB913_32
; %bb.31:
	s_mul_hi_i32 s5, s18, s6
	s_mul_i32 s4, s18, s6
	s_and_b32 s21, s21, 0xffff
	s_lshl_b64 s[4:5], s[4:5], 1
	s_add_u32 s8, s36, s4
	s_mov_b32 s23, 0x20000
	s_addc_u32 s4, s37, s5
	s_and_b32 s9, s4, 0xffff
	s_mov_b32 s10, s22
	s_mov_b32 s11, s23
	buffer_load_dwordx4 v[14:17], v1, s[8:11], 0 offen
	buffer_load_dwordx4 v[10:13], v1, s[8:11], 16 offen
	;; [unrolled: 1-line block ×4, first 2 shown]
.LBB913_32:
	s_or_b64 exec, exec, s[0:1]
	v_mov_b32_e32 v19, 0
	v_mov_b32_e32 v32, 0
	;; [unrolled: 1-line block ×15, first 2 shown]
	s_and_saveexec_b64 s[0:1], vcc
	s_cbranch_execz .LBB913_34
; %bb.33:
	s_waitcnt vmcnt(3)
	v_cvt_f32_f16_sdwa v19, v14 dst_sel:DWORD dst_unused:UNUSED_PAD src0_sel:WORD_1
	v_cvt_f32_f16_e32 v18, v14
	v_cvt_f32_f16_sdwa v33, v15 dst_sel:DWORD dst_unused:UNUSED_PAD src0_sel:WORD_1
	v_cvt_f32_f16_e32 v32, v15
	;; [unrolled: 2-line block ×4, first 2 shown]
	s_waitcnt vmcnt(2)
	v_cvt_f32_f16_sdwa v27, v10 dst_sel:DWORD dst_unused:UNUSED_PAD src0_sel:WORD_1
	v_cvt_f32_f16_e32 v26, v10
	v_cvt_f32_f16_sdwa v25, v11 dst_sel:DWORD dst_unused:UNUSED_PAD src0_sel:WORD_1
	v_cvt_f32_f16_e32 v24, v11
	;; [unrolled: 2-line block ×4, first 2 shown]
.LBB913_34:
	s_or_b64 exec, exec, s[0:1]
	s_waitcnt vmcnt(2)
	v_mul_f32_e32 v10, v19, v19
	v_fmac_f32_e32 v10, v18, v18
	v_fmac_f32_e32 v10, v32, v32
	;; [unrolled: 1-line block ×15, first 2 shown]
	s_nop 1
	v_mov_b32_dpp v11, v10 quad_perm:[1,0,3,2] row_mask:0xf bank_mask:0xf
	v_add_f32_e32 v10, v10, v11
	s_nop 1
	v_mov_b32_dpp v11, v10 quad_perm:[2,3,0,1] row_mask:0xf bank_mask:0xf
	v_add_f32_e32 v10, v10, v11
	s_nop 1
	v_mov_b32_dpp v11, v10 row_half_mirror row_mask:0xf bank_mask:0xf
	v_add_f32_e32 v10, v10, v11
	s_nop 1
	v_mov_b32_dpp v11, v10 row_mirror row_mask:0xf bank_mask:0xf
	v_add_f32_e32 v10, v10, v11
	s_nop 1
	v_mov_b32_dpp v11, v10 row_bcast:15 row_mask:0xf bank_mask:0xf
	v_add_f32_e32 v10, v10, v11
	s_nop 1
	v_mov_b32_dpp v11, v10 row_bcast:31 row_mask:0xf bank_mask:0xf
	s_and_saveexec_b64 s[0:1], s[2:3]
	s_cbranch_execz .LBB913_36
; %bb.35:
	v_lshrrev_b32_e32 v0, 4, v0
	v_add_f32_e32 v10, v10, v11
	v_and_b32_e32 v0, 60, v0
	ds_write_b32 v0, v10
.LBB913_36:
	s_or_b64 exec, exec, s[0:1]
	s_waitcnt lgkmcnt(0)
	s_barrier
	ds_read_b32 v0, v36
	s_waitcnt lgkmcnt(0)
	s_nop 0
	v_mov_b32_dpp v10, v0 quad_perm:[1,0,3,2] row_mask:0xf bank_mask:0xf
	v_add_f32_e32 v0, v0, v10
	s_nop 1
	v_mov_b32_dpp v10, v0 quad_perm:[2,3,0,1] row_mask:0xf bank_mask:0xf
	v_add_f32_e32 v0, v0, v10
	s_nop 1
	v_mov_b32_dpp v10, v0 row_half_mirror row_mask:0xf bank_mask:0xf
	s_and_saveexec_b64 s[0:1], vcc
	s_cbranch_execz .LBB913_17
; %bb.37:
	v_cvt_f32_u32_e32 v11, s16
	v_add_f32_e32 v0, v0, v10
	s_mov_b32 s23, 0x20000
	v_div_scale_f32 v10, s[0:1], v11, v11, v0
	v_rcp_f32_e32 v12, v10
	v_div_scale_f32 v13, vcc, v0, v11, v0
	s_mov_b32 s0, 0x800000
	v_fma_f32 v14, -v10, v12, 1.0
	v_fmac_f32_e32 v12, v14, v12
	v_mul_f32_e32 v14, v13, v12
	v_fma_f32 v15, -v10, v14, v13
	v_fmac_f32_e32 v14, v15, v12
	v_fma_f32 v10, -v10, v14, v13
	v_div_fmas_f32 v10, v10, v12, v14
	v_div_fixup_f32 v0, v10, v11, v0
	v_add_f32_e32 v0, s13, v0
	v_mul_f32_e32 v10, 0x4b800000, v0
	v_cmp_gt_f32_e32 vcc, s0, v0
	v_cndmask_b32_e32 v0, v0, v10, vcc
	v_rsq_f32_e32 v0, v0
	s_mul_hi_i32 s1, s34, s6
	s_mul_i32 s0, s34, s6
	s_lshl_b64 s[0:1], s[0:1], 1
	v_mul_f32_e32 v10, 0x45800000, v0
	v_cndmask_b32_e32 v10, v0, v10, vcc
	v_mov_b32_e32 v11, v10
	;;#ASMSTART
	v_pk_mul_f32 v[12:13], v[18:19], v[10:11]
	;;#ASMEND
	;;#ASMSTART
	v_pk_mul_f32 v[14:15], v[32:33], v[10:11]
	;;#ASMEND
	;; [unrolled: 3-line block ×4, first 2 shown]
	s_waitcnt vmcnt(1)
	v_cvt_f32_f16_sdwa v29, v6 dst_sel:DWORD dst_unused:UNUSED_PAD src0_sel:WORD_1
	v_cvt_f32_f16_e32 v28, v6
	v_cvt_f32_f16_sdwa v31, v7 dst_sel:DWORD dst_unused:UNUSED_PAD src0_sel:WORD_1
	v_cvt_f32_f16_e32 v30, v7
	;;#ASMSTART
	v_pk_mul_f32 v[26:27], v[26:27], v[10:11]
	;;#ASMEND
	;;#ASMSTART
	v_pk_mul_f32 v[24:25], v[24:25], v[10:11]
	;;#ASMEND
	;;#ASMSTART
	v_pk_mul_f32 v[22:23], v[22:23], v[10:11]
	;;#ASMEND
	;;#ASMSTART
	v_pk_mul_f32 v[6:7], v[20:21], v[10:11]
	;;#ASMEND
	v_cvt_f32_f16_sdwa v21, v8 dst_sel:DWORD dst_unused:UNUSED_PAD src0_sel:WORD_1
	v_cvt_f32_f16_e32 v20, v8
	v_pk_add_f32 v[10:11], v[28:29], 1.0 op_sel_hi:[1,0]
	;;#ASMSTART
	v_pk_mul_f32 v[10:11], v[12:13], v[10:11]
	;;#ASMEND
	v_pk_add_f32 v[12:13], v[30:31], 1.0 op_sel_hi:[1,0]
	v_cvt_f32_f16_sdwa v29, v9 dst_sel:DWORD dst_unused:UNUSED_PAD src0_sel:WORD_1
	v_cvt_f32_f16_e32 v28, v9
	;;#ASMSTART
	v_pk_mul_f32 v[8:9], v[14:15], v[12:13]
	;;#ASMEND
	v_pk_add_f32 v[12:13], v[20:21], 1.0 op_sel_hi:[1,0]
	;;#ASMSTART
	v_pk_mul_f32 v[12:13], v[16:17], v[12:13]
	;;#ASMEND
	s_waitcnt vmcnt(0)
	v_cvt_f32_f16_sdwa v17, v2 dst_sel:DWORD dst_unused:UNUSED_PAD src0_sel:WORD_1
	v_cvt_f32_f16_e32 v16, v2
	v_cvt_f32_f16_sdwa v21, v3 dst_sel:DWORD dst_unused:UNUSED_PAD src0_sel:WORD_1
	v_cvt_f32_f16_e32 v20, v3
	v_pk_add_f32 v[14:15], v[28:29], 1.0 op_sel_hi:[1,0]
	;;#ASMSTART
	v_pk_mul_f32 v[2:3], v[18:19], v[14:15]
	;;#ASMEND
	v_cvt_f32_f16_sdwa v19, v4 dst_sel:DWORD dst_unused:UNUSED_PAD src0_sel:WORD_1
	v_cvt_f32_f16_e32 v18, v4
	v_pk_add_f32 v[14:15], v[16:17], 1.0 op_sel_hi:[1,0]
	v_pk_add_f32 v[16:17], v[20:21], 1.0 op_sel_hi:[1,0]
	v_cvt_f32_f16_sdwa v21, v5 dst_sel:DWORD dst_unused:UNUSED_PAD src0_sel:WORD_1
	v_cvt_f32_f16_e32 v20, v5
	v_pk_add_f32 v[4:5], v[18:19], 1.0 op_sel_hi:[1,0]
	;;#ASMSTART
	v_pk_mul_f32 v[14:15], v[26:27], v[14:15]
	;;#ASMEND
	;;#ASMSTART
	v_pk_mul_f32 v[16:17], v[24:25], v[16:17]
	;;#ASMEND
	;;#ASMSTART
	v_pk_mul_f32 v[18:19], v[22:23], v[4:5]
	;;#ASMEND
	v_pk_add_f32 v[4:5], v[20:21], 1.0 op_sel_hi:[1,0]
	;;#ASMSTART
	v_pk_mul_f32 v[6:7], v[6:7], v[4:5]
	;;#ASMEND
	v_cvt_f16_f32_e32 v0, v10
	v_cvt_f16_f32_e32 v4, v11
	;; [unrolled: 1-line block ×8, first 2 shown]
	s_add_u32 s20, s38, s0
	s_addc_u32 s0, s39, s1
	s_and_b32 s21, s0, 0xffff
	v_pack_b32_f16 v2, v0, v4
	v_pack_b32_f16 v3, v5, v8
	;; [unrolled: 1-line block ×4, first 2 shown]
	buffer_store_dwordx4 v[2:5], v1, s[20:23], 0 offen
	v_cvt_f16_f32_e32 v0, v14
	v_cvt_f16_f32_e32 v2, v15
	;; [unrolled: 1-line block ×8, first 2 shown]
	v_pack_b32_f16 v2, v0, v2
	v_pack_b32_f16 v3, v3, v4
	;; [unrolled: 1-line block ×4, first 2 shown]
	;;#ASMSTART
	s_nop 0
	;;#ASMEND
	buffer_store_dwordx4 v[2:5], v1, s[20:23], 16 offen
	;;#ASMSTART
	s_nop 0
	;;#ASMEND
	s_endpgm
	.section	.rodata,"a",@progbits
	.p2align	6, 0x0
	.amdhsa_kernel _ZN5aiter35fused_qk_rmsnorm_group_quant_kernelIDF16_DB8_Li512ELi16ELi8ELb1ELb0ELb1ELb0ELb0ELb0EEEvPT0_PvPT_S6_S6_PKS5_S8_S8_S8_S8_ffiiiiiiiiiiiii
		.amdhsa_group_segment_fixed_size 64
		.amdhsa_private_segment_fixed_size 0
		.amdhsa_kernarg_size 400
		.amdhsa_user_sgpr_count 6
		.amdhsa_user_sgpr_private_segment_buffer 1
		.amdhsa_user_sgpr_dispatch_ptr 0
		.amdhsa_user_sgpr_queue_ptr 0
		.amdhsa_user_sgpr_kernarg_segment_ptr 1
		.amdhsa_user_sgpr_dispatch_id 0
		.amdhsa_user_sgpr_flat_scratch_init 0
		.amdhsa_user_sgpr_kernarg_preload_length 0
		.amdhsa_user_sgpr_kernarg_preload_offset 0
		.amdhsa_user_sgpr_private_segment_size 0
		.amdhsa_uses_dynamic_stack 0
		.amdhsa_system_sgpr_private_segment_wavefront_offset 0
		.amdhsa_system_sgpr_workgroup_id_x 1
		.amdhsa_system_sgpr_workgroup_id_y 1
		.amdhsa_system_sgpr_workgroup_id_z 0
		.amdhsa_system_sgpr_workgroup_info 0
		.amdhsa_system_vgpr_workitem_id 0
		.amdhsa_next_free_vgpr 90
		.amdhsa_next_free_sgpr 44
		.amdhsa_accum_offset 92
		.amdhsa_reserve_vcc 1
		.amdhsa_reserve_flat_scratch 0
		.amdhsa_float_round_mode_32 0
		.amdhsa_float_round_mode_16_64 0
		.amdhsa_float_denorm_mode_32 3
		.amdhsa_float_denorm_mode_16_64 3
		.amdhsa_dx10_clamp 1
		.amdhsa_ieee_mode 1
		.amdhsa_fp16_overflow 0
		.amdhsa_tg_split 0
		.amdhsa_exception_fp_ieee_invalid_op 0
		.amdhsa_exception_fp_denorm_src 0
		.amdhsa_exception_fp_ieee_div_zero 0
		.amdhsa_exception_fp_ieee_overflow 0
		.amdhsa_exception_fp_ieee_underflow 0
		.amdhsa_exception_fp_ieee_inexact 0
		.amdhsa_exception_int_div_zero 0
	.end_amdhsa_kernel
	.section	.text._ZN5aiter35fused_qk_rmsnorm_group_quant_kernelIDF16_DB8_Li512ELi16ELi8ELb1ELb0ELb1ELb0ELb0ELb0EEEvPT0_PvPT_S6_S6_PKS5_S8_S8_S8_S8_ffiiiiiiiiiiiii,"axG",@progbits,_ZN5aiter35fused_qk_rmsnorm_group_quant_kernelIDF16_DB8_Li512ELi16ELi8ELb1ELb0ELb1ELb0ELb0ELb0EEEvPT0_PvPT_S6_S6_PKS5_S8_S8_S8_S8_ffiiiiiiiiiiiii,comdat
.Lfunc_end913:
	.size	_ZN5aiter35fused_qk_rmsnorm_group_quant_kernelIDF16_DB8_Li512ELi16ELi8ELb1ELb0ELb1ELb0ELb0ELb0EEEvPT0_PvPT_S6_S6_PKS5_S8_S8_S8_S8_ffiiiiiiiiiiiii, .Lfunc_end913-_ZN5aiter35fused_qk_rmsnorm_group_quant_kernelIDF16_DB8_Li512ELi16ELi8ELb1ELb0ELb1ELb0ELb0ELb0EEEvPT0_PvPT_S6_S6_PKS5_S8_S8_S8_S8_ffiiiiiiiiiiiii
                                        ; -- End function
	.section	.AMDGPU.csdata,"",@progbits
; Kernel info:
; codeLenInByte = 4200
; NumSgprs: 48
; NumVgprs: 90
; NumAgprs: 0
; TotalNumVgprs: 90
; ScratchSize: 0
; MemoryBound: 0
; FloatMode: 240
; IeeeMode: 1
; LDSByteSize: 64 bytes/workgroup (compile time only)
; SGPRBlocks: 5
; VGPRBlocks: 11
; NumSGPRsForWavesPerEU: 48
; NumVGPRsForWavesPerEU: 90
; AccumOffset: 92
; Occupancy: 5
; WaveLimiterHint : 0
; COMPUTE_PGM_RSRC2:SCRATCH_EN: 0
; COMPUTE_PGM_RSRC2:USER_SGPR: 6
; COMPUTE_PGM_RSRC2:TRAP_HANDLER: 0
; COMPUTE_PGM_RSRC2:TGID_X_EN: 1
; COMPUTE_PGM_RSRC2:TGID_Y_EN: 1
; COMPUTE_PGM_RSRC2:TGID_Z_EN: 0
; COMPUTE_PGM_RSRC2:TIDIG_COMP_CNT: 0
; COMPUTE_PGM_RSRC3_GFX90A:ACCUM_OFFSET: 22
; COMPUTE_PGM_RSRC3_GFX90A:TG_SPLIT: 0
	.section	.text._ZN5aiter35fused_qk_rmsnorm_group_quant_kernelItDB8_Li512ELi16ELi8ELb1ELb0ELb1ELb0ELb0ELb0EEEvPT0_PvPT_S6_S6_PKS5_S8_S8_S8_S8_ffiiiiiiiiiiiii,"axG",@progbits,_ZN5aiter35fused_qk_rmsnorm_group_quant_kernelItDB8_Li512ELi16ELi8ELb1ELb0ELb1ELb0ELb0ELb0EEEvPT0_PvPT_S6_S6_PKS5_S8_S8_S8_S8_ffiiiiiiiiiiiii,comdat
	.protected	_ZN5aiter35fused_qk_rmsnorm_group_quant_kernelItDB8_Li512ELi16ELi8ELb1ELb0ELb1ELb0ELb0ELb0EEEvPT0_PvPT_S6_S6_PKS5_S8_S8_S8_S8_ffiiiiiiiiiiiii ; -- Begin function _ZN5aiter35fused_qk_rmsnorm_group_quant_kernelItDB8_Li512ELi16ELi8ELb1ELb0ELb1ELb0ELb0ELb0EEEvPT0_PvPT_S6_S6_PKS5_S8_S8_S8_S8_ffiiiiiiiiiiiii
	.globl	_ZN5aiter35fused_qk_rmsnorm_group_quant_kernelItDB8_Li512ELi16ELi8ELb1ELb0ELb1ELb0ELb0ELb0EEEvPT0_PvPT_S6_S6_PKS5_S8_S8_S8_S8_ffiiiiiiiiiiiii
	.p2align	8
	.type	_ZN5aiter35fused_qk_rmsnorm_group_quant_kernelItDB8_Li512ELi16ELi8ELb1ELb0ELb1ELb0ELb0ELb0EEEvPT0_PvPT_S6_S6_PKS5_S8_S8_S8_S8_ffiiiiiiiiiiiii,@function
_ZN5aiter35fused_qk_rmsnorm_group_quant_kernelItDB8_Li512ELi16ELi8ELb1ELb0ELb1ELb0ELb0ELb0EEEvPT0_PvPT_S6_S6_PKS5_S8_S8_S8_S8_ffiiiiiiiiiiiii: ; @_ZN5aiter35fused_qk_rmsnorm_group_quant_kernelItDB8_Li512ELi16ELi8ELb1ELb0ELb1ELb0ELb0ELb0EEEvPT0_PvPT_S6_S6_PKS5_S8_S8_S8_S8_ffiiiiiiiiiiiii
; %bb.0:
	s_load_dwordx8 s[12:19], s[4:5], 0x50
	s_waitcnt lgkmcnt(0)
	s_cmp_ge_i32 s6, s14
	s_cbranch_scc1 .LBB914_17
; %bb.1:
	s_cmp_lg_u32 s7, 0
	s_cselect_b64 s[10:11], -1, 0
	s_cmp_eq_u32 s7, 0
	s_cselect_b64 s[8:9], -1, 0
	s_and_b64 s[0:1], s[8:9], exec
	s_load_dwordx2 s[20:21], s[4:5], 0x48
	s_load_dwordx2 s[36:37], s[4:5], 0x30
	s_load_dwordx4 s[24:27], s[4:5], 0x70
	s_cselect_b32 s7, s15, s16
	s_add_i32 s0, s7, 1
	s_lshr_b32 s1, s0, 31
	s_add_i32 s0, s0, s1
	s_lshl_b32 s0, s0, 1
	v_lshlrev_b32_e32 v1, 4, v0
	s_and_b32 s30, s0, -4
	v_cmp_gt_i32_e64 s[0:1], s7, v1
	v_mov_b32_e32 v74, 0
	v_mov_b32_e32 v75, 0
	v_mov_b32_e32 v76, 0
	v_mov_b32_e32 v77, 0
	v_mov_b32_e32 v70, 0
	v_mov_b32_e32 v71, 0
	v_mov_b32_e32 v72, 0
	v_mov_b32_e32 v73, 0
	v_mov_b32_e32 v78, 0
	v_mov_b32_e32 v79, 0
	v_mov_b32_e32 v80, 0
	v_mov_b32_e32 v81, 0
	v_mov_b32_e32 v82, 0
	v_mov_b32_e32 v83, 0
	v_mov_b32_e32 v84, 0
	v_mov_b32_e32 v85, 0
	s_and_saveexec_b64 s[2:3], s[0:1]
	s_cbranch_execz .LBB914_3
; %bb.2:
	s_load_dwordx2 s[22:23], s[4:5], 0x28
	s_load_dwordx2 s[28:29], s[4:5], 0x40
	s_and_b64 s[34:35], s[8:9], exec
	s_cselect_b32 s14, s17, s18
	s_mov_b32 s31, 0x20000
	s_waitcnt lgkmcnt(0)
	s_cselect_b32 s17, s23, s37
	s_cselect_b32 s27, s22, s36
	s_mul_hi_i32 s23, s14, s6
	s_mul_i32 s22, s14, s6
	s_lshl_b64 s[22:23], s[22:23], 1
	s_add_u32 s40, s27, s22
	s_addc_u32 s14, s17, s23
	s_and_b64 s[22:23], s[8:9], exec
	s_cselect_b32 s28, s28, s20
	s_cselect_b32 s17, s29, s21
	s_and_b32 s41, s14, 0xffff
	s_mov_b32 s42, s30
	s_mov_b32 s43, s31
	v_lshlrev_b32_e32 v2, 5, v0
	s_and_b32 s29, s17, 0xffff
	buffer_load_dwordx4 v[78:81], v2, s[40:43], 0 offen
	buffer_load_dwordx4 v[82:85], v2, s[40:43], 16 offen
	;; [unrolled: 1-line block ×4, first 2 shown]
.LBB914_3:
	s_or_b64 exec, exec, s[2:3]
	s_load_dwordx2 s[34:35], s[4:5], 0x80
	s_and_b64 vcc, exec, s[10:11]
	s_cbranch_vccz .LBB914_7
; %bb.4:
	v_mov_b32_e32 v87, 0
	v_mov_b32_e32 v86, 0
	;; [unrolled: 1-line block ×16, first 2 shown]
	s_and_saveexec_b64 s[2:3], s[0:1]
	s_cbranch_execz .LBB914_6
; %bb.5:
	s_waitcnt vmcnt(3)
	v_cvt_f32_u32_sdwa v52, v78 dst_sel:DWORD dst_unused:UNUSED_PAD src0_sel:WORD_0
	v_cvt_f32_u32_sdwa v53, v78 dst_sel:DWORD dst_unused:UNUSED_PAD src0_sel:WORD_1
	v_cvt_f32_u32_sdwa v34, v79 dst_sel:DWORD dst_unused:UNUSED_PAD src0_sel:WORD_0
	v_cvt_f32_u32_sdwa v35, v79 dst_sel:DWORD dst_unused:UNUSED_PAD src0_sel:WORD_1
	;; [unrolled: 2-line block ×4, first 2 shown]
	s_waitcnt vmcnt(2)
	v_cvt_f32_u32_sdwa v44, v82 dst_sel:DWORD dst_unused:UNUSED_PAD src0_sel:WORD_0
	v_cvt_f32_u32_sdwa v45, v82 dst_sel:DWORD dst_unused:UNUSED_PAD src0_sel:WORD_1
	v_cvt_f32_u32_sdwa v18, v83 dst_sel:DWORD dst_unused:UNUSED_PAD src0_sel:WORD_0
	v_cvt_f32_u32_sdwa v19, v83 dst_sel:DWORD dst_unused:UNUSED_PAD src0_sel:WORD_1
	;; [unrolled: 2-line block ×4, first 2 shown]
.LBB914_6:
	s_or_b64 exec, exec, s[2:3]
	s_cbranch_execz .LBB914_8
	s_branch .LBB914_11
.LBB914_7:
                                        ; implicit-def: $vgpr32_vgpr33_vgpr34_vgpr35_vgpr36_vgpr37_vgpr38_vgpr39_vgpr40_vgpr41_vgpr42_vgpr43_vgpr44_vgpr45_vgpr46_vgpr47
                                        ; implicit-def: $vgpr18_vgpr19_vgpr20_vgpr21_vgpr22_vgpr23_vgpr24_vgpr25_vgpr26_vgpr27_vgpr28_vgpr29_vgpr30_vgpr31_vgpr32_vgpr33
                                        ; implicit-def: $vgpr52_vgpr53_vgpr54_vgpr55_vgpr56_vgpr57_vgpr58_vgpr59_vgpr60_vgpr61_vgpr62_vgpr63_vgpr64_vgpr65_vgpr66_vgpr67
                                        ; implicit-def: $vgpr87
                                        ; implicit-def: $vgpr54_vgpr55_vgpr56_vgpr57_vgpr58_vgpr59_vgpr60_vgpr61_vgpr62_vgpr63_vgpr64_vgpr65_vgpr66_vgpr67_vgpr68_vgpr69
                                        ; implicit-def: $vgpr8_vgpr9_vgpr10_vgpr11_vgpr12_vgpr13_vgpr14_vgpr15_vgpr16_vgpr17_vgpr18_vgpr19_vgpr20_vgpr21_vgpr22_vgpr23
                                        ; implicit-def: $vgpr36_vgpr37_vgpr38_vgpr39_vgpr40_vgpr41_vgpr42_vgpr43_vgpr44_vgpr45_vgpr46_vgpr47_vgpr48_vgpr49_vgpr50_vgpr51
                                        ; implicit-def: $vgpr2_vgpr3_vgpr4_vgpr5_vgpr6_vgpr7_vgpr8_vgpr9_vgpr10_vgpr11_vgpr12_vgpr13_vgpr14_vgpr15_vgpr16_vgpr17
.LBB914_8:
	v_mov_b32_e32 v87, 0
	v_mov_b32_e32 v86, 0
	;; [unrolled: 1-line block ×16, first 2 shown]
	s_and_saveexec_b64 s[2:3], s[0:1]
	s_cbranch_execz .LBB914_10
; %bb.9:
	s_load_dwordx2 s[22:23], s[4:5], 0x38
	s_mul_hi_i32 s29, s19, s6
	s_mul_i32 s28, s19, s6
	s_lshl_b64 s[28:29], s[28:29], 1
	s_mov_b32 s31, 0x20000
	s_waitcnt lgkmcnt(0)
	s_add_u32 s28, s22, s28
	s_addc_u32 s14, s23, s29
	s_and_b32 s29, s14, 0xffff
	v_lshlrev_b32_e32 v38, 5, v0
	buffer_load_dwordx4 v[4:7], v38, s[28:31], 16 offen
	buffer_load_dwordx4 v[8:11], v38, s[28:31], 0 offen
	s_load_dwordx2 s[22:23], s[4:5], 0x20
	s_waitcnt vmcnt(5)
	v_cvt_f32_u32_sdwa v19, v78 dst_sel:DWORD dst_unused:UNUSED_PAD src0_sel:WORD_1
	v_cvt_f32_u32_sdwa v18, v78 dst_sel:DWORD dst_unused:UNUSED_PAD src0_sel:WORD_0
	v_cvt_f32_u32_sdwa v21, v79 dst_sel:DWORD dst_unused:UNUSED_PAD src0_sel:WORD_1
	v_cvt_f32_u32_sdwa v20, v79 dst_sel:DWORD dst_unused:UNUSED_PAD src0_sel:WORD_0
	;; [unrolled: 2-line block ×4, first 2 shown]
	s_waitcnt vmcnt(4)
	v_cvt_f32_u32_sdwa v3, v82 dst_sel:DWORD dst_unused:UNUSED_PAD src0_sel:WORD_1
	v_cvt_f32_u32_sdwa v2, v82 dst_sel:DWORD dst_unused:UNUSED_PAD src0_sel:WORD_0
	v_cvt_f32_u32_sdwa v13, v83 dst_sel:DWORD dst_unused:UNUSED_PAD src0_sel:WORD_1
	v_cvt_f32_u32_sdwa v12, v83 dst_sel:DWORD dst_unused:UNUSED_PAD src0_sel:WORD_0
	;; [unrolled: 2-line block ×3, first 2 shown]
	v_cvt_f32_u32_sdwa v16, v85 dst_sel:DWORD dst_unused:UNUSED_PAD src0_sel:WORD_0
	v_cvt_f32_u32_sdwa v17, v85 dst_sel:DWORD dst_unused:UNUSED_PAD src0_sel:WORD_1
	s_mul_hi_i32 s29, s35, s6
	s_mul_i32 s28, s35, s6
	s_lshl_b64 s[28:29], s[28:29], 1
	s_waitcnt lgkmcnt(0)
	s_add_u32 s28, s22, s28
	s_mov_b32 s14, 0x7060302
	s_addc_u32 s17, s23, s29
	s_and_b32 s29, s17, 0xffff
	s_waitcnt vmcnt(1)
	v_cvt_f32_u32_sdwa v27, v4 dst_sel:DWORD dst_unused:UNUSED_PAD src0_sel:WORD_1
	v_cvt_f32_u32_sdwa v26, v4 dst_sel:DWORD dst_unused:UNUSED_PAD src0_sel:WORD_0
	v_cvt_f32_u32_sdwa v29, v5 dst_sel:DWORD dst_unused:UNUSED_PAD src0_sel:WORD_1
	v_cvt_f32_u32_sdwa v28, v5 dst_sel:DWORD dst_unused:UNUSED_PAD src0_sel:WORD_0
	;; [unrolled: 2-line block ×3, first 2 shown]
	v_cvt_f32_u32_sdwa v32, v7 dst_sel:DWORD dst_unused:UNUSED_PAD src0_sel:WORD_0
	v_cvt_f32_u32_sdwa v33, v7 dst_sel:DWORD dst_unused:UNUSED_PAD src0_sel:WORD_1
	s_waitcnt vmcnt(0)
	v_cvt_f32_u32_sdwa v37, v8 dst_sel:DWORD dst_unused:UNUSED_PAD src0_sel:WORD_1
	v_cvt_f32_u32_sdwa v36, v8 dst_sel:DWORD dst_unused:UNUSED_PAD src0_sel:WORD_0
	v_cvt_f32_u32_sdwa v5, v10 dst_sel:DWORD dst_unused:UNUSED_PAD src0_sel:WORD_1
	v_cvt_f32_u32_sdwa v4, v10 dst_sel:DWORD dst_unused:UNUSED_PAD src0_sel:WORD_0
	;; [unrolled: 2-line block ×4, first 2 shown]
	v_pk_add_f32 v[58:59], v[22:23], v[4:5]
	v_pk_add_f32 v[24:25], v[24:25], v[6:7]
	v_pk_add_f32 v[52:53], v[18:19], v[36:37]
	v_pk_add_f32 v[34:35], v[20:21], v[10:11]
	v_perm_b32 v7, v25, v24, s14
	v_perm_b32 v6, v59, v58, s14
	v_perm_b32 v5, v35, v34, s14
	v_perm_b32 v4, v53, v52, s14
	v_pk_add_f32 v[86:87], v[16:17], v[32:33]
	v_pk_add_f32 v[14:15], v[14:15], v[30:31]
	;; [unrolled: 1-line block ×4, first 2 shown]
	buffer_store_dwordx4 v[4:7], v38, s[28:31], 0 offen
	;;#ASMSTART
	s_nop 0
	;;#ASMEND
	s_nop 0
	v_perm_b32 v7, v87, v86, s14
	v_perm_b32 v6, v15, v14, s14
	;; [unrolled: 1-line block ×4, first 2 shown]
	buffer_store_dwordx4 v[4:7], v38, s[28:31], 16 offen
	;;#ASMSTART
	s_nop 0
	;;#ASMEND
.LBB914_10:
	s_or_b64 exec, exec, s[2:3]
.LBB914_11:
	v_mul_f32_e32 v2, v53, v53
	v_fmac_f32_e32 v2, v52, v52
	v_fmac_f32_e32 v2, v34, v34
	;; [unrolled: 1-line block ×15, first 2 shown]
	s_nop 1
	v_mov_b32_dpp v3, v2 quad_perm:[1,0,3,2] row_mask:0xf bank_mask:0xf
	v_add_f32_e32 v2, v2, v3
	s_nop 1
	v_mov_b32_dpp v3, v2 quad_perm:[2,3,0,1] row_mask:0xf bank_mask:0xf
	v_add_f32_e32 v2, v2, v3
	s_nop 1
	v_mov_b32_dpp v3, v2 row_half_mirror row_mask:0xf bank_mask:0xf
	v_add_f32_e32 v2, v2, v3
	s_nop 1
	v_mov_b32_dpp v3, v2 row_mirror row_mask:0xf bank_mask:0xf
	v_add_f32_e32 v2, v2, v3
	s_nop 1
	v_mov_b32_dpp v3, v2 row_bcast:15 row_mask:0xf bank_mask:0xf
	v_add_f32_e32 v2, v2, v3
	v_and_b32_e32 v3, 63, v0
	v_cmp_eq_u32_e64 s[2:3], 63, v3
	s_nop 0
	v_mov_b32_dpp v3, v2 row_bcast:31 row_mask:0xf bank_mask:0xf
	s_and_saveexec_b64 s[22:23], s[2:3]
	s_cbranch_execz .LBB914_13
; %bb.12:
	v_add_f32_e32 v2, v2, v3
	v_lshrrev_b32_e32 v3, 4, v0
	v_and_b32_e32 v3, 60, v3
	ds_write_b32 v3, v2 offset:32
.LBB914_13:
	s_or_b64 exec, exec, s[22:23]
	v_and_b32_e32 v2, 7, v0
	v_lshlrev_b32_e32 v36, 2, v2
	s_waitcnt lgkmcnt(0)
	s_barrier
	ds_read_b32 v3, v36 offset:32
	s_load_dwordx2 s[38:39], s[4:5], 0x18
	s_waitcnt lgkmcnt(0)
	v_mov_b32_dpp v4, v3 quad_perm:[1,0,3,2] row_mask:0xf bank_mask:0xf
	v_add_f32_e32 v3, v3, v4
	s_nop 1
	v_mov_b32_dpp v4, v3 quad_perm:[2,3,0,1] row_mask:0xf bank_mask:0xf
	v_add_f32_e32 v3, v3, v4
	s_nop 1
	v_mov_b32_dpp v4, v3 row_half_mirror row_mask:0xf bank_mask:0xf
	s_and_saveexec_b64 s[22:23], s[0:1]
	s_cbranch_execnz .LBB914_18
; %bb.14:
	s_or_b64 exec, exec, s[22:23]
	s_mov_b64 s[8:9], -1
	s_and_b64 vcc, exec, s[10:11]
	s_cbranch_vccnz .LBB914_19
.LBB914_15:
	s_andn2_b64 vcc, exec, s[8:9]
	s_cbranch_vccz .LBB914_22
.LBB914_16:
	s_cmp_lt_i32 s16, 1
	s_cbranch_scc0 .LBB914_29
.LBB914_17:
	s_endpgm
.LBB914_18:
	v_add_f32_e32 v3, v3, v4
	v_cvt_f32_u32_e32 v4, s7
	s_mov_b32 s7, 0x800000
	s_waitcnt vmcnt(1)
	v_cvt_f32_u32_sdwa v21, v74 dst_sel:DWORD dst_unused:UNUSED_PAD src0_sel:WORD_1
	v_cvt_f32_u32_sdwa v20, v74 dst_sel:DWORD dst_unused:UNUSED_PAD src0_sel:WORD_0
	v_div_scale_f32 v5, s[28:29], v4, v4, v3
	v_rcp_f32_e32 v6, v5
	v_pk_add_f32 v[20:21], v[20:21], 1.0 op_sel_hi:[1,0]
	v_cvt_f32_u32_sdwa v23, v77 dst_sel:DWORD dst_unused:UNUSED_PAD src0_sel:WORD_1
	v_cvt_f32_u32_sdwa v22, v77 dst_sel:DWORD dst_unused:UNUSED_PAD src0_sel:WORD_0
	v_fma_f32 v7, -v5, v6, 1.0
	v_fmac_f32_e32 v6, v7, v6
	v_div_scale_f32 v7, vcc, v3, v4, v3
	v_mul_f32_e32 v8, v7, v6
	v_fma_f32 v9, -v5, v8, v7
	v_fmac_f32_e32 v8, v9, v6
	v_fma_f32 v5, -v5, v8, v7
	v_div_fmas_f32 v5, v5, v6, v8
	v_div_fixup_f32 v3, v5, v4, v3
	v_mov_b32_e32 v4, s13
	v_mov_b32_e32 v5, s12
	v_cndmask_b32_e64 v4, v4, v5, s[8:9]
	v_add_f32_e32 v3, v4, v3
	v_mul_f32_e32 v4, 0x4b800000, v3
	v_cmp_gt_f32_e32 vcc, s7, v3
	v_cndmask_b32_e32 v3, v3, v4, vcc
	v_rsq_f32_e32 v3, v3
	s_waitcnt vmcnt(0)
	v_cvt_f32_u32_sdwa v27, v73 dst_sel:DWORD dst_unused:UNUSED_PAD src0_sel:WORD_1
	v_cvt_f32_u32_sdwa v26, v73 dst_sel:DWORD dst_unused:UNUSED_PAD src0_sel:WORD_0
	v_mul_f32_e32 v4, 0x45800000, v3
	v_cndmask_b32_e32 v4, v3, v4, vcc
	v_mov_b32_e32 v5, v4
	;;#ASMSTART
	v_pk_mul_f32 v[6:7], v[52:53], v[4:5]
	;;#ASMEND
	;;#ASMSTART
	v_pk_mul_f32 v[8:9], v[34:35], v[4:5]
	;;#ASMEND
	;;#ASMSTART
	v_pk_mul_f32 v[10:11], v[58:59], v[4:5]
	;;#ASMEND
	;;#ASMSTART
	v_pk_mul_f32 v[12:13], v[24:25], v[4:5]
	;;#ASMEND
	;;#ASMSTART
	v_pk_mul_f32 v[16:17], v[44:45], v[4:5]
	;;#ASMEND
	;;#ASMSTART
	v_pk_mul_f32 v[18:19], v[18:19], v[4:5]
	;;#ASMEND
	;;#ASMSTART
	v_pk_mul_f32 v[14:15], v[14:15], v[4:5]
	;;#ASMEND
	;;#ASMSTART
	v_pk_mul_f32 v[4:5], v[86:87], v[4:5]
	;;#ASMEND
	;;#ASMSTART
	v_pk_mul_f32 v[52:53], v[6:7], v[20:21]
	;;#ASMEND
	v_cvt_f32_u32_sdwa v7, v75 dst_sel:DWORD dst_unused:UNUSED_PAD src0_sel:WORD_1
	v_cvt_f32_u32_sdwa v6, v75 dst_sel:DWORD dst_unused:UNUSED_PAD src0_sel:WORD_0
	v_cvt_f32_u32_sdwa v21, v76 dst_sel:DWORD dst_unused:UNUSED_PAD src0_sel:WORD_1
	v_cvt_f32_u32_sdwa v20, v76 dst_sel:DWORD dst_unused:UNUSED_PAD src0_sel:WORD_0
	v_cvt_f32_u32_sdwa v25, v72 dst_sel:DWORD dst_unused:UNUSED_PAD src0_sel:WORD_1
	v_pk_add_f32 v[6:7], v[6:7], 1.0 op_sel_hi:[1,0]
	;;#ASMSTART
	v_pk_mul_f32 v[34:35], v[8:9], v[6:7]
	;;#ASMEND
	v_pk_add_f32 v[6:7], v[20:21], 1.0 op_sel_hi:[1,0]
	v_pk_add_f32 v[8:9], v[22:23], 1.0 op_sel_hi:[1,0]
	v_cvt_f32_u32_sdwa v21, v70 dst_sel:DWORD dst_unused:UNUSED_PAD src0_sel:WORD_1
	v_cvt_f32_u32_sdwa v20, v70 dst_sel:DWORD dst_unused:UNUSED_PAD src0_sel:WORD_0
	v_cvt_f32_u32_sdwa v23, v71 dst_sel:DWORD dst_unused:UNUSED_PAD src0_sel:WORD_1
	v_cvt_f32_u32_sdwa v22, v71 dst_sel:DWORD dst_unused:UNUSED_PAD src0_sel:WORD_0
	v_cvt_f32_u32_sdwa v24, v72 dst_sel:DWORD dst_unused:UNUSED_PAD src0_sel:WORD_0
	v_pk_add_f32 v[20:21], v[20:21], 1.0 op_sel_hi:[1,0]
	v_pk_add_f32 v[26:27], v[26:27], 1.0 op_sel_hi:[1,0]
	;; [unrolled: 1-line block ×4, first 2 shown]
	;;#ASMSTART
	v_pk_mul_f32 v[58:59], v[10:11], v[6:7]
	;;#ASMEND
	;;#ASMSTART
	v_pk_mul_f32 v[24:25], v[12:13], v[8:9]
	;;#ASMEND
	;;#ASMSTART
	v_pk_mul_f32 v[44:45], v[16:17], v[20:21]
	;;#ASMEND
	;;#ASMSTART
	v_pk_mul_f32 v[18:19], v[18:19], v[22:23]
	;;#ASMEND
	;;#ASMSTART
	v_pk_mul_f32 v[14:15], v[14:15], v[28:29]
	;;#ASMEND
	;;#ASMSTART
	v_pk_mul_f32 v[86:87], v[4:5], v[26:27]
	;;#ASMEND
	s_or_b64 exec, exec, s[22:23]
	s_mov_b64 s[8:9], -1
	s_and_b64 vcc, exec, s[10:11]
	s_cbranch_vccz .LBB914_15
.LBB914_19:
	s_and_saveexec_b64 s[8:9], s[0:1]
	s_cbranch_execz .LBB914_21
; %bb.20:
	s_mul_hi_i32 s11, s34, s6
	s_mul_i32 s10, s34, s6
	s_lshl_b64 s[10:11], s[10:11], 1
	s_add_u32 s28, s38, s10
	s_addc_u32 s7, s39, s11
	s_and_b32 s29, s7, 0xffff
	s_mov_b32 s7, 0x7060302
	s_mov_b32 s31, 0x20000
	v_perm_b32 v7, v25, v24, s7
	v_perm_b32 v6, v59, v58, s7
	;; [unrolled: 1-line block ×4, first 2 shown]
	v_lshlrev_b32_e32 v3, 5, v0
	buffer_store_dwordx4 v[4:7], v3, s[28:31], 0 offen
	;;#ASMSTART
	s_nop 0
	;;#ASMEND
	s_nop 0
	v_perm_b32 v7, v87, v86, s7
	v_perm_b32 v6, v15, v14, s7
	;; [unrolled: 1-line block ×4, first 2 shown]
	buffer_store_dwordx4 v[4:7], v3, s[28:31], 16 offen
	;;#ASMSTART
	s_nop 0
	;;#ASMEND
.LBB914_21:
	s_or_b64 exec, exec, s[8:9]
	s_cbranch_execnz .LBB914_16
.LBB914_22:
	v_mov_b32_e32 v3, 0
	s_and_saveexec_b64 s[8:9], s[0:1]
	s_cbranch_execz .LBB914_24
; %bb.23:
	v_and_b32_e32 v3, 0x7fffffff, v52
	v_and_b32_e32 v4, 0x7fffffff, v53
	v_mov_b32_e32 v5, 0x2edbe6ff
	;;#ASMSTART
	v_max3_f32 v3, v5, v3, v4

	;;#ASMEND
	v_and_b32_e32 v4, 0x7fffffff, v34
	v_and_b32_e32 v5, 0x7fffffff, v35
	;;#ASMSTART
	v_max3_f32 v3, v3, v4, v5

	;;#ASMEND
	v_and_b32_e32 v4, 0x7fffffff, v58
	v_and_b32_e32 v5, 0x7fffffff, v59
	;; [unrolled: 6-line block ×7, first 2 shown]
	;;#ASMSTART
	v_max3_f32 v3, v3, v4, v5

	;;#ASMEND
.LBB914_24:
	s_or_b64 exec, exec, s[8:9]
	;;#ASMSTART
	v_max_f32 v4, v3, v3 quad_perm:[1,0,3,2] row_mask:0xf bank_mask:0xf bound_ctrl:1
	;;#ASMEND
	;;#ASMSTART
	v_max_f32 v3, v4, v4 quad_perm:[2,3,0,1] row_mask:0xf bank_mask:0xf bound_ctrl:1
	;;#ASMEND
	v_cmp_eq_u32_e32 vcc, 0, v2
	v_cmp_gt_i32_e64 s[8:9], s15, v1
	;;#ASMSTART
	v_max_f32 v4, v3, v3 row_half_mirror row_mask:0xf bank_mask:0xf bound_ctrl:1
	;;#ASMEND
	v_mul_f32_e32 v3, 0x3b124925, v4
	s_and_b64 s[10:11], vcc, s[8:9]
	s_and_saveexec_b64 s[8:9], s[10:11]
	s_cbranch_execz .LBB914_26
; %bb.25:
	s_load_dwordx2 s[10:11], s[4:5], 0x8
	s_mul_hi_i32 s23, s25, s6
	s_mul_i32 s22, s25, s6
	v_lshrrev_b32_e32 v2, 3, v0
	s_lshl_b64 s[22:23], s[22:23], 2
	v_mad_i64_i32 v[4:5], s[26:27], s26, v2, 0
	s_waitcnt lgkmcnt(0)
	s_add_u32 s7, s10, s22
	s_addc_u32 s10, s11, s23
	v_lshlrev_b64 v[4:5], 2, v[4:5]
	v_mov_b32_e32 v2, s10
	v_add_co_u32_e32 v4, vcc, s7, v4
	v_addc_co_u32_e32 v5, vcc, v2, v5, vcc
	global_store_dword v[4:5], v3, off
.LBB914_26:
	s_or_b64 exec, exec, s[8:9]
	;;#ASMSTART
	v_rcp_f32 v2, v3
	;;#ASMEND
	s_and_saveexec_b64 s[22:23], s[0:1]
	s_cbranch_execz .LBB914_28
; %bb.27:
	v_mov_b32_e32 v3, v2
	;;#ASMSTART
	v_pk_mul_f32 v[4:5], v[52:53], v[2:3]
	;;#ASMEND
	v_mov_b32_e32 v10, 0xc3e00000
	v_mov_b32_e32 v11, 0x43e00000
	;;#ASMSTART
	v_med3_f32 v4, v4, v10, v11
v_med3_f32 v5, v5, v10, v11
v_cvt_pk_fp8_f32 v6, v4, v5
	;;#ASMEND
	;;#ASMSTART
	v_pk_mul_f32 v[4:5], v[34:35], v[2:3]
	;;#ASMEND
	;;#ASMSTART
	v_med3_f32 v4, v4, v10, v11
v_med3_f32 v5, v5, v10, v11
v_cvt_pk_fp8_f32 v7, v4, v5
	;;#ASMEND
	;;#ASMSTART
	v_pk_mul_f32 v[4:5], v[58:59], v[2:3]
	;;#ASMEND
	;; [unrolled: 8-line block ×3, first 2 shown]
	;;#ASMSTART
	v_med3_f32 v4, v4, v10, v11
v_med3_f32 v5, v5, v10, v11
v_cvt_pk_fp8_f32 v9, v4, v5
	;;#ASMEND
	s_mov_b32 s0, 0x5040100
	v_perm_b32 v4, v7, v6, s0
	s_mov_b32 s0, 0x1060504
	v_perm_b32 v4, v4, v7, s0
	s_load_dwordx2 s[0:1], s[4:5], 0x0
	s_mov_b32 s7, 0x1000504
	;;#ASMSTART
	v_pk_mul_f32 v[6:7], v[44:45], v[2:3]
	;;#ASMEND
	v_perm_b32 v5, v8, v9, s7
	s_mul_i32 s8, s24, s6
	;;#ASMSTART
	v_med3_f32 v6, v6, v10, v11
v_med3_f32 v7, v7, v10, v11
v_cvt_pk_fp8_f32 v8, v6, v7
	;;#ASMEND
	s_mul_hi_i32 s9, s24, s6
	s_waitcnt lgkmcnt(0)
	s_add_u32 s8, s0, s8
	;;#ASMSTART
	v_pk_mul_f32 v[6:7], v[18:19], v[2:3]
	;;#ASMEND
	s_addc_u32 s0, s1, s9
	s_add_i32 s1, s15, 3
	;;#ASMSTART
	v_med3_f32 v6, v6, v10, v11
v_med3_f32 v7, v7, v10, v11
v_cvt_pk_fp8_f32 v9, v6, v7
	;;#ASMEND
	s_ashr_i32 s9, s1, 31
	v_perm_b32 v6, v8, v9, s7
	;;#ASMSTART
	v_pk_mul_f32 v[8:9], v[14:15], v[2:3]
	;;#ASMEND
	v_mov_b32_e32 v7, v9
	s_lshr_b32 s9, s9, 30
	;;#ASMSTART
	v_med3_f32 v8, v8, v10, v11
v_med3_f32 v7, v7, v10, v11
v_cvt_pk_fp8_f32 v9, v8, v7
	;;#ASMEND
	;;#ASMSTART
	v_pk_mul_f32 v[2:3], v[86:87], v[2:3]
	;;#ASMEND
	s_add_i32 s1, s1, s9
	;;#ASMSTART
	v_med3_f32 v2, v2, v10, v11
v_med3_f32 v3, v3, v10, v11
v_cvt_pk_fp8_f32 v7, v2, v3
	;;#ASMEND
	s_and_b32 s10, s1, -4
	s_and_b32 s9, s0, 0xffff
	s_mov_b32 s11, 0x20000
	v_perm_b32 v7, v9, v7, s7
	buffer_store_dwordx4 v[4:7], v1, s[8:11], 0 offen
	;;#ASMSTART
	s_nop 0
	;;#ASMEND
.LBB914_28:
	s_or_b64 exec, exec, s[22:23]
	s_cmp_lt_i32 s16, 1
	s_cbranch_scc1 .LBB914_17
.LBB914_29:
	s_load_dword s0, s[4:5], 0x94
	s_waitcnt lgkmcnt(0)
	s_cmp_lg_u32 s0, 1
	s_cbranch_scc1 .LBB914_17
; %bb.30:
	s_lshl_b32 s0, s16, 1
	s_add_i32 s0, s0, 2
	v_cmp_gt_u32_e32 vcc, s16, v1
	s_and_b32 s22, s0, -4
	v_mov_b32_e32 v18, 0
	v_lshlrev_b32_e32 v1, 5, v0
	v_mov_b32_e32 v14, 0
	v_mov_b32_e32 v15, 0
	;; [unrolled: 1-line block ×16, first 2 shown]
	s_barrier
	s_and_saveexec_b64 s[0:1], vcc
	s_cbranch_execz .LBB914_32
; %bb.31:
	s_mul_hi_i32 s5, s18, s6
	s_mul_i32 s4, s18, s6
	s_and_b32 s21, s21, 0xffff
	s_lshl_b64 s[4:5], s[4:5], 1
	s_add_u32 s8, s36, s4
	s_mov_b32 s23, 0x20000
	s_addc_u32 s4, s37, s5
	s_and_b32 s9, s4, 0xffff
	s_mov_b32 s10, s22
	s_mov_b32 s11, s23
	buffer_load_dwordx4 v[14:17], v1, s[8:11], 0 offen
	buffer_load_dwordx4 v[10:13], v1, s[8:11], 16 offen
	;; [unrolled: 1-line block ×4, first 2 shown]
.LBB914_32:
	s_or_b64 exec, exec, s[0:1]
	v_mov_b32_e32 v19, 0
	v_mov_b32_e32 v32, 0
	;; [unrolled: 1-line block ×15, first 2 shown]
	s_and_saveexec_b64 s[0:1], vcc
	s_cbranch_execz .LBB914_34
; %bb.33:
	s_waitcnt vmcnt(3)
	v_cvt_f32_u32_sdwa v18, v14 dst_sel:DWORD dst_unused:UNUSED_PAD src0_sel:WORD_0
	v_cvt_f32_u32_sdwa v19, v14 dst_sel:DWORD dst_unused:UNUSED_PAD src0_sel:WORD_1
	v_cvt_f32_u32_sdwa v32, v15 dst_sel:DWORD dst_unused:UNUSED_PAD src0_sel:WORD_0
	v_cvt_f32_u32_sdwa v33, v15 dst_sel:DWORD dst_unused:UNUSED_PAD src0_sel:WORD_1
	;; [unrolled: 2-line block ×4, first 2 shown]
	s_waitcnt vmcnt(2)
	v_cvt_f32_u32_sdwa v26, v10 dst_sel:DWORD dst_unused:UNUSED_PAD src0_sel:WORD_0
	v_cvt_f32_u32_sdwa v27, v10 dst_sel:DWORD dst_unused:UNUSED_PAD src0_sel:WORD_1
	v_cvt_f32_u32_sdwa v24, v11 dst_sel:DWORD dst_unused:UNUSED_PAD src0_sel:WORD_0
	v_cvt_f32_u32_sdwa v25, v11 dst_sel:DWORD dst_unused:UNUSED_PAD src0_sel:WORD_1
	;; [unrolled: 2-line block ×4, first 2 shown]
.LBB914_34:
	s_or_b64 exec, exec, s[0:1]
	s_waitcnt vmcnt(2)
	v_mul_f32_e32 v10, v19, v19
	v_fmac_f32_e32 v10, v18, v18
	v_fmac_f32_e32 v10, v32, v32
	;; [unrolled: 1-line block ×15, first 2 shown]
	s_nop 1
	v_mov_b32_dpp v11, v10 quad_perm:[1,0,3,2] row_mask:0xf bank_mask:0xf
	v_add_f32_e32 v10, v10, v11
	s_nop 1
	v_mov_b32_dpp v11, v10 quad_perm:[2,3,0,1] row_mask:0xf bank_mask:0xf
	v_add_f32_e32 v10, v10, v11
	s_nop 1
	v_mov_b32_dpp v11, v10 row_half_mirror row_mask:0xf bank_mask:0xf
	v_add_f32_e32 v10, v10, v11
	s_nop 1
	v_mov_b32_dpp v11, v10 row_mirror row_mask:0xf bank_mask:0xf
	v_add_f32_e32 v10, v10, v11
	s_nop 1
	v_mov_b32_dpp v11, v10 row_bcast:15 row_mask:0xf bank_mask:0xf
	v_add_f32_e32 v10, v10, v11
	s_nop 1
	v_mov_b32_dpp v11, v10 row_bcast:31 row_mask:0xf bank_mask:0xf
	s_and_saveexec_b64 s[0:1], s[2:3]
	s_cbranch_execz .LBB914_36
; %bb.35:
	v_lshrrev_b32_e32 v0, 4, v0
	v_add_f32_e32 v10, v10, v11
	v_and_b32_e32 v0, 60, v0
	ds_write_b32 v0, v10
.LBB914_36:
	s_or_b64 exec, exec, s[0:1]
	s_waitcnt lgkmcnt(0)
	s_barrier
	ds_read_b32 v0, v36
	s_waitcnt lgkmcnt(0)
	s_nop 0
	v_mov_b32_dpp v10, v0 quad_perm:[1,0,3,2] row_mask:0xf bank_mask:0xf
	v_add_f32_e32 v0, v0, v10
	s_nop 1
	v_mov_b32_dpp v10, v0 quad_perm:[2,3,0,1] row_mask:0xf bank_mask:0xf
	v_add_f32_e32 v0, v0, v10
	s_nop 1
	v_mov_b32_dpp v10, v0 row_half_mirror row_mask:0xf bank_mask:0xf
	s_and_saveexec_b64 s[0:1], vcc
	s_cbranch_execz .LBB914_17
; %bb.37:
	v_cvt_f32_u32_e32 v11, s16
	v_add_f32_e32 v0, v0, v10
	s_mov_b32 s23, 0x20000
	v_div_scale_f32 v10, s[0:1], v11, v11, v0
	v_rcp_f32_e32 v12, v10
	v_div_scale_f32 v13, vcc, v0, v11, v0
	s_mov_b32 s0, 0x800000
	v_fma_f32 v14, -v10, v12, 1.0
	v_fmac_f32_e32 v12, v14, v12
	v_mul_f32_e32 v14, v13, v12
	v_fma_f32 v15, -v10, v14, v13
	v_fmac_f32_e32 v14, v15, v12
	v_fma_f32 v10, -v10, v14, v13
	v_div_fmas_f32 v10, v10, v12, v14
	v_div_fixup_f32 v0, v10, v11, v0
	v_add_f32_e32 v0, s13, v0
	v_mul_f32_e32 v10, 0x4b800000, v0
	v_cmp_gt_f32_e32 vcc, s0, v0
	v_cndmask_b32_e32 v0, v0, v10, vcc
	v_rsq_f32_e32 v0, v0
	s_mul_hi_i32 s1, s34, s6
	s_mul_i32 s0, s34, s6
	s_lshl_b64 s[0:1], s[0:1], 1
	v_mul_f32_e32 v10, 0x45800000, v0
	v_cndmask_b32_e32 v10, v0, v10, vcc
	v_mov_b32_e32 v11, v10
	;;#ASMSTART
	v_pk_mul_f32 v[12:13], v[18:19], v[10:11]
	;;#ASMEND
	;;#ASMSTART
	v_pk_mul_f32 v[14:15], v[32:33], v[10:11]
	;;#ASMEND
	;; [unrolled: 3-line block ×4, first 2 shown]
	s_waitcnt vmcnt(1)
	v_cvt_f32_u32_sdwa v29, v6 dst_sel:DWORD dst_unused:UNUSED_PAD src0_sel:WORD_1
	v_cvt_f32_u32_sdwa v28, v6 dst_sel:DWORD dst_unused:UNUSED_PAD src0_sel:WORD_0
	v_cvt_f32_u32_sdwa v31, v7 dst_sel:DWORD dst_unused:UNUSED_PAD src0_sel:WORD_1
	v_cvt_f32_u32_sdwa v30, v7 dst_sel:DWORD dst_unused:UNUSED_PAD src0_sel:WORD_0
	;;#ASMSTART
	v_pk_mul_f32 v[26:27], v[26:27], v[10:11]
	;;#ASMEND
	;;#ASMSTART
	v_pk_mul_f32 v[24:25], v[24:25], v[10:11]
	;;#ASMEND
	;; [unrolled: 3-line block ×4, first 2 shown]
	v_cvt_f32_u32_sdwa v21, v8 dst_sel:DWORD dst_unused:UNUSED_PAD src0_sel:WORD_1
	v_cvt_f32_u32_sdwa v20, v8 dst_sel:DWORD dst_unused:UNUSED_PAD src0_sel:WORD_0
	v_pk_add_f32 v[10:11], v[28:29], 1.0 op_sel_hi:[1,0]
	;;#ASMSTART
	v_pk_mul_f32 v[10:11], v[12:13], v[10:11]
	;;#ASMEND
	v_pk_add_f32 v[12:13], v[30:31], 1.0 op_sel_hi:[1,0]
	v_cvt_f32_u32_sdwa v29, v9 dst_sel:DWORD dst_unused:UNUSED_PAD src0_sel:WORD_1
	v_cvt_f32_u32_sdwa v28, v9 dst_sel:DWORD dst_unused:UNUSED_PAD src0_sel:WORD_0
	;;#ASMSTART
	v_pk_mul_f32 v[8:9], v[14:15], v[12:13]
	;;#ASMEND
	v_pk_add_f32 v[12:13], v[20:21], 1.0 op_sel_hi:[1,0]
	;;#ASMSTART
	v_pk_mul_f32 v[12:13], v[16:17], v[12:13]
	;;#ASMEND
	s_waitcnt vmcnt(0)
	v_cvt_f32_u32_sdwa v17, v2 dst_sel:DWORD dst_unused:UNUSED_PAD src0_sel:WORD_1
	v_cvt_f32_u32_sdwa v16, v2 dst_sel:DWORD dst_unused:UNUSED_PAD src0_sel:WORD_0
	v_cvt_f32_u32_sdwa v21, v3 dst_sel:DWORD dst_unused:UNUSED_PAD src0_sel:WORD_1
	v_cvt_f32_u32_sdwa v20, v3 dst_sel:DWORD dst_unused:UNUSED_PAD src0_sel:WORD_0
	v_pk_add_f32 v[14:15], v[28:29], 1.0 op_sel_hi:[1,0]
	;;#ASMSTART
	v_pk_mul_f32 v[14:15], v[18:19], v[14:15]
	;;#ASMEND
	v_pk_add_f32 v[2:3], v[16:17], 1.0 op_sel_hi:[1,0]
	v_cvt_f32_u32_sdwa v19, v4 dst_sel:DWORD dst_unused:UNUSED_PAD src0_sel:WORD_1
	v_cvt_f32_u32_sdwa v18, v4 dst_sel:DWORD dst_unused:UNUSED_PAD src0_sel:WORD_0
	;;#ASMSTART
	v_pk_mul_f32 v[16:17], v[26:27], v[2:3]
	;;#ASMEND
	v_pk_add_f32 v[2:3], v[20:21], 1.0 op_sel_hi:[1,0]
	v_cvt_f32_u32_sdwa v21, v5 dst_sel:DWORD dst_unused:UNUSED_PAD src0_sel:WORD_1
	v_cvt_f32_u32_sdwa v20, v5 dst_sel:DWORD dst_unused:UNUSED_PAD src0_sel:WORD_0
	s_add_u32 s20, s38, s0
	;;#ASMSTART
	v_pk_mul_f32 v[24:25], v[24:25], v[2:3]
	;;#ASMEND
	v_pk_add_f32 v[2:3], v[18:19], 1.0 op_sel_hi:[1,0]
	s_addc_u32 s0, s39, s1
	;;#ASMSTART
	v_pk_mul_f32 v[18:19], v[22:23], v[2:3]
	;;#ASMEND
	v_pk_add_f32 v[2:3], v[20:21], 1.0 op_sel_hi:[1,0]
	s_and_b32 s21, s0, 0xffff
	s_mov_b32 s0, 0x7060302
	;;#ASMSTART
	v_pk_mul_f32 v[6:7], v[6:7], v[2:3]
	;;#ASMEND
	v_perm_b32 v2, v11, v10, s0
	v_perm_b32 v3, v9, v8, s0
	v_perm_b32 v4, v13, v12, s0
	v_perm_b32 v5, v15, v14, s0
	buffer_store_dwordx4 v[2:5], v1, s[20:23], 0 offen
	;;#ASMSTART
	s_nop 0
	;;#ASMEND
	s_nop 0
	v_perm_b32 v2, v17, v16, s0
	v_perm_b32 v3, v25, v24, s0
	;; [unrolled: 1-line block ×4, first 2 shown]
	buffer_store_dwordx4 v[2:5], v1, s[20:23], 16 offen
	;;#ASMSTART
	s_nop 0
	;;#ASMEND
	s_endpgm
	.section	.rodata,"a",@progbits
	.p2align	6, 0x0
	.amdhsa_kernel _ZN5aiter35fused_qk_rmsnorm_group_quant_kernelItDB8_Li512ELi16ELi8ELb1ELb0ELb1ELb0ELb0ELb0EEEvPT0_PvPT_S6_S6_PKS5_S8_S8_S8_S8_ffiiiiiiiiiiiii
		.amdhsa_group_segment_fixed_size 64
		.amdhsa_private_segment_fixed_size 0
		.amdhsa_kernarg_size 400
		.amdhsa_user_sgpr_count 6
		.amdhsa_user_sgpr_private_segment_buffer 1
		.amdhsa_user_sgpr_dispatch_ptr 0
		.amdhsa_user_sgpr_queue_ptr 0
		.amdhsa_user_sgpr_kernarg_segment_ptr 1
		.amdhsa_user_sgpr_dispatch_id 0
		.amdhsa_user_sgpr_flat_scratch_init 0
		.amdhsa_user_sgpr_kernarg_preload_length 0
		.amdhsa_user_sgpr_kernarg_preload_offset 0
		.amdhsa_user_sgpr_private_segment_size 0
		.amdhsa_uses_dynamic_stack 0
		.amdhsa_system_sgpr_private_segment_wavefront_offset 0
		.amdhsa_system_sgpr_workgroup_id_x 1
		.amdhsa_system_sgpr_workgroup_id_y 1
		.amdhsa_system_sgpr_workgroup_id_z 0
		.amdhsa_system_sgpr_workgroup_info 0
		.amdhsa_system_vgpr_workitem_id 0
		.amdhsa_next_free_vgpr 88
		.amdhsa_next_free_sgpr 44
		.amdhsa_accum_offset 88
		.amdhsa_reserve_vcc 1
		.amdhsa_reserve_flat_scratch 0
		.amdhsa_float_round_mode_32 0
		.amdhsa_float_round_mode_16_64 0
		.amdhsa_float_denorm_mode_32 3
		.amdhsa_float_denorm_mode_16_64 3
		.amdhsa_dx10_clamp 1
		.amdhsa_ieee_mode 1
		.amdhsa_fp16_overflow 0
		.amdhsa_tg_split 0
		.amdhsa_exception_fp_ieee_invalid_op 0
		.amdhsa_exception_fp_denorm_src 0
		.amdhsa_exception_fp_ieee_div_zero 0
		.amdhsa_exception_fp_ieee_overflow 0
		.amdhsa_exception_fp_ieee_underflow 0
		.amdhsa_exception_fp_ieee_inexact 0
		.amdhsa_exception_int_div_zero 0
	.end_amdhsa_kernel
	.section	.text._ZN5aiter35fused_qk_rmsnorm_group_quant_kernelItDB8_Li512ELi16ELi8ELb1ELb0ELb1ELb0ELb0ELb0EEEvPT0_PvPT_S6_S6_PKS5_S8_S8_S8_S8_ffiiiiiiiiiiiii,"axG",@progbits,_ZN5aiter35fused_qk_rmsnorm_group_quant_kernelItDB8_Li512ELi16ELi8ELb1ELb0ELb1ELb0ELb0ELb0EEEvPT0_PvPT_S6_S6_PKS5_S8_S8_S8_S8_ffiiiiiiiiiiiii,comdat
.Lfunc_end914:
	.size	_ZN5aiter35fused_qk_rmsnorm_group_quant_kernelItDB8_Li512ELi16ELi8ELb1ELb0ELb1ELb0ELb0ELb0EEEvPT0_PvPT_S6_S6_PKS5_S8_S8_S8_S8_ffiiiiiiiiiiiii, .Lfunc_end914-_ZN5aiter35fused_qk_rmsnorm_group_quant_kernelItDB8_Li512ELi16ELi8ELb1ELb0ELb1ELb0ELb0ELb0EEEvPT0_PvPT_S6_S6_PKS5_S8_S8_S8_S8_ffiiiiiiiiiiiii
                                        ; -- End function
	.section	.AMDGPU.csdata,"",@progbits
; Kernel info:
; codeLenInByte = 4232
; NumSgprs: 48
; NumVgprs: 88
; NumAgprs: 0
; TotalNumVgprs: 88
; ScratchSize: 0
; MemoryBound: 0
; FloatMode: 240
; IeeeMode: 1
; LDSByteSize: 64 bytes/workgroup (compile time only)
; SGPRBlocks: 5
; VGPRBlocks: 10
; NumSGPRsForWavesPerEU: 48
; NumVGPRsForWavesPerEU: 88
; AccumOffset: 88
; Occupancy: 5
; WaveLimiterHint : 0
; COMPUTE_PGM_RSRC2:SCRATCH_EN: 0
; COMPUTE_PGM_RSRC2:USER_SGPR: 6
; COMPUTE_PGM_RSRC2:TRAP_HANDLER: 0
; COMPUTE_PGM_RSRC2:TGID_X_EN: 1
; COMPUTE_PGM_RSRC2:TGID_Y_EN: 1
; COMPUTE_PGM_RSRC2:TGID_Z_EN: 0
; COMPUTE_PGM_RSRC2:TIDIG_COMP_CNT: 0
; COMPUTE_PGM_RSRC3_GFX90A:ACCUM_OFFSET: 21
; COMPUTE_PGM_RSRC3_GFX90A:TG_SPLIT: 0
	.section	.text._ZN5aiter35fused_qk_rmsnorm_group_quant_kernelIDF16_N4opus5fp4_tELi512ELi16ELi8ELb1ELb0ELb1ELb0ELb0ELb0EEEvPT0_PvPT_S7_S7_PKS6_S9_S9_S9_S9_ffiiiiiiiiiiiii,"axG",@progbits,_ZN5aiter35fused_qk_rmsnorm_group_quant_kernelIDF16_N4opus5fp4_tELi512ELi16ELi8ELb1ELb0ELb1ELb0ELb0ELb0EEEvPT0_PvPT_S7_S7_PKS6_S9_S9_S9_S9_ffiiiiiiiiiiiii,comdat
	.protected	_ZN5aiter35fused_qk_rmsnorm_group_quant_kernelIDF16_N4opus5fp4_tELi512ELi16ELi8ELb1ELb0ELb1ELb0ELb0ELb0EEEvPT0_PvPT_S7_S7_PKS6_S9_S9_S9_S9_ffiiiiiiiiiiiii ; -- Begin function _ZN5aiter35fused_qk_rmsnorm_group_quant_kernelIDF16_N4opus5fp4_tELi512ELi16ELi8ELb1ELb0ELb1ELb0ELb0ELb0EEEvPT0_PvPT_S7_S7_PKS6_S9_S9_S9_S9_ffiiiiiiiiiiiii
	.globl	_ZN5aiter35fused_qk_rmsnorm_group_quant_kernelIDF16_N4opus5fp4_tELi512ELi16ELi8ELb1ELb0ELb1ELb0ELb0ELb0EEEvPT0_PvPT_S7_S7_PKS6_S9_S9_S9_S9_ffiiiiiiiiiiiii
	.p2align	8
	.type	_ZN5aiter35fused_qk_rmsnorm_group_quant_kernelIDF16_N4opus5fp4_tELi512ELi16ELi8ELb1ELb0ELb1ELb0ELb0ELb0EEEvPT0_PvPT_S7_S7_PKS6_S9_S9_S9_S9_ffiiiiiiiiiiiii,@function
_ZN5aiter35fused_qk_rmsnorm_group_quant_kernelIDF16_N4opus5fp4_tELi512ELi16ELi8ELb1ELb0ELb1ELb0ELb0ELb0EEEvPT0_PvPT_S7_S7_PKS6_S9_S9_S9_S9_ffiiiiiiiiiiiii: ; @_ZN5aiter35fused_qk_rmsnorm_group_quant_kernelIDF16_N4opus5fp4_tELi512ELi16ELi8ELb1ELb0ELb1ELb0ELb0ELb0EEEvPT0_PvPT_S7_S7_PKS6_S9_S9_S9_S9_ffiiiiiiiiiiiii
; %bb.0:
	s_load_dwordx8 s[12:19], s[4:5], 0x50
	s_waitcnt lgkmcnt(0)
	s_cmp_ge_i32 s6, s14
	s_cbranch_scc1 .LBB915_17
; %bb.1:
	s_cmp_lg_u32 s7, 0
	s_cselect_b64 s[22:23], -1, 0
	s_cmp_eq_u32 s7, 0
	s_cselect_b64 s[2:3], -1, 0
	s_and_b64 s[0:1], s[2:3], exec
	s_load_dwordx2 s[20:21], s[4:5], 0x48
	s_load_dwordx2 s[34:35], s[4:5], 0x30
	s_load_dwordx4 s[24:27], s[4:5], 0x70
	s_cselect_b32 s7, s15, s16
	s_add_i32 s0, s7, 1
	s_lshr_b32 s1, s0, 31
	s_add_i32 s0, s0, s1
	s_lshl_b32 s0, s0, 1
	v_lshlrev_b32_e32 v1, 4, v0
	s_and_b32 s30, s0, -4
	v_cmp_gt_i32_e64 s[0:1], s7, v1
	v_mov_b32_e32 v6, 0
	v_mov_b32_e32 v7, 0
	;; [unrolled: 1-line block ×16, first 2 shown]
	s_and_saveexec_b64 s[8:9], s[0:1]
	s_cbranch_execz .LBB915_3
; %bb.2:
	s_load_dwordx2 s[10:11], s[4:5], 0x28
	s_load_dwordx2 s[28:29], s[4:5], 0x40
	s_and_b64 s[36:37], s[2:3], exec
	s_cselect_b32 s14, s17, s18
	s_mov_b32 s31, 0x20000
	s_waitcnt lgkmcnt(0)
	s_cselect_b32 s17, s11, s35
	s_cselect_b32 s27, s10, s34
	s_mul_hi_i32 s11, s14, s6
	s_mul_i32 s10, s14, s6
	s_lshl_b64 s[10:11], s[10:11], 1
	s_add_u32 s36, s27, s10
	s_addc_u32 s14, s17, s11
	s_and_b64 s[10:11], s[2:3], exec
	s_cselect_b32 s28, s28, s20
	s_cselect_b32 s10, s29, s21
	s_and_b32 s37, s14, 0xffff
	s_mov_b32 s38, s30
	s_mov_b32 s39, s31
	v_lshlrev_b32_e32 v18, 5, v0
	s_and_b32 s29, s10, 0xffff
	buffer_load_dwordx4 v[10:13], v18, s[36:39], 0 offen
	buffer_load_dwordx4 v[14:17], v18, s[36:39], 16 offen
	;; [unrolled: 1-line block ×4, first 2 shown]
.LBB915_3:
	s_or_b64 exec, exec, s[8:9]
	s_load_dwordx2 s[10:11], s[4:5], 0x80
	s_and_b64 vcc, exec, s[22:23]
	s_cbranch_vccz .LBB915_7
; %bb.4:
	v_mov_b32_e32 v19, 0
	v_mov_b32_e32 v18, 0
	;; [unrolled: 1-line block ×16, first 2 shown]
	s_and_saveexec_b64 s[8:9], s[0:1]
	s_cbranch_execz .LBB915_6
; %bb.5:
	s_waitcnt vmcnt(3)
	v_cvt_f32_f16_sdwa v29, v10 dst_sel:DWORD dst_unused:UNUSED_PAD src0_sel:WORD_1
	v_cvt_f32_f16_e32 v28, v10
	v_cvt_f32_f16_sdwa v33, v11 dst_sel:DWORD dst_unused:UNUSED_PAD src0_sel:WORD_1
	v_cvt_f32_f16_e32 v32, v11
	v_cvt_f32_f16_sdwa v27, v12 dst_sel:DWORD dst_unused:UNUSED_PAD src0_sel:WORD_1
	v_cvt_f32_f16_e32 v26, v12
	v_cvt_f32_f16_sdwa v31, v13 dst_sel:DWORD dst_unused:UNUSED_PAD src0_sel:WORD_1
	v_cvt_f32_f16_e32 v30, v13
	s_waitcnt vmcnt(2)
	v_cvt_f32_f16_sdwa v23, v14 dst_sel:DWORD dst_unused:UNUSED_PAD src0_sel:WORD_1
	v_cvt_f32_f16_e32 v22, v14
	v_cvt_f32_f16_sdwa v25, v15 dst_sel:DWORD dst_unused:UNUSED_PAD src0_sel:WORD_1
	v_cvt_f32_f16_e32 v24, v15
	;; [unrolled: 2-line block ×4, first 2 shown]
.LBB915_6:
	s_or_b64 exec, exec, s[8:9]
	s_cbranch_execz .LBB915_8
	s_branch .LBB915_11
.LBB915_7:
                                        ; implicit-def: $vgpr19
                                        ; implicit-def: $vgpr21
                                        ; implicit-def: $vgpr25
                                        ; implicit-def: $vgpr23
                                        ; implicit-def: $vgpr31
                                        ; implicit-def: $vgpr27
                                        ; implicit-def: $vgpr33
                                        ; implicit-def: $vgpr29
.LBB915_8:
	v_mov_b32_e32 v19, 0
	v_mov_b32_e32 v18, 0
	;; [unrolled: 1-line block ×16, first 2 shown]
	s_and_saveexec_b64 s[8:9], s[0:1]
	s_cbranch_execz .LBB915_10
; %bb.9:
	s_load_dwordx2 s[28:29], s[4:5], 0x38
	s_mul_hi_i32 s37, s19, s6
	s_mul_i32 s36, s19, s6
	s_lshl_b64 s[36:37], s[36:37], 1
	s_mov_b32 s31, 0x20000
	s_waitcnt lgkmcnt(0)
	s_add_u32 s28, s28, s36
	s_addc_u32 s14, s29, s37
	s_and_b32 s29, s14, 0xffff
	v_lshlrev_b32_e32 v48, 5, v0
	buffer_load_dwordx4 v[18:21], v48, s[28:31], 16 offen
	buffer_load_dwordx4 v[22:25], v48, s[28:31], 0 offen
	s_waitcnt vmcnt(4)
	v_cvt_f32_f16_sdwa v27, v14 dst_sel:DWORD dst_unused:UNUSED_PAD src0_sel:WORD_1
	v_cvt_f32_f16_e32 v26, v14
	v_cvt_f32_f16_sdwa v29, v15 dst_sel:DWORD dst_unused:UNUSED_PAD src0_sel:WORD_1
	v_cvt_f32_f16_e32 v28, v15
	;; [unrolled: 2-line block ×8, first 2 shown]
	s_load_dwordx2 s[28:29], s[4:5], 0x20
	s_mul_hi_i32 s37, s11, s6
	s_mul_i32 s36, s11, s6
	s_lshl_b64 s[36:37], s[36:37], 1
	s_waitcnt lgkmcnt(0)
	s_add_u32 s28, s28, s36
	s_addc_u32 s11, s29, s37
	s_and_b32 s29, s11, 0xffff
	s_waitcnt vmcnt(1)
	v_cvt_f32_f16_e32 v12, v18
	v_cvt_f32_f16_sdwa v13, v18 dst_sel:DWORD dst_unused:UNUSED_PAD src0_sel:WORD_1
	v_cvt_f32_f16_e32 v18, v19
	v_cvt_f32_f16_sdwa v19, v19 dst_sel:DWORD dst_unused:UNUSED_PAD src0_sel:WORD_1
	;; [unrolled: 2-line block ×4, first 2 shown]
	s_waitcnt vmcnt(0)
	v_cvt_f32_f16_e32 v40, v22
	v_cvt_f32_f16_sdwa v41, v22 dst_sel:DWORD dst_unused:UNUSED_PAD src0_sel:WORD_1
	v_cvt_f32_f16_e32 v42, v23
	v_cvt_f32_f16_sdwa v43, v23 dst_sel:DWORD dst_unused:UNUSED_PAD src0_sel:WORD_1
	;; [unrolled: 2-line block ×4, first 2 shown]
	v_pk_add_f32 v[22:23], v[26:27], v[12:13]
	v_pk_add_f32 v[24:25], v[28:29], v[18:19]
	;; [unrolled: 1-line block ×8, first 2 shown]
	v_cvt_f16_f32_e32 v10, v29
	v_cvt_f16_f32_e32 v14, v28
	;; [unrolled: 1-line block ×16, first 2 shown]
	v_pack_b32_f16 v13, v17, v13
	v_pack_b32_f16 v12, v16, v12
	;; [unrolled: 1-line block ×8, first 2 shown]
	buffer_store_dwordx4 v[10:13], v48, s[28:31], 0 offen
	;;#ASMSTART
	s_nop 0
	;;#ASMEND
	buffer_store_dwordx4 v[14:17], v48, s[28:31], 16 offen
	;;#ASMSTART
	s_nop 0
	;;#ASMEND
.LBB915_10:
	s_or_b64 exec, exec, s[8:9]
.LBB915_11:
	s_waitcnt vmcnt(3)
	v_mul_f32_e32 v10, v29, v29
	v_fmac_f32_e32 v10, v28, v28
	v_fmac_f32_e32 v10, v32, v32
	;; [unrolled: 1-line block ×15, first 2 shown]
	v_and_b32_e32 v12, 63, v0
	v_cmp_eq_u32_e64 s[8:9], 63, v12
	v_mov_b32_dpp v11, v10 quad_perm:[1,0,3,2] row_mask:0xf bank_mask:0xf
	v_add_f32_e32 v10, v10, v11
	s_nop 1
	v_mov_b32_dpp v11, v10 quad_perm:[2,3,0,1] row_mask:0xf bank_mask:0xf
	v_add_f32_e32 v10, v10, v11
	s_nop 1
	v_mov_b32_dpp v11, v10 row_half_mirror row_mask:0xf bank_mask:0xf
	v_add_f32_e32 v10, v10, v11
	s_nop 1
	v_mov_b32_dpp v11, v10 row_mirror row_mask:0xf bank_mask:0xf
	v_add_f32_e32 v10, v10, v11
	s_nop 1
	v_mov_b32_dpp v11, v10 row_bcast:15 row_mask:0xf bank_mask:0xf
	v_add_f32_e32 v10, v10, v11
	s_nop 1
	v_mov_b32_dpp v11, v10 row_bcast:31 row_mask:0xf bank_mask:0xf
	s_and_saveexec_b64 s[28:29], s[8:9]
	s_cbranch_execz .LBB915_13
; %bb.12:
	v_add_f32_e32 v10, v10, v11
	v_lshrrev_b32_e32 v11, 4, v0
	v_and_b32_e32 v11, 60, v11
	ds_write_b32 v11, v10 offset:32
.LBB915_13:
	s_or_b64 exec, exec, s[28:29]
	v_and_b32_e32 v10, 7, v0
	v_lshlrev_b32_e32 v34, 2, v10
	s_waitcnt lgkmcnt(0)
	s_barrier
	ds_read_b32 v11, v34 offset:32
	s_load_dwordx2 s[36:37], s[4:5], 0x18
	s_waitcnt lgkmcnt(0)
	v_mov_b32_dpp v12, v11 quad_perm:[1,0,3,2] row_mask:0xf bank_mask:0xf
	v_add_f32_e32 v11, v11, v12
	s_nop 1
	v_mov_b32_dpp v12, v11 quad_perm:[2,3,0,1] row_mask:0xf bank_mask:0xf
	v_add_f32_e32 v11, v11, v12
	s_nop 1
	v_mov_b32_dpp v12, v11 row_half_mirror row_mask:0xf bank_mask:0xf
	s_and_saveexec_b64 s[28:29], s[0:1]
	s_cbranch_execnz .LBB915_18
; %bb.14:
	s_or_b64 exec, exec, s[28:29]
	s_mov_b64 s[2:3], -1
	s_and_b64 vcc, exec, s[22:23]
	s_cbranch_vccnz .LBB915_19
.LBB915_15:
	s_andn2_b64 vcc, exec, s[2:3]
	s_cbranch_vccz .LBB915_22
.LBB915_16:
	s_cmp_lt_i32 s16, 1
	s_cbranch_scc0 .LBB915_29
.LBB915_17:
	s_endpgm
.LBB915_18:
	v_cvt_f32_u32_e32 v13, s7
	v_add_f32_e32 v11, v11, v12
	s_waitcnt vmcnt(2)
	v_mov_b32_e32 v15, s13
	v_mov_b32_e32 v16, s12
	v_div_scale_f32 v12, s[38:39], v13, v13, v11
	v_rcp_f32_e32 v14, v12
	v_cndmask_b32_e64 v15, v15, v16, s[2:3]
	s_mov_b32 s2, 0x800000
	v_fma_f32 v16, -v12, v14, 1.0
	v_fmac_f32_e32 v14, v16, v14
	v_div_scale_f32 v16, vcc, v11, v13, v11
	v_mul_f32_e32 v17, v16, v14
	v_fma_f32 v35, -v12, v17, v16
	v_fmac_f32_e32 v17, v35, v14
	v_fma_f32 v12, -v12, v17, v16
	v_div_fmas_f32 v12, v12, v14, v17
	v_div_fixup_f32 v11, v12, v13, v11
	v_add_f32_e32 v11, v15, v11
	v_mul_f32_e32 v12, 0x4b800000, v11
	v_cmp_gt_f32_e32 vcc, s2, v11
	v_cndmask_b32_e32 v11, v11, v12, vcc
	v_rsq_f32_e32 v11, v11
	v_mul_f32_e32 v12, 0x45800000, v11
	v_cndmask_b32_e32 v12, v11, v12, vcc
	v_mov_b32_e32 v13, v12
	;;#ASMSTART
	v_pk_mul_f32 v[14:15], v[28:29], v[12:13]
	;;#ASMEND
	s_waitcnt vmcnt(1)
	v_cvt_f32_f16_sdwa v29, v6 dst_sel:DWORD dst_unused:UNUSED_PAD src0_sel:WORD_1
	v_cvt_f32_f16_e32 v28, v6
	;;#ASMSTART
	v_pk_mul_f32 v[16:17], v[32:33], v[12:13]
	;;#ASMEND
	v_cvt_f32_f16_sdwa v33, v7 dst_sel:DWORD dst_unused:UNUSED_PAD src0_sel:WORD_1
	v_cvt_f32_f16_e32 v32, v7
	;;#ASMSTART
	v_pk_mul_f32 v[26:27], v[26:27], v[12:13]
	;;#ASMEND
	;;#ASMSTART
	v_pk_mul_f32 v[30:31], v[30:31], v[12:13]
	;;#ASMEND
	;; [unrolled: 3-line block ×6, first 2 shown]
	v_pk_add_f32 v[12:13], v[28:29], 1.0 op_sel_hi:[1,0]
	;;#ASMSTART
	v_pk_mul_f32 v[28:29], v[14:15], v[12:13]
	;;#ASMEND
	v_cvt_f32_f16_sdwa v15, v8 dst_sel:DWORD dst_unused:UNUSED_PAD src0_sel:WORD_1
	v_cvt_f32_f16_e32 v14, v8
	v_cvt_f32_f16_sdwa v19, v9 dst_sel:DWORD dst_unused:UNUSED_PAD src0_sel:WORD_1
	v_cvt_f32_f16_e32 v18, v9
	v_pk_add_f32 v[12:13], v[32:33], 1.0 op_sel_hi:[1,0]
	;;#ASMSTART
	v_pk_mul_f32 v[32:33], v[16:17], v[12:13]
	;;#ASMEND
	s_waitcnt vmcnt(0)
	v_cvt_f32_f16_sdwa v13, v2 dst_sel:DWORD dst_unused:UNUSED_PAD src0_sel:WORD_1
	v_cvt_f32_f16_e32 v12, v2
	v_pk_add_f32 v[8:9], v[14:15], 1.0 op_sel_hi:[1,0]
	;;#ASMSTART
	v_pk_mul_f32 v[26:27], v[26:27], v[8:9]
	;;#ASMEND
	v_pk_add_f32 v[8:9], v[18:19], 1.0 op_sel_hi:[1,0]
	v_cvt_f32_f16_sdwa v15, v3 dst_sel:DWORD dst_unused:UNUSED_PAD src0_sel:WORD_1
	v_cvt_f32_f16_e32 v14, v3
	;;#ASMSTART
	v_pk_mul_f32 v[30:31], v[30:31], v[8:9]
	;;#ASMEND
	v_cvt_f32_f16_sdwa v9, v4 dst_sel:DWORD dst_unused:UNUSED_PAD src0_sel:WORD_1
	v_cvt_f32_f16_e32 v8, v4
	v_pk_add_f32 v[2:3], v[12:13], 1.0 op_sel_hi:[1,0]
	v_cvt_f32_f16_sdwa v13, v5 dst_sel:DWORD dst_unused:UNUSED_PAD src0_sel:WORD_1
	v_cvt_f32_f16_e32 v12, v5
	;;#ASMSTART
	v_pk_mul_f32 v[22:23], v[22:23], v[2:3]
	;;#ASMEND
	v_pk_add_f32 v[2:3], v[14:15], 1.0 op_sel_hi:[1,0]
	;;#ASMSTART
	v_pk_mul_f32 v[24:25], v[24:25], v[2:3]
	;;#ASMEND
	v_pk_add_f32 v[2:3], v[8:9], 1.0 op_sel_hi:[1,0]
	;; [unrolled: 4-line block ×3, first 2 shown]
	;;#ASMSTART
	v_pk_mul_f32 v[18:19], v[6:7], v[2:3]
	;;#ASMEND
	s_or_b64 exec, exec, s[28:29]
	s_mov_b64 s[2:3], -1
	s_and_b64 vcc, exec, s[22:23]
	s_cbranch_vccz .LBB915_15
.LBB915_19:
	s_and_saveexec_b64 s[2:3], s[0:1]
	s_cbranch_execz .LBB915_21
; %bb.20:
	s_mul_hi_i32 s23, s10, s6
	s_mul_i32 s22, s10, s6
	s_waitcnt vmcnt(0)
	v_cvt_f16_f32_e32 v2, v28
	v_cvt_f16_f32_e32 v3, v32
	;; [unrolled: 1-line block ×8, first 2 shown]
	s_lshl_b64 s[22:23], s[22:23], 1
	s_add_u32 s28, s36, s22
	s_addc_u32 s7, s37, s23
	s_and_b32 s29, s7, 0xffff
	s_mov_b32 s31, 0x20000
	v_pack_b32_f16 v5, v5, v6
	v_pack_b32_f16 v4, v4, v7
	;; [unrolled: 1-line block ×4, first 2 shown]
	v_lshlrev_b32_e32 v6, 5, v0
	buffer_store_dwordx4 v[2:5], v6, s[28:31], 0 offen
	v_cvt_f16_f32_e32 v7, v19
	v_cvt_f16_f32_e32 v2, v22
	;; [unrolled: 1-line block ×8, first 2 shown]
	v_pack_b32_f16 v5, v5, v7
	v_pack_b32_f16 v4, v4, v8
	;; [unrolled: 1-line block ×4, first 2 shown]
	;;#ASMSTART
	s_nop 0
	;;#ASMEND
	buffer_store_dwordx4 v[2:5], v6, s[28:31], 16 offen
	;;#ASMSTART
	s_nop 0
	;;#ASMEND
.LBB915_21:
	s_or_b64 exec, exec, s[2:3]
	s_cbranch_execnz .LBB915_16
.LBB915_22:
	s_waitcnt vmcnt(0)
	v_mov_b32_e32 v2, 0
	s_and_saveexec_b64 s[2:3], s[0:1]
	s_cbranch_execz .LBB915_24
; %bb.23:
	v_and_b32_e32 v2, 0x7fffffff, v28
	v_and_b32_e32 v3, 0x7fffffff, v29
	v_mov_b32_e32 v4, 0x2edbe6ff
	;;#ASMSTART
	v_max3_f32 v2, v4, v2, v3

	;;#ASMEND
	v_and_b32_e32 v3, 0x7fffffff, v32
	v_and_b32_e32 v4, 0x7fffffff, v33
	;;#ASMSTART
	v_max3_f32 v2, v2, v3, v4

	;;#ASMEND
	v_and_b32_e32 v3, 0x7fffffff, v26
	v_and_b32_e32 v4, 0x7fffffff, v27
	;; [unrolled: 6-line block ×7, first 2 shown]
	;;#ASMSTART
	v_max3_f32 v2, v2, v3, v4

	;;#ASMEND
.LBB915_24:
	s_or_b64 exec, exec, s[2:3]
	v_cmp_eq_u32_e32 vcc, 0, v10
	v_cmp_gt_i32_e64 s[2:3], s15, v1
	s_and_b64 s[22:23], vcc, s[2:3]
	;;#ASMSTART
	v_max_f32 v3, v2, v2 quad_perm:[1,0,3,2] row_mask:0xf bank_mask:0xf bound_ctrl:1
	;;#ASMEND
	;;#ASMSTART
	v_max_f32 v4, v3, v3 quad_perm:[2,3,0,1] row_mask:0xf bank_mask:0xf bound_ctrl:1
	;;#ASMEND
	;;#ASMSTART
	v_max_f32 v2, v4, v4 row_half_mirror row_mask:0xf bank_mask:0xf bound_ctrl:1
	;;#ASMEND
	s_and_saveexec_b64 s[2:3], s[22:23]
	s_cbranch_execz .LBB915_26
; %bb.25:
	s_load_dwordx2 s[22:23], s[4:5], 0x8
	v_mul_f32_e32 v2, 0x3e2aaaab, v2
	v_lshrrev_b32_e32 v3, 23, v2
	v_and_b32_e32 v4, 0x7f800000, v2
	v_and_b32_e32 v2, 0x7fffff, v2
	v_cmp_ne_u32_e32 vcc, 0, v2
	s_mul_i32 s12, s25, s6
	s_mov_b32 s7, 0x7f800000
	v_addc_co_u32_e32 v2, vcc, 0, v3, vcc
	s_mul_hi_i32 s11, s25, s6
	s_waitcnt lgkmcnt(0)
	s_add_u32 s22, s22, s12
	v_cmp_ne_u32_e32 vcc, s7, v4
	s_addc_u32 s23, s23, s11
	v_lshrrev_b32_e32 v5, 3, v0
	v_cndmask_b32_e32 v4, -1, v2, vcc
	v_pk_mov_b32 v[2:3], s[22:23], s[22:23] op_sel:[0,1]
	v_mad_i64_i32 v[2:3], s[22:23], s26, v5, v[2:3]
	global_store_byte v[2:3], v4, off
.LBB915_26:
	s_or_b64 exec, exec, s[2:3]
	s_and_saveexec_b64 s[2:3], s[0:1]
	s_cbranch_execz .LBB915_28
; %bb.27:
	s_load_dwordx2 s[0:1], s[4:5], 0x0
	s_mul_i32 s11, s24, s6
	s_mul_hi_i32 s7, s24, s6
	v_mov_b32_e32 v2, 0
	v_lshlrev_b32_e32 v4, 3, v0
	s_waitcnt lgkmcnt(0)
	s_add_u32 s24, s0, s11
	s_addc_u32 s0, s1, s7
	s_lshr_b32 s1, s15, 31
	s_add_i32 s1, s15, s1
	s_ashr_i32 s1, s1, 1
	s_add_i32 s1, s1, 3
	s_ashr_i32 s7, s1, 31
	s_lshr_b32 s7, s7, 30
	s_add_i32 s1, s1, s7
	s_and_b32 s26, s1, -4
	s_and_b32 s25, s0, 0xffff
	s_mov_b32 s27, 0x20000
	v_mov_b32_e32 v3, v2
	buffer_store_dwordx2 v[2:3], v4, s[24:27], 0 offen
	;;#ASMSTART
	s_nop 0
	;;#ASMEND
.LBB915_28:
	s_or_b64 exec, exec, s[2:3]
	s_cmp_lt_i32 s16, 1
	s_cbranch_scc1 .LBB915_17
.LBB915_29:
	s_load_dword s0, s[4:5], 0x94
	s_waitcnt lgkmcnt(0)
	s_cmp_lg_u32 s0, 1
	s_cbranch_scc1 .LBB915_17
; %bb.30:
	s_lshl_b32 s0, s16, 1
	s_add_i32 s0, s0, 2
	v_cmp_gt_u32_e32 vcc, s16, v1
	s_and_b32 s22, s0, -4
	v_mov_b32_e32 v18, 0
	v_lshlrev_b32_e32 v1, 5, v0
	s_waitcnt vmcnt(2)
	v_mov_b32_e32 v14, 0
	v_mov_b32_e32 v15, 0
	;; [unrolled: 1-line block ×8, first 2 shown]
	s_waitcnt vmcnt(1)
	v_mov_b32_e32 v6, 0
	v_mov_b32_e32 v7, 0
	;; [unrolled: 1-line block ×4, first 2 shown]
	s_waitcnt vmcnt(0)
	v_mov_b32_e32 v2, 0
	v_mov_b32_e32 v3, 0
	;; [unrolled: 1-line block ×4, first 2 shown]
	s_barrier
	s_and_saveexec_b64 s[0:1], vcc
	s_cbranch_execz .LBB915_32
; %bb.31:
	s_mul_hi_i32 s3, s18, s6
	s_mul_i32 s2, s18, s6
	s_and_b32 s21, s21, 0xffff
	s_lshl_b64 s[2:3], s[2:3], 1
	s_add_u32 s24, s34, s2
	s_mov_b32 s23, 0x20000
	s_addc_u32 s2, s35, s3
	s_and_b32 s25, s2, 0xffff
	s_mov_b32 s26, s22
	s_mov_b32 s27, s23
	buffer_load_dwordx4 v[14:17], v1, s[24:27], 0 offen
	buffer_load_dwordx4 v[10:13], v1, s[24:27], 16 offen
	;; [unrolled: 1-line block ×4, first 2 shown]
.LBB915_32:
	s_or_b64 exec, exec, s[0:1]
	v_mov_b32_e32 v19, 0
	v_mov_b32_e32 v32, 0
	v_mov_b32_e32 v33, 0
	v_mov_b32_e32 v30, 0
	v_mov_b32_e32 v31, 0
	v_mov_b32_e32 v28, 0
	v_mov_b32_e32 v29, 0
	v_mov_b32_e32 v26, 0
	v_mov_b32_e32 v27, 0
	v_mov_b32_e32 v24, 0
	v_mov_b32_e32 v25, 0
	v_mov_b32_e32 v22, 0
	v_mov_b32_e32 v23, 0
	v_mov_b32_e32 v20, 0
	v_mov_b32_e32 v21, 0
	s_and_saveexec_b64 s[0:1], vcc
	s_cbranch_execz .LBB915_34
; %bb.33:
	s_waitcnt vmcnt(3)
	v_cvt_f32_f16_sdwa v19, v14 dst_sel:DWORD dst_unused:UNUSED_PAD src0_sel:WORD_1
	v_cvt_f32_f16_e32 v18, v14
	v_cvt_f32_f16_sdwa v33, v15 dst_sel:DWORD dst_unused:UNUSED_PAD src0_sel:WORD_1
	v_cvt_f32_f16_e32 v32, v15
	;; [unrolled: 2-line block ×4, first 2 shown]
	s_waitcnt vmcnt(2)
	v_cvt_f32_f16_sdwa v27, v10 dst_sel:DWORD dst_unused:UNUSED_PAD src0_sel:WORD_1
	v_cvt_f32_f16_e32 v26, v10
	v_cvt_f32_f16_sdwa v25, v11 dst_sel:DWORD dst_unused:UNUSED_PAD src0_sel:WORD_1
	v_cvt_f32_f16_e32 v24, v11
	;; [unrolled: 2-line block ×4, first 2 shown]
.LBB915_34:
	s_or_b64 exec, exec, s[0:1]
	s_waitcnt vmcnt(2)
	v_mul_f32_e32 v10, v19, v19
	v_fmac_f32_e32 v10, v18, v18
	v_fmac_f32_e32 v10, v32, v32
	;; [unrolled: 1-line block ×15, first 2 shown]
	s_nop 1
	v_mov_b32_dpp v11, v10 quad_perm:[1,0,3,2] row_mask:0xf bank_mask:0xf
	v_add_f32_e32 v10, v10, v11
	s_nop 1
	v_mov_b32_dpp v11, v10 quad_perm:[2,3,0,1] row_mask:0xf bank_mask:0xf
	v_add_f32_e32 v10, v10, v11
	s_nop 1
	v_mov_b32_dpp v11, v10 row_half_mirror row_mask:0xf bank_mask:0xf
	v_add_f32_e32 v10, v10, v11
	s_nop 1
	v_mov_b32_dpp v11, v10 row_mirror row_mask:0xf bank_mask:0xf
	v_add_f32_e32 v10, v10, v11
	s_nop 1
	v_mov_b32_dpp v11, v10 row_bcast:15 row_mask:0xf bank_mask:0xf
	v_add_f32_e32 v10, v10, v11
	s_nop 1
	v_mov_b32_dpp v11, v10 row_bcast:31 row_mask:0xf bank_mask:0xf
	s_and_saveexec_b64 s[0:1], s[8:9]
	s_cbranch_execz .LBB915_36
; %bb.35:
	v_lshrrev_b32_e32 v0, 4, v0
	v_add_f32_e32 v10, v10, v11
	v_and_b32_e32 v0, 60, v0
	ds_write_b32 v0, v10
.LBB915_36:
	s_or_b64 exec, exec, s[0:1]
	s_waitcnt lgkmcnt(0)
	s_barrier
	ds_read_b32 v0, v34
	s_waitcnt lgkmcnt(0)
	s_nop 0
	v_mov_b32_dpp v10, v0 quad_perm:[1,0,3,2] row_mask:0xf bank_mask:0xf
	v_add_f32_e32 v0, v0, v10
	s_nop 1
	v_mov_b32_dpp v10, v0 quad_perm:[2,3,0,1] row_mask:0xf bank_mask:0xf
	v_add_f32_e32 v0, v0, v10
	s_nop 1
	v_mov_b32_dpp v10, v0 row_half_mirror row_mask:0xf bank_mask:0xf
	s_and_saveexec_b64 s[0:1], vcc
	s_cbranch_execz .LBB915_17
; %bb.37:
	v_cvt_f32_u32_e32 v11, s16
	v_add_f32_e32 v0, v0, v10
	s_mov_b32 s23, 0x20000
	v_div_scale_f32 v10, s[0:1], v11, v11, v0
	v_rcp_f32_e32 v12, v10
	v_div_scale_f32 v13, vcc, v0, v11, v0
	s_mov_b32 s0, 0x800000
	v_fma_f32 v14, -v10, v12, 1.0
	v_fmac_f32_e32 v12, v14, v12
	v_mul_f32_e32 v14, v13, v12
	v_fma_f32 v15, -v10, v14, v13
	v_fmac_f32_e32 v14, v15, v12
	v_fma_f32 v10, -v10, v14, v13
	v_div_fmas_f32 v10, v10, v12, v14
	v_div_fixup_f32 v0, v10, v11, v0
	v_add_f32_e32 v0, s13, v0
	v_mul_f32_e32 v10, 0x4b800000, v0
	v_cmp_gt_f32_e32 vcc, s0, v0
	v_cndmask_b32_e32 v0, v0, v10, vcc
	v_rsq_f32_e32 v0, v0
	s_mul_hi_i32 s1, s10, s6
	s_mul_i32 s0, s10, s6
	s_lshl_b64 s[0:1], s[0:1], 1
	v_mul_f32_e32 v10, 0x45800000, v0
	v_cndmask_b32_e32 v10, v0, v10, vcc
	v_mov_b32_e32 v11, v10
	;;#ASMSTART
	v_pk_mul_f32 v[12:13], v[18:19], v[10:11]
	;;#ASMEND
	;;#ASMSTART
	v_pk_mul_f32 v[14:15], v[32:33], v[10:11]
	;;#ASMEND
	;; [unrolled: 3-line block ×4, first 2 shown]
	s_waitcnt vmcnt(1)
	v_cvt_f32_f16_sdwa v29, v6 dst_sel:DWORD dst_unused:UNUSED_PAD src0_sel:WORD_1
	v_cvt_f32_f16_e32 v28, v6
	v_cvt_f32_f16_sdwa v31, v7 dst_sel:DWORD dst_unused:UNUSED_PAD src0_sel:WORD_1
	v_cvt_f32_f16_e32 v30, v7
	;;#ASMSTART
	v_pk_mul_f32 v[26:27], v[26:27], v[10:11]
	;;#ASMEND
	;;#ASMSTART
	v_pk_mul_f32 v[24:25], v[24:25], v[10:11]
	;;#ASMEND
	;; [unrolled: 3-line block ×4, first 2 shown]
	v_cvt_f32_f16_sdwa v21, v8 dst_sel:DWORD dst_unused:UNUSED_PAD src0_sel:WORD_1
	v_cvt_f32_f16_e32 v20, v8
	v_pk_add_f32 v[10:11], v[28:29], 1.0 op_sel_hi:[1,0]
	;;#ASMSTART
	v_pk_mul_f32 v[10:11], v[12:13], v[10:11]
	;;#ASMEND
	v_pk_add_f32 v[12:13], v[30:31], 1.0 op_sel_hi:[1,0]
	v_cvt_f32_f16_sdwa v29, v9 dst_sel:DWORD dst_unused:UNUSED_PAD src0_sel:WORD_1
	v_cvt_f32_f16_e32 v28, v9
	;;#ASMSTART
	v_pk_mul_f32 v[8:9], v[14:15], v[12:13]
	;;#ASMEND
	v_pk_add_f32 v[12:13], v[20:21], 1.0 op_sel_hi:[1,0]
	;;#ASMSTART
	v_pk_mul_f32 v[12:13], v[16:17], v[12:13]
	;;#ASMEND
	s_waitcnt vmcnt(0)
	v_cvt_f32_f16_sdwa v17, v2 dst_sel:DWORD dst_unused:UNUSED_PAD src0_sel:WORD_1
	v_cvt_f32_f16_e32 v16, v2
	v_cvt_f32_f16_sdwa v21, v3 dst_sel:DWORD dst_unused:UNUSED_PAD src0_sel:WORD_1
	v_cvt_f32_f16_e32 v20, v3
	v_pk_add_f32 v[14:15], v[28:29], 1.0 op_sel_hi:[1,0]
	;;#ASMSTART
	v_pk_mul_f32 v[2:3], v[18:19], v[14:15]
	;;#ASMEND
	v_cvt_f32_f16_sdwa v19, v4 dst_sel:DWORD dst_unused:UNUSED_PAD src0_sel:WORD_1
	v_cvt_f32_f16_e32 v18, v4
	v_pk_add_f32 v[14:15], v[16:17], 1.0 op_sel_hi:[1,0]
	v_pk_add_f32 v[16:17], v[20:21], 1.0 op_sel_hi:[1,0]
	v_cvt_f32_f16_sdwa v21, v5 dst_sel:DWORD dst_unused:UNUSED_PAD src0_sel:WORD_1
	v_cvt_f32_f16_e32 v20, v5
	v_pk_add_f32 v[4:5], v[18:19], 1.0 op_sel_hi:[1,0]
	;;#ASMSTART
	v_pk_mul_f32 v[14:15], v[26:27], v[14:15]
	;;#ASMEND
	;;#ASMSTART
	v_pk_mul_f32 v[16:17], v[24:25], v[16:17]
	;;#ASMEND
	;; [unrolled: 3-line block ×3, first 2 shown]
	v_pk_add_f32 v[4:5], v[20:21], 1.0 op_sel_hi:[1,0]
	;;#ASMSTART
	v_pk_mul_f32 v[6:7], v[6:7], v[4:5]
	;;#ASMEND
	v_cvt_f16_f32_e32 v0, v10
	v_cvt_f16_f32_e32 v4, v11
	;; [unrolled: 1-line block ×8, first 2 shown]
	s_add_u32 s20, s36, s0
	s_addc_u32 s0, s37, s1
	s_and_b32 s21, s0, 0xffff
	v_pack_b32_f16 v2, v0, v4
	v_pack_b32_f16 v3, v5, v8
	;; [unrolled: 1-line block ×4, first 2 shown]
	buffer_store_dwordx4 v[2:5], v1, s[20:23], 0 offen
	v_cvt_f16_f32_e32 v0, v14
	v_cvt_f16_f32_e32 v2, v15
	;; [unrolled: 1-line block ×8, first 2 shown]
	v_pack_b32_f16 v2, v0, v2
	v_pack_b32_f16 v3, v3, v4
	;; [unrolled: 1-line block ×4, first 2 shown]
	;;#ASMSTART
	s_nop 0
	;;#ASMEND
	buffer_store_dwordx4 v[2:5], v1, s[20:23], 16 offen
	;;#ASMSTART
	s_nop 0
	;;#ASMEND
	s_endpgm
	.section	.rodata,"a",@progbits
	.p2align	6, 0x0
	.amdhsa_kernel _ZN5aiter35fused_qk_rmsnorm_group_quant_kernelIDF16_N4opus5fp4_tELi512ELi16ELi8ELb1ELb0ELb1ELb0ELb0ELb0EEEvPT0_PvPT_S7_S7_PKS6_S9_S9_S9_S9_ffiiiiiiiiiiiii
		.amdhsa_group_segment_fixed_size 64
		.amdhsa_private_segment_fixed_size 0
		.amdhsa_kernarg_size 400
		.amdhsa_user_sgpr_count 6
		.amdhsa_user_sgpr_private_segment_buffer 1
		.amdhsa_user_sgpr_dispatch_ptr 0
		.amdhsa_user_sgpr_queue_ptr 0
		.amdhsa_user_sgpr_kernarg_segment_ptr 1
		.amdhsa_user_sgpr_dispatch_id 0
		.amdhsa_user_sgpr_flat_scratch_init 0
		.amdhsa_user_sgpr_kernarg_preload_length 0
		.amdhsa_user_sgpr_kernarg_preload_offset 0
		.amdhsa_user_sgpr_private_segment_size 0
		.amdhsa_uses_dynamic_stack 0
		.amdhsa_system_sgpr_private_segment_wavefront_offset 0
		.amdhsa_system_sgpr_workgroup_id_x 1
		.amdhsa_system_sgpr_workgroup_id_y 1
		.amdhsa_system_sgpr_workgroup_id_z 0
		.amdhsa_system_sgpr_workgroup_info 0
		.amdhsa_system_vgpr_workitem_id 0
		.amdhsa_next_free_vgpr 49
		.amdhsa_next_free_sgpr 40
		.amdhsa_accum_offset 52
		.amdhsa_reserve_vcc 1
		.amdhsa_reserve_flat_scratch 0
		.amdhsa_float_round_mode_32 0
		.amdhsa_float_round_mode_16_64 0
		.amdhsa_float_denorm_mode_32 3
		.amdhsa_float_denorm_mode_16_64 3
		.amdhsa_dx10_clamp 1
		.amdhsa_ieee_mode 1
		.amdhsa_fp16_overflow 0
		.amdhsa_tg_split 0
		.amdhsa_exception_fp_ieee_invalid_op 0
		.amdhsa_exception_fp_denorm_src 0
		.amdhsa_exception_fp_ieee_div_zero 0
		.amdhsa_exception_fp_ieee_overflow 0
		.amdhsa_exception_fp_ieee_underflow 0
		.amdhsa_exception_fp_ieee_inexact 0
		.amdhsa_exception_int_div_zero 0
	.end_amdhsa_kernel
	.section	.text._ZN5aiter35fused_qk_rmsnorm_group_quant_kernelIDF16_N4opus5fp4_tELi512ELi16ELi8ELb1ELb0ELb1ELb0ELb0ELb0EEEvPT0_PvPT_S7_S7_PKS6_S9_S9_S9_S9_ffiiiiiiiiiiiii,"axG",@progbits,_ZN5aiter35fused_qk_rmsnorm_group_quant_kernelIDF16_N4opus5fp4_tELi512ELi16ELi8ELb1ELb0ELb1ELb0ELb0ELb0EEEvPT0_PvPT_S7_S7_PKS6_S9_S9_S9_S9_ffiiiiiiiiiiiii,comdat
.Lfunc_end915:
	.size	_ZN5aiter35fused_qk_rmsnorm_group_quant_kernelIDF16_N4opus5fp4_tELi512ELi16ELi8ELb1ELb0ELb1ELb0ELb0ELb0EEEvPT0_PvPT_S7_S7_PKS6_S9_S9_S9_S9_ffiiiiiiiiiiiii, .Lfunc_end915-_ZN5aiter35fused_qk_rmsnorm_group_quant_kernelIDF16_N4opus5fp4_tELi512ELi16ELi8ELb1ELb0ELb1ELb0ELb0ELb0EEEvPT0_PvPT_S7_S7_PKS6_S9_S9_S9_S9_ffiiiiiiiiiiiii
                                        ; -- End function
	.section	.AMDGPU.csdata,"",@progbits
; Kernel info:
; codeLenInByte = 3916
; NumSgprs: 44
; NumVgprs: 49
; NumAgprs: 0
; TotalNumVgprs: 49
; ScratchSize: 0
; MemoryBound: 0
; FloatMode: 240
; IeeeMode: 1
; LDSByteSize: 64 bytes/workgroup (compile time only)
; SGPRBlocks: 5
; VGPRBlocks: 6
; NumSGPRsForWavesPerEU: 44
; NumVGPRsForWavesPerEU: 49
; AccumOffset: 52
; Occupancy: 8
; WaveLimiterHint : 0
; COMPUTE_PGM_RSRC2:SCRATCH_EN: 0
; COMPUTE_PGM_RSRC2:USER_SGPR: 6
; COMPUTE_PGM_RSRC2:TRAP_HANDLER: 0
; COMPUTE_PGM_RSRC2:TGID_X_EN: 1
; COMPUTE_PGM_RSRC2:TGID_Y_EN: 1
; COMPUTE_PGM_RSRC2:TGID_Z_EN: 0
; COMPUTE_PGM_RSRC2:TIDIG_COMP_CNT: 0
; COMPUTE_PGM_RSRC3_GFX90A:ACCUM_OFFSET: 12
; COMPUTE_PGM_RSRC3_GFX90A:TG_SPLIT: 0
	.section	.text._ZN5aiter35fused_qk_rmsnorm_group_quant_kernelItN4opus5fp4_tELi512ELi16ELi8ELb1ELb0ELb1ELb0ELb0ELb0EEEvPT0_PvPT_S7_S7_PKS6_S9_S9_S9_S9_ffiiiiiiiiiiiii,"axG",@progbits,_ZN5aiter35fused_qk_rmsnorm_group_quant_kernelItN4opus5fp4_tELi512ELi16ELi8ELb1ELb0ELb1ELb0ELb0ELb0EEEvPT0_PvPT_S7_S7_PKS6_S9_S9_S9_S9_ffiiiiiiiiiiiii,comdat
	.protected	_ZN5aiter35fused_qk_rmsnorm_group_quant_kernelItN4opus5fp4_tELi512ELi16ELi8ELb1ELb0ELb1ELb0ELb0ELb0EEEvPT0_PvPT_S7_S7_PKS6_S9_S9_S9_S9_ffiiiiiiiiiiiii ; -- Begin function _ZN5aiter35fused_qk_rmsnorm_group_quant_kernelItN4opus5fp4_tELi512ELi16ELi8ELb1ELb0ELb1ELb0ELb0ELb0EEEvPT0_PvPT_S7_S7_PKS6_S9_S9_S9_S9_ffiiiiiiiiiiiii
	.globl	_ZN5aiter35fused_qk_rmsnorm_group_quant_kernelItN4opus5fp4_tELi512ELi16ELi8ELb1ELb0ELb1ELb0ELb0ELb0EEEvPT0_PvPT_S7_S7_PKS6_S9_S9_S9_S9_ffiiiiiiiiiiiii
	.p2align	8
	.type	_ZN5aiter35fused_qk_rmsnorm_group_quant_kernelItN4opus5fp4_tELi512ELi16ELi8ELb1ELb0ELb1ELb0ELb0ELb0EEEvPT0_PvPT_S7_S7_PKS6_S9_S9_S9_S9_ffiiiiiiiiiiiii,@function
_ZN5aiter35fused_qk_rmsnorm_group_quant_kernelItN4opus5fp4_tELi512ELi16ELi8ELb1ELb0ELb1ELb0ELb0ELb0EEEvPT0_PvPT_S7_S7_PKS6_S9_S9_S9_S9_ffiiiiiiiiiiiii: ; @_ZN5aiter35fused_qk_rmsnorm_group_quant_kernelItN4opus5fp4_tELi512ELi16ELi8ELb1ELb0ELb1ELb0ELb0ELb0EEEvPT0_PvPT_S7_S7_PKS6_S9_S9_S9_S9_ffiiiiiiiiiiiii
; %bb.0:
	s_load_dwordx8 s[12:19], s[4:5], 0x50
	s_waitcnt lgkmcnt(0)
	s_cmp_ge_i32 s6, s14
	s_cbranch_scc1 .LBB916_17
; %bb.1:
	s_cmp_lg_u32 s7, 0
	s_cselect_b64 s[22:23], -1, 0
	s_cmp_eq_u32 s7, 0
	s_cselect_b64 s[2:3], -1, 0
	s_and_b64 s[0:1], s[2:3], exec
	s_load_dwordx2 s[20:21], s[4:5], 0x48
	s_load_dwordx2 s[34:35], s[4:5], 0x30
	s_load_dwordx4 s[24:27], s[4:5], 0x70
	s_cselect_b32 s7, s15, s16
	s_add_i32 s0, s7, 1
	s_lshr_b32 s1, s0, 31
	s_add_i32 s0, s0, s1
	s_lshl_b32 s0, s0, 1
	v_lshlrev_b32_e32 v1, 4, v0
	s_and_b32 s30, s0, -4
	v_cmp_gt_i32_e64 s[0:1], s7, v1
	v_mov_b32_e32 v62, 0
	v_mov_b32_e32 v63, 0
	;; [unrolled: 1-line block ×16, first 2 shown]
	s_and_saveexec_b64 s[8:9], s[0:1]
	s_cbranch_execz .LBB916_3
; %bb.2:
	s_load_dwordx2 s[10:11], s[4:5], 0x28
	s_load_dwordx2 s[28:29], s[4:5], 0x40
	s_and_b64 s[36:37], s[2:3], exec
	s_cselect_b32 s14, s17, s18
	s_mov_b32 s31, 0x20000
	s_waitcnt lgkmcnt(0)
	s_cselect_b32 s17, s11, s35
	s_cselect_b32 s27, s10, s34
	s_mul_hi_i32 s11, s14, s6
	s_mul_i32 s10, s14, s6
	s_lshl_b64 s[10:11], s[10:11], 1
	s_add_u32 s36, s27, s10
	s_addc_u32 s14, s17, s11
	s_and_b64 s[10:11], s[2:3], exec
	s_cselect_b32 s28, s28, s20
	s_cselect_b32 s10, s29, s21
	s_and_b32 s37, s14, 0xffff
	s_mov_b32 s38, s30
	s_mov_b32 s39, s31
	v_lshlrev_b32_e32 v2, 5, v0
	s_and_b32 s29, s10, 0xffff
	buffer_load_dwordx4 v[66:69], v2, s[36:39], 0 offen
	buffer_load_dwordx4 v[70:73], v2, s[36:39], 16 offen
	;; [unrolled: 1-line block ×4, first 2 shown]
.LBB916_3:
	s_or_b64 exec, exec, s[8:9]
	s_load_dwordx2 s[10:11], s[4:5], 0x80
	s_and_b64 vcc, exec, s[22:23]
	s_cbranch_vccz .LBB916_7
; %bb.4:
	v_mov_b32_e32 v75, 0
	v_mov_b32_e32 v74, 0
	;; [unrolled: 1-line block ×16, first 2 shown]
	s_and_saveexec_b64 s[8:9], s[0:1]
	s_cbranch_execz .LBB916_6
; %bb.5:
	s_waitcnt vmcnt(3)
	v_cvt_f32_u32_sdwa v2, v66 dst_sel:DWORD dst_unused:UNUSED_PAD src0_sel:WORD_0
	v_cvt_f32_u32_sdwa v3, v66 dst_sel:DWORD dst_unused:UNUSED_PAD src0_sel:WORD_1
	v_cvt_f32_u32_sdwa v6, v67 dst_sel:DWORD dst_unused:UNUSED_PAD src0_sel:WORD_0
	v_cvt_f32_u32_sdwa v7, v67 dst_sel:DWORD dst_unused:UNUSED_PAD src0_sel:WORD_1
	;; [unrolled: 2-line block ×4, first 2 shown]
	s_waitcnt vmcnt(2)
	v_cvt_f32_u32_sdwa v50, v70 dst_sel:DWORD dst_unused:UNUSED_PAD src0_sel:WORD_0
	v_cvt_f32_u32_sdwa v51, v70 dst_sel:DWORD dst_unused:UNUSED_PAD src0_sel:WORD_1
	v_cvt_f32_u32_sdwa v24, v71 dst_sel:DWORD dst_unused:UNUSED_PAD src0_sel:WORD_0
	v_cvt_f32_u32_sdwa v25, v71 dst_sel:DWORD dst_unused:UNUSED_PAD src0_sel:WORD_1
	;; [unrolled: 2-line block ×4, first 2 shown]
.LBB916_6:
	s_or_b64 exec, exec, s[8:9]
	s_cbranch_execz .LBB916_8
	s_branch .LBB916_11
.LBB916_7:
                                        ; implicit-def: $vgpr2_vgpr3_vgpr4_vgpr5_vgpr6_vgpr7_vgpr8_vgpr9_vgpr10_vgpr11_vgpr12_vgpr13_vgpr14_vgpr15_vgpr16_vgpr17
                                        ; implicit-def: $vgpr36_vgpr37_vgpr38_vgpr39_vgpr40_vgpr41_vgpr42_vgpr43_vgpr44_vgpr45_vgpr46_vgpr47_vgpr48_vgpr49_vgpr50_vgpr51
                                        ; implicit-def: $vgpr4_vgpr5_vgpr6_vgpr7_vgpr8_vgpr9_vgpr10_vgpr11_vgpr12_vgpr13_vgpr14_vgpr15_vgpr16_vgpr17_vgpr18_vgpr19
                                        ; implicit-def: $vgpr24_vgpr25_vgpr26_vgpr27_vgpr28_vgpr29_vgpr30_vgpr31_vgpr32_vgpr33_vgpr34_vgpr35_vgpr36_vgpr37_vgpr38_vgpr39
                                        ; implicit-def: $vgpr75
                                        ; implicit-def: $vgpr42_vgpr43_vgpr44_vgpr45_vgpr46_vgpr47_vgpr48_vgpr49_vgpr50_vgpr51_vgpr52_vgpr53_vgpr54_vgpr55_vgpr56_vgpr57
                                        ; implicit-def: $vgpr14_vgpr15_vgpr16_vgpr17_vgpr18_vgpr19_vgpr20_vgpr21_vgpr22_vgpr23_vgpr24_vgpr25_vgpr26_vgpr27_vgpr28_vgpr29
                                        ; implicit-def: $vgpr8_vgpr9_vgpr10_vgpr11_vgpr12_vgpr13_vgpr14_vgpr15_vgpr16_vgpr17_vgpr18_vgpr19_vgpr20_vgpr21_vgpr22_vgpr23
.LBB916_8:
	v_mov_b32_e32 v75, 0
	v_mov_b32_e32 v74, 0
	;; [unrolled: 1-line block ×16, first 2 shown]
	s_and_saveexec_b64 s[8:9], s[0:1]
	s_cbranch_execz .LBB916_10
; %bb.9:
	s_load_dwordx2 s[28:29], s[4:5], 0x38
	s_mul_hi_i32 s37, s19, s6
	s_mul_i32 s36, s19, s6
	s_lshl_b64 s[36:37], s[36:37], 1
	s_mov_b32 s31, 0x20000
	s_waitcnt lgkmcnt(0)
	s_add_u32 s28, s28, s36
	s_addc_u32 s14, s29, s37
	s_and_b32 s29, s14, 0xffff
	v_lshlrev_b32_e32 v38, 5, v0
	buffer_load_dwordx4 v[6:9], v38, s[28:31], 16 offen
	buffer_load_dwordx4 v[10:13], v38, s[28:31], 0 offen
	s_load_dwordx2 s[28:29], s[4:5], 0x20
	s_waitcnt vmcnt(5)
	v_cvt_f32_u32_sdwa v3, v66 dst_sel:DWORD dst_unused:UNUSED_PAD src0_sel:WORD_1
	v_cvt_f32_u32_sdwa v2, v66 dst_sel:DWORD dst_unused:UNUSED_PAD src0_sel:WORD_0
	v_cvt_f32_u32_sdwa v21, v67 dst_sel:DWORD dst_unused:UNUSED_PAD src0_sel:WORD_1
	v_cvt_f32_u32_sdwa v20, v67 dst_sel:DWORD dst_unused:UNUSED_PAD src0_sel:WORD_0
	;; [unrolled: 2-line block ×4, first 2 shown]
	s_waitcnt vmcnt(4)
	v_cvt_f32_u32_sdwa v5, v70 dst_sel:DWORD dst_unused:UNUSED_PAD src0_sel:WORD_1
	v_cvt_f32_u32_sdwa v4, v70 dst_sel:DWORD dst_unused:UNUSED_PAD src0_sel:WORD_0
	v_cvt_f32_u32_sdwa v15, v71 dst_sel:DWORD dst_unused:UNUSED_PAD src0_sel:WORD_1
	v_cvt_f32_u32_sdwa v14, v71 dst_sel:DWORD dst_unused:UNUSED_PAD src0_sel:WORD_0
	;; [unrolled: 2-line block ×3, first 2 shown]
	v_cvt_f32_u32_sdwa v18, v73 dst_sel:DWORD dst_unused:UNUSED_PAD src0_sel:WORD_0
	v_cvt_f32_u32_sdwa v19, v73 dst_sel:DWORD dst_unused:UNUSED_PAD src0_sel:WORD_1
	s_mul_hi_i32 s37, s11, s6
	s_mul_i32 s36, s11, s6
	s_lshl_b64 s[36:37], s[36:37], 1
	s_waitcnt lgkmcnt(0)
	s_add_u32 s28, s28, s36
	s_mov_b32 s11, 0x7060302
	s_addc_u32 s14, s29, s37
	s_and_b32 s29, s14, 0xffff
	s_waitcnt vmcnt(1)
	v_cvt_f32_u32_sdwa v27, v6 dst_sel:DWORD dst_unused:UNUSED_PAD src0_sel:WORD_1
	v_cvt_f32_u32_sdwa v26, v6 dst_sel:DWORD dst_unused:UNUSED_PAD src0_sel:WORD_0
	v_cvt_f32_u32_sdwa v29, v7 dst_sel:DWORD dst_unused:UNUSED_PAD src0_sel:WORD_1
	v_cvt_f32_u32_sdwa v28, v7 dst_sel:DWORD dst_unused:UNUSED_PAD src0_sel:WORD_0
	;; [unrolled: 2-line block ×3, first 2 shown]
	v_cvt_f32_u32_sdwa v34, v9 dst_sel:DWORD dst_unused:UNUSED_PAD src0_sel:WORD_0
	v_cvt_f32_u32_sdwa v35, v9 dst_sel:DWORD dst_unused:UNUSED_PAD src0_sel:WORD_1
	s_waitcnt vmcnt(0)
	v_cvt_f32_u32_sdwa v37, v10 dst_sel:DWORD dst_unused:UNUSED_PAD src0_sel:WORD_1
	v_cvt_f32_u32_sdwa v36, v10 dst_sel:DWORD dst_unused:UNUSED_PAD src0_sel:WORD_0
	v_cvt_f32_u32_sdwa v7, v12 dst_sel:DWORD dst_unused:UNUSED_PAD src0_sel:WORD_1
	v_cvt_f32_u32_sdwa v6, v12 dst_sel:DWORD dst_unused:UNUSED_PAD src0_sel:WORD_0
	;; [unrolled: 2-line block ×4, first 2 shown]
	v_pk_add_f32 v[40:41], v[22:23], v[6:7]
	v_pk_add_f32 v[30:31], v[24:25], v[8:9]
	;; [unrolled: 1-line block ×4, first 2 shown]
	v_perm_b32 v11, v31, v30, s11
	v_perm_b32 v10, v41, v40, s11
	;; [unrolled: 1-line block ×4, first 2 shown]
	v_pk_add_f32 v[74:75], v[18:19], v[34:35]
	v_pk_add_f32 v[20:21], v[16:17], v[32:33]
	;; [unrolled: 1-line block ×4, first 2 shown]
	buffer_store_dwordx4 v[8:11], v38, s[28:31], 0 offen
	;;#ASMSTART
	s_nop 0
	;;#ASMEND
	s_nop 0
	v_perm_b32 v11, v75, v74, s11
	v_perm_b32 v10, v21, v20, s11
	;; [unrolled: 1-line block ×4, first 2 shown]
	buffer_store_dwordx4 v[8:11], v38, s[28:31], 16 offen
	;;#ASMSTART
	s_nop 0
	;;#ASMEND
.LBB916_10:
	s_or_b64 exec, exec, s[8:9]
.LBB916_11:
	v_mul_f32_e32 v4, v3, v3
	v_fmac_f32_e32 v4, v2, v2
	v_fmac_f32_e32 v4, v6, v6
	;; [unrolled: 1-line block ×15, first 2 shown]
	s_nop 1
	v_mov_b32_dpp v5, v4 quad_perm:[1,0,3,2] row_mask:0xf bank_mask:0xf
	v_add_f32_e32 v4, v4, v5
	s_nop 1
	v_mov_b32_dpp v5, v4 quad_perm:[2,3,0,1] row_mask:0xf bank_mask:0xf
	v_add_f32_e32 v4, v4, v5
	s_nop 1
	v_mov_b32_dpp v5, v4 row_half_mirror row_mask:0xf bank_mask:0xf
	v_add_f32_e32 v4, v4, v5
	s_nop 1
	v_mov_b32_dpp v5, v4 row_mirror row_mask:0xf bank_mask:0xf
	v_add_f32_e32 v4, v4, v5
	s_nop 1
	v_mov_b32_dpp v5, v4 row_bcast:15 row_mask:0xf bank_mask:0xf
	v_add_f32_e32 v4, v4, v5
	v_and_b32_e32 v5, 63, v0
	v_cmp_eq_u32_e64 s[8:9], 63, v5
	s_nop 0
	v_mov_b32_dpp v5, v4 row_bcast:31 row_mask:0xf bank_mask:0xf
	s_and_saveexec_b64 s[28:29], s[8:9]
	s_cbranch_execz .LBB916_13
; %bb.12:
	v_add_f32_e32 v4, v4, v5
	v_lshrrev_b32_e32 v5, 4, v0
	v_and_b32_e32 v5, 60, v5
	ds_write_b32 v5, v4 offset:32
.LBB916_13:
	s_or_b64 exec, exec, s[28:29]
	v_and_b32_e32 v4, 7, v0
	v_lshlrev_b32_e32 v34, 2, v4
	s_waitcnt lgkmcnt(0)
	s_barrier
	ds_read_b32 v5, v34 offset:32
	s_load_dwordx2 s[36:37], s[4:5], 0x18
	s_waitcnt lgkmcnt(0)
	v_mov_b32_dpp v8, v5 quad_perm:[1,0,3,2] row_mask:0xf bank_mask:0xf
	v_add_f32_e32 v5, v5, v8
	s_nop 1
	v_mov_b32_dpp v8, v5 quad_perm:[2,3,0,1] row_mask:0xf bank_mask:0xf
	v_add_f32_e32 v5, v5, v8
	s_nop 1
	v_mov_b32_dpp v8, v5 row_half_mirror row_mask:0xf bank_mask:0xf
	s_and_saveexec_b64 s[28:29], s[0:1]
	s_cbranch_execnz .LBB916_18
; %bb.14:
	s_or_b64 exec, exec, s[28:29]
	s_mov_b64 s[2:3], -1
	s_and_b64 vcc, exec, s[22:23]
	s_cbranch_vccnz .LBB916_19
.LBB916_15:
	s_andn2_b64 vcc, exec, s[2:3]
	s_cbranch_vccz .LBB916_22
.LBB916_16:
	s_cmp_lt_i32 s16, 1
	s_cbranch_scc0 .LBB916_29
.LBB916_17:
	s_endpgm
.LBB916_18:
	v_add_f32_e32 v5, v5, v8
	v_cvt_f32_u32_e32 v8, s7
	s_waitcnt vmcnt(1)
	v_cvt_f32_u32_sdwa v17, v62 dst_sel:DWORD dst_unused:UNUSED_PAD src0_sel:WORD_1
	v_cvt_f32_u32_sdwa v16, v62 dst_sel:DWORD dst_unused:UNUSED_PAD src0_sel:WORD_0
	v_cvt_f32_u32_sdwa v23, v64 dst_sel:DWORD dst_unused:UNUSED_PAD src0_sel:WORD_1
	v_div_scale_f32 v9, s[38:39], v8, v8, v5
	v_rcp_f32_e32 v10, v9
	v_pk_add_f32 v[16:17], v[16:17], 1.0 op_sel_hi:[1,0]
	v_cvt_f32_u32_sdwa v22, v64 dst_sel:DWORD dst_unused:UNUSED_PAD src0_sel:WORD_0
	s_waitcnt vmcnt(0)
	v_cvt_f32_u32_sdwa v27, v59 dst_sel:DWORD dst_unused:UNUSED_PAD src0_sel:WORD_1
	v_fma_f32 v11, -v9, v10, 1.0
	v_fmac_f32_e32 v10, v11, v10
	v_div_scale_f32 v11, vcc, v5, v8, v5
	v_mul_f32_e32 v12, v11, v10
	v_fma_f32 v13, -v9, v12, v11
	v_fmac_f32_e32 v12, v13, v10
	v_fma_f32 v9, -v9, v12, v11
	v_div_fmas_f32 v9, v9, v10, v12
	v_div_fixup_f32 v5, v9, v8, v5
	v_mov_b32_e32 v8, s13
	v_mov_b32_e32 v9, s12
	v_cndmask_b32_e64 v8, v8, v9, s[2:3]
	v_add_f32_e32 v5, v8, v5
	s_mov_b32 s2, 0x800000
	v_mul_f32_e32 v8, 0x4b800000, v5
	v_cmp_gt_f32_e32 vcc, s2, v5
	v_cndmask_b32_e32 v5, v5, v8, vcc
	v_rsq_f32_e32 v5, v5
	v_cvt_f32_u32_sdwa v26, v59 dst_sel:DWORD dst_unused:UNUSED_PAD src0_sel:WORD_0
	v_cvt_f32_u32_sdwa v29, v60 dst_sel:DWORD dst_unused:UNUSED_PAD src0_sel:WORD_1
	v_cvt_f32_u32_sdwa v28, v60 dst_sel:DWORD dst_unused:UNUSED_PAD src0_sel:WORD_0
	v_mul_f32_e32 v8, 0x45800000, v5
	v_cndmask_b32_e32 v8, v5, v8, vcc
	v_mov_b32_e32 v9, v8
	;;#ASMSTART
	v_pk_mul_f32 v[2:3], v[2:3], v[8:9]
	;;#ASMEND
	;;#ASMSTART
	v_pk_mul_f32 v[6:7], v[6:7], v[8:9]
	;;#ASMEND
	;; [unrolled: 3-line block ×9, first 2 shown]
	v_cvt_f32_u32_sdwa v17, v63 dst_sel:DWORD dst_unused:UNUSED_PAD src0_sel:WORD_1
	v_cvt_f32_u32_sdwa v16, v63 dst_sel:DWORD dst_unused:UNUSED_PAD src0_sel:WORD_0
	v_cvt_f32_u32_sdwa v25, v65 dst_sel:DWORD dst_unused:UNUSED_PAD src0_sel:WORD_1
	v_cvt_f32_u32_sdwa v24, v65 dst_sel:DWORD dst_unused:UNUSED_PAD src0_sel:WORD_0
	v_cvt_f32_u32_sdwa v31, v61 dst_sel:DWORD dst_unused:UNUSED_PAD src0_sel:WORD_1
	v_pk_add_f32 v[16:17], v[16:17], 1.0 op_sel_hi:[1,0]
	;;#ASMSTART
	v_pk_mul_f32 v[6:7], v[6:7], v[16:17]
	;;#ASMEND
	v_pk_add_f32 v[16:17], v[22:23], 1.0 op_sel_hi:[1,0]
	v_pk_add_f32 v[22:23], v[24:25], 1.0 op_sel_hi:[1,0]
	v_cvt_f32_u32_sdwa v25, v58 dst_sel:DWORD dst_unused:UNUSED_PAD src0_sel:WORD_1
	v_cvt_f32_u32_sdwa v24, v58 dst_sel:DWORD dst_unused:UNUSED_PAD src0_sel:WORD_0
	v_cvt_f32_u32_sdwa v30, v61 dst_sel:DWORD dst_unused:UNUSED_PAD src0_sel:WORD_0
	v_pk_add_f32 v[26:27], v[26:27], 1.0 op_sel_hi:[1,0]
	v_pk_add_f32 v[28:29], v[28:29], 1.0 op_sel_hi:[1,0]
	;; [unrolled: 1-line block ×4, first 2 shown]
	;;#ASMSTART
	v_pk_mul_f32 v[40:41], v[10:11], v[16:17]
	;;#ASMEND
	;;#ASMSTART
	v_pk_mul_f32 v[30:31], v[12:13], v[22:23]
	;;#ASMEND
	;; [unrolled: 3-line block ×6, first 2 shown]
	s_or_b64 exec, exec, s[28:29]
	s_mov_b64 s[2:3], -1
	s_and_b64 vcc, exec, s[22:23]
	s_cbranch_vccz .LBB916_15
.LBB916_19:
	s_and_saveexec_b64 s[2:3], s[0:1]
	s_cbranch_execz .LBB916_21
; %bb.20:
	s_mul_hi_i32 s23, s10, s6
	s_mul_i32 s22, s10, s6
	s_lshl_b64 s[22:23], s[22:23], 1
	s_add_u32 s28, s36, s22
	s_addc_u32 s7, s37, s23
	s_and_b32 s29, s7, 0xffff
	s_mov_b32 s7, 0x7060302
	s_mov_b32 s31, 0x20000
	v_perm_b32 v11, v31, v30, s7
	v_perm_b32 v10, v41, v40, s7
	;; [unrolled: 1-line block ×4, first 2 shown]
	v_lshlrev_b32_e32 v5, 5, v0
	buffer_store_dwordx4 v[8:11], v5, s[28:31], 0 offen
	;;#ASMSTART
	s_nop 0
	;;#ASMEND
	s_nop 0
	v_perm_b32 v11, v75, v74, s7
	v_perm_b32 v10, v21, v20, s7
	;; [unrolled: 1-line block ×4, first 2 shown]
	buffer_store_dwordx4 v[8:11], v5, s[28:31], 16 offen
	;;#ASMSTART
	s_nop 0
	;;#ASMEND
.LBB916_21:
	s_or_b64 exec, exec, s[2:3]
	s_cbranch_execnz .LBB916_16
.LBB916_22:
	v_mov_b32_e32 v5, 0
	s_and_saveexec_b64 s[2:3], s[0:1]
	s_cbranch_execz .LBB916_24
; %bb.23:
	v_and_b32_e32 v2, 0x7fffffff, v2
	v_and_b32_e32 v3, 0x7fffffff, v3
	v_mov_b32_e32 v11, 0x2edbe6ff
	;;#ASMSTART
	v_max3_f32 v2, v11, v2, v3

	;;#ASMEND
	v_and_b32_e32 v5, 0x7fffffff, v6
	v_and_b32_e32 v6, 0x7fffffff, v7
	;;#ASMSTART
	v_max3_f32 v2, v2, v5, v6

	;;#ASMEND
	v_and_b32_e32 v7, 0x7fffffff, v40
	v_and_b32_e32 v8, 0x7fffffff, v41
	;; [unrolled: 6-line block ×7, first 2 shown]
	;;#ASMSTART
	v_max3_f32 v5, v2, v3, v5

	;;#ASMEND
.LBB916_24:
	s_or_b64 exec, exec, s[2:3]
	v_cmp_eq_u32_e32 vcc, 0, v4
	v_cmp_gt_i32_e64 s[2:3], s15, v1
	;;#ASMSTART
	v_max_f32 v2, v5, v5 quad_perm:[1,0,3,2] row_mask:0xf bank_mask:0xf bound_ctrl:1
	;;#ASMEND
	s_and_b64 s[22:23], vcc, s[2:3]
	;;#ASMSTART
	v_max_f32 v3, v2, v2 quad_perm:[2,3,0,1] row_mask:0xf bank_mask:0xf bound_ctrl:1
	;;#ASMEND
	;;#ASMSTART
	v_max_f32 v2, v3, v3 row_half_mirror row_mask:0xf bank_mask:0xf bound_ctrl:1
	;;#ASMEND
	s_and_saveexec_b64 s[2:3], s[22:23]
	s_cbranch_execz .LBB916_26
; %bb.25:
	s_load_dwordx2 s[22:23], s[4:5], 0x8
	v_mul_f32_e32 v2, 0x3e2aaaab, v2
	v_lshrrev_b32_e32 v3, 23, v2
	v_and_b32_e32 v4, 0x7f800000, v2
	v_and_b32_e32 v2, 0x7fffff, v2
	v_cmp_ne_u32_e32 vcc, 0, v2
	s_mul_i32 s12, s25, s6
	s_mov_b32 s7, 0x7f800000
	v_addc_co_u32_e32 v2, vcc, 0, v3, vcc
	s_mul_hi_i32 s11, s25, s6
	s_waitcnt lgkmcnt(0)
	s_add_u32 s22, s22, s12
	v_cmp_ne_u32_e32 vcc, s7, v4
	s_addc_u32 s23, s23, s11
	v_lshrrev_b32_e32 v5, 3, v0
	v_cndmask_b32_e32 v4, -1, v2, vcc
	v_pk_mov_b32 v[2:3], s[22:23], s[22:23] op_sel:[0,1]
	v_mad_i64_i32 v[2:3], s[22:23], s26, v5, v[2:3]
	global_store_byte v[2:3], v4, off
.LBB916_26:
	s_or_b64 exec, exec, s[2:3]
	s_and_saveexec_b64 s[2:3], s[0:1]
	s_cbranch_execz .LBB916_28
; %bb.27:
	s_load_dwordx2 s[0:1], s[4:5], 0x0
	s_mul_i32 s11, s24, s6
	s_mul_hi_i32 s7, s24, s6
	v_mov_b32_e32 v2, 0
	v_lshlrev_b32_e32 v4, 3, v0
	s_waitcnt lgkmcnt(0)
	s_add_u32 s24, s0, s11
	s_addc_u32 s0, s1, s7
	s_lshr_b32 s1, s15, 31
	s_add_i32 s1, s15, s1
	s_ashr_i32 s1, s1, 1
	s_add_i32 s1, s1, 3
	s_ashr_i32 s7, s1, 31
	s_lshr_b32 s7, s7, 30
	s_add_i32 s1, s1, s7
	s_and_b32 s26, s1, -4
	s_and_b32 s25, s0, 0xffff
	s_mov_b32 s27, 0x20000
	v_mov_b32_e32 v3, v2
	buffer_store_dwordx2 v[2:3], v4, s[24:27], 0 offen
	;;#ASMSTART
	s_nop 0
	;;#ASMEND
.LBB916_28:
	s_or_b64 exec, exec, s[2:3]
	s_cmp_lt_i32 s16, 1
	s_cbranch_scc1 .LBB916_17
.LBB916_29:
	s_load_dword s0, s[4:5], 0x94
	s_waitcnt lgkmcnt(0)
	s_cmp_lg_u32 s0, 1
	s_cbranch_scc1 .LBB916_17
; %bb.30:
	s_lshl_b32 s0, s16, 1
	s_add_i32 s0, s0, 2
	v_cmp_gt_u32_e32 vcc, s16, v1
	s_and_b32 s22, s0, -4
	v_mov_b32_e32 v18, 0
	v_lshlrev_b32_e32 v1, 5, v0
	v_mov_b32_e32 v14, 0
	v_mov_b32_e32 v15, 0
	;; [unrolled: 1-line block ×16, first 2 shown]
	s_barrier
	s_and_saveexec_b64 s[0:1], vcc
	s_cbranch_execz .LBB916_32
; %bb.31:
	s_mul_hi_i32 s3, s18, s6
	s_mul_i32 s2, s18, s6
	s_and_b32 s21, s21, 0xffff
	s_lshl_b64 s[2:3], s[2:3], 1
	s_add_u32 s24, s34, s2
	s_mov_b32 s23, 0x20000
	s_addc_u32 s2, s35, s3
	s_and_b32 s25, s2, 0xffff
	s_mov_b32 s26, s22
	s_mov_b32 s27, s23
	buffer_load_dwordx4 v[14:17], v1, s[24:27], 0 offen
	buffer_load_dwordx4 v[10:13], v1, s[24:27], 16 offen
	;; [unrolled: 1-line block ×4, first 2 shown]
.LBB916_32:
	s_or_b64 exec, exec, s[0:1]
	v_mov_b32_e32 v19, 0
	v_mov_b32_e32 v32, 0
	;; [unrolled: 1-line block ×15, first 2 shown]
	s_and_saveexec_b64 s[0:1], vcc
	s_cbranch_execz .LBB916_34
; %bb.33:
	s_waitcnt vmcnt(3)
	v_cvt_f32_u32_sdwa v18, v14 dst_sel:DWORD dst_unused:UNUSED_PAD src0_sel:WORD_0
	v_cvt_f32_u32_sdwa v19, v14 dst_sel:DWORD dst_unused:UNUSED_PAD src0_sel:WORD_1
	v_cvt_f32_u32_sdwa v32, v15 dst_sel:DWORD dst_unused:UNUSED_PAD src0_sel:WORD_0
	v_cvt_f32_u32_sdwa v33, v15 dst_sel:DWORD dst_unused:UNUSED_PAD src0_sel:WORD_1
	;; [unrolled: 2-line block ×4, first 2 shown]
	s_waitcnt vmcnt(2)
	v_cvt_f32_u32_sdwa v26, v10 dst_sel:DWORD dst_unused:UNUSED_PAD src0_sel:WORD_0
	v_cvt_f32_u32_sdwa v27, v10 dst_sel:DWORD dst_unused:UNUSED_PAD src0_sel:WORD_1
	v_cvt_f32_u32_sdwa v24, v11 dst_sel:DWORD dst_unused:UNUSED_PAD src0_sel:WORD_0
	v_cvt_f32_u32_sdwa v25, v11 dst_sel:DWORD dst_unused:UNUSED_PAD src0_sel:WORD_1
	;; [unrolled: 2-line block ×4, first 2 shown]
.LBB916_34:
	s_or_b64 exec, exec, s[0:1]
	s_waitcnt vmcnt(2)
	v_mul_f32_e32 v10, v19, v19
	v_fmac_f32_e32 v10, v18, v18
	v_fmac_f32_e32 v10, v32, v32
	;; [unrolled: 1-line block ×15, first 2 shown]
	s_nop 1
	v_mov_b32_dpp v11, v10 quad_perm:[1,0,3,2] row_mask:0xf bank_mask:0xf
	v_add_f32_e32 v10, v10, v11
	s_nop 1
	v_mov_b32_dpp v11, v10 quad_perm:[2,3,0,1] row_mask:0xf bank_mask:0xf
	v_add_f32_e32 v10, v10, v11
	s_nop 1
	v_mov_b32_dpp v11, v10 row_half_mirror row_mask:0xf bank_mask:0xf
	v_add_f32_e32 v10, v10, v11
	s_nop 1
	v_mov_b32_dpp v11, v10 row_mirror row_mask:0xf bank_mask:0xf
	v_add_f32_e32 v10, v10, v11
	s_nop 1
	v_mov_b32_dpp v11, v10 row_bcast:15 row_mask:0xf bank_mask:0xf
	v_add_f32_e32 v10, v10, v11
	s_nop 1
	v_mov_b32_dpp v11, v10 row_bcast:31 row_mask:0xf bank_mask:0xf
	s_and_saveexec_b64 s[0:1], s[8:9]
	s_cbranch_execz .LBB916_36
; %bb.35:
	v_lshrrev_b32_e32 v0, 4, v0
	v_add_f32_e32 v10, v10, v11
	v_and_b32_e32 v0, 60, v0
	ds_write_b32 v0, v10
.LBB916_36:
	s_or_b64 exec, exec, s[0:1]
	s_waitcnt lgkmcnt(0)
	s_barrier
	ds_read_b32 v0, v34
	s_waitcnt lgkmcnt(0)
	s_nop 0
	v_mov_b32_dpp v10, v0 quad_perm:[1,0,3,2] row_mask:0xf bank_mask:0xf
	v_add_f32_e32 v0, v0, v10
	s_nop 1
	v_mov_b32_dpp v10, v0 quad_perm:[2,3,0,1] row_mask:0xf bank_mask:0xf
	v_add_f32_e32 v0, v0, v10
	s_nop 1
	v_mov_b32_dpp v10, v0 row_half_mirror row_mask:0xf bank_mask:0xf
	s_and_saveexec_b64 s[0:1], vcc
	s_cbranch_execz .LBB916_17
; %bb.37:
	v_cvt_f32_u32_e32 v11, s16
	v_add_f32_e32 v0, v0, v10
	s_mov_b32 s23, 0x20000
	v_div_scale_f32 v10, s[0:1], v11, v11, v0
	v_rcp_f32_e32 v12, v10
	v_div_scale_f32 v13, vcc, v0, v11, v0
	s_mov_b32 s0, 0x800000
	v_fma_f32 v14, -v10, v12, 1.0
	v_fmac_f32_e32 v12, v14, v12
	v_mul_f32_e32 v14, v13, v12
	v_fma_f32 v15, -v10, v14, v13
	v_fmac_f32_e32 v14, v15, v12
	v_fma_f32 v10, -v10, v14, v13
	v_div_fmas_f32 v10, v10, v12, v14
	v_div_fixup_f32 v0, v10, v11, v0
	v_add_f32_e32 v0, s13, v0
	v_mul_f32_e32 v10, 0x4b800000, v0
	v_cmp_gt_f32_e32 vcc, s0, v0
	v_cndmask_b32_e32 v0, v0, v10, vcc
	v_rsq_f32_e32 v0, v0
	s_mul_hi_i32 s1, s10, s6
	s_mul_i32 s0, s10, s6
	s_lshl_b64 s[0:1], s[0:1], 1
	v_mul_f32_e32 v10, 0x45800000, v0
	v_cndmask_b32_e32 v10, v0, v10, vcc
	v_mov_b32_e32 v11, v10
	;;#ASMSTART
	v_pk_mul_f32 v[12:13], v[18:19], v[10:11]
	;;#ASMEND
	;;#ASMSTART
	v_pk_mul_f32 v[14:15], v[32:33], v[10:11]
	;;#ASMEND
	;; [unrolled: 3-line block ×4, first 2 shown]
	s_waitcnt vmcnt(1)
	v_cvt_f32_u32_sdwa v29, v6 dst_sel:DWORD dst_unused:UNUSED_PAD src0_sel:WORD_1
	v_cvt_f32_u32_sdwa v28, v6 dst_sel:DWORD dst_unused:UNUSED_PAD src0_sel:WORD_0
	v_cvt_f32_u32_sdwa v31, v7 dst_sel:DWORD dst_unused:UNUSED_PAD src0_sel:WORD_1
	v_cvt_f32_u32_sdwa v30, v7 dst_sel:DWORD dst_unused:UNUSED_PAD src0_sel:WORD_0
	;;#ASMSTART
	v_pk_mul_f32 v[26:27], v[26:27], v[10:11]
	;;#ASMEND
	;;#ASMSTART
	v_pk_mul_f32 v[24:25], v[24:25], v[10:11]
	;;#ASMEND
	;; [unrolled: 3-line block ×4, first 2 shown]
	v_cvt_f32_u32_sdwa v21, v8 dst_sel:DWORD dst_unused:UNUSED_PAD src0_sel:WORD_1
	v_cvt_f32_u32_sdwa v20, v8 dst_sel:DWORD dst_unused:UNUSED_PAD src0_sel:WORD_0
	v_pk_add_f32 v[10:11], v[28:29], 1.0 op_sel_hi:[1,0]
	;;#ASMSTART
	v_pk_mul_f32 v[10:11], v[12:13], v[10:11]
	;;#ASMEND
	v_pk_add_f32 v[12:13], v[30:31], 1.0 op_sel_hi:[1,0]
	v_cvt_f32_u32_sdwa v29, v9 dst_sel:DWORD dst_unused:UNUSED_PAD src0_sel:WORD_1
	v_cvt_f32_u32_sdwa v28, v9 dst_sel:DWORD dst_unused:UNUSED_PAD src0_sel:WORD_0
	;;#ASMSTART
	v_pk_mul_f32 v[8:9], v[14:15], v[12:13]
	;;#ASMEND
	v_pk_add_f32 v[12:13], v[20:21], 1.0 op_sel_hi:[1,0]
	;;#ASMSTART
	v_pk_mul_f32 v[12:13], v[16:17], v[12:13]
	;;#ASMEND
	s_waitcnt vmcnt(0)
	v_cvt_f32_u32_sdwa v17, v2 dst_sel:DWORD dst_unused:UNUSED_PAD src0_sel:WORD_1
	v_cvt_f32_u32_sdwa v16, v2 dst_sel:DWORD dst_unused:UNUSED_PAD src0_sel:WORD_0
	v_cvt_f32_u32_sdwa v21, v3 dst_sel:DWORD dst_unused:UNUSED_PAD src0_sel:WORD_1
	v_cvt_f32_u32_sdwa v20, v3 dst_sel:DWORD dst_unused:UNUSED_PAD src0_sel:WORD_0
	v_pk_add_f32 v[14:15], v[28:29], 1.0 op_sel_hi:[1,0]
	;;#ASMSTART
	v_pk_mul_f32 v[14:15], v[18:19], v[14:15]
	;;#ASMEND
	v_pk_add_f32 v[2:3], v[16:17], 1.0 op_sel_hi:[1,0]
	v_cvt_f32_u32_sdwa v19, v4 dst_sel:DWORD dst_unused:UNUSED_PAD src0_sel:WORD_1
	v_cvt_f32_u32_sdwa v18, v4 dst_sel:DWORD dst_unused:UNUSED_PAD src0_sel:WORD_0
	;;#ASMSTART
	v_pk_mul_f32 v[16:17], v[26:27], v[2:3]
	;;#ASMEND
	v_pk_add_f32 v[2:3], v[20:21], 1.0 op_sel_hi:[1,0]
	v_cvt_f32_u32_sdwa v21, v5 dst_sel:DWORD dst_unused:UNUSED_PAD src0_sel:WORD_1
	v_cvt_f32_u32_sdwa v20, v5 dst_sel:DWORD dst_unused:UNUSED_PAD src0_sel:WORD_0
	s_add_u32 s20, s36, s0
	;;#ASMSTART
	v_pk_mul_f32 v[24:25], v[24:25], v[2:3]
	;;#ASMEND
	v_pk_add_f32 v[2:3], v[18:19], 1.0 op_sel_hi:[1,0]
	s_addc_u32 s0, s37, s1
	;;#ASMSTART
	v_pk_mul_f32 v[18:19], v[22:23], v[2:3]
	;;#ASMEND
	v_pk_add_f32 v[2:3], v[20:21], 1.0 op_sel_hi:[1,0]
	s_and_b32 s21, s0, 0xffff
	s_mov_b32 s0, 0x7060302
	;;#ASMSTART
	v_pk_mul_f32 v[6:7], v[6:7], v[2:3]
	;;#ASMEND
	v_perm_b32 v2, v11, v10, s0
	v_perm_b32 v3, v9, v8, s0
	;; [unrolled: 1-line block ×4, first 2 shown]
	buffer_store_dwordx4 v[2:5], v1, s[20:23], 0 offen
	;;#ASMSTART
	s_nop 0
	;;#ASMEND
	s_nop 0
	v_perm_b32 v2, v17, v16, s0
	v_perm_b32 v3, v25, v24, s0
	;; [unrolled: 1-line block ×4, first 2 shown]
	buffer_store_dwordx4 v[2:5], v1, s[20:23], 16 offen
	;;#ASMSTART
	s_nop 0
	;;#ASMEND
	s_endpgm
	.section	.rodata,"a",@progbits
	.p2align	6, 0x0
	.amdhsa_kernel _ZN5aiter35fused_qk_rmsnorm_group_quant_kernelItN4opus5fp4_tELi512ELi16ELi8ELb1ELb0ELb1ELb0ELb0ELb0EEEvPT0_PvPT_S7_S7_PKS6_S9_S9_S9_S9_ffiiiiiiiiiiiii
		.amdhsa_group_segment_fixed_size 64
		.amdhsa_private_segment_fixed_size 0
		.amdhsa_kernarg_size 400
		.amdhsa_user_sgpr_count 6
		.amdhsa_user_sgpr_private_segment_buffer 1
		.amdhsa_user_sgpr_dispatch_ptr 0
		.amdhsa_user_sgpr_queue_ptr 0
		.amdhsa_user_sgpr_kernarg_segment_ptr 1
		.amdhsa_user_sgpr_dispatch_id 0
		.amdhsa_user_sgpr_flat_scratch_init 0
		.amdhsa_user_sgpr_kernarg_preload_length 0
		.amdhsa_user_sgpr_kernarg_preload_offset 0
		.amdhsa_user_sgpr_private_segment_size 0
		.amdhsa_uses_dynamic_stack 0
		.amdhsa_system_sgpr_private_segment_wavefront_offset 0
		.amdhsa_system_sgpr_workgroup_id_x 1
		.amdhsa_system_sgpr_workgroup_id_y 1
		.amdhsa_system_sgpr_workgroup_id_z 0
		.amdhsa_system_sgpr_workgroup_info 0
		.amdhsa_system_vgpr_workitem_id 0
		.amdhsa_next_free_vgpr 76
		.amdhsa_next_free_sgpr 40
		.amdhsa_accum_offset 76
		.amdhsa_reserve_vcc 1
		.amdhsa_reserve_flat_scratch 0
		.amdhsa_float_round_mode_32 0
		.amdhsa_float_round_mode_16_64 0
		.amdhsa_float_denorm_mode_32 3
		.amdhsa_float_denorm_mode_16_64 3
		.amdhsa_dx10_clamp 1
		.amdhsa_ieee_mode 1
		.amdhsa_fp16_overflow 0
		.amdhsa_tg_split 0
		.amdhsa_exception_fp_ieee_invalid_op 0
		.amdhsa_exception_fp_denorm_src 0
		.amdhsa_exception_fp_ieee_div_zero 0
		.amdhsa_exception_fp_ieee_overflow 0
		.amdhsa_exception_fp_ieee_underflow 0
		.amdhsa_exception_fp_ieee_inexact 0
		.amdhsa_exception_int_div_zero 0
	.end_amdhsa_kernel
	.section	.text._ZN5aiter35fused_qk_rmsnorm_group_quant_kernelItN4opus5fp4_tELi512ELi16ELi8ELb1ELb0ELb1ELb0ELb0ELb0EEEvPT0_PvPT_S7_S7_PKS6_S9_S9_S9_S9_ffiiiiiiiiiiiii,"axG",@progbits,_ZN5aiter35fused_qk_rmsnorm_group_quant_kernelItN4opus5fp4_tELi512ELi16ELi8ELb1ELb0ELb1ELb0ELb0ELb0EEEvPT0_PvPT_S7_S7_PKS6_S9_S9_S9_S9_ffiiiiiiiiiiiii,comdat
.Lfunc_end916:
	.size	_ZN5aiter35fused_qk_rmsnorm_group_quant_kernelItN4opus5fp4_tELi512ELi16ELi8ELb1ELb0ELb1ELb0ELb0ELb0EEEvPT0_PvPT_S7_S7_PKS6_S9_S9_S9_S9_ffiiiiiiiiiiiii, .Lfunc_end916-_ZN5aiter35fused_qk_rmsnorm_group_quant_kernelItN4opus5fp4_tELi512ELi16ELi8ELb1ELb0ELb1ELb0ELb0ELb0EEEvPT0_PvPT_S7_S7_PKS6_S9_S9_S9_S9_ffiiiiiiiiiiiii
                                        ; -- End function
	.section	.AMDGPU.csdata,"",@progbits
; Kernel info:
; codeLenInByte = 3932
; NumSgprs: 44
; NumVgprs: 76
; NumAgprs: 0
; TotalNumVgprs: 76
; ScratchSize: 0
; MemoryBound: 0
; FloatMode: 240
; IeeeMode: 1
; LDSByteSize: 64 bytes/workgroup (compile time only)
; SGPRBlocks: 5
; VGPRBlocks: 9
; NumSGPRsForWavesPerEU: 44
; NumVGPRsForWavesPerEU: 76
; AccumOffset: 76
; Occupancy: 6
; WaveLimiterHint : 0
; COMPUTE_PGM_RSRC2:SCRATCH_EN: 0
; COMPUTE_PGM_RSRC2:USER_SGPR: 6
; COMPUTE_PGM_RSRC2:TRAP_HANDLER: 0
; COMPUTE_PGM_RSRC2:TGID_X_EN: 1
; COMPUTE_PGM_RSRC2:TGID_Y_EN: 1
; COMPUTE_PGM_RSRC2:TGID_Z_EN: 0
; COMPUTE_PGM_RSRC2:TIDIG_COMP_CNT: 0
; COMPUTE_PGM_RSRC3_GFX90A:ACCUM_OFFSET: 18
; COMPUTE_PGM_RSRC3_GFX90A:TG_SPLIT: 0
	.section	.text._ZN5aiter35fused_qk_rmsnorm_group_quant_kernelIDF16_DB8_Li512ELi16ELi8ELb1ELb0ELb0ELb0ELb0ELb0EEEvPT0_PvPT_S6_S6_PKS5_S8_S8_S8_S8_ffiiiiiiiiiiiii,"axG",@progbits,_ZN5aiter35fused_qk_rmsnorm_group_quant_kernelIDF16_DB8_Li512ELi16ELi8ELb1ELb0ELb0ELb0ELb0ELb0EEEvPT0_PvPT_S6_S6_PKS5_S8_S8_S8_S8_ffiiiiiiiiiiiii,comdat
	.protected	_ZN5aiter35fused_qk_rmsnorm_group_quant_kernelIDF16_DB8_Li512ELi16ELi8ELb1ELb0ELb0ELb0ELb0ELb0EEEvPT0_PvPT_S6_S6_PKS5_S8_S8_S8_S8_ffiiiiiiiiiiiii ; -- Begin function _ZN5aiter35fused_qk_rmsnorm_group_quant_kernelIDF16_DB8_Li512ELi16ELi8ELb1ELb0ELb0ELb0ELb0ELb0EEEvPT0_PvPT_S6_S6_PKS5_S8_S8_S8_S8_ffiiiiiiiiiiiii
	.globl	_ZN5aiter35fused_qk_rmsnorm_group_quant_kernelIDF16_DB8_Li512ELi16ELi8ELb1ELb0ELb0ELb0ELb0ELb0EEEvPT0_PvPT_S6_S6_PKS5_S8_S8_S8_S8_ffiiiiiiiiiiiii
	.p2align	8
	.type	_ZN5aiter35fused_qk_rmsnorm_group_quant_kernelIDF16_DB8_Li512ELi16ELi8ELb1ELb0ELb0ELb0ELb0ELb0EEEvPT0_PvPT_S6_S6_PKS5_S8_S8_S8_S8_ffiiiiiiiiiiiii,@function
_ZN5aiter35fused_qk_rmsnorm_group_quant_kernelIDF16_DB8_Li512ELi16ELi8ELb1ELb0ELb0ELb0ELb0ELb0EEEvPT0_PvPT_S6_S6_PKS5_S8_S8_S8_S8_ffiiiiiiiiiiiii: ; @_ZN5aiter35fused_qk_rmsnorm_group_quant_kernelIDF16_DB8_Li512ELi16ELi8ELb1ELb0ELb0ELb0ELb0ELb0EEEvPT0_PvPT_S6_S6_PKS5_S8_S8_S8_S8_ffiiiiiiiiiiiii
; %bb.0:
	s_load_dwordx8 s[12:19], s[4:5], 0x50
	s_waitcnt lgkmcnt(0)
	s_cmp_ge_i32 s6, s14
	s_cbranch_scc1 .LBB917_17
; %bb.1:
	s_cmp_lg_u32 s7, 0
	s_cselect_b64 s[10:11], -1, 0
	s_cmp_eq_u32 s7, 0
	s_cselect_b64 s[8:9], -1, 0
	s_and_b64 s[0:1], s[8:9], exec
	s_load_dwordx2 s[20:21], s[4:5], 0x48
	s_load_dwordx2 s[36:37], s[4:5], 0x30
	s_load_dwordx4 s[24:27], s[4:5], 0x70
	s_cselect_b32 s7, s15, s16
	s_add_i32 s0, s7, 1
	s_lshr_b32 s1, s0, 31
	s_add_i32 s0, s0, s1
	s_lshl_b32 s0, s0, 1
	v_lshlrev_b32_e32 v1, 4, v0
	s_and_b32 s30, s0, -4
	v_cmp_gt_i32_e64 s[0:1], s7, v1
	v_mov_b32_e32 v80, 0
	v_mov_b32_e32 v81, 0
	;; [unrolled: 1-line block ×16, first 2 shown]
	s_and_saveexec_b64 s[2:3], s[0:1]
	s_cbranch_execz .LBB917_3
; %bb.2:
	s_load_dwordx2 s[22:23], s[4:5], 0x28
	s_load_dwordx2 s[28:29], s[4:5], 0x40
	s_and_b64 s[34:35], s[8:9], exec
	s_cselect_b32 s14, s17, s18
	s_mov_b32 s31, 0x20000
	s_waitcnt lgkmcnt(0)
	s_cselect_b32 s17, s23, s37
	s_cselect_b32 s27, s22, s36
	s_mul_hi_i32 s23, s14, s6
	s_mul_i32 s22, s14, s6
	s_lshl_b64 s[22:23], s[22:23], 1
	s_add_u32 s40, s27, s22
	s_addc_u32 s14, s17, s23
	s_and_b64 s[22:23], s[8:9], exec
	s_cselect_b32 s28, s28, s20
	s_cselect_b32 s17, s29, s21
	s_and_b32 s41, s14, 0xffff
	s_mov_b32 s42, s30
	s_mov_b32 s43, s31
	v_lshlrev_b32_e32 v2, 5, v0
	s_and_b32 s29, s17, 0xffff
	buffer_load_dwordx4 v[84:87], v2, s[40:43], 0 offen
	buffer_load_dwordx4 v[88:91], v2, s[40:43], 16 offen
	;; [unrolled: 1-line block ×4, first 2 shown]
.LBB917_3:
	s_or_b64 exec, exec, s[2:3]
	s_load_dwordx2 s[34:35], s[4:5], 0x80
	s_and_b64 vcc, exec, s[10:11]
	s_cbranch_vccz .LBB917_7
; %bb.4:
	v_mov_b32_e32 v93, 0
	v_mov_b32_e32 v92, 0
	;; [unrolled: 1-line block ×16, first 2 shown]
	s_and_saveexec_b64 s[2:3], s[0:1]
	s_cbranch_execz .LBB917_6
; %bb.5:
	s_waitcnt vmcnt(3)
	v_cvt_f32_f16_sdwa v59, v84 dst_sel:DWORD dst_unused:UNUSED_PAD src0_sel:WORD_1
	v_cvt_f32_f16_e32 v58, v84
	v_cvt_f32_f16_sdwa v29, v85 dst_sel:DWORD dst_unused:UNUSED_PAD src0_sel:WORD_1
	v_cvt_f32_f16_e32 v28, v85
	;; [unrolled: 2-line block ×4, first 2 shown]
	s_waitcnt vmcnt(2)
	v_cvt_f32_f16_sdwa v69, v88 dst_sel:DWORD dst_unused:UNUSED_PAD src0_sel:WORD_1
	v_cvt_f32_f16_e32 v68, v88
	v_cvt_f32_f16_sdwa v41, v89 dst_sel:DWORD dst_unused:UNUSED_PAD src0_sel:WORD_1
	v_cvt_f32_f16_e32 v40, v89
	;; [unrolled: 2-line block ×4, first 2 shown]
.LBB917_6:
	s_or_b64 exec, exec, s[2:3]
	s_cbranch_execz .LBB917_8
	s_branch .LBB917_11
.LBB917_7:
                                        ; implicit-def: $vgpr26_vgpr27_vgpr28_vgpr29_vgpr30_vgpr31_vgpr32_vgpr33_vgpr34_vgpr35_vgpr36_vgpr37_vgpr38_vgpr39_vgpr40_vgpr41
                                        ; implicit-def: $vgpr58_vgpr59_vgpr60_vgpr61_vgpr62_vgpr63_vgpr64_vgpr65_vgpr66_vgpr67_vgpr68_vgpr69_vgpr70_vgpr71_vgpr72_vgpr73
                                        ; implicit-def: $vgpr42_vgpr43_vgpr44_vgpr45_vgpr46_vgpr47_vgpr48_vgpr49_vgpr50_vgpr51_vgpr52_vgpr53_vgpr54_vgpr55_vgpr56_vgpr57
                                        ; implicit-def: $vgpr12_vgpr13_vgpr14_vgpr15_vgpr16_vgpr17_vgpr18_vgpr19_vgpr20_vgpr21_vgpr22_vgpr23_vgpr24_vgpr25_vgpr26_vgpr27
                                        ; implicit-def: $vgpr93
                                        ; implicit-def: $vgpr60_vgpr61_vgpr62_vgpr63_vgpr64_vgpr65_vgpr66_vgpr67_vgpr68_vgpr69_vgpr70_vgpr71_vgpr72_vgpr73_vgpr74_vgpr75
                                        ; implicit-def: $vgpr30_vgpr31_vgpr32_vgpr33_vgpr34_vgpr35_vgpr36_vgpr37_vgpr38_vgpr39_vgpr40_vgpr41_vgpr42_vgpr43_vgpr44_vgpr45
                                        ; implicit-def: $vgpr2_vgpr3_vgpr4_vgpr5_vgpr6_vgpr7_vgpr8_vgpr9_vgpr10_vgpr11_vgpr12_vgpr13_vgpr14_vgpr15_vgpr16_vgpr17
.LBB917_8:
	v_mov_b32_e32 v93, 0
	v_mov_b32_e32 v92, 0
	;; [unrolled: 1-line block ×16, first 2 shown]
	s_and_saveexec_b64 s[2:3], s[0:1]
	s_cbranch_execz .LBB917_10
; %bb.9:
	s_load_dwordx2 s[22:23], s[4:5], 0x38
	s_mul_hi_i32 s29, s19, s6
	s_mul_i32 s28, s19, s6
	s_lshl_b64 s[28:29], s[28:29], 1
	s_mov_b32 s31, 0x20000
	s_waitcnt lgkmcnt(0)
	s_add_u32 s28, s22, s28
	s_addc_u32 s14, s23, s29
	s_and_b32 s29, s14, 0xffff
	v_lshlrev_b32_e32 v38, 5, v0
	buffer_load_dwordx4 v[6:9], v38, s[28:31], 16 offen
	buffer_load_dwordx4 v[10:13], v38, s[28:31], 0 offen
	s_waitcnt vmcnt(5)
	v_cvt_f32_f16_sdwa v19, v86 dst_sel:DWORD dst_unused:UNUSED_PAD src0_sel:WORD_1
	v_cvt_f32_f16_e32 v18, v86
	v_cvt_f32_f16_sdwa v25, v87 dst_sel:DWORD dst_unused:UNUSED_PAD src0_sel:WORD_1
	v_cvt_f32_f16_e32 v24, v87
	;; [unrolled: 2-line block ×4, first 2 shown]
	s_load_dwordx2 s[22:23], s[4:5], 0x20
	s_waitcnt vmcnt(4)
	v_cvt_f32_f16_sdwa v3, v88 dst_sel:DWORD dst_unused:UNUSED_PAD src0_sel:WORD_1
	v_cvt_f32_f16_e32 v2, v88
	v_cvt_f32_f16_sdwa v5, v89 dst_sel:DWORD dst_unused:UNUSED_PAD src0_sel:WORD_1
	v_cvt_f32_f16_e32 v4, v89
	;; [unrolled: 2-line block ×4, first 2 shown]
	s_mul_hi_i32 s29, s35, s6
	s_mul_i32 s28, s35, s6
	s_lshl_b64 s[28:29], s[28:29], 1
	s_waitcnt lgkmcnt(0)
	s_add_u32 s28, s22, s28
	s_addc_u32 s14, s23, s29
	s_and_b32 s29, s14, 0xffff
	s_waitcnt vmcnt(1)
	v_cvt_f32_f16_e32 v26, v6
	v_cvt_f32_f16_sdwa v27, v6 dst_sel:DWORD dst_unused:UNUSED_PAD src0_sel:WORD_1
	v_cvt_f32_f16_e32 v30, v7
	v_cvt_f32_f16_sdwa v31, v7 dst_sel:DWORD dst_unused:UNUSED_PAD src0_sel:WORD_1
	;; [unrolled: 2-line block ×4, first 2 shown]
	s_waitcnt vmcnt(0)
	v_cvt_f32_f16_e32 v6, v12
	v_cvt_f32_f16_sdwa v7, v12 dst_sel:DWORD dst_unused:UNUSED_PAD src0_sel:WORD_1
	v_cvt_f32_f16_e32 v8, v13
	v_cvt_f32_f16_sdwa v9, v13 dst_sel:DWORD dst_unused:UNUSED_PAD src0_sel:WORD_1
	;; [unrolled: 2-line block ×4, first 2 shown]
	v_pk_add_f32 v[46:47], v[18:19], v[6:7]
	v_pk_add_f32 v[18:19], v[24:25], v[8:9]
	v_cvt_f16_f32_e32 v6, v47
	v_cvt_f16_f32_e32 v7, v19
	;; [unrolled: 1-line block ×4, first 2 shown]
	v_pk_add_f32 v[28:29], v[22:23], v[10:11]
	v_pk_add_f32 v[58:59], v[20:21], v[36:37]
	v_pack_b32_f16 v9, v8, v7
	v_pack_b32_f16 v8, v12, v6
	v_cvt_f16_f32_e32 v6, v29
	v_cvt_f16_f32_e32 v7, v28
	;; [unrolled: 1-line block ×3, first 2 shown]
	v_pk_add_f32 v[92:93], v[16:17], v[34:35]
	v_pk_add_f32 v[14:15], v[14:15], v[32:33]
	v_pack_b32_f16 v7, v7, v6
	v_cvt_f16_f32_e32 v6, v59
	v_pk_add_f32 v[40:41], v[4:5], v[30:31]
	v_pk_add_f32 v[68:69], v[2:3], v[26:27]
	v_cvt_f16_f32_e32 v4, v40
	v_pack_b32_f16 v6, v10, v6
	buffer_store_dwordx4 v[6:9], v38, s[28:31], 0 offen
	v_cvt_f16_f32_e32 v5, v41
	v_cvt_f16_f32_e32 v6, v14
	;; [unrolled: 1-line block ×7, first 2 shown]
	v_pack_b32_f16 v7, v7, v8
	v_pack_b32_f16 v6, v6, v9
	v_pack_b32_f16 v5, v4, v5
	v_pack_b32_f16 v4, v2, v3
	;;#ASMSTART
	s_nop 0
	;;#ASMEND
	buffer_store_dwordx4 v[4:7], v38, s[28:31], 16 offen
	;;#ASMSTART
	s_nop 0
	;;#ASMEND
.LBB917_10:
	s_or_b64 exec, exec, s[2:3]
.LBB917_11:
	v_mul_f32_e32 v2, v59, v59
	v_fmac_f32_e32 v2, v58, v58
	v_fmac_f32_e32 v2, v28, v28
	;; [unrolled: 1-line block ×15, first 2 shown]
	s_nop 1
	v_mov_b32_dpp v3, v2 quad_perm:[1,0,3,2] row_mask:0xf bank_mask:0xf
	v_add_f32_e32 v2, v2, v3
	s_nop 1
	v_mov_b32_dpp v3, v2 quad_perm:[2,3,0,1] row_mask:0xf bank_mask:0xf
	v_add_f32_e32 v2, v2, v3
	s_nop 1
	v_mov_b32_dpp v3, v2 row_half_mirror row_mask:0xf bank_mask:0xf
	v_add_f32_e32 v2, v2, v3
	s_nop 1
	v_mov_b32_dpp v3, v2 row_mirror row_mask:0xf bank_mask:0xf
	v_add_f32_e32 v2, v2, v3
	s_nop 1
	v_mov_b32_dpp v3, v2 row_bcast:15 row_mask:0xf bank_mask:0xf
	v_add_f32_e32 v2, v2, v3
	v_and_b32_e32 v3, 63, v0
	v_cmp_eq_u32_e64 s[2:3], 63, v3
	s_nop 0
	v_mov_b32_dpp v3, v2 row_bcast:31 row_mask:0xf bank_mask:0xf
	s_and_saveexec_b64 s[22:23], s[2:3]
	s_cbranch_execz .LBB917_13
; %bb.12:
	v_add_f32_e32 v2, v2, v3
	v_lshrrev_b32_e32 v3, 4, v0
	v_and_b32_e32 v3, 60, v3
	ds_write_b32 v3, v2 offset:32
.LBB917_13:
	s_or_b64 exec, exec, s[22:23]
	v_and_b32_e32 v2, 7, v0
	v_lshlrev_b32_e32 v34, 2, v2
	s_waitcnt lgkmcnt(0)
	s_barrier
	ds_read_b32 v3, v34 offset:32
	s_load_dwordx2 s[38:39], s[4:5], 0x18
	s_waitcnt lgkmcnt(0)
	v_mov_b32_dpp v4, v3 quad_perm:[1,0,3,2] row_mask:0xf bank_mask:0xf
	v_add_f32_e32 v3, v3, v4
	s_nop 1
	v_mov_b32_dpp v4, v3 quad_perm:[2,3,0,1] row_mask:0xf bank_mask:0xf
	v_add_f32_e32 v3, v3, v4
	s_nop 1
	v_mov_b32_dpp v4, v3 row_half_mirror row_mask:0xf bank_mask:0xf
	s_and_saveexec_b64 s[22:23], s[0:1]
	s_cbranch_execnz .LBB917_18
; %bb.14:
	s_or_b64 exec, exec, s[22:23]
	s_mov_b64 s[8:9], -1
	s_and_b64 vcc, exec, s[10:11]
	s_cbranch_vccnz .LBB917_19
.LBB917_15:
	s_andn2_b64 vcc, exec, s[8:9]
	s_cbranch_vccz .LBB917_22
.LBB917_16:
	s_cmp_lt_i32 s16, 1
	s_cbranch_scc0 .LBB917_29
.LBB917_17:
	s_endpgm
.LBB917_18:
	v_add_f32_e32 v3, v3, v4
	v_cvt_f32_u32_e32 v4, s7
	s_mov_b32 s7, 0x800000
	s_waitcnt vmcnt(1)
	v_cvt_f32_f16_sdwa v23, v81 dst_sel:DWORD dst_unused:UNUSED_PAD src0_sel:WORD_1
	v_cvt_f32_f16_e32 v22, v81
	v_div_scale_f32 v5, s[28:29], v4, v4, v3
	v_rcp_f32_e32 v6, v5
	s_waitcnt vmcnt(0)
	v_cvt_f32_f16_sdwa v25, v77 dst_sel:DWORD dst_unused:UNUSED_PAD src0_sel:WORD_1
	v_cvt_f32_f16_e32 v24, v77
	v_cvt_f32_f16_sdwa v27, v78 dst_sel:DWORD dst_unused:UNUSED_PAD src0_sel:WORD_1
	v_fma_f32 v7, -v5, v6, 1.0
	v_fmac_f32_e32 v6, v7, v6
	v_div_scale_f32 v7, vcc, v3, v4, v3
	v_mul_f32_e32 v8, v7, v6
	v_fma_f32 v9, -v5, v8, v7
	v_fmac_f32_e32 v8, v9, v6
	v_fma_f32 v5, -v5, v8, v7
	v_div_fmas_f32 v5, v5, v6, v8
	v_div_fixup_f32 v3, v5, v4, v3
	v_mov_b32_e32 v4, s13
	v_mov_b32_e32 v5, s12
	v_cndmask_b32_e64 v4, v4, v5, s[8:9]
	v_add_f32_e32 v3, v4, v3
	v_mul_f32_e32 v4, 0x4b800000, v3
	v_cmp_gt_f32_e32 vcc, s7, v3
	v_cndmask_b32_e32 v3, v3, v4, vcc
	v_rsq_f32_e32 v3, v3
	v_cvt_f32_f16_e32 v26, v78
	v_cvt_f32_f16_sdwa v31, v79 dst_sel:DWORD dst_unused:UNUSED_PAD src0_sel:WORD_1
	v_cvt_f32_f16_e32 v30, v79
	v_mul_f32_e32 v4, 0x45800000, v3
	v_cndmask_b32_e32 v4, v3, v4, vcc
	v_mov_b32_e32 v5, v4
	;;#ASMSTART
	v_pk_mul_f32 v[6:7], v[58:59], v[4:5]
	;;#ASMEND
	;;#ASMSTART
	v_pk_mul_f32 v[8:9], v[28:29], v[4:5]
	;;#ASMEND
	;; [unrolled: 3-line block ×6, first 2 shown]
	v_cvt_f32_f16_sdwa v19, v80 dst_sel:DWORD dst_unused:UNUSED_PAD src0_sel:WORD_1
	v_cvt_f32_f16_e32 v18, v80
	;;#ASMSTART
	v_pk_mul_f32 v[14:15], v[14:15], v[4:5]
	;;#ASMEND
	;;#ASMSTART
	v_pk_mul_f32 v[4:5], v[92:93], v[4:5]
	;;#ASMEND
	;; [unrolled: 3-line block ×4, first 2 shown]
	v_cvt_f32_f16_sdwa v7, v82 dst_sel:DWORD dst_unused:UNUSED_PAD src0_sel:WORD_1
	v_cvt_f32_f16_e32 v6, v82
	v_cvt_f32_f16_sdwa v9, v83 dst_sel:DWORD dst_unused:UNUSED_PAD src0_sel:WORD_1
	v_cvt_f32_f16_e32 v8, v83
	;; [unrolled: 2-line block ×3, first 2 shown]
	;;#ASMSTART
	v_pk_mul_f32 v[46:47], v[10:11], v[6:7]
	;;#ASMEND
	;;#ASMSTART
	v_pk_mul_f32 v[18:19], v[12:13], v[8:9]
	;;#ASMEND
	;; [unrolled: 3-line block ×6, first 2 shown]
	s_or_b64 exec, exec, s[22:23]
	s_mov_b64 s[8:9], -1
	s_and_b64 vcc, exec, s[10:11]
	s_cbranch_vccz .LBB917_15
.LBB917_19:
	s_and_saveexec_b64 s[8:9], s[0:1]
	s_cbranch_execz .LBB917_21
; %bb.20:
	v_cvt_f16_f32_e32 v3, v46
	v_cvt_f16_f32_e32 v4, v18
	;; [unrolled: 1-line block ×4, first 2 shown]
	s_mul_hi_i32 s11, s34, s6
	s_mul_i32 s10, s34, s6
	v_pack_b32_f16 v7, v4, v5
	v_pack_b32_f16 v6, v3, v6
	v_cvt_f16_f32_e32 v3, v28
	v_cvt_f16_f32_e32 v4, v29
	s_lshl_b64 s[10:11], s[10:11], 1
	s_add_u32 s28, s38, s10
	s_addc_u32 s7, s39, s11
	v_pack_b32_f16 v5, v3, v4
	v_cvt_f16_f32_e32 v3, v58
	v_cvt_f16_f32_e32 v4, v59
	s_and_b32 s29, s7, 0xffff
	s_mov_b32 s31, 0x20000
	v_cvt_f16_f32_e32 v8, v15
	v_pack_b32_f16 v4, v3, v4
	v_lshlrev_b32_e32 v3, 5, v0
	buffer_store_dwordx4 v[4:7], v3, s[28:31], 0 offen
	;;#ASMSTART
	s_nop 0
	;;#ASMEND
	s_nop 0
	v_cvt_f16_f32_e32 v4, v14
	v_cvt_f16_f32_e32 v5, v92
	;; [unrolled: 1-line block ×3, first 2 shown]
	v_pack_b32_f16 v7, v5, v6
	v_pack_b32_f16 v6, v4, v8
	v_cvt_f16_f32_e32 v4, v40
	v_cvt_f16_f32_e32 v5, v41
	;; [unrolled: 1-line block ×3, first 2 shown]
	v_pack_b32_f16 v5, v4, v5
	v_cvt_f16_f32_e32 v4, v68
	v_pack_b32_f16 v4, v4, v8
	buffer_store_dwordx4 v[4:7], v3, s[28:31], 16 offen
	;;#ASMSTART
	s_nop 0
	;;#ASMEND
.LBB917_21:
	s_or_b64 exec, exec, s[8:9]
	s_cbranch_execnz .LBB917_16
.LBB917_22:
	v_mov_b32_e32 v3, 0
	s_and_saveexec_b64 s[8:9], s[0:1]
	s_cbranch_execz .LBB917_24
; %bb.23:
	v_and_b32_e32 v3, 0x7fffffff, v58
	v_and_b32_e32 v4, 0x7fffffff, v59
	v_mov_b32_e32 v5, 0x2edbe6ff
	;;#ASMSTART
	v_max3_f32 v3, v5, v3, v4

	;;#ASMEND
	v_and_b32_e32 v4, 0x7fffffff, v28
	v_and_b32_e32 v5, 0x7fffffff, v29
	;;#ASMSTART
	v_max3_f32 v3, v3, v4, v5

	;;#ASMEND
	v_and_b32_e32 v4, 0x7fffffff, v46
	v_and_b32_e32 v5, 0x7fffffff, v47
	;; [unrolled: 6-line block ×7, first 2 shown]
	;;#ASMSTART
	v_max3_f32 v3, v3, v4, v5

	;;#ASMEND
.LBB917_24:
	s_or_b64 exec, exec, s[8:9]
	;;#ASMSTART
	v_max_f32 v4, v3, v3 quad_perm:[1,0,3,2] row_mask:0xf bank_mask:0xf bound_ctrl:1
	;;#ASMEND
	;;#ASMSTART
	v_max_f32 v3, v4, v4 quad_perm:[2,3,0,1] row_mask:0xf bank_mask:0xf bound_ctrl:1
	;;#ASMEND
	v_cmp_eq_u32_e32 vcc, 0, v2
	v_cmp_gt_i32_e64 s[8:9], s15, v1
	;;#ASMSTART
	v_max_f32 v4, v3, v3 row_half_mirror row_mask:0xf bank_mask:0xf bound_ctrl:1
	;;#ASMEND
	v_mul_f32_e32 v3, 0x3b124925, v4
	s_and_b64 s[10:11], vcc, s[8:9]
	s_and_saveexec_b64 s[8:9], s[10:11]
	s_cbranch_execz .LBB917_26
; %bb.25:
	s_load_dwordx2 s[10:11], s[4:5], 0x8
	s_mul_hi_i32 s23, s25, s6
	s_mul_i32 s22, s25, s6
	v_lshrrev_b32_e32 v2, 3, v0
	s_lshl_b64 s[22:23], s[22:23], 2
	v_mad_i64_i32 v[4:5], s[26:27], s26, v2, 0
	s_waitcnt lgkmcnt(0)
	s_add_u32 s7, s10, s22
	s_addc_u32 s10, s11, s23
	v_lshlrev_b64 v[4:5], 2, v[4:5]
	v_mov_b32_e32 v2, s10
	v_add_co_u32_e32 v4, vcc, s7, v4
	v_addc_co_u32_e32 v5, vcc, v2, v5, vcc
	global_store_dword v[4:5], v3, off
.LBB917_26:
	s_or_b64 exec, exec, s[8:9]
	;;#ASMSTART
	v_rcp_f32 v2, v3
	;;#ASMEND
	s_and_saveexec_b64 s[22:23], s[0:1]
	s_cbranch_execz .LBB917_28
; %bb.27:
	v_mov_b32_e32 v3, v2
	;;#ASMSTART
	v_pk_mul_f32 v[4:5], v[58:59], v[2:3]
	;;#ASMEND
	v_mov_b32_e32 v10, 0xc3e00000
	v_mov_b32_e32 v11, 0x43e00000
	;;#ASMSTART
	v_med3_f32 v4, v4, v10, v11
v_med3_f32 v5, v5, v10, v11
v_cvt_pk_fp8_f32 v6, v4, v5
	;;#ASMEND
	;;#ASMSTART
	v_pk_mul_f32 v[4:5], v[28:29], v[2:3]
	;;#ASMEND
	;;#ASMSTART
	v_med3_f32 v4, v4, v10, v11
v_med3_f32 v5, v5, v10, v11
v_cvt_pk_fp8_f32 v7, v4, v5
	;;#ASMEND
	;;#ASMSTART
	v_pk_mul_f32 v[4:5], v[46:47], v[2:3]
	;;#ASMEND
	;; [unrolled: 8-line block ×3, first 2 shown]
	;;#ASMSTART
	v_med3_f32 v4, v4, v10, v11
v_med3_f32 v5, v5, v10, v11
v_cvt_pk_fp8_f32 v9, v4, v5
	;;#ASMEND
	s_mov_b32 s0, 0x5040100
	v_perm_b32 v4, v7, v6, s0
	s_mov_b32 s0, 0x1060504
	v_perm_b32 v4, v4, v7, s0
	s_load_dwordx2 s[0:1], s[4:5], 0x0
	s_mov_b32 s7, 0x1000504
	;;#ASMSTART
	v_pk_mul_f32 v[6:7], v[68:69], v[2:3]
	;;#ASMEND
	v_perm_b32 v5, v8, v9, s7
	s_mul_i32 s8, s24, s6
	;;#ASMSTART
	v_med3_f32 v6, v6, v10, v11
v_med3_f32 v7, v7, v10, v11
v_cvt_pk_fp8_f32 v8, v6, v7
	;;#ASMEND
	s_mul_hi_i32 s9, s24, s6
	s_waitcnt lgkmcnt(0)
	s_add_u32 s8, s0, s8
	;;#ASMSTART
	v_pk_mul_f32 v[6:7], v[40:41], v[2:3]
	;;#ASMEND
	s_addc_u32 s0, s1, s9
	s_add_i32 s1, s15, 3
	;;#ASMSTART
	v_med3_f32 v6, v6, v10, v11
v_med3_f32 v7, v7, v10, v11
v_cvt_pk_fp8_f32 v9, v6, v7
	;;#ASMEND
	s_ashr_i32 s9, s1, 31
	v_perm_b32 v6, v8, v9, s7
	;;#ASMSTART
	v_pk_mul_f32 v[8:9], v[14:15], v[2:3]
	;;#ASMEND
	v_mov_b32_e32 v7, v9
	s_lshr_b32 s9, s9, 30
	;;#ASMSTART
	v_med3_f32 v8, v8, v10, v11
v_med3_f32 v7, v7, v10, v11
v_cvt_pk_fp8_f32 v9, v8, v7
	;;#ASMEND
	;;#ASMSTART
	v_pk_mul_f32 v[2:3], v[92:93], v[2:3]
	;;#ASMEND
	s_add_i32 s1, s1, s9
	;;#ASMSTART
	v_med3_f32 v2, v2, v10, v11
v_med3_f32 v3, v3, v10, v11
v_cvt_pk_fp8_f32 v7, v2, v3
	;;#ASMEND
	s_and_b32 s10, s1, -4
	s_and_b32 s9, s0, 0xffff
	s_mov_b32 s11, 0x20000
	v_perm_b32 v7, v9, v7, s7
	buffer_store_dwordx4 v[4:7], v1, s[8:11], 0 offen
	;;#ASMSTART
	s_nop 0
	;;#ASMEND
.LBB917_28:
	s_or_b64 exec, exec, s[22:23]
	s_cmp_lt_i32 s16, 1
	s_cbranch_scc1 .LBB917_17
.LBB917_29:
	s_load_dword s0, s[4:5], 0x94
	s_waitcnt lgkmcnt(0)
	s_cmp_lg_u32 s0, 1
	s_cbranch_scc1 .LBB917_17
; %bb.30:
	s_lshl_b32 s0, s16, 1
	s_add_i32 s0, s0, 2
	v_cmp_gt_u32_e32 vcc, s16, v1
	s_and_b32 s22, s0, -4
	v_mov_b32_e32 v18, 0
	v_lshlrev_b32_e32 v1, 5, v0
	v_mov_b32_e32 v14, 0
	v_mov_b32_e32 v15, 0
	v_mov_b32_e32 v16, 0
	v_mov_b32_e32 v17, 0
	v_mov_b32_e32 v10, 0
	v_mov_b32_e32 v11, 0
	v_mov_b32_e32 v12, 0
	v_mov_b32_e32 v13, 0
	v_mov_b32_e32 v6, 0
	v_mov_b32_e32 v7, 0
	v_mov_b32_e32 v8, 0
	v_mov_b32_e32 v9, 0
	v_mov_b32_e32 v2, 0
	v_mov_b32_e32 v3, 0
	v_mov_b32_e32 v4, 0
	v_mov_b32_e32 v5, 0
	s_barrier
	s_and_saveexec_b64 s[0:1], vcc
	s_cbranch_execz .LBB917_32
; %bb.31:
	s_mul_hi_i32 s5, s18, s6
	s_mul_i32 s4, s18, s6
	s_and_b32 s21, s21, 0xffff
	s_lshl_b64 s[4:5], s[4:5], 1
	s_add_u32 s8, s36, s4
	s_mov_b32 s23, 0x20000
	s_addc_u32 s4, s37, s5
	s_and_b32 s9, s4, 0xffff
	s_mov_b32 s10, s22
	s_mov_b32 s11, s23
	buffer_load_dwordx4 v[14:17], v1, s[8:11], 0 offen
	buffer_load_dwordx4 v[10:13], v1, s[8:11], 16 offen
	;; [unrolled: 1-line block ×4, first 2 shown]
.LBB917_32:
	s_or_b64 exec, exec, s[0:1]
	v_mov_b32_e32 v19, 0
	v_mov_b32_e32 v32, 0
	;; [unrolled: 1-line block ×15, first 2 shown]
	s_and_saveexec_b64 s[0:1], vcc
	s_cbranch_execz .LBB917_34
; %bb.33:
	s_waitcnt vmcnt(3)
	v_cvt_f32_f16_sdwa v19, v14 dst_sel:DWORD dst_unused:UNUSED_PAD src0_sel:WORD_1
	v_cvt_f32_f16_e32 v18, v14
	v_cvt_f32_f16_sdwa v33, v15 dst_sel:DWORD dst_unused:UNUSED_PAD src0_sel:WORD_1
	v_cvt_f32_f16_e32 v32, v15
	;; [unrolled: 2-line block ×4, first 2 shown]
	s_waitcnt vmcnt(2)
	v_cvt_f32_f16_sdwa v27, v10 dst_sel:DWORD dst_unused:UNUSED_PAD src0_sel:WORD_1
	v_cvt_f32_f16_e32 v26, v10
	v_cvt_f32_f16_sdwa v25, v11 dst_sel:DWORD dst_unused:UNUSED_PAD src0_sel:WORD_1
	v_cvt_f32_f16_e32 v24, v11
	;; [unrolled: 2-line block ×4, first 2 shown]
.LBB917_34:
	s_or_b64 exec, exec, s[0:1]
	s_waitcnt vmcnt(2)
	v_mul_f32_e32 v10, v19, v19
	v_fmac_f32_e32 v10, v18, v18
	v_fmac_f32_e32 v10, v32, v32
	;; [unrolled: 1-line block ×15, first 2 shown]
	s_nop 1
	v_mov_b32_dpp v11, v10 quad_perm:[1,0,3,2] row_mask:0xf bank_mask:0xf
	v_add_f32_e32 v10, v10, v11
	s_nop 1
	v_mov_b32_dpp v11, v10 quad_perm:[2,3,0,1] row_mask:0xf bank_mask:0xf
	v_add_f32_e32 v10, v10, v11
	s_nop 1
	v_mov_b32_dpp v11, v10 row_half_mirror row_mask:0xf bank_mask:0xf
	v_add_f32_e32 v10, v10, v11
	s_nop 1
	v_mov_b32_dpp v11, v10 row_mirror row_mask:0xf bank_mask:0xf
	v_add_f32_e32 v10, v10, v11
	s_nop 1
	v_mov_b32_dpp v11, v10 row_bcast:15 row_mask:0xf bank_mask:0xf
	v_add_f32_e32 v10, v10, v11
	s_nop 1
	v_mov_b32_dpp v11, v10 row_bcast:31 row_mask:0xf bank_mask:0xf
	s_and_saveexec_b64 s[0:1], s[2:3]
	s_cbranch_execz .LBB917_36
; %bb.35:
	v_lshrrev_b32_e32 v0, 4, v0
	v_add_f32_e32 v10, v10, v11
	v_and_b32_e32 v0, 60, v0
	ds_write_b32 v0, v10
.LBB917_36:
	s_or_b64 exec, exec, s[0:1]
	s_waitcnt lgkmcnt(0)
	s_barrier
	ds_read_b32 v0, v34
	s_waitcnt lgkmcnt(0)
	s_nop 0
	v_mov_b32_dpp v10, v0 quad_perm:[1,0,3,2] row_mask:0xf bank_mask:0xf
	v_add_f32_e32 v0, v0, v10
	s_nop 1
	v_mov_b32_dpp v10, v0 quad_perm:[2,3,0,1] row_mask:0xf bank_mask:0xf
	v_add_f32_e32 v0, v0, v10
	s_nop 1
	v_mov_b32_dpp v10, v0 row_half_mirror row_mask:0xf bank_mask:0xf
	s_and_saveexec_b64 s[0:1], vcc
	s_cbranch_execz .LBB917_17
; %bb.37:
	v_cvt_f32_u32_e32 v11, s16
	v_add_f32_e32 v0, v0, v10
	s_mov_b32 s23, 0x20000
	v_div_scale_f32 v10, s[0:1], v11, v11, v0
	v_rcp_f32_e32 v12, v10
	v_div_scale_f32 v13, vcc, v0, v11, v0
	s_mov_b32 s0, 0x800000
	v_fma_f32 v14, -v10, v12, 1.0
	v_fmac_f32_e32 v12, v14, v12
	v_mul_f32_e32 v14, v13, v12
	v_fma_f32 v15, -v10, v14, v13
	v_fmac_f32_e32 v14, v15, v12
	v_fma_f32 v10, -v10, v14, v13
	v_div_fmas_f32 v10, v10, v12, v14
	v_div_fixup_f32 v0, v10, v11, v0
	v_add_f32_e32 v0, s13, v0
	v_mul_f32_e32 v10, 0x4b800000, v0
	v_cmp_gt_f32_e32 vcc, s0, v0
	v_cndmask_b32_e32 v0, v0, v10, vcc
	v_rsq_f32_e32 v0, v0
	s_mul_hi_i32 s1, s34, s6
	s_mul_i32 s0, s34, s6
	s_lshl_b64 s[0:1], s[0:1], 1
	v_mul_f32_e32 v10, 0x45800000, v0
	v_cndmask_b32_e32 v10, v0, v10, vcc
	v_mov_b32_e32 v11, v10
	;;#ASMSTART
	v_pk_mul_f32 v[12:13], v[18:19], v[10:11]
	;;#ASMEND
	;;#ASMSTART
	v_pk_mul_f32 v[14:15], v[32:33], v[10:11]
	;;#ASMEND
	;; [unrolled: 3-line block ×8, first 2 shown]
	s_waitcnt vmcnt(1)
	v_cvt_f32_f16_sdwa v21, v6 dst_sel:DWORD dst_unused:UNUSED_PAD src0_sel:WORD_1
	v_cvt_f32_f16_e32 v20, v6
	v_cvt_f32_f16_sdwa v29, v7 dst_sel:DWORD dst_unused:UNUSED_PAD src0_sel:WORD_1
	v_cvt_f32_f16_e32 v28, v7
	;; [unrolled: 2-line block ×4, first 2 shown]
	;;#ASMSTART
	v_pk_mul_f32 v[8:9], v[12:13], v[20:21]
	;;#ASMEND
	;;#ASMSTART
	v_pk_mul_f32 v[12:13], v[14:15], v[28:29]
	;;#ASMEND
	;; [unrolled: 3-line block ×4, first 2 shown]
	s_waitcnt vmcnt(0)
	v_cvt_f32_f16_sdwa v17, v2 dst_sel:DWORD dst_unused:UNUSED_PAD src0_sel:WORD_1
	v_cvt_f32_f16_e32 v16, v2
	v_cvt_f32_f16_sdwa v19, v3 dst_sel:DWORD dst_unused:UNUSED_PAD src0_sel:WORD_1
	v_cvt_f32_f16_e32 v18, v3
	;; [unrolled: 2-line block ×4, first 2 shown]
	;;#ASMSTART
	v_pk_mul_f32 v[16:17], v[26:27], v[16:17]
	;;#ASMEND
	;;#ASMSTART
	v_pk_mul_f32 v[18:19], v[24:25], v[18:19]
	;;#ASMEND
	;; [unrolled: 3-line block ×3, first 2 shown]
	v_cvt_f16_f32_e32 v0, v8
	v_cvt_f16_f32_e32 v2, v9
	;; [unrolled: 1-line block ×8, first 2 shown]
	s_add_u32 s20, s38, s0
	s_addc_u32 s0, s39, s1
	s_and_b32 s21, s0, 0xffff
	v_pack_b32_f16 v2, v0, v2
	v_pack_b32_f16 v3, v3, v4
	;; [unrolled: 1-line block ×4, first 2 shown]
	;;#ASMSTART
	v_pk_mul_f32 v[10:11], v[10:11], v[20:21]
	;;#ASMEND
	buffer_store_dwordx4 v[2:5], v1, s[20:23], 0 offen
	v_cvt_f16_f32_e32 v0, v16
	v_cvt_f16_f32_e32 v2, v17
	;; [unrolled: 1-line block ×8, first 2 shown]
	v_pack_b32_f16 v2, v0, v2
	v_pack_b32_f16 v3, v3, v4
	;; [unrolled: 1-line block ×4, first 2 shown]
	;;#ASMSTART
	s_nop 0
	;;#ASMEND
	buffer_store_dwordx4 v[2:5], v1, s[20:23], 16 offen
	;;#ASMSTART
	s_nop 0
	;;#ASMEND
	s_endpgm
	.section	.rodata,"a",@progbits
	.p2align	6, 0x0
	.amdhsa_kernel _ZN5aiter35fused_qk_rmsnorm_group_quant_kernelIDF16_DB8_Li512ELi16ELi8ELb1ELb0ELb0ELb0ELb0ELb0EEEvPT0_PvPT_S6_S6_PKS5_S8_S8_S8_S8_ffiiiiiiiiiiiii
		.amdhsa_group_segment_fixed_size 64
		.amdhsa_private_segment_fixed_size 0
		.amdhsa_kernarg_size 400
		.amdhsa_user_sgpr_count 6
		.amdhsa_user_sgpr_private_segment_buffer 1
		.amdhsa_user_sgpr_dispatch_ptr 0
		.amdhsa_user_sgpr_queue_ptr 0
		.amdhsa_user_sgpr_kernarg_segment_ptr 1
		.amdhsa_user_sgpr_dispatch_id 0
		.amdhsa_user_sgpr_flat_scratch_init 0
		.amdhsa_user_sgpr_kernarg_preload_length 0
		.amdhsa_user_sgpr_kernarg_preload_offset 0
		.amdhsa_user_sgpr_private_segment_size 0
		.amdhsa_uses_dynamic_stack 0
		.amdhsa_system_sgpr_private_segment_wavefront_offset 0
		.amdhsa_system_sgpr_workgroup_id_x 1
		.amdhsa_system_sgpr_workgroup_id_y 1
		.amdhsa_system_sgpr_workgroup_id_z 0
		.amdhsa_system_sgpr_workgroup_info 0
		.amdhsa_system_vgpr_workitem_id 0
		.amdhsa_next_free_vgpr 94
		.amdhsa_next_free_sgpr 44
		.amdhsa_accum_offset 96
		.amdhsa_reserve_vcc 1
		.amdhsa_reserve_flat_scratch 0
		.amdhsa_float_round_mode_32 0
		.amdhsa_float_round_mode_16_64 0
		.amdhsa_float_denorm_mode_32 3
		.amdhsa_float_denorm_mode_16_64 3
		.amdhsa_dx10_clamp 1
		.amdhsa_ieee_mode 1
		.amdhsa_fp16_overflow 0
		.amdhsa_tg_split 0
		.amdhsa_exception_fp_ieee_invalid_op 0
		.amdhsa_exception_fp_denorm_src 0
		.amdhsa_exception_fp_ieee_div_zero 0
		.amdhsa_exception_fp_ieee_overflow 0
		.amdhsa_exception_fp_ieee_underflow 0
		.amdhsa_exception_fp_ieee_inexact 0
		.amdhsa_exception_int_div_zero 0
	.end_amdhsa_kernel
	.section	.text._ZN5aiter35fused_qk_rmsnorm_group_quant_kernelIDF16_DB8_Li512ELi16ELi8ELb1ELb0ELb0ELb0ELb0ELb0EEEvPT0_PvPT_S6_S6_PKS5_S8_S8_S8_S8_ffiiiiiiiiiiiii,"axG",@progbits,_ZN5aiter35fused_qk_rmsnorm_group_quant_kernelIDF16_DB8_Li512ELi16ELi8ELb1ELb0ELb0ELb0ELb0ELb0EEEvPT0_PvPT_S6_S6_PKS5_S8_S8_S8_S8_ffiiiiiiiiiiiii,comdat
.Lfunc_end917:
	.size	_ZN5aiter35fused_qk_rmsnorm_group_quant_kernelIDF16_DB8_Li512ELi16ELi8ELb1ELb0ELb0ELb0ELb0ELb0EEEvPT0_PvPT_S6_S6_PKS5_S8_S8_S8_S8_ffiiiiiiiiiiiii, .Lfunc_end917-_ZN5aiter35fused_qk_rmsnorm_group_quant_kernelIDF16_DB8_Li512ELi16ELi8ELb1ELb0ELb0ELb0ELb0ELb0EEEvPT0_PvPT_S6_S6_PKS5_S8_S8_S8_S8_ffiiiiiiiiiiiii
                                        ; -- End function
	.section	.AMDGPU.csdata,"",@progbits
; Kernel info:
; codeLenInByte = 4072
; NumSgprs: 48
; NumVgprs: 94
; NumAgprs: 0
; TotalNumVgprs: 94
; ScratchSize: 0
; MemoryBound: 0
; FloatMode: 240
; IeeeMode: 1
; LDSByteSize: 64 bytes/workgroup (compile time only)
; SGPRBlocks: 5
; VGPRBlocks: 11
; NumSGPRsForWavesPerEU: 48
; NumVGPRsForWavesPerEU: 94
; AccumOffset: 96
; Occupancy: 5
; WaveLimiterHint : 0
; COMPUTE_PGM_RSRC2:SCRATCH_EN: 0
; COMPUTE_PGM_RSRC2:USER_SGPR: 6
; COMPUTE_PGM_RSRC2:TRAP_HANDLER: 0
; COMPUTE_PGM_RSRC2:TGID_X_EN: 1
; COMPUTE_PGM_RSRC2:TGID_Y_EN: 1
; COMPUTE_PGM_RSRC2:TGID_Z_EN: 0
; COMPUTE_PGM_RSRC2:TIDIG_COMP_CNT: 0
; COMPUTE_PGM_RSRC3_GFX90A:ACCUM_OFFSET: 23
; COMPUTE_PGM_RSRC3_GFX90A:TG_SPLIT: 0
	.section	.text._ZN5aiter35fused_qk_rmsnorm_group_quant_kernelItDB8_Li512ELi16ELi8ELb1ELb0ELb0ELb0ELb0ELb0EEEvPT0_PvPT_S6_S6_PKS5_S8_S8_S8_S8_ffiiiiiiiiiiiii,"axG",@progbits,_ZN5aiter35fused_qk_rmsnorm_group_quant_kernelItDB8_Li512ELi16ELi8ELb1ELb0ELb0ELb0ELb0ELb0EEEvPT0_PvPT_S6_S6_PKS5_S8_S8_S8_S8_ffiiiiiiiiiiiii,comdat
	.protected	_ZN5aiter35fused_qk_rmsnorm_group_quant_kernelItDB8_Li512ELi16ELi8ELb1ELb0ELb0ELb0ELb0ELb0EEEvPT0_PvPT_S6_S6_PKS5_S8_S8_S8_S8_ffiiiiiiiiiiiii ; -- Begin function _ZN5aiter35fused_qk_rmsnorm_group_quant_kernelItDB8_Li512ELi16ELi8ELb1ELb0ELb0ELb0ELb0ELb0EEEvPT0_PvPT_S6_S6_PKS5_S8_S8_S8_S8_ffiiiiiiiiiiiii
	.globl	_ZN5aiter35fused_qk_rmsnorm_group_quant_kernelItDB8_Li512ELi16ELi8ELb1ELb0ELb0ELb0ELb0ELb0EEEvPT0_PvPT_S6_S6_PKS5_S8_S8_S8_S8_ffiiiiiiiiiiiii
	.p2align	8
	.type	_ZN5aiter35fused_qk_rmsnorm_group_quant_kernelItDB8_Li512ELi16ELi8ELb1ELb0ELb0ELb0ELb0ELb0EEEvPT0_PvPT_S6_S6_PKS5_S8_S8_S8_S8_ffiiiiiiiiiiiii,@function
_ZN5aiter35fused_qk_rmsnorm_group_quant_kernelItDB8_Li512ELi16ELi8ELb1ELb0ELb0ELb0ELb0ELb0EEEvPT0_PvPT_S6_S6_PKS5_S8_S8_S8_S8_ffiiiiiiiiiiiii: ; @_ZN5aiter35fused_qk_rmsnorm_group_quant_kernelItDB8_Li512ELi16ELi8ELb1ELb0ELb0ELb0ELb0ELb0EEEvPT0_PvPT_S6_S6_PKS5_S8_S8_S8_S8_ffiiiiiiiiiiiii
; %bb.0:
	s_load_dwordx8 s[12:19], s[4:5], 0x50
	s_waitcnt lgkmcnt(0)
	s_cmp_ge_i32 s6, s14
	s_cbranch_scc1 .LBB918_17
; %bb.1:
	s_cmp_lg_u32 s7, 0
	s_cselect_b64 s[10:11], -1, 0
	s_cmp_eq_u32 s7, 0
	s_cselect_b64 s[8:9], -1, 0
	s_and_b64 s[0:1], s[8:9], exec
	s_load_dwordx2 s[20:21], s[4:5], 0x48
	s_load_dwordx2 s[36:37], s[4:5], 0x30
	s_load_dwordx4 s[24:27], s[4:5], 0x70
	s_cselect_b32 s7, s15, s16
	s_add_i32 s0, s7, 1
	s_lshr_b32 s1, s0, 31
	s_add_i32 s0, s0, s1
	s_lshl_b32 s0, s0, 1
	v_lshlrev_b32_e32 v1, 4, v0
	s_and_b32 s30, s0, -4
	v_cmp_gt_i32_e64 s[0:1], s7, v1
	v_mov_b32_e32 v82, 0
	v_mov_b32_e32 v83, 0
	;; [unrolled: 1-line block ×16, first 2 shown]
	s_and_saveexec_b64 s[2:3], s[0:1]
	s_cbranch_execz .LBB918_3
; %bb.2:
	s_load_dwordx2 s[22:23], s[4:5], 0x28
	s_load_dwordx2 s[28:29], s[4:5], 0x40
	s_and_b64 s[34:35], s[8:9], exec
	s_cselect_b32 s14, s17, s18
	s_mov_b32 s31, 0x20000
	s_waitcnt lgkmcnt(0)
	s_cselect_b32 s17, s23, s37
	s_cselect_b32 s27, s22, s36
	s_mul_hi_i32 s23, s14, s6
	s_mul_i32 s22, s14, s6
	s_lshl_b64 s[22:23], s[22:23], 1
	s_add_u32 s40, s27, s22
	s_addc_u32 s14, s17, s23
	s_and_b64 s[22:23], s[8:9], exec
	s_cselect_b32 s28, s28, s20
	s_cselect_b32 s17, s29, s21
	s_and_b32 s41, s14, 0xffff
	s_mov_b32 s42, s30
	s_mov_b32 s43, s31
	v_lshlrev_b32_e32 v2, 5, v0
	s_and_b32 s29, s17, 0xffff
	buffer_load_dwordx4 v[86:89], v2, s[40:43], 0 offen
	buffer_load_dwordx4 v[90:93], v2, s[40:43], 16 offen
	;; [unrolled: 1-line block ×4, first 2 shown]
.LBB918_3:
	s_or_b64 exec, exec, s[2:3]
	s_load_dwordx2 s[34:35], s[4:5], 0x80
	s_and_b64 vcc, exec, s[10:11]
	s_cbranch_vccz .LBB918_7
; %bb.4:
	v_mov_b32_e32 v95, 0
	v_mov_b32_e32 v94, 0
	;; [unrolled: 1-line block ×16, first 2 shown]
	s_and_saveexec_b64 s[2:3], s[0:1]
	s_cbranch_execz .LBB918_6
; %bb.5:
	s_waitcnt vmcnt(3)
	v_cvt_f32_u32_sdwa v62, v86 dst_sel:DWORD dst_unused:UNUSED_PAD src0_sel:WORD_0
	v_cvt_f32_u32_sdwa v63, v86 dst_sel:DWORD dst_unused:UNUSED_PAD src0_sel:WORD_1
	v_cvt_f32_u32_sdwa v24, v87 dst_sel:DWORD dst_unused:UNUSED_PAD src0_sel:WORD_0
	v_cvt_f32_u32_sdwa v25, v87 dst_sel:DWORD dst_unused:UNUSED_PAD src0_sel:WORD_1
	v_cvt_f32_u32_sdwa v50, v88 dst_sel:DWORD dst_unused:UNUSED_PAD src0_sel:WORD_0
	v_cvt_f32_u32_sdwa v51, v88 dst_sel:DWORD dst_unused:UNUSED_PAD src0_sel:WORD_1
	v_cvt_f32_u32_sdwa v32, v89 dst_sel:DWORD dst_unused:UNUSED_PAD src0_sel:WORD_0
	v_cvt_f32_u32_sdwa v33, v89 dst_sel:DWORD dst_unused:UNUSED_PAD src0_sel:WORD_1
	s_waitcnt vmcnt(2)
	v_cvt_f32_u32_sdwa v42, v90 dst_sel:DWORD dst_unused:UNUSED_PAD src0_sel:WORD_0
	v_cvt_f32_u32_sdwa v43, v90 dst_sel:DWORD dst_unused:UNUSED_PAD src0_sel:WORD_1
	v_cvt_f32_u32_sdwa v18, v91 dst_sel:DWORD dst_unused:UNUSED_PAD src0_sel:WORD_0
	v_cvt_f32_u32_sdwa v19, v91 dst_sel:DWORD dst_unused:UNUSED_PAD src0_sel:WORD_1
	;; [unrolled: 2-line block ×4, first 2 shown]
.LBB918_6:
	s_or_b64 exec, exec, s[2:3]
	s_cbranch_execz .LBB918_8
	s_branch .LBB918_11
.LBB918_7:
                                        ; implicit-def: $vgpr22_vgpr23_vgpr24_vgpr25_vgpr26_vgpr27_vgpr28_vgpr29_vgpr30_vgpr31_vgpr32_vgpr33_vgpr34_vgpr35_vgpr36_vgpr37
                                        ; implicit-def: $vgpr46_vgpr47_vgpr48_vgpr49_vgpr50_vgpr51_vgpr52_vgpr53_vgpr54_vgpr55_vgpr56_vgpr57_vgpr58_vgpr59_vgpr60_vgpr61
                                        ; implicit-def: $vgpr26_vgpr27_vgpr28_vgpr29_vgpr30_vgpr31_vgpr32_vgpr33_vgpr34_vgpr35_vgpr36_vgpr37_vgpr38_vgpr39_vgpr40_vgpr41
                                        ; implicit-def: $vgpr8_vgpr9_vgpr10_vgpr11_vgpr12_vgpr13_vgpr14_vgpr15_vgpr16_vgpr17_vgpr18_vgpr19_vgpr20_vgpr21_vgpr22_vgpr23
                                        ; implicit-def: $vgpr95
                                        ; implicit-def: $vgpr62_vgpr63_vgpr64_vgpr65_vgpr66_vgpr67_vgpr68_vgpr69_vgpr70_vgpr71_vgpr72_vgpr73_vgpr74_vgpr75_vgpr76_vgpr77
                                        ; implicit-def: $vgpr34_vgpr35_vgpr36_vgpr37_vgpr38_vgpr39_vgpr40_vgpr41_vgpr42_vgpr43_vgpr44_vgpr45_vgpr46_vgpr47_vgpr48_vgpr49
                                        ; implicit-def: $vgpr2_vgpr3_vgpr4_vgpr5_vgpr6_vgpr7_vgpr8_vgpr9_vgpr10_vgpr11_vgpr12_vgpr13_vgpr14_vgpr15_vgpr16_vgpr17
.LBB918_8:
	v_mov_b32_e32 v95, 0
	v_mov_b32_e32 v94, 0
	;; [unrolled: 1-line block ×16, first 2 shown]
	s_and_saveexec_b64 s[2:3], s[0:1]
	s_cbranch_execz .LBB918_10
; %bb.9:
	s_load_dwordx2 s[22:23], s[4:5], 0x38
	s_mul_hi_i32 s29, s19, s6
	s_mul_i32 s28, s19, s6
	s_lshl_b64 s[28:29], s[28:29], 1
	s_mov_b32 s31, 0x20000
	s_waitcnt lgkmcnt(0)
	s_add_u32 s28, s22, s28
	s_addc_u32 s14, s23, s29
	s_and_b32 s29, s14, 0xffff
	v_lshlrev_b32_e32 v38, 5, v0
	buffer_load_dwordx4 v[4:7], v38, s[28:31], 16 offen
	buffer_load_dwordx4 v[8:11], v38, s[28:31], 0 offen
	s_load_dwordx2 s[22:23], s[4:5], 0x20
	s_waitcnt vmcnt(5)
	v_cvt_f32_u32_sdwa v19, v86 dst_sel:DWORD dst_unused:UNUSED_PAD src0_sel:WORD_1
	v_cvt_f32_u32_sdwa v18, v86 dst_sel:DWORD dst_unused:UNUSED_PAD src0_sel:WORD_0
	v_cvt_f32_u32_sdwa v21, v87 dst_sel:DWORD dst_unused:UNUSED_PAD src0_sel:WORD_1
	v_cvt_f32_u32_sdwa v20, v87 dst_sel:DWORD dst_unused:UNUSED_PAD src0_sel:WORD_0
	;; [unrolled: 2-line block ×4, first 2 shown]
	s_waitcnt vmcnt(4)
	v_cvt_f32_u32_sdwa v3, v90 dst_sel:DWORD dst_unused:UNUSED_PAD src0_sel:WORD_1
	v_cvt_f32_u32_sdwa v2, v90 dst_sel:DWORD dst_unused:UNUSED_PAD src0_sel:WORD_0
	v_cvt_f32_u32_sdwa v13, v91 dst_sel:DWORD dst_unused:UNUSED_PAD src0_sel:WORD_1
	v_cvt_f32_u32_sdwa v12, v91 dst_sel:DWORD dst_unused:UNUSED_PAD src0_sel:WORD_0
	v_cvt_f32_u32_sdwa v15, v92 dst_sel:DWORD dst_unused:UNUSED_PAD src0_sel:WORD_1
	v_cvt_f32_u32_sdwa v14, v92 dst_sel:DWORD dst_unused:UNUSED_PAD src0_sel:WORD_0
	v_cvt_f32_u32_sdwa v16, v93 dst_sel:DWORD dst_unused:UNUSED_PAD src0_sel:WORD_0
	v_cvt_f32_u32_sdwa v17, v93 dst_sel:DWORD dst_unused:UNUSED_PAD src0_sel:WORD_1
	s_mul_hi_i32 s29, s35, s6
	s_mul_i32 s28, s35, s6
	s_lshl_b64 s[28:29], s[28:29], 1
	s_waitcnt lgkmcnt(0)
	s_add_u32 s28, s22, s28
	s_mov_b32 s14, 0x7060302
	s_addc_u32 s17, s23, s29
	s_and_b32 s29, s17, 0xffff
	s_waitcnt vmcnt(1)
	v_cvt_f32_u32_sdwa v27, v4 dst_sel:DWORD dst_unused:UNUSED_PAD src0_sel:WORD_1
	v_cvt_f32_u32_sdwa v26, v4 dst_sel:DWORD dst_unused:UNUSED_PAD src0_sel:WORD_0
	v_cvt_f32_u32_sdwa v29, v5 dst_sel:DWORD dst_unused:UNUSED_PAD src0_sel:WORD_1
	v_cvt_f32_u32_sdwa v28, v5 dst_sel:DWORD dst_unused:UNUSED_PAD src0_sel:WORD_0
	;; [unrolled: 2-line block ×3, first 2 shown]
	v_cvt_f32_u32_sdwa v34, v7 dst_sel:DWORD dst_unused:UNUSED_PAD src0_sel:WORD_0
	v_cvt_f32_u32_sdwa v35, v7 dst_sel:DWORD dst_unused:UNUSED_PAD src0_sel:WORD_1
	s_waitcnt vmcnt(0)
	v_cvt_f32_u32_sdwa v37, v8 dst_sel:DWORD dst_unused:UNUSED_PAD src0_sel:WORD_1
	v_cvt_f32_u32_sdwa v36, v8 dst_sel:DWORD dst_unused:UNUSED_PAD src0_sel:WORD_0
	v_cvt_f32_u32_sdwa v5, v10 dst_sel:DWORD dst_unused:UNUSED_PAD src0_sel:WORD_1
	v_cvt_f32_u32_sdwa v4, v10 dst_sel:DWORD dst_unused:UNUSED_PAD src0_sel:WORD_0
	;; [unrolled: 2-line block ×4, first 2 shown]
	v_pk_add_f32 v[50:51], v[22:23], v[4:5]
	v_pk_add_f32 v[32:33], v[24:25], v[6:7]
	;; [unrolled: 1-line block ×4, first 2 shown]
	v_perm_b32 v7, v33, v32, s14
	v_perm_b32 v6, v51, v50, s14
	;; [unrolled: 1-line block ×4, first 2 shown]
	v_pk_add_f32 v[94:95], v[16:17], v[34:35]
	v_pk_add_f32 v[14:15], v[14:15], v[30:31]
	;; [unrolled: 1-line block ×4, first 2 shown]
	buffer_store_dwordx4 v[4:7], v38, s[28:31], 0 offen
	;;#ASMSTART
	s_nop 0
	;;#ASMEND
	s_nop 0
	v_perm_b32 v7, v95, v94, s14
	v_perm_b32 v6, v15, v14, s14
	;; [unrolled: 1-line block ×4, first 2 shown]
	buffer_store_dwordx4 v[4:7], v38, s[28:31], 16 offen
	;;#ASMSTART
	s_nop 0
	;;#ASMEND
.LBB918_10:
	s_or_b64 exec, exec, s[2:3]
.LBB918_11:
	v_mul_f32_e32 v2, v63, v63
	v_fmac_f32_e32 v2, v62, v62
	v_fmac_f32_e32 v2, v24, v24
	;; [unrolled: 1-line block ×15, first 2 shown]
	s_nop 1
	v_mov_b32_dpp v3, v2 quad_perm:[1,0,3,2] row_mask:0xf bank_mask:0xf
	v_add_f32_e32 v2, v2, v3
	s_nop 1
	v_mov_b32_dpp v3, v2 quad_perm:[2,3,0,1] row_mask:0xf bank_mask:0xf
	v_add_f32_e32 v2, v2, v3
	s_nop 1
	v_mov_b32_dpp v3, v2 row_half_mirror row_mask:0xf bank_mask:0xf
	v_add_f32_e32 v2, v2, v3
	s_nop 1
	v_mov_b32_dpp v3, v2 row_mirror row_mask:0xf bank_mask:0xf
	v_add_f32_e32 v2, v2, v3
	s_nop 1
	v_mov_b32_dpp v3, v2 row_bcast:15 row_mask:0xf bank_mask:0xf
	v_add_f32_e32 v2, v2, v3
	v_and_b32_e32 v3, 63, v0
	v_cmp_eq_u32_e64 s[2:3], 63, v3
	s_nop 0
	v_mov_b32_dpp v3, v2 row_bcast:31 row_mask:0xf bank_mask:0xf
	s_and_saveexec_b64 s[22:23], s[2:3]
	s_cbranch_execz .LBB918_13
; %bb.12:
	v_add_f32_e32 v2, v2, v3
	v_lshrrev_b32_e32 v3, 4, v0
	v_and_b32_e32 v3, 60, v3
	ds_write_b32 v3, v2 offset:32
.LBB918_13:
	s_or_b64 exec, exec, s[22:23]
	v_and_b32_e32 v2, 7, v0
	v_lshlrev_b32_e32 v34, 2, v2
	s_waitcnt lgkmcnt(0)
	s_barrier
	ds_read_b32 v3, v34 offset:32
	s_load_dwordx2 s[38:39], s[4:5], 0x18
	s_waitcnt lgkmcnt(0)
	v_mov_b32_dpp v4, v3 quad_perm:[1,0,3,2] row_mask:0xf bank_mask:0xf
	v_add_f32_e32 v3, v3, v4
	s_nop 1
	v_mov_b32_dpp v4, v3 quad_perm:[2,3,0,1] row_mask:0xf bank_mask:0xf
	v_add_f32_e32 v3, v3, v4
	s_nop 1
	v_mov_b32_dpp v4, v3 row_half_mirror row_mask:0xf bank_mask:0xf
	s_and_saveexec_b64 s[22:23], s[0:1]
	s_cbranch_execnz .LBB918_18
; %bb.14:
	s_or_b64 exec, exec, s[22:23]
	s_mov_b64 s[8:9], -1
	s_and_b64 vcc, exec, s[10:11]
	s_cbranch_vccnz .LBB918_19
.LBB918_15:
	s_andn2_b64 vcc, exec, s[8:9]
	s_cbranch_vccz .LBB918_22
.LBB918_16:
	s_cmp_lt_i32 s16, 1
	s_cbranch_scc0 .LBB918_29
.LBB918_17:
	s_endpgm
.LBB918_18:
	v_add_f32_e32 v3, v3, v4
	v_cvt_f32_u32_e32 v4, s7
	s_mov_b32 s7, 0x800000
	s_waitcnt vmcnt(1)
	v_cvt_f32_u32_sdwa v21, v82 dst_sel:DWORD dst_unused:UNUSED_PAD src0_sel:WORD_1
	v_cvt_f32_u32_sdwa v20, v82 dst_sel:DWORD dst_unused:UNUSED_PAD src0_sel:WORD_0
	v_div_scale_f32 v5, s[28:29], v4, v4, v3
	v_rcp_f32_e32 v6, v5
	v_cvt_f32_u32_sdwa v23, v83 dst_sel:DWORD dst_unused:UNUSED_PAD src0_sel:WORD_1
	v_cvt_f32_u32_sdwa v22, v83 dst_sel:DWORD dst_unused:UNUSED_PAD src0_sel:WORD_0
	s_waitcnt vmcnt(0)
	v_cvt_f32_u32_sdwa v27, v80 dst_sel:DWORD dst_unused:UNUSED_PAD src0_sel:WORD_1
	v_fma_f32 v7, -v5, v6, 1.0
	v_fmac_f32_e32 v6, v7, v6
	v_div_scale_f32 v7, vcc, v3, v4, v3
	v_mul_f32_e32 v8, v7, v6
	v_fma_f32 v9, -v5, v8, v7
	v_fmac_f32_e32 v8, v9, v6
	v_fma_f32 v5, -v5, v8, v7
	v_div_fmas_f32 v5, v5, v6, v8
	v_div_fixup_f32 v3, v5, v4, v3
	v_mov_b32_e32 v4, s13
	v_mov_b32_e32 v5, s12
	v_cndmask_b32_e64 v4, v4, v5, s[8:9]
	v_add_f32_e32 v3, v4, v3
	v_mul_f32_e32 v4, 0x4b800000, v3
	v_cmp_gt_f32_e32 vcc, s7, v3
	v_cndmask_b32_e32 v3, v3, v4, vcc
	v_rsq_f32_e32 v3, v3
	v_cvt_f32_u32_sdwa v26, v80 dst_sel:DWORD dst_unused:UNUSED_PAD src0_sel:WORD_0
	v_cvt_f32_u32_sdwa v29, v81 dst_sel:DWORD dst_unused:UNUSED_PAD src0_sel:WORD_1
	v_cvt_f32_u32_sdwa v28, v81 dst_sel:DWORD dst_unused:UNUSED_PAD src0_sel:WORD_0
	v_mul_f32_e32 v4, 0x45800000, v3
	v_cndmask_b32_e32 v4, v3, v4, vcc
	v_mov_b32_e32 v5, v4
	;;#ASMSTART
	v_pk_mul_f32 v[6:7], v[62:63], v[4:5]
	;;#ASMEND
	;;#ASMSTART
	v_pk_mul_f32 v[8:9], v[24:25], v[4:5]
	;;#ASMEND
	;;#ASMSTART
	v_pk_mul_f32 v[10:11], v[50:51], v[4:5]
	;;#ASMEND
	;;#ASMSTART
	v_pk_mul_f32 v[12:13], v[32:33], v[4:5]
	;;#ASMEND
	;;#ASMSTART
	v_pk_mul_f32 v[16:17], v[42:43], v[4:5]
	;;#ASMEND
	;;#ASMSTART
	v_pk_mul_f32 v[18:19], v[18:19], v[4:5]
	;;#ASMEND
	;;#ASMSTART
	v_pk_mul_f32 v[14:15], v[14:15], v[4:5]
	;;#ASMEND
	;;#ASMSTART
	v_pk_mul_f32 v[4:5], v[94:95], v[4:5]
	;;#ASMEND
	;;#ASMSTART
	v_pk_mul_f32 v[62:63], v[6:7], v[20:21]
	;;#ASMEND
	;;#ASMSTART
	v_pk_mul_f32 v[24:25], v[8:9], v[22:23]
	;;#ASMEND
	v_cvt_f32_u32_sdwa v7, v84 dst_sel:DWORD dst_unused:UNUSED_PAD src0_sel:WORD_1
	v_cvt_f32_u32_sdwa v6, v84 dst_sel:DWORD dst_unused:UNUSED_PAD src0_sel:WORD_0
	v_cvt_f32_u32_sdwa v9, v85 dst_sel:DWORD dst_unused:UNUSED_PAD src0_sel:WORD_1
	v_cvt_f32_u32_sdwa v8, v85 dst_sel:DWORD dst_unused:UNUSED_PAD src0_sel:WORD_0
	;; [unrolled: 2-line block ×4, first 2 shown]
	;;#ASMSTART
	v_pk_mul_f32 v[50:51], v[10:11], v[6:7]
	;;#ASMEND
	;;#ASMSTART
	v_pk_mul_f32 v[32:33], v[12:13], v[8:9]
	;;#ASMEND
	;; [unrolled: 3-line block ×6, first 2 shown]
	s_or_b64 exec, exec, s[22:23]
	s_mov_b64 s[8:9], -1
	s_and_b64 vcc, exec, s[10:11]
	s_cbranch_vccz .LBB918_15
.LBB918_19:
	s_and_saveexec_b64 s[8:9], s[0:1]
	s_cbranch_execz .LBB918_21
; %bb.20:
	s_mul_hi_i32 s11, s34, s6
	s_mul_i32 s10, s34, s6
	s_lshl_b64 s[10:11], s[10:11], 1
	s_add_u32 s28, s38, s10
	s_addc_u32 s7, s39, s11
	s_and_b32 s29, s7, 0xffff
	s_mov_b32 s7, 0x7060302
	s_mov_b32 s31, 0x20000
	v_perm_b32 v7, v33, v32, s7
	v_perm_b32 v6, v51, v50, s7
	;; [unrolled: 1-line block ×4, first 2 shown]
	v_lshlrev_b32_e32 v3, 5, v0
	buffer_store_dwordx4 v[4:7], v3, s[28:31], 0 offen
	;;#ASMSTART
	s_nop 0
	;;#ASMEND
	s_nop 0
	v_perm_b32 v7, v95, v94, s7
	v_perm_b32 v6, v15, v14, s7
	v_perm_b32 v5, v19, v18, s7
	v_perm_b32 v4, v43, v42, s7
	buffer_store_dwordx4 v[4:7], v3, s[28:31], 16 offen
	;;#ASMSTART
	s_nop 0
	;;#ASMEND
.LBB918_21:
	s_or_b64 exec, exec, s[8:9]
	s_cbranch_execnz .LBB918_16
.LBB918_22:
	v_mov_b32_e32 v3, 0
	s_and_saveexec_b64 s[8:9], s[0:1]
	s_cbranch_execz .LBB918_24
; %bb.23:
	v_and_b32_e32 v3, 0x7fffffff, v62
	v_and_b32_e32 v4, 0x7fffffff, v63
	v_mov_b32_e32 v5, 0x2edbe6ff
	;;#ASMSTART
	v_max3_f32 v3, v5, v3, v4

	;;#ASMEND
	v_and_b32_e32 v4, 0x7fffffff, v24
	v_and_b32_e32 v5, 0x7fffffff, v25
	;;#ASMSTART
	v_max3_f32 v3, v3, v4, v5

	;;#ASMEND
	v_and_b32_e32 v4, 0x7fffffff, v50
	v_and_b32_e32 v5, 0x7fffffff, v51
	;; [unrolled: 6-line block ×7, first 2 shown]
	;;#ASMSTART
	v_max3_f32 v3, v3, v4, v5

	;;#ASMEND
.LBB918_24:
	s_or_b64 exec, exec, s[8:9]
	;;#ASMSTART
	v_max_f32 v4, v3, v3 quad_perm:[1,0,3,2] row_mask:0xf bank_mask:0xf bound_ctrl:1
	;;#ASMEND
	;;#ASMSTART
	v_max_f32 v3, v4, v4 quad_perm:[2,3,0,1] row_mask:0xf bank_mask:0xf bound_ctrl:1
	;;#ASMEND
	v_cmp_eq_u32_e32 vcc, 0, v2
	v_cmp_gt_i32_e64 s[8:9], s15, v1
	;;#ASMSTART
	v_max_f32 v4, v3, v3 row_half_mirror row_mask:0xf bank_mask:0xf bound_ctrl:1
	;;#ASMEND
	v_mul_f32_e32 v3, 0x3b124925, v4
	s_and_b64 s[10:11], vcc, s[8:9]
	s_and_saveexec_b64 s[8:9], s[10:11]
	s_cbranch_execz .LBB918_26
; %bb.25:
	s_load_dwordx2 s[10:11], s[4:5], 0x8
	s_mul_hi_i32 s23, s25, s6
	s_mul_i32 s22, s25, s6
	v_lshrrev_b32_e32 v2, 3, v0
	s_lshl_b64 s[22:23], s[22:23], 2
	v_mad_i64_i32 v[4:5], s[26:27], s26, v2, 0
	s_waitcnt lgkmcnt(0)
	s_add_u32 s7, s10, s22
	s_addc_u32 s10, s11, s23
	v_lshlrev_b64 v[4:5], 2, v[4:5]
	v_mov_b32_e32 v2, s10
	v_add_co_u32_e32 v4, vcc, s7, v4
	v_addc_co_u32_e32 v5, vcc, v2, v5, vcc
	global_store_dword v[4:5], v3, off
.LBB918_26:
	s_or_b64 exec, exec, s[8:9]
	;;#ASMSTART
	v_rcp_f32 v2, v3
	;;#ASMEND
	s_and_saveexec_b64 s[22:23], s[0:1]
	s_cbranch_execz .LBB918_28
; %bb.27:
	v_mov_b32_e32 v3, v2
	;;#ASMSTART
	v_pk_mul_f32 v[4:5], v[62:63], v[2:3]
	;;#ASMEND
	v_mov_b32_e32 v10, 0xc3e00000
	v_mov_b32_e32 v11, 0x43e00000
	;;#ASMSTART
	v_med3_f32 v4, v4, v10, v11
v_med3_f32 v5, v5, v10, v11
v_cvt_pk_fp8_f32 v6, v4, v5
	;;#ASMEND
	;;#ASMSTART
	v_pk_mul_f32 v[4:5], v[24:25], v[2:3]
	;;#ASMEND
	;;#ASMSTART
	v_med3_f32 v4, v4, v10, v11
v_med3_f32 v5, v5, v10, v11
v_cvt_pk_fp8_f32 v7, v4, v5
	;;#ASMEND
	;;#ASMSTART
	v_pk_mul_f32 v[4:5], v[50:51], v[2:3]
	;;#ASMEND
	;;#ASMSTART
	v_med3_f32 v4, v4, v10, v11
v_med3_f32 v5, v5, v10, v11
v_cvt_pk_fp8_f32 v8, v4, v5
	;;#ASMEND
	;;#ASMSTART
	v_pk_mul_f32 v[4:5], v[32:33], v[2:3]
	;;#ASMEND
	;;#ASMSTART
	v_med3_f32 v4, v4, v10, v11
v_med3_f32 v5, v5, v10, v11
v_cvt_pk_fp8_f32 v9, v4, v5
	;;#ASMEND
	s_mov_b32 s0, 0x5040100
	v_perm_b32 v4, v7, v6, s0
	s_mov_b32 s0, 0x1060504
	v_perm_b32 v4, v4, v7, s0
	s_load_dwordx2 s[0:1], s[4:5], 0x0
	s_mov_b32 s7, 0x1000504
	;;#ASMSTART
	v_pk_mul_f32 v[6:7], v[42:43], v[2:3]
	;;#ASMEND
	v_perm_b32 v5, v8, v9, s7
	s_mul_i32 s8, s24, s6
	;;#ASMSTART
	v_med3_f32 v6, v6, v10, v11
v_med3_f32 v7, v7, v10, v11
v_cvt_pk_fp8_f32 v8, v6, v7
	;;#ASMEND
	s_mul_hi_i32 s9, s24, s6
	s_waitcnt lgkmcnt(0)
	s_add_u32 s8, s0, s8
	;;#ASMSTART
	v_pk_mul_f32 v[6:7], v[18:19], v[2:3]
	;;#ASMEND
	s_addc_u32 s0, s1, s9
	s_add_i32 s1, s15, 3
	;;#ASMSTART
	v_med3_f32 v6, v6, v10, v11
v_med3_f32 v7, v7, v10, v11
v_cvt_pk_fp8_f32 v9, v6, v7
	;;#ASMEND
	s_ashr_i32 s9, s1, 31
	v_perm_b32 v6, v8, v9, s7
	;;#ASMSTART
	v_pk_mul_f32 v[8:9], v[14:15], v[2:3]
	;;#ASMEND
	v_mov_b32_e32 v7, v9
	s_lshr_b32 s9, s9, 30
	;;#ASMSTART
	v_med3_f32 v8, v8, v10, v11
v_med3_f32 v7, v7, v10, v11
v_cvt_pk_fp8_f32 v9, v8, v7
	;;#ASMEND
	;;#ASMSTART
	v_pk_mul_f32 v[2:3], v[94:95], v[2:3]
	;;#ASMEND
	s_add_i32 s1, s1, s9
	;;#ASMSTART
	v_med3_f32 v2, v2, v10, v11
v_med3_f32 v3, v3, v10, v11
v_cvt_pk_fp8_f32 v7, v2, v3
	;;#ASMEND
	s_and_b32 s10, s1, -4
	s_and_b32 s9, s0, 0xffff
	s_mov_b32 s11, 0x20000
	v_perm_b32 v7, v9, v7, s7
	buffer_store_dwordx4 v[4:7], v1, s[8:11], 0 offen
	;;#ASMSTART
	s_nop 0
	;;#ASMEND
.LBB918_28:
	s_or_b64 exec, exec, s[22:23]
	s_cmp_lt_i32 s16, 1
	s_cbranch_scc1 .LBB918_17
.LBB918_29:
	s_load_dword s0, s[4:5], 0x94
	s_waitcnt lgkmcnt(0)
	s_cmp_lg_u32 s0, 1
	s_cbranch_scc1 .LBB918_17
; %bb.30:
	s_lshl_b32 s0, s16, 1
	s_add_i32 s0, s0, 2
	v_cmp_gt_u32_e32 vcc, s16, v1
	s_and_b32 s22, s0, -4
	v_mov_b32_e32 v18, 0
	v_lshlrev_b32_e32 v1, 5, v0
	v_mov_b32_e32 v14, 0
	v_mov_b32_e32 v15, 0
	;; [unrolled: 1-line block ×16, first 2 shown]
	s_barrier
	s_and_saveexec_b64 s[0:1], vcc
	s_cbranch_execz .LBB918_32
; %bb.31:
	s_mul_hi_i32 s5, s18, s6
	s_mul_i32 s4, s18, s6
	s_and_b32 s21, s21, 0xffff
	s_lshl_b64 s[4:5], s[4:5], 1
	s_add_u32 s8, s36, s4
	s_mov_b32 s23, 0x20000
	s_addc_u32 s4, s37, s5
	s_and_b32 s9, s4, 0xffff
	s_mov_b32 s10, s22
	s_mov_b32 s11, s23
	buffer_load_dwordx4 v[14:17], v1, s[8:11], 0 offen
	buffer_load_dwordx4 v[10:13], v1, s[8:11], 16 offen
	;; [unrolled: 1-line block ×4, first 2 shown]
.LBB918_32:
	s_or_b64 exec, exec, s[0:1]
	v_mov_b32_e32 v19, 0
	v_mov_b32_e32 v32, 0
	;; [unrolled: 1-line block ×15, first 2 shown]
	s_and_saveexec_b64 s[0:1], vcc
	s_cbranch_execz .LBB918_34
; %bb.33:
	s_waitcnt vmcnt(3)
	v_cvt_f32_u32_sdwa v18, v14 dst_sel:DWORD dst_unused:UNUSED_PAD src0_sel:WORD_0
	v_cvt_f32_u32_sdwa v19, v14 dst_sel:DWORD dst_unused:UNUSED_PAD src0_sel:WORD_1
	v_cvt_f32_u32_sdwa v32, v15 dst_sel:DWORD dst_unused:UNUSED_PAD src0_sel:WORD_0
	v_cvt_f32_u32_sdwa v33, v15 dst_sel:DWORD dst_unused:UNUSED_PAD src0_sel:WORD_1
	v_cvt_f32_u32_sdwa v30, v16 dst_sel:DWORD dst_unused:UNUSED_PAD src0_sel:WORD_0
	v_cvt_f32_u32_sdwa v31, v16 dst_sel:DWORD dst_unused:UNUSED_PAD src0_sel:WORD_1
	v_cvt_f32_u32_sdwa v28, v17 dst_sel:DWORD dst_unused:UNUSED_PAD src0_sel:WORD_0
	v_cvt_f32_u32_sdwa v29, v17 dst_sel:DWORD dst_unused:UNUSED_PAD src0_sel:WORD_1
	s_waitcnt vmcnt(2)
	v_cvt_f32_u32_sdwa v26, v10 dst_sel:DWORD dst_unused:UNUSED_PAD src0_sel:WORD_0
	v_cvt_f32_u32_sdwa v27, v10 dst_sel:DWORD dst_unused:UNUSED_PAD src0_sel:WORD_1
	v_cvt_f32_u32_sdwa v24, v11 dst_sel:DWORD dst_unused:UNUSED_PAD src0_sel:WORD_0
	v_cvt_f32_u32_sdwa v25, v11 dst_sel:DWORD dst_unused:UNUSED_PAD src0_sel:WORD_1
	;; [unrolled: 2-line block ×4, first 2 shown]
.LBB918_34:
	s_or_b64 exec, exec, s[0:1]
	s_waitcnt vmcnt(2)
	v_mul_f32_e32 v10, v19, v19
	v_fmac_f32_e32 v10, v18, v18
	v_fmac_f32_e32 v10, v32, v32
	;; [unrolled: 1-line block ×15, first 2 shown]
	s_nop 1
	v_mov_b32_dpp v11, v10 quad_perm:[1,0,3,2] row_mask:0xf bank_mask:0xf
	v_add_f32_e32 v10, v10, v11
	s_nop 1
	v_mov_b32_dpp v11, v10 quad_perm:[2,3,0,1] row_mask:0xf bank_mask:0xf
	v_add_f32_e32 v10, v10, v11
	s_nop 1
	v_mov_b32_dpp v11, v10 row_half_mirror row_mask:0xf bank_mask:0xf
	v_add_f32_e32 v10, v10, v11
	s_nop 1
	v_mov_b32_dpp v11, v10 row_mirror row_mask:0xf bank_mask:0xf
	v_add_f32_e32 v10, v10, v11
	s_nop 1
	v_mov_b32_dpp v11, v10 row_bcast:15 row_mask:0xf bank_mask:0xf
	v_add_f32_e32 v10, v10, v11
	s_nop 1
	v_mov_b32_dpp v11, v10 row_bcast:31 row_mask:0xf bank_mask:0xf
	s_and_saveexec_b64 s[0:1], s[2:3]
	s_cbranch_execz .LBB918_36
; %bb.35:
	v_lshrrev_b32_e32 v0, 4, v0
	v_add_f32_e32 v10, v10, v11
	v_and_b32_e32 v0, 60, v0
	ds_write_b32 v0, v10
.LBB918_36:
	s_or_b64 exec, exec, s[0:1]
	s_waitcnt lgkmcnt(0)
	s_barrier
	ds_read_b32 v0, v34
	s_waitcnt lgkmcnt(0)
	s_nop 0
	v_mov_b32_dpp v10, v0 quad_perm:[1,0,3,2] row_mask:0xf bank_mask:0xf
	v_add_f32_e32 v0, v0, v10
	s_nop 1
	v_mov_b32_dpp v10, v0 quad_perm:[2,3,0,1] row_mask:0xf bank_mask:0xf
	v_add_f32_e32 v0, v0, v10
	s_nop 1
	v_mov_b32_dpp v10, v0 row_half_mirror row_mask:0xf bank_mask:0xf
	s_and_saveexec_b64 s[0:1], vcc
	s_cbranch_execz .LBB918_17
; %bb.37:
	v_cvt_f32_u32_e32 v11, s16
	v_add_f32_e32 v0, v0, v10
	s_mov_b32 s23, 0x20000
	v_div_scale_f32 v10, s[0:1], v11, v11, v0
	v_rcp_f32_e32 v12, v10
	v_div_scale_f32 v13, vcc, v0, v11, v0
	s_mov_b32 s0, 0x800000
	v_fma_f32 v14, -v10, v12, 1.0
	v_fmac_f32_e32 v12, v14, v12
	v_mul_f32_e32 v14, v13, v12
	v_fma_f32 v15, -v10, v14, v13
	v_fmac_f32_e32 v14, v15, v12
	v_fma_f32 v10, -v10, v14, v13
	v_div_fmas_f32 v10, v10, v12, v14
	v_div_fixup_f32 v0, v10, v11, v0
	v_add_f32_e32 v0, s13, v0
	v_mul_f32_e32 v10, 0x4b800000, v0
	v_cmp_gt_f32_e32 vcc, s0, v0
	v_cndmask_b32_e32 v0, v0, v10, vcc
	v_rsq_f32_e32 v0, v0
	s_mul_hi_i32 s1, s34, s6
	s_mul_i32 s0, s34, s6
	s_lshl_b64 s[0:1], s[0:1], 1
	v_mul_f32_e32 v10, 0x45800000, v0
	v_cndmask_b32_e32 v10, v0, v10, vcc
	v_mov_b32_e32 v11, v10
	s_add_u32 s20, s38, s0
	;;#ASMSTART
	v_pk_mul_f32 v[12:13], v[18:19], v[10:11]
	;;#ASMEND
	;;#ASMSTART
	v_pk_mul_f32 v[14:15], v[32:33], v[10:11]
	;;#ASMEND
	;; [unrolled: 3-line block ×8, first 2 shown]
	s_waitcnt vmcnt(1)
	v_cvt_f32_u32_sdwa v21, v6 dst_sel:DWORD dst_unused:UNUSED_PAD src0_sel:WORD_1
	v_cvt_f32_u32_sdwa v20, v6 dst_sel:DWORD dst_unused:UNUSED_PAD src0_sel:WORD_0
	v_cvt_f32_u32_sdwa v29, v7 dst_sel:DWORD dst_unused:UNUSED_PAD src0_sel:WORD_1
	v_cvt_f32_u32_sdwa v28, v7 dst_sel:DWORD dst_unused:UNUSED_PAD src0_sel:WORD_0
	;; [unrolled: 2-line block ×3, first 2 shown]
	s_addc_u32 s0, s39, s1
	v_cvt_f32_u32_sdwa v31, v9 dst_sel:DWORD dst_unused:UNUSED_PAD src0_sel:WORD_1
	v_cvt_f32_u32_sdwa v30, v9 dst_sel:DWORD dst_unused:UNUSED_PAD src0_sel:WORD_0
	;;#ASMSTART
	v_pk_mul_f32 v[8:9], v[12:13], v[20:21]
	;;#ASMEND
	;;#ASMSTART
	v_pk_mul_f32 v[12:13], v[14:15], v[28:29]
	;;#ASMEND
	;;#ASMSTART
	v_pk_mul_f32 v[6:7], v[16:17], v[6:7]
	;;#ASMEND
	;;#ASMSTART
	v_pk_mul_f32 v[14:15], v[18:19], v[30:31]
	;;#ASMEND
	s_waitcnt vmcnt(0)
	v_cvt_f32_u32_sdwa v17, v2 dst_sel:DWORD dst_unused:UNUSED_PAD src0_sel:WORD_1
	v_cvt_f32_u32_sdwa v16, v2 dst_sel:DWORD dst_unused:UNUSED_PAD src0_sel:WORD_0
	v_cvt_f32_u32_sdwa v19, v3 dst_sel:DWORD dst_unused:UNUSED_PAD src0_sel:WORD_1
	v_cvt_f32_u32_sdwa v18, v3 dst_sel:DWORD dst_unused:UNUSED_PAD src0_sel:WORD_0
	;; [unrolled: 2-line block ×3, first 2 shown]
	s_and_b32 s21, s0, 0xffff
	s_mov_b32 s0, 0x7060302
	v_cvt_f32_u32_sdwa v21, v5 dst_sel:DWORD dst_unused:UNUSED_PAD src0_sel:WORD_1
	v_cvt_f32_u32_sdwa v20, v5 dst_sel:DWORD dst_unused:UNUSED_PAD src0_sel:WORD_0
	;;#ASMSTART
	v_pk_mul_f32 v[16:17], v[26:27], v[16:17]
	;;#ASMEND
	;;#ASMSTART
	v_pk_mul_f32 v[18:19], v[24:25], v[18:19]
	;;#ASMEND
	;; [unrolled: 3-line block ×3, first 2 shown]
	v_perm_b32 v2, v9, v8, s0
	v_perm_b32 v3, v13, v12, s0
	;; [unrolled: 1-line block ×4, first 2 shown]
	;;#ASMSTART
	v_pk_mul_f32 v[10:11], v[10:11], v[20:21]
	;;#ASMEND
	buffer_store_dwordx4 v[2:5], v1, s[20:23], 0 offen
	;;#ASMSTART
	s_nop 0
	;;#ASMEND
	s_nop 0
	v_perm_b32 v2, v17, v16, s0
	v_perm_b32 v3, v19, v18, s0
	;; [unrolled: 1-line block ×4, first 2 shown]
	buffer_store_dwordx4 v[2:5], v1, s[20:23], 16 offen
	;;#ASMSTART
	s_nop 0
	;;#ASMEND
	s_endpgm
	.section	.rodata,"a",@progbits
	.p2align	6, 0x0
	.amdhsa_kernel _ZN5aiter35fused_qk_rmsnorm_group_quant_kernelItDB8_Li512ELi16ELi8ELb1ELb0ELb0ELb0ELb0ELb0EEEvPT0_PvPT_S6_S6_PKS5_S8_S8_S8_S8_ffiiiiiiiiiiiii
		.amdhsa_group_segment_fixed_size 64
		.amdhsa_private_segment_fixed_size 0
		.amdhsa_kernarg_size 400
		.amdhsa_user_sgpr_count 6
		.amdhsa_user_sgpr_private_segment_buffer 1
		.amdhsa_user_sgpr_dispatch_ptr 0
		.amdhsa_user_sgpr_queue_ptr 0
		.amdhsa_user_sgpr_kernarg_segment_ptr 1
		.amdhsa_user_sgpr_dispatch_id 0
		.amdhsa_user_sgpr_flat_scratch_init 0
		.amdhsa_user_sgpr_kernarg_preload_length 0
		.amdhsa_user_sgpr_kernarg_preload_offset 0
		.amdhsa_user_sgpr_private_segment_size 0
		.amdhsa_uses_dynamic_stack 0
		.amdhsa_system_sgpr_private_segment_wavefront_offset 0
		.amdhsa_system_sgpr_workgroup_id_x 1
		.amdhsa_system_sgpr_workgroup_id_y 1
		.amdhsa_system_sgpr_workgroup_id_z 0
		.amdhsa_system_sgpr_workgroup_info 0
		.amdhsa_system_vgpr_workitem_id 0
		.amdhsa_next_free_vgpr 96
		.amdhsa_next_free_sgpr 44
		.amdhsa_accum_offset 96
		.amdhsa_reserve_vcc 1
		.amdhsa_reserve_flat_scratch 0
		.amdhsa_float_round_mode_32 0
		.amdhsa_float_round_mode_16_64 0
		.amdhsa_float_denorm_mode_32 3
		.amdhsa_float_denorm_mode_16_64 3
		.amdhsa_dx10_clamp 1
		.amdhsa_ieee_mode 1
		.amdhsa_fp16_overflow 0
		.amdhsa_tg_split 0
		.amdhsa_exception_fp_ieee_invalid_op 0
		.amdhsa_exception_fp_denorm_src 0
		.amdhsa_exception_fp_ieee_div_zero 0
		.amdhsa_exception_fp_ieee_overflow 0
		.amdhsa_exception_fp_ieee_underflow 0
		.amdhsa_exception_fp_ieee_inexact 0
		.amdhsa_exception_int_div_zero 0
	.end_amdhsa_kernel
	.section	.text._ZN5aiter35fused_qk_rmsnorm_group_quant_kernelItDB8_Li512ELi16ELi8ELb1ELb0ELb0ELb0ELb0ELb0EEEvPT0_PvPT_S6_S6_PKS5_S8_S8_S8_S8_ffiiiiiiiiiiiii,"axG",@progbits,_ZN5aiter35fused_qk_rmsnorm_group_quant_kernelItDB8_Li512ELi16ELi8ELb1ELb0ELb0ELb0ELb0ELb0EEEvPT0_PvPT_S6_S6_PKS5_S8_S8_S8_S8_ffiiiiiiiiiiiii,comdat
.Lfunc_end918:
	.size	_ZN5aiter35fused_qk_rmsnorm_group_quant_kernelItDB8_Li512ELi16ELi8ELb1ELb0ELb0ELb0ELb0ELb0EEEvPT0_PvPT_S6_S6_PKS5_S8_S8_S8_S8_ffiiiiiiiiiiiii, .Lfunc_end918-_ZN5aiter35fused_qk_rmsnorm_group_quant_kernelItDB8_Li512ELi16ELi8ELb1ELb0ELb0ELb0ELb0ELb0EEEvPT0_PvPT_S6_S6_PKS5_S8_S8_S8_S8_ffiiiiiiiiiiiii
                                        ; -- End function
	.section	.AMDGPU.csdata,"",@progbits
; Kernel info:
; codeLenInByte = 4104
; NumSgprs: 48
; NumVgprs: 96
; NumAgprs: 0
; TotalNumVgprs: 96
; ScratchSize: 0
; MemoryBound: 0
; FloatMode: 240
; IeeeMode: 1
; LDSByteSize: 64 bytes/workgroup (compile time only)
; SGPRBlocks: 5
; VGPRBlocks: 11
; NumSGPRsForWavesPerEU: 48
; NumVGPRsForWavesPerEU: 96
; AccumOffset: 96
; Occupancy: 5
; WaveLimiterHint : 0
; COMPUTE_PGM_RSRC2:SCRATCH_EN: 0
; COMPUTE_PGM_RSRC2:USER_SGPR: 6
; COMPUTE_PGM_RSRC2:TRAP_HANDLER: 0
; COMPUTE_PGM_RSRC2:TGID_X_EN: 1
; COMPUTE_PGM_RSRC2:TGID_Y_EN: 1
; COMPUTE_PGM_RSRC2:TGID_Z_EN: 0
; COMPUTE_PGM_RSRC2:TIDIG_COMP_CNT: 0
; COMPUTE_PGM_RSRC3_GFX90A:ACCUM_OFFSET: 23
; COMPUTE_PGM_RSRC3_GFX90A:TG_SPLIT: 0
	.section	.text._ZN5aiter35fused_qk_rmsnorm_group_quant_kernelIDF16_N4opus5fp4_tELi512ELi16ELi8ELb1ELb0ELb0ELb0ELb0ELb0EEEvPT0_PvPT_S7_S7_PKS6_S9_S9_S9_S9_ffiiiiiiiiiiiii,"axG",@progbits,_ZN5aiter35fused_qk_rmsnorm_group_quant_kernelIDF16_N4opus5fp4_tELi512ELi16ELi8ELb1ELb0ELb0ELb0ELb0ELb0EEEvPT0_PvPT_S7_S7_PKS6_S9_S9_S9_S9_ffiiiiiiiiiiiii,comdat
	.protected	_ZN5aiter35fused_qk_rmsnorm_group_quant_kernelIDF16_N4opus5fp4_tELi512ELi16ELi8ELb1ELb0ELb0ELb0ELb0ELb0EEEvPT0_PvPT_S7_S7_PKS6_S9_S9_S9_S9_ffiiiiiiiiiiiii ; -- Begin function _ZN5aiter35fused_qk_rmsnorm_group_quant_kernelIDF16_N4opus5fp4_tELi512ELi16ELi8ELb1ELb0ELb0ELb0ELb0ELb0EEEvPT0_PvPT_S7_S7_PKS6_S9_S9_S9_S9_ffiiiiiiiiiiiii
	.globl	_ZN5aiter35fused_qk_rmsnorm_group_quant_kernelIDF16_N4opus5fp4_tELi512ELi16ELi8ELb1ELb0ELb0ELb0ELb0ELb0EEEvPT0_PvPT_S7_S7_PKS6_S9_S9_S9_S9_ffiiiiiiiiiiiii
	.p2align	8
	.type	_ZN5aiter35fused_qk_rmsnorm_group_quant_kernelIDF16_N4opus5fp4_tELi512ELi16ELi8ELb1ELb0ELb0ELb0ELb0ELb0EEEvPT0_PvPT_S7_S7_PKS6_S9_S9_S9_S9_ffiiiiiiiiiiiii,@function
_ZN5aiter35fused_qk_rmsnorm_group_quant_kernelIDF16_N4opus5fp4_tELi512ELi16ELi8ELb1ELb0ELb0ELb0ELb0ELb0EEEvPT0_PvPT_S7_S7_PKS6_S9_S9_S9_S9_ffiiiiiiiiiiiii: ; @_ZN5aiter35fused_qk_rmsnorm_group_quant_kernelIDF16_N4opus5fp4_tELi512ELi16ELi8ELb1ELb0ELb0ELb0ELb0ELb0EEEvPT0_PvPT_S7_S7_PKS6_S9_S9_S9_S9_ffiiiiiiiiiiiii
; %bb.0:
	s_load_dwordx8 s[12:19], s[4:5], 0x50
	s_waitcnt lgkmcnt(0)
	s_cmp_ge_i32 s6, s14
	s_cbranch_scc1 .LBB919_17
; %bb.1:
	s_cmp_lg_u32 s7, 0
	s_cselect_b64 s[22:23], -1, 0
	s_cmp_eq_u32 s7, 0
	s_cselect_b64 s[2:3], -1, 0
	s_and_b64 s[0:1], s[2:3], exec
	s_load_dwordx2 s[20:21], s[4:5], 0x48
	s_load_dwordx2 s[34:35], s[4:5], 0x30
	s_load_dwordx4 s[24:27], s[4:5], 0x70
	s_cselect_b32 s7, s15, s16
	s_add_i32 s0, s7, 1
	s_lshr_b32 s1, s0, 31
	s_add_i32 s0, s0, s1
	s_lshl_b32 s0, s0, 1
	v_lshlrev_b32_e32 v1, 4, v0
	s_and_b32 s30, s0, -4
	v_cmp_gt_i32_e64 s[0:1], s7, v1
	v_mov_b32_e32 v6, 0
	v_mov_b32_e32 v7, 0
	;; [unrolled: 1-line block ×16, first 2 shown]
	s_and_saveexec_b64 s[8:9], s[0:1]
	s_cbranch_execz .LBB919_3
; %bb.2:
	s_load_dwordx2 s[10:11], s[4:5], 0x28
	s_load_dwordx2 s[28:29], s[4:5], 0x40
	s_and_b64 s[36:37], s[2:3], exec
	s_cselect_b32 s14, s17, s18
	s_mov_b32 s31, 0x20000
	s_waitcnt lgkmcnt(0)
	s_cselect_b32 s17, s11, s35
	s_cselect_b32 s27, s10, s34
	s_mul_hi_i32 s11, s14, s6
	s_mul_i32 s10, s14, s6
	s_lshl_b64 s[10:11], s[10:11], 1
	s_add_u32 s36, s27, s10
	s_addc_u32 s14, s17, s11
	s_and_b64 s[10:11], s[2:3], exec
	s_cselect_b32 s28, s28, s20
	s_cselect_b32 s10, s29, s21
	s_and_b32 s37, s14, 0xffff
	s_mov_b32 s38, s30
	s_mov_b32 s39, s31
	v_lshlrev_b32_e32 v18, 5, v0
	s_and_b32 s29, s10, 0xffff
	buffer_load_dwordx4 v[10:13], v18, s[36:39], 0 offen
	buffer_load_dwordx4 v[14:17], v18, s[36:39], 16 offen
	;; [unrolled: 1-line block ×4, first 2 shown]
.LBB919_3:
	s_or_b64 exec, exec, s[8:9]
	s_load_dwordx2 s[10:11], s[4:5], 0x80
	s_and_b64 vcc, exec, s[22:23]
	s_cbranch_vccz .LBB919_7
; %bb.4:
	v_mov_b32_e32 v19, 0
	v_mov_b32_e32 v18, 0
	;; [unrolled: 1-line block ×16, first 2 shown]
	s_and_saveexec_b64 s[8:9], s[0:1]
	s_cbranch_execz .LBB919_6
; %bb.5:
	s_waitcnt vmcnt(3)
	v_cvt_f32_f16_sdwa v33, v10 dst_sel:DWORD dst_unused:UNUSED_PAD src0_sel:WORD_1
	v_cvt_f32_f16_e32 v32, v10
	v_cvt_f32_f16_sdwa v31, v11 dst_sel:DWORD dst_unused:UNUSED_PAD src0_sel:WORD_1
	v_cvt_f32_f16_e32 v30, v11
	;; [unrolled: 2-line block ×4, first 2 shown]
	s_waitcnt vmcnt(2)
	v_cvt_f32_f16_sdwa v27, v14 dst_sel:DWORD dst_unused:UNUSED_PAD src0_sel:WORD_1
	v_cvt_f32_f16_e32 v26, v14
	v_cvt_f32_f16_sdwa v23, v15 dst_sel:DWORD dst_unused:UNUSED_PAD src0_sel:WORD_1
	v_cvt_f32_f16_e32 v22, v15
	;; [unrolled: 2-line block ×4, first 2 shown]
.LBB919_6:
	s_or_b64 exec, exec, s[8:9]
	s_cbranch_execz .LBB919_8
	s_branch .LBB919_11
.LBB919_7:
                                        ; implicit-def: $vgpr19
                                        ; implicit-def: $vgpr21
                                        ; implicit-def: $vgpr23
                                        ; implicit-def: $vgpr27
                                        ; implicit-def: $vgpr25
                                        ; implicit-def: $vgpr29
                                        ; implicit-def: $vgpr31
                                        ; implicit-def: $vgpr33
.LBB919_8:
	v_mov_b32_e32 v19, 0
	v_mov_b32_e32 v18, 0
	;; [unrolled: 1-line block ×16, first 2 shown]
	s_and_saveexec_b64 s[8:9], s[0:1]
	s_cbranch_execz .LBB919_10
; %bb.9:
	s_load_dwordx2 s[28:29], s[4:5], 0x38
	s_mul_hi_i32 s37, s19, s6
	s_mul_i32 s36, s19, s6
	s_lshl_b64 s[36:37], s[36:37], 1
	s_mov_b32 s31, 0x20000
	s_waitcnt lgkmcnt(0)
	s_add_u32 s28, s28, s36
	s_addc_u32 s14, s29, s37
	s_and_b32 s29, s14, 0xffff
	v_lshlrev_b32_e32 v46, 5, v0
	buffer_load_dwordx4 v[18:21], v46, s[28:31], 16 offen
	buffer_load_dwordx4 v[22:25], v46, s[28:31], 0 offen
	s_waitcnt vmcnt(4)
	v_cvt_f32_f16_sdwa v27, v14 dst_sel:DWORD dst_unused:UNUSED_PAD src0_sel:WORD_1
	v_cvt_f32_f16_e32 v26, v14
	v_cvt_f32_f16_sdwa v29, v15 dst_sel:DWORD dst_unused:UNUSED_PAD src0_sel:WORD_1
	v_cvt_f32_f16_e32 v28, v15
	;; [unrolled: 2-line block ×8, first 2 shown]
	s_load_dwordx2 s[28:29], s[4:5], 0x20
	s_mul_hi_i32 s37, s11, s6
	s_mul_i32 s36, s11, s6
	s_lshl_b64 s[36:37], s[36:37], 1
	s_waitcnt lgkmcnt(0)
	s_add_u32 s28, s28, s36
	s_addc_u32 s11, s29, s37
	s_and_b32 s29, s11, 0xffff
	s_waitcnt vmcnt(1)
	v_cvt_f32_f16_e32 v12, v18
	v_cvt_f32_f16_sdwa v13, v18 dst_sel:DWORD dst_unused:UNUSED_PAD src0_sel:WORD_1
	v_cvt_f32_f16_e32 v18, v19
	v_cvt_f32_f16_sdwa v19, v19 dst_sel:DWORD dst_unused:UNUSED_PAD src0_sel:WORD_1
	;; [unrolled: 2-line block ×4, first 2 shown]
	s_waitcnt vmcnt(0)
	v_cvt_f32_f16_e32 v40, v22
	v_cvt_f32_f16_sdwa v41, v22 dst_sel:DWORD dst_unused:UNUSED_PAD src0_sel:WORD_1
	v_cvt_f32_f16_e32 v42, v23
	v_cvt_f32_f16_sdwa v43, v23 dst_sel:DWORD dst_unused:UNUSED_PAD src0_sel:WORD_1
	;; [unrolled: 2-line block ×4, first 2 shown]
	v_pk_add_f32 v[26:27], v[26:27], v[12:13]
	v_pk_add_f32 v[22:23], v[28:29], v[18:19]
	;; [unrolled: 1-line block ×8, first 2 shown]
	v_cvt_f16_f32_e32 v10, v33
	v_cvt_f16_f32_e32 v14, v32
	;; [unrolled: 1-line block ×16, first 2 shown]
	v_pack_b32_f16 v13, v17, v13
	v_pack_b32_f16 v12, v16, v12
	v_pack_b32_f16 v11, v15, v11
	v_pack_b32_f16 v10, v14, v10
	v_pack_b32_f16 v17, v40, v41
	v_pack_b32_f16 v16, v38, v39
	v_pack_b32_f16 v15, v36, v37
	v_pack_b32_f16 v14, v34, v35
	buffer_store_dwordx4 v[10:13], v46, s[28:31], 0 offen
	;;#ASMSTART
	s_nop 0
	;;#ASMEND
	buffer_store_dwordx4 v[14:17], v46, s[28:31], 16 offen
	;;#ASMSTART
	s_nop 0
	;;#ASMEND
.LBB919_10:
	s_or_b64 exec, exec, s[8:9]
.LBB919_11:
	s_waitcnt vmcnt(3)
	v_mul_f32_e32 v10, v33, v33
	v_fmac_f32_e32 v10, v32, v32
	v_fmac_f32_e32 v10, v30, v30
	;; [unrolled: 1-line block ×15, first 2 shown]
	v_and_b32_e32 v12, 63, v0
	v_cmp_eq_u32_e64 s[8:9], 63, v12
	v_mov_b32_dpp v11, v10 quad_perm:[1,0,3,2] row_mask:0xf bank_mask:0xf
	v_add_f32_e32 v10, v10, v11
	s_nop 1
	v_mov_b32_dpp v11, v10 quad_perm:[2,3,0,1] row_mask:0xf bank_mask:0xf
	v_add_f32_e32 v10, v10, v11
	s_nop 1
	v_mov_b32_dpp v11, v10 row_half_mirror row_mask:0xf bank_mask:0xf
	v_add_f32_e32 v10, v10, v11
	s_nop 1
	v_mov_b32_dpp v11, v10 row_mirror row_mask:0xf bank_mask:0xf
	v_add_f32_e32 v10, v10, v11
	s_nop 1
	v_mov_b32_dpp v11, v10 row_bcast:15 row_mask:0xf bank_mask:0xf
	v_add_f32_e32 v10, v10, v11
	s_nop 1
	v_mov_b32_dpp v11, v10 row_bcast:31 row_mask:0xf bank_mask:0xf
	s_and_saveexec_b64 s[28:29], s[8:9]
	s_cbranch_execz .LBB919_13
; %bb.12:
	v_add_f32_e32 v10, v10, v11
	v_lshrrev_b32_e32 v11, 4, v0
	v_and_b32_e32 v11, 60, v11
	ds_write_b32 v11, v10 offset:32
.LBB919_13:
	s_or_b64 exec, exec, s[28:29]
	v_and_b32_e32 v10, 7, v0
	v_lshlrev_b32_e32 v34, 2, v10
	s_waitcnt lgkmcnt(0)
	s_barrier
	ds_read_b32 v11, v34 offset:32
	s_load_dwordx2 s[36:37], s[4:5], 0x18
	s_waitcnt lgkmcnt(0)
	v_mov_b32_dpp v12, v11 quad_perm:[1,0,3,2] row_mask:0xf bank_mask:0xf
	v_add_f32_e32 v11, v11, v12
	s_nop 1
	v_mov_b32_dpp v12, v11 quad_perm:[2,3,0,1] row_mask:0xf bank_mask:0xf
	v_add_f32_e32 v11, v11, v12
	s_nop 1
	v_mov_b32_dpp v12, v11 row_half_mirror row_mask:0xf bank_mask:0xf
	s_and_saveexec_b64 s[28:29], s[0:1]
	s_cbranch_execnz .LBB919_18
; %bb.14:
	s_or_b64 exec, exec, s[28:29]
	s_mov_b64 s[2:3], -1
	s_and_b64 vcc, exec, s[22:23]
	s_cbranch_vccnz .LBB919_19
.LBB919_15:
	s_andn2_b64 vcc, exec, s[2:3]
	s_cbranch_vccz .LBB919_22
.LBB919_16:
	s_cmp_lt_i32 s16, 1
	s_cbranch_scc0 .LBB919_29
.LBB919_17:
	s_endpgm
.LBB919_18:
	v_cvt_f32_u32_e32 v13, s7
	v_add_f32_e32 v11, v11, v12
	s_waitcnt vmcnt(2)
	v_mov_b32_e32 v15, s13
	v_mov_b32_e32 v16, s12
	v_div_scale_f32 v12, s[38:39], v13, v13, v11
	v_rcp_f32_e32 v14, v12
	v_cndmask_b32_e64 v15, v15, v16, s[2:3]
	s_mov_b32 s2, 0x800000
	s_waitcnt vmcnt(1)
	v_cvt_f32_f16_sdwa v37, v9 dst_sel:DWORD dst_unused:UNUSED_PAD src0_sel:WORD_1
	v_fma_f32 v16, -v12, v14, 1.0
	v_fmac_f32_e32 v14, v16, v14
	v_div_scale_f32 v16, vcc, v11, v13, v11
	v_mul_f32_e32 v17, v16, v14
	v_fma_f32 v35, -v12, v17, v16
	v_fmac_f32_e32 v17, v35, v14
	v_fma_f32 v12, -v12, v17, v16
	v_div_fmas_f32 v12, v12, v14, v17
	v_div_fixup_f32 v11, v12, v13, v11
	v_add_f32_e32 v11, v15, v11
	v_mul_f32_e32 v12, 0x4b800000, v11
	v_cmp_gt_f32_e32 vcc, s2, v11
	v_cndmask_b32_e32 v11, v11, v12, vcc
	v_rsq_f32_e32 v11, v11
	v_cvt_f32_f16_e32 v36, v9
	s_waitcnt vmcnt(0)
	v_cvt_f32_f16_sdwa v9, v3 dst_sel:DWORD dst_unused:UNUSED_PAD src0_sel:WORD_1
	v_mul_f32_e32 v12, 0x45800000, v11
	v_cndmask_b32_e32 v12, v11, v12, vcc
	v_mov_b32_e32 v13, v12
	;;#ASMSTART
	v_pk_mul_f32 v[14:15], v[32:33], v[12:13]
	;;#ASMEND
	;;#ASMSTART
	v_pk_mul_f32 v[16:17], v[30:31], v[12:13]
	;;#ASMEND
	;;#ASMSTART
	v_pk_mul_f32 v[28:29], v[28:29], v[12:13]
	;;#ASMEND
	;;#ASMSTART
	v_pk_mul_f32 v[24:25], v[24:25], v[12:13]
	;;#ASMEND
	;;#ASMSTART
	v_pk_mul_f32 v[26:27], v[26:27], v[12:13]
	;;#ASMEND
	;;#ASMSTART
	v_pk_mul_f32 v[22:23], v[22:23], v[12:13]
	;;#ASMEND
	;;#ASMSTART
	v_pk_mul_f32 v[20:21], v[20:21], v[12:13]
	;;#ASMEND
	;;#ASMSTART
	v_pk_mul_f32 v[12:13], v[18:19], v[12:13]
	;;#ASMEND
	v_cvt_f32_f16_sdwa v19, v6 dst_sel:DWORD dst_unused:UNUSED_PAD src0_sel:WORD_1
	v_cvt_f32_f16_e32 v18, v6
	v_cvt_f32_f16_sdwa v31, v7 dst_sel:DWORD dst_unused:UNUSED_PAD src0_sel:WORD_1
	v_cvt_f32_f16_e32 v30, v7
	;; [unrolled: 2-line block ×3, first 2 shown]
	;;#ASMSTART
	v_pk_mul_f32 v[32:33], v[14:15], v[18:19]
	;;#ASMEND
	;;#ASMSTART
	v_pk_mul_f32 v[30:31], v[16:17], v[30:31]
	;;#ASMEND
	;; [unrolled: 3-line block ×4, first 2 shown]
	v_cvt_f32_f16_sdwa v7, v2 dst_sel:DWORD dst_unused:UNUSED_PAD src0_sel:WORD_1
	v_cvt_f32_f16_e32 v6, v2
	v_cvt_f32_f16_e32 v8, v3
	v_cvt_f32_f16_sdwa v3, v4 dst_sel:DWORD dst_unused:UNUSED_PAD src0_sel:WORD_1
	v_cvt_f32_f16_e32 v2, v4
	v_cvt_f32_f16_sdwa v15, v5 dst_sel:DWORD dst_unused:UNUSED_PAD src0_sel:WORD_1
	v_cvt_f32_f16_e32 v14, v5
	;;#ASMSTART
	v_pk_mul_f32 v[26:27], v[26:27], v[6:7]
	;;#ASMEND
	;;#ASMSTART
	v_pk_mul_f32 v[22:23], v[22:23], v[8:9]
	;;#ASMEND
	;; [unrolled: 3-line block ×4, first 2 shown]
	s_or_b64 exec, exec, s[28:29]
	s_mov_b64 s[2:3], -1
	s_and_b64 vcc, exec, s[22:23]
	s_cbranch_vccz .LBB919_15
.LBB919_19:
	s_and_saveexec_b64 s[2:3], s[0:1]
	s_cbranch_execz .LBB919_21
; %bb.20:
	s_mul_hi_i32 s23, s10, s6
	s_mul_i32 s22, s10, s6
	s_waitcnt vmcnt(0)
	v_cvt_f16_f32_e32 v2, v32
	v_cvt_f16_f32_e32 v3, v30
	;; [unrolled: 1-line block ×8, first 2 shown]
	s_lshl_b64 s[22:23], s[22:23], 1
	s_add_u32 s28, s36, s22
	s_addc_u32 s7, s37, s23
	s_and_b32 s29, s7, 0xffff
	s_mov_b32 s31, 0x20000
	v_pack_b32_f16 v5, v5, v6
	v_pack_b32_f16 v4, v4, v7
	;; [unrolled: 1-line block ×4, first 2 shown]
	v_lshlrev_b32_e32 v6, 5, v0
	buffer_store_dwordx4 v[2:5], v6, s[28:31], 0 offen
	v_cvt_f16_f32_e32 v7, v19
	v_cvt_f16_f32_e32 v2, v26
	v_cvt_f16_f32_e32 v3, v22
	v_cvt_f16_f32_e32 v4, v20
	v_cvt_f16_f32_e32 v5, v18
	v_cvt_f16_f32_e32 v8, v21
	v_cvt_f16_f32_e32 v9, v23
	v_cvt_f16_f32_e32 v11, v27
	v_pack_b32_f16 v5, v5, v7
	v_pack_b32_f16 v4, v4, v8
	;; [unrolled: 1-line block ×4, first 2 shown]
	;;#ASMSTART
	s_nop 0
	;;#ASMEND
	buffer_store_dwordx4 v[2:5], v6, s[28:31], 16 offen
	;;#ASMSTART
	s_nop 0
	;;#ASMEND
.LBB919_21:
	s_or_b64 exec, exec, s[2:3]
	s_cbranch_execnz .LBB919_16
.LBB919_22:
	s_waitcnt vmcnt(0)
	v_mov_b32_e32 v2, 0
	s_and_saveexec_b64 s[2:3], s[0:1]
	s_cbranch_execz .LBB919_24
; %bb.23:
	v_and_b32_e32 v2, 0x7fffffff, v32
	v_and_b32_e32 v3, 0x7fffffff, v33
	v_mov_b32_e32 v4, 0x2edbe6ff
	;;#ASMSTART
	v_max3_f32 v2, v4, v2, v3

	;;#ASMEND
	v_and_b32_e32 v3, 0x7fffffff, v30
	v_and_b32_e32 v4, 0x7fffffff, v31
	;;#ASMSTART
	v_max3_f32 v2, v2, v3, v4

	;;#ASMEND
	v_and_b32_e32 v3, 0x7fffffff, v28
	v_and_b32_e32 v4, 0x7fffffff, v29
	;; [unrolled: 6-line block ×7, first 2 shown]
	;;#ASMSTART
	v_max3_f32 v2, v2, v3, v4

	;;#ASMEND
.LBB919_24:
	s_or_b64 exec, exec, s[2:3]
	v_cmp_eq_u32_e32 vcc, 0, v10
	v_cmp_gt_i32_e64 s[2:3], s15, v1
	s_and_b64 s[22:23], vcc, s[2:3]
	;;#ASMSTART
	v_max_f32 v3, v2, v2 quad_perm:[1,0,3,2] row_mask:0xf bank_mask:0xf bound_ctrl:1
	;;#ASMEND
	;;#ASMSTART
	v_max_f32 v4, v3, v3 quad_perm:[2,3,0,1] row_mask:0xf bank_mask:0xf bound_ctrl:1
	;;#ASMEND
	;;#ASMSTART
	v_max_f32 v2, v4, v4 row_half_mirror row_mask:0xf bank_mask:0xf bound_ctrl:1
	;;#ASMEND
	s_and_saveexec_b64 s[2:3], s[22:23]
	s_cbranch_execz .LBB919_26
; %bb.25:
	s_load_dwordx2 s[22:23], s[4:5], 0x8
	v_mul_f32_e32 v2, 0x3e2aaaab, v2
	v_lshrrev_b32_e32 v3, 23, v2
	v_and_b32_e32 v4, 0x7f800000, v2
	v_and_b32_e32 v2, 0x7fffff, v2
	v_cmp_ne_u32_e32 vcc, 0, v2
	s_mul_i32 s12, s25, s6
	s_mov_b32 s7, 0x7f800000
	v_addc_co_u32_e32 v2, vcc, 0, v3, vcc
	s_mul_hi_i32 s11, s25, s6
	s_waitcnt lgkmcnt(0)
	s_add_u32 s22, s22, s12
	v_cmp_ne_u32_e32 vcc, s7, v4
	s_addc_u32 s23, s23, s11
	v_lshrrev_b32_e32 v5, 3, v0
	v_cndmask_b32_e32 v4, -1, v2, vcc
	v_pk_mov_b32 v[2:3], s[22:23], s[22:23] op_sel:[0,1]
	v_mad_i64_i32 v[2:3], s[22:23], s26, v5, v[2:3]
	global_store_byte v[2:3], v4, off
.LBB919_26:
	s_or_b64 exec, exec, s[2:3]
	s_and_saveexec_b64 s[2:3], s[0:1]
	s_cbranch_execz .LBB919_28
; %bb.27:
	s_load_dwordx2 s[0:1], s[4:5], 0x0
	s_mul_i32 s11, s24, s6
	s_mul_hi_i32 s7, s24, s6
	v_mov_b32_e32 v2, 0
	v_lshlrev_b32_e32 v4, 3, v0
	s_waitcnt lgkmcnt(0)
	s_add_u32 s24, s0, s11
	s_addc_u32 s0, s1, s7
	s_lshr_b32 s1, s15, 31
	s_add_i32 s1, s15, s1
	s_ashr_i32 s1, s1, 1
	s_add_i32 s1, s1, 3
	s_ashr_i32 s7, s1, 31
	s_lshr_b32 s7, s7, 30
	s_add_i32 s1, s1, s7
	s_and_b32 s26, s1, -4
	s_and_b32 s25, s0, 0xffff
	s_mov_b32 s27, 0x20000
	v_mov_b32_e32 v3, v2
	buffer_store_dwordx2 v[2:3], v4, s[24:27], 0 offen
	;;#ASMSTART
	s_nop 0
	;;#ASMEND
.LBB919_28:
	s_or_b64 exec, exec, s[2:3]
	s_cmp_lt_i32 s16, 1
	s_cbranch_scc1 .LBB919_17
.LBB919_29:
	s_load_dword s0, s[4:5], 0x94
	s_waitcnt lgkmcnt(0)
	s_cmp_lg_u32 s0, 1
	s_cbranch_scc1 .LBB919_17
; %bb.30:
	s_lshl_b32 s0, s16, 1
	s_add_i32 s0, s0, 2
	v_cmp_gt_u32_e32 vcc, s16, v1
	s_and_b32 s22, s0, -4
	v_mov_b32_e32 v18, 0
	v_lshlrev_b32_e32 v1, 5, v0
	s_waitcnt vmcnt(2)
	v_mov_b32_e32 v14, 0
	v_mov_b32_e32 v15, 0
	;; [unrolled: 1-line block ×8, first 2 shown]
	s_waitcnt vmcnt(1)
	v_mov_b32_e32 v6, 0
	v_mov_b32_e32 v7, 0
	;; [unrolled: 1-line block ×4, first 2 shown]
	s_waitcnt vmcnt(0)
	v_mov_b32_e32 v2, 0
	v_mov_b32_e32 v3, 0
	;; [unrolled: 1-line block ×4, first 2 shown]
	s_barrier
	s_and_saveexec_b64 s[0:1], vcc
	s_cbranch_execz .LBB919_32
; %bb.31:
	s_mul_hi_i32 s3, s18, s6
	s_mul_i32 s2, s18, s6
	s_and_b32 s21, s21, 0xffff
	s_lshl_b64 s[2:3], s[2:3], 1
	s_add_u32 s24, s34, s2
	s_mov_b32 s23, 0x20000
	s_addc_u32 s2, s35, s3
	s_and_b32 s25, s2, 0xffff
	s_mov_b32 s26, s22
	s_mov_b32 s27, s23
	buffer_load_dwordx4 v[14:17], v1, s[24:27], 0 offen
	buffer_load_dwordx4 v[10:13], v1, s[24:27], 16 offen
	;; [unrolled: 1-line block ×4, first 2 shown]
.LBB919_32:
	s_or_b64 exec, exec, s[0:1]
	v_mov_b32_e32 v19, 0
	v_mov_b32_e32 v32, 0
	;; [unrolled: 1-line block ×15, first 2 shown]
	s_and_saveexec_b64 s[0:1], vcc
	s_cbranch_execz .LBB919_34
; %bb.33:
	s_waitcnt vmcnt(3)
	v_cvt_f32_f16_sdwa v19, v14 dst_sel:DWORD dst_unused:UNUSED_PAD src0_sel:WORD_1
	v_cvt_f32_f16_e32 v18, v14
	v_cvt_f32_f16_sdwa v33, v15 dst_sel:DWORD dst_unused:UNUSED_PAD src0_sel:WORD_1
	v_cvt_f32_f16_e32 v32, v15
	;; [unrolled: 2-line block ×4, first 2 shown]
	s_waitcnt vmcnt(2)
	v_cvt_f32_f16_sdwa v27, v10 dst_sel:DWORD dst_unused:UNUSED_PAD src0_sel:WORD_1
	v_cvt_f32_f16_e32 v26, v10
	v_cvt_f32_f16_sdwa v25, v11 dst_sel:DWORD dst_unused:UNUSED_PAD src0_sel:WORD_1
	v_cvt_f32_f16_e32 v24, v11
	;; [unrolled: 2-line block ×4, first 2 shown]
.LBB919_34:
	s_or_b64 exec, exec, s[0:1]
	s_waitcnt vmcnt(2)
	v_mul_f32_e32 v10, v19, v19
	v_fmac_f32_e32 v10, v18, v18
	v_fmac_f32_e32 v10, v32, v32
	;; [unrolled: 1-line block ×15, first 2 shown]
	s_nop 1
	v_mov_b32_dpp v11, v10 quad_perm:[1,0,3,2] row_mask:0xf bank_mask:0xf
	v_add_f32_e32 v10, v10, v11
	s_nop 1
	v_mov_b32_dpp v11, v10 quad_perm:[2,3,0,1] row_mask:0xf bank_mask:0xf
	v_add_f32_e32 v10, v10, v11
	s_nop 1
	v_mov_b32_dpp v11, v10 row_half_mirror row_mask:0xf bank_mask:0xf
	v_add_f32_e32 v10, v10, v11
	s_nop 1
	v_mov_b32_dpp v11, v10 row_mirror row_mask:0xf bank_mask:0xf
	v_add_f32_e32 v10, v10, v11
	s_nop 1
	v_mov_b32_dpp v11, v10 row_bcast:15 row_mask:0xf bank_mask:0xf
	v_add_f32_e32 v10, v10, v11
	s_nop 1
	v_mov_b32_dpp v11, v10 row_bcast:31 row_mask:0xf bank_mask:0xf
	s_and_saveexec_b64 s[0:1], s[8:9]
	s_cbranch_execz .LBB919_36
; %bb.35:
	v_lshrrev_b32_e32 v0, 4, v0
	v_add_f32_e32 v10, v10, v11
	v_and_b32_e32 v0, 60, v0
	ds_write_b32 v0, v10
.LBB919_36:
	s_or_b64 exec, exec, s[0:1]
	s_waitcnt lgkmcnt(0)
	s_barrier
	ds_read_b32 v0, v34
	s_waitcnt lgkmcnt(0)
	s_nop 0
	v_mov_b32_dpp v10, v0 quad_perm:[1,0,3,2] row_mask:0xf bank_mask:0xf
	v_add_f32_e32 v0, v0, v10
	s_nop 1
	v_mov_b32_dpp v10, v0 quad_perm:[2,3,0,1] row_mask:0xf bank_mask:0xf
	v_add_f32_e32 v0, v0, v10
	s_nop 1
	v_mov_b32_dpp v10, v0 row_half_mirror row_mask:0xf bank_mask:0xf
	s_and_saveexec_b64 s[0:1], vcc
	s_cbranch_execz .LBB919_17
; %bb.37:
	v_cvt_f32_u32_e32 v11, s16
	v_add_f32_e32 v0, v0, v10
	s_mov_b32 s23, 0x20000
	v_div_scale_f32 v10, s[0:1], v11, v11, v0
	v_rcp_f32_e32 v12, v10
	v_div_scale_f32 v13, vcc, v0, v11, v0
	s_mov_b32 s0, 0x800000
	v_fma_f32 v14, -v10, v12, 1.0
	v_fmac_f32_e32 v12, v14, v12
	v_mul_f32_e32 v14, v13, v12
	v_fma_f32 v15, -v10, v14, v13
	v_fmac_f32_e32 v14, v15, v12
	v_fma_f32 v10, -v10, v14, v13
	v_div_fmas_f32 v10, v10, v12, v14
	v_div_fixup_f32 v0, v10, v11, v0
	v_add_f32_e32 v0, s13, v0
	v_mul_f32_e32 v10, 0x4b800000, v0
	v_cmp_gt_f32_e32 vcc, s0, v0
	v_cndmask_b32_e32 v0, v0, v10, vcc
	v_rsq_f32_e32 v0, v0
	s_mul_hi_i32 s1, s10, s6
	s_mul_i32 s0, s10, s6
	s_lshl_b64 s[0:1], s[0:1], 1
	v_mul_f32_e32 v10, 0x45800000, v0
	v_cndmask_b32_e32 v10, v0, v10, vcc
	v_mov_b32_e32 v11, v10
	;;#ASMSTART
	v_pk_mul_f32 v[12:13], v[18:19], v[10:11]
	;;#ASMEND
	;;#ASMSTART
	v_pk_mul_f32 v[14:15], v[32:33], v[10:11]
	;;#ASMEND
	;; [unrolled: 3-line block ×8, first 2 shown]
	s_waitcnt vmcnt(1)
	v_cvt_f32_f16_sdwa v21, v6 dst_sel:DWORD dst_unused:UNUSED_PAD src0_sel:WORD_1
	v_cvt_f32_f16_e32 v20, v6
	v_cvt_f32_f16_sdwa v29, v7 dst_sel:DWORD dst_unused:UNUSED_PAD src0_sel:WORD_1
	v_cvt_f32_f16_e32 v28, v7
	v_cvt_f32_f16_sdwa v7, v8 dst_sel:DWORD dst_unused:UNUSED_PAD src0_sel:WORD_1
	v_cvt_f32_f16_e32 v6, v8
	v_cvt_f32_f16_sdwa v31, v9 dst_sel:DWORD dst_unused:UNUSED_PAD src0_sel:WORD_1
	v_cvt_f32_f16_e32 v30, v9
	;;#ASMSTART
	v_pk_mul_f32 v[8:9], v[12:13], v[20:21]
	;;#ASMEND
	;;#ASMSTART
	v_pk_mul_f32 v[12:13], v[14:15], v[28:29]
	;;#ASMEND
	;; [unrolled: 3-line block ×4, first 2 shown]
	s_waitcnt vmcnt(0)
	v_cvt_f32_f16_sdwa v17, v2 dst_sel:DWORD dst_unused:UNUSED_PAD src0_sel:WORD_1
	v_cvt_f32_f16_e32 v16, v2
	v_cvt_f32_f16_sdwa v19, v3 dst_sel:DWORD dst_unused:UNUSED_PAD src0_sel:WORD_1
	v_cvt_f32_f16_e32 v18, v3
	;; [unrolled: 2-line block ×4, first 2 shown]
	;;#ASMSTART
	v_pk_mul_f32 v[16:17], v[26:27], v[16:17]
	;;#ASMEND
	;;#ASMSTART
	v_pk_mul_f32 v[18:19], v[24:25], v[18:19]
	;;#ASMEND
	;; [unrolled: 3-line block ×3, first 2 shown]
	v_cvt_f16_f32_e32 v0, v8
	v_cvt_f16_f32_e32 v2, v9
	;; [unrolled: 1-line block ×8, first 2 shown]
	s_add_u32 s20, s36, s0
	s_addc_u32 s0, s37, s1
	s_and_b32 s21, s0, 0xffff
	v_pack_b32_f16 v2, v0, v2
	v_pack_b32_f16 v3, v3, v4
	v_pack_b32_f16 v4, v5, v6
	v_pack_b32_f16 v5, v7, v8
	;;#ASMSTART
	v_pk_mul_f32 v[10:11], v[10:11], v[20:21]
	;;#ASMEND
	buffer_store_dwordx4 v[2:5], v1, s[20:23], 0 offen
	v_cvt_f16_f32_e32 v0, v16
	v_cvt_f16_f32_e32 v2, v17
	;; [unrolled: 1-line block ×8, first 2 shown]
	v_pack_b32_f16 v2, v0, v2
	v_pack_b32_f16 v3, v3, v4
	;; [unrolled: 1-line block ×4, first 2 shown]
	;;#ASMSTART
	s_nop 0
	;;#ASMEND
	buffer_store_dwordx4 v[2:5], v1, s[20:23], 16 offen
	;;#ASMSTART
	s_nop 0
	;;#ASMEND
	s_endpgm
	.section	.rodata,"a",@progbits
	.p2align	6, 0x0
	.amdhsa_kernel _ZN5aiter35fused_qk_rmsnorm_group_quant_kernelIDF16_N4opus5fp4_tELi512ELi16ELi8ELb1ELb0ELb0ELb0ELb0ELb0EEEvPT0_PvPT_S7_S7_PKS6_S9_S9_S9_S9_ffiiiiiiiiiiiii
		.amdhsa_group_segment_fixed_size 64
		.amdhsa_private_segment_fixed_size 0
		.amdhsa_kernarg_size 400
		.amdhsa_user_sgpr_count 6
		.amdhsa_user_sgpr_private_segment_buffer 1
		.amdhsa_user_sgpr_dispatch_ptr 0
		.amdhsa_user_sgpr_queue_ptr 0
		.amdhsa_user_sgpr_kernarg_segment_ptr 1
		.amdhsa_user_sgpr_dispatch_id 0
		.amdhsa_user_sgpr_flat_scratch_init 0
		.amdhsa_user_sgpr_kernarg_preload_length 0
		.amdhsa_user_sgpr_kernarg_preload_offset 0
		.amdhsa_user_sgpr_private_segment_size 0
		.amdhsa_uses_dynamic_stack 0
		.amdhsa_system_sgpr_private_segment_wavefront_offset 0
		.amdhsa_system_sgpr_workgroup_id_x 1
		.amdhsa_system_sgpr_workgroup_id_y 1
		.amdhsa_system_sgpr_workgroup_id_z 0
		.amdhsa_system_sgpr_workgroup_info 0
		.amdhsa_system_vgpr_workitem_id 0
		.amdhsa_next_free_vgpr 47
		.amdhsa_next_free_sgpr 40
		.amdhsa_accum_offset 48
		.amdhsa_reserve_vcc 1
		.amdhsa_reserve_flat_scratch 0
		.amdhsa_float_round_mode_32 0
		.amdhsa_float_round_mode_16_64 0
		.amdhsa_float_denorm_mode_32 3
		.amdhsa_float_denorm_mode_16_64 3
		.amdhsa_dx10_clamp 1
		.amdhsa_ieee_mode 1
		.amdhsa_fp16_overflow 0
		.amdhsa_tg_split 0
		.amdhsa_exception_fp_ieee_invalid_op 0
		.amdhsa_exception_fp_denorm_src 0
		.amdhsa_exception_fp_ieee_div_zero 0
		.amdhsa_exception_fp_ieee_overflow 0
		.amdhsa_exception_fp_ieee_underflow 0
		.amdhsa_exception_fp_ieee_inexact 0
		.amdhsa_exception_int_div_zero 0
	.end_amdhsa_kernel
	.section	.text._ZN5aiter35fused_qk_rmsnorm_group_quant_kernelIDF16_N4opus5fp4_tELi512ELi16ELi8ELb1ELb0ELb0ELb0ELb0ELb0EEEvPT0_PvPT_S7_S7_PKS6_S9_S9_S9_S9_ffiiiiiiiiiiiii,"axG",@progbits,_ZN5aiter35fused_qk_rmsnorm_group_quant_kernelIDF16_N4opus5fp4_tELi512ELi16ELi8ELb1ELb0ELb0ELb0ELb0ELb0EEEvPT0_PvPT_S7_S7_PKS6_S9_S9_S9_S9_ffiiiiiiiiiiiii,comdat
.Lfunc_end919:
	.size	_ZN5aiter35fused_qk_rmsnorm_group_quant_kernelIDF16_N4opus5fp4_tELi512ELi16ELi8ELb1ELb0ELb0ELb0ELb0ELb0EEEvPT0_PvPT_S7_S7_PKS6_S9_S9_S9_S9_ffiiiiiiiiiiiii, .Lfunc_end919-_ZN5aiter35fused_qk_rmsnorm_group_quant_kernelIDF16_N4opus5fp4_tELi512ELi16ELi8ELb1ELb0ELb0ELb0ELb0ELb0EEEvPT0_PvPT_S7_S7_PKS6_S9_S9_S9_S9_ffiiiiiiiiiiiii
                                        ; -- End function
	.section	.AMDGPU.csdata,"",@progbits
; Kernel info:
; codeLenInByte = 3788
; NumSgprs: 44
; NumVgprs: 47
; NumAgprs: 0
; TotalNumVgprs: 47
; ScratchSize: 0
; MemoryBound: 0
; FloatMode: 240
; IeeeMode: 1
; LDSByteSize: 64 bytes/workgroup (compile time only)
; SGPRBlocks: 5
; VGPRBlocks: 5
; NumSGPRsForWavesPerEU: 44
; NumVGPRsForWavesPerEU: 47
; AccumOffset: 48
; Occupancy: 8
; WaveLimiterHint : 0
; COMPUTE_PGM_RSRC2:SCRATCH_EN: 0
; COMPUTE_PGM_RSRC2:USER_SGPR: 6
; COMPUTE_PGM_RSRC2:TRAP_HANDLER: 0
; COMPUTE_PGM_RSRC2:TGID_X_EN: 1
; COMPUTE_PGM_RSRC2:TGID_Y_EN: 1
; COMPUTE_PGM_RSRC2:TGID_Z_EN: 0
; COMPUTE_PGM_RSRC2:TIDIG_COMP_CNT: 0
; COMPUTE_PGM_RSRC3_GFX90A:ACCUM_OFFSET: 11
; COMPUTE_PGM_RSRC3_GFX90A:TG_SPLIT: 0
	.section	.text._ZN5aiter35fused_qk_rmsnorm_group_quant_kernelItN4opus5fp4_tELi512ELi16ELi8ELb1ELb0ELb0ELb0ELb0ELb0EEEvPT0_PvPT_S7_S7_PKS6_S9_S9_S9_S9_ffiiiiiiiiiiiii,"axG",@progbits,_ZN5aiter35fused_qk_rmsnorm_group_quant_kernelItN4opus5fp4_tELi512ELi16ELi8ELb1ELb0ELb0ELb0ELb0ELb0EEEvPT0_PvPT_S7_S7_PKS6_S9_S9_S9_S9_ffiiiiiiiiiiiii,comdat
	.protected	_ZN5aiter35fused_qk_rmsnorm_group_quant_kernelItN4opus5fp4_tELi512ELi16ELi8ELb1ELb0ELb0ELb0ELb0ELb0EEEvPT0_PvPT_S7_S7_PKS6_S9_S9_S9_S9_ffiiiiiiiiiiiii ; -- Begin function _ZN5aiter35fused_qk_rmsnorm_group_quant_kernelItN4opus5fp4_tELi512ELi16ELi8ELb1ELb0ELb0ELb0ELb0ELb0EEEvPT0_PvPT_S7_S7_PKS6_S9_S9_S9_S9_ffiiiiiiiiiiiii
	.globl	_ZN5aiter35fused_qk_rmsnorm_group_quant_kernelItN4opus5fp4_tELi512ELi16ELi8ELb1ELb0ELb0ELb0ELb0ELb0EEEvPT0_PvPT_S7_S7_PKS6_S9_S9_S9_S9_ffiiiiiiiiiiiii
	.p2align	8
	.type	_ZN5aiter35fused_qk_rmsnorm_group_quant_kernelItN4opus5fp4_tELi512ELi16ELi8ELb1ELb0ELb0ELb0ELb0ELb0EEEvPT0_PvPT_S7_S7_PKS6_S9_S9_S9_S9_ffiiiiiiiiiiiii,@function
_ZN5aiter35fused_qk_rmsnorm_group_quant_kernelItN4opus5fp4_tELi512ELi16ELi8ELb1ELb0ELb0ELb0ELb0ELb0EEEvPT0_PvPT_S7_S7_PKS6_S9_S9_S9_S9_ffiiiiiiiiiiiii: ; @_ZN5aiter35fused_qk_rmsnorm_group_quant_kernelItN4opus5fp4_tELi512ELi16ELi8ELb1ELb0ELb0ELb0ELb0ELb0EEEvPT0_PvPT_S7_S7_PKS6_S9_S9_S9_S9_ffiiiiiiiiiiiii
; %bb.0:
	s_load_dwordx8 s[12:19], s[4:5], 0x50
	s_waitcnt lgkmcnt(0)
	s_cmp_ge_i32 s6, s14
	s_cbranch_scc1 .LBB920_17
; %bb.1:
	s_cmp_lg_u32 s7, 0
	s_cselect_b64 s[22:23], -1, 0
	s_cmp_eq_u32 s7, 0
	s_cselect_b64 s[2:3], -1, 0
	s_and_b64 s[0:1], s[2:3], exec
	s_load_dwordx2 s[20:21], s[4:5], 0x48
	s_load_dwordx2 s[34:35], s[4:5], 0x30
	s_load_dwordx4 s[24:27], s[4:5], 0x70
	s_cselect_b32 s7, s15, s16
	s_add_i32 s0, s7, 1
	s_lshr_b32 s1, s0, 31
	s_add_i32 s0, s0, s1
	s_lshl_b32 s0, s0, 1
	v_lshlrev_b32_e32 v1, 4, v0
	s_and_b32 s30, s0, -4
	v_cmp_gt_i32_e64 s[0:1], s7, v1
	v_mov_b32_e32 v80, 0
	v_mov_b32_e32 v81, 0
	;; [unrolled: 1-line block ×16, first 2 shown]
	s_and_saveexec_b64 s[8:9], s[0:1]
	s_cbranch_execz .LBB920_3
; %bb.2:
	s_load_dwordx2 s[10:11], s[4:5], 0x28
	s_load_dwordx2 s[28:29], s[4:5], 0x40
	s_and_b64 s[36:37], s[2:3], exec
	s_cselect_b32 s14, s17, s18
	s_mov_b32 s31, 0x20000
	s_waitcnt lgkmcnt(0)
	s_cselect_b32 s17, s11, s35
	s_cselect_b32 s27, s10, s34
	s_mul_hi_i32 s11, s14, s6
	s_mul_i32 s10, s14, s6
	s_lshl_b64 s[10:11], s[10:11], 1
	s_add_u32 s36, s27, s10
	s_addc_u32 s14, s17, s11
	s_and_b64 s[10:11], s[2:3], exec
	s_cselect_b32 s28, s28, s20
	s_cselect_b32 s10, s29, s21
	s_and_b32 s37, s14, 0xffff
	s_mov_b32 s38, s30
	s_mov_b32 s39, s31
	v_lshlrev_b32_e32 v2, 5, v0
	s_and_b32 s29, s10, 0xffff
	buffer_load_dwordx4 v[84:87], v2, s[36:39], 0 offen
	buffer_load_dwordx4 v[88:91], v2, s[36:39], 16 offen
	;; [unrolled: 1-line block ×4, first 2 shown]
.LBB920_3:
	s_or_b64 exec, exec, s[8:9]
	s_load_dwordx2 s[10:11], s[4:5], 0x80
	s_and_b64 vcc, exec, s[22:23]
	s_cbranch_vccz .LBB920_7
; %bb.4:
	v_mov_b32_e32 v93, 0
	v_mov_b32_e32 v92, 0
	;; [unrolled: 1-line block ×16, first 2 shown]
	s_and_saveexec_b64 s[8:9], s[0:1]
	s_cbranch_execz .LBB920_6
; %bb.5:
	s_waitcnt vmcnt(3)
	v_cvt_f32_u32_sdwa v32, v84 dst_sel:DWORD dst_unused:UNUSED_PAD src0_sel:WORD_0
	v_cvt_f32_u32_sdwa v33, v84 dst_sel:DWORD dst_unused:UNUSED_PAD src0_sel:WORD_1
	v_cvt_f32_u32_sdwa v18, v85 dst_sel:DWORD dst_unused:UNUSED_PAD src0_sel:WORD_0
	v_cvt_f32_u32_sdwa v19, v85 dst_sel:DWORD dst_unused:UNUSED_PAD src0_sel:WORD_1
	;; [unrolled: 2-line block ×4, first 2 shown]
	s_waitcnt vmcnt(2)
	v_cvt_f32_u32_sdwa v68, v88 dst_sel:DWORD dst_unused:UNUSED_PAD src0_sel:WORD_0
	v_cvt_f32_u32_sdwa v69, v88 dst_sel:DWORD dst_unused:UNUSED_PAD src0_sel:WORD_1
	v_cvt_f32_u32_sdwa v62, v89 dst_sel:DWORD dst_unused:UNUSED_PAD src0_sel:WORD_0
	v_cvt_f32_u32_sdwa v63, v89 dst_sel:DWORD dst_unused:UNUSED_PAD src0_sel:WORD_1
	;; [unrolled: 2-line block ×4, first 2 shown]
.LBB920_6:
	s_or_b64 exec, exec, s[8:9]
	s_cbranch_execz .LBB920_8
	s_branch .LBB920_11
.LBB920_7:
                                        ; implicit-def: $vgpr32_vgpr33_vgpr34_vgpr35_vgpr36_vgpr37_vgpr38_vgpr39_vgpr40_vgpr41_vgpr42_vgpr43_vgpr44_vgpr45_vgpr46_vgpr47
                                        ; implicit-def: $vgpr46_vgpr47_vgpr48_vgpr49_vgpr50_vgpr51_vgpr52_vgpr53_vgpr54_vgpr55_vgpr56_vgpr57_vgpr58_vgpr59_vgpr60_vgpr61
                                        ; implicit-def: $vgpr16_vgpr17_vgpr18_vgpr19_vgpr20_vgpr21_vgpr22_vgpr23_vgpr24_vgpr25_vgpr26_vgpr27_vgpr28_vgpr29_vgpr30_vgpr31
                                        ; implicit-def: $vgpr93
                                        ; implicit-def: $vgpr2_vgpr3_vgpr4_vgpr5_vgpr6_vgpr7_vgpr8_vgpr9_vgpr10_vgpr11_vgpr12_vgpr13_vgpr14_vgpr15_vgpr16_vgpr17
                                        ; implicit-def: $vgpr60_vgpr61_vgpr62_vgpr63_vgpr64_vgpr65_vgpr66_vgpr67_vgpr68_vgpr69_vgpr70_vgpr71_vgpr72_vgpr73_vgpr74_vgpr75
                                        ; implicit-def: $vgpr34_vgpr35_vgpr36_vgpr37_vgpr38_vgpr39_vgpr40_vgpr41_vgpr42_vgpr43_vgpr44_vgpr45_vgpr46_vgpr47_vgpr48_vgpr49
                                        ; implicit-def: $vgpr52_vgpr53_vgpr54_vgpr55_vgpr56_vgpr57_vgpr58_vgpr59_vgpr60_vgpr61_vgpr62_vgpr63_vgpr64_vgpr65_vgpr66_vgpr67
.LBB920_8:
	v_mov_b32_e32 v93, 0
	v_mov_b32_e32 v92, 0
	;; [unrolled: 1-line block ×16, first 2 shown]
	s_and_saveexec_b64 s[8:9], s[0:1]
	s_cbranch_execz .LBB920_10
; %bb.9:
	s_load_dwordx2 s[28:29], s[4:5], 0x38
	s_mul_hi_i32 s37, s19, s6
	s_mul_i32 s36, s19, s6
	s_lshl_b64 s[36:37], s[36:37], 1
	s_mov_b32 s31, 0x20000
	s_waitcnt lgkmcnt(0)
	s_add_u32 s28, s28, s36
	s_addc_u32 s14, s29, s37
	s_and_b32 s29, s14, 0xffff
	v_lshlrev_b32_e32 v36, 5, v0
	buffer_load_dwordx4 v[4:7], v36, s[28:31], 16 offen
	buffer_load_dwordx4 v[8:11], v36, s[28:31], 0 offen
	s_load_dwordx2 s[28:29], s[4:5], 0x20
	s_waitcnt vmcnt(5)
	v_cvt_f32_u32_sdwa v21, v84 dst_sel:DWORD dst_unused:UNUSED_PAD src0_sel:WORD_1
	v_cvt_f32_u32_sdwa v20, v84 dst_sel:DWORD dst_unused:UNUSED_PAD src0_sel:WORD_0
	v_cvt_f32_u32_sdwa v19, v85 dst_sel:DWORD dst_unused:UNUSED_PAD src0_sel:WORD_1
	v_cvt_f32_u32_sdwa v18, v85 dst_sel:DWORD dst_unused:UNUSED_PAD src0_sel:WORD_0
	;; [unrolled: 2-line block ×4, first 2 shown]
	s_waitcnt vmcnt(4)
	v_cvt_f32_u32_sdwa v3, v88 dst_sel:DWORD dst_unused:UNUSED_PAD src0_sel:WORD_1
	v_cvt_f32_u32_sdwa v2, v88 dst_sel:DWORD dst_unused:UNUSED_PAD src0_sel:WORD_0
	v_cvt_f32_u32_sdwa v13, v89 dst_sel:DWORD dst_unused:UNUSED_PAD src0_sel:WORD_1
	v_cvt_f32_u32_sdwa v12, v89 dst_sel:DWORD dst_unused:UNUSED_PAD src0_sel:WORD_0
	;; [unrolled: 2-line block ×3, first 2 shown]
	v_cvt_f32_u32_sdwa v16, v91 dst_sel:DWORD dst_unused:UNUSED_PAD src0_sel:WORD_0
	v_cvt_f32_u32_sdwa v17, v91 dst_sel:DWORD dst_unused:UNUSED_PAD src0_sel:WORD_1
	s_mul_hi_i32 s37, s11, s6
	s_mul_i32 s36, s11, s6
	s_lshl_b64 s[36:37], s[36:37], 1
	s_waitcnt lgkmcnt(0)
	s_add_u32 s28, s28, s36
	s_mov_b32 s11, 0x7060302
	s_addc_u32 s14, s29, s37
	s_and_b32 s29, s14, 0xffff
	s_waitcnt vmcnt(1)
	v_cvt_f32_u32_sdwa v27, v4 dst_sel:DWORD dst_unused:UNUSED_PAD src0_sel:WORD_1
	v_cvt_f32_u32_sdwa v26, v4 dst_sel:DWORD dst_unused:UNUSED_PAD src0_sel:WORD_0
	v_cvt_f32_u32_sdwa v29, v5 dst_sel:DWORD dst_unused:UNUSED_PAD src0_sel:WORD_1
	v_cvt_f32_u32_sdwa v28, v5 dst_sel:DWORD dst_unused:UNUSED_PAD src0_sel:WORD_0
	;; [unrolled: 2-line block ×3, first 2 shown]
	v_cvt_f32_u32_sdwa v34, v7 dst_sel:DWORD dst_unused:UNUSED_PAD src0_sel:WORD_0
	v_cvt_f32_u32_sdwa v35, v7 dst_sel:DWORD dst_unused:UNUSED_PAD src0_sel:WORD_1
	s_waitcnt vmcnt(0)
	v_cvt_f32_u32_sdwa v33, v8 dst_sel:DWORD dst_unused:UNUSED_PAD src0_sel:WORD_1
	v_cvt_f32_u32_sdwa v32, v8 dst_sel:DWORD dst_unused:UNUSED_PAD src0_sel:WORD_0
	v_cvt_f32_u32_sdwa v5, v10 dst_sel:DWORD dst_unused:UNUSED_PAD src0_sel:WORD_1
	v_cvt_f32_u32_sdwa v4, v10 dst_sel:DWORD dst_unused:UNUSED_PAD src0_sel:WORD_0
	;; [unrolled: 2-line block ×4, first 2 shown]
	v_pk_add_f32 v[50:51], v[22:23], v[4:5]
	v_pk_add_f32 v[40:41], v[24:25], v[6:7]
	;; [unrolled: 1-line block ×4, first 2 shown]
	v_perm_b32 v7, v41, v40, s11
	v_perm_b32 v6, v51, v50, s11
	;; [unrolled: 1-line block ×4, first 2 shown]
	v_pk_add_f32 v[92:93], v[16:17], v[34:35]
	v_pk_add_f32 v[14:15], v[14:15], v[30:31]
	v_pk_add_f32 v[62:63], v[12:13], v[28:29]
	v_pk_add_f32 v[68:69], v[2:3], v[26:27]
	buffer_store_dwordx4 v[4:7], v36, s[28:31], 0 offen
	;;#ASMSTART
	s_nop 0
	;;#ASMEND
	s_nop 0
	v_perm_b32 v7, v93, v92, s11
	v_perm_b32 v6, v15, v14, s11
	;; [unrolled: 1-line block ×4, first 2 shown]
	buffer_store_dwordx4 v[4:7], v36, s[28:31], 16 offen
	;;#ASMSTART
	s_nop 0
	;;#ASMEND
.LBB920_10:
	s_or_b64 exec, exec, s[8:9]
.LBB920_11:
	v_mul_f32_e32 v2, v33, v33
	v_fmac_f32_e32 v2, v32, v32
	v_fmac_f32_e32 v2, v18, v18
	;; [unrolled: 1-line block ×15, first 2 shown]
	s_nop 1
	v_mov_b32_dpp v3, v2 quad_perm:[1,0,3,2] row_mask:0xf bank_mask:0xf
	v_add_f32_e32 v2, v2, v3
	s_nop 1
	v_mov_b32_dpp v3, v2 quad_perm:[2,3,0,1] row_mask:0xf bank_mask:0xf
	v_add_f32_e32 v2, v2, v3
	s_nop 1
	v_mov_b32_dpp v3, v2 row_half_mirror row_mask:0xf bank_mask:0xf
	v_add_f32_e32 v2, v2, v3
	s_nop 1
	v_mov_b32_dpp v3, v2 row_mirror row_mask:0xf bank_mask:0xf
	v_add_f32_e32 v2, v2, v3
	s_nop 1
	v_mov_b32_dpp v3, v2 row_bcast:15 row_mask:0xf bank_mask:0xf
	v_add_f32_e32 v2, v2, v3
	v_and_b32_e32 v3, 63, v0
	v_cmp_eq_u32_e64 s[8:9], 63, v3
	s_nop 0
	v_mov_b32_dpp v3, v2 row_bcast:31 row_mask:0xf bank_mask:0xf
	s_and_saveexec_b64 s[28:29], s[8:9]
	s_cbranch_execz .LBB920_13
; %bb.12:
	v_add_f32_e32 v2, v2, v3
	v_lshrrev_b32_e32 v3, 4, v0
	v_and_b32_e32 v3, 60, v3
	ds_write_b32 v3, v2 offset:32
.LBB920_13:
	s_or_b64 exec, exec, s[28:29]
	v_and_b32_e32 v2, 7, v0
	v_lshlrev_b32_e32 v34, 2, v2
	s_waitcnt lgkmcnt(0)
	s_barrier
	ds_read_b32 v3, v34 offset:32
	s_load_dwordx2 s[36:37], s[4:5], 0x18
	s_waitcnt lgkmcnt(0)
	v_mov_b32_dpp v4, v3 quad_perm:[1,0,3,2] row_mask:0xf bank_mask:0xf
	v_add_f32_e32 v3, v3, v4
	s_nop 1
	v_mov_b32_dpp v4, v3 quad_perm:[2,3,0,1] row_mask:0xf bank_mask:0xf
	v_add_f32_e32 v3, v3, v4
	s_nop 1
	v_mov_b32_dpp v4, v3 row_half_mirror row_mask:0xf bank_mask:0xf
	s_and_saveexec_b64 s[28:29], s[0:1]
	s_cbranch_execnz .LBB920_18
; %bb.14:
	s_or_b64 exec, exec, s[28:29]
	s_mov_b64 s[2:3], -1
	s_and_b64 vcc, exec, s[22:23]
	s_cbranch_vccnz .LBB920_19
.LBB920_15:
	s_andn2_b64 vcc, exec, s[2:3]
	s_cbranch_vccz .LBB920_22
.LBB920_16:
	s_cmp_lt_i32 s16, 1
	s_cbranch_scc0 .LBB920_29
.LBB920_17:
	s_endpgm
.LBB920_18:
	v_add_f32_e32 v3, v3, v4
	v_cvt_f32_u32_e32 v4, s7
	s_waitcnt vmcnt(1)
	v_cvt_f32_u32_sdwa v23, v81 dst_sel:DWORD dst_unused:UNUSED_PAD src0_sel:WORD_1
	v_cvt_f32_u32_sdwa v22, v81 dst_sel:DWORD dst_unused:UNUSED_PAD src0_sel:WORD_0
	s_waitcnt vmcnt(0)
	v_cvt_f32_u32_sdwa v25, v77 dst_sel:DWORD dst_unused:UNUSED_PAD src0_sel:WORD_1
	v_div_scale_f32 v5, s[38:39], v4, v4, v3
	v_rcp_f32_e32 v6, v5
	v_cvt_f32_u32_sdwa v24, v77 dst_sel:DWORD dst_unused:UNUSED_PAD src0_sel:WORD_0
	v_cvt_f32_u32_sdwa v27, v78 dst_sel:DWORD dst_unused:UNUSED_PAD src0_sel:WORD_1
	v_cvt_f32_u32_sdwa v26, v78 dst_sel:DWORD dst_unused:UNUSED_PAD src0_sel:WORD_0
	v_fma_f32 v7, -v5, v6, 1.0
	v_fmac_f32_e32 v6, v7, v6
	v_div_scale_f32 v7, vcc, v3, v4, v3
	v_mul_f32_e32 v8, v7, v6
	v_fma_f32 v9, -v5, v8, v7
	v_fmac_f32_e32 v8, v9, v6
	v_fma_f32 v5, -v5, v8, v7
	v_div_fmas_f32 v5, v5, v6, v8
	v_div_fixup_f32 v3, v5, v4, v3
	v_mov_b32_e32 v4, s13
	v_mov_b32_e32 v5, s12
	v_cndmask_b32_e64 v4, v4, v5, s[2:3]
	v_add_f32_e32 v3, v4, v3
	s_mov_b32 s2, 0x800000
	v_mul_f32_e32 v4, 0x4b800000, v3
	v_cmp_gt_f32_e32 vcc, s2, v3
	v_cndmask_b32_e32 v3, v3, v4, vcc
	v_rsq_f32_e32 v3, v3
	v_cvt_f32_u32_sdwa v29, v79 dst_sel:DWORD dst_unused:UNUSED_PAD src0_sel:WORD_1
	v_cvt_f32_u32_sdwa v28, v79 dst_sel:DWORD dst_unused:UNUSED_PAD src0_sel:WORD_0
	v_mul_f32_e32 v4, 0x45800000, v3
	v_cndmask_b32_e32 v4, v3, v4, vcc
	v_mov_b32_e32 v5, v4
	;;#ASMSTART
	v_pk_mul_f32 v[6:7], v[32:33], v[4:5]
	;;#ASMEND
	;;#ASMSTART
	v_pk_mul_f32 v[8:9], v[18:19], v[4:5]
	;;#ASMEND
	;; [unrolled: 3-line block ×6, first 2 shown]
	v_cvt_f32_u32_sdwa v19, v80 dst_sel:DWORD dst_unused:UNUSED_PAD src0_sel:WORD_1
	v_cvt_f32_u32_sdwa v18, v80 dst_sel:DWORD dst_unused:UNUSED_PAD src0_sel:WORD_0
	;;#ASMSTART
	v_pk_mul_f32 v[14:15], v[14:15], v[4:5]
	;;#ASMEND
	;;#ASMSTART
	v_pk_mul_f32 v[4:5], v[92:93], v[4:5]
	;;#ASMEND
	;; [unrolled: 3-line block ×4, first 2 shown]
	v_cvt_f32_u32_sdwa v7, v82 dst_sel:DWORD dst_unused:UNUSED_PAD src0_sel:WORD_1
	v_cvt_f32_u32_sdwa v6, v82 dst_sel:DWORD dst_unused:UNUSED_PAD src0_sel:WORD_0
	v_cvt_f32_u32_sdwa v9, v83 dst_sel:DWORD dst_unused:UNUSED_PAD src0_sel:WORD_1
	v_cvt_f32_u32_sdwa v8, v83 dst_sel:DWORD dst_unused:UNUSED_PAD src0_sel:WORD_0
	;; [unrolled: 2-line block ×3, first 2 shown]
	;;#ASMSTART
	v_pk_mul_f32 v[50:51], v[10:11], v[6:7]
	;;#ASMEND
	;;#ASMSTART
	v_pk_mul_f32 v[40:41], v[12:13], v[8:9]
	;;#ASMEND
	;; [unrolled: 3-line block ×6, first 2 shown]
	s_or_b64 exec, exec, s[28:29]
	s_mov_b64 s[2:3], -1
	s_and_b64 vcc, exec, s[22:23]
	s_cbranch_vccz .LBB920_15
.LBB920_19:
	s_and_saveexec_b64 s[2:3], s[0:1]
	s_cbranch_execz .LBB920_21
; %bb.20:
	s_mul_hi_i32 s23, s10, s6
	s_mul_i32 s22, s10, s6
	s_lshl_b64 s[22:23], s[22:23], 1
	s_add_u32 s28, s36, s22
	s_addc_u32 s7, s37, s23
	s_and_b32 s29, s7, 0xffff
	s_mov_b32 s7, 0x7060302
	s_mov_b32 s31, 0x20000
	v_perm_b32 v7, v41, v40, s7
	v_perm_b32 v6, v51, v50, s7
	;; [unrolled: 1-line block ×4, first 2 shown]
	v_lshlrev_b32_e32 v3, 5, v0
	buffer_store_dwordx4 v[4:7], v3, s[28:31], 0 offen
	;;#ASMSTART
	s_nop 0
	;;#ASMEND
	s_nop 0
	v_perm_b32 v7, v93, v92, s7
	v_perm_b32 v6, v15, v14, s7
	;; [unrolled: 1-line block ×4, first 2 shown]
	buffer_store_dwordx4 v[4:7], v3, s[28:31], 16 offen
	;;#ASMSTART
	s_nop 0
	;;#ASMEND
.LBB920_21:
	s_or_b64 exec, exec, s[2:3]
	s_cbranch_execnz .LBB920_16
.LBB920_22:
	v_mov_b32_e32 v3, 0
	s_and_saveexec_b64 s[2:3], s[0:1]
	s_cbranch_execz .LBB920_24
; %bb.23:
	v_and_b32_e32 v3, 0x7fffffff, v32
	v_and_b32_e32 v4, 0x7fffffff, v33
	v_mov_b32_e32 v11, 0x2edbe6ff
	;;#ASMSTART
	v_max3_f32 v3, v11, v3, v4

	;;#ASMEND
	v_and_b32_e32 v5, 0x7fffffff, v18
	v_and_b32_e32 v6, 0x7fffffff, v19
	;;#ASMSTART
	v_max3_f32 v3, v3, v5, v6

	;;#ASMEND
	v_and_b32_e32 v7, 0x7fffffff, v50
	v_and_b32_e32 v8, 0x7fffffff, v51
	;; [unrolled: 6-line block ×7, first 2 shown]
	;;#ASMSTART
	v_max3_f32 v3, v3, v4, v5

	;;#ASMEND
.LBB920_24:
	s_or_b64 exec, exec, s[2:3]
	v_cmp_eq_u32_e32 vcc, 0, v2
	v_cmp_gt_i32_e64 s[2:3], s15, v1
	s_and_b64 s[22:23], vcc, s[2:3]
	;;#ASMSTART
	v_max_f32 v4, v3, v3 quad_perm:[1,0,3,2] row_mask:0xf bank_mask:0xf bound_ctrl:1
	;;#ASMEND
	;;#ASMSTART
	v_max_f32 v5, v4, v4 quad_perm:[2,3,0,1] row_mask:0xf bank_mask:0xf bound_ctrl:1
	;;#ASMEND
	;;#ASMSTART
	v_max_f32 v3, v5, v5 row_half_mirror row_mask:0xf bank_mask:0xf bound_ctrl:1
	;;#ASMEND
	s_and_saveexec_b64 s[2:3], s[22:23]
	s_cbranch_execz .LBB920_26
; %bb.25:
	s_load_dwordx2 s[22:23], s[4:5], 0x8
	v_mul_f32_e32 v2, 0x3e2aaaab, v3
	v_lshrrev_b32_e32 v3, 23, v2
	v_and_b32_e32 v4, 0x7f800000, v2
	v_and_b32_e32 v2, 0x7fffff, v2
	v_cmp_ne_u32_e32 vcc, 0, v2
	s_mul_i32 s12, s25, s6
	s_mov_b32 s7, 0x7f800000
	v_addc_co_u32_e32 v2, vcc, 0, v3, vcc
	s_mul_hi_i32 s11, s25, s6
	s_waitcnt lgkmcnt(0)
	s_add_u32 s22, s22, s12
	v_cmp_ne_u32_e32 vcc, s7, v4
	s_addc_u32 s23, s23, s11
	v_lshrrev_b32_e32 v5, 3, v0
	v_cndmask_b32_e32 v4, -1, v2, vcc
	v_pk_mov_b32 v[2:3], s[22:23], s[22:23] op_sel:[0,1]
	v_mad_i64_i32 v[2:3], s[22:23], s26, v5, v[2:3]
	global_store_byte v[2:3], v4, off
.LBB920_26:
	s_or_b64 exec, exec, s[2:3]
	s_and_saveexec_b64 s[2:3], s[0:1]
	s_cbranch_execz .LBB920_28
; %bb.27:
	s_load_dwordx2 s[0:1], s[4:5], 0x0
	s_mul_i32 s11, s24, s6
	s_mul_hi_i32 s7, s24, s6
	v_mov_b32_e32 v2, 0
	v_lshlrev_b32_e32 v4, 3, v0
	s_waitcnt lgkmcnt(0)
	s_add_u32 s24, s0, s11
	s_addc_u32 s0, s1, s7
	s_lshr_b32 s1, s15, 31
	s_add_i32 s1, s15, s1
	s_ashr_i32 s1, s1, 1
	s_add_i32 s1, s1, 3
	s_ashr_i32 s7, s1, 31
	s_lshr_b32 s7, s7, 30
	s_add_i32 s1, s1, s7
	s_and_b32 s26, s1, -4
	s_and_b32 s25, s0, 0xffff
	s_mov_b32 s27, 0x20000
	v_mov_b32_e32 v3, v2
	buffer_store_dwordx2 v[2:3], v4, s[24:27], 0 offen
	;;#ASMSTART
	s_nop 0
	;;#ASMEND
.LBB920_28:
	s_or_b64 exec, exec, s[2:3]
	s_cmp_lt_i32 s16, 1
	s_cbranch_scc1 .LBB920_17
.LBB920_29:
	s_load_dword s0, s[4:5], 0x94
	s_waitcnt lgkmcnt(0)
	s_cmp_lg_u32 s0, 1
	s_cbranch_scc1 .LBB920_17
; %bb.30:
	s_lshl_b32 s0, s16, 1
	s_add_i32 s0, s0, 2
	v_cmp_gt_u32_e32 vcc, s16, v1
	s_and_b32 s22, s0, -4
	v_mov_b32_e32 v18, 0
	v_lshlrev_b32_e32 v1, 5, v0
	v_mov_b32_e32 v14, 0
	v_mov_b32_e32 v15, 0
	;; [unrolled: 1-line block ×16, first 2 shown]
	s_barrier
	s_and_saveexec_b64 s[0:1], vcc
	s_cbranch_execz .LBB920_32
; %bb.31:
	s_mul_hi_i32 s3, s18, s6
	s_mul_i32 s2, s18, s6
	s_and_b32 s21, s21, 0xffff
	s_lshl_b64 s[2:3], s[2:3], 1
	s_add_u32 s24, s34, s2
	s_mov_b32 s23, 0x20000
	s_addc_u32 s2, s35, s3
	s_and_b32 s25, s2, 0xffff
	s_mov_b32 s26, s22
	s_mov_b32 s27, s23
	buffer_load_dwordx4 v[14:17], v1, s[24:27], 0 offen
	buffer_load_dwordx4 v[10:13], v1, s[24:27], 16 offen
	buffer_load_dwordx4 v[6:9], v1, s[20:23], 0 offen
	buffer_load_dwordx4 v[2:5], v1, s[20:23], 16 offen
.LBB920_32:
	s_or_b64 exec, exec, s[0:1]
	v_mov_b32_e32 v19, 0
	v_mov_b32_e32 v32, 0
	;; [unrolled: 1-line block ×15, first 2 shown]
	s_and_saveexec_b64 s[0:1], vcc
	s_cbranch_execz .LBB920_34
; %bb.33:
	s_waitcnt vmcnt(3)
	v_cvt_f32_u32_sdwa v18, v14 dst_sel:DWORD dst_unused:UNUSED_PAD src0_sel:WORD_0
	v_cvt_f32_u32_sdwa v19, v14 dst_sel:DWORD dst_unused:UNUSED_PAD src0_sel:WORD_1
	v_cvt_f32_u32_sdwa v32, v15 dst_sel:DWORD dst_unused:UNUSED_PAD src0_sel:WORD_0
	v_cvt_f32_u32_sdwa v33, v15 dst_sel:DWORD dst_unused:UNUSED_PAD src0_sel:WORD_1
	;; [unrolled: 2-line block ×4, first 2 shown]
	s_waitcnt vmcnt(2)
	v_cvt_f32_u32_sdwa v26, v10 dst_sel:DWORD dst_unused:UNUSED_PAD src0_sel:WORD_0
	v_cvt_f32_u32_sdwa v27, v10 dst_sel:DWORD dst_unused:UNUSED_PAD src0_sel:WORD_1
	v_cvt_f32_u32_sdwa v24, v11 dst_sel:DWORD dst_unused:UNUSED_PAD src0_sel:WORD_0
	v_cvt_f32_u32_sdwa v25, v11 dst_sel:DWORD dst_unused:UNUSED_PAD src0_sel:WORD_1
	v_cvt_f32_u32_sdwa v22, v12 dst_sel:DWORD dst_unused:UNUSED_PAD src0_sel:WORD_0
	v_cvt_f32_u32_sdwa v23, v12 dst_sel:DWORD dst_unused:UNUSED_PAD src0_sel:WORD_1
	v_cvt_f32_u32_sdwa v20, v13 dst_sel:DWORD dst_unused:UNUSED_PAD src0_sel:WORD_0
	v_cvt_f32_u32_sdwa v21, v13 dst_sel:DWORD dst_unused:UNUSED_PAD src0_sel:WORD_1
.LBB920_34:
	s_or_b64 exec, exec, s[0:1]
	s_waitcnt vmcnt(2)
	v_mul_f32_e32 v10, v19, v19
	v_fmac_f32_e32 v10, v18, v18
	v_fmac_f32_e32 v10, v32, v32
	;; [unrolled: 1-line block ×15, first 2 shown]
	s_nop 1
	v_mov_b32_dpp v11, v10 quad_perm:[1,0,3,2] row_mask:0xf bank_mask:0xf
	v_add_f32_e32 v10, v10, v11
	s_nop 1
	v_mov_b32_dpp v11, v10 quad_perm:[2,3,0,1] row_mask:0xf bank_mask:0xf
	v_add_f32_e32 v10, v10, v11
	s_nop 1
	v_mov_b32_dpp v11, v10 row_half_mirror row_mask:0xf bank_mask:0xf
	v_add_f32_e32 v10, v10, v11
	s_nop 1
	v_mov_b32_dpp v11, v10 row_mirror row_mask:0xf bank_mask:0xf
	v_add_f32_e32 v10, v10, v11
	s_nop 1
	v_mov_b32_dpp v11, v10 row_bcast:15 row_mask:0xf bank_mask:0xf
	v_add_f32_e32 v10, v10, v11
	s_nop 1
	v_mov_b32_dpp v11, v10 row_bcast:31 row_mask:0xf bank_mask:0xf
	s_and_saveexec_b64 s[0:1], s[8:9]
	s_cbranch_execz .LBB920_36
; %bb.35:
	v_lshrrev_b32_e32 v0, 4, v0
	v_add_f32_e32 v10, v10, v11
	v_and_b32_e32 v0, 60, v0
	ds_write_b32 v0, v10
.LBB920_36:
	s_or_b64 exec, exec, s[0:1]
	s_waitcnt lgkmcnt(0)
	s_barrier
	ds_read_b32 v0, v34
	s_waitcnt lgkmcnt(0)
	s_nop 0
	v_mov_b32_dpp v10, v0 quad_perm:[1,0,3,2] row_mask:0xf bank_mask:0xf
	v_add_f32_e32 v0, v0, v10
	s_nop 1
	v_mov_b32_dpp v10, v0 quad_perm:[2,3,0,1] row_mask:0xf bank_mask:0xf
	v_add_f32_e32 v0, v0, v10
	s_nop 1
	v_mov_b32_dpp v10, v0 row_half_mirror row_mask:0xf bank_mask:0xf
	s_and_saveexec_b64 s[0:1], vcc
	s_cbranch_execz .LBB920_17
; %bb.37:
	v_cvt_f32_u32_e32 v11, s16
	v_add_f32_e32 v0, v0, v10
	s_mov_b32 s23, 0x20000
	v_div_scale_f32 v10, s[0:1], v11, v11, v0
	v_rcp_f32_e32 v12, v10
	v_div_scale_f32 v13, vcc, v0, v11, v0
	s_mov_b32 s0, 0x800000
	v_fma_f32 v14, -v10, v12, 1.0
	v_fmac_f32_e32 v12, v14, v12
	v_mul_f32_e32 v14, v13, v12
	v_fma_f32 v15, -v10, v14, v13
	v_fmac_f32_e32 v14, v15, v12
	v_fma_f32 v10, -v10, v14, v13
	v_div_fmas_f32 v10, v10, v12, v14
	v_div_fixup_f32 v0, v10, v11, v0
	v_add_f32_e32 v0, s13, v0
	v_mul_f32_e32 v10, 0x4b800000, v0
	v_cmp_gt_f32_e32 vcc, s0, v0
	v_cndmask_b32_e32 v0, v0, v10, vcc
	v_rsq_f32_e32 v0, v0
	s_mul_hi_i32 s1, s10, s6
	s_mul_i32 s0, s10, s6
	s_lshl_b64 s[0:1], s[0:1], 1
	v_mul_f32_e32 v10, 0x45800000, v0
	v_cndmask_b32_e32 v10, v0, v10, vcc
	v_mov_b32_e32 v11, v10
	s_add_u32 s20, s36, s0
	;;#ASMSTART
	v_pk_mul_f32 v[12:13], v[18:19], v[10:11]
	;;#ASMEND
	;;#ASMSTART
	v_pk_mul_f32 v[14:15], v[32:33], v[10:11]
	;;#ASMEND
	;; [unrolled: 3-line block ×8, first 2 shown]
	s_waitcnt vmcnt(1)
	v_cvt_f32_u32_sdwa v21, v6 dst_sel:DWORD dst_unused:UNUSED_PAD src0_sel:WORD_1
	v_cvt_f32_u32_sdwa v20, v6 dst_sel:DWORD dst_unused:UNUSED_PAD src0_sel:WORD_0
	v_cvt_f32_u32_sdwa v29, v7 dst_sel:DWORD dst_unused:UNUSED_PAD src0_sel:WORD_1
	v_cvt_f32_u32_sdwa v28, v7 dst_sel:DWORD dst_unused:UNUSED_PAD src0_sel:WORD_0
	;; [unrolled: 2-line block ×3, first 2 shown]
	s_addc_u32 s0, s37, s1
	v_cvt_f32_u32_sdwa v31, v9 dst_sel:DWORD dst_unused:UNUSED_PAD src0_sel:WORD_1
	v_cvt_f32_u32_sdwa v30, v9 dst_sel:DWORD dst_unused:UNUSED_PAD src0_sel:WORD_0
	;;#ASMSTART
	v_pk_mul_f32 v[8:9], v[12:13], v[20:21]
	;;#ASMEND
	;;#ASMSTART
	v_pk_mul_f32 v[12:13], v[14:15], v[28:29]
	;;#ASMEND
	;; [unrolled: 3-line block ×4, first 2 shown]
	s_waitcnt vmcnt(0)
	v_cvt_f32_u32_sdwa v17, v2 dst_sel:DWORD dst_unused:UNUSED_PAD src0_sel:WORD_1
	v_cvt_f32_u32_sdwa v16, v2 dst_sel:DWORD dst_unused:UNUSED_PAD src0_sel:WORD_0
	v_cvt_f32_u32_sdwa v19, v3 dst_sel:DWORD dst_unused:UNUSED_PAD src0_sel:WORD_1
	v_cvt_f32_u32_sdwa v18, v3 dst_sel:DWORD dst_unused:UNUSED_PAD src0_sel:WORD_0
	;; [unrolled: 2-line block ×3, first 2 shown]
	s_and_b32 s21, s0, 0xffff
	s_mov_b32 s0, 0x7060302
	v_cvt_f32_u32_sdwa v21, v5 dst_sel:DWORD dst_unused:UNUSED_PAD src0_sel:WORD_1
	v_cvt_f32_u32_sdwa v20, v5 dst_sel:DWORD dst_unused:UNUSED_PAD src0_sel:WORD_0
	;;#ASMSTART
	v_pk_mul_f32 v[16:17], v[26:27], v[16:17]
	;;#ASMEND
	;;#ASMSTART
	v_pk_mul_f32 v[18:19], v[24:25], v[18:19]
	;;#ASMEND
	;; [unrolled: 3-line block ×3, first 2 shown]
	v_perm_b32 v2, v9, v8, s0
	v_perm_b32 v3, v13, v12, s0
	;; [unrolled: 1-line block ×4, first 2 shown]
	;;#ASMSTART
	v_pk_mul_f32 v[10:11], v[10:11], v[20:21]
	;;#ASMEND
	buffer_store_dwordx4 v[2:5], v1, s[20:23], 0 offen
	;;#ASMSTART
	s_nop 0
	;;#ASMEND
	s_nop 0
	v_perm_b32 v2, v17, v16, s0
	v_perm_b32 v3, v19, v18, s0
	;; [unrolled: 1-line block ×4, first 2 shown]
	buffer_store_dwordx4 v[2:5], v1, s[20:23], 16 offen
	;;#ASMSTART
	s_nop 0
	;;#ASMEND
	s_endpgm
	.section	.rodata,"a",@progbits
	.p2align	6, 0x0
	.amdhsa_kernel _ZN5aiter35fused_qk_rmsnorm_group_quant_kernelItN4opus5fp4_tELi512ELi16ELi8ELb1ELb0ELb0ELb0ELb0ELb0EEEvPT0_PvPT_S7_S7_PKS6_S9_S9_S9_S9_ffiiiiiiiiiiiii
		.amdhsa_group_segment_fixed_size 64
		.amdhsa_private_segment_fixed_size 0
		.amdhsa_kernarg_size 400
		.amdhsa_user_sgpr_count 6
		.amdhsa_user_sgpr_private_segment_buffer 1
		.amdhsa_user_sgpr_dispatch_ptr 0
		.amdhsa_user_sgpr_queue_ptr 0
		.amdhsa_user_sgpr_kernarg_segment_ptr 1
		.amdhsa_user_sgpr_dispatch_id 0
		.amdhsa_user_sgpr_flat_scratch_init 0
		.amdhsa_user_sgpr_kernarg_preload_length 0
		.amdhsa_user_sgpr_kernarg_preload_offset 0
		.amdhsa_user_sgpr_private_segment_size 0
		.amdhsa_uses_dynamic_stack 0
		.amdhsa_system_sgpr_private_segment_wavefront_offset 0
		.amdhsa_system_sgpr_workgroup_id_x 1
		.amdhsa_system_sgpr_workgroup_id_y 1
		.amdhsa_system_sgpr_workgroup_id_z 0
		.amdhsa_system_sgpr_workgroup_info 0
		.amdhsa_system_vgpr_workitem_id 0
		.amdhsa_next_free_vgpr 94
		.amdhsa_next_free_sgpr 40
		.amdhsa_accum_offset 96
		.amdhsa_reserve_vcc 1
		.amdhsa_reserve_flat_scratch 0
		.amdhsa_float_round_mode_32 0
		.amdhsa_float_round_mode_16_64 0
		.amdhsa_float_denorm_mode_32 3
		.amdhsa_float_denorm_mode_16_64 3
		.amdhsa_dx10_clamp 1
		.amdhsa_ieee_mode 1
		.amdhsa_fp16_overflow 0
		.amdhsa_tg_split 0
		.amdhsa_exception_fp_ieee_invalid_op 0
		.amdhsa_exception_fp_denorm_src 0
		.amdhsa_exception_fp_ieee_div_zero 0
		.amdhsa_exception_fp_ieee_overflow 0
		.amdhsa_exception_fp_ieee_underflow 0
		.amdhsa_exception_fp_ieee_inexact 0
		.amdhsa_exception_int_div_zero 0
	.end_amdhsa_kernel
	.section	.text._ZN5aiter35fused_qk_rmsnorm_group_quant_kernelItN4opus5fp4_tELi512ELi16ELi8ELb1ELb0ELb0ELb0ELb0ELb0EEEvPT0_PvPT_S7_S7_PKS6_S9_S9_S9_S9_ffiiiiiiiiiiiii,"axG",@progbits,_ZN5aiter35fused_qk_rmsnorm_group_quant_kernelItN4opus5fp4_tELi512ELi16ELi8ELb1ELb0ELb0ELb0ELb0ELb0EEEvPT0_PvPT_S7_S7_PKS6_S9_S9_S9_S9_ffiiiiiiiiiiiii,comdat
.Lfunc_end920:
	.size	_ZN5aiter35fused_qk_rmsnorm_group_quant_kernelItN4opus5fp4_tELi512ELi16ELi8ELb1ELb0ELb0ELb0ELb0ELb0EEEvPT0_PvPT_S7_S7_PKS6_S9_S9_S9_S9_ffiiiiiiiiiiiii, .Lfunc_end920-_ZN5aiter35fused_qk_rmsnorm_group_quant_kernelItN4opus5fp4_tELi512ELi16ELi8ELb1ELb0ELb0ELb0ELb0ELb0EEEvPT0_PvPT_S7_S7_PKS6_S9_S9_S9_S9_ffiiiiiiiiiiiii
                                        ; -- End function
	.section	.AMDGPU.csdata,"",@progbits
; Kernel info:
; codeLenInByte = 3804
; NumSgprs: 44
; NumVgprs: 94
; NumAgprs: 0
; TotalNumVgprs: 94
; ScratchSize: 0
; MemoryBound: 0
; FloatMode: 240
; IeeeMode: 1
; LDSByteSize: 64 bytes/workgroup (compile time only)
; SGPRBlocks: 5
; VGPRBlocks: 11
; NumSGPRsForWavesPerEU: 44
; NumVGPRsForWavesPerEU: 94
; AccumOffset: 96
; Occupancy: 5
; WaveLimiterHint : 0
; COMPUTE_PGM_RSRC2:SCRATCH_EN: 0
; COMPUTE_PGM_RSRC2:USER_SGPR: 6
; COMPUTE_PGM_RSRC2:TRAP_HANDLER: 0
; COMPUTE_PGM_RSRC2:TGID_X_EN: 1
; COMPUTE_PGM_RSRC2:TGID_Y_EN: 1
; COMPUTE_PGM_RSRC2:TGID_Z_EN: 0
; COMPUTE_PGM_RSRC2:TIDIG_COMP_CNT: 0
; COMPUTE_PGM_RSRC3_GFX90A:ACCUM_OFFSET: 23
; COMPUTE_PGM_RSRC3_GFX90A:TG_SPLIT: 0
	.section	.text._ZN5aiter35fused_qk_rmsnorm_group_quant_kernelIDF16_DB8_Li512ELi16ELi8ELb0ELb1ELb1ELb0ELb0ELb0EEEvPT0_PvPT_S6_S6_PKS5_S8_S8_S8_S8_ffiiiiiiiiiiiii,"axG",@progbits,_ZN5aiter35fused_qk_rmsnorm_group_quant_kernelIDF16_DB8_Li512ELi16ELi8ELb0ELb1ELb1ELb0ELb0ELb0EEEvPT0_PvPT_S6_S6_PKS5_S8_S8_S8_S8_ffiiiiiiiiiiiii,comdat
	.protected	_ZN5aiter35fused_qk_rmsnorm_group_quant_kernelIDF16_DB8_Li512ELi16ELi8ELb0ELb1ELb1ELb0ELb0ELb0EEEvPT0_PvPT_S6_S6_PKS5_S8_S8_S8_S8_ffiiiiiiiiiiiii ; -- Begin function _ZN5aiter35fused_qk_rmsnorm_group_quant_kernelIDF16_DB8_Li512ELi16ELi8ELb0ELb1ELb1ELb0ELb0ELb0EEEvPT0_PvPT_S6_S6_PKS5_S8_S8_S8_S8_ffiiiiiiiiiiiii
	.globl	_ZN5aiter35fused_qk_rmsnorm_group_quant_kernelIDF16_DB8_Li512ELi16ELi8ELb0ELb1ELb1ELb0ELb0ELb0EEEvPT0_PvPT_S6_S6_PKS5_S8_S8_S8_S8_ffiiiiiiiiiiiii
	.p2align	8
	.type	_ZN5aiter35fused_qk_rmsnorm_group_quant_kernelIDF16_DB8_Li512ELi16ELi8ELb0ELb1ELb1ELb0ELb0ELb0EEEvPT0_PvPT_S6_S6_PKS5_S8_S8_S8_S8_ffiiiiiiiiiiiii,@function
_ZN5aiter35fused_qk_rmsnorm_group_quant_kernelIDF16_DB8_Li512ELi16ELi8ELb0ELb1ELb1ELb0ELb0ELb0EEEvPT0_PvPT_S6_S6_PKS5_S8_S8_S8_S8_ffiiiiiiiiiiiii: ; @_ZN5aiter35fused_qk_rmsnorm_group_quant_kernelIDF16_DB8_Li512ELi16ELi8ELb0ELb1ELb1ELb0ELb0ELb0EEEvPT0_PvPT_S6_S6_PKS5_S8_S8_S8_S8_ffiiiiiiiiiiiii
; %bb.0:
	s_load_dwordx4 s[16:19], s[4:5], 0x50
	s_waitcnt lgkmcnt(0)
	s_cmp_ge_i32 s6, s18
	s_cbranch_scc1 .LBB921_12
; %bb.1:
	s_load_dwordx2 s[12:13], s[4:5], 0x48
	s_load_dwordx2 s[30:31], s[4:5], 0x30
	s_load_dwordx4 s[20:23], s[4:5], 0x60
	s_cmp_lg_u32 s7, 0
	s_cselect_b64 s[14:15], -1, 0
	s_cmp_eq_u32 s7, 0
	s_cselect_b64 vcc, -1, 0
	s_and_b64 s[0:1], vcc, exec
	s_waitcnt lgkmcnt(0)
	s_cselect_b32 s7, s19, s20
	s_add_i32 s0, s7, 1
	s_lshr_b32 s1, s0, 31
	s_add_i32 s0, s0, s1
	s_lshl_b32 s0, s0, 1
	v_lshlrev_b32_e32 v1, 4, v0
	s_and_b32 s10, s0, -4
	v_cmp_gt_i32_e64 s[2:3], s7, v1
	v_mov_b32_e32 v18, 0
	v_mov_b32_e32 v6, 0
	;; [unrolled: 1-line block ×17, first 2 shown]
	s_and_saveexec_b64 s[0:1], s[2:3]
	s_cbranch_execz .LBB921_3
; %bb.2:
	s_load_dwordx2 s[8:9], s[4:5], 0x28
	s_load_dwordx2 s[26:27], s[4:5], 0x40
	s_and_b64 s[24:25], vcc, exec
	s_cselect_b32 s11, s21, s22
	v_lshlrev_b32_e32 v19, 5, v0
	s_waitcnt lgkmcnt(0)
	s_cselect_b32 s18, s9, s31
	s_cselect_b32 s21, s8, s30
	s_mul_hi_i32 s9, s11, s6
	s_mul_i32 s8, s11, s6
	s_lshl_b64 s[8:9], s[8:9], 1
	s_add_u32 s24, s21, s8
	s_addc_u32 s18, s18, s9
	s_and_b64 s[8:9], vcc, exec
	s_mov_b32 s11, 0x20000
	s_cselect_b32 s8, s26, s12
	s_cselect_b32 s9, s27, s13
	s_and_b32 s25, s18, 0xffff
	s_mov_b32 s26, s10
	s_mov_b32 s27, s11
	s_and_b32 s9, s9, 0xffff
	buffer_load_dwordx4 v[14:17], v19, s[24:27], 0 offen
	buffer_load_dwordx4 v[10:13], v19, s[24:27], 16 offen
	;; [unrolled: 1-line block ×4, first 2 shown]
.LBB921_3:
	s_or_b64 exec, exec, s[0:1]
	v_mov_b32_e32 v19, 0
	v_mov_b32_e32 v32, 0
	;; [unrolled: 1-line block ×15, first 2 shown]
	s_and_saveexec_b64 s[0:1], s[2:3]
	s_cbranch_execz .LBB921_5
; %bb.4:
	s_waitcnt vmcnt(3)
	v_cvt_f32_f16_sdwa v19, v14 dst_sel:DWORD dst_unused:UNUSED_PAD src0_sel:WORD_1
	v_cvt_f32_f16_e32 v18, v14
	v_cvt_f32_f16_sdwa v33, v15 dst_sel:DWORD dst_unused:UNUSED_PAD src0_sel:WORD_1
	v_cvt_f32_f16_e32 v32, v15
	;; [unrolled: 2-line block ×4, first 2 shown]
	s_waitcnt vmcnt(2)
	v_cvt_f32_f16_sdwa v25, v10 dst_sel:DWORD dst_unused:UNUSED_PAD src0_sel:WORD_1
	v_cvt_f32_f16_e32 v24, v10
	v_cvt_f32_f16_sdwa v29, v11 dst_sel:DWORD dst_unused:UNUSED_PAD src0_sel:WORD_1
	v_cvt_f32_f16_e32 v28, v11
	;; [unrolled: 2-line block ×4, first 2 shown]
.LBB921_5:
	s_or_b64 exec, exec, s[0:1]
	s_waitcnt vmcnt(2)
	v_mul_f32_e32 v10, v19, v19
	v_fmac_f32_e32 v10, v18, v18
	v_fmac_f32_e32 v10, v32, v32
	;; [unrolled: 1-line block ×15, first 2 shown]
	v_and_b32_e32 v12, 63, v0
	v_cmp_eq_u32_e64 s[0:1], 63, v12
	v_mov_b32_dpp v11, v10 quad_perm:[1,0,3,2] row_mask:0xf bank_mask:0xf
	v_add_f32_e32 v10, v10, v11
	s_nop 1
	v_mov_b32_dpp v11, v10 quad_perm:[2,3,0,1] row_mask:0xf bank_mask:0xf
	v_add_f32_e32 v10, v10, v11
	s_nop 1
	v_mov_b32_dpp v11, v10 row_half_mirror row_mask:0xf bank_mask:0xf
	v_add_f32_e32 v10, v10, v11
	s_nop 1
	v_mov_b32_dpp v11, v10 row_mirror row_mask:0xf bank_mask:0xf
	v_add_f32_e32 v10, v10, v11
	s_nop 1
	v_mov_b32_dpp v11, v10 row_bcast:15 row_mask:0xf bank_mask:0xf
	v_add_f32_e32 v10, v10, v11
	s_nop 1
	v_mov_b32_dpp v11, v10 row_bcast:31 row_mask:0xf bank_mask:0xf
	s_and_saveexec_b64 s[8:9], s[0:1]
	s_cbranch_execz .LBB921_7
; %bb.6:
	v_add_f32_e32 v10, v10, v11
	v_lshrrev_b32_e32 v11, 4, v0
	v_and_b32_e32 v11, 60, v11
	ds_write_b32 v11, v10 offset:32
.LBB921_7:
	s_or_b64 exec, exec, s[8:9]
	v_and_b32_e32 v10, 7, v0
	v_lshlrev_b32_e32 v34, 2, v10
	s_waitcnt lgkmcnt(0)
	s_barrier
	ds_read_b32 v11, v34 offset:32
	s_load_dwordx2 s[28:29], s[4:5], 0x18
	s_waitcnt lgkmcnt(0)
	v_mov_b32_dpp v12, v11 quad_perm:[1,0,3,2] row_mask:0xf bank_mask:0xf
	v_add_f32_e32 v11, v11, v12
	s_nop 1
	v_mov_b32_dpp v12, v11 quad_perm:[2,3,0,1] row_mask:0xf bank_mask:0xf
	v_add_f32_e32 v11, v11, v12
	s_nop 1
	v_mov_b32_dpp v12, v11 row_half_mirror row_mask:0xf bank_mask:0xf
	s_and_saveexec_b64 s[8:9], s[2:3]
	s_cbranch_execz .LBB921_9
; %bb.8:
	v_cvt_f32_u32_e32 v13, s7
	v_add_f32_e32 v11, v11, v12
	v_mov_b32_e32 v15, s17
	v_mov_b32_e32 v16, s16
	v_div_scale_f32 v12, s[24:25], v13, v13, v11
	v_rcp_f32_e32 v14, v12
	v_cndmask_b32_e32 v15, v15, v16, vcc
	s_mov_b32 s7, 0x800000
	v_fma_f32 v16, -v12, v14, 1.0
	v_fmac_f32_e32 v14, v16, v14
	v_div_scale_f32 v16, vcc, v11, v13, v11
	v_mul_f32_e32 v17, v16, v14
	v_fma_f32 v35, -v12, v17, v16
	v_fmac_f32_e32 v17, v35, v14
	v_fma_f32 v12, -v12, v17, v16
	v_div_fmas_f32 v12, v12, v14, v17
	v_div_fixup_f32 v11, v12, v13, v11
	v_add_f32_e32 v11, v15, v11
	v_mul_f32_e32 v12, 0x4b800000, v11
	v_cmp_gt_f32_e32 vcc, s7, v11
	v_cndmask_b32_e32 v11, v11, v12, vcc
	v_rsq_f32_e32 v11, v11
	v_mul_f32_e32 v12, 0x45800000, v11
	v_cndmask_b32_e32 v12, v11, v12, vcc
	v_mov_b32_e32 v13, v12
	;;#ASMSTART
	v_pk_mul_f32 v[14:15], v[18:19], v[12:13]
	;;#ASMEND
	s_waitcnt vmcnt(1)
	v_cvt_f32_f16_sdwa v19, v6 dst_sel:DWORD dst_unused:UNUSED_PAD src0_sel:WORD_1
	v_cvt_f32_f16_e32 v18, v6
	;;#ASMSTART
	v_pk_mul_f32 v[16:17], v[32:33], v[12:13]
	;;#ASMEND
	v_cvt_f32_f16_sdwa v33, v7 dst_sel:DWORD dst_unused:UNUSED_PAD src0_sel:WORD_1
	v_cvt_f32_f16_e32 v32, v7
	;;#ASMSTART
	v_pk_mul_f32 v[26:27], v[26:27], v[12:13]
	;;#ASMEND
	;;#ASMSTART
	v_pk_mul_f32 v[30:31], v[30:31], v[12:13]
	;;#ASMEND
	;; [unrolled: 3-line block ×6, first 2 shown]
	v_pk_add_f32 v[12:13], v[18:19], 1.0 op_sel_hi:[1,0]
	;;#ASMSTART
	v_pk_mul_f32 v[18:19], v[14:15], v[12:13]
	;;#ASMEND
	v_cvt_f32_f16_sdwa v15, v8 dst_sel:DWORD dst_unused:UNUSED_PAD src0_sel:WORD_1
	v_cvt_f32_f16_e32 v14, v8
	v_cvt_f32_f16_sdwa v21, v9 dst_sel:DWORD dst_unused:UNUSED_PAD src0_sel:WORD_1
	v_cvt_f32_f16_e32 v20, v9
	v_pk_add_f32 v[12:13], v[32:33], 1.0 op_sel_hi:[1,0]
	;;#ASMSTART
	v_pk_mul_f32 v[32:33], v[16:17], v[12:13]
	;;#ASMEND
	s_waitcnt vmcnt(0)
	v_cvt_f32_f16_sdwa v13, v2 dst_sel:DWORD dst_unused:UNUSED_PAD src0_sel:WORD_1
	v_cvt_f32_f16_e32 v12, v2
	v_pk_add_f32 v[8:9], v[14:15], 1.0 op_sel_hi:[1,0]
	;;#ASMSTART
	v_pk_mul_f32 v[26:27], v[26:27], v[8:9]
	;;#ASMEND
	v_pk_add_f32 v[8:9], v[20:21], 1.0 op_sel_hi:[1,0]
	v_cvt_f32_f16_sdwa v15, v3 dst_sel:DWORD dst_unused:UNUSED_PAD src0_sel:WORD_1
	v_cvt_f32_f16_e32 v14, v3
	;;#ASMSTART
	v_pk_mul_f32 v[30:31], v[30:31], v[8:9]
	;;#ASMEND
	v_cvt_f32_f16_sdwa v9, v4 dst_sel:DWORD dst_unused:UNUSED_PAD src0_sel:WORD_1
	v_cvt_f32_f16_e32 v8, v4
	v_pk_add_f32 v[2:3], v[12:13], 1.0 op_sel_hi:[1,0]
	v_cvt_f32_f16_sdwa v13, v5 dst_sel:DWORD dst_unused:UNUSED_PAD src0_sel:WORD_1
	v_cvt_f32_f16_e32 v12, v5
	;;#ASMSTART
	v_pk_mul_f32 v[24:25], v[24:25], v[2:3]
	;;#ASMEND
	v_pk_add_f32 v[2:3], v[14:15], 1.0 op_sel_hi:[1,0]
	;;#ASMSTART
	v_pk_mul_f32 v[28:29], v[28:29], v[2:3]
	;;#ASMEND
	v_pk_add_f32 v[2:3], v[8:9], 1.0 op_sel_hi:[1,0]
	;; [unrolled: 4-line block ×3, first 2 shown]
	;;#ASMSTART
	v_pk_mul_f32 v[20:21], v[6:7], v[2:3]
	;;#ASMEND
.LBB921_9:
	s_or_b64 exec, exec, s[8:9]
	s_load_dword s7, s[4:5], 0x80
	s_mov_b64 s[8:9], -1
	s_and_b64 vcc, exec, s[14:15]
	s_cbranch_vccnz .LBB921_13
; %bb.10:
	s_andn2_b64 vcc, exec, s[8:9]
	s_cbranch_vccz .LBB921_16
.LBB921_11:
	s_cmp_lt_i32 s20, 1
	s_cbranch_scc0 .LBB921_25
.LBB921_12:
	s_endpgm
.LBB921_13:
	s_and_saveexec_b64 s[14:15], s[2:3]
	s_cbranch_execz .LBB921_15
; %bb.14:
	s_waitcnt lgkmcnt(0)
	s_mul_hi_i32 s9, s7, s6
	s_mul_i32 s8, s7, s6
	s_waitcnt vmcnt(0)
	v_cvt_f16_f32_e32 v2, v18
	v_cvt_f16_f32_e32 v3, v32
	;; [unrolled: 1-line block ×8, first 2 shown]
	s_lshl_b64 s[8:9], s[8:9], 1
	s_add_u32 s8, s28, s8
	s_addc_u32 s9, s29, s9
	s_and_b32 s9, s9, 0xffff
	s_mov_b32 s11, 0x20000
	v_pack_b32_f16 v5, v5, v6
	v_pack_b32_f16 v4, v4, v7
	;; [unrolled: 1-line block ×4, first 2 shown]
	v_lshlrev_b32_e32 v6, 5, v0
	buffer_store_dwordx4 v[2:5], v6, s[8:11], 0 offen
	v_cvt_f16_f32_e32 v7, v21
	v_cvt_f16_f32_e32 v2, v24
	;; [unrolled: 1-line block ×8, first 2 shown]
	v_pack_b32_f16 v5, v5, v7
	v_pack_b32_f16 v4, v4, v8
	;; [unrolled: 1-line block ×4, first 2 shown]
	;;#ASMSTART
	s_nop 0
	;;#ASMEND
	buffer_store_dwordx4 v[2:5], v6, s[8:11], 16 offen
	;;#ASMSTART
	s_nop 0
	;;#ASMEND
.LBB921_15:
	s_or_b64 exec, exec, s[14:15]
	s_cbranch_execnz .LBB921_11
.LBB921_16:
	s_load_dwordx4 s[24:27], s[4:5], 0x70
	s_waitcnt vmcnt(0)
	v_mov_b32_e32 v2, 0
	s_and_saveexec_b64 s[14:15], s[2:3]
	s_cbranch_execz .LBB921_18
; %bb.17:
	s_load_dwordx2 s[8:9], s[4:5], 0x10
	s_waitcnt lgkmcnt(0)
	s_mul_hi_i32 s35, s27, s6
	s_mul_i32 s34, s27, s6
	v_cvt_f16_f32_e32 v2, v18
	v_cvt_f16_f32_e32 v3, v32
	;; [unrolled: 1-line block ×8, first 2 shown]
	s_lshl_b64 s[34:35], s[34:35], 1
	s_add_u32 s8, s8, s34
	s_addc_u32 s9, s9, s35
	s_mov_b32 s11, 0x20000
	s_and_b32 s9, s9, 0xffff
	v_pack_b32_f16 v5, v5, v6
	v_pack_b32_f16 v4, v4, v7
	;; [unrolled: 1-line block ×4, first 2 shown]
	v_lshlrev_b32_e32 v6, 5, v0
	buffer_store_dwordx4 v[2:5], v6, s[8:11], 0 offen
	v_cvt_f16_f32_e32 v7, v21
	v_cvt_f16_f32_e32 v2, v24
	;; [unrolled: 1-line block ×8, first 2 shown]
	v_pack_b32_f16 v5, v5, v7
	v_pack_b32_f16 v4, v4, v8
	;; [unrolled: 1-line block ×4, first 2 shown]
	;;#ASMSTART
	s_nop 0
	;;#ASMEND
	buffer_store_dwordx4 v[2:5], v6, s[8:11], 16 offen
	;;#ASMSTART
	s_nop 0
	;;#ASMEND
	s_nop 0
	v_mov_b32_e32 v2, 0x2edbe6ff
.LBB921_18:
	s_or_b64 exec, exec, s[14:15]
	s_and_saveexec_b64 s[8:9], s[2:3]
	s_cbranch_execz .LBB921_20
; %bb.19:
	v_and_b32_e32 v3, 0x7fffffff, v18
	v_and_b32_e32 v4, 0x7fffffff, v19
	;;#ASMSTART
	v_max3_f32 v2, v2, v3, v4

	;;#ASMEND
	v_and_b32_e32 v3, 0x7fffffff, v32
	v_and_b32_e32 v4, 0x7fffffff, v33
	;;#ASMSTART
	v_max3_f32 v2, v2, v3, v4

	;;#ASMEND
	;; [unrolled: 6-line block ×8, first 2 shown]
.LBB921_20:
	s_or_b64 exec, exec, s[8:9]
	;;#ASMSTART
	v_max_f32 v3, v2, v2 quad_perm:[1,0,3,2] row_mask:0xf bank_mask:0xf bound_ctrl:1
	;;#ASMEND
	;;#ASMSTART
	v_max_f32 v2, v3, v3 quad_perm:[2,3,0,1] row_mask:0xf bank_mask:0xf bound_ctrl:1
	;;#ASMEND
	v_cmp_eq_u32_e32 vcc, 0, v10
	v_cmp_gt_i32_e64 s[8:9], s19, v1
	;;#ASMSTART
	v_max_f32 v3, v2, v2 row_half_mirror row_mask:0xf bank_mask:0xf bound_ctrl:1
	;;#ASMEND
	v_mul_f32_e32 v2, 0x3b124925, v3
	s_and_b64 s[10:11], vcc, s[8:9]
	s_and_saveexec_b64 s[8:9], s[10:11]
	s_cbranch_execz .LBB921_22
; %bb.21:
	s_load_dwordx2 s[10:11], s[4:5], 0x8
	s_waitcnt lgkmcnt(0)
	s_mul_hi_i32 s15, s25, s6
	s_mul_i32 s14, s25, s6
	v_lshrrev_b32_e32 v3, 3, v0
	s_lshl_b64 s[14:15], s[14:15], 2
	v_mad_i64_i32 v[4:5], s[26:27], s26, v3, 0
	s_add_u32 s10, s10, s14
	s_addc_u32 s11, s11, s15
	v_lshlrev_b64 v[4:5], 2, v[4:5]
	v_mov_b32_e32 v3, s11
	v_add_co_u32_e32 v4, vcc, s10, v4
	v_addc_co_u32_e32 v5, vcc, v3, v5, vcc
	global_store_dword v[4:5], v2, off
.LBB921_22:
	s_or_b64 exec, exec, s[8:9]
	;;#ASMSTART
	v_rcp_f32 v2, v2
	;;#ASMEND
	s_and_saveexec_b64 s[14:15], s[2:3]
	s_cbranch_execz .LBB921_24
; %bb.23:
	s_load_dwordx2 s[2:3], s[4:5], 0x0
	s_waitcnt lgkmcnt(0)
	s_mul_i32 s8, s24, s6
	s_mul_hi_i32 s9, s24, s6
	v_mov_b32_e32 v3, v2
	;;#ASMSTART
	v_pk_mul_f32 v[4:5], v[18:19], v[2:3]
	;;#ASMEND
	s_add_u32 s8, s2, s8
	s_addc_u32 s2, s3, s9
	s_add_i32 s3, s19, 3
	s_ashr_i32 s10, s3, 31
	v_mov_b32_e32 v10, 0xc3e00000
	v_mov_b32_e32 v11, 0x43e00000
	;;#ASMSTART
	v_med3_f32 v4, v4, v10, v11
v_med3_f32 v5, v5, v10, v11
v_cvt_pk_fp8_f32 v6, v4, v5
	;;#ASMEND
	s_and_b32 s9, s2, 0xffff
	s_lshr_b32 s2, s10, 30
	;;#ASMSTART
	v_pk_mul_f32 v[4:5], v[32:33], v[2:3]
	;;#ASMEND
	s_add_i32 s3, s3, s2
	;;#ASMSTART
	v_med3_f32 v4, v4, v10, v11
v_med3_f32 v5, v5, v10, v11
v_cvt_pk_fp8_f32 v7, v4, v5
	;;#ASMEND
	s_mov_b32 s2, 0x5040100
	v_perm_b32 v4, v7, v6, s2
	s_mov_b32 s2, 0x1060504
	v_perm_b32 v4, v4, v7, s2
	;;#ASMSTART
	v_pk_mul_f32 v[6:7], v[26:27], v[2:3]
	;;#ASMEND
	v_mov_b32_e32 v5, v7
	;;#ASMSTART
	v_med3_f32 v6, v6, v10, v11
v_med3_f32 v5, v5, v10, v11
v_cvt_pk_fp8_f32 v8, v6, v5
	;;#ASMEND
	;;#ASMSTART
	v_pk_mul_f32 v[6:7], v[30:31], v[2:3]
	;;#ASMEND
	v_mov_b32_e32 v5, v6
	;;#ASMSTART
	v_med3_f32 v5, v5, v10, v11
v_med3_f32 v7, v7, v10, v11
v_cvt_pk_fp8_f32 v6, v5, v7
	;;#ASMEND
	s_mov_b32 s2, 0x1000504
	v_perm_b32 v5, v8, v6, s2
	;;#ASMSTART
	v_pk_mul_f32 v[6:7], v[24:25], v[2:3]
	;;#ASMEND
	;;#ASMSTART
	v_med3_f32 v6, v6, v10, v11
v_med3_f32 v7, v7, v10, v11
v_cvt_pk_fp8_f32 v8, v6, v7
	;;#ASMEND
	;;#ASMSTART
	v_pk_mul_f32 v[6:7], v[28:29], v[2:3]
	;;#ASMEND
	;;#ASMSTART
	v_med3_f32 v6, v6, v10, v11
v_med3_f32 v7, v7, v10, v11
v_cvt_pk_fp8_f32 v9, v6, v7
	;;#ASMEND
	v_perm_b32 v6, v8, v9, s2
	;;#ASMSTART
	v_pk_mul_f32 v[8:9], v[22:23], v[2:3]
	;;#ASMEND
	v_mov_b32_e32 v7, v9
	;;#ASMSTART
	v_med3_f32 v8, v8, v10, v11
v_med3_f32 v7, v7, v10, v11
v_cvt_pk_fp8_f32 v9, v8, v7
	;;#ASMEND
	;;#ASMSTART
	v_pk_mul_f32 v[2:3], v[20:21], v[2:3]
	;;#ASMEND
	;;#ASMSTART
	v_med3_f32 v2, v2, v10, v11
v_med3_f32 v3, v3, v10, v11
v_cvt_pk_fp8_f32 v7, v2, v3
	;;#ASMEND
	s_and_b32 s10, s3, -4
	s_mov_b32 s11, 0x20000
	v_perm_b32 v7, v9, v7, s2
	buffer_store_dwordx4 v[4:7], v1, s[8:11], 0 offen
	;;#ASMSTART
	s_nop 0
	;;#ASMEND
.LBB921_24:
	s_or_b64 exec, exec, s[14:15]
	s_cmp_lt_i32 s20, 1
	s_cbranch_scc1 .LBB921_12
.LBB921_25:
	s_load_dword s2, s[4:5], 0x94
	s_waitcnt lgkmcnt(0)
	s_cmp_lg_u32 s2, 1
	s_cbranch_scc1 .LBB921_12
; %bb.26:
	s_lshl_b32 s2, s20, 1
	s_add_i32 s2, s2, 2
	v_cmp_gt_u32_e32 vcc, s20, v1
	s_and_b32 s14, s2, -4
	v_mov_b32_e32 v18, 0
	v_lshlrev_b32_e32 v1, 5, v0
	v_mov_b32_e32 v14, 0
	v_mov_b32_e32 v15, 0
	;; [unrolled: 1-line block ×8, first 2 shown]
	s_waitcnt vmcnt(1)
	v_mov_b32_e32 v6, 0
	v_mov_b32_e32 v7, 0
	;; [unrolled: 1-line block ×4, first 2 shown]
	s_waitcnt vmcnt(0)
	v_mov_b32_e32 v2, 0
	v_mov_b32_e32 v3, 0
	;; [unrolled: 1-line block ×4, first 2 shown]
	s_barrier
	s_and_saveexec_b64 s[2:3], vcc
	s_cbranch_execz .LBB921_28
; %bb.27:
	s_mul_hi_i32 s5, s22, s6
	s_mul_i32 s4, s22, s6
	s_and_b32 s13, s13, 0xffff
	s_lshl_b64 s[4:5], s[4:5], 1
	s_add_u32 s8, s30, s4
	s_mov_b32 s15, 0x20000
	s_addc_u32 s4, s31, s5
	s_and_b32 s9, s4, 0xffff
	s_mov_b32 s10, s14
	s_mov_b32 s11, s15
	buffer_load_dwordx4 v[14:17], v1, s[8:11], 0 offen
	buffer_load_dwordx4 v[10:13], v1, s[8:11], 16 offen
	;; [unrolled: 1-line block ×4, first 2 shown]
.LBB921_28:
	s_or_b64 exec, exec, s[2:3]
	v_mov_b32_e32 v19, 0
	v_mov_b32_e32 v32, 0
	;; [unrolled: 1-line block ×15, first 2 shown]
	s_and_saveexec_b64 s[2:3], vcc
	s_cbranch_execz .LBB921_30
; %bb.29:
	s_waitcnt vmcnt(3)
	v_cvt_f32_f16_sdwa v19, v14 dst_sel:DWORD dst_unused:UNUSED_PAD src0_sel:WORD_1
	v_cvt_f32_f16_e32 v18, v14
	v_cvt_f32_f16_sdwa v33, v15 dst_sel:DWORD dst_unused:UNUSED_PAD src0_sel:WORD_1
	v_cvt_f32_f16_e32 v32, v15
	;; [unrolled: 2-line block ×4, first 2 shown]
	s_waitcnt vmcnt(2)
	v_cvt_f32_f16_sdwa v27, v10 dst_sel:DWORD dst_unused:UNUSED_PAD src0_sel:WORD_1
	v_cvt_f32_f16_e32 v26, v10
	v_cvt_f32_f16_sdwa v25, v11 dst_sel:DWORD dst_unused:UNUSED_PAD src0_sel:WORD_1
	v_cvt_f32_f16_e32 v24, v11
	;; [unrolled: 2-line block ×4, first 2 shown]
.LBB921_30:
	s_or_b64 exec, exec, s[2:3]
	s_waitcnt vmcnt(2)
	v_mul_f32_e32 v10, v19, v19
	v_fmac_f32_e32 v10, v18, v18
	v_fmac_f32_e32 v10, v32, v32
	;; [unrolled: 1-line block ×15, first 2 shown]
	s_nop 1
	v_mov_b32_dpp v11, v10 quad_perm:[1,0,3,2] row_mask:0xf bank_mask:0xf
	v_add_f32_e32 v10, v10, v11
	s_nop 1
	v_mov_b32_dpp v11, v10 quad_perm:[2,3,0,1] row_mask:0xf bank_mask:0xf
	v_add_f32_e32 v10, v10, v11
	s_nop 1
	v_mov_b32_dpp v11, v10 row_half_mirror row_mask:0xf bank_mask:0xf
	v_add_f32_e32 v10, v10, v11
	s_nop 1
	v_mov_b32_dpp v11, v10 row_mirror row_mask:0xf bank_mask:0xf
	v_add_f32_e32 v10, v10, v11
	s_nop 1
	v_mov_b32_dpp v11, v10 row_bcast:15 row_mask:0xf bank_mask:0xf
	v_add_f32_e32 v10, v10, v11
	s_nop 1
	v_mov_b32_dpp v11, v10 row_bcast:31 row_mask:0xf bank_mask:0xf
	s_and_saveexec_b64 s[2:3], s[0:1]
	s_cbranch_execz .LBB921_32
; %bb.31:
	v_lshrrev_b32_e32 v0, 4, v0
	v_add_f32_e32 v10, v10, v11
	v_and_b32_e32 v0, 60, v0
	ds_write_b32 v0, v10
.LBB921_32:
	s_or_b64 exec, exec, s[2:3]
	s_waitcnt lgkmcnt(0)
	s_barrier
	ds_read_b32 v0, v34
	s_waitcnt lgkmcnt(0)
	s_nop 0
	v_mov_b32_dpp v10, v0 quad_perm:[1,0,3,2] row_mask:0xf bank_mask:0xf
	v_add_f32_e32 v0, v0, v10
	s_nop 1
	v_mov_b32_dpp v10, v0 quad_perm:[2,3,0,1] row_mask:0xf bank_mask:0xf
	v_add_f32_e32 v0, v0, v10
	s_nop 1
	v_mov_b32_dpp v10, v0 row_half_mirror row_mask:0xf bank_mask:0xf
	s_and_saveexec_b64 s[0:1], vcc
	s_cbranch_execz .LBB921_12
; %bb.33:
	v_cvt_f32_u32_e32 v11, s20
	v_add_f32_e32 v0, v0, v10
	s_mov_b32 s15, 0x20000
	v_div_scale_f32 v10, s[0:1], v11, v11, v0
	v_rcp_f32_e32 v12, v10
	v_div_scale_f32 v13, vcc, v0, v11, v0
	s_mov_b32 s0, 0x800000
	v_fma_f32 v14, -v10, v12, 1.0
	v_fmac_f32_e32 v12, v14, v12
	v_mul_f32_e32 v14, v13, v12
	v_fma_f32 v15, -v10, v14, v13
	v_fmac_f32_e32 v14, v15, v12
	v_fma_f32 v10, -v10, v14, v13
	v_div_fmas_f32 v10, v10, v12, v14
	v_div_fixup_f32 v0, v10, v11, v0
	v_add_f32_e32 v0, s17, v0
	v_mul_f32_e32 v10, 0x4b800000, v0
	v_cmp_gt_f32_e32 vcc, s0, v0
	v_cndmask_b32_e32 v0, v0, v10, vcc
	v_rsq_f32_e32 v0, v0
	s_mul_hi_i32 s1, s7, s6
	s_mul_i32 s0, s7, s6
	s_lshl_b64 s[0:1], s[0:1], 1
	v_mul_f32_e32 v10, 0x45800000, v0
	v_cndmask_b32_e32 v10, v0, v10, vcc
	v_mov_b32_e32 v11, v10
	;;#ASMSTART
	v_pk_mul_f32 v[12:13], v[18:19], v[10:11]
	;;#ASMEND
	;;#ASMSTART
	v_pk_mul_f32 v[14:15], v[32:33], v[10:11]
	;;#ASMEND
	;; [unrolled: 3-line block ×4, first 2 shown]
	s_waitcnt vmcnt(1)
	v_cvt_f32_f16_sdwa v29, v6 dst_sel:DWORD dst_unused:UNUSED_PAD src0_sel:WORD_1
	v_cvt_f32_f16_e32 v28, v6
	v_cvt_f32_f16_sdwa v31, v7 dst_sel:DWORD dst_unused:UNUSED_PAD src0_sel:WORD_1
	v_cvt_f32_f16_e32 v30, v7
	;;#ASMSTART
	v_pk_mul_f32 v[26:27], v[26:27], v[10:11]
	;;#ASMEND
	;;#ASMSTART
	v_pk_mul_f32 v[24:25], v[24:25], v[10:11]
	;;#ASMEND
	;; [unrolled: 3-line block ×4, first 2 shown]
	v_cvt_f32_f16_sdwa v21, v8 dst_sel:DWORD dst_unused:UNUSED_PAD src0_sel:WORD_1
	v_cvt_f32_f16_e32 v20, v8
	v_pk_add_f32 v[10:11], v[28:29], 1.0 op_sel_hi:[1,0]
	;;#ASMSTART
	v_pk_mul_f32 v[10:11], v[12:13], v[10:11]
	;;#ASMEND
	v_pk_add_f32 v[12:13], v[30:31], 1.0 op_sel_hi:[1,0]
	v_cvt_f32_f16_sdwa v29, v9 dst_sel:DWORD dst_unused:UNUSED_PAD src0_sel:WORD_1
	v_cvt_f32_f16_e32 v28, v9
	;;#ASMSTART
	v_pk_mul_f32 v[8:9], v[14:15], v[12:13]
	;;#ASMEND
	v_pk_add_f32 v[12:13], v[20:21], 1.0 op_sel_hi:[1,0]
	;;#ASMSTART
	v_pk_mul_f32 v[12:13], v[16:17], v[12:13]
	;;#ASMEND
	s_waitcnt vmcnt(0)
	v_cvt_f32_f16_sdwa v17, v2 dst_sel:DWORD dst_unused:UNUSED_PAD src0_sel:WORD_1
	v_cvt_f32_f16_e32 v16, v2
	v_cvt_f32_f16_sdwa v21, v3 dst_sel:DWORD dst_unused:UNUSED_PAD src0_sel:WORD_1
	v_cvt_f32_f16_e32 v20, v3
	v_pk_add_f32 v[14:15], v[28:29], 1.0 op_sel_hi:[1,0]
	;;#ASMSTART
	v_pk_mul_f32 v[2:3], v[18:19], v[14:15]
	;;#ASMEND
	v_cvt_f32_f16_sdwa v19, v4 dst_sel:DWORD dst_unused:UNUSED_PAD src0_sel:WORD_1
	v_cvt_f32_f16_e32 v18, v4
	v_pk_add_f32 v[14:15], v[16:17], 1.0 op_sel_hi:[1,0]
	v_pk_add_f32 v[16:17], v[20:21], 1.0 op_sel_hi:[1,0]
	v_cvt_f32_f16_sdwa v21, v5 dst_sel:DWORD dst_unused:UNUSED_PAD src0_sel:WORD_1
	v_cvt_f32_f16_e32 v20, v5
	v_pk_add_f32 v[4:5], v[18:19], 1.0 op_sel_hi:[1,0]
	;;#ASMSTART
	v_pk_mul_f32 v[14:15], v[26:27], v[14:15]
	;;#ASMEND
	;;#ASMSTART
	v_pk_mul_f32 v[16:17], v[24:25], v[16:17]
	;;#ASMEND
	;; [unrolled: 3-line block ×3, first 2 shown]
	v_pk_add_f32 v[4:5], v[20:21], 1.0 op_sel_hi:[1,0]
	;;#ASMSTART
	v_pk_mul_f32 v[6:7], v[6:7], v[4:5]
	;;#ASMEND
	v_cvt_f16_f32_e32 v0, v10
	v_cvt_f16_f32_e32 v4, v11
	;; [unrolled: 1-line block ×8, first 2 shown]
	s_add_u32 s12, s28, s0
	s_addc_u32 s0, s29, s1
	s_and_b32 s13, s0, 0xffff
	v_pack_b32_f16 v2, v0, v4
	v_pack_b32_f16 v3, v5, v8
	;; [unrolled: 1-line block ×4, first 2 shown]
	buffer_store_dwordx4 v[2:5], v1, s[12:15], 0 offen
	v_cvt_f16_f32_e32 v0, v14
	v_cvt_f16_f32_e32 v2, v15
	v_cvt_f16_f32_e32 v3, v16
	v_cvt_f16_f32_e32 v4, v17
	v_cvt_f16_f32_e32 v5, v18
	v_cvt_f16_f32_e32 v8, v19
	v_cvt_f16_f32_e32 v6, v6
	v_cvt_f16_f32_e32 v7, v7
	v_pack_b32_f16 v2, v0, v2
	v_pack_b32_f16 v3, v3, v4
	;; [unrolled: 1-line block ×4, first 2 shown]
	;;#ASMSTART
	s_nop 0
	;;#ASMEND
	buffer_store_dwordx4 v[2:5], v1, s[12:15], 16 offen
	;;#ASMSTART
	s_nop 0
	;;#ASMEND
	s_endpgm
	.section	.rodata,"a",@progbits
	.p2align	6, 0x0
	.amdhsa_kernel _ZN5aiter35fused_qk_rmsnorm_group_quant_kernelIDF16_DB8_Li512ELi16ELi8ELb0ELb1ELb1ELb0ELb0ELb0EEEvPT0_PvPT_S6_S6_PKS5_S8_S8_S8_S8_ffiiiiiiiiiiiii
		.amdhsa_group_segment_fixed_size 64
		.amdhsa_private_segment_fixed_size 0
		.amdhsa_kernarg_size 400
		.amdhsa_user_sgpr_count 6
		.amdhsa_user_sgpr_private_segment_buffer 1
		.amdhsa_user_sgpr_dispatch_ptr 0
		.amdhsa_user_sgpr_queue_ptr 0
		.amdhsa_user_sgpr_kernarg_segment_ptr 1
		.amdhsa_user_sgpr_dispatch_id 0
		.amdhsa_user_sgpr_flat_scratch_init 0
		.amdhsa_user_sgpr_kernarg_preload_length 0
		.amdhsa_user_sgpr_kernarg_preload_offset 0
		.amdhsa_user_sgpr_private_segment_size 0
		.amdhsa_uses_dynamic_stack 0
		.amdhsa_system_sgpr_private_segment_wavefront_offset 0
		.amdhsa_system_sgpr_workgroup_id_x 1
		.amdhsa_system_sgpr_workgroup_id_y 1
		.amdhsa_system_sgpr_workgroup_id_z 0
		.amdhsa_system_sgpr_workgroup_info 0
		.amdhsa_system_vgpr_workitem_id 0
		.amdhsa_next_free_vgpr 36
		.amdhsa_next_free_sgpr 36
		.amdhsa_accum_offset 36
		.amdhsa_reserve_vcc 1
		.amdhsa_reserve_flat_scratch 0
		.amdhsa_float_round_mode_32 0
		.amdhsa_float_round_mode_16_64 0
		.amdhsa_float_denorm_mode_32 3
		.amdhsa_float_denorm_mode_16_64 3
		.amdhsa_dx10_clamp 1
		.amdhsa_ieee_mode 1
		.amdhsa_fp16_overflow 0
		.amdhsa_tg_split 0
		.amdhsa_exception_fp_ieee_invalid_op 0
		.amdhsa_exception_fp_denorm_src 0
		.amdhsa_exception_fp_ieee_div_zero 0
		.amdhsa_exception_fp_ieee_overflow 0
		.amdhsa_exception_fp_ieee_underflow 0
		.amdhsa_exception_fp_ieee_inexact 0
		.amdhsa_exception_int_div_zero 0
	.end_amdhsa_kernel
	.section	.text._ZN5aiter35fused_qk_rmsnorm_group_quant_kernelIDF16_DB8_Li512ELi16ELi8ELb0ELb1ELb1ELb0ELb0ELb0EEEvPT0_PvPT_S6_S6_PKS5_S8_S8_S8_S8_ffiiiiiiiiiiiii,"axG",@progbits,_ZN5aiter35fused_qk_rmsnorm_group_quant_kernelIDF16_DB8_Li512ELi16ELi8ELb0ELb1ELb1ELb0ELb0ELb0EEEvPT0_PvPT_S6_S6_PKS5_S8_S8_S8_S8_ffiiiiiiiiiiiii,comdat
.Lfunc_end921:
	.size	_ZN5aiter35fused_qk_rmsnorm_group_quant_kernelIDF16_DB8_Li512ELi16ELi8ELb0ELb1ELb1ELb0ELb0ELb0EEEvPT0_PvPT_S6_S6_PKS5_S8_S8_S8_S8_ffiiiiiiiiiiiii, .Lfunc_end921-_ZN5aiter35fused_qk_rmsnorm_group_quant_kernelIDF16_DB8_Li512ELi16ELi8ELb0ELb1ELb1ELb0ELb0ELb0EEEvPT0_PvPT_S6_S6_PKS5_S8_S8_S8_S8_ffiiiiiiiiiiiii
                                        ; -- End function
	.section	.AMDGPU.csdata,"",@progbits
; Kernel info:
; codeLenInByte = 3812
; NumSgprs: 40
; NumVgprs: 36
; NumAgprs: 0
; TotalNumVgprs: 36
; ScratchSize: 0
; MemoryBound: 0
; FloatMode: 240
; IeeeMode: 1
; LDSByteSize: 64 bytes/workgroup (compile time only)
; SGPRBlocks: 4
; VGPRBlocks: 4
; NumSGPRsForWavesPerEU: 40
; NumVGPRsForWavesPerEU: 36
; AccumOffset: 36
; Occupancy: 8
; WaveLimiterHint : 0
; COMPUTE_PGM_RSRC2:SCRATCH_EN: 0
; COMPUTE_PGM_RSRC2:USER_SGPR: 6
; COMPUTE_PGM_RSRC2:TRAP_HANDLER: 0
; COMPUTE_PGM_RSRC2:TGID_X_EN: 1
; COMPUTE_PGM_RSRC2:TGID_Y_EN: 1
; COMPUTE_PGM_RSRC2:TGID_Z_EN: 0
; COMPUTE_PGM_RSRC2:TIDIG_COMP_CNT: 0
; COMPUTE_PGM_RSRC3_GFX90A:ACCUM_OFFSET: 8
; COMPUTE_PGM_RSRC3_GFX90A:TG_SPLIT: 0
	.section	.text._ZN5aiter35fused_qk_rmsnorm_group_quant_kernelItDB8_Li512ELi16ELi8ELb0ELb1ELb1ELb0ELb0ELb0EEEvPT0_PvPT_S6_S6_PKS5_S8_S8_S8_S8_ffiiiiiiiiiiiii,"axG",@progbits,_ZN5aiter35fused_qk_rmsnorm_group_quant_kernelItDB8_Li512ELi16ELi8ELb0ELb1ELb1ELb0ELb0ELb0EEEvPT0_PvPT_S6_S6_PKS5_S8_S8_S8_S8_ffiiiiiiiiiiiii,comdat
	.protected	_ZN5aiter35fused_qk_rmsnorm_group_quant_kernelItDB8_Li512ELi16ELi8ELb0ELb1ELb1ELb0ELb0ELb0EEEvPT0_PvPT_S6_S6_PKS5_S8_S8_S8_S8_ffiiiiiiiiiiiii ; -- Begin function _ZN5aiter35fused_qk_rmsnorm_group_quant_kernelItDB8_Li512ELi16ELi8ELb0ELb1ELb1ELb0ELb0ELb0EEEvPT0_PvPT_S6_S6_PKS5_S8_S8_S8_S8_ffiiiiiiiiiiiii
	.globl	_ZN5aiter35fused_qk_rmsnorm_group_quant_kernelItDB8_Li512ELi16ELi8ELb0ELb1ELb1ELb0ELb0ELb0EEEvPT0_PvPT_S6_S6_PKS5_S8_S8_S8_S8_ffiiiiiiiiiiiii
	.p2align	8
	.type	_ZN5aiter35fused_qk_rmsnorm_group_quant_kernelItDB8_Li512ELi16ELi8ELb0ELb1ELb1ELb0ELb0ELb0EEEvPT0_PvPT_S6_S6_PKS5_S8_S8_S8_S8_ffiiiiiiiiiiiii,@function
_ZN5aiter35fused_qk_rmsnorm_group_quant_kernelItDB8_Li512ELi16ELi8ELb0ELb1ELb1ELb0ELb0ELb0EEEvPT0_PvPT_S6_S6_PKS5_S8_S8_S8_S8_ffiiiiiiiiiiiii: ; @_ZN5aiter35fused_qk_rmsnorm_group_quant_kernelItDB8_Li512ELi16ELi8ELb0ELb1ELb1ELb0ELb0ELb0EEEvPT0_PvPT_S6_S6_PKS5_S8_S8_S8_S8_ffiiiiiiiiiiiii
; %bb.0:
	s_load_dwordx4 s[16:19], s[4:5], 0x50
	s_waitcnt lgkmcnt(0)
	s_cmp_ge_i32 s6, s18
	s_cbranch_scc1 .LBB922_12
; %bb.1:
	s_load_dwordx2 s[12:13], s[4:5], 0x48
	s_load_dwordx2 s[30:31], s[4:5], 0x30
	s_load_dwordx4 s[20:23], s[4:5], 0x60
	s_cmp_lg_u32 s7, 0
	s_cselect_b64 s[14:15], -1, 0
	s_cmp_eq_u32 s7, 0
	s_cselect_b64 vcc, -1, 0
	s_and_b64 s[0:1], vcc, exec
	s_waitcnt lgkmcnt(0)
	s_cselect_b32 s7, s19, s20
	s_add_i32 s0, s7, 1
	s_lshr_b32 s1, s0, 31
	s_add_i32 s0, s0, s1
	s_lshl_b32 s0, s0, 1
	v_lshlrev_b32_e32 v1, 4, v0
	s_and_b32 s10, s0, -4
	v_cmp_gt_i32_e64 s[2:3], s7, v1
	v_mov_b32_e32 v18, 0
	v_mov_b32_e32 v6, 0
	v_mov_b32_e32 v7, 0
	v_mov_b32_e32 v8, 0
	v_mov_b32_e32 v9, 0
	v_mov_b32_e32 v2, 0
	v_mov_b32_e32 v3, 0
	v_mov_b32_e32 v4, 0
	v_mov_b32_e32 v5, 0
	v_mov_b32_e32 v14, 0
	v_mov_b32_e32 v15, 0
	v_mov_b32_e32 v16, 0
	v_mov_b32_e32 v17, 0
	v_mov_b32_e32 v10, 0
	v_mov_b32_e32 v11, 0
	v_mov_b32_e32 v12, 0
	v_mov_b32_e32 v13, 0
	s_and_saveexec_b64 s[0:1], s[2:3]
	s_cbranch_execz .LBB922_3
; %bb.2:
	s_load_dwordx2 s[8:9], s[4:5], 0x28
	s_load_dwordx2 s[26:27], s[4:5], 0x40
	s_and_b64 s[24:25], vcc, exec
	s_cselect_b32 s11, s21, s22
	v_lshlrev_b32_e32 v19, 5, v0
	s_waitcnt lgkmcnt(0)
	s_cselect_b32 s18, s9, s31
	s_cselect_b32 s21, s8, s30
	s_mul_hi_i32 s9, s11, s6
	s_mul_i32 s8, s11, s6
	s_lshl_b64 s[8:9], s[8:9], 1
	s_add_u32 s24, s21, s8
	s_addc_u32 s18, s18, s9
	s_and_b64 s[8:9], vcc, exec
	s_mov_b32 s11, 0x20000
	s_cselect_b32 s8, s26, s12
	s_cselect_b32 s9, s27, s13
	s_and_b32 s25, s18, 0xffff
	s_mov_b32 s26, s10
	s_mov_b32 s27, s11
	s_and_b32 s9, s9, 0xffff
	buffer_load_dwordx4 v[14:17], v19, s[24:27], 0 offen
	buffer_load_dwordx4 v[10:13], v19, s[24:27], 16 offen
	;; [unrolled: 1-line block ×4, first 2 shown]
.LBB922_3:
	s_or_b64 exec, exec, s[0:1]
	v_mov_b32_e32 v19, 0
	v_mov_b32_e32 v32, 0
	;; [unrolled: 1-line block ×15, first 2 shown]
	s_and_saveexec_b64 s[0:1], s[2:3]
	s_cbranch_execz .LBB922_5
; %bb.4:
	s_waitcnt vmcnt(3)
	v_cvt_f32_u32_sdwa v18, v14 dst_sel:DWORD dst_unused:UNUSED_PAD src0_sel:WORD_0
	v_cvt_f32_u32_sdwa v19, v14 dst_sel:DWORD dst_unused:UNUSED_PAD src0_sel:WORD_1
	v_cvt_f32_u32_sdwa v32, v15 dst_sel:DWORD dst_unused:UNUSED_PAD src0_sel:WORD_0
	v_cvt_f32_u32_sdwa v33, v15 dst_sel:DWORD dst_unused:UNUSED_PAD src0_sel:WORD_1
	v_cvt_f32_u32_sdwa v26, v16 dst_sel:DWORD dst_unused:UNUSED_PAD src0_sel:WORD_0
	v_cvt_f32_u32_sdwa v27, v16 dst_sel:DWORD dst_unused:UNUSED_PAD src0_sel:WORD_1
	v_cvt_f32_u32_sdwa v30, v17 dst_sel:DWORD dst_unused:UNUSED_PAD src0_sel:WORD_0
	v_cvt_f32_u32_sdwa v31, v17 dst_sel:DWORD dst_unused:UNUSED_PAD src0_sel:WORD_1
	s_waitcnt vmcnt(2)
	v_cvt_f32_u32_sdwa v24, v10 dst_sel:DWORD dst_unused:UNUSED_PAD src0_sel:WORD_0
	v_cvt_f32_u32_sdwa v25, v10 dst_sel:DWORD dst_unused:UNUSED_PAD src0_sel:WORD_1
	v_cvt_f32_u32_sdwa v28, v11 dst_sel:DWORD dst_unused:UNUSED_PAD src0_sel:WORD_0
	v_cvt_f32_u32_sdwa v29, v11 dst_sel:DWORD dst_unused:UNUSED_PAD src0_sel:WORD_1
	;; [unrolled: 2-line block ×4, first 2 shown]
.LBB922_5:
	s_or_b64 exec, exec, s[0:1]
	s_waitcnt vmcnt(2)
	v_mul_f32_e32 v10, v19, v19
	v_fmac_f32_e32 v10, v18, v18
	v_fmac_f32_e32 v10, v32, v32
	;; [unrolled: 1-line block ×15, first 2 shown]
	v_and_b32_e32 v12, 63, v0
	v_cmp_eq_u32_e64 s[0:1], 63, v12
	v_mov_b32_dpp v11, v10 quad_perm:[1,0,3,2] row_mask:0xf bank_mask:0xf
	v_add_f32_e32 v10, v10, v11
	s_nop 1
	v_mov_b32_dpp v11, v10 quad_perm:[2,3,0,1] row_mask:0xf bank_mask:0xf
	v_add_f32_e32 v10, v10, v11
	s_nop 1
	v_mov_b32_dpp v11, v10 row_half_mirror row_mask:0xf bank_mask:0xf
	v_add_f32_e32 v10, v10, v11
	s_nop 1
	v_mov_b32_dpp v11, v10 row_mirror row_mask:0xf bank_mask:0xf
	v_add_f32_e32 v10, v10, v11
	s_nop 1
	v_mov_b32_dpp v11, v10 row_bcast:15 row_mask:0xf bank_mask:0xf
	v_add_f32_e32 v10, v10, v11
	s_nop 1
	v_mov_b32_dpp v11, v10 row_bcast:31 row_mask:0xf bank_mask:0xf
	s_and_saveexec_b64 s[8:9], s[0:1]
	s_cbranch_execz .LBB922_7
; %bb.6:
	v_add_f32_e32 v10, v10, v11
	v_lshrrev_b32_e32 v11, 4, v0
	v_and_b32_e32 v11, 60, v11
	ds_write_b32 v11, v10 offset:32
.LBB922_7:
	s_or_b64 exec, exec, s[8:9]
	v_and_b32_e32 v10, 7, v0
	v_lshlrev_b32_e32 v34, 2, v10
	s_waitcnt lgkmcnt(0)
	s_barrier
	ds_read_b32 v11, v34 offset:32
	s_load_dwordx2 s[28:29], s[4:5], 0x18
	s_waitcnt lgkmcnt(0)
	v_mov_b32_dpp v12, v11 quad_perm:[1,0,3,2] row_mask:0xf bank_mask:0xf
	v_add_f32_e32 v11, v11, v12
	s_nop 1
	v_mov_b32_dpp v12, v11 quad_perm:[2,3,0,1] row_mask:0xf bank_mask:0xf
	v_add_f32_e32 v11, v11, v12
	s_nop 1
	v_mov_b32_dpp v12, v11 row_half_mirror row_mask:0xf bank_mask:0xf
	s_and_saveexec_b64 s[8:9], s[2:3]
	s_cbranch_execz .LBB922_9
; %bb.8:
	v_cvt_f32_u32_e32 v13, s7
	v_add_f32_e32 v11, v11, v12
	v_mov_b32_e32 v15, s17
	v_mov_b32_e32 v16, s16
	v_div_scale_f32 v12, s[24:25], v13, v13, v11
	v_rcp_f32_e32 v14, v12
	v_cndmask_b32_e32 v15, v15, v16, vcc
	s_mov_b32 s7, 0x800000
	v_fma_f32 v16, -v12, v14, 1.0
	v_fmac_f32_e32 v14, v16, v14
	v_div_scale_f32 v16, vcc, v11, v13, v11
	v_mul_f32_e32 v17, v16, v14
	v_fma_f32 v35, -v12, v17, v16
	v_fmac_f32_e32 v17, v35, v14
	v_fma_f32 v12, -v12, v17, v16
	v_div_fmas_f32 v12, v12, v14, v17
	v_div_fixup_f32 v11, v12, v13, v11
	v_add_f32_e32 v11, v15, v11
	v_mul_f32_e32 v12, 0x4b800000, v11
	v_cmp_gt_f32_e32 vcc, s7, v11
	v_cndmask_b32_e32 v11, v11, v12, vcc
	v_rsq_f32_e32 v11, v11
	v_mul_f32_e32 v12, 0x45800000, v11
	v_cndmask_b32_e32 v12, v11, v12, vcc
	v_mov_b32_e32 v13, v12
	;;#ASMSTART
	v_pk_mul_f32 v[14:15], v[18:19], v[12:13]
	;;#ASMEND
	s_waitcnt vmcnt(1)
	v_cvt_f32_u32_sdwa v19, v6 dst_sel:DWORD dst_unused:UNUSED_PAD src0_sel:WORD_1
	v_cvt_f32_u32_sdwa v18, v6 dst_sel:DWORD dst_unused:UNUSED_PAD src0_sel:WORD_0
	;;#ASMSTART
	v_pk_mul_f32 v[16:17], v[32:33], v[12:13]
	;;#ASMEND
	v_cvt_f32_u32_sdwa v33, v7 dst_sel:DWORD dst_unused:UNUSED_PAD src0_sel:WORD_1
	v_cvt_f32_u32_sdwa v32, v7 dst_sel:DWORD dst_unused:UNUSED_PAD src0_sel:WORD_0
	;;#ASMSTART
	v_pk_mul_f32 v[26:27], v[26:27], v[12:13]
	;;#ASMEND
	;;#ASMSTART
	v_pk_mul_f32 v[30:31], v[30:31], v[12:13]
	;;#ASMEND
	;; [unrolled: 3-line block ×6, first 2 shown]
	v_pk_add_f32 v[12:13], v[18:19], 1.0 op_sel_hi:[1,0]
	;;#ASMSTART
	v_pk_mul_f32 v[18:19], v[14:15], v[12:13]
	;;#ASMEND
	v_cvt_f32_u32_sdwa v15, v8 dst_sel:DWORD dst_unused:UNUSED_PAD src0_sel:WORD_1
	v_cvt_f32_u32_sdwa v14, v8 dst_sel:DWORD dst_unused:UNUSED_PAD src0_sel:WORD_0
	v_cvt_f32_u32_sdwa v21, v9 dst_sel:DWORD dst_unused:UNUSED_PAD src0_sel:WORD_1
	v_cvt_f32_u32_sdwa v20, v9 dst_sel:DWORD dst_unused:UNUSED_PAD src0_sel:WORD_0
	v_pk_add_f32 v[12:13], v[32:33], 1.0 op_sel_hi:[1,0]
	;;#ASMSTART
	v_pk_mul_f32 v[32:33], v[16:17], v[12:13]
	;;#ASMEND
	s_waitcnt vmcnt(0)
	v_cvt_f32_u32_sdwa v13, v2 dst_sel:DWORD dst_unused:UNUSED_PAD src0_sel:WORD_1
	v_cvt_f32_u32_sdwa v12, v2 dst_sel:DWORD dst_unused:UNUSED_PAD src0_sel:WORD_0
	v_pk_add_f32 v[8:9], v[14:15], 1.0 op_sel_hi:[1,0]
	;;#ASMSTART
	v_pk_mul_f32 v[26:27], v[26:27], v[8:9]
	;;#ASMEND
	v_pk_add_f32 v[8:9], v[20:21], 1.0 op_sel_hi:[1,0]
	v_cvt_f32_u32_sdwa v15, v3 dst_sel:DWORD dst_unused:UNUSED_PAD src0_sel:WORD_1
	v_cvt_f32_u32_sdwa v14, v3 dst_sel:DWORD dst_unused:UNUSED_PAD src0_sel:WORD_0
	;;#ASMSTART
	v_pk_mul_f32 v[30:31], v[30:31], v[8:9]
	;;#ASMEND
	v_cvt_f32_u32_sdwa v9, v4 dst_sel:DWORD dst_unused:UNUSED_PAD src0_sel:WORD_1
	v_cvt_f32_u32_sdwa v8, v4 dst_sel:DWORD dst_unused:UNUSED_PAD src0_sel:WORD_0
	v_pk_add_f32 v[2:3], v[12:13], 1.0 op_sel_hi:[1,0]
	v_cvt_f32_u32_sdwa v13, v5 dst_sel:DWORD dst_unused:UNUSED_PAD src0_sel:WORD_1
	v_cvt_f32_u32_sdwa v12, v5 dst_sel:DWORD dst_unused:UNUSED_PAD src0_sel:WORD_0
	;;#ASMSTART
	v_pk_mul_f32 v[24:25], v[24:25], v[2:3]
	;;#ASMEND
	v_pk_add_f32 v[2:3], v[14:15], 1.0 op_sel_hi:[1,0]
	;;#ASMSTART
	v_pk_mul_f32 v[28:29], v[28:29], v[2:3]
	;;#ASMEND
	v_pk_add_f32 v[2:3], v[8:9], 1.0 op_sel_hi:[1,0]
	;; [unrolled: 4-line block ×3, first 2 shown]
	;;#ASMSTART
	v_pk_mul_f32 v[20:21], v[6:7], v[2:3]
	;;#ASMEND
.LBB922_9:
	s_or_b64 exec, exec, s[8:9]
	s_load_dword s7, s[4:5], 0x80
	s_mov_b64 s[8:9], -1
	s_and_b64 vcc, exec, s[14:15]
	s_cbranch_vccnz .LBB922_13
; %bb.10:
	s_andn2_b64 vcc, exec, s[8:9]
	s_cbranch_vccz .LBB922_16
.LBB922_11:
	s_cmp_lt_i32 s20, 1
	s_cbranch_scc0 .LBB922_25
.LBB922_12:
	s_endpgm
.LBB922_13:
	s_and_saveexec_b64 s[14:15], s[2:3]
	s_cbranch_execz .LBB922_15
; %bb.14:
	s_waitcnt lgkmcnt(0)
	s_mul_hi_i32 s9, s7, s6
	s_mul_i32 s8, s7, s6
	s_lshl_b64 s[8:9], s[8:9], 1
	s_add_u32 s8, s28, s8
	s_addc_u32 s9, s29, s9
	s_mov_b32 s16, 0x7060302
	s_and_b32 s9, s9, 0xffff
	s_mov_b32 s11, 0x20000
	s_waitcnt vmcnt(0)
	v_perm_b32 v5, v31, v30, s16
	v_perm_b32 v4, v27, v26, s16
	;; [unrolled: 1-line block ×4, first 2 shown]
	v_lshlrev_b32_e32 v6, 5, v0
	buffer_store_dwordx4 v[2:5], v6, s[8:11], 0 offen
	;;#ASMSTART
	s_nop 0
	;;#ASMEND
	s_nop 0
	v_perm_b32 v5, v21, v20, s16
	v_perm_b32 v4, v23, v22, s16
	v_perm_b32 v3, v29, v28, s16
	v_perm_b32 v2, v25, v24, s16
	buffer_store_dwordx4 v[2:5], v6, s[8:11], 16 offen
	;;#ASMSTART
	s_nop 0
	;;#ASMEND
.LBB922_15:
	s_or_b64 exec, exec, s[14:15]
	s_cbranch_execnz .LBB922_11
.LBB922_16:
	s_load_dwordx4 s[24:27], s[4:5], 0x70
	s_waitcnt vmcnt(0)
	v_mov_b32_e32 v2, 0
	s_and_saveexec_b64 s[14:15], s[2:3]
	s_cbranch_execz .LBB922_18
; %bb.17:
	s_load_dwordx2 s[8:9], s[4:5], 0x10
	s_waitcnt lgkmcnt(0)
	s_mul_hi_i32 s35, s27, s6
	s_mul_i32 s34, s27, s6
	s_lshl_b64 s[34:35], s[34:35], 1
	s_mov_b32 s16, 0x7060302
	s_add_u32 s8, s8, s34
	s_addc_u32 s9, s9, s35
	s_mov_b32 s11, 0x20000
	s_and_b32 s9, s9, 0xffff
	v_perm_b32 v5, v31, v30, s16
	v_perm_b32 v4, v27, v26, s16
	;; [unrolled: 1-line block ×4, first 2 shown]
	v_lshlrev_b32_e32 v6, 5, v0
	buffer_store_dwordx4 v[2:5], v6, s[8:11], 0 offen
	;;#ASMSTART
	s_nop 0
	;;#ASMEND
	s_nop 0
	v_perm_b32 v5, v21, v20, s16
	v_perm_b32 v4, v23, v22, s16
	;; [unrolled: 1-line block ×4, first 2 shown]
	buffer_store_dwordx4 v[2:5], v6, s[8:11], 16 offen
	;;#ASMSTART
	s_nop 0
	;;#ASMEND
	s_nop 0
	v_mov_b32_e32 v2, 0x2edbe6ff
.LBB922_18:
	s_or_b64 exec, exec, s[14:15]
	s_and_saveexec_b64 s[8:9], s[2:3]
	s_cbranch_execz .LBB922_20
; %bb.19:
	v_and_b32_e32 v3, 0x7fffffff, v18
	v_and_b32_e32 v4, 0x7fffffff, v19
	;;#ASMSTART
	v_max3_f32 v2, v2, v3, v4

	;;#ASMEND
	v_and_b32_e32 v3, 0x7fffffff, v32
	v_and_b32_e32 v4, 0x7fffffff, v33
	;;#ASMSTART
	v_max3_f32 v2, v2, v3, v4

	;;#ASMEND
	;; [unrolled: 6-line block ×8, first 2 shown]
.LBB922_20:
	s_or_b64 exec, exec, s[8:9]
	;;#ASMSTART
	v_max_f32 v3, v2, v2 quad_perm:[1,0,3,2] row_mask:0xf bank_mask:0xf bound_ctrl:1
	;;#ASMEND
	;;#ASMSTART
	v_max_f32 v2, v3, v3 quad_perm:[2,3,0,1] row_mask:0xf bank_mask:0xf bound_ctrl:1
	;;#ASMEND
	v_cmp_eq_u32_e32 vcc, 0, v10
	v_cmp_gt_i32_e64 s[8:9], s19, v1
	;;#ASMSTART
	v_max_f32 v3, v2, v2 row_half_mirror row_mask:0xf bank_mask:0xf bound_ctrl:1
	;;#ASMEND
	v_mul_f32_e32 v2, 0x3b124925, v3
	s_and_b64 s[10:11], vcc, s[8:9]
	s_and_saveexec_b64 s[8:9], s[10:11]
	s_cbranch_execz .LBB922_22
; %bb.21:
	s_load_dwordx2 s[10:11], s[4:5], 0x8
	s_waitcnt lgkmcnt(0)
	s_mul_hi_i32 s15, s25, s6
	s_mul_i32 s14, s25, s6
	v_lshrrev_b32_e32 v3, 3, v0
	s_lshl_b64 s[14:15], s[14:15], 2
	v_mad_i64_i32 v[4:5], s[26:27], s26, v3, 0
	s_add_u32 s10, s10, s14
	s_addc_u32 s11, s11, s15
	v_lshlrev_b64 v[4:5], 2, v[4:5]
	v_mov_b32_e32 v3, s11
	v_add_co_u32_e32 v4, vcc, s10, v4
	v_addc_co_u32_e32 v5, vcc, v3, v5, vcc
	global_store_dword v[4:5], v2, off
.LBB922_22:
	s_or_b64 exec, exec, s[8:9]
	;;#ASMSTART
	v_rcp_f32 v2, v2
	;;#ASMEND
	s_and_saveexec_b64 s[14:15], s[2:3]
	s_cbranch_execz .LBB922_24
; %bb.23:
	s_load_dwordx2 s[2:3], s[4:5], 0x0
	s_waitcnt lgkmcnt(0)
	s_mul_i32 s8, s24, s6
	s_mul_hi_i32 s9, s24, s6
	v_mov_b32_e32 v3, v2
	;;#ASMSTART
	v_pk_mul_f32 v[4:5], v[18:19], v[2:3]
	;;#ASMEND
	s_add_u32 s8, s2, s8
	s_addc_u32 s2, s3, s9
	s_add_i32 s3, s19, 3
	s_ashr_i32 s10, s3, 31
	v_mov_b32_e32 v10, 0xc3e00000
	v_mov_b32_e32 v11, 0x43e00000
	;;#ASMSTART
	v_med3_f32 v4, v4, v10, v11
v_med3_f32 v5, v5, v10, v11
v_cvt_pk_fp8_f32 v6, v4, v5
	;;#ASMEND
	s_and_b32 s9, s2, 0xffff
	s_lshr_b32 s2, s10, 30
	;;#ASMSTART
	v_pk_mul_f32 v[4:5], v[32:33], v[2:3]
	;;#ASMEND
	s_add_i32 s3, s3, s2
	;;#ASMSTART
	v_med3_f32 v4, v4, v10, v11
v_med3_f32 v5, v5, v10, v11
v_cvt_pk_fp8_f32 v7, v4, v5
	;;#ASMEND
	s_mov_b32 s2, 0x5040100
	v_perm_b32 v4, v7, v6, s2
	s_mov_b32 s2, 0x1060504
	v_perm_b32 v4, v4, v7, s2
	;;#ASMSTART
	v_pk_mul_f32 v[6:7], v[26:27], v[2:3]
	;;#ASMEND
	v_mov_b32_e32 v5, v7
	;;#ASMSTART
	v_med3_f32 v6, v6, v10, v11
v_med3_f32 v5, v5, v10, v11
v_cvt_pk_fp8_f32 v8, v6, v5
	;;#ASMEND
	;;#ASMSTART
	v_pk_mul_f32 v[6:7], v[30:31], v[2:3]
	;;#ASMEND
	v_mov_b32_e32 v5, v6
	;;#ASMSTART
	v_med3_f32 v5, v5, v10, v11
v_med3_f32 v7, v7, v10, v11
v_cvt_pk_fp8_f32 v6, v5, v7
	;;#ASMEND
	s_mov_b32 s2, 0x1000504
	v_perm_b32 v5, v8, v6, s2
	;;#ASMSTART
	v_pk_mul_f32 v[6:7], v[24:25], v[2:3]
	;;#ASMEND
	;;#ASMSTART
	v_med3_f32 v6, v6, v10, v11
v_med3_f32 v7, v7, v10, v11
v_cvt_pk_fp8_f32 v8, v6, v7
	;;#ASMEND
	;;#ASMSTART
	v_pk_mul_f32 v[6:7], v[28:29], v[2:3]
	;;#ASMEND
	;;#ASMSTART
	v_med3_f32 v6, v6, v10, v11
v_med3_f32 v7, v7, v10, v11
v_cvt_pk_fp8_f32 v9, v6, v7
	;;#ASMEND
	v_perm_b32 v6, v8, v9, s2
	;;#ASMSTART
	v_pk_mul_f32 v[8:9], v[22:23], v[2:3]
	;;#ASMEND
	v_mov_b32_e32 v7, v9
	;;#ASMSTART
	v_med3_f32 v8, v8, v10, v11
v_med3_f32 v7, v7, v10, v11
v_cvt_pk_fp8_f32 v9, v8, v7
	;;#ASMEND
	;;#ASMSTART
	v_pk_mul_f32 v[2:3], v[20:21], v[2:3]
	;;#ASMEND
	;;#ASMSTART
	v_med3_f32 v2, v2, v10, v11
v_med3_f32 v3, v3, v10, v11
v_cvt_pk_fp8_f32 v7, v2, v3
	;;#ASMEND
	s_and_b32 s10, s3, -4
	s_mov_b32 s11, 0x20000
	v_perm_b32 v7, v9, v7, s2
	buffer_store_dwordx4 v[4:7], v1, s[8:11], 0 offen
	;;#ASMSTART
	s_nop 0
	;;#ASMEND
.LBB922_24:
	s_or_b64 exec, exec, s[14:15]
	s_cmp_lt_i32 s20, 1
	s_cbranch_scc1 .LBB922_12
.LBB922_25:
	s_load_dword s2, s[4:5], 0x94
	s_waitcnt lgkmcnt(0)
	s_cmp_lg_u32 s2, 1
	s_cbranch_scc1 .LBB922_12
; %bb.26:
	s_lshl_b32 s2, s20, 1
	s_add_i32 s2, s2, 2
	v_cmp_gt_u32_e32 vcc, s20, v1
	s_and_b32 s14, s2, -4
	v_mov_b32_e32 v18, 0
	v_lshlrev_b32_e32 v1, 5, v0
	v_mov_b32_e32 v14, 0
	v_mov_b32_e32 v15, 0
	;; [unrolled: 1-line block ×8, first 2 shown]
	s_waitcnt vmcnt(1)
	v_mov_b32_e32 v6, 0
	v_mov_b32_e32 v7, 0
	;; [unrolled: 1-line block ×4, first 2 shown]
	s_waitcnt vmcnt(0)
	v_mov_b32_e32 v2, 0
	v_mov_b32_e32 v3, 0
	;; [unrolled: 1-line block ×4, first 2 shown]
	s_barrier
	s_and_saveexec_b64 s[2:3], vcc
	s_cbranch_execz .LBB922_28
; %bb.27:
	s_mul_hi_i32 s5, s22, s6
	s_mul_i32 s4, s22, s6
	s_and_b32 s13, s13, 0xffff
	s_lshl_b64 s[4:5], s[4:5], 1
	s_add_u32 s8, s30, s4
	s_mov_b32 s15, 0x20000
	s_addc_u32 s4, s31, s5
	s_and_b32 s9, s4, 0xffff
	s_mov_b32 s10, s14
	s_mov_b32 s11, s15
	buffer_load_dwordx4 v[14:17], v1, s[8:11], 0 offen
	buffer_load_dwordx4 v[10:13], v1, s[8:11], 16 offen
	;; [unrolled: 1-line block ×4, first 2 shown]
.LBB922_28:
	s_or_b64 exec, exec, s[2:3]
	v_mov_b32_e32 v19, 0
	v_mov_b32_e32 v32, 0
	v_mov_b32_e32 v33, 0
	v_mov_b32_e32 v30, 0
	v_mov_b32_e32 v31, 0
	v_mov_b32_e32 v28, 0
	v_mov_b32_e32 v29, 0
	v_mov_b32_e32 v26, 0
	v_mov_b32_e32 v27, 0
	v_mov_b32_e32 v24, 0
	v_mov_b32_e32 v25, 0
	v_mov_b32_e32 v22, 0
	v_mov_b32_e32 v23, 0
	v_mov_b32_e32 v20, 0
	v_mov_b32_e32 v21, 0
	s_and_saveexec_b64 s[2:3], vcc
	s_cbranch_execz .LBB922_30
; %bb.29:
	s_waitcnt vmcnt(3)
	v_cvt_f32_u32_sdwa v18, v14 dst_sel:DWORD dst_unused:UNUSED_PAD src0_sel:WORD_0
	v_cvt_f32_u32_sdwa v19, v14 dst_sel:DWORD dst_unused:UNUSED_PAD src0_sel:WORD_1
	v_cvt_f32_u32_sdwa v32, v15 dst_sel:DWORD dst_unused:UNUSED_PAD src0_sel:WORD_0
	v_cvt_f32_u32_sdwa v33, v15 dst_sel:DWORD dst_unused:UNUSED_PAD src0_sel:WORD_1
	;; [unrolled: 2-line block ×4, first 2 shown]
	s_waitcnt vmcnt(2)
	v_cvt_f32_u32_sdwa v26, v10 dst_sel:DWORD dst_unused:UNUSED_PAD src0_sel:WORD_0
	v_cvt_f32_u32_sdwa v27, v10 dst_sel:DWORD dst_unused:UNUSED_PAD src0_sel:WORD_1
	v_cvt_f32_u32_sdwa v24, v11 dst_sel:DWORD dst_unused:UNUSED_PAD src0_sel:WORD_0
	v_cvt_f32_u32_sdwa v25, v11 dst_sel:DWORD dst_unused:UNUSED_PAD src0_sel:WORD_1
	v_cvt_f32_u32_sdwa v22, v12 dst_sel:DWORD dst_unused:UNUSED_PAD src0_sel:WORD_0
	v_cvt_f32_u32_sdwa v23, v12 dst_sel:DWORD dst_unused:UNUSED_PAD src0_sel:WORD_1
	v_cvt_f32_u32_sdwa v20, v13 dst_sel:DWORD dst_unused:UNUSED_PAD src0_sel:WORD_0
	v_cvt_f32_u32_sdwa v21, v13 dst_sel:DWORD dst_unused:UNUSED_PAD src0_sel:WORD_1
.LBB922_30:
	s_or_b64 exec, exec, s[2:3]
	s_waitcnt vmcnt(2)
	v_mul_f32_e32 v10, v19, v19
	v_fmac_f32_e32 v10, v18, v18
	v_fmac_f32_e32 v10, v32, v32
	;; [unrolled: 1-line block ×15, first 2 shown]
	s_nop 1
	v_mov_b32_dpp v11, v10 quad_perm:[1,0,3,2] row_mask:0xf bank_mask:0xf
	v_add_f32_e32 v10, v10, v11
	s_nop 1
	v_mov_b32_dpp v11, v10 quad_perm:[2,3,0,1] row_mask:0xf bank_mask:0xf
	v_add_f32_e32 v10, v10, v11
	s_nop 1
	v_mov_b32_dpp v11, v10 row_half_mirror row_mask:0xf bank_mask:0xf
	v_add_f32_e32 v10, v10, v11
	s_nop 1
	v_mov_b32_dpp v11, v10 row_mirror row_mask:0xf bank_mask:0xf
	v_add_f32_e32 v10, v10, v11
	s_nop 1
	v_mov_b32_dpp v11, v10 row_bcast:15 row_mask:0xf bank_mask:0xf
	v_add_f32_e32 v10, v10, v11
	s_nop 1
	v_mov_b32_dpp v11, v10 row_bcast:31 row_mask:0xf bank_mask:0xf
	s_and_saveexec_b64 s[2:3], s[0:1]
	s_cbranch_execz .LBB922_32
; %bb.31:
	v_lshrrev_b32_e32 v0, 4, v0
	v_add_f32_e32 v10, v10, v11
	v_and_b32_e32 v0, 60, v0
	ds_write_b32 v0, v10
.LBB922_32:
	s_or_b64 exec, exec, s[2:3]
	s_waitcnt lgkmcnt(0)
	s_barrier
	ds_read_b32 v0, v34
	s_waitcnt lgkmcnt(0)
	s_nop 0
	v_mov_b32_dpp v10, v0 quad_perm:[1,0,3,2] row_mask:0xf bank_mask:0xf
	v_add_f32_e32 v0, v0, v10
	s_nop 1
	v_mov_b32_dpp v10, v0 quad_perm:[2,3,0,1] row_mask:0xf bank_mask:0xf
	v_add_f32_e32 v0, v0, v10
	s_nop 1
	v_mov_b32_dpp v10, v0 row_half_mirror row_mask:0xf bank_mask:0xf
	s_and_saveexec_b64 s[0:1], vcc
	s_cbranch_execz .LBB922_12
; %bb.33:
	v_cvt_f32_u32_e32 v11, s20
	v_add_f32_e32 v0, v0, v10
	s_mov_b32 s15, 0x20000
	v_div_scale_f32 v10, s[0:1], v11, v11, v0
	v_rcp_f32_e32 v12, v10
	v_div_scale_f32 v13, vcc, v0, v11, v0
	s_mov_b32 s0, 0x800000
	v_fma_f32 v14, -v10, v12, 1.0
	v_fmac_f32_e32 v12, v14, v12
	v_mul_f32_e32 v14, v13, v12
	v_fma_f32 v15, -v10, v14, v13
	v_fmac_f32_e32 v14, v15, v12
	v_fma_f32 v10, -v10, v14, v13
	v_div_fmas_f32 v10, v10, v12, v14
	v_div_fixup_f32 v0, v10, v11, v0
	v_add_f32_e32 v0, s17, v0
	v_mul_f32_e32 v10, 0x4b800000, v0
	v_cmp_gt_f32_e32 vcc, s0, v0
	v_cndmask_b32_e32 v0, v0, v10, vcc
	v_rsq_f32_e32 v0, v0
	s_mul_hi_i32 s1, s7, s6
	s_mul_i32 s0, s7, s6
	s_lshl_b64 s[0:1], s[0:1], 1
	v_mul_f32_e32 v10, 0x45800000, v0
	v_cndmask_b32_e32 v10, v0, v10, vcc
	v_mov_b32_e32 v11, v10
	;;#ASMSTART
	v_pk_mul_f32 v[12:13], v[18:19], v[10:11]
	;;#ASMEND
	;;#ASMSTART
	v_pk_mul_f32 v[14:15], v[32:33], v[10:11]
	;;#ASMEND
	;; [unrolled: 3-line block ×4, first 2 shown]
	s_waitcnt vmcnt(1)
	v_cvt_f32_u32_sdwa v29, v6 dst_sel:DWORD dst_unused:UNUSED_PAD src0_sel:WORD_1
	v_cvt_f32_u32_sdwa v28, v6 dst_sel:DWORD dst_unused:UNUSED_PAD src0_sel:WORD_0
	v_cvt_f32_u32_sdwa v31, v7 dst_sel:DWORD dst_unused:UNUSED_PAD src0_sel:WORD_1
	v_cvt_f32_u32_sdwa v30, v7 dst_sel:DWORD dst_unused:UNUSED_PAD src0_sel:WORD_0
	;;#ASMSTART
	v_pk_mul_f32 v[26:27], v[26:27], v[10:11]
	;;#ASMEND
	;;#ASMSTART
	v_pk_mul_f32 v[24:25], v[24:25], v[10:11]
	;;#ASMEND
	;;#ASMSTART
	v_pk_mul_f32 v[22:23], v[22:23], v[10:11]
	;;#ASMEND
	;;#ASMSTART
	v_pk_mul_f32 v[6:7], v[20:21], v[10:11]
	;;#ASMEND
	v_cvt_f32_u32_sdwa v21, v8 dst_sel:DWORD dst_unused:UNUSED_PAD src0_sel:WORD_1
	v_cvt_f32_u32_sdwa v20, v8 dst_sel:DWORD dst_unused:UNUSED_PAD src0_sel:WORD_0
	v_pk_add_f32 v[10:11], v[28:29], 1.0 op_sel_hi:[1,0]
	;;#ASMSTART
	v_pk_mul_f32 v[10:11], v[12:13], v[10:11]
	;;#ASMEND
	v_pk_add_f32 v[12:13], v[30:31], 1.0 op_sel_hi:[1,0]
	v_cvt_f32_u32_sdwa v29, v9 dst_sel:DWORD dst_unused:UNUSED_PAD src0_sel:WORD_1
	v_cvt_f32_u32_sdwa v28, v9 dst_sel:DWORD dst_unused:UNUSED_PAD src0_sel:WORD_0
	;;#ASMSTART
	v_pk_mul_f32 v[8:9], v[14:15], v[12:13]
	;;#ASMEND
	v_pk_add_f32 v[12:13], v[20:21], 1.0 op_sel_hi:[1,0]
	;;#ASMSTART
	v_pk_mul_f32 v[12:13], v[16:17], v[12:13]
	;;#ASMEND
	s_waitcnt vmcnt(0)
	v_cvt_f32_u32_sdwa v17, v2 dst_sel:DWORD dst_unused:UNUSED_PAD src0_sel:WORD_1
	v_cvt_f32_u32_sdwa v16, v2 dst_sel:DWORD dst_unused:UNUSED_PAD src0_sel:WORD_0
	v_cvt_f32_u32_sdwa v21, v3 dst_sel:DWORD dst_unused:UNUSED_PAD src0_sel:WORD_1
	v_cvt_f32_u32_sdwa v20, v3 dst_sel:DWORD dst_unused:UNUSED_PAD src0_sel:WORD_0
	v_pk_add_f32 v[14:15], v[28:29], 1.0 op_sel_hi:[1,0]
	;;#ASMSTART
	v_pk_mul_f32 v[14:15], v[18:19], v[14:15]
	;;#ASMEND
	v_pk_add_f32 v[2:3], v[16:17], 1.0 op_sel_hi:[1,0]
	v_cvt_f32_u32_sdwa v19, v4 dst_sel:DWORD dst_unused:UNUSED_PAD src0_sel:WORD_1
	v_cvt_f32_u32_sdwa v18, v4 dst_sel:DWORD dst_unused:UNUSED_PAD src0_sel:WORD_0
	;;#ASMSTART
	v_pk_mul_f32 v[16:17], v[26:27], v[2:3]
	;;#ASMEND
	v_pk_add_f32 v[2:3], v[20:21], 1.0 op_sel_hi:[1,0]
	v_cvt_f32_u32_sdwa v21, v5 dst_sel:DWORD dst_unused:UNUSED_PAD src0_sel:WORD_1
	v_cvt_f32_u32_sdwa v20, v5 dst_sel:DWORD dst_unused:UNUSED_PAD src0_sel:WORD_0
	s_add_u32 s12, s28, s0
	;;#ASMSTART
	v_pk_mul_f32 v[24:25], v[24:25], v[2:3]
	;;#ASMEND
	v_pk_add_f32 v[2:3], v[18:19], 1.0 op_sel_hi:[1,0]
	s_addc_u32 s0, s29, s1
	;;#ASMSTART
	v_pk_mul_f32 v[18:19], v[22:23], v[2:3]
	;;#ASMEND
	v_pk_add_f32 v[2:3], v[20:21], 1.0 op_sel_hi:[1,0]
	s_and_b32 s13, s0, 0xffff
	s_mov_b32 s0, 0x7060302
	;;#ASMSTART
	v_pk_mul_f32 v[6:7], v[6:7], v[2:3]
	;;#ASMEND
	v_perm_b32 v2, v11, v10, s0
	v_perm_b32 v3, v9, v8, s0
	;; [unrolled: 1-line block ×4, first 2 shown]
	buffer_store_dwordx4 v[2:5], v1, s[12:15], 0 offen
	;;#ASMSTART
	s_nop 0
	;;#ASMEND
	s_nop 0
	v_perm_b32 v2, v17, v16, s0
	v_perm_b32 v3, v25, v24, s0
	;; [unrolled: 1-line block ×4, first 2 shown]
	buffer_store_dwordx4 v[2:5], v1, s[12:15], 16 offen
	;;#ASMSTART
	s_nop 0
	;;#ASMEND
	s_endpgm
	.section	.rodata,"a",@progbits
	.p2align	6, 0x0
	.amdhsa_kernel _ZN5aiter35fused_qk_rmsnorm_group_quant_kernelItDB8_Li512ELi16ELi8ELb0ELb1ELb1ELb0ELb0ELb0EEEvPT0_PvPT_S6_S6_PKS5_S8_S8_S8_S8_ffiiiiiiiiiiiii
		.amdhsa_group_segment_fixed_size 64
		.amdhsa_private_segment_fixed_size 0
		.amdhsa_kernarg_size 400
		.amdhsa_user_sgpr_count 6
		.amdhsa_user_sgpr_private_segment_buffer 1
		.amdhsa_user_sgpr_dispatch_ptr 0
		.amdhsa_user_sgpr_queue_ptr 0
		.amdhsa_user_sgpr_kernarg_segment_ptr 1
		.amdhsa_user_sgpr_dispatch_id 0
		.amdhsa_user_sgpr_flat_scratch_init 0
		.amdhsa_user_sgpr_kernarg_preload_length 0
		.amdhsa_user_sgpr_kernarg_preload_offset 0
		.amdhsa_user_sgpr_private_segment_size 0
		.amdhsa_uses_dynamic_stack 0
		.amdhsa_system_sgpr_private_segment_wavefront_offset 0
		.amdhsa_system_sgpr_workgroup_id_x 1
		.amdhsa_system_sgpr_workgroup_id_y 1
		.amdhsa_system_sgpr_workgroup_id_z 0
		.amdhsa_system_sgpr_workgroup_info 0
		.amdhsa_system_vgpr_workitem_id 0
		.amdhsa_next_free_vgpr 36
		.amdhsa_next_free_sgpr 36
		.amdhsa_accum_offset 36
		.amdhsa_reserve_vcc 1
		.amdhsa_reserve_flat_scratch 0
		.amdhsa_float_round_mode_32 0
		.amdhsa_float_round_mode_16_64 0
		.amdhsa_float_denorm_mode_32 3
		.amdhsa_float_denorm_mode_16_64 3
		.amdhsa_dx10_clamp 1
		.amdhsa_ieee_mode 1
		.amdhsa_fp16_overflow 0
		.amdhsa_tg_split 0
		.amdhsa_exception_fp_ieee_invalid_op 0
		.amdhsa_exception_fp_denorm_src 0
		.amdhsa_exception_fp_ieee_div_zero 0
		.amdhsa_exception_fp_ieee_overflow 0
		.amdhsa_exception_fp_ieee_underflow 0
		.amdhsa_exception_fp_ieee_inexact 0
		.amdhsa_exception_int_div_zero 0
	.end_amdhsa_kernel
	.section	.text._ZN5aiter35fused_qk_rmsnorm_group_quant_kernelItDB8_Li512ELi16ELi8ELb0ELb1ELb1ELb0ELb0ELb0EEEvPT0_PvPT_S6_S6_PKS5_S8_S8_S8_S8_ffiiiiiiiiiiiii,"axG",@progbits,_ZN5aiter35fused_qk_rmsnorm_group_quant_kernelItDB8_Li512ELi16ELi8ELb0ELb1ELb1ELb0ELb0ELb0EEEvPT0_PvPT_S6_S6_PKS5_S8_S8_S8_S8_ffiiiiiiiiiiiii,comdat
.Lfunc_end922:
	.size	_ZN5aiter35fused_qk_rmsnorm_group_quant_kernelItDB8_Li512ELi16ELi8ELb0ELb1ELb1ELb0ELb0ELb0EEEvPT0_PvPT_S6_S6_PKS5_S8_S8_S8_S8_ffiiiiiiiiiiiii, .Lfunc_end922-_ZN5aiter35fused_qk_rmsnorm_group_quant_kernelItDB8_Li512ELi16ELi8ELb0ELb1ELb1ELb0ELb0ELb0EEEvPT0_PvPT_S6_S6_PKS5_S8_S8_S8_S8_ffiiiiiiiiiiiii
                                        ; -- End function
	.section	.AMDGPU.csdata,"",@progbits
; Kernel info:
; codeLenInByte = 3784
; NumSgprs: 40
; NumVgprs: 36
; NumAgprs: 0
; TotalNumVgprs: 36
; ScratchSize: 0
; MemoryBound: 0
; FloatMode: 240
; IeeeMode: 1
; LDSByteSize: 64 bytes/workgroup (compile time only)
; SGPRBlocks: 4
; VGPRBlocks: 4
; NumSGPRsForWavesPerEU: 40
; NumVGPRsForWavesPerEU: 36
; AccumOffset: 36
; Occupancy: 8
; WaveLimiterHint : 0
; COMPUTE_PGM_RSRC2:SCRATCH_EN: 0
; COMPUTE_PGM_RSRC2:USER_SGPR: 6
; COMPUTE_PGM_RSRC2:TRAP_HANDLER: 0
; COMPUTE_PGM_RSRC2:TGID_X_EN: 1
; COMPUTE_PGM_RSRC2:TGID_Y_EN: 1
; COMPUTE_PGM_RSRC2:TGID_Z_EN: 0
; COMPUTE_PGM_RSRC2:TIDIG_COMP_CNT: 0
; COMPUTE_PGM_RSRC3_GFX90A:ACCUM_OFFSET: 8
; COMPUTE_PGM_RSRC3_GFX90A:TG_SPLIT: 0
	.section	.text._ZN5aiter35fused_qk_rmsnorm_group_quant_kernelIDF16_N4opus5fp4_tELi512ELi16ELi8ELb0ELb1ELb1ELb0ELb0ELb0EEEvPT0_PvPT_S7_S7_PKS6_S9_S9_S9_S9_ffiiiiiiiiiiiii,"axG",@progbits,_ZN5aiter35fused_qk_rmsnorm_group_quant_kernelIDF16_N4opus5fp4_tELi512ELi16ELi8ELb0ELb1ELb1ELb0ELb0ELb0EEEvPT0_PvPT_S7_S7_PKS6_S9_S9_S9_S9_ffiiiiiiiiiiiii,comdat
	.protected	_ZN5aiter35fused_qk_rmsnorm_group_quant_kernelIDF16_N4opus5fp4_tELi512ELi16ELi8ELb0ELb1ELb1ELb0ELb0ELb0EEEvPT0_PvPT_S7_S7_PKS6_S9_S9_S9_S9_ffiiiiiiiiiiiii ; -- Begin function _ZN5aiter35fused_qk_rmsnorm_group_quant_kernelIDF16_N4opus5fp4_tELi512ELi16ELi8ELb0ELb1ELb1ELb0ELb0ELb0EEEvPT0_PvPT_S7_S7_PKS6_S9_S9_S9_S9_ffiiiiiiiiiiiii
	.globl	_ZN5aiter35fused_qk_rmsnorm_group_quant_kernelIDF16_N4opus5fp4_tELi512ELi16ELi8ELb0ELb1ELb1ELb0ELb0ELb0EEEvPT0_PvPT_S7_S7_PKS6_S9_S9_S9_S9_ffiiiiiiiiiiiii
	.p2align	8
	.type	_ZN5aiter35fused_qk_rmsnorm_group_quant_kernelIDF16_N4opus5fp4_tELi512ELi16ELi8ELb0ELb1ELb1ELb0ELb0ELb0EEEvPT0_PvPT_S7_S7_PKS6_S9_S9_S9_S9_ffiiiiiiiiiiiii,@function
_ZN5aiter35fused_qk_rmsnorm_group_quant_kernelIDF16_N4opus5fp4_tELi512ELi16ELi8ELb0ELb1ELb1ELb0ELb0ELb0EEEvPT0_PvPT_S7_S7_PKS6_S9_S9_S9_S9_ffiiiiiiiiiiiii: ; @_ZN5aiter35fused_qk_rmsnorm_group_quant_kernelIDF16_N4opus5fp4_tELi512ELi16ELi8ELb0ELb1ELb1ELb0ELb0ELb0EEEvPT0_PvPT_S7_S7_PKS6_S9_S9_S9_S9_ffiiiiiiiiiiiii
; %bb.0:
	s_load_dwordx4 s[16:19], s[4:5], 0x50
	s_waitcnt lgkmcnt(0)
	s_cmp_ge_i32 s6, s18
	s_cbranch_scc1 .LBB923_12
; %bb.1:
	s_load_dwordx2 s[12:13], s[4:5], 0x48
	s_load_dwordx2 s[30:31], s[4:5], 0x30
	s_load_dwordx4 s[20:23], s[4:5], 0x60
	s_cmp_lg_u32 s7, 0
	s_cselect_b64 s[14:15], -1, 0
	s_cmp_eq_u32 s7, 0
	s_cselect_b64 vcc, -1, 0
	s_and_b64 s[0:1], vcc, exec
	s_waitcnt lgkmcnt(0)
	s_cselect_b32 s7, s19, s20
	s_add_i32 s0, s7, 1
	s_lshr_b32 s1, s0, 31
	s_add_i32 s0, s0, s1
	s_lshl_b32 s0, s0, 1
	v_lshlrev_b32_e32 v1, 4, v0
	s_and_b32 s10, s0, -4
	v_cmp_gt_i32_e64 s[2:3], s7, v1
	v_mov_b32_e32 v18, 0
	v_mov_b32_e32 v6, 0
	;; [unrolled: 1-line block ×17, first 2 shown]
	s_and_saveexec_b64 s[0:1], s[2:3]
	s_cbranch_execz .LBB923_3
; %bb.2:
	s_load_dwordx2 s[8:9], s[4:5], 0x28
	s_load_dwordx2 s[26:27], s[4:5], 0x40
	s_and_b64 s[24:25], vcc, exec
	s_cselect_b32 s11, s21, s22
	v_lshlrev_b32_e32 v19, 5, v0
	s_waitcnt lgkmcnt(0)
	s_cselect_b32 s18, s9, s31
	s_cselect_b32 s21, s8, s30
	s_mul_hi_i32 s9, s11, s6
	s_mul_i32 s8, s11, s6
	s_lshl_b64 s[8:9], s[8:9], 1
	s_add_u32 s24, s21, s8
	s_addc_u32 s18, s18, s9
	s_and_b64 s[8:9], vcc, exec
	s_mov_b32 s11, 0x20000
	s_cselect_b32 s8, s26, s12
	s_cselect_b32 s9, s27, s13
	s_and_b32 s25, s18, 0xffff
	s_mov_b32 s26, s10
	s_mov_b32 s27, s11
	s_and_b32 s9, s9, 0xffff
	buffer_load_dwordx4 v[14:17], v19, s[24:27], 0 offen
	buffer_load_dwordx4 v[10:13], v19, s[24:27], 16 offen
	;; [unrolled: 1-line block ×4, first 2 shown]
.LBB923_3:
	s_or_b64 exec, exec, s[0:1]
	v_mov_b32_e32 v19, 0
	v_mov_b32_e32 v22, 0
	v_mov_b32_e32 v23, 0
	v_mov_b32_e32 v20, 0
	v_mov_b32_e32 v21, 0
	v_mov_b32_e32 v28, 0
	v_mov_b32_e32 v29, 0
	v_mov_b32_e32 v26, 0
	v_mov_b32_e32 v27, 0
	v_mov_b32_e32 v32, 0
	v_mov_b32_e32 v33, 0
	v_mov_b32_e32 v30, 0
	v_mov_b32_e32 v31, 0
	v_mov_b32_e32 v24, 0
	v_mov_b32_e32 v25, 0
	s_and_saveexec_b64 s[0:1], s[2:3]
	s_cbranch_execz .LBB923_5
; %bb.4:
	s_waitcnt vmcnt(3)
	v_cvt_f32_f16_sdwa v19, v14 dst_sel:DWORD dst_unused:UNUSED_PAD src0_sel:WORD_1
	v_cvt_f32_f16_e32 v18, v14
	v_cvt_f32_f16_sdwa v23, v15 dst_sel:DWORD dst_unused:UNUSED_PAD src0_sel:WORD_1
	v_cvt_f32_f16_e32 v22, v15
	;; [unrolled: 2-line block ×4, first 2 shown]
	s_waitcnt vmcnt(2)
	v_cvt_f32_f16_sdwa v27, v10 dst_sel:DWORD dst_unused:UNUSED_PAD src0_sel:WORD_1
	v_cvt_f32_f16_e32 v26, v10
	v_cvt_f32_f16_sdwa v33, v11 dst_sel:DWORD dst_unused:UNUSED_PAD src0_sel:WORD_1
	v_cvt_f32_f16_e32 v32, v11
	;; [unrolled: 2-line block ×4, first 2 shown]
.LBB923_5:
	s_or_b64 exec, exec, s[0:1]
	s_waitcnt vmcnt(2)
	v_mul_f32_e32 v10, v19, v19
	v_fmac_f32_e32 v10, v18, v18
	v_fmac_f32_e32 v10, v22, v22
	;; [unrolled: 1-line block ×15, first 2 shown]
	v_and_b32_e32 v12, 63, v0
	v_cmp_eq_u32_e64 s[0:1], 63, v12
	v_mov_b32_dpp v11, v10 quad_perm:[1,0,3,2] row_mask:0xf bank_mask:0xf
	v_add_f32_e32 v10, v10, v11
	s_nop 1
	v_mov_b32_dpp v11, v10 quad_perm:[2,3,0,1] row_mask:0xf bank_mask:0xf
	v_add_f32_e32 v10, v10, v11
	s_nop 1
	v_mov_b32_dpp v11, v10 row_half_mirror row_mask:0xf bank_mask:0xf
	v_add_f32_e32 v10, v10, v11
	s_nop 1
	v_mov_b32_dpp v11, v10 row_mirror row_mask:0xf bank_mask:0xf
	v_add_f32_e32 v10, v10, v11
	s_nop 1
	v_mov_b32_dpp v11, v10 row_bcast:15 row_mask:0xf bank_mask:0xf
	v_add_f32_e32 v10, v10, v11
	s_nop 1
	v_mov_b32_dpp v11, v10 row_bcast:31 row_mask:0xf bank_mask:0xf
	s_and_saveexec_b64 s[8:9], s[0:1]
	s_cbranch_execz .LBB923_7
; %bb.6:
	v_add_f32_e32 v10, v10, v11
	v_lshrrev_b32_e32 v11, 4, v0
	v_and_b32_e32 v11, 60, v11
	ds_write_b32 v11, v10 offset:32
.LBB923_7:
	s_or_b64 exec, exec, s[8:9]
	v_and_b32_e32 v10, 7, v0
	v_lshlrev_b32_e32 v34, 2, v10
	s_waitcnt lgkmcnt(0)
	s_barrier
	ds_read_b32 v11, v34 offset:32
	s_load_dwordx2 s[28:29], s[4:5], 0x18
	s_waitcnt lgkmcnt(0)
	v_mov_b32_dpp v12, v11 quad_perm:[1,0,3,2] row_mask:0xf bank_mask:0xf
	v_add_f32_e32 v11, v11, v12
	s_nop 1
	v_mov_b32_dpp v12, v11 quad_perm:[2,3,0,1] row_mask:0xf bank_mask:0xf
	v_add_f32_e32 v11, v11, v12
	s_nop 1
	v_mov_b32_dpp v12, v11 row_half_mirror row_mask:0xf bank_mask:0xf
	s_and_saveexec_b64 s[8:9], s[2:3]
	s_cbranch_execz .LBB923_9
; %bb.8:
	v_cvt_f32_u32_e32 v13, s7
	v_add_f32_e32 v11, v11, v12
	v_mov_b32_e32 v15, s17
	v_mov_b32_e32 v16, s16
	v_div_scale_f32 v12, s[24:25], v13, v13, v11
	v_rcp_f32_e32 v14, v12
	v_cndmask_b32_e32 v15, v15, v16, vcc
	s_mov_b32 s7, 0x800000
	v_fma_f32 v16, -v12, v14, 1.0
	v_fmac_f32_e32 v14, v16, v14
	v_div_scale_f32 v16, vcc, v11, v13, v11
	v_mul_f32_e32 v17, v16, v14
	v_fma_f32 v35, -v12, v17, v16
	v_fmac_f32_e32 v17, v35, v14
	v_fma_f32 v12, -v12, v17, v16
	v_div_fmas_f32 v12, v12, v14, v17
	v_div_fixup_f32 v11, v12, v13, v11
	v_add_f32_e32 v11, v15, v11
	v_mul_f32_e32 v12, 0x4b800000, v11
	v_cmp_gt_f32_e32 vcc, s7, v11
	v_cndmask_b32_e32 v11, v11, v12, vcc
	v_rsq_f32_e32 v11, v11
	v_mul_f32_e32 v12, 0x45800000, v11
	v_cndmask_b32_e32 v12, v11, v12, vcc
	v_mov_b32_e32 v13, v12
	;;#ASMSTART
	v_pk_mul_f32 v[14:15], v[18:19], v[12:13]
	;;#ASMEND
	s_waitcnt vmcnt(1)
	v_cvt_f32_f16_sdwa v19, v6 dst_sel:DWORD dst_unused:UNUSED_PAD src0_sel:WORD_1
	v_cvt_f32_f16_e32 v18, v6
	;;#ASMSTART
	v_pk_mul_f32 v[16:17], v[22:23], v[12:13]
	;;#ASMEND
	v_cvt_f32_f16_sdwa v23, v7 dst_sel:DWORD dst_unused:UNUSED_PAD src0_sel:WORD_1
	v_cvt_f32_f16_e32 v22, v7
	;;#ASMSTART
	v_pk_mul_f32 v[20:21], v[20:21], v[12:13]
	;;#ASMEND
	;;#ASMSTART
	v_pk_mul_f32 v[28:29], v[28:29], v[12:13]
	;;#ASMEND
	;; [unrolled: 3-line block ×6, first 2 shown]
	v_pk_add_f32 v[12:13], v[18:19], 1.0 op_sel_hi:[1,0]
	;;#ASMSTART
	v_pk_mul_f32 v[18:19], v[14:15], v[12:13]
	;;#ASMEND
	v_cvt_f32_f16_sdwa v15, v8 dst_sel:DWORD dst_unused:UNUSED_PAD src0_sel:WORD_1
	v_cvt_f32_f16_e32 v14, v8
	v_cvt_f32_f16_sdwa v25, v9 dst_sel:DWORD dst_unused:UNUSED_PAD src0_sel:WORD_1
	v_cvt_f32_f16_e32 v24, v9
	v_pk_add_f32 v[12:13], v[22:23], 1.0 op_sel_hi:[1,0]
	;;#ASMSTART
	v_pk_mul_f32 v[22:23], v[16:17], v[12:13]
	;;#ASMEND
	s_waitcnt vmcnt(0)
	v_cvt_f32_f16_sdwa v13, v2 dst_sel:DWORD dst_unused:UNUSED_PAD src0_sel:WORD_1
	v_cvt_f32_f16_e32 v12, v2
	v_pk_add_f32 v[8:9], v[14:15], 1.0 op_sel_hi:[1,0]
	;;#ASMSTART
	v_pk_mul_f32 v[20:21], v[20:21], v[8:9]
	;;#ASMEND
	v_pk_add_f32 v[8:9], v[24:25], 1.0 op_sel_hi:[1,0]
	v_cvt_f32_f16_sdwa v15, v3 dst_sel:DWORD dst_unused:UNUSED_PAD src0_sel:WORD_1
	v_cvt_f32_f16_e32 v14, v3
	;;#ASMSTART
	v_pk_mul_f32 v[28:29], v[28:29], v[8:9]
	;;#ASMEND
	v_cvt_f32_f16_sdwa v9, v4 dst_sel:DWORD dst_unused:UNUSED_PAD src0_sel:WORD_1
	v_cvt_f32_f16_e32 v8, v4
	v_pk_add_f32 v[2:3], v[12:13], 1.0 op_sel_hi:[1,0]
	v_cvt_f32_f16_sdwa v13, v5 dst_sel:DWORD dst_unused:UNUSED_PAD src0_sel:WORD_1
	v_cvt_f32_f16_e32 v12, v5
	;;#ASMSTART
	v_pk_mul_f32 v[26:27], v[26:27], v[2:3]
	;;#ASMEND
	v_pk_add_f32 v[2:3], v[14:15], 1.0 op_sel_hi:[1,0]
	;;#ASMSTART
	v_pk_mul_f32 v[32:33], v[32:33], v[2:3]
	;;#ASMEND
	v_pk_add_f32 v[2:3], v[8:9], 1.0 op_sel_hi:[1,0]
	;; [unrolled: 4-line block ×3, first 2 shown]
	;;#ASMSTART
	v_pk_mul_f32 v[24:25], v[6:7], v[2:3]
	;;#ASMEND
.LBB923_9:
	s_or_b64 exec, exec, s[8:9]
	s_load_dword s7, s[4:5], 0x80
	s_mov_b64 s[8:9], -1
	s_and_b64 vcc, exec, s[14:15]
	s_cbranch_vccnz .LBB923_13
; %bb.10:
	s_andn2_b64 vcc, exec, s[8:9]
	s_cbranch_vccz .LBB923_16
.LBB923_11:
	s_cmp_lt_i32 s20, 1
	s_cbranch_scc0 .LBB923_25
.LBB923_12:
	s_endpgm
.LBB923_13:
	s_and_saveexec_b64 s[14:15], s[2:3]
	s_cbranch_execz .LBB923_15
; %bb.14:
	s_waitcnt lgkmcnt(0)
	s_mul_hi_i32 s9, s7, s6
	s_mul_i32 s8, s7, s6
	s_waitcnt vmcnt(0)
	v_cvt_f16_f32_e32 v2, v18
	v_cvt_f16_f32_e32 v3, v22
	;; [unrolled: 1-line block ×8, first 2 shown]
	s_lshl_b64 s[8:9], s[8:9], 1
	s_add_u32 s8, s28, s8
	s_addc_u32 s9, s29, s9
	s_and_b32 s9, s9, 0xffff
	s_mov_b32 s11, 0x20000
	v_pack_b32_f16 v5, v5, v6
	v_pack_b32_f16 v4, v4, v7
	;; [unrolled: 1-line block ×4, first 2 shown]
	v_lshlrev_b32_e32 v6, 5, v0
	buffer_store_dwordx4 v[2:5], v6, s[8:11], 0 offen
	v_cvt_f16_f32_e32 v7, v25
	v_cvt_f16_f32_e32 v2, v26
	;; [unrolled: 1-line block ×8, first 2 shown]
	v_pack_b32_f16 v5, v5, v7
	v_pack_b32_f16 v4, v4, v8
	;; [unrolled: 1-line block ×4, first 2 shown]
	;;#ASMSTART
	s_nop 0
	;;#ASMEND
	buffer_store_dwordx4 v[2:5], v6, s[8:11], 16 offen
	;;#ASMSTART
	s_nop 0
	;;#ASMEND
.LBB923_15:
	s_or_b64 exec, exec, s[14:15]
	s_cbranch_execnz .LBB923_11
.LBB923_16:
	s_load_dwordx4 s[24:27], s[4:5], 0x70
	s_waitcnt vmcnt(0)
	v_mov_b32_e32 v2, 0
	s_and_saveexec_b64 s[14:15], s[2:3]
	s_cbranch_execz .LBB923_18
; %bb.17:
	s_load_dwordx2 s[8:9], s[4:5], 0x10
	s_waitcnt lgkmcnt(0)
	s_mul_hi_i32 s35, s27, s6
	s_mul_i32 s34, s27, s6
	v_cvt_f16_f32_e32 v2, v18
	v_cvt_f16_f32_e32 v3, v22
	v_cvt_f16_f32_e32 v4, v20
	v_cvt_f16_f32_e32 v5, v28
	v_cvt_f16_f32_e32 v6, v29
	v_cvt_f16_f32_e32 v7, v21
	v_cvt_f16_f32_e32 v8, v23
	v_cvt_f16_f32_e32 v9, v19
	s_lshl_b64 s[34:35], s[34:35], 1
	s_add_u32 s8, s8, s34
	s_addc_u32 s9, s9, s35
	s_mov_b32 s11, 0x20000
	s_and_b32 s9, s9, 0xffff
	v_pack_b32_f16 v5, v5, v6
	v_pack_b32_f16 v4, v4, v7
	;; [unrolled: 1-line block ×4, first 2 shown]
	v_lshlrev_b32_e32 v6, 5, v0
	buffer_store_dwordx4 v[2:5], v6, s[8:11], 0 offen
	v_cvt_f16_f32_e32 v7, v25
	v_cvt_f16_f32_e32 v2, v26
	;; [unrolled: 1-line block ×8, first 2 shown]
	v_pack_b32_f16 v5, v5, v7
	v_pack_b32_f16 v4, v4, v8
	;; [unrolled: 1-line block ×4, first 2 shown]
	;;#ASMSTART
	s_nop 0
	;;#ASMEND
	buffer_store_dwordx4 v[2:5], v6, s[8:11], 16 offen
	;;#ASMSTART
	s_nop 0
	;;#ASMEND
	s_nop 0
	v_mov_b32_e32 v2, 0x2edbe6ff
.LBB923_18:
	s_or_b64 exec, exec, s[14:15]
	s_and_saveexec_b64 s[8:9], s[2:3]
	s_cbranch_execz .LBB923_20
; %bb.19:
	v_and_b32_e32 v3, 0x7fffffff, v18
	v_and_b32_e32 v4, 0x7fffffff, v19
	;;#ASMSTART
	v_max3_f32 v2, v2, v3, v4

	;;#ASMEND
	v_and_b32_e32 v3, 0x7fffffff, v22
	v_and_b32_e32 v4, 0x7fffffff, v23
	;;#ASMSTART
	v_max3_f32 v2, v2, v3, v4

	;;#ASMEND
	;; [unrolled: 6-line block ×8, first 2 shown]
.LBB923_20:
	s_or_b64 exec, exec, s[8:9]
	v_cmp_eq_u32_e32 vcc, 0, v10
	v_cmp_gt_i32_e64 s[8:9], s19, v1
	s_and_b64 s[10:11], vcc, s[8:9]
	;;#ASMSTART
	v_max_f32 v3, v2, v2 quad_perm:[1,0,3,2] row_mask:0xf bank_mask:0xf bound_ctrl:1
	;;#ASMEND
	;;#ASMSTART
	v_max_f32 v4, v3, v3 quad_perm:[2,3,0,1] row_mask:0xf bank_mask:0xf bound_ctrl:1
	;;#ASMEND
	;;#ASMSTART
	v_max_f32 v2, v4, v4 row_half_mirror row_mask:0xf bank_mask:0xf bound_ctrl:1
	;;#ASMEND
	s_and_saveexec_b64 s[8:9], s[10:11]
	s_cbranch_execz .LBB923_22
; %bb.21:
	s_load_dwordx2 s[10:11], s[4:5], 0x8
	v_mul_f32_e32 v2, 0x3e2aaaab, v2
	v_lshrrev_b32_e32 v3, 23, v2
	v_and_b32_e32 v4, 0x7f800000, v2
	v_and_b32_e32 v2, 0x7fffff, v2
	v_cmp_ne_u32_e32 vcc, 0, v2
	s_waitcnt lgkmcnt(0)
	s_mul_i32 s16, s25, s6
	s_mov_b32 s14, 0x7f800000
	v_addc_co_u32_e32 v2, vcc, 0, v3, vcc
	s_mul_hi_i32 s15, s25, s6
	s_add_u32 s10, s10, s16
	v_cmp_ne_u32_e32 vcc, s14, v4
	s_addc_u32 s11, s11, s15
	v_lshrrev_b32_e32 v5, 3, v0
	v_cndmask_b32_e32 v4, -1, v2, vcc
	v_pk_mov_b32 v[2:3], s[10:11], s[10:11] op_sel:[0,1]
	v_mad_i64_i32 v[2:3], s[10:11], s26, v5, v[2:3]
	global_store_byte v[2:3], v4, off
.LBB923_22:
	s_or_b64 exec, exec, s[8:9]
	s_and_saveexec_b64 s[8:9], s[2:3]
	s_cbranch_execz .LBB923_24
; %bb.23:
	s_load_dwordx2 s[2:3], s[4:5], 0x0
	s_waitcnt lgkmcnt(0)
	s_mul_i32 s11, s24, s6
	s_mul_hi_i32 s10, s24, s6
	v_mov_b32_e32 v2, 0
	v_lshlrev_b32_e32 v4, 3, v0
	s_add_u32 s24, s2, s11
	s_addc_u32 s2, s3, s10
	s_lshr_b32 s3, s19, 31
	s_add_i32 s3, s19, s3
	s_ashr_i32 s3, s3, 1
	s_add_i32 s3, s3, 3
	s_ashr_i32 s10, s3, 31
	s_lshr_b32 s10, s10, 30
	s_add_i32 s3, s3, s10
	s_and_b32 s26, s3, -4
	s_and_b32 s25, s2, 0xffff
	s_mov_b32 s27, 0x20000
	v_mov_b32_e32 v3, v2
	buffer_store_dwordx2 v[2:3], v4, s[24:27], 0 offen
	;;#ASMSTART
	s_nop 0
	;;#ASMEND
.LBB923_24:
	s_or_b64 exec, exec, s[8:9]
	s_cmp_lt_i32 s20, 1
	s_cbranch_scc1 .LBB923_12
.LBB923_25:
	s_load_dword s2, s[4:5], 0x94
	s_waitcnt lgkmcnt(0)
	s_cmp_lg_u32 s2, 1
	s_cbranch_scc1 .LBB923_12
; %bb.26:
	s_lshl_b32 s2, s20, 1
	s_add_i32 s2, s2, 2
	v_cmp_gt_u32_e32 vcc, s20, v1
	s_and_b32 s14, s2, -4
	v_mov_b32_e32 v18, 0
	v_lshlrev_b32_e32 v1, 5, v0
	v_mov_b32_e32 v14, 0
	v_mov_b32_e32 v15, 0
	v_mov_b32_e32 v16, 0
	v_mov_b32_e32 v17, 0
	v_mov_b32_e32 v10, 0
	v_mov_b32_e32 v11, 0
	v_mov_b32_e32 v12, 0
	v_mov_b32_e32 v13, 0
	s_waitcnt vmcnt(1)
	v_mov_b32_e32 v6, 0
	v_mov_b32_e32 v7, 0
	;; [unrolled: 1-line block ×4, first 2 shown]
	s_waitcnt vmcnt(0)
	v_mov_b32_e32 v2, 0
	v_mov_b32_e32 v3, 0
	v_mov_b32_e32 v4, 0
	v_mov_b32_e32 v5, 0
	s_barrier
	s_and_saveexec_b64 s[2:3], vcc
	s_cbranch_execz .LBB923_28
; %bb.27:
	s_mul_hi_i32 s5, s22, s6
	s_mul_i32 s4, s22, s6
	s_and_b32 s13, s13, 0xffff
	s_lshl_b64 s[4:5], s[4:5], 1
	s_add_u32 s8, s30, s4
	s_mov_b32 s15, 0x20000
	s_addc_u32 s4, s31, s5
	s_and_b32 s9, s4, 0xffff
	s_mov_b32 s10, s14
	s_mov_b32 s11, s15
	buffer_load_dwordx4 v[14:17], v1, s[8:11], 0 offen
	buffer_load_dwordx4 v[10:13], v1, s[8:11], 16 offen
	;; [unrolled: 1-line block ×4, first 2 shown]
.LBB923_28:
	s_or_b64 exec, exec, s[2:3]
	v_mov_b32_e32 v19, 0
	v_mov_b32_e32 v32, 0
	;; [unrolled: 1-line block ×15, first 2 shown]
	s_and_saveexec_b64 s[2:3], vcc
	s_cbranch_execz .LBB923_30
; %bb.29:
	s_waitcnt vmcnt(3)
	v_cvt_f32_f16_sdwa v19, v14 dst_sel:DWORD dst_unused:UNUSED_PAD src0_sel:WORD_1
	v_cvt_f32_f16_e32 v18, v14
	v_cvt_f32_f16_sdwa v33, v15 dst_sel:DWORD dst_unused:UNUSED_PAD src0_sel:WORD_1
	v_cvt_f32_f16_e32 v32, v15
	;; [unrolled: 2-line block ×4, first 2 shown]
	s_waitcnt vmcnt(2)
	v_cvt_f32_f16_sdwa v27, v10 dst_sel:DWORD dst_unused:UNUSED_PAD src0_sel:WORD_1
	v_cvt_f32_f16_e32 v26, v10
	v_cvt_f32_f16_sdwa v25, v11 dst_sel:DWORD dst_unused:UNUSED_PAD src0_sel:WORD_1
	v_cvt_f32_f16_e32 v24, v11
	;; [unrolled: 2-line block ×4, first 2 shown]
.LBB923_30:
	s_or_b64 exec, exec, s[2:3]
	s_waitcnt vmcnt(2)
	v_mul_f32_e32 v10, v19, v19
	v_fmac_f32_e32 v10, v18, v18
	v_fmac_f32_e32 v10, v32, v32
	v_fmac_f32_e32 v10, v33, v33
	v_fmac_f32_e32 v10, v30, v30
	v_fmac_f32_e32 v10, v31, v31
	v_fmac_f32_e32 v10, v28, v28
	v_fmac_f32_e32 v10, v29, v29
	v_fmac_f32_e32 v10, v26, v26
	v_fmac_f32_e32 v10, v27, v27
	v_fmac_f32_e32 v10, v24, v24
	v_fmac_f32_e32 v10, v25, v25
	v_fmac_f32_e32 v10, v22, v22
	v_fmac_f32_e32 v10, v23, v23
	v_fmac_f32_e32 v10, v20, v20
	v_fmac_f32_e32 v10, v21, v21
	s_nop 1
	v_mov_b32_dpp v11, v10 quad_perm:[1,0,3,2] row_mask:0xf bank_mask:0xf
	v_add_f32_e32 v10, v10, v11
	s_nop 1
	v_mov_b32_dpp v11, v10 quad_perm:[2,3,0,1] row_mask:0xf bank_mask:0xf
	v_add_f32_e32 v10, v10, v11
	s_nop 1
	v_mov_b32_dpp v11, v10 row_half_mirror row_mask:0xf bank_mask:0xf
	v_add_f32_e32 v10, v10, v11
	s_nop 1
	v_mov_b32_dpp v11, v10 row_mirror row_mask:0xf bank_mask:0xf
	v_add_f32_e32 v10, v10, v11
	s_nop 1
	v_mov_b32_dpp v11, v10 row_bcast:15 row_mask:0xf bank_mask:0xf
	v_add_f32_e32 v10, v10, v11
	s_nop 1
	v_mov_b32_dpp v11, v10 row_bcast:31 row_mask:0xf bank_mask:0xf
	s_and_saveexec_b64 s[2:3], s[0:1]
	s_cbranch_execz .LBB923_32
; %bb.31:
	v_lshrrev_b32_e32 v0, 4, v0
	v_add_f32_e32 v10, v10, v11
	v_and_b32_e32 v0, 60, v0
	ds_write_b32 v0, v10
.LBB923_32:
	s_or_b64 exec, exec, s[2:3]
	s_waitcnt lgkmcnt(0)
	s_barrier
	ds_read_b32 v0, v34
	s_waitcnt lgkmcnt(0)
	s_nop 0
	v_mov_b32_dpp v10, v0 quad_perm:[1,0,3,2] row_mask:0xf bank_mask:0xf
	v_add_f32_e32 v0, v0, v10
	s_nop 1
	v_mov_b32_dpp v10, v0 quad_perm:[2,3,0,1] row_mask:0xf bank_mask:0xf
	v_add_f32_e32 v0, v0, v10
	s_nop 1
	v_mov_b32_dpp v10, v0 row_half_mirror row_mask:0xf bank_mask:0xf
	s_and_saveexec_b64 s[0:1], vcc
	s_cbranch_execz .LBB923_12
; %bb.33:
	v_cvt_f32_u32_e32 v11, s20
	v_add_f32_e32 v0, v0, v10
	s_mov_b32 s15, 0x20000
	v_div_scale_f32 v10, s[0:1], v11, v11, v0
	v_rcp_f32_e32 v12, v10
	v_div_scale_f32 v13, vcc, v0, v11, v0
	s_mov_b32 s0, 0x800000
	v_fma_f32 v14, -v10, v12, 1.0
	v_fmac_f32_e32 v12, v14, v12
	v_mul_f32_e32 v14, v13, v12
	v_fma_f32 v15, -v10, v14, v13
	v_fmac_f32_e32 v14, v15, v12
	v_fma_f32 v10, -v10, v14, v13
	v_div_fmas_f32 v10, v10, v12, v14
	v_div_fixup_f32 v0, v10, v11, v0
	v_add_f32_e32 v0, s17, v0
	v_mul_f32_e32 v10, 0x4b800000, v0
	v_cmp_gt_f32_e32 vcc, s0, v0
	v_cndmask_b32_e32 v0, v0, v10, vcc
	v_rsq_f32_e32 v0, v0
	s_mul_hi_i32 s1, s7, s6
	s_mul_i32 s0, s7, s6
	s_lshl_b64 s[0:1], s[0:1], 1
	v_mul_f32_e32 v10, 0x45800000, v0
	v_cndmask_b32_e32 v10, v0, v10, vcc
	v_mov_b32_e32 v11, v10
	;;#ASMSTART
	v_pk_mul_f32 v[12:13], v[18:19], v[10:11]
	;;#ASMEND
	;;#ASMSTART
	v_pk_mul_f32 v[14:15], v[32:33], v[10:11]
	;;#ASMEND
	;; [unrolled: 3-line block ×4, first 2 shown]
	s_waitcnt vmcnt(1)
	v_cvt_f32_f16_sdwa v29, v6 dst_sel:DWORD dst_unused:UNUSED_PAD src0_sel:WORD_1
	v_cvt_f32_f16_e32 v28, v6
	v_cvt_f32_f16_sdwa v31, v7 dst_sel:DWORD dst_unused:UNUSED_PAD src0_sel:WORD_1
	v_cvt_f32_f16_e32 v30, v7
	;;#ASMSTART
	v_pk_mul_f32 v[26:27], v[26:27], v[10:11]
	;;#ASMEND
	;;#ASMSTART
	v_pk_mul_f32 v[24:25], v[24:25], v[10:11]
	;;#ASMEND
	;; [unrolled: 3-line block ×4, first 2 shown]
	v_cvt_f32_f16_sdwa v21, v8 dst_sel:DWORD dst_unused:UNUSED_PAD src0_sel:WORD_1
	v_cvt_f32_f16_e32 v20, v8
	v_pk_add_f32 v[10:11], v[28:29], 1.0 op_sel_hi:[1,0]
	;;#ASMSTART
	v_pk_mul_f32 v[10:11], v[12:13], v[10:11]
	;;#ASMEND
	v_pk_add_f32 v[12:13], v[30:31], 1.0 op_sel_hi:[1,0]
	v_cvt_f32_f16_sdwa v29, v9 dst_sel:DWORD dst_unused:UNUSED_PAD src0_sel:WORD_1
	v_cvt_f32_f16_e32 v28, v9
	;;#ASMSTART
	v_pk_mul_f32 v[8:9], v[14:15], v[12:13]
	;;#ASMEND
	v_pk_add_f32 v[12:13], v[20:21], 1.0 op_sel_hi:[1,0]
	;;#ASMSTART
	v_pk_mul_f32 v[12:13], v[16:17], v[12:13]
	;;#ASMEND
	s_waitcnt vmcnt(0)
	v_cvt_f32_f16_sdwa v17, v2 dst_sel:DWORD dst_unused:UNUSED_PAD src0_sel:WORD_1
	v_cvt_f32_f16_e32 v16, v2
	v_cvt_f32_f16_sdwa v21, v3 dst_sel:DWORD dst_unused:UNUSED_PAD src0_sel:WORD_1
	v_cvt_f32_f16_e32 v20, v3
	v_pk_add_f32 v[14:15], v[28:29], 1.0 op_sel_hi:[1,0]
	;;#ASMSTART
	v_pk_mul_f32 v[2:3], v[18:19], v[14:15]
	;;#ASMEND
	v_cvt_f32_f16_sdwa v19, v4 dst_sel:DWORD dst_unused:UNUSED_PAD src0_sel:WORD_1
	v_cvt_f32_f16_e32 v18, v4
	v_pk_add_f32 v[14:15], v[16:17], 1.0 op_sel_hi:[1,0]
	v_pk_add_f32 v[16:17], v[20:21], 1.0 op_sel_hi:[1,0]
	v_cvt_f32_f16_sdwa v21, v5 dst_sel:DWORD dst_unused:UNUSED_PAD src0_sel:WORD_1
	v_cvt_f32_f16_e32 v20, v5
	v_pk_add_f32 v[4:5], v[18:19], 1.0 op_sel_hi:[1,0]
	;;#ASMSTART
	v_pk_mul_f32 v[14:15], v[26:27], v[14:15]
	;;#ASMEND
	;;#ASMSTART
	v_pk_mul_f32 v[16:17], v[24:25], v[16:17]
	;;#ASMEND
	;; [unrolled: 3-line block ×3, first 2 shown]
	v_pk_add_f32 v[4:5], v[20:21], 1.0 op_sel_hi:[1,0]
	;;#ASMSTART
	v_pk_mul_f32 v[6:7], v[6:7], v[4:5]
	;;#ASMEND
	v_cvt_f16_f32_e32 v0, v10
	v_cvt_f16_f32_e32 v4, v11
	;; [unrolled: 1-line block ×8, first 2 shown]
	s_add_u32 s12, s28, s0
	s_addc_u32 s0, s29, s1
	s_and_b32 s13, s0, 0xffff
	v_pack_b32_f16 v2, v0, v4
	v_pack_b32_f16 v3, v5, v8
	;; [unrolled: 1-line block ×4, first 2 shown]
	buffer_store_dwordx4 v[2:5], v1, s[12:15], 0 offen
	v_cvt_f16_f32_e32 v0, v14
	v_cvt_f16_f32_e32 v2, v15
	;; [unrolled: 1-line block ×8, first 2 shown]
	v_pack_b32_f16 v2, v0, v2
	v_pack_b32_f16 v3, v3, v4
	;; [unrolled: 1-line block ×4, first 2 shown]
	;;#ASMSTART
	s_nop 0
	;;#ASMEND
	buffer_store_dwordx4 v[2:5], v1, s[12:15], 16 offen
	;;#ASMSTART
	s_nop 0
	;;#ASMEND
	s_endpgm
	.section	.rodata,"a",@progbits
	.p2align	6, 0x0
	.amdhsa_kernel _ZN5aiter35fused_qk_rmsnorm_group_quant_kernelIDF16_N4opus5fp4_tELi512ELi16ELi8ELb0ELb1ELb1ELb0ELb0ELb0EEEvPT0_PvPT_S7_S7_PKS6_S9_S9_S9_S9_ffiiiiiiiiiiiii
		.amdhsa_group_segment_fixed_size 64
		.amdhsa_private_segment_fixed_size 0
		.amdhsa_kernarg_size 400
		.amdhsa_user_sgpr_count 6
		.amdhsa_user_sgpr_private_segment_buffer 1
		.amdhsa_user_sgpr_dispatch_ptr 0
		.amdhsa_user_sgpr_queue_ptr 0
		.amdhsa_user_sgpr_kernarg_segment_ptr 1
		.amdhsa_user_sgpr_dispatch_id 0
		.amdhsa_user_sgpr_flat_scratch_init 0
		.amdhsa_user_sgpr_kernarg_preload_length 0
		.amdhsa_user_sgpr_kernarg_preload_offset 0
		.amdhsa_user_sgpr_private_segment_size 0
		.amdhsa_uses_dynamic_stack 0
		.amdhsa_system_sgpr_private_segment_wavefront_offset 0
		.amdhsa_system_sgpr_workgroup_id_x 1
		.amdhsa_system_sgpr_workgroup_id_y 1
		.amdhsa_system_sgpr_workgroup_id_z 0
		.amdhsa_system_sgpr_workgroup_info 0
		.amdhsa_system_vgpr_workitem_id 0
		.amdhsa_next_free_vgpr 36
		.amdhsa_next_free_sgpr 36
		.amdhsa_accum_offset 36
		.amdhsa_reserve_vcc 1
		.amdhsa_reserve_flat_scratch 0
		.amdhsa_float_round_mode_32 0
		.amdhsa_float_round_mode_16_64 0
		.amdhsa_float_denorm_mode_32 3
		.amdhsa_float_denorm_mode_16_64 3
		.amdhsa_dx10_clamp 1
		.amdhsa_ieee_mode 1
		.amdhsa_fp16_overflow 0
		.amdhsa_tg_split 0
		.amdhsa_exception_fp_ieee_invalid_op 0
		.amdhsa_exception_fp_denorm_src 0
		.amdhsa_exception_fp_ieee_div_zero 0
		.amdhsa_exception_fp_ieee_overflow 0
		.amdhsa_exception_fp_ieee_underflow 0
		.amdhsa_exception_fp_ieee_inexact 0
		.amdhsa_exception_int_div_zero 0
	.end_amdhsa_kernel
	.section	.text._ZN5aiter35fused_qk_rmsnorm_group_quant_kernelIDF16_N4opus5fp4_tELi512ELi16ELi8ELb0ELb1ELb1ELb0ELb0ELb0EEEvPT0_PvPT_S7_S7_PKS6_S9_S9_S9_S9_ffiiiiiiiiiiiii,"axG",@progbits,_ZN5aiter35fused_qk_rmsnorm_group_quant_kernelIDF16_N4opus5fp4_tELi512ELi16ELi8ELb0ELb1ELb1ELb0ELb0ELb0EEEvPT0_PvPT_S7_S7_PKS6_S9_S9_S9_S9_ffiiiiiiiiiiiii,comdat
.Lfunc_end923:
	.size	_ZN5aiter35fused_qk_rmsnorm_group_quant_kernelIDF16_N4opus5fp4_tELi512ELi16ELi8ELb0ELb1ELb1ELb0ELb0ELb0EEEvPT0_PvPT_S7_S7_PKS6_S9_S9_S9_S9_ffiiiiiiiiiiiii, .Lfunc_end923-_ZN5aiter35fused_qk_rmsnorm_group_quant_kernelIDF16_N4opus5fp4_tELi512ELi16ELi8ELb0ELb1ELb1ELb0ELb0ELb0EEEvPT0_PvPT_S7_S7_PKS6_S9_S9_S9_S9_ffiiiiiiiiiiiii
                                        ; -- End function
	.section	.AMDGPU.csdata,"",@progbits
; Kernel info:
; codeLenInByte = 3504
; NumSgprs: 40
; NumVgprs: 36
; NumAgprs: 0
; TotalNumVgprs: 36
; ScratchSize: 0
; MemoryBound: 0
; FloatMode: 240
; IeeeMode: 1
; LDSByteSize: 64 bytes/workgroup (compile time only)
; SGPRBlocks: 4
; VGPRBlocks: 4
; NumSGPRsForWavesPerEU: 40
; NumVGPRsForWavesPerEU: 36
; AccumOffset: 36
; Occupancy: 8
; WaveLimiterHint : 0
; COMPUTE_PGM_RSRC2:SCRATCH_EN: 0
; COMPUTE_PGM_RSRC2:USER_SGPR: 6
; COMPUTE_PGM_RSRC2:TRAP_HANDLER: 0
; COMPUTE_PGM_RSRC2:TGID_X_EN: 1
; COMPUTE_PGM_RSRC2:TGID_Y_EN: 1
; COMPUTE_PGM_RSRC2:TGID_Z_EN: 0
; COMPUTE_PGM_RSRC2:TIDIG_COMP_CNT: 0
; COMPUTE_PGM_RSRC3_GFX90A:ACCUM_OFFSET: 8
; COMPUTE_PGM_RSRC3_GFX90A:TG_SPLIT: 0
	.section	.text._ZN5aiter35fused_qk_rmsnorm_group_quant_kernelItN4opus5fp4_tELi512ELi16ELi8ELb0ELb1ELb1ELb0ELb0ELb0EEEvPT0_PvPT_S7_S7_PKS6_S9_S9_S9_S9_ffiiiiiiiiiiiii,"axG",@progbits,_ZN5aiter35fused_qk_rmsnorm_group_quant_kernelItN4opus5fp4_tELi512ELi16ELi8ELb0ELb1ELb1ELb0ELb0ELb0EEEvPT0_PvPT_S7_S7_PKS6_S9_S9_S9_S9_ffiiiiiiiiiiiii,comdat
	.protected	_ZN5aiter35fused_qk_rmsnorm_group_quant_kernelItN4opus5fp4_tELi512ELi16ELi8ELb0ELb1ELb1ELb0ELb0ELb0EEEvPT0_PvPT_S7_S7_PKS6_S9_S9_S9_S9_ffiiiiiiiiiiiii ; -- Begin function _ZN5aiter35fused_qk_rmsnorm_group_quant_kernelItN4opus5fp4_tELi512ELi16ELi8ELb0ELb1ELb1ELb0ELb0ELb0EEEvPT0_PvPT_S7_S7_PKS6_S9_S9_S9_S9_ffiiiiiiiiiiiii
	.globl	_ZN5aiter35fused_qk_rmsnorm_group_quant_kernelItN4opus5fp4_tELi512ELi16ELi8ELb0ELb1ELb1ELb0ELb0ELb0EEEvPT0_PvPT_S7_S7_PKS6_S9_S9_S9_S9_ffiiiiiiiiiiiii
	.p2align	8
	.type	_ZN5aiter35fused_qk_rmsnorm_group_quant_kernelItN4opus5fp4_tELi512ELi16ELi8ELb0ELb1ELb1ELb0ELb0ELb0EEEvPT0_PvPT_S7_S7_PKS6_S9_S9_S9_S9_ffiiiiiiiiiiiii,@function
_ZN5aiter35fused_qk_rmsnorm_group_quant_kernelItN4opus5fp4_tELi512ELi16ELi8ELb0ELb1ELb1ELb0ELb0ELb0EEEvPT0_PvPT_S7_S7_PKS6_S9_S9_S9_S9_ffiiiiiiiiiiiii: ; @_ZN5aiter35fused_qk_rmsnorm_group_quant_kernelItN4opus5fp4_tELi512ELi16ELi8ELb0ELb1ELb1ELb0ELb0ELb0EEEvPT0_PvPT_S7_S7_PKS6_S9_S9_S9_S9_ffiiiiiiiiiiiii
; %bb.0:
	s_load_dwordx4 s[16:19], s[4:5], 0x50
	s_waitcnt lgkmcnt(0)
	s_cmp_ge_i32 s6, s18
	s_cbranch_scc1 .LBB924_12
; %bb.1:
	s_load_dwordx2 s[12:13], s[4:5], 0x48
	s_load_dwordx2 s[30:31], s[4:5], 0x30
	s_load_dwordx4 s[20:23], s[4:5], 0x60
	s_cmp_lg_u32 s7, 0
	s_cselect_b64 s[14:15], -1, 0
	s_cmp_eq_u32 s7, 0
	s_cselect_b64 vcc, -1, 0
	s_and_b64 s[0:1], vcc, exec
	s_waitcnt lgkmcnt(0)
	s_cselect_b32 s7, s19, s20
	s_add_i32 s0, s7, 1
	s_lshr_b32 s1, s0, 31
	s_add_i32 s0, s0, s1
	s_lshl_b32 s0, s0, 1
	v_lshlrev_b32_e32 v1, 4, v0
	s_and_b32 s10, s0, -4
	v_cmp_gt_i32_e64 s[2:3], s7, v1
	v_mov_b32_e32 v18, 0
	v_mov_b32_e32 v6, 0
	;; [unrolled: 1-line block ×17, first 2 shown]
	s_and_saveexec_b64 s[0:1], s[2:3]
	s_cbranch_execz .LBB924_3
; %bb.2:
	s_load_dwordx2 s[8:9], s[4:5], 0x28
	s_load_dwordx2 s[26:27], s[4:5], 0x40
	s_and_b64 s[24:25], vcc, exec
	s_cselect_b32 s11, s21, s22
	v_lshlrev_b32_e32 v19, 5, v0
	s_waitcnt lgkmcnt(0)
	s_cselect_b32 s18, s9, s31
	s_cselect_b32 s21, s8, s30
	s_mul_hi_i32 s9, s11, s6
	s_mul_i32 s8, s11, s6
	s_lshl_b64 s[8:9], s[8:9], 1
	s_add_u32 s24, s21, s8
	s_addc_u32 s18, s18, s9
	s_and_b64 s[8:9], vcc, exec
	s_mov_b32 s11, 0x20000
	s_cselect_b32 s8, s26, s12
	s_cselect_b32 s9, s27, s13
	s_and_b32 s25, s18, 0xffff
	s_mov_b32 s26, s10
	s_mov_b32 s27, s11
	s_and_b32 s9, s9, 0xffff
	buffer_load_dwordx4 v[14:17], v19, s[24:27], 0 offen
	buffer_load_dwordx4 v[10:13], v19, s[24:27], 16 offen
	;; [unrolled: 1-line block ×4, first 2 shown]
.LBB924_3:
	s_or_b64 exec, exec, s[0:1]
	v_mov_b32_e32 v19, 0
	v_mov_b32_e32 v22, 0
	;; [unrolled: 1-line block ×15, first 2 shown]
	s_and_saveexec_b64 s[0:1], s[2:3]
	s_cbranch_execz .LBB924_5
; %bb.4:
	s_waitcnt vmcnt(3)
	v_cvt_f32_u32_sdwa v18, v14 dst_sel:DWORD dst_unused:UNUSED_PAD src0_sel:WORD_0
	v_cvt_f32_u32_sdwa v19, v14 dst_sel:DWORD dst_unused:UNUSED_PAD src0_sel:WORD_1
	v_cvt_f32_u32_sdwa v22, v15 dst_sel:DWORD dst_unused:UNUSED_PAD src0_sel:WORD_0
	v_cvt_f32_u32_sdwa v23, v15 dst_sel:DWORD dst_unused:UNUSED_PAD src0_sel:WORD_1
	;; [unrolled: 2-line block ×4, first 2 shown]
	s_waitcnt vmcnt(2)
	v_cvt_f32_u32_sdwa v24, v10 dst_sel:DWORD dst_unused:UNUSED_PAD src0_sel:WORD_0
	v_cvt_f32_u32_sdwa v25, v10 dst_sel:DWORD dst_unused:UNUSED_PAD src0_sel:WORD_1
	v_cvt_f32_u32_sdwa v32, v11 dst_sel:DWORD dst_unused:UNUSED_PAD src0_sel:WORD_0
	v_cvt_f32_u32_sdwa v33, v11 dst_sel:DWORD dst_unused:UNUSED_PAD src0_sel:WORD_1
	v_cvt_f32_u32_sdwa v30, v12 dst_sel:DWORD dst_unused:UNUSED_PAD src0_sel:WORD_0
	v_cvt_f32_u32_sdwa v31, v12 dst_sel:DWORD dst_unused:UNUSED_PAD src0_sel:WORD_1
	v_cvt_f32_u32_sdwa v26, v13 dst_sel:DWORD dst_unused:UNUSED_PAD src0_sel:WORD_0
	v_cvt_f32_u32_sdwa v27, v13 dst_sel:DWORD dst_unused:UNUSED_PAD src0_sel:WORD_1
.LBB924_5:
	s_or_b64 exec, exec, s[0:1]
	s_waitcnt vmcnt(2)
	v_mul_f32_e32 v10, v19, v19
	v_fmac_f32_e32 v10, v18, v18
	v_fmac_f32_e32 v10, v22, v22
	;; [unrolled: 1-line block ×15, first 2 shown]
	v_and_b32_e32 v12, 63, v0
	v_cmp_eq_u32_e64 s[0:1], 63, v12
	v_mov_b32_dpp v11, v10 quad_perm:[1,0,3,2] row_mask:0xf bank_mask:0xf
	v_add_f32_e32 v10, v10, v11
	s_nop 1
	v_mov_b32_dpp v11, v10 quad_perm:[2,3,0,1] row_mask:0xf bank_mask:0xf
	v_add_f32_e32 v10, v10, v11
	s_nop 1
	v_mov_b32_dpp v11, v10 row_half_mirror row_mask:0xf bank_mask:0xf
	v_add_f32_e32 v10, v10, v11
	s_nop 1
	v_mov_b32_dpp v11, v10 row_mirror row_mask:0xf bank_mask:0xf
	v_add_f32_e32 v10, v10, v11
	s_nop 1
	v_mov_b32_dpp v11, v10 row_bcast:15 row_mask:0xf bank_mask:0xf
	v_add_f32_e32 v10, v10, v11
	s_nop 1
	v_mov_b32_dpp v11, v10 row_bcast:31 row_mask:0xf bank_mask:0xf
	s_and_saveexec_b64 s[8:9], s[0:1]
	s_cbranch_execz .LBB924_7
; %bb.6:
	v_add_f32_e32 v10, v10, v11
	v_lshrrev_b32_e32 v11, 4, v0
	v_and_b32_e32 v11, 60, v11
	ds_write_b32 v11, v10 offset:32
.LBB924_7:
	s_or_b64 exec, exec, s[8:9]
	v_and_b32_e32 v10, 7, v0
	v_lshlrev_b32_e32 v34, 2, v10
	s_waitcnt lgkmcnt(0)
	s_barrier
	ds_read_b32 v11, v34 offset:32
	s_load_dwordx2 s[28:29], s[4:5], 0x18
	s_waitcnt lgkmcnt(0)
	v_mov_b32_dpp v12, v11 quad_perm:[1,0,3,2] row_mask:0xf bank_mask:0xf
	v_add_f32_e32 v11, v11, v12
	s_nop 1
	v_mov_b32_dpp v12, v11 quad_perm:[2,3,0,1] row_mask:0xf bank_mask:0xf
	v_add_f32_e32 v11, v11, v12
	s_nop 1
	v_mov_b32_dpp v12, v11 row_half_mirror row_mask:0xf bank_mask:0xf
	s_and_saveexec_b64 s[8:9], s[2:3]
	s_cbranch_execz .LBB924_9
; %bb.8:
	v_cvt_f32_u32_e32 v13, s7
	v_add_f32_e32 v11, v11, v12
	v_mov_b32_e32 v15, s17
	v_mov_b32_e32 v16, s16
	v_div_scale_f32 v12, s[24:25], v13, v13, v11
	v_rcp_f32_e32 v14, v12
	v_cndmask_b32_e32 v15, v15, v16, vcc
	s_mov_b32 s7, 0x800000
	v_fma_f32 v16, -v12, v14, 1.0
	v_fmac_f32_e32 v14, v16, v14
	v_div_scale_f32 v16, vcc, v11, v13, v11
	v_mul_f32_e32 v17, v16, v14
	v_fma_f32 v35, -v12, v17, v16
	v_fmac_f32_e32 v17, v35, v14
	v_fma_f32 v12, -v12, v17, v16
	v_div_fmas_f32 v12, v12, v14, v17
	v_div_fixup_f32 v11, v12, v13, v11
	v_add_f32_e32 v11, v15, v11
	v_mul_f32_e32 v12, 0x4b800000, v11
	v_cmp_gt_f32_e32 vcc, s7, v11
	v_cndmask_b32_e32 v11, v11, v12, vcc
	v_rsq_f32_e32 v11, v11
	v_mul_f32_e32 v12, 0x45800000, v11
	v_cndmask_b32_e32 v12, v11, v12, vcc
	v_mov_b32_e32 v13, v12
	;;#ASMSTART
	v_pk_mul_f32 v[14:15], v[18:19], v[12:13]
	;;#ASMEND
	s_waitcnt vmcnt(1)
	v_cvt_f32_u32_sdwa v19, v6 dst_sel:DWORD dst_unused:UNUSED_PAD src0_sel:WORD_1
	v_cvt_f32_u32_sdwa v18, v6 dst_sel:DWORD dst_unused:UNUSED_PAD src0_sel:WORD_0
	;;#ASMSTART
	v_pk_mul_f32 v[16:17], v[22:23], v[12:13]
	;;#ASMEND
	v_cvt_f32_u32_sdwa v23, v7 dst_sel:DWORD dst_unused:UNUSED_PAD src0_sel:WORD_1
	v_cvt_f32_u32_sdwa v22, v7 dst_sel:DWORD dst_unused:UNUSED_PAD src0_sel:WORD_0
	;;#ASMSTART
	v_pk_mul_f32 v[20:21], v[20:21], v[12:13]
	;;#ASMEND
	;;#ASMSTART
	v_pk_mul_f32 v[28:29], v[28:29], v[12:13]
	;;#ASMEND
	;; [unrolled: 3-line block ×6, first 2 shown]
	v_pk_add_f32 v[12:13], v[18:19], 1.0 op_sel_hi:[1,0]
	;;#ASMSTART
	v_pk_mul_f32 v[18:19], v[14:15], v[12:13]
	;;#ASMEND
	v_cvt_f32_u32_sdwa v15, v8 dst_sel:DWORD dst_unused:UNUSED_PAD src0_sel:WORD_1
	v_cvt_f32_u32_sdwa v14, v8 dst_sel:DWORD dst_unused:UNUSED_PAD src0_sel:WORD_0
	v_cvt_f32_u32_sdwa v27, v9 dst_sel:DWORD dst_unused:UNUSED_PAD src0_sel:WORD_1
	v_cvt_f32_u32_sdwa v26, v9 dst_sel:DWORD dst_unused:UNUSED_PAD src0_sel:WORD_0
	v_pk_add_f32 v[12:13], v[22:23], 1.0 op_sel_hi:[1,0]
	;;#ASMSTART
	v_pk_mul_f32 v[22:23], v[16:17], v[12:13]
	;;#ASMEND
	s_waitcnt vmcnt(0)
	v_cvt_f32_u32_sdwa v13, v2 dst_sel:DWORD dst_unused:UNUSED_PAD src0_sel:WORD_1
	v_cvt_f32_u32_sdwa v12, v2 dst_sel:DWORD dst_unused:UNUSED_PAD src0_sel:WORD_0
	v_pk_add_f32 v[8:9], v[14:15], 1.0 op_sel_hi:[1,0]
	;;#ASMSTART
	v_pk_mul_f32 v[20:21], v[20:21], v[8:9]
	;;#ASMEND
	v_pk_add_f32 v[8:9], v[26:27], 1.0 op_sel_hi:[1,0]
	v_cvt_f32_u32_sdwa v15, v3 dst_sel:DWORD dst_unused:UNUSED_PAD src0_sel:WORD_1
	v_cvt_f32_u32_sdwa v14, v3 dst_sel:DWORD dst_unused:UNUSED_PAD src0_sel:WORD_0
	;;#ASMSTART
	v_pk_mul_f32 v[28:29], v[28:29], v[8:9]
	;;#ASMEND
	v_cvt_f32_u32_sdwa v9, v4 dst_sel:DWORD dst_unused:UNUSED_PAD src0_sel:WORD_1
	v_cvt_f32_u32_sdwa v8, v4 dst_sel:DWORD dst_unused:UNUSED_PAD src0_sel:WORD_0
	v_pk_add_f32 v[2:3], v[12:13], 1.0 op_sel_hi:[1,0]
	v_cvt_f32_u32_sdwa v13, v5 dst_sel:DWORD dst_unused:UNUSED_PAD src0_sel:WORD_1
	v_cvt_f32_u32_sdwa v12, v5 dst_sel:DWORD dst_unused:UNUSED_PAD src0_sel:WORD_0
	;;#ASMSTART
	v_pk_mul_f32 v[24:25], v[24:25], v[2:3]
	;;#ASMEND
	v_pk_add_f32 v[2:3], v[14:15], 1.0 op_sel_hi:[1,0]
	;;#ASMSTART
	v_pk_mul_f32 v[32:33], v[32:33], v[2:3]
	;;#ASMEND
	v_pk_add_f32 v[2:3], v[8:9], 1.0 op_sel_hi:[1,0]
	;; [unrolled: 4-line block ×3, first 2 shown]
	;;#ASMSTART
	v_pk_mul_f32 v[26:27], v[6:7], v[2:3]
	;;#ASMEND
.LBB924_9:
	s_or_b64 exec, exec, s[8:9]
	s_load_dword s7, s[4:5], 0x80
	s_mov_b64 s[8:9], -1
	s_and_b64 vcc, exec, s[14:15]
	s_cbranch_vccnz .LBB924_13
; %bb.10:
	s_andn2_b64 vcc, exec, s[8:9]
	s_cbranch_vccz .LBB924_16
.LBB924_11:
	s_cmp_lt_i32 s20, 1
	s_cbranch_scc0 .LBB924_25
.LBB924_12:
	s_endpgm
.LBB924_13:
	s_and_saveexec_b64 s[14:15], s[2:3]
	s_cbranch_execz .LBB924_15
; %bb.14:
	s_waitcnt lgkmcnt(0)
	s_mul_hi_i32 s9, s7, s6
	s_mul_i32 s8, s7, s6
	s_lshl_b64 s[8:9], s[8:9], 1
	s_add_u32 s8, s28, s8
	s_addc_u32 s9, s29, s9
	s_mov_b32 s16, 0x7060302
	s_and_b32 s9, s9, 0xffff
	s_mov_b32 s11, 0x20000
	s_waitcnt vmcnt(0)
	v_perm_b32 v5, v29, v28, s16
	v_perm_b32 v4, v21, v20, s16
	;; [unrolled: 1-line block ×4, first 2 shown]
	v_lshlrev_b32_e32 v6, 5, v0
	buffer_store_dwordx4 v[2:5], v6, s[8:11], 0 offen
	;;#ASMSTART
	s_nop 0
	;;#ASMEND
	s_nop 0
	v_perm_b32 v5, v27, v26, s16
	v_perm_b32 v4, v31, v30, s16
	;; [unrolled: 1-line block ×4, first 2 shown]
	buffer_store_dwordx4 v[2:5], v6, s[8:11], 16 offen
	;;#ASMSTART
	s_nop 0
	;;#ASMEND
.LBB924_15:
	s_or_b64 exec, exec, s[14:15]
	s_cbranch_execnz .LBB924_11
.LBB924_16:
	s_load_dwordx4 s[24:27], s[4:5], 0x70
	s_waitcnt vmcnt(0)
	v_mov_b32_e32 v2, 0
	s_and_saveexec_b64 s[14:15], s[2:3]
	s_cbranch_execz .LBB924_18
; %bb.17:
	s_load_dwordx2 s[8:9], s[4:5], 0x10
	s_waitcnt lgkmcnt(0)
	s_mul_hi_i32 s35, s27, s6
	s_mul_i32 s34, s27, s6
	s_lshl_b64 s[34:35], s[34:35], 1
	s_mov_b32 s16, 0x7060302
	s_add_u32 s8, s8, s34
	s_addc_u32 s9, s9, s35
	s_mov_b32 s11, 0x20000
	s_and_b32 s9, s9, 0xffff
	v_perm_b32 v5, v29, v28, s16
	v_perm_b32 v4, v21, v20, s16
	;; [unrolled: 1-line block ×4, first 2 shown]
	v_lshlrev_b32_e32 v6, 5, v0
	buffer_store_dwordx4 v[2:5], v6, s[8:11], 0 offen
	;;#ASMSTART
	s_nop 0
	;;#ASMEND
	s_nop 0
	v_perm_b32 v5, v27, v26, s16
	v_perm_b32 v4, v31, v30, s16
	v_perm_b32 v3, v33, v32, s16
	v_perm_b32 v2, v25, v24, s16
	buffer_store_dwordx4 v[2:5], v6, s[8:11], 16 offen
	;;#ASMSTART
	s_nop 0
	;;#ASMEND
	s_nop 0
	v_mov_b32_e32 v2, 0x2edbe6ff
.LBB924_18:
	s_or_b64 exec, exec, s[14:15]
	s_and_saveexec_b64 s[8:9], s[2:3]
	s_cbranch_execz .LBB924_20
; %bb.19:
	v_and_b32_e32 v3, 0x7fffffff, v18
	v_and_b32_e32 v4, 0x7fffffff, v19
	;;#ASMSTART
	v_max3_f32 v2, v2, v3, v4

	;;#ASMEND
	v_and_b32_e32 v3, 0x7fffffff, v22
	v_and_b32_e32 v4, 0x7fffffff, v23
	;;#ASMSTART
	v_max3_f32 v2, v2, v3, v4

	;;#ASMEND
	;; [unrolled: 6-line block ×8, first 2 shown]
.LBB924_20:
	s_or_b64 exec, exec, s[8:9]
	v_cmp_eq_u32_e32 vcc, 0, v10
	v_cmp_gt_i32_e64 s[8:9], s19, v1
	s_and_b64 s[10:11], vcc, s[8:9]
	;;#ASMSTART
	v_max_f32 v3, v2, v2 quad_perm:[1,0,3,2] row_mask:0xf bank_mask:0xf bound_ctrl:1
	;;#ASMEND
	;;#ASMSTART
	v_max_f32 v4, v3, v3 quad_perm:[2,3,0,1] row_mask:0xf bank_mask:0xf bound_ctrl:1
	;;#ASMEND
	;;#ASMSTART
	v_max_f32 v2, v4, v4 row_half_mirror row_mask:0xf bank_mask:0xf bound_ctrl:1
	;;#ASMEND
	s_and_saveexec_b64 s[8:9], s[10:11]
	s_cbranch_execz .LBB924_22
; %bb.21:
	s_load_dwordx2 s[10:11], s[4:5], 0x8
	v_mul_f32_e32 v2, 0x3e2aaaab, v2
	v_lshrrev_b32_e32 v3, 23, v2
	v_and_b32_e32 v4, 0x7f800000, v2
	v_and_b32_e32 v2, 0x7fffff, v2
	v_cmp_ne_u32_e32 vcc, 0, v2
	s_waitcnt lgkmcnt(0)
	s_mul_i32 s16, s25, s6
	s_mov_b32 s14, 0x7f800000
	v_addc_co_u32_e32 v2, vcc, 0, v3, vcc
	s_mul_hi_i32 s15, s25, s6
	s_add_u32 s10, s10, s16
	v_cmp_ne_u32_e32 vcc, s14, v4
	s_addc_u32 s11, s11, s15
	v_lshrrev_b32_e32 v5, 3, v0
	v_cndmask_b32_e32 v4, -1, v2, vcc
	v_pk_mov_b32 v[2:3], s[10:11], s[10:11] op_sel:[0,1]
	v_mad_i64_i32 v[2:3], s[10:11], s26, v5, v[2:3]
	global_store_byte v[2:3], v4, off
.LBB924_22:
	s_or_b64 exec, exec, s[8:9]
	s_and_saveexec_b64 s[8:9], s[2:3]
	s_cbranch_execz .LBB924_24
; %bb.23:
	s_load_dwordx2 s[2:3], s[4:5], 0x0
	s_waitcnt lgkmcnt(0)
	s_mul_i32 s11, s24, s6
	s_mul_hi_i32 s10, s24, s6
	v_mov_b32_e32 v2, 0
	v_lshlrev_b32_e32 v4, 3, v0
	s_add_u32 s24, s2, s11
	s_addc_u32 s2, s3, s10
	s_lshr_b32 s3, s19, 31
	s_add_i32 s3, s19, s3
	s_ashr_i32 s3, s3, 1
	s_add_i32 s3, s3, 3
	s_ashr_i32 s10, s3, 31
	s_lshr_b32 s10, s10, 30
	s_add_i32 s3, s3, s10
	s_and_b32 s26, s3, -4
	s_and_b32 s25, s2, 0xffff
	s_mov_b32 s27, 0x20000
	v_mov_b32_e32 v3, v2
	buffer_store_dwordx2 v[2:3], v4, s[24:27], 0 offen
	;;#ASMSTART
	s_nop 0
	;;#ASMEND
.LBB924_24:
	s_or_b64 exec, exec, s[8:9]
	s_cmp_lt_i32 s20, 1
	s_cbranch_scc1 .LBB924_12
.LBB924_25:
	s_load_dword s2, s[4:5], 0x94
	s_waitcnt lgkmcnt(0)
	s_cmp_lg_u32 s2, 1
	s_cbranch_scc1 .LBB924_12
; %bb.26:
	s_lshl_b32 s2, s20, 1
	s_add_i32 s2, s2, 2
	v_cmp_gt_u32_e32 vcc, s20, v1
	s_and_b32 s14, s2, -4
	v_mov_b32_e32 v18, 0
	v_lshlrev_b32_e32 v1, 5, v0
	v_mov_b32_e32 v14, 0
	v_mov_b32_e32 v15, 0
	;; [unrolled: 1-line block ×8, first 2 shown]
	s_waitcnt vmcnt(1)
	v_mov_b32_e32 v6, 0
	v_mov_b32_e32 v7, 0
	;; [unrolled: 1-line block ×4, first 2 shown]
	s_waitcnt vmcnt(0)
	v_mov_b32_e32 v2, 0
	v_mov_b32_e32 v3, 0
	;; [unrolled: 1-line block ×4, first 2 shown]
	s_barrier
	s_and_saveexec_b64 s[2:3], vcc
	s_cbranch_execz .LBB924_28
; %bb.27:
	s_mul_hi_i32 s5, s22, s6
	s_mul_i32 s4, s22, s6
	s_and_b32 s13, s13, 0xffff
	s_lshl_b64 s[4:5], s[4:5], 1
	s_add_u32 s8, s30, s4
	s_mov_b32 s15, 0x20000
	s_addc_u32 s4, s31, s5
	s_and_b32 s9, s4, 0xffff
	s_mov_b32 s10, s14
	s_mov_b32 s11, s15
	buffer_load_dwordx4 v[14:17], v1, s[8:11], 0 offen
	buffer_load_dwordx4 v[10:13], v1, s[8:11], 16 offen
	;; [unrolled: 1-line block ×4, first 2 shown]
.LBB924_28:
	s_or_b64 exec, exec, s[2:3]
	v_mov_b32_e32 v19, 0
	v_mov_b32_e32 v32, 0
	;; [unrolled: 1-line block ×15, first 2 shown]
	s_and_saveexec_b64 s[2:3], vcc
	s_cbranch_execz .LBB924_30
; %bb.29:
	s_waitcnt vmcnt(3)
	v_cvt_f32_u32_sdwa v18, v14 dst_sel:DWORD dst_unused:UNUSED_PAD src0_sel:WORD_0
	v_cvt_f32_u32_sdwa v19, v14 dst_sel:DWORD dst_unused:UNUSED_PAD src0_sel:WORD_1
	v_cvt_f32_u32_sdwa v32, v15 dst_sel:DWORD dst_unused:UNUSED_PAD src0_sel:WORD_0
	v_cvt_f32_u32_sdwa v33, v15 dst_sel:DWORD dst_unused:UNUSED_PAD src0_sel:WORD_1
	;; [unrolled: 2-line block ×4, first 2 shown]
	s_waitcnt vmcnt(2)
	v_cvt_f32_u32_sdwa v26, v10 dst_sel:DWORD dst_unused:UNUSED_PAD src0_sel:WORD_0
	v_cvt_f32_u32_sdwa v27, v10 dst_sel:DWORD dst_unused:UNUSED_PAD src0_sel:WORD_1
	v_cvt_f32_u32_sdwa v24, v11 dst_sel:DWORD dst_unused:UNUSED_PAD src0_sel:WORD_0
	v_cvt_f32_u32_sdwa v25, v11 dst_sel:DWORD dst_unused:UNUSED_PAD src0_sel:WORD_1
	v_cvt_f32_u32_sdwa v22, v12 dst_sel:DWORD dst_unused:UNUSED_PAD src0_sel:WORD_0
	v_cvt_f32_u32_sdwa v23, v12 dst_sel:DWORD dst_unused:UNUSED_PAD src0_sel:WORD_1
	v_cvt_f32_u32_sdwa v20, v13 dst_sel:DWORD dst_unused:UNUSED_PAD src0_sel:WORD_0
	v_cvt_f32_u32_sdwa v21, v13 dst_sel:DWORD dst_unused:UNUSED_PAD src0_sel:WORD_1
.LBB924_30:
	s_or_b64 exec, exec, s[2:3]
	s_waitcnt vmcnt(2)
	v_mul_f32_e32 v10, v19, v19
	v_fmac_f32_e32 v10, v18, v18
	v_fmac_f32_e32 v10, v32, v32
	;; [unrolled: 1-line block ×15, first 2 shown]
	s_nop 1
	v_mov_b32_dpp v11, v10 quad_perm:[1,0,3,2] row_mask:0xf bank_mask:0xf
	v_add_f32_e32 v10, v10, v11
	s_nop 1
	v_mov_b32_dpp v11, v10 quad_perm:[2,3,0,1] row_mask:0xf bank_mask:0xf
	v_add_f32_e32 v10, v10, v11
	s_nop 1
	v_mov_b32_dpp v11, v10 row_half_mirror row_mask:0xf bank_mask:0xf
	v_add_f32_e32 v10, v10, v11
	s_nop 1
	v_mov_b32_dpp v11, v10 row_mirror row_mask:0xf bank_mask:0xf
	v_add_f32_e32 v10, v10, v11
	s_nop 1
	v_mov_b32_dpp v11, v10 row_bcast:15 row_mask:0xf bank_mask:0xf
	v_add_f32_e32 v10, v10, v11
	s_nop 1
	v_mov_b32_dpp v11, v10 row_bcast:31 row_mask:0xf bank_mask:0xf
	s_and_saveexec_b64 s[2:3], s[0:1]
	s_cbranch_execz .LBB924_32
; %bb.31:
	v_lshrrev_b32_e32 v0, 4, v0
	v_add_f32_e32 v10, v10, v11
	v_and_b32_e32 v0, 60, v0
	ds_write_b32 v0, v10
.LBB924_32:
	s_or_b64 exec, exec, s[2:3]
	s_waitcnt lgkmcnt(0)
	s_barrier
	ds_read_b32 v0, v34
	s_waitcnt lgkmcnt(0)
	s_nop 0
	v_mov_b32_dpp v10, v0 quad_perm:[1,0,3,2] row_mask:0xf bank_mask:0xf
	v_add_f32_e32 v0, v0, v10
	s_nop 1
	v_mov_b32_dpp v10, v0 quad_perm:[2,3,0,1] row_mask:0xf bank_mask:0xf
	v_add_f32_e32 v0, v0, v10
	s_nop 1
	v_mov_b32_dpp v10, v0 row_half_mirror row_mask:0xf bank_mask:0xf
	s_and_saveexec_b64 s[0:1], vcc
	s_cbranch_execz .LBB924_12
; %bb.33:
	v_cvt_f32_u32_e32 v11, s20
	v_add_f32_e32 v0, v0, v10
	s_mov_b32 s15, 0x20000
	v_div_scale_f32 v10, s[0:1], v11, v11, v0
	v_rcp_f32_e32 v12, v10
	v_div_scale_f32 v13, vcc, v0, v11, v0
	s_mov_b32 s0, 0x800000
	v_fma_f32 v14, -v10, v12, 1.0
	v_fmac_f32_e32 v12, v14, v12
	v_mul_f32_e32 v14, v13, v12
	v_fma_f32 v15, -v10, v14, v13
	v_fmac_f32_e32 v14, v15, v12
	v_fma_f32 v10, -v10, v14, v13
	v_div_fmas_f32 v10, v10, v12, v14
	v_div_fixup_f32 v0, v10, v11, v0
	v_add_f32_e32 v0, s17, v0
	v_mul_f32_e32 v10, 0x4b800000, v0
	v_cmp_gt_f32_e32 vcc, s0, v0
	v_cndmask_b32_e32 v0, v0, v10, vcc
	v_rsq_f32_e32 v0, v0
	s_mul_hi_i32 s1, s7, s6
	s_mul_i32 s0, s7, s6
	s_lshl_b64 s[0:1], s[0:1], 1
	v_mul_f32_e32 v10, 0x45800000, v0
	v_cndmask_b32_e32 v10, v0, v10, vcc
	v_mov_b32_e32 v11, v10
	;;#ASMSTART
	v_pk_mul_f32 v[12:13], v[18:19], v[10:11]
	;;#ASMEND
	;;#ASMSTART
	v_pk_mul_f32 v[14:15], v[32:33], v[10:11]
	;;#ASMEND
	;; [unrolled: 3-line block ×4, first 2 shown]
	s_waitcnt vmcnt(1)
	v_cvt_f32_u32_sdwa v29, v6 dst_sel:DWORD dst_unused:UNUSED_PAD src0_sel:WORD_1
	v_cvt_f32_u32_sdwa v28, v6 dst_sel:DWORD dst_unused:UNUSED_PAD src0_sel:WORD_0
	v_cvt_f32_u32_sdwa v31, v7 dst_sel:DWORD dst_unused:UNUSED_PAD src0_sel:WORD_1
	v_cvt_f32_u32_sdwa v30, v7 dst_sel:DWORD dst_unused:UNUSED_PAD src0_sel:WORD_0
	;;#ASMSTART
	v_pk_mul_f32 v[26:27], v[26:27], v[10:11]
	;;#ASMEND
	;;#ASMSTART
	v_pk_mul_f32 v[24:25], v[24:25], v[10:11]
	;;#ASMEND
	;; [unrolled: 3-line block ×4, first 2 shown]
	v_cvt_f32_u32_sdwa v21, v8 dst_sel:DWORD dst_unused:UNUSED_PAD src0_sel:WORD_1
	v_cvt_f32_u32_sdwa v20, v8 dst_sel:DWORD dst_unused:UNUSED_PAD src0_sel:WORD_0
	v_pk_add_f32 v[10:11], v[28:29], 1.0 op_sel_hi:[1,0]
	;;#ASMSTART
	v_pk_mul_f32 v[10:11], v[12:13], v[10:11]
	;;#ASMEND
	v_pk_add_f32 v[12:13], v[30:31], 1.0 op_sel_hi:[1,0]
	v_cvt_f32_u32_sdwa v29, v9 dst_sel:DWORD dst_unused:UNUSED_PAD src0_sel:WORD_1
	v_cvt_f32_u32_sdwa v28, v9 dst_sel:DWORD dst_unused:UNUSED_PAD src0_sel:WORD_0
	;;#ASMSTART
	v_pk_mul_f32 v[8:9], v[14:15], v[12:13]
	;;#ASMEND
	v_pk_add_f32 v[12:13], v[20:21], 1.0 op_sel_hi:[1,0]
	;;#ASMSTART
	v_pk_mul_f32 v[12:13], v[16:17], v[12:13]
	;;#ASMEND
	s_waitcnt vmcnt(0)
	v_cvt_f32_u32_sdwa v17, v2 dst_sel:DWORD dst_unused:UNUSED_PAD src0_sel:WORD_1
	v_cvt_f32_u32_sdwa v16, v2 dst_sel:DWORD dst_unused:UNUSED_PAD src0_sel:WORD_0
	v_cvt_f32_u32_sdwa v21, v3 dst_sel:DWORD dst_unused:UNUSED_PAD src0_sel:WORD_1
	v_cvt_f32_u32_sdwa v20, v3 dst_sel:DWORD dst_unused:UNUSED_PAD src0_sel:WORD_0
	v_pk_add_f32 v[14:15], v[28:29], 1.0 op_sel_hi:[1,0]
	;;#ASMSTART
	v_pk_mul_f32 v[14:15], v[18:19], v[14:15]
	;;#ASMEND
	v_pk_add_f32 v[2:3], v[16:17], 1.0 op_sel_hi:[1,0]
	v_cvt_f32_u32_sdwa v19, v4 dst_sel:DWORD dst_unused:UNUSED_PAD src0_sel:WORD_1
	v_cvt_f32_u32_sdwa v18, v4 dst_sel:DWORD dst_unused:UNUSED_PAD src0_sel:WORD_0
	;;#ASMSTART
	v_pk_mul_f32 v[16:17], v[26:27], v[2:3]
	;;#ASMEND
	v_pk_add_f32 v[2:3], v[20:21], 1.0 op_sel_hi:[1,0]
	v_cvt_f32_u32_sdwa v21, v5 dst_sel:DWORD dst_unused:UNUSED_PAD src0_sel:WORD_1
	v_cvt_f32_u32_sdwa v20, v5 dst_sel:DWORD dst_unused:UNUSED_PAD src0_sel:WORD_0
	s_add_u32 s12, s28, s0
	;;#ASMSTART
	v_pk_mul_f32 v[24:25], v[24:25], v[2:3]
	;;#ASMEND
	v_pk_add_f32 v[2:3], v[18:19], 1.0 op_sel_hi:[1,0]
	s_addc_u32 s0, s29, s1
	;;#ASMSTART
	v_pk_mul_f32 v[18:19], v[22:23], v[2:3]
	;;#ASMEND
	v_pk_add_f32 v[2:3], v[20:21], 1.0 op_sel_hi:[1,0]
	s_and_b32 s13, s0, 0xffff
	s_mov_b32 s0, 0x7060302
	;;#ASMSTART
	v_pk_mul_f32 v[6:7], v[6:7], v[2:3]
	;;#ASMEND
	v_perm_b32 v2, v11, v10, s0
	v_perm_b32 v3, v9, v8, s0
	;; [unrolled: 1-line block ×4, first 2 shown]
	buffer_store_dwordx4 v[2:5], v1, s[12:15], 0 offen
	;;#ASMSTART
	s_nop 0
	;;#ASMEND
	s_nop 0
	v_perm_b32 v2, v17, v16, s0
	v_perm_b32 v3, v25, v24, s0
	;; [unrolled: 1-line block ×4, first 2 shown]
	buffer_store_dwordx4 v[2:5], v1, s[12:15], 16 offen
	;;#ASMSTART
	s_nop 0
	;;#ASMEND
	s_endpgm
	.section	.rodata,"a",@progbits
	.p2align	6, 0x0
	.amdhsa_kernel _ZN5aiter35fused_qk_rmsnorm_group_quant_kernelItN4opus5fp4_tELi512ELi16ELi8ELb0ELb1ELb1ELb0ELb0ELb0EEEvPT0_PvPT_S7_S7_PKS6_S9_S9_S9_S9_ffiiiiiiiiiiiii
		.amdhsa_group_segment_fixed_size 64
		.amdhsa_private_segment_fixed_size 0
		.amdhsa_kernarg_size 400
		.amdhsa_user_sgpr_count 6
		.amdhsa_user_sgpr_private_segment_buffer 1
		.amdhsa_user_sgpr_dispatch_ptr 0
		.amdhsa_user_sgpr_queue_ptr 0
		.amdhsa_user_sgpr_kernarg_segment_ptr 1
		.amdhsa_user_sgpr_dispatch_id 0
		.amdhsa_user_sgpr_flat_scratch_init 0
		.amdhsa_user_sgpr_kernarg_preload_length 0
		.amdhsa_user_sgpr_kernarg_preload_offset 0
		.amdhsa_user_sgpr_private_segment_size 0
		.amdhsa_uses_dynamic_stack 0
		.amdhsa_system_sgpr_private_segment_wavefront_offset 0
		.amdhsa_system_sgpr_workgroup_id_x 1
		.amdhsa_system_sgpr_workgroup_id_y 1
		.amdhsa_system_sgpr_workgroup_id_z 0
		.amdhsa_system_sgpr_workgroup_info 0
		.amdhsa_system_vgpr_workitem_id 0
		.amdhsa_next_free_vgpr 36
		.amdhsa_next_free_sgpr 36
		.amdhsa_accum_offset 36
		.amdhsa_reserve_vcc 1
		.amdhsa_reserve_flat_scratch 0
		.amdhsa_float_round_mode_32 0
		.amdhsa_float_round_mode_16_64 0
		.amdhsa_float_denorm_mode_32 3
		.amdhsa_float_denorm_mode_16_64 3
		.amdhsa_dx10_clamp 1
		.amdhsa_ieee_mode 1
		.amdhsa_fp16_overflow 0
		.amdhsa_tg_split 0
		.amdhsa_exception_fp_ieee_invalid_op 0
		.amdhsa_exception_fp_denorm_src 0
		.amdhsa_exception_fp_ieee_div_zero 0
		.amdhsa_exception_fp_ieee_overflow 0
		.amdhsa_exception_fp_ieee_underflow 0
		.amdhsa_exception_fp_ieee_inexact 0
		.amdhsa_exception_int_div_zero 0
	.end_amdhsa_kernel
	.section	.text._ZN5aiter35fused_qk_rmsnorm_group_quant_kernelItN4opus5fp4_tELi512ELi16ELi8ELb0ELb1ELb1ELb0ELb0ELb0EEEvPT0_PvPT_S7_S7_PKS6_S9_S9_S9_S9_ffiiiiiiiiiiiii,"axG",@progbits,_ZN5aiter35fused_qk_rmsnorm_group_quant_kernelItN4opus5fp4_tELi512ELi16ELi8ELb0ELb1ELb1ELb0ELb0ELb0EEEvPT0_PvPT_S7_S7_PKS6_S9_S9_S9_S9_ffiiiiiiiiiiiii,comdat
.Lfunc_end924:
	.size	_ZN5aiter35fused_qk_rmsnorm_group_quant_kernelItN4opus5fp4_tELi512ELi16ELi8ELb0ELb1ELb1ELb0ELb0ELb0EEEvPT0_PvPT_S7_S7_PKS6_S9_S9_S9_S9_ffiiiiiiiiiiiii, .Lfunc_end924-_ZN5aiter35fused_qk_rmsnorm_group_quant_kernelItN4opus5fp4_tELi512ELi16ELi8ELb0ELb1ELb1ELb0ELb0ELb0EEEvPT0_PvPT_S7_S7_PKS6_S9_S9_S9_S9_ffiiiiiiiiiiiii
                                        ; -- End function
	.section	.AMDGPU.csdata,"",@progbits
; Kernel info:
; codeLenInByte = 3476
; NumSgprs: 40
; NumVgprs: 36
; NumAgprs: 0
; TotalNumVgprs: 36
; ScratchSize: 0
; MemoryBound: 0
; FloatMode: 240
; IeeeMode: 1
; LDSByteSize: 64 bytes/workgroup (compile time only)
; SGPRBlocks: 4
; VGPRBlocks: 4
; NumSGPRsForWavesPerEU: 40
; NumVGPRsForWavesPerEU: 36
; AccumOffset: 36
; Occupancy: 8
; WaveLimiterHint : 0
; COMPUTE_PGM_RSRC2:SCRATCH_EN: 0
; COMPUTE_PGM_RSRC2:USER_SGPR: 6
; COMPUTE_PGM_RSRC2:TRAP_HANDLER: 0
; COMPUTE_PGM_RSRC2:TGID_X_EN: 1
; COMPUTE_PGM_RSRC2:TGID_Y_EN: 1
; COMPUTE_PGM_RSRC2:TGID_Z_EN: 0
; COMPUTE_PGM_RSRC2:TIDIG_COMP_CNT: 0
; COMPUTE_PGM_RSRC3_GFX90A:ACCUM_OFFSET: 8
; COMPUTE_PGM_RSRC3_GFX90A:TG_SPLIT: 0
	.section	.text._ZN5aiter35fused_qk_rmsnorm_group_quant_kernelIDF16_DB8_Li512ELi16ELi8ELb0ELb1ELb0ELb0ELb0ELb0EEEvPT0_PvPT_S6_S6_PKS5_S8_S8_S8_S8_ffiiiiiiiiiiiii,"axG",@progbits,_ZN5aiter35fused_qk_rmsnorm_group_quant_kernelIDF16_DB8_Li512ELi16ELi8ELb0ELb1ELb0ELb0ELb0ELb0EEEvPT0_PvPT_S6_S6_PKS5_S8_S8_S8_S8_ffiiiiiiiiiiiii,comdat
	.protected	_ZN5aiter35fused_qk_rmsnorm_group_quant_kernelIDF16_DB8_Li512ELi16ELi8ELb0ELb1ELb0ELb0ELb0ELb0EEEvPT0_PvPT_S6_S6_PKS5_S8_S8_S8_S8_ffiiiiiiiiiiiii ; -- Begin function _ZN5aiter35fused_qk_rmsnorm_group_quant_kernelIDF16_DB8_Li512ELi16ELi8ELb0ELb1ELb0ELb0ELb0ELb0EEEvPT0_PvPT_S6_S6_PKS5_S8_S8_S8_S8_ffiiiiiiiiiiiii
	.globl	_ZN5aiter35fused_qk_rmsnorm_group_quant_kernelIDF16_DB8_Li512ELi16ELi8ELb0ELb1ELb0ELb0ELb0ELb0EEEvPT0_PvPT_S6_S6_PKS5_S8_S8_S8_S8_ffiiiiiiiiiiiii
	.p2align	8
	.type	_ZN5aiter35fused_qk_rmsnorm_group_quant_kernelIDF16_DB8_Li512ELi16ELi8ELb0ELb1ELb0ELb0ELb0ELb0EEEvPT0_PvPT_S6_S6_PKS5_S8_S8_S8_S8_ffiiiiiiiiiiiii,@function
_ZN5aiter35fused_qk_rmsnorm_group_quant_kernelIDF16_DB8_Li512ELi16ELi8ELb0ELb1ELb0ELb0ELb0ELb0EEEvPT0_PvPT_S6_S6_PKS5_S8_S8_S8_S8_ffiiiiiiiiiiiii: ; @_ZN5aiter35fused_qk_rmsnorm_group_quant_kernelIDF16_DB8_Li512ELi16ELi8ELb0ELb1ELb0ELb0ELb0ELb0EEEvPT0_PvPT_S6_S6_PKS5_S8_S8_S8_S8_ffiiiiiiiiiiiii
; %bb.0:
	s_load_dwordx4 s[16:19], s[4:5], 0x50
	s_waitcnt lgkmcnt(0)
	s_cmp_ge_i32 s6, s18
	s_cbranch_scc1 .LBB925_12
; %bb.1:
	s_load_dwordx2 s[12:13], s[4:5], 0x48
	s_load_dwordx2 s[30:31], s[4:5], 0x30
	s_load_dwordx4 s[20:23], s[4:5], 0x60
	s_cmp_lg_u32 s7, 0
	s_cselect_b64 s[14:15], -1, 0
	s_cmp_eq_u32 s7, 0
	s_cselect_b64 vcc, -1, 0
	s_and_b64 s[0:1], vcc, exec
	s_waitcnt lgkmcnt(0)
	s_cselect_b32 s7, s19, s20
	s_add_i32 s0, s7, 1
	s_lshr_b32 s1, s0, 31
	s_add_i32 s0, s0, s1
	s_lshl_b32 s0, s0, 1
	v_lshlrev_b32_e32 v1, 4, v0
	s_and_b32 s10, s0, -4
	v_cmp_gt_i32_e64 s[2:3], s7, v1
	v_mov_b32_e32 v18, 0
	v_mov_b32_e32 v6, 0
	;; [unrolled: 1-line block ×17, first 2 shown]
	s_and_saveexec_b64 s[0:1], s[2:3]
	s_cbranch_execz .LBB925_3
; %bb.2:
	s_load_dwordx2 s[8:9], s[4:5], 0x28
	s_load_dwordx2 s[26:27], s[4:5], 0x40
	s_and_b64 s[24:25], vcc, exec
	s_cselect_b32 s11, s21, s22
	v_lshlrev_b32_e32 v19, 5, v0
	s_waitcnt lgkmcnt(0)
	s_cselect_b32 s18, s9, s31
	s_cselect_b32 s21, s8, s30
	s_mul_hi_i32 s9, s11, s6
	s_mul_i32 s8, s11, s6
	s_lshl_b64 s[8:9], s[8:9], 1
	s_add_u32 s24, s21, s8
	s_addc_u32 s18, s18, s9
	s_and_b64 s[8:9], vcc, exec
	s_mov_b32 s11, 0x20000
	s_cselect_b32 s8, s26, s12
	s_cselect_b32 s9, s27, s13
	s_and_b32 s25, s18, 0xffff
	s_mov_b32 s26, s10
	s_mov_b32 s27, s11
	s_and_b32 s9, s9, 0xffff
	buffer_load_dwordx4 v[14:17], v19, s[24:27], 0 offen
	buffer_load_dwordx4 v[10:13], v19, s[24:27], 16 offen
	;; [unrolled: 1-line block ×4, first 2 shown]
.LBB925_3:
	s_or_b64 exec, exec, s[0:1]
	v_mov_b32_e32 v19, 0
	v_mov_b32_e32 v32, 0
	;; [unrolled: 1-line block ×15, first 2 shown]
	s_and_saveexec_b64 s[0:1], s[2:3]
	s_cbranch_execz .LBB925_5
; %bb.4:
	s_waitcnt vmcnt(3)
	v_cvt_f32_f16_sdwa v19, v14 dst_sel:DWORD dst_unused:UNUSED_PAD src0_sel:WORD_1
	v_cvt_f32_f16_e32 v18, v14
	v_cvt_f32_f16_sdwa v33, v15 dst_sel:DWORD dst_unused:UNUSED_PAD src0_sel:WORD_1
	v_cvt_f32_f16_e32 v32, v15
	;; [unrolled: 2-line block ×4, first 2 shown]
	s_waitcnt vmcnt(2)
	v_cvt_f32_f16_sdwa v31, v10 dst_sel:DWORD dst_unused:UNUSED_PAD src0_sel:WORD_1
	v_cvt_f32_f16_e32 v30, v10
	v_cvt_f32_f16_sdwa v29, v11 dst_sel:DWORD dst_unused:UNUSED_PAD src0_sel:WORD_1
	v_cvt_f32_f16_e32 v28, v11
	;; [unrolled: 2-line block ×4, first 2 shown]
.LBB925_5:
	s_or_b64 exec, exec, s[0:1]
	s_waitcnt vmcnt(2)
	v_mul_f32_e32 v10, v19, v19
	v_fmac_f32_e32 v10, v18, v18
	v_fmac_f32_e32 v10, v32, v32
	;; [unrolled: 1-line block ×15, first 2 shown]
	v_and_b32_e32 v12, 63, v0
	v_cmp_eq_u32_e64 s[0:1], 63, v12
	v_mov_b32_dpp v11, v10 quad_perm:[1,0,3,2] row_mask:0xf bank_mask:0xf
	v_add_f32_e32 v10, v10, v11
	s_nop 1
	v_mov_b32_dpp v11, v10 quad_perm:[2,3,0,1] row_mask:0xf bank_mask:0xf
	v_add_f32_e32 v10, v10, v11
	s_nop 1
	v_mov_b32_dpp v11, v10 row_half_mirror row_mask:0xf bank_mask:0xf
	v_add_f32_e32 v10, v10, v11
	s_nop 1
	v_mov_b32_dpp v11, v10 row_mirror row_mask:0xf bank_mask:0xf
	v_add_f32_e32 v10, v10, v11
	s_nop 1
	v_mov_b32_dpp v11, v10 row_bcast:15 row_mask:0xf bank_mask:0xf
	v_add_f32_e32 v10, v10, v11
	s_nop 1
	v_mov_b32_dpp v11, v10 row_bcast:31 row_mask:0xf bank_mask:0xf
	s_and_saveexec_b64 s[8:9], s[0:1]
	s_cbranch_execz .LBB925_7
; %bb.6:
	v_add_f32_e32 v10, v10, v11
	v_lshrrev_b32_e32 v11, 4, v0
	v_and_b32_e32 v11, 60, v11
	ds_write_b32 v11, v10 offset:32
.LBB925_7:
	s_or_b64 exec, exec, s[8:9]
	v_and_b32_e32 v10, 7, v0
	v_lshlrev_b32_e32 v34, 2, v10
	s_waitcnt lgkmcnt(0)
	s_barrier
	ds_read_b32 v11, v34 offset:32
	s_load_dwordx2 s[28:29], s[4:5], 0x18
	s_waitcnt lgkmcnt(0)
	v_mov_b32_dpp v12, v11 quad_perm:[1,0,3,2] row_mask:0xf bank_mask:0xf
	v_add_f32_e32 v11, v11, v12
	s_nop 1
	v_mov_b32_dpp v12, v11 quad_perm:[2,3,0,1] row_mask:0xf bank_mask:0xf
	v_add_f32_e32 v11, v11, v12
	s_nop 1
	v_mov_b32_dpp v12, v11 row_half_mirror row_mask:0xf bank_mask:0xf
	s_and_saveexec_b64 s[8:9], s[2:3]
	s_cbranch_execz .LBB925_9
; %bb.8:
	v_cvt_f32_u32_e32 v13, s7
	v_add_f32_e32 v11, v11, v12
	v_mov_b32_e32 v15, s17
	v_mov_b32_e32 v16, s16
	v_div_scale_f32 v12, s[24:25], v13, v13, v11
	v_rcp_f32_e32 v14, v12
	v_cndmask_b32_e32 v15, v15, v16, vcc
	s_mov_b32 s7, 0x800000
	s_waitcnt vmcnt(1)
	v_cvt_f32_f16_sdwa v37, v9 dst_sel:DWORD dst_unused:UNUSED_PAD src0_sel:WORD_1
	v_fma_f32 v16, -v12, v14, 1.0
	v_fmac_f32_e32 v14, v16, v14
	v_div_scale_f32 v16, vcc, v11, v13, v11
	v_mul_f32_e32 v17, v16, v14
	v_fma_f32 v35, -v12, v17, v16
	v_fmac_f32_e32 v17, v35, v14
	v_fma_f32 v12, -v12, v17, v16
	v_div_fmas_f32 v12, v12, v14, v17
	v_div_fixup_f32 v11, v12, v13, v11
	v_add_f32_e32 v11, v15, v11
	v_mul_f32_e32 v12, 0x4b800000, v11
	v_cmp_gt_f32_e32 vcc, s7, v11
	v_cndmask_b32_e32 v11, v11, v12, vcc
	v_rsq_f32_e32 v11, v11
	v_cvt_f32_f16_e32 v36, v9
	s_waitcnt vmcnt(0)
	v_cvt_f32_f16_sdwa v9, v3 dst_sel:DWORD dst_unused:UNUSED_PAD src0_sel:WORD_1
	v_mul_f32_e32 v12, 0x45800000, v11
	v_cndmask_b32_e32 v12, v11, v12, vcc
	v_mov_b32_e32 v13, v12
	;;#ASMSTART
	v_pk_mul_f32 v[14:15], v[18:19], v[12:13]
	;;#ASMEND
	;;#ASMSTART
	v_pk_mul_f32 v[16:17], v[32:33], v[12:13]
	;;#ASMEND
	;; [unrolled: 3-line block ×8, first 2 shown]
	v_cvt_f32_f16_sdwa v19, v6 dst_sel:DWORD dst_unused:UNUSED_PAD src0_sel:WORD_1
	v_cvt_f32_f16_e32 v18, v6
	v_cvt_f32_f16_sdwa v21, v7 dst_sel:DWORD dst_unused:UNUSED_PAD src0_sel:WORD_1
	v_cvt_f32_f16_e32 v20, v7
	v_cvt_f32_f16_sdwa v7, v8 dst_sel:DWORD dst_unused:UNUSED_PAD src0_sel:WORD_1
	v_cvt_f32_f16_e32 v6, v8
	;;#ASMSTART
	v_pk_mul_f32 v[18:19], v[14:15], v[18:19]
	;;#ASMEND
	;;#ASMSTART
	v_pk_mul_f32 v[32:33], v[16:17], v[20:21]
	;;#ASMEND
	;; [unrolled: 3-line block ×4, first 2 shown]
	v_cvt_f32_f16_sdwa v7, v2 dst_sel:DWORD dst_unused:UNUSED_PAD src0_sel:WORD_1
	v_cvt_f32_f16_e32 v6, v2
	v_cvt_f32_f16_e32 v8, v3
	v_cvt_f32_f16_sdwa v3, v4 dst_sel:DWORD dst_unused:UNUSED_PAD src0_sel:WORD_1
	v_cvt_f32_f16_e32 v2, v4
	v_cvt_f32_f16_sdwa v15, v5 dst_sel:DWORD dst_unused:UNUSED_PAD src0_sel:WORD_1
	v_cvt_f32_f16_e32 v14, v5
	;;#ASMSTART
	v_pk_mul_f32 v[30:31], v[30:31], v[6:7]
	;;#ASMEND
	;;#ASMSTART
	v_pk_mul_f32 v[28:29], v[28:29], v[8:9]
	;;#ASMEND
	;; [unrolled: 3-line block ×4, first 2 shown]
.LBB925_9:
	s_or_b64 exec, exec, s[8:9]
	s_load_dword s7, s[4:5], 0x80
	s_mov_b64 s[8:9], -1
	s_and_b64 vcc, exec, s[14:15]
	s_cbranch_vccnz .LBB925_13
; %bb.10:
	s_andn2_b64 vcc, exec, s[8:9]
	s_cbranch_vccz .LBB925_16
.LBB925_11:
	s_cmp_lt_i32 s20, 1
	s_cbranch_scc0 .LBB925_25
.LBB925_12:
	s_endpgm
.LBB925_13:
	s_and_saveexec_b64 s[14:15], s[2:3]
	s_cbranch_execz .LBB925_15
; %bb.14:
	s_waitcnt lgkmcnt(0)
	s_mul_hi_i32 s9, s7, s6
	s_mul_i32 s8, s7, s6
	s_waitcnt vmcnt(0)
	v_cvt_f16_f32_e32 v2, v18
	v_cvt_f16_f32_e32 v3, v32
	;; [unrolled: 1-line block ×8, first 2 shown]
	s_lshl_b64 s[8:9], s[8:9], 1
	s_add_u32 s8, s28, s8
	s_addc_u32 s9, s29, s9
	s_and_b32 s9, s9, 0xffff
	s_mov_b32 s11, 0x20000
	v_pack_b32_f16 v5, v5, v6
	v_pack_b32_f16 v4, v4, v7
	;; [unrolled: 1-line block ×4, first 2 shown]
	v_lshlrev_b32_e32 v6, 5, v0
	buffer_store_dwordx4 v[2:5], v6, s[8:11], 0 offen
	v_cvt_f16_f32_e32 v7, v21
	v_cvt_f16_f32_e32 v2, v30
	;; [unrolled: 1-line block ×8, first 2 shown]
	v_pack_b32_f16 v5, v5, v7
	v_pack_b32_f16 v4, v4, v8
	v_pack_b32_f16 v3, v3, v9
	v_pack_b32_f16 v2, v2, v11
	;;#ASMSTART
	s_nop 0
	;;#ASMEND
	buffer_store_dwordx4 v[2:5], v6, s[8:11], 16 offen
	;;#ASMSTART
	s_nop 0
	;;#ASMEND
.LBB925_15:
	s_or_b64 exec, exec, s[14:15]
	s_cbranch_execnz .LBB925_11
.LBB925_16:
	s_load_dwordx4 s[24:27], s[4:5], 0x70
	s_waitcnt vmcnt(0)
	v_mov_b32_e32 v2, 0
	s_and_saveexec_b64 s[14:15], s[2:3]
	s_cbranch_execz .LBB925_18
; %bb.17:
	s_load_dwordx2 s[8:9], s[4:5], 0x10
	s_waitcnt lgkmcnt(0)
	s_mul_hi_i32 s35, s27, s6
	s_mul_i32 s34, s27, s6
	v_cvt_f16_f32_e32 v2, v18
	v_cvt_f16_f32_e32 v3, v32
	;; [unrolled: 1-line block ×8, first 2 shown]
	s_lshl_b64 s[34:35], s[34:35], 1
	s_add_u32 s8, s8, s34
	s_addc_u32 s9, s9, s35
	s_mov_b32 s11, 0x20000
	s_and_b32 s9, s9, 0xffff
	v_pack_b32_f16 v5, v5, v6
	v_pack_b32_f16 v4, v4, v7
	;; [unrolled: 1-line block ×4, first 2 shown]
	v_lshlrev_b32_e32 v6, 5, v0
	buffer_store_dwordx4 v[2:5], v6, s[8:11], 0 offen
	v_cvt_f16_f32_e32 v7, v21
	v_cvt_f16_f32_e32 v2, v30
	;; [unrolled: 1-line block ×8, first 2 shown]
	v_pack_b32_f16 v5, v5, v7
	v_pack_b32_f16 v4, v4, v8
	;; [unrolled: 1-line block ×4, first 2 shown]
	;;#ASMSTART
	s_nop 0
	;;#ASMEND
	buffer_store_dwordx4 v[2:5], v6, s[8:11], 16 offen
	;;#ASMSTART
	s_nop 0
	;;#ASMEND
	s_nop 0
	v_mov_b32_e32 v2, 0x2edbe6ff
.LBB925_18:
	s_or_b64 exec, exec, s[14:15]
	s_and_saveexec_b64 s[8:9], s[2:3]
	s_cbranch_execz .LBB925_20
; %bb.19:
	v_and_b32_e32 v3, 0x7fffffff, v18
	v_and_b32_e32 v4, 0x7fffffff, v19
	;;#ASMSTART
	v_max3_f32 v2, v2, v3, v4

	;;#ASMEND
	v_and_b32_e32 v3, 0x7fffffff, v32
	v_and_b32_e32 v4, 0x7fffffff, v33
	;;#ASMSTART
	v_max3_f32 v2, v2, v3, v4

	;;#ASMEND
	;; [unrolled: 6-line block ×8, first 2 shown]
.LBB925_20:
	s_or_b64 exec, exec, s[8:9]
	;;#ASMSTART
	v_max_f32 v3, v2, v2 quad_perm:[1,0,3,2] row_mask:0xf bank_mask:0xf bound_ctrl:1
	;;#ASMEND
	;;#ASMSTART
	v_max_f32 v2, v3, v3 quad_perm:[2,3,0,1] row_mask:0xf bank_mask:0xf bound_ctrl:1
	;;#ASMEND
	v_cmp_eq_u32_e32 vcc, 0, v10
	v_cmp_gt_i32_e64 s[8:9], s19, v1
	;;#ASMSTART
	v_max_f32 v3, v2, v2 row_half_mirror row_mask:0xf bank_mask:0xf bound_ctrl:1
	;;#ASMEND
	v_mul_f32_e32 v2, 0x3b124925, v3
	s_and_b64 s[10:11], vcc, s[8:9]
	s_and_saveexec_b64 s[8:9], s[10:11]
	s_cbranch_execz .LBB925_22
; %bb.21:
	s_load_dwordx2 s[10:11], s[4:5], 0x8
	s_waitcnt lgkmcnt(0)
	s_mul_hi_i32 s15, s25, s6
	s_mul_i32 s14, s25, s6
	v_lshrrev_b32_e32 v3, 3, v0
	s_lshl_b64 s[14:15], s[14:15], 2
	v_mad_i64_i32 v[4:5], s[26:27], s26, v3, 0
	s_add_u32 s10, s10, s14
	s_addc_u32 s11, s11, s15
	v_lshlrev_b64 v[4:5], 2, v[4:5]
	v_mov_b32_e32 v3, s11
	v_add_co_u32_e32 v4, vcc, s10, v4
	v_addc_co_u32_e32 v5, vcc, v3, v5, vcc
	global_store_dword v[4:5], v2, off
.LBB925_22:
	s_or_b64 exec, exec, s[8:9]
	;;#ASMSTART
	v_rcp_f32 v2, v2
	;;#ASMEND
	s_and_saveexec_b64 s[14:15], s[2:3]
	s_cbranch_execz .LBB925_24
; %bb.23:
	s_load_dwordx2 s[2:3], s[4:5], 0x0
	s_waitcnt lgkmcnt(0)
	s_mul_i32 s8, s24, s6
	s_mul_hi_i32 s9, s24, s6
	v_mov_b32_e32 v3, v2
	;;#ASMSTART
	v_pk_mul_f32 v[4:5], v[18:19], v[2:3]
	;;#ASMEND
	s_add_u32 s8, s2, s8
	s_addc_u32 s2, s3, s9
	s_add_i32 s3, s19, 3
	s_ashr_i32 s10, s3, 31
	v_mov_b32_e32 v10, 0xc3e00000
	v_mov_b32_e32 v11, 0x43e00000
	;;#ASMSTART
	v_med3_f32 v4, v4, v10, v11
v_med3_f32 v5, v5, v10, v11
v_cvt_pk_fp8_f32 v6, v4, v5
	;;#ASMEND
	s_and_b32 s9, s2, 0xffff
	s_lshr_b32 s2, s10, 30
	;;#ASMSTART
	v_pk_mul_f32 v[4:5], v[32:33], v[2:3]
	;;#ASMEND
	s_add_i32 s3, s3, s2
	;;#ASMSTART
	v_med3_f32 v4, v4, v10, v11
v_med3_f32 v5, v5, v10, v11
v_cvt_pk_fp8_f32 v7, v4, v5
	;;#ASMEND
	s_mov_b32 s2, 0x5040100
	v_perm_b32 v4, v7, v6, s2
	s_mov_b32 s2, 0x1060504
	v_perm_b32 v4, v4, v7, s2
	;;#ASMSTART
	v_pk_mul_f32 v[6:7], v[26:27], v[2:3]
	;;#ASMEND
	v_mov_b32_e32 v5, v7
	;;#ASMSTART
	v_med3_f32 v6, v6, v10, v11
v_med3_f32 v5, v5, v10, v11
v_cvt_pk_fp8_f32 v8, v6, v5
	;;#ASMEND
	;;#ASMSTART
	v_pk_mul_f32 v[6:7], v[24:25], v[2:3]
	;;#ASMEND
	v_mov_b32_e32 v5, v6
	;;#ASMSTART
	v_med3_f32 v5, v5, v10, v11
v_med3_f32 v7, v7, v10, v11
v_cvt_pk_fp8_f32 v6, v5, v7
	;;#ASMEND
	s_mov_b32 s2, 0x1000504
	v_perm_b32 v5, v8, v6, s2
	;;#ASMSTART
	v_pk_mul_f32 v[6:7], v[30:31], v[2:3]
	;;#ASMEND
	;;#ASMSTART
	v_med3_f32 v6, v6, v10, v11
v_med3_f32 v7, v7, v10, v11
v_cvt_pk_fp8_f32 v8, v6, v7
	;;#ASMEND
	;;#ASMSTART
	v_pk_mul_f32 v[6:7], v[28:29], v[2:3]
	;;#ASMEND
	;;#ASMSTART
	v_med3_f32 v6, v6, v10, v11
v_med3_f32 v7, v7, v10, v11
v_cvt_pk_fp8_f32 v9, v6, v7
	;;#ASMEND
	v_perm_b32 v6, v8, v9, s2
	;;#ASMSTART
	v_pk_mul_f32 v[8:9], v[22:23], v[2:3]
	;;#ASMEND
	v_mov_b32_e32 v7, v9
	;;#ASMSTART
	v_med3_f32 v8, v8, v10, v11
v_med3_f32 v7, v7, v10, v11
v_cvt_pk_fp8_f32 v9, v8, v7
	;;#ASMEND
	;;#ASMSTART
	v_pk_mul_f32 v[2:3], v[20:21], v[2:3]
	;;#ASMEND
	;;#ASMSTART
	v_med3_f32 v2, v2, v10, v11
v_med3_f32 v3, v3, v10, v11
v_cvt_pk_fp8_f32 v7, v2, v3
	;;#ASMEND
	s_and_b32 s10, s3, -4
	s_mov_b32 s11, 0x20000
	v_perm_b32 v7, v9, v7, s2
	buffer_store_dwordx4 v[4:7], v1, s[8:11], 0 offen
	;;#ASMSTART
	s_nop 0
	;;#ASMEND
.LBB925_24:
	s_or_b64 exec, exec, s[14:15]
	s_cmp_lt_i32 s20, 1
	s_cbranch_scc1 .LBB925_12
.LBB925_25:
	s_load_dword s2, s[4:5], 0x94
	s_waitcnt lgkmcnt(0)
	s_cmp_lg_u32 s2, 1
	s_cbranch_scc1 .LBB925_12
; %bb.26:
	s_lshl_b32 s2, s20, 1
	s_add_i32 s2, s2, 2
	v_cmp_gt_u32_e32 vcc, s20, v1
	s_and_b32 s14, s2, -4
	v_mov_b32_e32 v18, 0
	v_lshlrev_b32_e32 v1, 5, v0
	v_mov_b32_e32 v14, 0
	v_mov_b32_e32 v15, 0
	;; [unrolled: 1-line block ×8, first 2 shown]
	s_waitcnt vmcnt(1)
	v_mov_b32_e32 v6, 0
	v_mov_b32_e32 v7, 0
	v_mov_b32_e32 v8, 0
	v_mov_b32_e32 v9, 0
	s_waitcnt vmcnt(0)
	v_mov_b32_e32 v2, 0
	v_mov_b32_e32 v3, 0
	;; [unrolled: 1-line block ×4, first 2 shown]
	s_barrier
	s_and_saveexec_b64 s[2:3], vcc
	s_cbranch_execz .LBB925_28
; %bb.27:
	s_mul_hi_i32 s5, s22, s6
	s_mul_i32 s4, s22, s6
	s_and_b32 s13, s13, 0xffff
	s_lshl_b64 s[4:5], s[4:5], 1
	s_add_u32 s8, s30, s4
	s_mov_b32 s15, 0x20000
	s_addc_u32 s4, s31, s5
	s_and_b32 s9, s4, 0xffff
	s_mov_b32 s10, s14
	s_mov_b32 s11, s15
	buffer_load_dwordx4 v[14:17], v1, s[8:11], 0 offen
	buffer_load_dwordx4 v[10:13], v1, s[8:11], 16 offen
	;; [unrolled: 1-line block ×4, first 2 shown]
.LBB925_28:
	s_or_b64 exec, exec, s[2:3]
	v_mov_b32_e32 v19, 0
	v_mov_b32_e32 v32, 0
	;; [unrolled: 1-line block ×15, first 2 shown]
	s_and_saveexec_b64 s[2:3], vcc
	s_cbranch_execz .LBB925_30
; %bb.29:
	s_waitcnt vmcnt(3)
	v_cvt_f32_f16_sdwa v19, v14 dst_sel:DWORD dst_unused:UNUSED_PAD src0_sel:WORD_1
	v_cvt_f32_f16_e32 v18, v14
	v_cvt_f32_f16_sdwa v33, v15 dst_sel:DWORD dst_unused:UNUSED_PAD src0_sel:WORD_1
	v_cvt_f32_f16_e32 v32, v15
	;; [unrolled: 2-line block ×4, first 2 shown]
	s_waitcnt vmcnt(2)
	v_cvt_f32_f16_sdwa v27, v10 dst_sel:DWORD dst_unused:UNUSED_PAD src0_sel:WORD_1
	v_cvt_f32_f16_e32 v26, v10
	v_cvt_f32_f16_sdwa v25, v11 dst_sel:DWORD dst_unused:UNUSED_PAD src0_sel:WORD_1
	v_cvt_f32_f16_e32 v24, v11
	;; [unrolled: 2-line block ×4, first 2 shown]
.LBB925_30:
	s_or_b64 exec, exec, s[2:3]
	s_waitcnt vmcnt(2)
	v_mul_f32_e32 v10, v19, v19
	v_fmac_f32_e32 v10, v18, v18
	v_fmac_f32_e32 v10, v32, v32
	;; [unrolled: 1-line block ×15, first 2 shown]
	s_nop 1
	v_mov_b32_dpp v11, v10 quad_perm:[1,0,3,2] row_mask:0xf bank_mask:0xf
	v_add_f32_e32 v10, v10, v11
	s_nop 1
	v_mov_b32_dpp v11, v10 quad_perm:[2,3,0,1] row_mask:0xf bank_mask:0xf
	v_add_f32_e32 v10, v10, v11
	s_nop 1
	v_mov_b32_dpp v11, v10 row_half_mirror row_mask:0xf bank_mask:0xf
	v_add_f32_e32 v10, v10, v11
	s_nop 1
	v_mov_b32_dpp v11, v10 row_mirror row_mask:0xf bank_mask:0xf
	v_add_f32_e32 v10, v10, v11
	s_nop 1
	v_mov_b32_dpp v11, v10 row_bcast:15 row_mask:0xf bank_mask:0xf
	v_add_f32_e32 v10, v10, v11
	s_nop 1
	v_mov_b32_dpp v11, v10 row_bcast:31 row_mask:0xf bank_mask:0xf
	s_and_saveexec_b64 s[2:3], s[0:1]
	s_cbranch_execz .LBB925_32
; %bb.31:
	v_lshrrev_b32_e32 v0, 4, v0
	v_add_f32_e32 v10, v10, v11
	v_and_b32_e32 v0, 60, v0
	ds_write_b32 v0, v10
.LBB925_32:
	s_or_b64 exec, exec, s[2:3]
	s_waitcnt lgkmcnt(0)
	s_barrier
	ds_read_b32 v0, v34
	s_waitcnt lgkmcnt(0)
	s_nop 0
	v_mov_b32_dpp v10, v0 quad_perm:[1,0,3,2] row_mask:0xf bank_mask:0xf
	v_add_f32_e32 v0, v0, v10
	s_nop 1
	v_mov_b32_dpp v10, v0 quad_perm:[2,3,0,1] row_mask:0xf bank_mask:0xf
	v_add_f32_e32 v0, v0, v10
	s_nop 1
	v_mov_b32_dpp v10, v0 row_half_mirror row_mask:0xf bank_mask:0xf
	s_and_saveexec_b64 s[0:1], vcc
	s_cbranch_execz .LBB925_12
; %bb.33:
	v_cvt_f32_u32_e32 v11, s20
	v_add_f32_e32 v0, v0, v10
	s_mov_b32 s15, 0x20000
	v_div_scale_f32 v10, s[0:1], v11, v11, v0
	v_rcp_f32_e32 v12, v10
	v_div_scale_f32 v13, vcc, v0, v11, v0
	s_mov_b32 s0, 0x800000
	v_fma_f32 v14, -v10, v12, 1.0
	v_fmac_f32_e32 v12, v14, v12
	v_mul_f32_e32 v14, v13, v12
	v_fma_f32 v15, -v10, v14, v13
	v_fmac_f32_e32 v14, v15, v12
	v_fma_f32 v10, -v10, v14, v13
	v_div_fmas_f32 v10, v10, v12, v14
	v_div_fixup_f32 v0, v10, v11, v0
	v_add_f32_e32 v0, s17, v0
	v_mul_f32_e32 v10, 0x4b800000, v0
	v_cmp_gt_f32_e32 vcc, s0, v0
	v_cndmask_b32_e32 v0, v0, v10, vcc
	v_rsq_f32_e32 v0, v0
	s_mul_hi_i32 s1, s7, s6
	s_mul_i32 s0, s7, s6
	s_lshl_b64 s[0:1], s[0:1], 1
	v_mul_f32_e32 v10, 0x45800000, v0
	v_cndmask_b32_e32 v10, v0, v10, vcc
	v_mov_b32_e32 v11, v10
	;;#ASMSTART
	v_pk_mul_f32 v[12:13], v[18:19], v[10:11]
	;;#ASMEND
	;;#ASMSTART
	v_pk_mul_f32 v[14:15], v[32:33], v[10:11]
	;;#ASMEND
	;; [unrolled: 3-line block ×8, first 2 shown]
	s_waitcnt vmcnt(1)
	v_cvt_f32_f16_sdwa v21, v6 dst_sel:DWORD dst_unused:UNUSED_PAD src0_sel:WORD_1
	v_cvt_f32_f16_e32 v20, v6
	v_cvt_f32_f16_sdwa v29, v7 dst_sel:DWORD dst_unused:UNUSED_PAD src0_sel:WORD_1
	v_cvt_f32_f16_e32 v28, v7
	;; [unrolled: 2-line block ×4, first 2 shown]
	;;#ASMSTART
	v_pk_mul_f32 v[8:9], v[12:13], v[20:21]
	;;#ASMEND
	;;#ASMSTART
	v_pk_mul_f32 v[12:13], v[14:15], v[28:29]
	;;#ASMEND
	;; [unrolled: 3-line block ×4, first 2 shown]
	s_waitcnt vmcnt(0)
	v_cvt_f32_f16_sdwa v17, v2 dst_sel:DWORD dst_unused:UNUSED_PAD src0_sel:WORD_1
	v_cvt_f32_f16_e32 v16, v2
	v_cvt_f32_f16_sdwa v19, v3 dst_sel:DWORD dst_unused:UNUSED_PAD src0_sel:WORD_1
	v_cvt_f32_f16_e32 v18, v3
	;; [unrolled: 2-line block ×4, first 2 shown]
	;;#ASMSTART
	v_pk_mul_f32 v[16:17], v[26:27], v[16:17]
	;;#ASMEND
	;;#ASMSTART
	v_pk_mul_f32 v[18:19], v[24:25], v[18:19]
	;;#ASMEND
	;; [unrolled: 3-line block ×3, first 2 shown]
	v_cvt_f16_f32_e32 v0, v8
	v_cvt_f16_f32_e32 v2, v9
	v_cvt_f16_f32_e32 v3, v12
	v_cvt_f16_f32_e32 v4, v13
	v_cvt_f16_f32_e32 v5, v6
	v_cvt_f16_f32_e32 v6, v7
	v_cvt_f16_f32_e32 v7, v14
	v_cvt_f16_f32_e32 v8, v15
	s_add_u32 s12, s28, s0
	s_addc_u32 s0, s29, s1
	s_and_b32 s13, s0, 0xffff
	v_pack_b32_f16 v2, v0, v2
	v_pack_b32_f16 v3, v3, v4
	;; [unrolled: 1-line block ×4, first 2 shown]
	;;#ASMSTART
	v_pk_mul_f32 v[10:11], v[10:11], v[20:21]
	;;#ASMEND
	buffer_store_dwordx4 v[2:5], v1, s[12:15], 0 offen
	v_cvt_f16_f32_e32 v0, v16
	v_cvt_f16_f32_e32 v2, v17
	;; [unrolled: 1-line block ×8, first 2 shown]
	v_pack_b32_f16 v2, v0, v2
	v_pack_b32_f16 v3, v3, v4
	;; [unrolled: 1-line block ×4, first 2 shown]
	;;#ASMSTART
	s_nop 0
	;;#ASMEND
	buffer_store_dwordx4 v[2:5], v1, s[12:15], 16 offen
	;;#ASMSTART
	s_nop 0
	;;#ASMEND
	s_endpgm
	.section	.rodata,"a",@progbits
	.p2align	6, 0x0
	.amdhsa_kernel _ZN5aiter35fused_qk_rmsnorm_group_quant_kernelIDF16_DB8_Li512ELi16ELi8ELb0ELb1ELb0ELb0ELb0ELb0EEEvPT0_PvPT_S6_S6_PKS5_S8_S8_S8_S8_ffiiiiiiiiiiiii
		.amdhsa_group_segment_fixed_size 64
		.amdhsa_private_segment_fixed_size 0
		.amdhsa_kernarg_size 400
		.amdhsa_user_sgpr_count 6
		.amdhsa_user_sgpr_private_segment_buffer 1
		.amdhsa_user_sgpr_dispatch_ptr 0
		.amdhsa_user_sgpr_queue_ptr 0
		.amdhsa_user_sgpr_kernarg_segment_ptr 1
		.amdhsa_user_sgpr_dispatch_id 0
		.amdhsa_user_sgpr_flat_scratch_init 0
		.amdhsa_user_sgpr_kernarg_preload_length 0
		.amdhsa_user_sgpr_kernarg_preload_offset 0
		.amdhsa_user_sgpr_private_segment_size 0
		.amdhsa_uses_dynamic_stack 0
		.amdhsa_system_sgpr_private_segment_wavefront_offset 0
		.amdhsa_system_sgpr_workgroup_id_x 1
		.amdhsa_system_sgpr_workgroup_id_y 1
		.amdhsa_system_sgpr_workgroup_id_z 0
		.amdhsa_system_sgpr_workgroup_info 0
		.amdhsa_system_vgpr_workitem_id 0
		.amdhsa_next_free_vgpr 38
		.amdhsa_next_free_sgpr 36
		.amdhsa_accum_offset 40
		.amdhsa_reserve_vcc 1
		.amdhsa_reserve_flat_scratch 0
		.amdhsa_float_round_mode_32 0
		.amdhsa_float_round_mode_16_64 0
		.amdhsa_float_denorm_mode_32 3
		.amdhsa_float_denorm_mode_16_64 3
		.amdhsa_dx10_clamp 1
		.amdhsa_ieee_mode 1
		.amdhsa_fp16_overflow 0
		.amdhsa_tg_split 0
		.amdhsa_exception_fp_ieee_invalid_op 0
		.amdhsa_exception_fp_denorm_src 0
		.amdhsa_exception_fp_ieee_div_zero 0
		.amdhsa_exception_fp_ieee_overflow 0
		.amdhsa_exception_fp_ieee_underflow 0
		.amdhsa_exception_fp_ieee_inexact 0
		.amdhsa_exception_int_div_zero 0
	.end_amdhsa_kernel
	.section	.text._ZN5aiter35fused_qk_rmsnorm_group_quant_kernelIDF16_DB8_Li512ELi16ELi8ELb0ELb1ELb0ELb0ELb0ELb0EEEvPT0_PvPT_S6_S6_PKS5_S8_S8_S8_S8_ffiiiiiiiiiiiii,"axG",@progbits,_ZN5aiter35fused_qk_rmsnorm_group_quant_kernelIDF16_DB8_Li512ELi16ELi8ELb0ELb1ELb0ELb0ELb0ELb0EEEvPT0_PvPT_S6_S6_PKS5_S8_S8_S8_S8_ffiiiiiiiiiiiii,comdat
.Lfunc_end925:
	.size	_ZN5aiter35fused_qk_rmsnorm_group_quant_kernelIDF16_DB8_Li512ELi16ELi8ELb0ELb1ELb0ELb0ELb0ELb0EEEvPT0_PvPT_S6_S6_PKS5_S8_S8_S8_S8_ffiiiiiiiiiiiii, .Lfunc_end925-_ZN5aiter35fused_qk_rmsnorm_group_quant_kernelIDF16_DB8_Li512ELi16ELi8ELb0ELb1ELb0ELb0ELb0ELb0EEEvPT0_PvPT_S6_S6_PKS5_S8_S8_S8_S8_ffiiiiiiiiiiiii
                                        ; -- End function
	.section	.AMDGPU.csdata,"",@progbits
; Kernel info:
; codeLenInByte = 3684
; NumSgprs: 40
; NumVgprs: 38
; NumAgprs: 0
; TotalNumVgprs: 38
; ScratchSize: 0
; MemoryBound: 0
; FloatMode: 240
; IeeeMode: 1
; LDSByteSize: 64 bytes/workgroup (compile time only)
; SGPRBlocks: 4
; VGPRBlocks: 4
; NumSGPRsForWavesPerEU: 40
; NumVGPRsForWavesPerEU: 38
; AccumOffset: 40
; Occupancy: 8
; WaveLimiterHint : 0
; COMPUTE_PGM_RSRC2:SCRATCH_EN: 0
; COMPUTE_PGM_RSRC2:USER_SGPR: 6
; COMPUTE_PGM_RSRC2:TRAP_HANDLER: 0
; COMPUTE_PGM_RSRC2:TGID_X_EN: 1
; COMPUTE_PGM_RSRC2:TGID_Y_EN: 1
; COMPUTE_PGM_RSRC2:TGID_Z_EN: 0
; COMPUTE_PGM_RSRC2:TIDIG_COMP_CNT: 0
; COMPUTE_PGM_RSRC3_GFX90A:ACCUM_OFFSET: 9
; COMPUTE_PGM_RSRC3_GFX90A:TG_SPLIT: 0
	.section	.text._ZN5aiter35fused_qk_rmsnorm_group_quant_kernelItDB8_Li512ELi16ELi8ELb0ELb1ELb0ELb0ELb0ELb0EEEvPT0_PvPT_S6_S6_PKS5_S8_S8_S8_S8_ffiiiiiiiiiiiii,"axG",@progbits,_ZN5aiter35fused_qk_rmsnorm_group_quant_kernelItDB8_Li512ELi16ELi8ELb0ELb1ELb0ELb0ELb0ELb0EEEvPT0_PvPT_S6_S6_PKS5_S8_S8_S8_S8_ffiiiiiiiiiiiii,comdat
	.protected	_ZN5aiter35fused_qk_rmsnorm_group_quant_kernelItDB8_Li512ELi16ELi8ELb0ELb1ELb0ELb0ELb0ELb0EEEvPT0_PvPT_S6_S6_PKS5_S8_S8_S8_S8_ffiiiiiiiiiiiii ; -- Begin function _ZN5aiter35fused_qk_rmsnorm_group_quant_kernelItDB8_Li512ELi16ELi8ELb0ELb1ELb0ELb0ELb0ELb0EEEvPT0_PvPT_S6_S6_PKS5_S8_S8_S8_S8_ffiiiiiiiiiiiii
	.globl	_ZN5aiter35fused_qk_rmsnorm_group_quant_kernelItDB8_Li512ELi16ELi8ELb0ELb1ELb0ELb0ELb0ELb0EEEvPT0_PvPT_S6_S6_PKS5_S8_S8_S8_S8_ffiiiiiiiiiiiii
	.p2align	8
	.type	_ZN5aiter35fused_qk_rmsnorm_group_quant_kernelItDB8_Li512ELi16ELi8ELb0ELb1ELb0ELb0ELb0ELb0EEEvPT0_PvPT_S6_S6_PKS5_S8_S8_S8_S8_ffiiiiiiiiiiiii,@function
_ZN5aiter35fused_qk_rmsnorm_group_quant_kernelItDB8_Li512ELi16ELi8ELb0ELb1ELb0ELb0ELb0ELb0EEEvPT0_PvPT_S6_S6_PKS5_S8_S8_S8_S8_ffiiiiiiiiiiiii: ; @_ZN5aiter35fused_qk_rmsnorm_group_quant_kernelItDB8_Li512ELi16ELi8ELb0ELb1ELb0ELb0ELb0ELb0EEEvPT0_PvPT_S6_S6_PKS5_S8_S8_S8_S8_ffiiiiiiiiiiiii
; %bb.0:
	s_load_dwordx4 s[16:19], s[4:5], 0x50
	s_waitcnt lgkmcnt(0)
	s_cmp_ge_i32 s6, s18
	s_cbranch_scc1 .LBB926_12
; %bb.1:
	s_load_dwordx2 s[12:13], s[4:5], 0x48
	s_load_dwordx2 s[30:31], s[4:5], 0x30
	s_load_dwordx4 s[20:23], s[4:5], 0x60
	s_cmp_lg_u32 s7, 0
	s_cselect_b64 s[14:15], -1, 0
	s_cmp_eq_u32 s7, 0
	s_cselect_b64 vcc, -1, 0
	s_and_b64 s[0:1], vcc, exec
	s_waitcnt lgkmcnt(0)
	s_cselect_b32 s7, s19, s20
	s_add_i32 s0, s7, 1
	s_lshr_b32 s1, s0, 31
	s_add_i32 s0, s0, s1
	s_lshl_b32 s0, s0, 1
	v_lshlrev_b32_e32 v1, 4, v0
	s_and_b32 s10, s0, -4
	v_cmp_gt_i32_e64 s[2:3], s7, v1
	v_mov_b32_e32 v18, 0
	v_mov_b32_e32 v6, 0
	;; [unrolled: 1-line block ×17, first 2 shown]
	s_and_saveexec_b64 s[0:1], s[2:3]
	s_cbranch_execz .LBB926_3
; %bb.2:
	s_load_dwordx2 s[8:9], s[4:5], 0x28
	s_load_dwordx2 s[26:27], s[4:5], 0x40
	s_and_b64 s[24:25], vcc, exec
	s_cselect_b32 s11, s21, s22
	v_lshlrev_b32_e32 v19, 5, v0
	s_waitcnt lgkmcnt(0)
	s_cselect_b32 s18, s9, s31
	s_cselect_b32 s21, s8, s30
	s_mul_hi_i32 s9, s11, s6
	s_mul_i32 s8, s11, s6
	s_lshl_b64 s[8:9], s[8:9], 1
	s_add_u32 s24, s21, s8
	s_addc_u32 s18, s18, s9
	s_and_b64 s[8:9], vcc, exec
	s_mov_b32 s11, 0x20000
	s_cselect_b32 s8, s26, s12
	s_cselect_b32 s9, s27, s13
	s_and_b32 s25, s18, 0xffff
	s_mov_b32 s26, s10
	s_mov_b32 s27, s11
	s_and_b32 s9, s9, 0xffff
	buffer_load_dwordx4 v[14:17], v19, s[24:27], 0 offen
	buffer_load_dwordx4 v[10:13], v19, s[24:27], 16 offen
	buffer_load_dwordx4 v[6:9], v19, s[8:11], 0 offen
	buffer_load_dwordx4 v[2:5], v19, s[8:11], 16 offen
.LBB926_3:
	s_or_b64 exec, exec, s[0:1]
	v_mov_b32_e32 v19, 0
	v_mov_b32_e32 v32, 0
	;; [unrolled: 1-line block ×15, first 2 shown]
	s_and_saveexec_b64 s[0:1], s[2:3]
	s_cbranch_execz .LBB926_5
; %bb.4:
	s_waitcnt vmcnt(3)
	v_cvt_f32_u32_sdwa v18, v14 dst_sel:DWORD dst_unused:UNUSED_PAD src0_sel:WORD_0
	v_cvt_f32_u32_sdwa v19, v14 dst_sel:DWORD dst_unused:UNUSED_PAD src0_sel:WORD_1
	v_cvt_f32_u32_sdwa v32, v15 dst_sel:DWORD dst_unused:UNUSED_PAD src0_sel:WORD_0
	v_cvt_f32_u32_sdwa v33, v15 dst_sel:DWORD dst_unused:UNUSED_PAD src0_sel:WORD_1
	;; [unrolled: 2-line block ×4, first 2 shown]
	s_waitcnt vmcnt(2)
	v_cvt_f32_u32_sdwa v30, v10 dst_sel:DWORD dst_unused:UNUSED_PAD src0_sel:WORD_0
	v_cvt_f32_u32_sdwa v31, v10 dst_sel:DWORD dst_unused:UNUSED_PAD src0_sel:WORD_1
	v_cvt_f32_u32_sdwa v28, v11 dst_sel:DWORD dst_unused:UNUSED_PAD src0_sel:WORD_0
	v_cvt_f32_u32_sdwa v29, v11 dst_sel:DWORD dst_unused:UNUSED_PAD src0_sel:WORD_1
	;; [unrolled: 2-line block ×4, first 2 shown]
.LBB926_5:
	s_or_b64 exec, exec, s[0:1]
	s_waitcnt vmcnt(2)
	v_mul_f32_e32 v10, v19, v19
	v_fmac_f32_e32 v10, v18, v18
	v_fmac_f32_e32 v10, v32, v32
	;; [unrolled: 1-line block ×15, first 2 shown]
	v_and_b32_e32 v12, 63, v0
	v_cmp_eq_u32_e64 s[0:1], 63, v12
	v_mov_b32_dpp v11, v10 quad_perm:[1,0,3,2] row_mask:0xf bank_mask:0xf
	v_add_f32_e32 v10, v10, v11
	s_nop 1
	v_mov_b32_dpp v11, v10 quad_perm:[2,3,0,1] row_mask:0xf bank_mask:0xf
	v_add_f32_e32 v10, v10, v11
	s_nop 1
	v_mov_b32_dpp v11, v10 row_half_mirror row_mask:0xf bank_mask:0xf
	v_add_f32_e32 v10, v10, v11
	s_nop 1
	v_mov_b32_dpp v11, v10 row_mirror row_mask:0xf bank_mask:0xf
	v_add_f32_e32 v10, v10, v11
	s_nop 1
	v_mov_b32_dpp v11, v10 row_bcast:15 row_mask:0xf bank_mask:0xf
	v_add_f32_e32 v10, v10, v11
	s_nop 1
	v_mov_b32_dpp v11, v10 row_bcast:31 row_mask:0xf bank_mask:0xf
	s_and_saveexec_b64 s[8:9], s[0:1]
	s_cbranch_execz .LBB926_7
; %bb.6:
	v_add_f32_e32 v10, v10, v11
	v_lshrrev_b32_e32 v11, 4, v0
	v_and_b32_e32 v11, 60, v11
	ds_write_b32 v11, v10 offset:32
.LBB926_7:
	s_or_b64 exec, exec, s[8:9]
	v_and_b32_e32 v10, 7, v0
	v_lshlrev_b32_e32 v34, 2, v10
	s_waitcnt lgkmcnt(0)
	s_barrier
	ds_read_b32 v11, v34 offset:32
	s_load_dwordx2 s[28:29], s[4:5], 0x18
	s_waitcnt lgkmcnt(0)
	v_mov_b32_dpp v12, v11 quad_perm:[1,0,3,2] row_mask:0xf bank_mask:0xf
	v_add_f32_e32 v11, v11, v12
	s_nop 1
	v_mov_b32_dpp v12, v11 quad_perm:[2,3,0,1] row_mask:0xf bank_mask:0xf
	v_add_f32_e32 v11, v11, v12
	s_nop 1
	v_mov_b32_dpp v12, v11 row_half_mirror row_mask:0xf bank_mask:0xf
	s_and_saveexec_b64 s[8:9], s[2:3]
	s_cbranch_execz .LBB926_9
; %bb.8:
	v_cvt_f32_u32_e32 v13, s7
	v_add_f32_e32 v11, v11, v12
	v_mov_b32_e32 v15, s17
	v_mov_b32_e32 v16, s16
	v_div_scale_f32 v12, s[24:25], v13, v13, v11
	v_rcp_f32_e32 v14, v12
	v_cndmask_b32_e32 v15, v15, v16, vcc
	s_mov_b32 s7, 0x800000
	s_waitcnt vmcnt(1)
	v_cvt_f32_u32_sdwa v37, v9 dst_sel:DWORD dst_unused:UNUSED_PAD src0_sel:WORD_1
	v_fma_f32 v16, -v12, v14, 1.0
	v_fmac_f32_e32 v14, v16, v14
	v_div_scale_f32 v16, vcc, v11, v13, v11
	v_mul_f32_e32 v17, v16, v14
	v_fma_f32 v35, -v12, v17, v16
	v_fmac_f32_e32 v17, v35, v14
	v_fma_f32 v12, -v12, v17, v16
	v_div_fmas_f32 v12, v12, v14, v17
	v_div_fixup_f32 v11, v12, v13, v11
	v_add_f32_e32 v11, v15, v11
	v_mul_f32_e32 v12, 0x4b800000, v11
	v_cmp_gt_f32_e32 vcc, s7, v11
	v_cndmask_b32_e32 v11, v11, v12, vcc
	v_rsq_f32_e32 v11, v11
	v_cvt_f32_u32_sdwa v36, v9 dst_sel:DWORD dst_unused:UNUSED_PAD src0_sel:WORD_0
	s_waitcnt vmcnt(0)
	v_cvt_f32_u32_sdwa v9, v3 dst_sel:DWORD dst_unused:UNUSED_PAD src0_sel:WORD_1
	v_mul_f32_e32 v12, 0x45800000, v11
	v_cndmask_b32_e32 v12, v11, v12, vcc
	v_mov_b32_e32 v13, v12
	;;#ASMSTART
	v_pk_mul_f32 v[14:15], v[18:19], v[12:13]
	;;#ASMEND
	;;#ASMSTART
	v_pk_mul_f32 v[16:17], v[32:33], v[12:13]
	;;#ASMEND
	;; [unrolled: 3-line block ×8, first 2 shown]
	v_cvt_f32_u32_sdwa v19, v6 dst_sel:DWORD dst_unused:UNUSED_PAD src0_sel:WORD_1
	v_cvt_f32_u32_sdwa v18, v6 dst_sel:DWORD dst_unused:UNUSED_PAD src0_sel:WORD_0
	v_cvt_f32_u32_sdwa v21, v7 dst_sel:DWORD dst_unused:UNUSED_PAD src0_sel:WORD_1
	v_cvt_f32_u32_sdwa v20, v7 dst_sel:DWORD dst_unused:UNUSED_PAD src0_sel:WORD_0
	;; [unrolled: 2-line block ×3, first 2 shown]
	;;#ASMSTART
	v_pk_mul_f32 v[18:19], v[14:15], v[18:19]
	;;#ASMEND
	;;#ASMSTART
	v_pk_mul_f32 v[32:33], v[16:17], v[20:21]
	;;#ASMEND
	;; [unrolled: 3-line block ×4, first 2 shown]
	v_cvt_f32_u32_sdwa v7, v2 dst_sel:DWORD dst_unused:UNUSED_PAD src0_sel:WORD_1
	v_cvt_f32_u32_sdwa v6, v2 dst_sel:DWORD dst_unused:UNUSED_PAD src0_sel:WORD_0
	v_cvt_f32_u32_sdwa v8, v3 dst_sel:DWORD dst_unused:UNUSED_PAD src0_sel:WORD_0
	v_cvt_f32_u32_sdwa v3, v4 dst_sel:DWORD dst_unused:UNUSED_PAD src0_sel:WORD_1
	v_cvt_f32_u32_sdwa v2, v4 dst_sel:DWORD dst_unused:UNUSED_PAD src0_sel:WORD_0
	v_cvt_f32_u32_sdwa v15, v5 dst_sel:DWORD dst_unused:UNUSED_PAD src0_sel:WORD_1
	v_cvt_f32_u32_sdwa v14, v5 dst_sel:DWORD dst_unused:UNUSED_PAD src0_sel:WORD_0
	;;#ASMSTART
	v_pk_mul_f32 v[30:31], v[30:31], v[6:7]
	;;#ASMEND
	;;#ASMSTART
	v_pk_mul_f32 v[28:29], v[28:29], v[8:9]
	;;#ASMEND
	;; [unrolled: 3-line block ×4, first 2 shown]
.LBB926_9:
	s_or_b64 exec, exec, s[8:9]
	s_load_dword s7, s[4:5], 0x80
	s_mov_b64 s[8:9], -1
	s_and_b64 vcc, exec, s[14:15]
	s_cbranch_vccnz .LBB926_13
; %bb.10:
	s_andn2_b64 vcc, exec, s[8:9]
	s_cbranch_vccz .LBB926_16
.LBB926_11:
	s_cmp_lt_i32 s20, 1
	s_cbranch_scc0 .LBB926_25
.LBB926_12:
	s_endpgm
.LBB926_13:
	s_and_saveexec_b64 s[14:15], s[2:3]
	s_cbranch_execz .LBB926_15
; %bb.14:
	s_waitcnt lgkmcnt(0)
	s_mul_hi_i32 s9, s7, s6
	s_mul_i32 s8, s7, s6
	s_lshl_b64 s[8:9], s[8:9], 1
	s_add_u32 s8, s28, s8
	s_addc_u32 s9, s29, s9
	s_mov_b32 s16, 0x7060302
	s_and_b32 s9, s9, 0xffff
	s_mov_b32 s11, 0x20000
	s_waitcnt vmcnt(0)
	v_perm_b32 v5, v25, v24, s16
	v_perm_b32 v4, v27, v26, s16
	;; [unrolled: 1-line block ×4, first 2 shown]
	v_lshlrev_b32_e32 v6, 5, v0
	buffer_store_dwordx4 v[2:5], v6, s[8:11], 0 offen
	;;#ASMSTART
	s_nop 0
	;;#ASMEND
	s_nop 0
	v_perm_b32 v5, v21, v20, s16
	v_perm_b32 v4, v23, v22, s16
	;; [unrolled: 1-line block ×4, first 2 shown]
	buffer_store_dwordx4 v[2:5], v6, s[8:11], 16 offen
	;;#ASMSTART
	s_nop 0
	;;#ASMEND
.LBB926_15:
	s_or_b64 exec, exec, s[14:15]
	s_cbranch_execnz .LBB926_11
.LBB926_16:
	s_load_dwordx4 s[24:27], s[4:5], 0x70
	s_waitcnt vmcnt(0)
	v_mov_b32_e32 v2, 0
	s_and_saveexec_b64 s[14:15], s[2:3]
	s_cbranch_execz .LBB926_18
; %bb.17:
	s_load_dwordx2 s[8:9], s[4:5], 0x10
	s_waitcnt lgkmcnt(0)
	s_mul_hi_i32 s35, s27, s6
	s_mul_i32 s34, s27, s6
	s_lshl_b64 s[34:35], s[34:35], 1
	s_mov_b32 s16, 0x7060302
	s_add_u32 s8, s8, s34
	s_addc_u32 s9, s9, s35
	s_mov_b32 s11, 0x20000
	s_and_b32 s9, s9, 0xffff
	v_perm_b32 v5, v25, v24, s16
	v_perm_b32 v4, v27, v26, s16
	;; [unrolled: 1-line block ×4, first 2 shown]
	v_lshlrev_b32_e32 v6, 5, v0
	buffer_store_dwordx4 v[2:5], v6, s[8:11], 0 offen
	;;#ASMSTART
	s_nop 0
	;;#ASMEND
	s_nop 0
	v_perm_b32 v5, v21, v20, s16
	v_perm_b32 v4, v23, v22, s16
	;; [unrolled: 1-line block ×4, first 2 shown]
	buffer_store_dwordx4 v[2:5], v6, s[8:11], 16 offen
	;;#ASMSTART
	s_nop 0
	;;#ASMEND
	s_nop 0
	v_mov_b32_e32 v2, 0x2edbe6ff
.LBB926_18:
	s_or_b64 exec, exec, s[14:15]
	s_and_saveexec_b64 s[8:9], s[2:3]
	s_cbranch_execz .LBB926_20
; %bb.19:
	v_and_b32_e32 v3, 0x7fffffff, v18
	v_and_b32_e32 v4, 0x7fffffff, v19
	;;#ASMSTART
	v_max3_f32 v2, v2, v3, v4

	;;#ASMEND
	v_and_b32_e32 v3, 0x7fffffff, v32
	v_and_b32_e32 v4, 0x7fffffff, v33
	;;#ASMSTART
	v_max3_f32 v2, v2, v3, v4

	;;#ASMEND
	;; [unrolled: 6-line block ×8, first 2 shown]
.LBB926_20:
	s_or_b64 exec, exec, s[8:9]
	;;#ASMSTART
	v_max_f32 v3, v2, v2 quad_perm:[1,0,3,2] row_mask:0xf bank_mask:0xf bound_ctrl:1
	;;#ASMEND
	;;#ASMSTART
	v_max_f32 v2, v3, v3 quad_perm:[2,3,0,1] row_mask:0xf bank_mask:0xf bound_ctrl:1
	;;#ASMEND
	v_cmp_eq_u32_e32 vcc, 0, v10
	v_cmp_gt_i32_e64 s[8:9], s19, v1
	;;#ASMSTART
	v_max_f32 v3, v2, v2 row_half_mirror row_mask:0xf bank_mask:0xf bound_ctrl:1
	;;#ASMEND
	v_mul_f32_e32 v2, 0x3b124925, v3
	s_and_b64 s[10:11], vcc, s[8:9]
	s_and_saveexec_b64 s[8:9], s[10:11]
	s_cbranch_execz .LBB926_22
; %bb.21:
	s_load_dwordx2 s[10:11], s[4:5], 0x8
	s_waitcnt lgkmcnt(0)
	s_mul_hi_i32 s15, s25, s6
	s_mul_i32 s14, s25, s6
	v_lshrrev_b32_e32 v3, 3, v0
	s_lshl_b64 s[14:15], s[14:15], 2
	v_mad_i64_i32 v[4:5], s[26:27], s26, v3, 0
	s_add_u32 s10, s10, s14
	s_addc_u32 s11, s11, s15
	v_lshlrev_b64 v[4:5], 2, v[4:5]
	v_mov_b32_e32 v3, s11
	v_add_co_u32_e32 v4, vcc, s10, v4
	v_addc_co_u32_e32 v5, vcc, v3, v5, vcc
	global_store_dword v[4:5], v2, off
.LBB926_22:
	s_or_b64 exec, exec, s[8:9]
	;;#ASMSTART
	v_rcp_f32 v2, v2
	;;#ASMEND
	s_and_saveexec_b64 s[14:15], s[2:3]
	s_cbranch_execz .LBB926_24
; %bb.23:
	s_load_dwordx2 s[2:3], s[4:5], 0x0
	s_waitcnt lgkmcnt(0)
	s_mul_i32 s8, s24, s6
	s_mul_hi_i32 s9, s24, s6
	v_mov_b32_e32 v3, v2
	;;#ASMSTART
	v_pk_mul_f32 v[4:5], v[18:19], v[2:3]
	;;#ASMEND
	s_add_u32 s8, s2, s8
	s_addc_u32 s2, s3, s9
	s_add_i32 s3, s19, 3
	s_ashr_i32 s10, s3, 31
	v_mov_b32_e32 v10, 0xc3e00000
	v_mov_b32_e32 v11, 0x43e00000
	;;#ASMSTART
	v_med3_f32 v4, v4, v10, v11
v_med3_f32 v5, v5, v10, v11
v_cvt_pk_fp8_f32 v6, v4, v5
	;;#ASMEND
	s_and_b32 s9, s2, 0xffff
	s_lshr_b32 s2, s10, 30
	;;#ASMSTART
	v_pk_mul_f32 v[4:5], v[32:33], v[2:3]
	;;#ASMEND
	s_add_i32 s3, s3, s2
	;;#ASMSTART
	v_med3_f32 v4, v4, v10, v11
v_med3_f32 v5, v5, v10, v11
v_cvt_pk_fp8_f32 v7, v4, v5
	;;#ASMEND
	s_mov_b32 s2, 0x5040100
	v_perm_b32 v4, v7, v6, s2
	s_mov_b32 s2, 0x1060504
	v_perm_b32 v4, v4, v7, s2
	;;#ASMSTART
	v_pk_mul_f32 v[6:7], v[26:27], v[2:3]
	;;#ASMEND
	v_mov_b32_e32 v5, v7
	;;#ASMSTART
	v_med3_f32 v6, v6, v10, v11
v_med3_f32 v5, v5, v10, v11
v_cvt_pk_fp8_f32 v8, v6, v5
	;;#ASMEND
	;;#ASMSTART
	v_pk_mul_f32 v[6:7], v[24:25], v[2:3]
	;;#ASMEND
	v_mov_b32_e32 v5, v6
	;;#ASMSTART
	v_med3_f32 v5, v5, v10, v11
v_med3_f32 v7, v7, v10, v11
v_cvt_pk_fp8_f32 v6, v5, v7
	;;#ASMEND
	s_mov_b32 s2, 0x1000504
	v_perm_b32 v5, v8, v6, s2
	;;#ASMSTART
	v_pk_mul_f32 v[6:7], v[30:31], v[2:3]
	;;#ASMEND
	;;#ASMSTART
	v_med3_f32 v6, v6, v10, v11
v_med3_f32 v7, v7, v10, v11
v_cvt_pk_fp8_f32 v8, v6, v7
	;;#ASMEND
	;;#ASMSTART
	v_pk_mul_f32 v[6:7], v[28:29], v[2:3]
	;;#ASMEND
	;;#ASMSTART
	v_med3_f32 v6, v6, v10, v11
v_med3_f32 v7, v7, v10, v11
v_cvt_pk_fp8_f32 v9, v6, v7
	;;#ASMEND
	v_perm_b32 v6, v8, v9, s2
	;;#ASMSTART
	v_pk_mul_f32 v[8:9], v[22:23], v[2:3]
	;;#ASMEND
	v_mov_b32_e32 v7, v9
	;;#ASMSTART
	v_med3_f32 v8, v8, v10, v11
v_med3_f32 v7, v7, v10, v11
v_cvt_pk_fp8_f32 v9, v8, v7
	;;#ASMEND
	;;#ASMSTART
	v_pk_mul_f32 v[2:3], v[20:21], v[2:3]
	;;#ASMEND
	;;#ASMSTART
	v_med3_f32 v2, v2, v10, v11
v_med3_f32 v3, v3, v10, v11
v_cvt_pk_fp8_f32 v7, v2, v3
	;;#ASMEND
	s_and_b32 s10, s3, -4
	s_mov_b32 s11, 0x20000
	v_perm_b32 v7, v9, v7, s2
	buffer_store_dwordx4 v[4:7], v1, s[8:11], 0 offen
	;;#ASMSTART
	s_nop 0
	;;#ASMEND
.LBB926_24:
	s_or_b64 exec, exec, s[14:15]
	s_cmp_lt_i32 s20, 1
	s_cbranch_scc1 .LBB926_12
.LBB926_25:
	s_load_dword s2, s[4:5], 0x94
	s_waitcnt lgkmcnt(0)
	s_cmp_lg_u32 s2, 1
	s_cbranch_scc1 .LBB926_12
; %bb.26:
	s_lshl_b32 s2, s20, 1
	s_add_i32 s2, s2, 2
	v_cmp_gt_u32_e32 vcc, s20, v1
	s_and_b32 s14, s2, -4
	v_mov_b32_e32 v18, 0
	v_lshlrev_b32_e32 v1, 5, v0
	v_mov_b32_e32 v14, 0
	v_mov_b32_e32 v15, 0
	;; [unrolled: 1-line block ×8, first 2 shown]
	s_waitcnt vmcnt(1)
	v_mov_b32_e32 v6, 0
	v_mov_b32_e32 v7, 0
	;; [unrolled: 1-line block ×4, first 2 shown]
	s_waitcnt vmcnt(0)
	v_mov_b32_e32 v2, 0
	v_mov_b32_e32 v3, 0
	;; [unrolled: 1-line block ×4, first 2 shown]
	s_barrier
	s_and_saveexec_b64 s[2:3], vcc
	s_cbranch_execz .LBB926_28
; %bb.27:
	s_mul_hi_i32 s5, s22, s6
	s_mul_i32 s4, s22, s6
	s_and_b32 s13, s13, 0xffff
	s_lshl_b64 s[4:5], s[4:5], 1
	s_add_u32 s8, s30, s4
	s_mov_b32 s15, 0x20000
	s_addc_u32 s4, s31, s5
	s_and_b32 s9, s4, 0xffff
	s_mov_b32 s10, s14
	s_mov_b32 s11, s15
	buffer_load_dwordx4 v[14:17], v1, s[8:11], 0 offen
	buffer_load_dwordx4 v[10:13], v1, s[8:11], 16 offen
	;; [unrolled: 1-line block ×4, first 2 shown]
.LBB926_28:
	s_or_b64 exec, exec, s[2:3]
	v_mov_b32_e32 v19, 0
	v_mov_b32_e32 v32, 0
	v_mov_b32_e32 v33, 0
	v_mov_b32_e32 v30, 0
	v_mov_b32_e32 v31, 0
	v_mov_b32_e32 v28, 0
	v_mov_b32_e32 v29, 0
	v_mov_b32_e32 v26, 0
	v_mov_b32_e32 v27, 0
	v_mov_b32_e32 v24, 0
	v_mov_b32_e32 v25, 0
	v_mov_b32_e32 v22, 0
	v_mov_b32_e32 v23, 0
	v_mov_b32_e32 v20, 0
	v_mov_b32_e32 v21, 0
	s_and_saveexec_b64 s[2:3], vcc
	s_cbranch_execz .LBB926_30
; %bb.29:
	s_waitcnt vmcnt(3)
	v_cvt_f32_u32_sdwa v18, v14 dst_sel:DWORD dst_unused:UNUSED_PAD src0_sel:WORD_0
	v_cvt_f32_u32_sdwa v19, v14 dst_sel:DWORD dst_unused:UNUSED_PAD src0_sel:WORD_1
	v_cvt_f32_u32_sdwa v32, v15 dst_sel:DWORD dst_unused:UNUSED_PAD src0_sel:WORD_0
	v_cvt_f32_u32_sdwa v33, v15 dst_sel:DWORD dst_unused:UNUSED_PAD src0_sel:WORD_1
	;; [unrolled: 2-line block ×4, first 2 shown]
	s_waitcnt vmcnt(2)
	v_cvt_f32_u32_sdwa v26, v10 dst_sel:DWORD dst_unused:UNUSED_PAD src0_sel:WORD_0
	v_cvt_f32_u32_sdwa v27, v10 dst_sel:DWORD dst_unused:UNUSED_PAD src0_sel:WORD_1
	v_cvt_f32_u32_sdwa v24, v11 dst_sel:DWORD dst_unused:UNUSED_PAD src0_sel:WORD_0
	v_cvt_f32_u32_sdwa v25, v11 dst_sel:DWORD dst_unused:UNUSED_PAD src0_sel:WORD_1
	v_cvt_f32_u32_sdwa v22, v12 dst_sel:DWORD dst_unused:UNUSED_PAD src0_sel:WORD_0
	v_cvt_f32_u32_sdwa v23, v12 dst_sel:DWORD dst_unused:UNUSED_PAD src0_sel:WORD_1
	v_cvt_f32_u32_sdwa v20, v13 dst_sel:DWORD dst_unused:UNUSED_PAD src0_sel:WORD_0
	v_cvt_f32_u32_sdwa v21, v13 dst_sel:DWORD dst_unused:UNUSED_PAD src0_sel:WORD_1
.LBB926_30:
	s_or_b64 exec, exec, s[2:3]
	s_waitcnt vmcnt(2)
	v_mul_f32_e32 v10, v19, v19
	v_fmac_f32_e32 v10, v18, v18
	v_fmac_f32_e32 v10, v32, v32
	;; [unrolled: 1-line block ×15, first 2 shown]
	s_nop 1
	v_mov_b32_dpp v11, v10 quad_perm:[1,0,3,2] row_mask:0xf bank_mask:0xf
	v_add_f32_e32 v10, v10, v11
	s_nop 1
	v_mov_b32_dpp v11, v10 quad_perm:[2,3,0,1] row_mask:0xf bank_mask:0xf
	v_add_f32_e32 v10, v10, v11
	s_nop 1
	v_mov_b32_dpp v11, v10 row_half_mirror row_mask:0xf bank_mask:0xf
	v_add_f32_e32 v10, v10, v11
	s_nop 1
	v_mov_b32_dpp v11, v10 row_mirror row_mask:0xf bank_mask:0xf
	v_add_f32_e32 v10, v10, v11
	s_nop 1
	v_mov_b32_dpp v11, v10 row_bcast:15 row_mask:0xf bank_mask:0xf
	v_add_f32_e32 v10, v10, v11
	s_nop 1
	v_mov_b32_dpp v11, v10 row_bcast:31 row_mask:0xf bank_mask:0xf
	s_and_saveexec_b64 s[2:3], s[0:1]
	s_cbranch_execz .LBB926_32
; %bb.31:
	v_lshrrev_b32_e32 v0, 4, v0
	v_add_f32_e32 v10, v10, v11
	v_and_b32_e32 v0, 60, v0
	ds_write_b32 v0, v10
.LBB926_32:
	s_or_b64 exec, exec, s[2:3]
	s_waitcnt lgkmcnt(0)
	s_barrier
	ds_read_b32 v0, v34
	s_waitcnt lgkmcnt(0)
	s_nop 0
	v_mov_b32_dpp v10, v0 quad_perm:[1,0,3,2] row_mask:0xf bank_mask:0xf
	v_add_f32_e32 v0, v0, v10
	s_nop 1
	v_mov_b32_dpp v10, v0 quad_perm:[2,3,0,1] row_mask:0xf bank_mask:0xf
	v_add_f32_e32 v0, v0, v10
	s_nop 1
	v_mov_b32_dpp v10, v0 row_half_mirror row_mask:0xf bank_mask:0xf
	s_and_saveexec_b64 s[0:1], vcc
	s_cbranch_execz .LBB926_12
; %bb.33:
	v_cvt_f32_u32_e32 v11, s20
	v_add_f32_e32 v0, v0, v10
	s_mov_b32 s15, 0x20000
	v_div_scale_f32 v10, s[0:1], v11, v11, v0
	v_rcp_f32_e32 v12, v10
	v_div_scale_f32 v13, vcc, v0, v11, v0
	s_mov_b32 s0, 0x800000
	v_fma_f32 v14, -v10, v12, 1.0
	v_fmac_f32_e32 v12, v14, v12
	v_mul_f32_e32 v14, v13, v12
	v_fma_f32 v15, -v10, v14, v13
	v_fmac_f32_e32 v14, v15, v12
	v_fma_f32 v10, -v10, v14, v13
	v_div_fmas_f32 v10, v10, v12, v14
	v_div_fixup_f32 v0, v10, v11, v0
	v_add_f32_e32 v0, s17, v0
	v_mul_f32_e32 v10, 0x4b800000, v0
	v_cmp_gt_f32_e32 vcc, s0, v0
	v_cndmask_b32_e32 v0, v0, v10, vcc
	v_rsq_f32_e32 v0, v0
	s_mul_hi_i32 s1, s7, s6
	s_mul_i32 s0, s7, s6
	s_lshl_b64 s[0:1], s[0:1], 1
	v_mul_f32_e32 v10, 0x45800000, v0
	v_cndmask_b32_e32 v10, v0, v10, vcc
	v_mov_b32_e32 v11, v10
	s_add_u32 s12, s28, s0
	;;#ASMSTART
	v_pk_mul_f32 v[12:13], v[18:19], v[10:11]
	;;#ASMEND
	;;#ASMSTART
	v_pk_mul_f32 v[14:15], v[32:33], v[10:11]
	;;#ASMEND
	;; [unrolled: 3-line block ×8, first 2 shown]
	s_waitcnt vmcnt(1)
	v_cvt_f32_u32_sdwa v21, v6 dst_sel:DWORD dst_unused:UNUSED_PAD src0_sel:WORD_1
	v_cvt_f32_u32_sdwa v20, v6 dst_sel:DWORD dst_unused:UNUSED_PAD src0_sel:WORD_0
	v_cvt_f32_u32_sdwa v29, v7 dst_sel:DWORD dst_unused:UNUSED_PAD src0_sel:WORD_1
	v_cvt_f32_u32_sdwa v28, v7 dst_sel:DWORD dst_unused:UNUSED_PAD src0_sel:WORD_0
	;; [unrolled: 2-line block ×3, first 2 shown]
	s_addc_u32 s0, s29, s1
	v_cvt_f32_u32_sdwa v31, v9 dst_sel:DWORD dst_unused:UNUSED_PAD src0_sel:WORD_1
	v_cvt_f32_u32_sdwa v30, v9 dst_sel:DWORD dst_unused:UNUSED_PAD src0_sel:WORD_0
	;;#ASMSTART
	v_pk_mul_f32 v[8:9], v[12:13], v[20:21]
	;;#ASMEND
	;;#ASMSTART
	v_pk_mul_f32 v[12:13], v[14:15], v[28:29]
	;;#ASMEND
	;; [unrolled: 3-line block ×4, first 2 shown]
	s_waitcnt vmcnt(0)
	v_cvt_f32_u32_sdwa v17, v2 dst_sel:DWORD dst_unused:UNUSED_PAD src0_sel:WORD_1
	v_cvt_f32_u32_sdwa v16, v2 dst_sel:DWORD dst_unused:UNUSED_PAD src0_sel:WORD_0
	v_cvt_f32_u32_sdwa v19, v3 dst_sel:DWORD dst_unused:UNUSED_PAD src0_sel:WORD_1
	v_cvt_f32_u32_sdwa v18, v3 dst_sel:DWORD dst_unused:UNUSED_PAD src0_sel:WORD_0
	;; [unrolled: 2-line block ×3, first 2 shown]
	s_and_b32 s13, s0, 0xffff
	s_mov_b32 s0, 0x7060302
	v_cvt_f32_u32_sdwa v21, v5 dst_sel:DWORD dst_unused:UNUSED_PAD src0_sel:WORD_1
	v_cvt_f32_u32_sdwa v20, v5 dst_sel:DWORD dst_unused:UNUSED_PAD src0_sel:WORD_0
	;;#ASMSTART
	v_pk_mul_f32 v[16:17], v[26:27], v[16:17]
	;;#ASMEND
	;;#ASMSTART
	v_pk_mul_f32 v[18:19], v[24:25], v[18:19]
	;;#ASMEND
	;; [unrolled: 3-line block ×3, first 2 shown]
	v_perm_b32 v2, v9, v8, s0
	v_perm_b32 v3, v13, v12, s0
	;; [unrolled: 1-line block ×4, first 2 shown]
	;;#ASMSTART
	v_pk_mul_f32 v[10:11], v[10:11], v[20:21]
	;;#ASMEND
	buffer_store_dwordx4 v[2:5], v1, s[12:15], 0 offen
	;;#ASMSTART
	s_nop 0
	;;#ASMEND
	s_nop 0
	v_perm_b32 v2, v17, v16, s0
	v_perm_b32 v3, v19, v18, s0
	;; [unrolled: 1-line block ×4, first 2 shown]
	buffer_store_dwordx4 v[2:5], v1, s[12:15], 16 offen
	;;#ASMSTART
	s_nop 0
	;;#ASMEND
	s_endpgm
	.section	.rodata,"a",@progbits
	.p2align	6, 0x0
	.amdhsa_kernel _ZN5aiter35fused_qk_rmsnorm_group_quant_kernelItDB8_Li512ELi16ELi8ELb0ELb1ELb0ELb0ELb0ELb0EEEvPT0_PvPT_S6_S6_PKS5_S8_S8_S8_S8_ffiiiiiiiiiiiii
		.amdhsa_group_segment_fixed_size 64
		.amdhsa_private_segment_fixed_size 0
		.amdhsa_kernarg_size 400
		.amdhsa_user_sgpr_count 6
		.amdhsa_user_sgpr_private_segment_buffer 1
		.amdhsa_user_sgpr_dispatch_ptr 0
		.amdhsa_user_sgpr_queue_ptr 0
		.amdhsa_user_sgpr_kernarg_segment_ptr 1
		.amdhsa_user_sgpr_dispatch_id 0
		.amdhsa_user_sgpr_flat_scratch_init 0
		.amdhsa_user_sgpr_kernarg_preload_length 0
		.amdhsa_user_sgpr_kernarg_preload_offset 0
		.amdhsa_user_sgpr_private_segment_size 0
		.amdhsa_uses_dynamic_stack 0
		.amdhsa_system_sgpr_private_segment_wavefront_offset 0
		.amdhsa_system_sgpr_workgroup_id_x 1
		.amdhsa_system_sgpr_workgroup_id_y 1
		.amdhsa_system_sgpr_workgroup_id_z 0
		.amdhsa_system_sgpr_workgroup_info 0
		.amdhsa_system_vgpr_workitem_id 0
		.amdhsa_next_free_vgpr 38
		.amdhsa_next_free_sgpr 36
		.amdhsa_accum_offset 40
		.amdhsa_reserve_vcc 1
		.amdhsa_reserve_flat_scratch 0
		.amdhsa_float_round_mode_32 0
		.amdhsa_float_round_mode_16_64 0
		.amdhsa_float_denorm_mode_32 3
		.amdhsa_float_denorm_mode_16_64 3
		.amdhsa_dx10_clamp 1
		.amdhsa_ieee_mode 1
		.amdhsa_fp16_overflow 0
		.amdhsa_tg_split 0
		.amdhsa_exception_fp_ieee_invalid_op 0
		.amdhsa_exception_fp_denorm_src 0
		.amdhsa_exception_fp_ieee_div_zero 0
		.amdhsa_exception_fp_ieee_overflow 0
		.amdhsa_exception_fp_ieee_underflow 0
		.amdhsa_exception_fp_ieee_inexact 0
		.amdhsa_exception_int_div_zero 0
	.end_amdhsa_kernel
	.section	.text._ZN5aiter35fused_qk_rmsnorm_group_quant_kernelItDB8_Li512ELi16ELi8ELb0ELb1ELb0ELb0ELb0ELb0EEEvPT0_PvPT_S6_S6_PKS5_S8_S8_S8_S8_ffiiiiiiiiiiiii,"axG",@progbits,_ZN5aiter35fused_qk_rmsnorm_group_quant_kernelItDB8_Li512ELi16ELi8ELb0ELb1ELb0ELb0ELb0ELb0EEEvPT0_PvPT_S6_S6_PKS5_S8_S8_S8_S8_ffiiiiiiiiiiiii,comdat
.Lfunc_end926:
	.size	_ZN5aiter35fused_qk_rmsnorm_group_quant_kernelItDB8_Li512ELi16ELi8ELb0ELb1ELb0ELb0ELb0ELb0EEEvPT0_PvPT_S6_S6_PKS5_S8_S8_S8_S8_ffiiiiiiiiiiiii, .Lfunc_end926-_ZN5aiter35fused_qk_rmsnorm_group_quant_kernelItDB8_Li512ELi16ELi8ELb0ELb1ELb0ELb0ELb0ELb0EEEvPT0_PvPT_S6_S6_PKS5_S8_S8_S8_S8_ffiiiiiiiiiiiii
                                        ; -- End function
	.section	.AMDGPU.csdata,"",@progbits
; Kernel info:
; codeLenInByte = 3656
; NumSgprs: 40
; NumVgprs: 38
; NumAgprs: 0
; TotalNumVgprs: 38
; ScratchSize: 0
; MemoryBound: 0
; FloatMode: 240
; IeeeMode: 1
; LDSByteSize: 64 bytes/workgroup (compile time only)
; SGPRBlocks: 4
; VGPRBlocks: 4
; NumSGPRsForWavesPerEU: 40
; NumVGPRsForWavesPerEU: 38
; AccumOffset: 40
; Occupancy: 8
; WaveLimiterHint : 0
; COMPUTE_PGM_RSRC2:SCRATCH_EN: 0
; COMPUTE_PGM_RSRC2:USER_SGPR: 6
; COMPUTE_PGM_RSRC2:TRAP_HANDLER: 0
; COMPUTE_PGM_RSRC2:TGID_X_EN: 1
; COMPUTE_PGM_RSRC2:TGID_Y_EN: 1
; COMPUTE_PGM_RSRC2:TGID_Z_EN: 0
; COMPUTE_PGM_RSRC2:TIDIG_COMP_CNT: 0
; COMPUTE_PGM_RSRC3_GFX90A:ACCUM_OFFSET: 9
; COMPUTE_PGM_RSRC3_GFX90A:TG_SPLIT: 0
	.section	.text._ZN5aiter35fused_qk_rmsnorm_group_quant_kernelIDF16_N4opus5fp4_tELi512ELi16ELi8ELb0ELb1ELb0ELb0ELb0ELb0EEEvPT0_PvPT_S7_S7_PKS6_S9_S9_S9_S9_ffiiiiiiiiiiiii,"axG",@progbits,_ZN5aiter35fused_qk_rmsnorm_group_quant_kernelIDF16_N4opus5fp4_tELi512ELi16ELi8ELb0ELb1ELb0ELb0ELb0ELb0EEEvPT0_PvPT_S7_S7_PKS6_S9_S9_S9_S9_ffiiiiiiiiiiiii,comdat
	.protected	_ZN5aiter35fused_qk_rmsnorm_group_quant_kernelIDF16_N4opus5fp4_tELi512ELi16ELi8ELb0ELb1ELb0ELb0ELb0ELb0EEEvPT0_PvPT_S7_S7_PKS6_S9_S9_S9_S9_ffiiiiiiiiiiiii ; -- Begin function _ZN5aiter35fused_qk_rmsnorm_group_quant_kernelIDF16_N4opus5fp4_tELi512ELi16ELi8ELb0ELb1ELb0ELb0ELb0ELb0EEEvPT0_PvPT_S7_S7_PKS6_S9_S9_S9_S9_ffiiiiiiiiiiiii
	.globl	_ZN5aiter35fused_qk_rmsnorm_group_quant_kernelIDF16_N4opus5fp4_tELi512ELi16ELi8ELb0ELb1ELb0ELb0ELb0ELb0EEEvPT0_PvPT_S7_S7_PKS6_S9_S9_S9_S9_ffiiiiiiiiiiiii
	.p2align	8
	.type	_ZN5aiter35fused_qk_rmsnorm_group_quant_kernelIDF16_N4opus5fp4_tELi512ELi16ELi8ELb0ELb1ELb0ELb0ELb0ELb0EEEvPT0_PvPT_S7_S7_PKS6_S9_S9_S9_S9_ffiiiiiiiiiiiii,@function
_ZN5aiter35fused_qk_rmsnorm_group_quant_kernelIDF16_N4opus5fp4_tELi512ELi16ELi8ELb0ELb1ELb0ELb0ELb0ELb0EEEvPT0_PvPT_S7_S7_PKS6_S9_S9_S9_S9_ffiiiiiiiiiiiii: ; @_ZN5aiter35fused_qk_rmsnorm_group_quant_kernelIDF16_N4opus5fp4_tELi512ELi16ELi8ELb0ELb1ELb0ELb0ELb0ELb0EEEvPT0_PvPT_S7_S7_PKS6_S9_S9_S9_S9_ffiiiiiiiiiiiii
; %bb.0:
	s_load_dwordx4 s[16:19], s[4:5], 0x50
	s_waitcnt lgkmcnt(0)
	s_cmp_ge_i32 s6, s18
	s_cbranch_scc1 .LBB927_12
; %bb.1:
	s_load_dwordx2 s[12:13], s[4:5], 0x48
	s_load_dwordx2 s[30:31], s[4:5], 0x30
	s_load_dwordx4 s[20:23], s[4:5], 0x60
	s_cmp_lg_u32 s7, 0
	s_cselect_b64 s[14:15], -1, 0
	s_cmp_eq_u32 s7, 0
	s_cselect_b64 vcc, -1, 0
	s_and_b64 s[0:1], vcc, exec
	s_waitcnt lgkmcnt(0)
	s_cselect_b32 s7, s19, s20
	s_add_i32 s0, s7, 1
	s_lshr_b32 s1, s0, 31
	s_add_i32 s0, s0, s1
	s_lshl_b32 s0, s0, 1
	v_lshlrev_b32_e32 v1, 4, v0
	s_and_b32 s10, s0, -4
	v_cmp_gt_i32_e64 s[2:3], s7, v1
	v_mov_b32_e32 v18, 0
	v_mov_b32_e32 v6, 0
	;; [unrolled: 1-line block ×17, first 2 shown]
	s_and_saveexec_b64 s[0:1], s[2:3]
	s_cbranch_execz .LBB927_3
; %bb.2:
	s_load_dwordx2 s[8:9], s[4:5], 0x28
	s_load_dwordx2 s[26:27], s[4:5], 0x40
	s_and_b64 s[24:25], vcc, exec
	s_cselect_b32 s11, s21, s22
	v_lshlrev_b32_e32 v19, 5, v0
	s_waitcnt lgkmcnt(0)
	s_cselect_b32 s18, s9, s31
	s_cselect_b32 s21, s8, s30
	s_mul_hi_i32 s9, s11, s6
	s_mul_i32 s8, s11, s6
	s_lshl_b64 s[8:9], s[8:9], 1
	s_add_u32 s24, s21, s8
	s_addc_u32 s18, s18, s9
	s_and_b64 s[8:9], vcc, exec
	s_mov_b32 s11, 0x20000
	s_cselect_b32 s8, s26, s12
	s_cselect_b32 s9, s27, s13
	s_and_b32 s25, s18, 0xffff
	s_mov_b32 s26, s10
	s_mov_b32 s27, s11
	s_and_b32 s9, s9, 0xffff
	buffer_load_dwordx4 v[14:17], v19, s[24:27], 0 offen
	buffer_load_dwordx4 v[10:13], v19, s[24:27], 16 offen
	;; [unrolled: 1-line block ×4, first 2 shown]
.LBB927_3:
	s_or_b64 exec, exec, s[0:1]
	v_mov_b32_e32 v19, 0
	v_mov_b32_e32 v24, 0
	v_mov_b32_e32 v25, 0
	v_mov_b32_e32 v20, 0
	v_mov_b32_e32 v21, 0
	v_mov_b32_e32 v22, 0
	v_mov_b32_e32 v23, 0
	v_mov_b32_e32 v32, 0
	v_mov_b32_e32 v33, 0
	v_mov_b32_e32 v30, 0
	v_mov_b32_e32 v31, 0
	v_mov_b32_e32 v26, 0
	v_mov_b32_e32 v27, 0
	v_mov_b32_e32 v28, 0
	v_mov_b32_e32 v29, 0
	s_and_saveexec_b64 s[0:1], s[2:3]
	s_cbranch_execz .LBB927_5
; %bb.4:
	s_waitcnt vmcnt(3)
	v_cvt_f32_f16_sdwa v19, v14 dst_sel:DWORD dst_unused:UNUSED_PAD src0_sel:WORD_1
	v_cvt_f32_f16_e32 v18, v14
	v_cvt_f32_f16_sdwa v25, v15 dst_sel:DWORD dst_unused:UNUSED_PAD src0_sel:WORD_1
	v_cvt_f32_f16_e32 v24, v15
	;; [unrolled: 2-line block ×4, first 2 shown]
	s_waitcnt vmcnt(2)
	v_cvt_f32_f16_sdwa v33, v10 dst_sel:DWORD dst_unused:UNUSED_PAD src0_sel:WORD_1
	v_cvt_f32_f16_e32 v32, v10
	v_cvt_f32_f16_sdwa v31, v11 dst_sel:DWORD dst_unused:UNUSED_PAD src0_sel:WORD_1
	v_cvt_f32_f16_e32 v30, v11
	v_cvt_f32_f16_sdwa v27, v12 dst_sel:DWORD dst_unused:UNUSED_PAD src0_sel:WORD_1
	v_cvt_f32_f16_e32 v26, v12
	v_cvt_f32_f16_sdwa v29, v13 dst_sel:DWORD dst_unused:UNUSED_PAD src0_sel:WORD_1
	v_cvt_f32_f16_e32 v28, v13
.LBB927_5:
	s_or_b64 exec, exec, s[0:1]
	s_waitcnt vmcnt(2)
	v_mul_f32_e32 v10, v19, v19
	v_fmac_f32_e32 v10, v18, v18
	v_fmac_f32_e32 v10, v24, v24
	;; [unrolled: 1-line block ×15, first 2 shown]
	v_and_b32_e32 v12, 63, v0
	v_cmp_eq_u32_e64 s[0:1], 63, v12
	v_mov_b32_dpp v11, v10 quad_perm:[1,0,3,2] row_mask:0xf bank_mask:0xf
	v_add_f32_e32 v10, v10, v11
	s_nop 1
	v_mov_b32_dpp v11, v10 quad_perm:[2,3,0,1] row_mask:0xf bank_mask:0xf
	v_add_f32_e32 v10, v10, v11
	s_nop 1
	v_mov_b32_dpp v11, v10 row_half_mirror row_mask:0xf bank_mask:0xf
	v_add_f32_e32 v10, v10, v11
	s_nop 1
	v_mov_b32_dpp v11, v10 row_mirror row_mask:0xf bank_mask:0xf
	v_add_f32_e32 v10, v10, v11
	s_nop 1
	v_mov_b32_dpp v11, v10 row_bcast:15 row_mask:0xf bank_mask:0xf
	v_add_f32_e32 v10, v10, v11
	s_nop 1
	v_mov_b32_dpp v11, v10 row_bcast:31 row_mask:0xf bank_mask:0xf
	s_and_saveexec_b64 s[8:9], s[0:1]
	s_cbranch_execz .LBB927_7
; %bb.6:
	v_add_f32_e32 v10, v10, v11
	v_lshrrev_b32_e32 v11, 4, v0
	v_and_b32_e32 v11, 60, v11
	ds_write_b32 v11, v10 offset:32
.LBB927_7:
	s_or_b64 exec, exec, s[8:9]
	v_and_b32_e32 v10, 7, v0
	v_lshlrev_b32_e32 v34, 2, v10
	s_waitcnt lgkmcnt(0)
	s_barrier
	ds_read_b32 v11, v34 offset:32
	s_load_dwordx2 s[28:29], s[4:5], 0x18
	s_waitcnt lgkmcnt(0)
	v_mov_b32_dpp v12, v11 quad_perm:[1,0,3,2] row_mask:0xf bank_mask:0xf
	v_add_f32_e32 v11, v11, v12
	s_nop 1
	v_mov_b32_dpp v12, v11 quad_perm:[2,3,0,1] row_mask:0xf bank_mask:0xf
	v_add_f32_e32 v11, v11, v12
	s_nop 1
	v_mov_b32_dpp v12, v11 row_half_mirror row_mask:0xf bank_mask:0xf
	s_and_saveexec_b64 s[8:9], s[2:3]
	s_cbranch_execz .LBB927_9
; %bb.8:
	v_cvt_f32_u32_e32 v13, s7
	v_add_f32_e32 v11, v11, v12
	v_mov_b32_e32 v15, s17
	v_mov_b32_e32 v16, s16
	v_div_scale_f32 v12, s[24:25], v13, v13, v11
	v_rcp_f32_e32 v14, v12
	v_cndmask_b32_e32 v15, v15, v16, vcc
	s_mov_b32 s7, 0x800000
	v_fma_f32 v16, -v12, v14, 1.0
	v_fmac_f32_e32 v14, v16, v14
	v_div_scale_f32 v16, vcc, v11, v13, v11
	v_mul_f32_e32 v17, v16, v14
	v_fma_f32 v35, -v12, v17, v16
	v_fmac_f32_e32 v17, v35, v14
	v_fma_f32 v12, -v12, v17, v16
	v_div_fmas_f32 v12, v12, v14, v17
	v_div_fixup_f32 v11, v12, v13, v11
	v_add_f32_e32 v11, v15, v11
	v_mul_f32_e32 v12, 0x4b800000, v11
	v_cmp_gt_f32_e32 vcc, s7, v11
	v_cndmask_b32_e32 v11, v11, v12, vcc
	v_rsq_f32_e32 v11, v11
	v_mul_f32_e32 v12, 0x45800000, v11
	v_cndmask_b32_e32 v12, v11, v12, vcc
	v_mov_b32_e32 v13, v12
	;;#ASMSTART
	v_pk_mul_f32 v[14:15], v[18:19], v[12:13]
	;;#ASMEND
	;;#ASMSTART
	v_pk_mul_f32 v[16:17], v[24:25], v[12:13]
	;;#ASMEND
	;; [unrolled: 3-line block ×8, first 2 shown]
	s_waitcnt vmcnt(1)
	v_cvt_f32_f16_sdwa v19, v6 dst_sel:DWORD dst_unused:UNUSED_PAD src0_sel:WORD_1
	v_cvt_f32_f16_e32 v18, v6
	v_cvt_f32_f16_sdwa v25, v7 dst_sel:DWORD dst_unused:UNUSED_PAD src0_sel:WORD_1
	v_cvt_f32_f16_e32 v24, v7
	;; [unrolled: 2-line block ×4, first 2 shown]
	;;#ASMSTART
	v_pk_mul_f32 v[18:19], v[14:15], v[18:19]
	;;#ASMEND
	;;#ASMSTART
	v_pk_mul_f32 v[24:25], v[16:17], v[24:25]
	;;#ASMEND
	;; [unrolled: 3-line block ×4, first 2 shown]
	s_waitcnt vmcnt(0)
	v_cvt_f32_f16_sdwa v7, v2 dst_sel:DWORD dst_unused:UNUSED_PAD src0_sel:WORD_1
	v_cvt_f32_f16_e32 v6, v2
	v_cvt_f32_f16_sdwa v9, v3 dst_sel:DWORD dst_unused:UNUSED_PAD src0_sel:WORD_1
	v_cvt_f32_f16_e32 v8, v3
	;; [unrolled: 2-line block ×4, first 2 shown]
	;;#ASMSTART
	v_pk_mul_f32 v[32:33], v[32:33], v[6:7]
	;;#ASMEND
	;;#ASMSTART
	v_pk_mul_f32 v[30:31], v[30:31], v[8:9]
	;;#ASMEND
	;; [unrolled: 3-line block ×4, first 2 shown]
.LBB927_9:
	s_or_b64 exec, exec, s[8:9]
	s_load_dword s7, s[4:5], 0x80
	s_mov_b64 s[8:9], -1
	s_and_b64 vcc, exec, s[14:15]
	s_cbranch_vccnz .LBB927_13
; %bb.10:
	s_andn2_b64 vcc, exec, s[8:9]
	s_cbranch_vccz .LBB927_16
.LBB927_11:
	s_cmp_lt_i32 s20, 1
	s_cbranch_scc0 .LBB927_25
.LBB927_12:
	s_endpgm
.LBB927_13:
	s_and_saveexec_b64 s[14:15], s[2:3]
	s_cbranch_execz .LBB927_15
; %bb.14:
	s_waitcnt lgkmcnt(0)
	s_mul_hi_i32 s9, s7, s6
	s_mul_i32 s8, s7, s6
	s_waitcnt vmcnt(0)
	v_cvt_f16_f32_e32 v2, v18
	v_cvt_f16_f32_e32 v3, v24
	;; [unrolled: 1-line block ×8, first 2 shown]
	s_lshl_b64 s[8:9], s[8:9], 1
	s_add_u32 s8, s28, s8
	s_addc_u32 s9, s29, s9
	s_and_b32 s9, s9, 0xffff
	s_mov_b32 s11, 0x20000
	v_pack_b32_f16 v5, v5, v6
	v_pack_b32_f16 v4, v4, v7
	;; [unrolled: 1-line block ×4, first 2 shown]
	v_lshlrev_b32_e32 v6, 5, v0
	buffer_store_dwordx4 v[2:5], v6, s[8:11], 0 offen
	v_cvt_f16_f32_e32 v7, v29
	v_cvt_f16_f32_e32 v2, v32
	;; [unrolled: 1-line block ×8, first 2 shown]
	v_pack_b32_f16 v5, v5, v7
	v_pack_b32_f16 v4, v4, v8
	;; [unrolled: 1-line block ×4, first 2 shown]
	;;#ASMSTART
	s_nop 0
	;;#ASMEND
	buffer_store_dwordx4 v[2:5], v6, s[8:11], 16 offen
	;;#ASMSTART
	s_nop 0
	;;#ASMEND
.LBB927_15:
	s_or_b64 exec, exec, s[14:15]
	s_cbranch_execnz .LBB927_11
.LBB927_16:
	s_load_dwordx4 s[24:27], s[4:5], 0x70
	s_waitcnt vmcnt(0)
	v_mov_b32_e32 v2, 0
	s_and_saveexec_b64 s[14:15], s[2:3]
	s_cbranch_execz .LBB927_18
; %bb.17:
	s_load_dwordx2 s[8:9], s[4:5], 0x10
	s_waitcnt lgkmcnt(0)
	s_mul_hi_i32 s35, s27, s6
	s_mul_i32 s34, s27, s6
	v_cvt_f16_f32_e32 v2, v18
	v_cvt_f16_f32_e32 v3, v24
	;; [unrolled: 1-line block ×8, first 2 shown]
	s_lshl_b64 s[34:35], s[34:35], 1
	s_add_u32 s8, s8, s34
	s_addc_u32 s9, s9, s35
	s_mov_b32 s11, 0x20000
	s_and_b32 s9, s9, 0xffff
	v_pack_b32_f16 v5, v5, v6
	v_pack_b32_f16 v4, v4, v7
	;; [unrolled: 1-line block ×4, first 2 shown]
	v_lshlrev_b32_e32 v6, 5, v0
	buffer_store_dwordx4 v[2:5], v6, s[8:11], 0 offen
	v_cvt_f16_f32_e32 v7, v29
	v_cvt_f16_f32_e32 v2, v32
	;; [unrolled: 1-line block ×8, first 2 shown]
	v_pack_b32_f16 v5, v5, v7
	v_pack_b32_f16 v4, v4, v8
	v_pack_b32_f16 v3, v3, v9
	v_pack_b32_f16 v2, v2, v11
	;;#ASMSTART
	s_nop 0
	;;#ASMEND
	buffer_store_dwordx4 v[2:5], v6, s[8:11], 16 offen
	;;#ASMSTART
	s_nop 0
	;;#ASMEND
	s_nop 0
	v_mov_b32_e32 v2, 0x2edbe6ff
.LBB927_18:
	s_or_b64 exec, exec, s[14:15]
	s_and_saveexec_b64 s[8:9], s[2:3]
	s_cbranch_execz .LBB927_20
; %bb.19:
	v_and_b32_e32 v3, 0x7fffffff, v18
	v_and_b32_e32 v4, 0x7fffffff, v19
	;;#ASMSTART
	v_max3_f32 v2, v2, v3, v4

	;;#ASMEND
	v_and_b32_e32 v3, 0x7fffffff, v24
	v_and_b32_e32 v4, 0x7fffffff, v25
	;;#ASMSTART
	v_max3_f32 v2, v2, v3, v4

	;;#ASMEND
	;; [unrolled: 6-line block ×8, first 2 shown]
.LBB927_20:
	s_or_b64 exec, exec, s[8:9]
	v_cmp_eq_u32_e32 vcc, 0, v10
	v_cmp_gt_i32_e64 s[8:9], s19, v1
	s_and_b64 s[10:11], vcc, s[8:9]
	;;#ASMSTART
	v_max_f32 v3, v2, v2 quad_perm:[1,0,3,2] row_mask:0xf bank_mask:0xf bound_ctrl:1
	;;#ASMEND
	;;#ASMSTART
	v_max_f32 v4, v3, v3 quad_perm:[2,3,0,1] row_mask:0xf bank_mask:0xf bound_ctrl:1
	;;#ASMEND
	;;#ASMSTART
	v_max_f32 v2, v4, v4 row_half_mirror row_mask:0xf bank_mask:0xf bound_ctrl:1
	;;#ASMEND
	s_and_saveexec_b64 s[8:9], s[10:11]
	s_cbranch_execz .LBB927_22
; %bb.21:
	s_load_dwordx2 s[10:11], s[4:5], 0x8
	v_mul_f32_e32 v2, 0x3e2aaaab, v2
	v_lshrrev_b32_e32 v3, 23, v2
	v_and_b32_e32 v4, 0x7f800000, v2
	v_and_b32_e32 v2, 0x7fffff, v2
	v_cmp_ne_u32_e32 vcc, 0, v2
	s_waitcnt lgkmcnt(0)
	s_mul_i32 s16, s25, s6
	s_mov_b32 s14, 0x7f800000
	v_addc_co_u32_e32 v2, vcc, 0, v3, vcc
	s_mul_hi_i32 s15, s25, s6
	s_add_u32 s10, s10, s16
	v_cmp_ne_u32_e32 vcc, s14, v4
	s_addc_u32 s11, s11, s15
	v_lshrrev_b32_e32 v5, 3, v0
	v_cndmask_b32_e32 v4, -1, v2, vcc
	v_pk_mov_b32 v[2:3], s[10:11], s[10:11] op_sel:[0,1]
	v_mad_i64_i32 v[2:3], s[10:11], s26, v5, v[2:3]
	global_store_byte v[2:3], v4, off
.LBB927_22:
	s_or_b64 exec, exec, s[8:9]
	s_and_saveexec_b64 s[8:9], s[2:3]
	s_cbranch_execz .LBB927_24
; %bb.23:
	s_load_dwordx2 s[2:3], s[4:5], 0x0
	s_waitcnt lgkmcnt(0)
	s_mul_i32 s11, s24, s6
	s_mul_hi_i32 s10, s24, s6
	v_mov_b32_e32 v2, 0
	v_lshlrev_b32_e32 v4, 3, v0
	s_add_u32 s24, s2, s11
	s_addc_u32 s2, s3, s10
	s_lshr_b32 s3, s19, 31
	s_add_i32 s3, s19, s3
	s_ashr_i32 s3, s3, 1
	s_add_i32 s3, s3, 3
	s_ashr_i32 s10, s3, 31
	s_lshr_b32 s10, s10, 30
	s_add_i32 s3, s3, s10
	s_and_b32 s26, s3, -4
	s_and_b32 s25, s2, 0xffff
	s_mov_b32 s27, 0x20000
	v_mov_b32_e32 v3, v2
	buffer_store_dwordx2 v[2:3], v4, s[24:27], 0 offen
	;;#ASMSTART
	s_nop 0
	;;#ASMEND
.LBB927_24:
	s_or_b64 exec, exec, s[8:9]
	s_cmp_lt_i32 s20, 1
	s_cbranch_scc1 .LBB927_12
.LBB927_25:
	s_load_dword s2, s[4:5], 0x94
	s_waitcnt lgkmcnt(0)
	s_cmp_lg_u32 s2, 1
	s_cbranch_scc1 .LBB927_12
; %bb.26:
	s_lshl_b32 s2, s20, 1
	s_add_i32 s2, s2, 2
	v_cmp_gt_u32_e32 vcc, s20, v1
	s_and_b32 s14, s2, -4
	v_mov_b32_e32 v18, 0
	v_lshlrev_b32_e32 v1, 5, v0
	v_mov_b32_e32 v14, 0
	v_mov_b32_e32 v15, 0
	;; [unrolled: 1-line block ×8, first 2 shown]
	s_waitcnt vmcnt(1)
	v_mov_b32_e32 v6, 0
	v_mov_b32_e32 v7, 0
	v_mov_b32_e32 v8, 0
	v_mov_b32_e32 v9, 0
	s_waitcnt vmcnt(0)
	v_mov_b32_e32 v2, 0
	v_mov_b32_e32 v3, 0
	;; [unrolled: 1-line block ×4, first 2 shown]
	s_barrier
	s_and_saveexec_b64 s[2:3], vcc
	s_cbranch_execz .LBB927_28
; %bb.27:
	s_mul_hi_i32 s5, s22, s6
	s_mul_i32 s4, s22, s6
	s_and_b32 s13, s13, 0xffff
	s_lshl_b64 s[4:5], s[4:5], 1
	s_add_u32 s8, s30, s4
	s_mov_b32 s15, 0x20000
	s_addc_u32 s4, s31, s5
	s_and_b32 s9, s4, 0xffff
	s_mov_b32 s10, s14
	s_mov_b32 s11, s15
	buffer_load_dwordx4 v[14:17], v1, s[8:11], 0 offen
	buffer_load_dwordx4 v[10:13], v1, s[8:11], 16 offen
	;; [unrolled: 1-line block ×4, first 2 shown]
.LBB927_28:
	s_or_b64 exec, exec, s[2:3]
	v_mov_b32_e32 v19, 0
	v_mov_b32_e32 v32, 0
	v_mov_b32_e32 v33, 0
	v_mov_b32_e32 v30, 0
	v_mov_b32_e32 v31, 0
	v_mov_b32_e32 v28, 0
	v_mov_b32_e32 v29, 0
	v_mov_b32_e32 v26, 0
	v_mov_b32_e32 v27, 0
	v_mov_b32_e32 v24, 0
	v_mov_b32_e32 v25, 0
	v_mov_b32_e32 v22, 0
	v_mov_b32_e32 v23, 0
	v_mov_b32_e32 v20, 0
	v_mov_b32_e32 v21, 0
	s_and_saveexec_b64 s[2:3], vcc
	s_cbranch_execz .LBB927_30
; %bb.29:
	s_waitcnt vmcnt(3)
	v_cvt_f32_f16_sdwa v19, v14 dst_sel:DWORD dst_unused:UNUSED_PAD src0_sel:WORD_1
	v_cvt_f32_f16_e32 v18, v14
	v_cvt_f32_f16_sdwa v33, v15 dst_sel:DWORD dst_unused:UNUSED_PAD src0_sel:WORD_1
	v_cvt_f32_f16_e32 v32, v15
	;; [unrolled: 2-line block ×4, first 2 shown]
	s_waitcnt vmcnt(2)
	v_cvt_f32_f16_sdwa v27, v10 dst_sel:DWORD dst_unused:UNUSED_PAD src0_sel:WORD_1
	v_cvt_f32_f16_e32 v26, v10
	v_cvt_f32_f16_sdwa v25, v11 dst_sel:DWORD dst_unused:UNUSED_PAD src0_sel:WORD_1
	v_cvt_f32_f16_e32 v24, v11
	;; [unrolled: 2-line block ×4, first 2 shown]
.LBB927_30:
	s_or_b64 exec, exec, s[2:3]
	s_waitcnt vmcnt(2)
	v_mul_f32_e32 v10, v19, v19
	v_fmac_f32_e32 v10, v18, v18
	v_fmac_f32_e32 v10, v32, v32
	;; [unrolled: 1-line block ×15, first 2 shown]
	s_nop 1
	v_mov_b32_dpp v11, v10 quad_perm:[1,0,3,2] row_mask:0xf bank_mask:0xf
	v_add_f32_e32 v10, v10, v11
	s_nop 1
	v_mov_b32_dpp v11, v10 quad_perm:[2,3,0,1] row_mask:0xf bank_mask:0xf
	v_add_f32_e32 v10, v10, v11
	s_nop 1
	v_mov_b32_dpp v11, v10 row_half_mirror row_mask:0xf bank_mask:0xf
	v_add_f32_e32 v10, v10, v11
	s_nop 1
	v_mov_b32_dpp v11, v10 row_mirror row_mask:0xf bank_mask:0xf
	v_add_f32_e32 v10, v10, v11
	s_nop 1
	v_mov_b32_dpp v11, v10 row_bcast:15 row_mask:0xf bank_mask:0xf
	v_add_f32_e32 v10, v10, v11
	s_nop 1
	v_mov_b32_dpp v11, v10 row_bcast:31 row_mask:0xf bank_mask:0xf
	s_and_saveexec_b64 s[2:3], s[0:1]
	s_cbranch_execz .LBB927_32
; %bb.31:
	v_lshrrev_b32_e32 v0, 4, v0
	v_add_f32_e32 v10, v10, v11
	v_and_b32_e32 v0, 60, v0
	ds_write_b32 v0, v10
.LBB927_32:
	s_or_b64 exec, exec, s[2:3]
	s_waitcnt lgkmcnt(0)
	s_barrier
	ds_read_b32 v0, v34
	s_waitcnt lgkmcnt(0)
	s_nop 0
	v_mov_b32_dpp v10, v0 quad_perm:[1,0,3,2] row_mask:0xf bank_mask:0xf
	v_add_f32_e32 v0, v0, v10
	s_nop 1
	v_mov_b32_dpp v10, v0 quad_perm:[2,3,0,1] row_mask:0xf bank_mask:0xf
	v_add_f32_e32 v0, v0, v10
	s_nop 1
	v_mov_b32_dpp v10, v0 row_half_mirror row_mask:0xf bank_mask:0xf
	s_and_saveexec_b64 s[0:1], vcc
	s_cbranch_execz .LBB927_12
; %bb.33:
	v_cvt_f32_u32_e32 v11, s20
	v_add_f32_e32 v0, v0, v10
	s_mov_b32 s15, 0x20000
	v_div_scale_f32 v10, s[0:1], v11, v11, v0
	v_rcp_f32_e32 v12, v10
	v_div_scale_f32 v13, vcc, v0, v11, v0
	s_mov_b32 s0, 0x800000
	v_fma_f32 v14, -v10, v12, 1.0
	v_fmac_f32_e32 v12, v14, v12
	v_mul_f32_e32 v14, v13, v12
	v_fma_f32 v15, -v10, v14, v13
	v_fmac_f32_e32 v14, v15, v12
	v_fma_f32 v10, -v10, v14, v13
	v_div_fmas_f32 v10, v10, v12, v14
	v_div_fixup_f32 v0, v10, v11, v0
	v_add_f32_e32 v0, s17, v0
	v_mul_f32_e32 v10, 0x4b800000, v0
	v_cmp_gt_f32_e32 vcc, s0, v0
	v_cndmask_b32_e32 v0, v0, v10, vcc
	v_rsq_f32_e32 v0, v0
	s_mul_hi_i32 s1, s7, s6
	s_mul_i32 s0, s7, s6
	s_lshl_b64 s[0:1], s[0:1], 1
	v_mul_f32_e32 v10, 0x45800000, v0
	v_cndmask_b32_e32 v10, v0, v10, vcc
	v_mov_b32_e32 v11, v10
	;;#ASMSTART
	v_pk_mul_f32 v[12:13], v[18:19], v[10:11]
	;;#ASMEND
	;;#ASMSTART
	v_pk_mul_f32 v[14:15], v[32:33], v[10:11]
	;;#ASMEND
	;; [unrolled: 3-line block ×8, first 2 shown]
	s_waitcnt vmcnt(1)
	v_cvt_f32_f16_sdwa v21, v6 dst_sel:DWORD dst_unused:UNUSED_PAD src0_sel:WORD_1
	v_cvt_f32_f16_e32 v20, v6
	v_cvt_f32_f16_sdwa v29, v7 dst_sel:DWORD dst_unused:UNUSED_PAD src0_sel:WORD_1
	v_cvt_f32_f16_e32 v28, v7
	;; [unrolled: 2-line block ×4, first 2 shown]
	;;#ASMSTART
	v_pk_mul_f32 v[8:9], v[12:13], v[20:21]
	;;#ASMEND
	;;#ASMSTART
	v_pk_mul_f32 v[12:13], v[14:15], v[28:29]
	;;#ASMEND
	;; [unrolled: 3-line block ×4, first 2 shown]
	s_waitcnt vmcnt(0)
	v_cvt_f32_f16_sdwa v17, v2 dst_sel:DWORD dst_unused:UNUSED_PAD src0_sel:WORD_1
	v_cvt_f32_f16_e32 v16, v2
	v_cvt_f32_f16_sdwa v19, v3 dst_sel:DWORD dst_unused:UNUSED_PAD src0_sel:WORD_1
	v_cvt_f32_f16_e32 v18, v3
	;; [unrolled: 2-line block ×4, first 2 shown]
	;;#ASMSTART
	v_pk_mul_f32 v[16:17], v[26:27], v[16:17]
	;;#ASMEND
	;;#ASMSTART
	v_pk_mul_f32 v[18:19], v[24:25], v[18:19]
	;;#ASMEND
	;;#ASMSTART
	v_pk_mul_f32 v[22:23], v[22:23], v[2:3]
	;;#ASMEND
	v_cvt_f16_f32_e32 v0, v8
	v_cvt_f16_f32_e32 v2, v9
	;; [unrolled: 1-line block ×8, first 2 shown]
	s_add_u32 s12, s28, s0
	s_addc_u32 s0, s29, s1
	s_and_b32 s13, s0, 0xffff
	v_pack_b32_f16 v2, v0, v2
	v_pack_b32_f16 v3, v3, v4
	;; [unrolled: 1-line block ×4, first 2 shown]
	;;#ASMSTART
	v_pk_mul_f32 v[10:11], v[10:11], v[20:21]
	;;#ASMEND
	buffer_store_dwordx4 v[2:5], v1, s[12:15], 0 offen
	v_cvt_f16_f32_e32 v0, v16
	v_cvt_f16_f32_e32 v2, v17
	;; [unrolled: 1-line block ×8, first 2 shown]
	v_pack_b32_f16 v2, v0, v2
	v_pack_b32_f16 v3, v3, v4
	;; [unrolled: 1-line block ×4, first 2 shown]
	;;#ASMSTART
	s_nop 0
	;;#ASMEND
	buffer_store_dwordx4 v[2:5], v1, s[12:15], 16 offen
	;;#ASMSTART
	s_nop 0
	;;#ASMEND
	s_endpgm
	.section	.rodata,"a",@progbits
	.p2align	6, 0x0
	.amdhsa_kernel _ZN5aiter35fused_qk_rmsnorm_group_quant_kernelIDF16_N4opus5fp4_tELi512ELi16ELi8ELb0ELb1ELb0ELb0ELb0ELb0EEEvPT0_PvPT_S7_S7_PKS6_S9_S9_S9_S9_ffiiiiiiiiiiiii
		.amdhsa_group_segment_fixed_size 64
		.amdhsa_private_segment_fixed_size 0
		.amdhsa_kernarg_size 400
		.amdhsa_user_sgpr_count 6
		.amdhsa_user_sgpr_private_segment_buffer 1
		.amdhsa_user_sgpr_dispatch_ptr 0
		.amdhsa_user_sgpr_queue_ptr 0
		.amdhsa_user_sgpr_kernarg_segment_ptr 1
		.amdhsa_user_sgpr_dispatch_id 0
		.amdhsa_user_sgpr_flat_scratch_init 0
		.amdhsa_user_sgpr_kernarg_preload_length 0
		.amdhsa_user_sgpr_kernarg_preload_offset 0
		.amdhsa_user_sgpr_private_segment_size 0
		.amdhsa_uses_dynamic_stack 0
		.amdhsa_system_sgpr_private_segment_wavefront_offset 0
		.amdhsa_system_sgpr_workgroup_id_x 1
		.amdhsa_system_sgpr_workgroup_id_y 1
		.amdhsa_system_sgpr_workgroup_id_z 0
		.amdhsa_system_sgpr_workgroup_info 0
		.amdhsa_system_vgpr_workitem_id 0
		.amdhsa_next_free_vgpr 36
		.amdhsa_next_free_sgpr 36
		.amdhsa_accum_offset 36
		.amdhsa_reserve_vcc 1
		.amdhsa_reserve_flat_scratch 0
		.amdhsa_float_round_mode_32 0
		.amdhsa_float_round_mode_16_64 0
		.amdhsa_float_denorm_mode_32 3
		.amdhsa_float_denorm_mode_16_64 3
		.amdhsa_dx10_clamp 1
		.amdhsa_ieee_mode 1
		.amdhsa_fp16_overflow 0
		.amdhsa_tg_split 0
		.amdhsa_exception_fp_ieee_invalid_op 0
		.amdhsa_exception_fp_denorm_src 0
		.amdhsa_exception_fp_ieee_div_zero 0
		.amdhsa_exception_fp_ieee_overflow 0
		.amdhsa_exception_fp_ieee_underflow 0
		.amdhsa_exception_fp_ieee_inexact 0
		.amdhsa_exception_int_div_zero 0
	.end_amdhsa_kernel
	.section	.text._ZN5aiter35fused_qk_rmsnorm_group_quant_kernelIDF16_N4opus5fp4_tELi512ELi16ELi8ELb0ELb1ELb0ELb0ELb0ELb0EEEvPT0_PvPT_S7_S7_PKS6_S9_S9_S9_S9_ffiiiiiiiiiiiii,"axG",@progbits,_ZN5aiter35fused_qk_rmsnorm_group_quant_kernelIDF16_N4opus5fp4_tELi512ELi16ELi8ELb0ELb1ELb0ELb0ELb0ELb0EEEvPT0_PvPT_S7_S7_PKS6_S9_S9_S9_S9_ffiiiiiiiiiiiii,comdat
.Lfunc_end927:
	.size	_ZN5aiter35fused_qk_rmsnorm_group_quant_kernelIDF16_N4opus5fp4_tELi512ELi16ELi8ELb0ELb1ELb0ELb0ELb0ELb0EEEvPT0_PvPT_S7_S7_PKS6_S9_S9_S9_S9_ffiiiiiiiiiiiii, .Lfunc_end927-_ZN5aiter35fused_qk_rmsnorm_group_quant_kernelIDF16_N4opus5fp4_tELi512ELi16ELi8ELb0ELb1ELb0ELb0ELb0ELb0EEEvPT0_PvPT_S7_S7_PKS6_S9_S9_S9_S9_ffiiiiiiiiiiiii
                                        ; -- End function
	.section	.AMDGPU.csdata,"",@progbits
; Kernel info:
; codeLenInByte = 3376
; NumSgprs: 40
; NumVgprs: 36
; NumAgprs: 0
; TotalNumVgprs: 36
; ScratchSize: 0
; MemoryBound: 0
; FloatMode: 240
; IeeeMode: 1
; LDSByteSize: 64 bytes/workgroup (compile time only)
; SGPRBlocks: 4
; VGPRBlocks: 4
; NumSGPRsForWavesPerEU: 40
; NumVGPRsForWavesPerEU: 36
; AccumOffset: 36
; Occupancy: 8
; WaveLimiterHint : 0
; COMPUTE_PGM_RSRC2:SCRATCH_EN: 0
; COMPUTE_PGM_RSRC2:USER_SGPR: 6
; COMPUTE_PGM_RSRC2:TRAP_HANDLER: 0
; COMPUTE_PGM_RSRC2:TGID_X_EN: 1
; COMPUTE_PGM_RSRC2:TGID_Y_EN: 1
; COMPUTE_PGM_RSRC2:TGID_Z_EN: 0
; COMPUTE_PGM_RSRC2:TIDIG_COMP_CNT: 0
; COMPUTE_PGM_RSRC3_GFX90A:ACCUM_OFFSET: 8
; COMPUTE_PGM_RSRC3_GFX90A:TG_SPLIT: 0
	.section	.text._ZN5aiter35fused_qk_rmsnorm_group_quant_kernelItN4opus5fp4_tELi512ELi16ELi8ELb0ELb1ELb0ELb0ELb0ELb0EEEvPT0_PvPT_S7_S7_PKS6_S9_S9_S9_S9_ffiiiiiiiiiiiii,"axG",@progbits,_ZN5aiter35fused_qk_rmsnorm_group_quant_kernelItN4opus5fp4_tELi512ELi16ELi8ELb0ELb1ELb0ELb0ELb0ELb0EEEvPT0_PvPT_S7_S7_PKS6_S9_S9_S9_S9_ffiiiiiiiiiiiii,comdat
	.protected	_ZN5aiter35fused_qk_rmsnorm_group_quant_kernelItN4opus5fp4_tELi512ELi16ELi8ELb0ELb1ELb0ELb0ELb0ELb0EEEvPT0_PvPT_S7_S7_PKS6_S9_S9_S9_S9_ffiiiiiiiiiiiii ; -- Begin function _ZN5aiter35fused_qk_rmsnorm_group_quant_kernelItN4opus5fp4_tELi512ELi16ELi8ELb0ELb1ELb0ELb0ELb0ELb0EEEvPT0_PvPT_S7_S7_PKS6_S9_S9_S9_S9_ffiiiiiiiiiiiii
	.globl	_ZN5aiter35fused_qk_rmsnorm_group_quant_kernelItN4opus5fp4_tELi512ELi16ELi8ELb0ELb1ELb0ELb0ELb0ELb0EEEvPT0_PvPT_S7_S7_PKS6_S9_S9_S9_S9_ffiiiiiiiiiiiii
	.p2align	8
	.type	_ZN5aiter35fused_qk_rmsnorm_group_quant_kernelItN4opus5fp4_tELi512ELi16ELi8ELb0ELb1ELb0ELb0ELb0ELb0EEEvPT0_PvPT_S7_S7_PKS6_S9_S9_S9_S9_ffiiiiiiiiiiiii,@function
_ZN5aiter35fused_qk_rmsnorm_group_quant_kernelItN4opus5fp4_tELi512ELi16ELi8ELb0ELb1ELb0ELb0ELb0ELb0EEEvPT0_PvPT_S7_S7_PKS6_S9_S9_S9_S9_ffiiiiiiiiiiiii: ; @_ZN5aiter35fused_qk_rmsnorm_group_quant_kernelItN4opus5fp4_tELi512ELi16ELi8ELb0ELb1ELb0ELb0ELb0ELb0EEEvPT0_PvPT_S7_S7_PKS6_S9_S9_S9_S9_ffiiiiiiiiiiiii
; %bb.0:
	s_load_dwordx4 s[16:19], s[4:5], 0x50
	s_waitcnt lgkmcnt(0)
	s_cmp_ge_i32 s6, s18
	s_cbranch_scc1 .LBB928_12
; %bb.1:
	s_load_dwordx2 s[12:13], s[4:5], 0x48
	s_load_dwordx2 s[30:31], s[4:5], 0x30
	s_load_dwordx4 s[20:23], s[4:5], 0x60
	s_cmp_lg_u32 s7, 0
	s_cselect_b64 s[14:15], -1, 0
	s_cmp_eq_u32 s7, 0
	s_cselect_b64 vcc, -1, 0
	s_and_b64 s[0:1], vcc, exec
	s_waitcnt lgkmcnt(0)
	s_cselect_b32 s7, s19, s20
	s_add_i32 s0, s7, 1
	s_lshr_b32 s1, s0, 31
	s_add_i32 s0, s0, s1
	s_lshl_b32 s0, s0, 1
	v_lshlrev_b32_e32 v1, 4, v0
	s_and_b32 s10, s0, -4
	v_cmp_gt_i32_e64 s[2:3], s7, v1
	v_mov_b32_e32 v18, 0
	v_mov_b32_e32 v6, 0
	;; [unrolled: 1-line block ×17, first 2 shown]
	s_and_saveexec_b64 s[0:1], s[2:3]
	s_cbranch_execz .LBB928_3
; %bb.2:
	s_load_dwordx2 s[8:9], s[4:5], 0x28
	s_load_dwordx2 s[26:27], s[4:5], 0x40
	s_and_b64 s[24:25], vcc, exec
	s_cselect_b32 s11, s21, s22
	v_lshlrev_b32_e32 v19, 5, v0
	s_waitcnt lgkmcnt(0)
	s_cselect_b32 s18, s9, s31
	s_cselect_b32 s21, s8, s30
	s_mul_hi_i32 s9, s11, s6
	s_mul_i32 s8, s11, s6
	s_lshl_b64 s[8:9], s[8:9], 1
	s_add_u32 s24, s21, s8
	s_addc_u32 s18, s18, s9
	s_and_b64 s[8:9], vcc, exec
	s_mov_b32 s11, 0x20000
	s_cselect_b32 s8, s26, s12
	s_cselect_b32 s9, s27, s13
	s_and_b32 s25, s18, 0xffff
	s_mov_b32 s26, s10
	s_mov_b32 s27, s11
	s_and_b32 s9, s9, 0xffff
	buffer_load_dwordx4 v[14:17], v19, s[24:27], 0 offen
	buffer_load_dwordx4 v[10:13], v19, s[24:27], 16 offen
	buffer_load_dwordx4 v[6:9], v19, s[8:11], 0 offen
	buffer_load_dwordx4 v[2:5], v19, s[8:11], 16 offen
.LBB928_3:
	s_or_b64 exec, exec, s[0:1]
	v_mov_b32_e32 v19, 0
	v_mov_b32_e32 v24, 0
	;; [unrolled: 1-line block ×15, first 2 shown]
	s_and_saveexec_b64 s[0:1], s[2:3]
	s_cbranch_execz .LBB928_5
; %bb.4:
	s_waitcnt vmcnt(3)
	v_cvt_f32_u32_sdwa v18, v14 dst_sel:DWORD dst_unused:UNUSED_PAD src0_sel:WORD_0
	v_cvt_f32_u32_sdwa v19, v14 dst_sel:DWORD dst_unused:UNUSED_PAD src0_sel:WORD_1
	v_cvt_f32_u32_sdwa v24, v15 dst_sel:DWORD dst_unused:UNUSED_PAD src0_sel:WORD_0
	v_cvt_f32_u32_sdwa v25, v15 dst_sel:DWORD dst_unused:UNUSED_PAD src0_sel:WORD_1
	;; [unrolled: 2-line block ×4, first 2 shown]
	s_waitcnt vmcnt(2)
	v_cvt_f32_u32_sdwa v32, v10 dst_sel:DWORD dst_unused:UNUSED_PAD src0_sel:WORD_0
	v_cvt_f32_u32_sdwa v33, v10 dst_sel:DWORD dst_unused:UNUSED_PAD src0_sel:WORD_1
	v_cvt_f32_u32_sdwa v30, v11 dst_sel:DWORD dst_unused:UNUSED_PAD src0_sel:WORD_0
	v_cvt_f32_u32_sdwa v31, v11 dst_sel:DWORD dst_unused:UNUSED_PAD src0_sel:WORD_1
	;; [unrolled: 2-line block ×4, first 2 shown]
.LBB928_5:
	s_or_b64 exec, exec, s[0:1]
	s_waitcnt vmcnt(2)
	v_mul_f32_e32 v10, v19, v19
	v_fmac_f32_e32 v10, v18, v18
	v_fmac_f32_e32 v10, v24, v24
	;; [unrolled: 1-line block ×15, first 2 shown]
	v_and_b32_e32 v12, 63, v0
	v_cmp_eq_u32_e64 s[0:1], 63, v12
	v_mov_b32_dpp v11, v10 quad_perm:[1,0,3,2] row_mask:0xf bank_mask:0xf
	v_add_f32_e32 v10, v10, v11
	s_nop 1
	v_mov_b32_dpp v11, v10 quad_perm:[2,3,0,1] row_mask:0xf bank_mask:0xf
	v_add_f32_e32 v10, v10, v11
	s_nop 1
	v_mov_b32_dpp v11, v10 row_half_mirror row_mask:0xf bank_mask:0xf
	v_add_f32_e32 v10, v10, v11
	s_nop 1
	v_mov_b32_dpp v11, v10 row_mirror row_mask:0xf bank_mask:0xf
	v_add_f32_e32 v10, v10, v11
	s_nop 1
	v_mov_b32_dpp v11, v10 row_bcast:15 row_mask:0xf bank_mask:0xf
	v_add_f32_e32 v10, v10, v11
	s_nop 1
	v_mov_b32_dpp v11, v10 row_bcast:31 row_mask:0xf bank_mask:0xf
	s_and_saveexec_b64 s[8:9], s[0:1]
	s_cbranch_execz .LBB928_7
; %bb.6:
	v_add_f32_e32 v10, v10, v11
	v_lshrrev_b32_e32 v11, 4, v0
	v_and_b32_e32 v11, 60, v11
	ds_write_b32 v11, v10 offset:32
.LBB928_7:
	s_or_b64 exec, exec, s[8:9]
	v_and_b32_e32 v10, 7, v0
	v_lshlrev_b32_e32 v34, 2, v10
	s_waitcnt lgkmcnt(0)
	s_barrier
	ds_read_b32 v11, v34 offset:32
	s_load_dwordx2 s[28:29], s[4:5], 0x18
	s_waitcnt lgkmcnt(0)
	v_mov_b32_dpp v12, v11 quad_perm:[1,0,3,2] row_mask:0xf bank_mask:0xf
	v_add_f32_e32 v11, v11, v12
	s_nop 1
	v_mov_b32_dpp v12, v11 quad_perm:[2,3,0,1] row_mask:0xf bank_mask:0xf
	v_add_f32_e32 v11, v11, v12
	s_nop 1
	v_mov_b32_dpp v12, v11 row_half_mirror row_mask:0xf bank_mask:0xf
	s_and_saveexec_b64 s[8:9], s[2:3]
	s_cbranch_execz .LBB928_9
; %bb.8:
	v_cvt_f32_u32_e32 v13, s7
	v_add_f32_e32 v11, v11, v12
	v_mov_b32_e32 v15, s17
	v_mov_b32_e32 v16, s16
	v_div_scale_f32 v12, s[24:25], v13, v13, v11
	v_rcp_f32_e32 v14, v12
	v_cndmask_b32_e32 v15, v15, v16, vcc
	s_mov_b32 s7, 0x800000
	v_fma_f32 v16, -v12, v14, 1.0
	v_fmac_f32_e32 v14, v16, v14
	v_div_scale_f32 v16, vcc, v11, v13, v11
	v_mul_f32_e32 v17, v16, v14
	v_fma_f32 v35, -v12, v17, v16
	v_fmac_f32_e32 v17, v35, v14
	v_fma_f32 v12, -v12, v17, v16
	v_div_fmas_f32 v12, v12, v14, v17
	v_div_fixup_f32 v11, v12, v13, v11
	v_add_f32_e32 v11, v15, v11
	v_mul_f32_e32 v12, 0x4b800000, v11
	v_cmp_gt_f32_e32 vcc, s7, v11
	v_cndmask_b32_e32 v11, v11, v12, vcc
	v_rsq_f32_e32 v11, v11
	v_mul_f32_e32 v12, 0x45800000, v11
	v_cndmask_b32_e32 v12, v11, v12, vcc
	v_mov_b32_e32 v13, v12
	;;#ASMSTART
	v_pk_mul_f32 v[14:15], v[18:19], v[12:13]
	;;#ASMEND
	;;#ASMSTART
	v_pk_mul_f32 v[16:17], v[24:25], v[12:13]
	;;#ASMEND
	;; [unrolled: 3-line block ×8, first 2 shown]
	s_waitcnt vmcnt(1)
	v_cvt_f32_u32_sdwa v19, v6 dst_sel:DWORD dst_unused:UNUSED_PAD src0_sel:WORD_1
	v_cvt_f32_u32_sdwa v18, v6 dst_sel:DWORD dst_unused:UNUSED_PAD src0_sel:WORD_0
	v_cvt_f32_u32_sdwa v25, v7 dst_sel:DWORD dst_unused:UNUSED_PAD src0_sel:WORD_1
	v_cvt_f32_u32_sdwa v24, v7 dst_sel:DWORD dst_unused:UNUSED_PAD src0_sel:WORD_0
	;; [unrolled: 2-line block ×4, first 2 shown]
	;;#ASMSTART
	v_pk_mul_f32 v[18:19], v[14:15], v[18:19]
	;;#ASMEND
	;;#ASMSTART
	v_pk_mul_f32 v[24:25], v[16:17], v[24:25]
	;;#ASMEND
	;; [unrolled: 3-line block ×4, first 2 shown]
	s_waitcnt vmcnt(0)
	v_cvt_f32_u32_sdwa v7, v2 dst_sel:DWORD dst_unused:UNUSED_PAD src0_sel:WORD_1
	v_cvt_f32_u32_sdwa v6, v2 dst_sel:DWORD dst_unused:UNUSED_PAD src0_sel:WORD_0
	v_cvt_f32_u32_sdwa v9, v3 dst_sel:DWORD dst_unused:UNUSED_PAD src0_sel:WORD_1
	v_cvt_f32_u32_sdwa v8, v3 dst_sel:DWORD dst_unused:UNUSED_PAD src0_sel:WORD_0
	v_cvt_f32_u32_sdwa v3, v4 dst_sel:DWORD dst_unused:UNUSED_PAD src0_sel:WORD_1
	v_cvt_f32_u32_sdwa v2, v4 dst_sel:DWORD dst_unused:UNUSED_PAD src0_sel:WORD_0
	v_cvt_f32_u32_sdwa v15, v5 dst_sel:DWORD dst_unused:UNUSED_PAD src0_sel:WORD_1
	v_cvt_f32_u32_sdwa v14, v5 dst_sel:DWORD dst_unused:UNUSED_PAD src0_sel:WORD_0
	;;#ASMSTART
	v_pk_mul_f32 v[32:33], v[32:33], v[6:7]
	;;#ASMEND
	;;#ASMSTART
	v_pk_mul_f32 v[30:31], v[30:31], v[8:9]
	;;#ASMEND
	;;#ASMSTART
	v_pk_mul_f32 v[26:27], v[26:27], v[2:3]
	;;#ASMEND
	;;#ASMSTART
	v_pk_mul_f32 v[28:29], v[12:13], v[14:15]
	;;#ASMEND
.LBB928_9:
	s_or_b64 exec, exec, s[8:9]
	s_load_dword s7, s[4:5], 0x80
	s_mov_b64 s[8:9], -1
	s_and_b64 vcc, exec, s[14:15]
	s_cbranch_vccnz .LBB928_13
; %bb.10:
	s_andn2_b64 vcc, exec, s[8:9]
	s_cbranch_vccz .LBB928_16
.LBB928_11:
	s_cmp_lt_i32 s20, 1
	s_cbranch_scc0 .LBB928_25
.LBB928_12:
	s_endpgm
.LBB928_13:
	s_and_saveexec_b64 s[14:15], s[2:3]
	s_cbranch_execz .LBB928_15
; %bb.14:
	s_waitcnt lgkmcnt(0)
	s_mul_hi_i32 s9, s7, s6
	s_mul_i32 s8, s7, s6
	s_lshl_b64 s[8:9], s[8:9], 1
	s_add_u32 s8, s28, s8
	s_addc_u32 s9, s29, s9
	s_mov_b32 s16, 0x7060302
	s_and_b32 s9, s9, 0xffff
	s_mov_b32 s11, 0x20000
	s_waitcnt vmcnt(0)
	v_perm_b32 v5, v23, v22, s16
	v_perm_b32 v4, v21, v20, s16
	v_perm_b32 v3, v25, v24, s16
	v_perm_b32 v2, v19, v18, s16
	v_lshlrev_b32_e32 v6, 5, v0
	buffer_store_dwordx4 v[2:5], v6, s[8:11], 0 offen
	;;#ASMSTART
	s_nop 0
	;;#ASMEND
	s_nop 0
	v_perm_b32 v5, v29, v28, s16
	v_perm_b32 v4, v27, v26, s16
	;; [unrolled: 1-line block ×4, first 2 shown]
	buffer_store_dwordx4 v[2:5], v6, s[8:11], 16 offen
	;;#ASMSTART
	s_nop 0
	;;#ASMEND
.LBB928_15:
	s_or_b64 exec, exec, s[14:15]
	s_cbranch_execnz .LBB928_11
.LBB928_16:
	s_load_dwordx4 s[24:27], s[4:5], 0x70
	s_waitcnt vmcnt(0)
	v_mov_b32_e32 v2, 0
	s_and_saveexec_b64 s[14:15], s[2:3]
	s_cbranch_execz .LBB928_18
; %bb.17:
	s_load_dwordx2 s[8:9], s[4:5], 0x10
	s_waitcnt lgkmcnt(0)
	s_mul_hi_i32 s35, s27, s6
	s_mul_i32 s34, s27, s6
	s_lshl_b64 s[34:35], s[34:35], 1
	s_mov_b32 s16, 0x7060302
	s_add_u32 s8, s8, s34
	s_addc_u32 s9, s9, s35
	s_mov_b32 s11, 0x20000
	s_and_b32 s9, s9, 0xffff
	v_perm_b32 v5, v23, v22, s16
	v_perm_b32 v4, v21, v20, s16
	;; [unrolled: 1-line block ×4, first 2 shown]
	v_lshlrev_b32_e32 v6, 5, v0
	buffer_store_dwordx4 v[2:5], v6, s[8:11], 0 offen
	;;#ASMSTART
	s_nop 0
	;;#ASMEND
	s_nop 0
	v_perm_b32 v5, v29, v28, s16
	v_perm_b32 v4, v27, v26, s16
	v_perm_b32 v3, v31, v30, s16
	v_perm_b32 v2, v33, v32, s16
	buffer_store_dwordx4 v[2:5], v6, s[8:11], 16 offen
	;;#ASMSTART
	s_nop 0
	;;#ASMEND
	s_nop 0
	v_mov_b32_e32 v2, 0x2edbe6ff
.LBB928_18:
	s_or_b64 exec, exec, s[14:15]
	s_and_saveexec_b64 s[8:9], s[2:3]
	s_cbranch_execz .LBB928_20
; %bb.19:
	v_and_b32_e32 v3, 0x7fffffff, v18
	v_and_b32_e32 v4, 0x7fffffff, v19
	;;#ASMSTART
	v_max3_f32 v2, v2, v3, v4

	;;#ASMEND
	v_and_b32_e32 v3, 0x7fffffff, v24
	v_and_b32_e32 v4, 0x7fffffff, v25
	;;#ASMSTART
	v_max3_f32 v2, v2, v3, v4

	;;#ASMEND
	;; [unrolled: 6-line block ×8, first 2 shown]
.LBB928_20:
	s_or_b64 exec, exec, s[8:9]
	v_cmp_eq_u32_e32 vcc, 0, v10
	v_cmp_gt_i32_e64 s[8:9], s19, v1
	s_and_b64 s[10:11], vcc, s[8:9]
	;;#ASMSTART
	v_max_f32 v3, v2, v2 quad_perm:[1,0,3,2] row_mask:0xf bank_mask:0xf bound_ctrl:1
	;;#ASMEND
	;;#ASMSTART
	v_max_f32 v4, v3, v3 quad_perm:[2,3,0,1] row_mask:0xf bank_mask:0xf bound_ctrl:1
	;;#ASMEND
	;;#ASMSTART
	v_max_f32 v2, v4, v4 row_half_mirror row_mask:0xf bank_mask:0xf bound_ctrl:1
	;;#ASMEND
	s_and_saveexec_b64 s[8:9], s[10:11]
	s_cbranch_execz .LBB928_22
; %bb.21:
	s_load_dwordx2 s[10:11], s[4:5], 0x8
	v_mul_f32_e32 v2, 0x3e2aaaab, v2
	v_lshrrev_b32_e32 v3, 23, v2
	v_and_b32_e32 v4, 0x7f800000, v2
	v_and_b32_e32 v2, 0x7fffff, v2
	v_cmp_ne_u32_e32 vcc, 0, v2
	s_waitcnt lgkmcnt(0)
	s_mul_i32 s16, s25, s6
	s_mov_b32 s14, 0x7f800000
	v_addc_co_u32_e32 v2, vcc, 0, v3, vcc
	s_mul_hi_i32 s15, s25, s6
	s_add_u32 s10, s10, s16
	v_cmp_ne_u32_e32 vcc, s14, v4
	s_addc_u32 s11, s11, s15
	v_lshrrev_b32_e32 v5, 3, v0
	v_cndmask_b32_e32 v4, -1, v2, vcc
	v_pk_mov_b32 v[2:3], s[10:11], s[10:11] op_sel:[0,1]
	v_mad_i64_i32 v[2:3], s[10:11], s26, v5, v[2:3]
	global_store_byte v[2:3], v4, off
.LBB928_22:
	s_or_b64 exec, exec, s[8:9]
	s_and_saveexec_b64 s[8:9], s[2:3]
	s_cbranch_execz .LBB928_24
; %bb.23:
	s_load_dwordx2 s[2:3], s[4:5], 0x0
	s_waitcnt lgkmcnt(0)
	s_mul_i32 s11, s24, s6
	s_mul_hi_i32 s10, s24, s6
	v_mov_b32_e32 v2, 0
	v_lshlrev_b32_e32 v4, 3, v0
	s_add_u32 s24, s2, s11
	s_addc_u32 s2, s3, s10
	s_lshr_b32 s3, s19, 31
	s_add_i32 s3, s19, s3
	s_ashr_i32 s3, s3, 1
	s_add_i32 s3, s3, 3
	s_ashr_i32 s10, s3, 31
	s_lshr_b32 s10, s10, 30
	s_add_i32 s3, s3, s10
	s_and_b32 s26, s3, -4
	s_and_b32 s25, s2, 0xffff
	s_mov_b32 s27, 0x20000
	v_mov_b32_e32 v3, v2
	buffer_store_dwordx2 v[2:3], v4, s[24:27], 0 offen
	;;#ASMSTART
	s_nop 0
	;;#ASMEND
.LBB928_24:
	s_or_b64 exec, exec, s[8:9]
	s_cmp_lt_i32 s20, 1
	s_cbranch_scc1 .LBB928_12
.LBB928_25:
	s_load_dword s2, s[4:5], 0x94
	s_waitcnt lgkmcnt(0)
	s_cmp_lg_u32 s2, 1
	s_cbranch_scc1 .LBB928_12
; %bb.26:
	s_lshl_b32 s2, s20, 1
	s_add_i32 s2, s2, 2
	v_cmp_gt_u32_e32 vcc, s20, v1
	s_and_b32 s14, s2, -4
	v_mov_b32_e32 v18, 0
	v_lshlrev_b32_e32 v1, 5, v0
	v_mov_b32_e32 v14, 0
	v_mov_b32_e32 v15, 0
	;; [unrolled: 1-line block ×8, first 2 shown]
	s_waitcnt vmcnt(1)
	v_mov_b32_e32 v6, 0
	v_mov_b32_e32 v7, 0
	;; [unrolled: 1-line block ×4, first 2 shown]
	s_waitcnt vmcnt(0)
	v_mov_b32_e32 v2, 0
	v_mov_b32_e32 v3, 0
	;; [unrolled: 1-line block ×4, first 2 shown]
	s_barrier
	s_and_saveexec_b64 s[2:3], vcc
	s_cbranch_execz .LBB928_28
; %bb.27:
	s_mul_hi_i32 s5, s22, s6
	s_mul_i32 s4, s22, s6
	s_and_b32 s13, s13, 0xffff
	s_lshl_b64 s[4:5], s[4:5], 1
	s_add_u32 s8, s30, s4
	s_mov_b32 s15, 0x20000
	s_addc_u32 s4, s31, s5
	s_and_b32 s9, s4, 0xffff
	s_mov_b32 s10, s14
	s_mov_b32 s11, s15
	buffer_load_dwordx4 v[14:17], v1, s[8:11], 0 offen
	buffer_load_dwordx4 v[10:13], v1, s[8:11], 16 offen
	;; [unrolled: 1-line block ×4, first 2 shown]
.LBB928_28:
	s_or_b64 exec, exec, s[2:3]
	v_mov_b32_e32 v19, 0
	v_mov_b32_e32 v32, 0
	;; [unrolled: 1-line block ×15, first 2 shown]
	s_and_saveexec_b64 s[2:3], vcc
	s_cbranch_execz .LBB928_30
; %bb.29:
	s_waitcnt vmcnt(3)
	v_cvt_f32_u32_sdwa v18, v14 dst_sel:DWORD dst_unused:UNUSED_PAD src0_sel:WORD_0
	v_cvt_f32_u32_sdwa v19, v14 dst_sel:DWORD dst_unused:UNUSED_PAD src0_sel:WORD_1
	v_cvt_f32_u32_sdwa v32, v15 dst_sel:DWORD dst_unused:UNUSED_PAD src0_sel:WORD_0
	v_cvt_f32_u32_sdwa v33, v15 dst_sel:DWORD dst_unused:UNUSED_PAD src0_sel:WORD_1
	;; [unrolled: 2-line block ×4, first 2 shown]
	s_waitcnt vmcnt(2)
	v_cvt_f32_u32_sdwa v26, v10 dst_sel:DWORD dst_unused:UNUSED_PAD src0_sel:WORD_0
	v_cvt_f32_u32_sdwa v27, v10 dst_sel:DWORD dst_unused:UNUSED_PAD src0_sel:WORD_1
	v_cvt_f32_u32_sdwa v24, v11 dst_sel:DWORD dst_unused:UNUSED_PAD src0_sel:WORD_0
	v_cvt_f32_u32_sdwa v25, v11 dst_sel:DWORD dst_unused:UNUSED_PAD src0_sel:WORD_1
	;; [unrolled: 2-line block ×4, first 2 shown]
.LBB928_30:
	s_or_b64 exec, exec, s[2:3]
	s_waitcnt vmcnt(2)
	v_mul_f32_e32 v10, v19, v19
	v_fmac_f32_e32 v10, v18, v18
	v_fmac_f32_e32 v10, v32, v32
	;; [unrolled: 1-line block ×15, first 2 shown]
	s_nop 1
	v_mov_b32_dpp v11, v10 quad_perm:[1,0,3,2] row_mask:0xf bank_mask:0xf
	v_add_f32_e32 v10, v10, v11
	s_nop 1
	v_mov_b32_dpp v11, v10 quad_perm:[2,3,0,1] row_mask:0xf bank_mask:0xf
	v_add_f32_e32 v10, v10, v11
	s_nop 1
	v_mov_b32_dpp v11, v10 row_half_mirror row_mask:0xf bank_mask:0xf
	v_add_f32_e32 v10, v10, v11
	s_nop 1
	v_mov_b32_dpp v11, v10 row_mirror row_mask:0xf bank_mask:0xf
	v_add_f32_e32 v10, v10, v11
	s_nop 1
	v_mov_b32_dpp v11, v10 row_bcast:15 row_mask:0xf bank_mask:0xf
	v_add_f32_e32 v10, v10, v11
	s_nop 1
	v_mov_b32_dpp v11, v10 row_bcast:31 row_mask:0xf bank_mask:0xf
	s_and_saveexec_b64 s[2:3], s[0:1]
	s_cbranch_execz .LBB928_32
; %bb.31:
	v_lshrrev_b32_e32 v0, 4, v0
	v_add_f32_e32 v10, v10, v11
	v_and_b32_e32 v0, 60, v0
	ds_write_b32 v0, v10
.LBB928_32:
	s_or_b64 exec, exec, s[2:3]
	s_waitcnt lgkmcnt(0)
	s_barrier
	ds_read_b32 v0, v34
	s_waitcnt lgkmcnt(0)
	s_nop 0
	v_mov_b32_dpp v10, v0 quad_perm:[1,0,3,2] row_mask:0xf bank_mask:0xf
	v_add_f32_e32 v0, v0, v10
	s_nop 1
	v_mov_b32_dpp v10, v0 quad_perm:[2,3,0,1] row_mask:0xf bank_mask:0xf
	v_add_f32_e32 v0, v0, v10
	s_nop 1
	v_mov_b32_dpp v10, v0 row_half_mirror row_mask:0xf bank_mask:0xf
	s_and_saveexec_b64 s[0:1], vcc
	s_cbranch_execz .LBB928_12
; %bb.33:
	v_cvt_f32_u32_e32 v11, s20
	v_add_f32_e32 v0, v0, v10
	s_mov_b32 s15, 0x20000
	v_div_scale_f32 v10, s[0:1], v11, v11, v0
	v_rcp_f32_e32 v12, v10
	v_div_scale_f32 v13, vcc, v0, v11, v0
	s_mov_b32 s0, 0x800000
	v_fma_f32 v14, -v10, v12, 1.0
	v_fmac_f32_e32 v12, v14, v12
	v_mul_f32_e32 v14, v13, v12
	v_fma_f32 v15, -v10, v14, v13
	v_fmac_f32_e32 v14, v15, v12
	v_fma_f32 v10, -v10, v14, v13
	v_div_fmas_f32 v10, v10, v12, v14
	v_div_fixup_f32 v0, v10, v11, v0
	v_add_f32_e32 v0, s17, v0
	v_mul_f32_e32 v10, 0x4b800000, v0
	v_cmp_gt_f32_e32 vcc, s0, v0
	v_cndmask_b32_e32 v0, v0, v10, vcc
	v_rsq_f32_e32 v0, v0
	s_mul_hi_i32 s1, s7, s6
	s_mul_i32 s0, s7, s6
	s_lshl_b64 s[0:1], s[0:1], 1
	v_mul_f32_e32 v10, 0x45800000, v0
	v_cndmask_b32_e32 v10, v0, v10, vcc
	v_mov_b32_e32 v11, v10
	s_add_u32 s12, s28, s0
	;;#ASMSTART
	v_pk_mul_f32 v[12:13], v[18:19], v[10:11]
	;;#ASMEND
	;;#ASMSTART
	v_pk_mul_f32 v[14:15], v[32:33], v[10:11]
	;;#ASMEND
	;; [unrolled: 3-line block ×8, first 2 shown]
	s_waitcnt vmcnt(1)
	v_cvt_f32_u32_sdwa v21, v6 dst_sel:DWORD dst_unused:UNUSED_PAD src0_sel:WORD_1
	v_cvt_f32_u32_sdwa v20, v6 dst_sel:DWORD dst_unused:UNUSED_PAD src0_sel:WORD_0
	v_cvt_f32_u32_sdwa v29, v7 dst_sel:DWORD dst_unused:UNUSED_PAD src0_sel:WORD_1
	v_cvt_f32_u32_sdwa v28, v7 dst_sel:DWORD dst_unused:UNUSED_PAD src0_sel:WORD_0
	;; [unrolled: 2-line block ×3, first 2 shown]
	s_addc_u32 s0, s29, s1
	v_cvt_f32_u32_sdwa v31, v9 dst_sel:DWORD dst_unused:UNUSED_PAD src0_sel:WORD_1
	v_cvt_f32_u32_sdwa v30, v9 dst_sel:DWORD dst_unused:UNUSED_PAD src0_sel:WORD_0
	;;#ASMSTART
	v_pk_mul_f32 v[8:9], v[12:13], v[20:21]
	;;#ASMEND
	;;#ASMSTART
	v_pk_mul_f32 v[12:13], v[14:15], v[28:29]
	;;#ASMEND
	;; [unrolled: 3-line block ×4, first 2 shown]
	s_waitcnt vmcnt(0)
	v_cvt_f32_u32_sdwa v17, v2 dst_sel:DWORD dst_unused:UNUSED_PAD src0_sel:WORD_1
	v_cvt_f32_u32_sdwa v16, v2 dst_sel:DWORD dst_unused:UNUSED_PAD src0_sel:WORD_0
	v_cvt_f32_u32_sdwa v19, v3 dst_sel:DWORD dst_unused:UNUSED_PAD src0_sel:WORD_1
	v_cvt_f32_u32_sdwa v18, v3 dst_sel:DWORD dst_unused:UNUSED_PAD src0_sel:WORD_0
	;; [unrolled: 2-line block ×3, first 2 shown]
	s_and_b32 s13, s0, 0xffff
	s_mov_b32 s0, 0x7060302
	v_cvt_f32_u32_sdwa v21, v5 dst_sel:DWORD dst_unused:UNUSED_PAD src0_sel:WORD_1
	v_cvt_f32_u32_sdwa v20, v5 dst_sel:DWORD dst_unused:UNUSED_PAD src0_sel:WORD_0
	;;#ASMSTART
	v_pk_mul_f32 v[16:17], v[26:27], v[16:17]
	;;#ASMEND
	;;#ASMSTART
	v_pk_mul_f32 v[18:19], v[24:25], v[18:19]
	;;#ASMEND
	;; [unrolled: 3-line block ×3, first 2 shown]
	v_perm_b32 v2, v9, v8, s0
	v_perm_b32 v3, v13, v12, s0
	;; [unrolled: 1-line block ×4, first 2 shown]
	;;#ASMSTART
	v_pk_mul_f32 v[10:11], v[10:11], v[20:21]
	;;#ASMEND
	buffer_store_dwordx4 v[2:5], v1, s[12:15], 0 offen
	;;#ASMSTART
	s_nop 0
	;;#ASMEND
	s_nop 0
	v_perm_b32 v2, v17, v16, s0
	v_perm_b32 v3, v19, v18, s0
	;; [unrolled: 1-line block ×4, first 2 shown]
	buffer_store_dwordx4 v[2:5], v1, s[12:15], 16 offen
	;;#ASMSTART
	s_nop 0
	;;#ASMEND
	s_endpgm
	.section	.rodata,"a",@progbits
	.p2align	6, 0x0
	.amdhsa_kernel _ZN5aiter35fused_qk_rmsnorm_group_quant_kernelItN4opus5fp4_tELi512ELi16ELi8ELb0ELb1ELb0ELb0ELb0ELb0EEEvPT0_PvPT_S7_S7_PKS6_S9_S9_S9_S9_ffiiiiiiiiiiiii
		.amdhsa_group_segment_fixed_size 64
		.amdhsa_private_segment_fixed_size 0
		.amdhsa_kernarg_size 400
		.amdhsa_user_sgpr_count 6
		.amdhsa_user_sgpr_private_segment_buffer 1
		.amdhsa_user_sgpr_dispatch_ptr 0
		.amdhsa_user_sgpr_queue_ptr 0
		.amdhsa_user_sgpr_kernarg_segment_ptr 1
		.amdhsa_user_sgpr_dispatch_id 0
		.amdhsa_user_sgpr_flat_scratch_init 0
		.amdhsa_user_sgpr_kernarg_preload_length 0
		.amdhsa_user_sgpr_kernarg_preload_offset 0
		.amdhsa_user_sgpr_private_segment_size 0
		.amdhsa_uses_dynamic_stack 0
		.amdhsa_system_sgpr_private_segment_wavefront_offset 0
		.amdhsa_system_sgpr_workgroup_id_x 1
		.amdhsa_system_sgpr_workgroup_id_y 1
		.amdhsa_system_sgpr_workgroup_id_z 0
		.amdhsa_system_sgpr_workgroup_info 0
		.amdhsa_system_vgpr_workitem_id 0
		.amdhsa_next_free_vgpr 36
		.amdhsa_next_free_sgpr 36
		.amdhsa_accum_offset 36
		.amdhsa_reserve_vcc 1
		.amdhsa_reserve_flat_scratch 0
		.amdhsa_float_round_mode_32 0
		.amdhsa_float_round_mode_16_64 0
		.amdhsa_float_denorm_mode_32 3
		.amdhsa_float_denorm_mode_16_64 3
		.amdhsa_dx10_clamp 1
		.amdhsa_ieee_mode 1
		.amdhsa_fp16_overflow 0
		.amdhsa_tg_split 0
		.amdhsa_exception_fp_ieee_invalid_op 0
		.amdhsa_exception_fp_denorm_src 0
		.amdhsa_exception_fp_ieee_div_zero 0
		.amdhsa_exception_fp_ieee_overflow 0
		.amdhsa_exception_fp_ieee_underflow 0
		.amdhsa_exception_fp_ieee_inexact 0
		.amdhsa_exception_int_div_zero 0
	.end_amdhsa_kernel
	.section	.text._ZN5aiter35fused_qk_rmsnorm_group_quant_kernelItN4opus5fp4_tELi512ELi16ELi8ELb0ELb1ELb0ELb0ELb0ELb0EEEvPT0_PvPT_S7_S7_PKS6_S9_S9_S9_S9_ffiiiiiiiiiiiii,"axG",@progbits,_ZN5aiter35fused_qk_rmsnorm_group_quant_kernelItN4opus5fp4_tELi512ELi16ELi8ELb0ELb1ELb0ELb0ELb0ELb0EEEvPT0_PvPT_S7_S7_PKS6_S9_S9_S9_S9_ffiiiiiiiiiiiii,comdat
.Lfunc_end928:
	.size	_ZN5aiter35fused_qk_rmsnorm_group_quant_kernelItN4opus5fp4_tELi512ELi16ELi8ELb0ELb1ELb0ELb0ELb0ELb0EEEvPT0_PvPT_S7_S7_PKS6_S9_S9_S9_S9_ffiiiiiiiiiiiii, .Lfunc_end928-_ZN5aiter35fused_qk_rmsnorm_group_quant_kernelItN4opus5fp4_tELi512ELi16ELi8ELb0ELb1ELb0ELb0ELb0ELb0EEEvPT0_PvPT_S7_S7_PKS6_S9_S9_S9_S9_ffiiiiiiiiiiiii
                                        ; -- End function
	.section	.AMDGPU.csdata,"",@progbits
; Kernel info:
; codeLenInByte = 3348
; NumSgprs: 40
; NumVgprs: 36
; NumAgprs: 0
; TotalNumVgprs: 36
; ScratchSize: 0
; MemoryBound: 0
; FloatMode: 240
; IeeeMode: 1
; LDSByteSize: 64 bytes/workgroup (compile time only)
; SGPRBlocks: 4
; VGPRBlocks: 4
; NumSGPRsForWavesPerEU: 40
; NumVGPRsForWavesPerEU: 36
; AccumOffset: 36
; Occupancy: 8
; WaveLimiterHint : 0
; COMPUTE_PGM_RSRC2:SCRATCH_EN: 0
; COMPUTE_PGM_RSRC2:USER_SGPR: 6
; COMPUTE_PGM_RSRC2:TRAP_HANDLER: 0
; COMPUTE_PGM_RSRC2:TGID_X_EN: 1
; COMPUTE_PGM_RSRC2:TGID_Y_EN: 1
; COMPUTE_PGM_RSRC2:TGID_Z_EN: 0
; COMPUTE_PGM_RSRC2:TIDIG_COMP_CNT: 0
; COMPUTE_PGM_RSRC3_GFX90A:ACCUM_OFFSET: 8
; COMPUTE_PGM_RSRC3_GFX90A:TG_SPLIT: 0
	.section	.text._ZN5aiter35fused_qk_rmsnorm_group_quant_kernelIDF16_DB8_Li512ELi16ELi8ELb0ELb0ELb1ELb0ELb0ELb0EEEvPT0_PvPT_S6_S6_PKS5_S8_S8_S8_S8_ffiiiiiiiiiiiii,"axG",@progbits,_ZN5aiter35fused_qk_rmsnorm_group_quant_kernelIDF16_DB8_Li512ELi16ELi8ELb0ELb0ELb1ELb0ELb0ELb0EEEvPT0_PvPT_S6_S6_PKS5_S8_S8_S8_S8_ffiiiiiiiiiiiii,comdat
	.protected	_ZN5aiter35fused_qk_rmsnorm_group_quant_kernelIDF16_DB8_Li512ELi16ELi8ELb0ELb0ELb1ELb0ELb0ELb0EEEvPT0_PvPT_S6_S6_PKS5_S8_S8_S8_S8_ffiiiiiiiiiiiii ; -- Begin function _ZN5aiter35fused_qk_rmsnorm_group_quant_kernelIDF16_DB8_Li512ELi16ELi8ELb0ELb0ELb1ELb0ELb0ELb0EEEvPT0_PvPT_S6_S6_PKS5_S8_S8_S8_S8_ffiiiiiiiiiiiii
	.globl	_ZN5aiter35fused_qk_rmsnorm_group_quant_kernelIDF16_DB8_Li512ELi16ELi8ELb0ELb0ELb1ELb0ELb0ELb0EEEvPT0_PvPT_S6_S6_PKS5_S8_S8_S8_S8_ffiiiiiiiiiiiii
	.p2align	8
	.type	_ZN5aiter35fused_qk_rmsnorm_group_quant_kernelIDF16_DB8_Li512ELi16ELi8ELb0ELb0ELb1ELb0ELb0ELb0EEEvPT0_PvPT_S6_S6_PKS5_S8_S8_S8_S8_ffiiiiiiiiiiiii,@function
_ZN5aiter35fused_qk_rmsnorm_group_quant_kernelIDF16_DB8_Li512ELi16ELi8ELb0ELb0ELb1ELb0ELb0ELb0EEEvPT0_PvPT_S6_S6_PKS5_S8_S8_S8_S8_ffiiiiiiiiiiiii: ; @_ZN5aiter35fused_qk_rmsnorm_group_quant_kernelIDF16_DB8_Li512ELi16ELi8ELb0ELb0ELb1ELb0ELb0ELb0EEEvPT0_PvPT_S6_S6_PKS5_S8_S8_S8_S8_ffiiiiiiiiiiiii
; %bb.0:
	s_load_dwordx4 s[16:19], s[4:5], 0x50
	s_waitcnt lgkmcnt(0)
	s_cmp_ge_i32 s6, s18
	s_cbranch_scc1 .LBB929_12
; %bb.1:
	s_load_dwordx2 s[12:13], s[4:5], 0x48
	s_load_dwordx2 s[30:31], s[4:5], 0x30
	s_load_dwordx4 s[20:23], s[4:5], 0x60
	s_cmp_lg_u32 s7, 0
	s_cselect_b64 s[14:15], -1, 0
	s_cmp_eq_u32 s7, 0
	s_cselect_b64 vcc, -1, 0
	s_and_b64 s[0:1], vcc, exec
	s_waitcnt lgkmcnt(0)
	s_cselect_b32 s7, s19, s20
	s_add_i32 s0, s7, 1
	s_lshr_b32 s1, s0, 31
	s_add_i32 s0, s0, s1
	s_lshl_b32 s0, s0, 1
	v_lshlrev_b32_e32 v1, 4, v0
	s_and_b32 s10, s0, -4
	v_cmp_gt_i32_e64 s[2:3], s7, v1
	v_mov_b32_e32 v18, 0
	v_mov_b32_e32 v6, 0
	;; [unrolled: 1-line block ×17, first 2 shown]
	s_and_saveexec_b64 s[0:1], s[2:3]
	s_cbranch_execz .LBB929_3
; %bb.2:
	s_load_dwordx2 s[8:9], s[4:5], 0x28
	s_load_dwordx2 s[26:27], s[4:5], 0x40
	s_and_b64 s[24:25], vcc, exec
	s_cselect_b32 s11, s21, s22
	v_lshlrev_b32_e32 v19, 5, v0
	s_waitcnt lgkmcnt(0)
	s_cselect_b32 s18, s9, s31
	s_cselect_b32 s21, s8, s30
	s_mul_hi_i32 s9, s11, s6
	s_mul_i32 s8, s11, s6
	s_lshl_b64 s[8:9], s[8:9], 1
	s_add_u32 s24, s21, s8
	s_addc_u32 s18, s18, s9
	s_and_b64 s[8:9], vcc, exec
	s_mov_b32 s11, 0x20000
	s_cselect_b32 s8, s26, s12
	s_cselect_b32 s9, s27, s13
	s_and_b32 s25, s18, 0xffff
	s_mov_b32 s26, s10
	s_mov_b32 s27, s11
	s_and_b32 s9, s9, 0xffff
	buffer_load_dwordx4 v[14:17], v19, s[24:27], 0 offen
	buffer_load_dwordx4 v[10:13], v19, s[24:27], 16 offen
	;; [unrolled: 1-line block ×4, first 2 shown]
.LBB929_3:
	s_or_b64 exec, exec, s[0:1]
	v_mov_b32_e32 v19, 0
	v_mov_b32_e32 v32, 0
	;; [unrolled: 1-line block ×15, first 2 shown]
	s_and_saveexec_b64 s[0:1], s[2:3]
	s_cbranch_execz .LBB929_5
; %bb.4:
	s_waitcnt vmcnt(3)
	v_cvt_f32_f16_sdwa v19, v14 dst_sel:DWORD dst_unused:UNUSED_PAD src0_sel:WORD_1
	v_cvt_f32_f16_e32 v18, v14
	v_cvt_f32_f16_sdwa v33, v15 dst_sel:DWORD dst_unused:UNUSED_PAD src0_sel:WORD_1
	v_cvt_f32_f16_e32 v32, v15
	;; [unrolled: 2-line block ×4, first 2 shown]
	s_waitcnt vmcnt(2)
	v_cvt_f32_f16_sdwa v25, v10 dst_sel:DWORD dst_unused:UNUSED_PAD src0_sel:WORD_1
	v_cvt_f32_f16_e32 v24, v10
	v_cvt_f32_f16_sdwa v29, v11 dst_sel:DWORD dst_unused:UNUSED_PAD src0_sel:WORD_1
	v_cvt_f32_f16_e32 v28, v11
	v_cvt_f32_f16_sdwa v23, v12 dst_sel:DWORD dst_unused:UNUSED_PAD src0_sel:WORD_1
	v_cvt_f32_f16_e32 v22, v12
	v_cvt_f32_f16_sdwa v21, v13 dst_sel:DWORD dst_unused:UNUSED_PAD src0_sel:WORD_1
	v_cvt_f32_f16_e32 v20, v13
.LBB929_5:
	s_or_b64 exec, exec, s[0:1]
	s_waitcnt vmcnt(2)
	v_mul_f32_e32 v10, v19, v19
	v_fmac_f32_e32 v10, v18, v18
	v_fmac_f32_e32 v10, v32, v32
	;; [unrolled: 1-line block ×15, first 2 shown]
	v_and_b32_e32 v12, 63, v0
	v_cmp_eq_u32_e64 s[0:1], 63, v12
	v_mov_b32_dpp v11, v10 quad_perm:[1,0,3,2] row_mask:0xf bank_mask:0xf
	v_add_f32_e32 v10, v10, v11
	s_nop 1
	v_mov_b32_dpp v11, v10 quad_perm:[2,3,0,1] row_mask:0xf bank_mask:0xf
	v_add_f32_e32 v10, v10, v11
	s_nop 1
	v_mov_b32_dpp v11, v10 row_half_mirror row_mask:0xf bank_mask:0xf
	v_add_f32_e32 v10, v10, v11
	s_nop 1
	v_mov_b32_dpp v11, v10 row_mirror row_mask:0xf bank_mask:0xf
	v_add_f32_e32 v10, v10, v11
	s_nop 1
	v_mov_b32_dpp v11, v10 row_bcast:15 row_mask:0xf bank_mask:0xf
	v_add_f32_e32 v10, v10, v11
	s_nop 1
	v_mov_b32_dpp v11, v10 row_bcast:31 row_mask:0xf bank_mask:0xf
	s_and_saveexec_b64 s[8:9], s[0:1]
	s_cbranch_execz .LBB929_7
; %bb.6:
	v_add_f32_e32 v10, v10, v11
	v_lshrrev_b32_e32 v11, 4, v0
	v_and_b32_e32 v11, 60, v11
	ds_write_b32 v11, v10 offset:32
.LBB929_7:
	s_or_b64 exec, exec, s[8:9]
	v_and_b32_e32 v10, 7, v0
	v_lshlrev_b32_e32 v34, 2, v10
	s_waitcnt lgkmcnt(0)
	s_barrier
	ds_read_b32 v11, v34 offset:32
	s_load_dwordx2 s[28:29], s[4:5], 0x18
	s_waitcnt lgkmcnt(0)
	v_mov_b32_dpp v12, v11 quad_perm:[1,0,3,2] row_mask:0xf bank_mask:0xf
	v_add_f32_e32 v11, v11, v12
	s_nop 1
	v_mov_b32_dpp v12, v11 quad_perm:[2,3,0,1] row_mask:0xf bank_mask:0xf
	v_add_f32_e32 v11, v11, v12
	s_nop 1
	v_mov_b32_dpp v12, v11 row_half_mirror row_mask:0xf bank_mask:0xf
	s_and_saveexec_b64 s[8:9], s[2:3]
	s_cbranch_execz .LBB929_9
; %bb.8:
	v_cvt_f32_u32_e32 v13, s7
	v_add_f32_e32 v11, v11, v12
	v_mov_b32_e32 v15, s17
	v_mov_b32_e32 v16, s16
	v_div_scale_f32 v12, s[24:25], v13, v13, v11
	v_rcp_f32_e32 v14, v12
	v_cndmask_b32_e32 v15, v15, v16, vcc
	s_mov_b32 s7, 0x800000
	v_fma_f32 v16, -v12, v14, 1.0
	v_fmac_f32_e32 v14, v16, v14
	v_div_scale_f32 v16, vcc, v11, v13, v11
	v_mul_f32_e32 v17, v16, v14
	v_fma_f32 v35, -v12, v17, v16
	v_fmac_f32_e32 v17, v35, v14
	v_fma_f32 v12, -v12, v17, v16
	v_div_fmas_f32 v12, v12, v14, v17
	v_div_fixup_f32 v11, v12, v13, v11
	v_add_f32_e32 v11, v15, v11
	v_mul_f32_e32 v12, 0x4b800000, v11
	v_cmp_gt_f32_e32 vcc, s7, v11
	v_cndmask_b32_e32 v11, v11, v12, vcc
	v_rsq_f32_e32 v11, v11
	v_mul_f32_e32 v12, 0x45800000, v11
	v_cndmask_b32_e32 v12, v11, v12, vcc
	v_mov_b32_e32 v13, v12
	;;#ASMSTART
	v_pk_mul_f32 v[14:15], v[18:19], v[12:13]
	;;#ASMEND
	s_waitcnt vmcnt(1)
	v_cvt_f32_f16_sdwa v19, v6 dst_sel:DWORD dst_unused:UNUSED_PAD src0_sel:WORD_1
	v_cvt_f32_f16_e32 v18, v6
	;;#ASMSTART
	v_pk_mul_f32 v[16:17], v[32:33], v[12:13]
	;;#ASMEND
	v_cvt_f32_f16_sdwa v33, v7 dst_sel:DWORD dst_unused:UNUSED_PAD src0_sel:WORD_1
	v_cvt_f32_f16_e32 v32, v7
	;;#ASMSTART
	v_pk_mul_f32 v[26:27], v[26:27], v[12:13]
	;;#ASMEND
	;;#ASMSTART
	v_pk_mul_f32 v[30:31], v[30:31], v[12:13]
	;;#ASMEND
	;; [unrolled: 3-line block ×6, first 2 shown]
	v_pk_add_f32 v[12:13], v[18:19], 1.0 op_sel_hi:[1,0]
	;;#ASMSTART
	v_pk_mul_f32 v[18:19], v[14:15], v[12:13]
	;;#ASMEND
	v_cvt_f32_f16_sdwa v15, v8 dst_sel:DWORD dst_unused:UNUSED_PAD src0_sel:WORD_1
	v_cvt_f32_f16_e32 v14, v8
	v_cvt_f32_f16_sdwa v21, v9 dst_sel:DWORD dst_unused:UNUSED_PAD src0_sel:WORD_1
	v_cvt_f32_f16_e32 v20, v9
	v_pk_add_f32 v[12:13], v[32:33], 1.0 op_sel_hi:[1,0]
	;;#ASMSTART
	v_pk_mul_f32 v[32:33], v[16:17], v[12:13]
	;;#ASMEND
	s_waitcnt vmcnt(0)
	v_cvt_f32_f16_sdwa v13, v2 dst_sel:DWORD dst_unused:UNUSED_PAD src0_sel:WORD_1
	v_cvt_f32_f16_e32 v12, v2
	v_pk_add_f32 v[8:9], v[14:15], 1.0 op_sel_hi:[1,0]
	;;#ASMSTART
	v_pk_mul_f32 v[26:27], v[26:27], v[8:9]
	;;#ASMEND
	v_pk_add_f32 v[8:9], v[20:21], 1.0 op_sel_hi:[1,0]
	v_cvt_f32_f16_sdwa v15, v3 dst_sel:DWORD dst_unused:UNUSED_PAD src0_sel:WORD_1
	v_cvt_f32_f16_e32 v14, v3
	;;#ASMSTART
	v_pk_mul_f32 v[30:31], v[30:31], v[8:9]
	;;#ASMEND
	v_cvt_f32_f16_sdwa v9, v4 dst_sel:DWORD dst_unused:UNUSED_PAD src0_sel:WORD_1
	v_cvt_f32_f16_e32 v8, v4
	v_pk_add_f32 v[2:3], v[12:13], 1.0 op_sel_hi:[1,0]
	v_cvt_f32_f16_sdwa v13, v5 dst_sel:DWORD dst_unused:UNUSED_PAD src0_sel:WORD_1
	v_cvt_f32_f16_e32 v12, v5
	;;#ASMSTART
	v_pk_mul_f32 v[24:25], v[24:25], v[2:3]
	;;#ASMEND
	v_pk_add_f32 v[2:3], v[14:15], 1.0 op_sel_hi:[1,0]
	;;#ASMSTART
	v_pk_mul_f32 v[28:29], v[28:29], v[2:3]
	;;#ASMEND
	v_pk_add_f32 v[2:3], v[8:9], 1.0 op_sel_hi:[1,0]
	;; [unrolled: 4-line block ×3, first 2 shown]
	;;#ASMSTART
	v_pk_mul_f32 v[20:21], v[6:7], v[2:3]
	;;#ASMEND
.LBB929_9:
	s_or_b64 exec, exec, s[8:9]
	s_load_dword s7, s[4:5], 0x80
	s_mov_b64 s[8:9], -1
	s_and_b64 vcc, exec, s[14:15]
	s_cbranch_vccnz .LBB929_13
; %bb.10:
	s_andn2_b64 vcc, exec, s[8:9]
	s_cbranch_vccz .LBB929_16
.LBB929_11:
	s_cmp_lt_i32 s20, 1
	s_cbranch_scc0 .LBB929_23
.LBB929_12:
	s_endpgm
.LBB929_13:
	s_and_saveexec_b64 s[14:15], s[2:3]
	s_cbranch_execz .LBB929_15
; %bb.14:
	s_waitcnt lgkmcnt(0)
	s_mul_hi_i32 s9, s7, s6
	s_mul_i32 s8, s7, s6
	s_waitcnt vmcnt(0)
	v_cvt_f16_f32_e32 v2, v18
	v_cvt_f16_f32_e32 v3, v32
	;; [unrolled: 1-line block ×8, first 2 shown]
	s_lshl_b64 s[8:9], s[8:9], 1
	s_add_u32 s8, s28, s8
	s_addc_u32 s9, s29, s9
	s_and_b32 s9, s9, 0xffff
	s_mov_b32 s11, 0x20000
	v_pack_b32_f16 v5, v5, v6
	v_pack_b32_f16 v4, v4, v7
	v_pack_b32_f16 v3, v3, v8
	v_pack_b32_f16 v2, v2, v9
	v_lshlrev_b32_e32 v6, 5, v0
	buffer_store_dwordx4 v[2:5], v6, s[8:11], 0 offen
	v_cvt_f16_f32_e32 v7, v21
	v_cvt_f16_f32_e32 v2, v24
	;; [unrolled: 1-line block ×8, first 2 shown]
	v_pack_b32_f16 v5, v5, v7
	v_pack_b32_f16 v4, v4, v8
	;; [unrolled: 1-line block ×4, first 2 shown]
	;;#ASMSTART
	s_nop 0
	;;#ASMEND
	buffer_store_dwordx4 v[2:5], v6, s[8:11], 16 offen
	;;#ASMSTART
	s_nop 0
	;;#ASMEND
.LBB929_15:
	s_or_b64 exec, exec, s[14:15]
	s_cbranch_execnz .LBB929_11
.LBB929_16:
	s_waitcnt vmcnt(0)
	v_mov_b32_e32 v2, 0
	s_and_saveexec_b64 s[8:9], s[2:3]
	s_cbranch_execz .LBB929_18
; %bb.17:
	v_and_b32_e32 v2, 0x7fffffff, v18
	v_and_b32_e32 v3, 0x7fffffff, v19
	v_mov_b32_e32 v4, 0x2edbe6ff
	;;#ASMSTART
	v_max3_f32 v2, v4, v2, v3

	;;#ASMEND
	v_and_b32_e32 v3, 0x7fffffff, v32
	v_and_b32_e32 v4, 0x7fffffff, v33
	;;#ASMSTART
	v_max3_f32 v2, v2, v3, v4

	;;#ASMEND
	v_and_b32_e32 v3, 0x7fffffff, v26
	v_and_b32_e32 v4, 0x7fffffff, v27
	;;#ASMSTART
	v_max3_f32 v2, v2, v3, v4

	;;#ASMEND
	v_and_b32_e32 v3, 0x7fffffff, v30
	v_and_b32_e32 v4, 0x7fffffff, v31
	;;#ASMSTART
	v_max3_f32 v2, v2, v3, v4

	;;#ASMEND
	v_and_b32_e32 v3, 0x7fffffff, v24
	v_and_b32_e32 v4, 0x7fffffff, v25
	;;#ASMSTART
	v_max3_f32 v2, v2, v3, v4

	;;#ASMEND
	v_and_b32_e32 v3, 0x7fffffff, v28
	v_and_b32_e32 v4, 0x7fffffff, v29
	;;#ASMSTART
	v_max3_f32 v2, v2, v3, v4

	;;#ASMEND
	v_and_b32_e32 v3, 0x7fffffff, v22
	v_and_b32_e32 v4, 0x7fffffff, v23
	;;#ASMSTART
	v_max3_f32 v2, v2, v3, v4

	;;#ASMEND
	v_and_b32_e32 v3, 0x7fffffff, v20
	v_and_b32_e32 v4, 0x7fffffff, v21
	;;#ASMSTART
	v_max3_f32 v2, v2, v3, v4

	;;#ASMEND
.LBB929_18:
	s_or_b64 exec, exec, s[8:9]
	s_load_dwordx4 s[24:27], s[4:5], 0x70
	;;#ASMSTART
	v_max_f32 v3, v2, v2 quad_perm:[1,0,3,2] row_mask:0xf bank_mask:0xf bound_ctrl:1
	;;#ASMEND
	;;#ASMSTART
	v_max_f32 v2, v3, v3 quad_perm:[2,3,0,1] row_mask:0xf bank_mask:0xf bound_ctrl:1
	;;#ASMEND
	v_cmp_eq_u32_e32 vcc, 0, v10
	v_cmp_gt_i32_e64 s[8:9], s19, v1
	;;#ASMSTART
	v_max_f32 v3, v2, v2 row_half_mirror row_mask:0xf bank_mask:0xf bound_ctrl:1
	;;#ASMEND
	v_mul_f32_e32 v2, 0x3b124925, v3
	s_and_b64 s[10:11], vcc, s[8:9]
	s_and_saveexec_b64 s[8:9], s[10:11]
	s_cbranch_execz .LBB929_20
; %bb.19:
	s_load_dwordx2 s[10:11], s[4:5], 0x8
	s_waitcnt lgkmcnt(0)
	s_mul_hi_i32 s15, s25, s6
	s_mul_i32 s14, s25, s6
	v_lshrrev_b32_e32 v3, 3, v0
	s_lshl_b64 s[14:15], s[14:15], 2
	v_mad_i64_i32 v[4:5], s[26:27], s26, v3, 0
	s_add_u32 s10, s10, s14
	s_addc_u32 s11, s11, s15
	v_lshlrev_b64 v[4:5], 2, v[4:5]
	v_mov_b32_e32 v3, s11
	v_add_co_u32_e32 v4, vcc, s10, v4
	v_addc_co_u32_e32 v5, vcc, v3, v5, vcc
	global_store_dword v[4:5], v2, off
.LBB929_20:
	s_or_b64 exec, exec, s[8:9]
	;;#ASMSTART
	v_rcp_f32 v2, v2
	;;#ASMEND
	s_and_saveexec_b64 s[14:15], s[2:3]
	s_cbranch_execz .LBB929_22
; %bb.21:
	s_load_dwordx2 s[2:3], s[4:5], 0x0
	s_waitcnt lgkmcnt(0)
	s_mul_i32 s8, s24, s6
	s_mul_hi_i32 s9, s24, s6
	v_mov_b32_e32 v3, v2
	;;#ASMSTART
	v_pk_mul_f32 v[4:5], v[18:19], v[2:3]
	;;#ASMEND
	s_add_u32 s8, s2, s8
	s_addc_u32 s2, s3, s9
	s_add_i32 s3, s19, 3
	s_ashr_i32 s10, s3, 31
	v_mov_b32_e32 v10, 0xc3e00000
	v_mov_b32_e32 v11, 0x43e00000
	;;#ASMSTART
	v_med3_f32 v4, v4, v10, v11
v_med3_f32 v5, v5, v10, v11
v_cvt_pk_fp8_f32 v6, v4, v5
	;;#ASMEND
	s_and_b32 s9, s2, 0xffff
	s_lshr_b32 s2, s10, 30
	;;#ASMSTART
	v_pk_mul_f32 v[4:5], v[32:33], v[2:3]
	;;#ASMEND
	s_add_i32 s3, s3, s2
	;;#ASMSTART
	v_med3_f32 v4, v4, v10, v11
v_med3_f32 v5, v5, v10, v11
v_cvt_pk_fp8_f32 v7, v4, v5
	;;#ASMEND
	s_mov_b32 s2, 0x5040100
	v_perm_b32 v4, v7, v6, s2
	s_mov_b32 s2, 0x1060504
	v_perm_b32 v4, v4, v7, s2
	;;#ASMSTART
	v_pk_mul_f32 v[6:7], v[26:27], v[2:3]
	;;#ASMEND
	v_mov_b32_e32 v5, v7
	;;#ASMSTART
	v_med3_f32 v6, v6, v10, v11
v_med3_f32 v5, v5, v10, v11
v_cvt_pk_fp8_f32 v8, v6, v5
	;;#ASMEND
	;;#ASMSTART
	v_pk_mul_f32 v[6:7], v[30:31], v[2:3]
	;;#ASMEND
	v_mov_b32_e32 v5, v6
	;;#ASMSTART
	v_med3_f32 v5, v5, v10, v11
v_med3_f32 v7, v7, v10, v11
v_cvt_pk_fp8_f32 v6, v5, v7
	;;#ASMEND
	s_mov_b32 s2, 0x1000504
	v_perm_b32 v5, v8, v6, s2
	;;#ASMSTART
	v_pk_mul_f32 v[6:7], v[24:25], v[2:3]
	;;#ASMEND
	;;#ASMSTART
	v_med3_f32 v6, v6, v10, v11
v_med3_f32 v7, v7, v10, v11
v_cvt_pk_fp8_f32 v8, v6, v7
	;;#ASMEND
	;;#ASMSTART
	v_pk_mul_f32 v[6:7], v[28:29], v[2:3]
	;;#ASMEND
	;;#ASMSTART
	v_med3_f32 v6, v6, v10, v11
v_med3_f32 v7, v7, v10, v11
v_cvt_pk_fp8_f32 v9, v6, v7
	;;#ASMEND
	v_perm_b32 v6, v8, v9, s2
	;;#ASMSTART
	v_pk_mul_f32 v[8:9], v[22:23], v[2:3]
	;;#ASMEND
	v_mov_b32_e32 v7, v9
	;;#ASMSTART
	v_med3_f32 v8, v8, v10, v11
v_med3_f32 v7, v7, v10, v11
v_cvt_pk_fp8_f32 v9, v8, v7
	;;#ASMEND
	;;#ASMSTART
	v_pk_mul_f32 v[2:3], v[20:21], v[2:3]
	;;#ASMEND
	;;#ASMSTART
	v_med3_f32 v2, v2, v10, v11
v_med3_f32 v3, v3, v10, v11
v_cvt_pk_fp8_f32 v7, v2, v3
	;;#ASMEND
	s_and_b32 s10, s3, -4
	s_mov_b32 s11, 0x20000
	v_perm_b32 v7, v9, v7, s2
	buffer_store_dwordx4 v[4:7], v1, s[8:11], 0 offen
	;;#ASMSTART
	s_nop 0
	;;#ASMEND
.LBB929_22:
	s_or_b64 exec, exec, s[14:15]
	s_cmp_lt_i32 s20, 1
	s_cbranch_scc1 .LBB929_12
.LBB929_23:
	s_load_dword s2, s[4:5], 0x94
	s_waitcnt lgkmcnt(0)
	s_cmp_lg_u32 s2, 1
	s_cbranch_scc1 .LBB929_12
; %bb.24:
	s_lshl_b32 s2, s20, 1
	s_add_i32 s2, s2, 2
	v_cmp_gt_u32_e32 vcc, s20, v1
	s_and_b32 s14, s2, -4
	v_mov_b32_e32 v18, 0
	v_lshlrev_b32_e32 v1, 5, v0
	v_mov_b32_e32 v14, 0
	v_mov_b32_e32 v15, 0
	;; [unrolled: 1-line block ×8, first 2 shown]
	s_waitcnt vmcnt(1)
	v_mov_b32_e32 v6, 0
	v_mov_b32_e32 v7, 0
	;; [unrolled: 1-line block ×4, first 2 shown]
	s_waitcnt vmcnt(0)
	v_mov_b32_e32 v2, 0
	v_mov_b32_e32 v3, 0
	;; [unrolled: 1-line block ×4, first 2 shown]
	s_barrier
	s_and_saveexec_b64 s[2:3], vcc
	s_cbranch_execz .LBB929_26
; %bb.25:
	s_mul_hi_i32 s5, s22, s6
	s_mul_i32 s4, s22, s6
	s_and_b32 s13, s13, 0xffff
	s_lshl_b64 s[4:5], s[4:5], 1
	s_add_u32 s8, s30, s4
	s_mov_b32 s15, 0x20000
	s_addc_u32 s4, s31, s5
	s_and_b32 s9, s4, 0xffff
	s_mov_b32 s10, s14
	s_mov_b32 s11, s15
	buffer_load_dwordx4 v[14:17], v1, s[8:11], 0 offen
	buffer_load_dwordx4 v[10:13], v1, s[8:11], 16 offen
	buffer_load_dwordx4 v[6:9], v1, s[12:15], 0 offen
	buffer_load_dwordx4 v[2:5], v1, s[12:15], 16 offen
.LBB929_26:
	s_or_b64 exec, exec, s[2:3]
	v_mov_b32_e32 v19, 0
	v_mov_b32_e32 v32, 0
	;; [unrolled: 1-line block ×15, first 2 shown]
	s_and_saveexec_b64 s[2:3], vcc
	s_cbranch_execz .LBB929_28
; %bb.27:
	s_waitcnt vmcnt(3)
	v_cvt_f32_f16_sdwa v19, v14 dst_sel:DWORD dst_unused:UNUSED_PAD src0_sel:WORD_1
	v_cvt_f32_f16_e32 v18, v14
	v_cvt_f32_f16_sdwa v33, v15 dst_sel:DWORD dst_unused:UNUSED_PAD src0_sel:WORD_1
	v_cvt_f32_f16_e32 v32, v15
	;; [unrolled: 2-line block ×4, first 2 shown]
	s_waitcnt vmcnt(2)
	v_cvt_f32_f16_sdwa v27, v10 dst_sel:DWORD dst_unused:UNUSED_PAD src0_sel:WORD_1
	v_cvt_f32_f16_e32 v26, v10
	v_cvt_f32_f16_sdwa v25, v11 dst_sel:DWORD dst_unused:UNUSED_PAD src0_sel:WORD_1
	v_cvt_f32_f16_e32 v24, v11
	v_cvt_f32_f16_sdwa v23, v12 dst_sel:DWORD dst_unused:UNUSED_PAD src0_sel:WORD_1
	v_cvt_f32_f16_e32 v22, v12
	v_cvt_f32_f16_sdwa v21, v13 dst_sel:DWORD dst_unused:UNUSED_PAD src0_sel:WORD_1
	v_cvt_f32_f16_e32 v20, v13
.LBB929_28:
	s_or_b64 exec, exec, s[2:3]
	s_waitcnt vmcnt(2)
	v_mul_f32_e32 v10, v19, v19
	v_fmac_f32_e32 v10, v18, v18
	v_fmac_f32_e32 v10, v32, v32
	;; [unrolled: 1-line block ×15, first 2 shown]
	s_nop 1
	v_mov_b32_dpp v11, v10 quad_perm:[1,0,3,2] row_mask:0xf bank_mask:0xf
	v_add_f32_e32 v10, v10, v11
	s_nop 1
	v_mov_b32_dpp v11, v10 quad_perm:[2,3,0,1] row_mask:0xf bank_mask:0xf
	v_add_f32_e32 v10, v10, v11
	s_nop 1
	v_mov_b32_dpp v11, v10 row_half_mirror row_mask:0xf bank_mask:0xf
	v_add_f32_e32 v10, v10, v11
	s_nop 1
	v_mov_b32_dpp v11, v10 row_mirror row_mask:0xf bank_mask:0xf
	v_add_f32_e32 v10, v10, v11
	s_nop 1
	v_mov_b32_dpp v11, v10 row_bcast:15 row_mask:0xf bank_mask:0xf
	v_add_f32_e32 v10, v10, v11
	s_nop 1
	v_mov_b32_dpp v11, v10 row_bcast:31 row_mask:0xf bank_mask:0xf
	s_and_saveexec_b64 s[2:3], s[0:1]
	s_cbranch_execz .LBB929_30
; %bb.29:
	v_lshrrev_b32_e32 v0, 4, v0
	v_add_f32_e32 v10, v10, v11
	v_and_b32_e32 v0, 60, v0
	ds_write_b32 v0, v10
.LBB929_30:
	s_or_b64 exec, exec, s[2:3]
	s_waitcnt lgkmcnt(0)
	s_barrier
	ds_read_b32 v0, v34
	s_waitcnt lgkmcnt(0)
	s_nop 0
	v_mov_b32_dpp v10, v0 quad_perm:[1,0,3,2] row_mask:0xf bank_mask:0xf
	v_add_f32_e32 v0, v0, v10
	s_nop 1
	v_mov_b32_dpp v10, v0 quad_perm:[2,3,0,1] row_mask:0xf bank_mask:0xf
	v_add_f32_e32 v0, v0, v10
	s_nop 1
	v_mov_b32_dpp v10, v0 row_half_mirror row_mask:0xf bank_mask:0xf
	s_and_saveexec_b64 s[0:1], vcc
	s_cbranch_execz .LBB929_12
; %bb.31:
	v_cvt_f32_u32_e32 v11, s20
	v_add_f32_e32 v0, v0, v10
	s_mov_b32 s15, 0x20000
	v_div_scale_f32 v10, s[0:1], v11, v11, v0
	v_rcp_f32_e32 v12, v10
	v_div_scale_f32 v13, vcc, v0, v11, v0
	s_mov_b32 s0, 0x800000
	v_fma_f32 v14, -v10, v12, 1.0
	v_fmac_f32_e32 v12, v14, v12
	v_mul_f32_e32 v14, v13, v12
	v_fma_f32 v15, -v10, v14, v13
	v_fmac_f32_e32 v14, v15, v12
	v_fma_f32 v10, -v10, v14, v13
	v_div_fmas_f32 v10, v10, v12, v14
	v_div_fixup_f32 v0, v10, v11, v0
	v_add_f32_e32 v0, s17, v0
	v_mul_f32_e32 v10, 0x4b800000, v0
	v_cmp_gt_f32_e32 vcc, s0, v0
	v_cndmask_b32_e32 v0, v0, v10, vcc
	v_rsq_f32_e32 v0, v0
	s_mul_hi_i32 s1, s7, s6
	s_mul_i32 s0, s7, s6
	s_lshl_b64 s[0:1], s[0:1], 1
	v_mul_f32_e32 v10, 0x45800000, v0
	v_cndmask_b32_e32 v10, v0, v10, vcc
	v_mov_b32_e32 v11, v10
	;;#ASMSTART
	v_pk_mul_f32 v[12:13], v[18:19], v[10:11]
	;;#ASMEND
	;;#ASMSTART
	v_pk_mul_f32 v[14:15], v[32:33], v[10:11]
	;;#ASMEND
	;;#ASMSTART
	v_pk_mul_f32 v[16:17], v[30:31], v[10:11]
	;;#ASMEND
	;;#ASMSTART
	v_pk_mul_f32 v[18:19], v[28:29], v[10:11]
	;;#ASMEND
	s_waitcnt vmcnt(1)
	v_cvt_f32_f16_sdwa v29, v6 dst_sel:DWORD dst_unused:UNUSED_PAD src0_sel:WORD_1
	v_cvt_f32_f16_e32 v28, v6
	v_cvt_f32_f16_sdwa v31, v7 dst_sel:DWORD dst_unused:UNUSED_PAD src0_sel:WORD_1
	v_cvt_f32_f16_e32 v30, v7
	;;#ASMSTART
	v_pk_mul_f32 v[26:27], v[26:27], v[10:11]
	;;#ASMEND
	;;#ASMSTART
	v_pk_mul_f32 v[24:25], v[24:25], v[10:11]
	;;#ASMEND
	;; [unrolled: 3-line block ×4, first 2 shown]
	v_cvt_f32_f16_sdwa v21, v8 dst_sel:DWORD dst_unused:UNUSED_PAD src0_sel:WORD_1
	v_cvt_f32_f16_e32 v20, v8
	v_pk_add_f32 v[10:11], v[28:29], 1.0 op_sel_hi:[1,0]
	;;#ASMSTART
	v_pk_mul_f32 v[10:11], v[12:13], v[10:11]
	;;#ASMEND
	v_pk_add_f32 v[12:13], v[30:31], 1.0 op_sel_hi:[1,0]
	v_cvt_f32_f16_sdwa v29, v9 dst_sel:DWORD dst_unused:UNUSED_PAD src0_sel:WORD_1
	v_cvt_f32_f16_e32 v28, v9
	;;#ASMSTART
	v_pk_mul_f32 v[8:9], v[14:15], v[12:13]
	;;#ASMEND
	v_pk_add_f32 v[12:13], v[20:21], 1.0 op_sel_hi:[1,0]
	;;#ASMSTART
	v_pk_mul_f32 v[12:13], v[16:17], v[12:13]
	;;#ASMEND
	s_waitcnt vmcnt(0)
	v_cvt_f32_f16_sdwa v17, v2 dst_sel:DWORD dst_unused:UNUSED_PAD src0_sel:WORD_1
	v_cvt_f32_f16_e32 v16, v2
	v_cvt_f32_f16_sdwa v21, v3 dst_sel:DWORD dst_unused:UNUSED_PAD src0_sel:WORD_1
	v_cvt_f32_f16_e32 v20, v3
	v_pk_add_f32 v[14:15], v[28:29], 1.0 op_sel_hi:[1,0]
	;;#ASMSTART
	v_pk_mul_f32 v[2:3], v[18:19], v[14:15]
	;;#ASMEND
	v_cvt_f32_f16_sdwa v19, v4 dst_sel:DWORD dst_unused:UNUSED_PAD src0_sel:WORD_1
	v_cvt_f32_f16_e32 v18, v4
	v_pk_add_f32 v[14:15], v[16:17], 1.0 op_sel_hi:[1,0]
	v_pk_add_f32 v[16:17], v[20:21], 1.0 op_sel_hi:[1,0]
	v_cvt_f32_f16_sdwa v21, v5 dst_sel:DWORD dst_unused:UNUSED_PAD src0_sel:WORD_1
	v_cvt_f32_f16_e32 v20, v5
	v_pk_add_f32 v[4:5], v[18:19], 1.0 op_sel_hi:[1,0]
	;;#ASMSTART
	v_pk_mul_f32 v[14:15], v[26:27], v[14:15]
	;;#ASMEND
	;;#ASMSTART
	v_pk_mul_f32 v[16:17], v[24:25], v[16:17]
	;;#ASMEND
	;;#ASMSTART
	v_pk_mul_f32 v[18:19], v[22:23], v[4:5]
	;;#ASMEND
	v_pk_add_f32 v[4:5], v[20:21], 1.0 op_sel_hi:[1,0]
	;;#ASMSTART
	v_pk_mul_f32 v[6:7], v[6:7], v[4:5]
	;;#ASMEND
	v_cvt_f16_f32_e32 v0, v10
	v_cvt_f16_f32_e32 v4, v11
	;; [unrolled: 1-line block ×8, first 2 shown]
	s_add_u32 s12, s28, s0
	s_addc_u32 s0, s29, s1
	s_and_b32 s13, s0, 0xffff
	v_pack_b32_f16 v2, v0, v4
	v_pack_b32_f16 v3, v5, v8
	;; [unrolled: 1-line block ×4, first 2 shown]
	buffer_store_dwordx4 v[2:5], v1, s[12:15], 0 offen
	v_cvt_f16_f32_e32 v0, v14
	v_cvt_f16_f32_e32 v2, v15
	;; [unrolled: 1-line block ×8, first 2 shown]
	v_pack_b32_f16 v2, v0, v2
	v_pack_b32_f16 v3, v3, v4
	;; [unrolled: 1-line block ×4, first 2 shown]
	;;#ASMSTART
	s_nop 0
	;;#ASMEND
	buffer_store_dwordx4 v[2:5], v1, s[12:15], 16 offen
	;;#ASMSTART
	s_nop 0
	;;#ASMEND
	s_endpgm
	.section	.rodata,"a",@progbits
	.p2align	6, 0x0
	.amdhsa_kernel _ZN5aiter35fused_qk_rmsnorm_group_quant_kernelIDF16_DB8_Li512ELi16ELi8ELb0ELb0ELb1ELb0ELb0ELb0EEEvPT0_PvPT_S6_S6_PKS5_S8_S8_S8_S8_ffiiiiiiiiiiiii
		.amdhsa_group_segment_fixed_size 64
		.amdhsa_private_segment_fixed_size 0
		.amdhsa_kernarg_size 400
		.amdhsa_user_sgpr_count 6
		.amdhsa_user_sgpr_private_segment_buffer 1
		.amdhsa_user_sgpr_dispatch_ptr 0
		.amdhsa_user_sgpr_queue_ptr 0
		.amdhsa_user_sgpr_kernarg_segment_ptr 1
		.amdhsa_user_sgpr_dispatch_id 0
		.amdhsa_user_sgpr_flat_scratch_init 0
		.amdhsa_user_sgpr_kernarg_preload_length 0
		.amdhsa_user_sgpr_kernarg_preload_offset 0
		.amdhsa_user_sgpr_private_segment_size 0
		.amdhsa_uses_dynamic_stack 0
		.amdhsa_system_sgpr_private_segment_wavefront_offset 0
		.amdhsa_system_sgpr_workgroup_id_x 1
		.amdhsa_system_sgpr_workgroup_id_y 1
		.amdhsa_system_sgpr_workgroup_id_z 0
		.amdhsa_system_sgpr_workgroup_info 0
		.amdhsa_system_vgpr_workitem_id 0
		.amdhsa_next_free_vgpr 36
		.amdhsa_next_free_sgpr 32
		.amdhsa_accum_offset 36
		.amdhsa_reserve_vcc 1
		.amdhsa_reserve_flat_scratch 0
		.amdhsa_float_round_mode_32 0
		.amdhsa_float_round_mode_16_64 0
		.amdhsa_float_denorm_mode_32 3
		.amdhsa_float_denorm_mode_16_64 3
		.amdhsa_dx10_clamp 1
		.amdhsa_ieee_mode 1
		.amdhsa_fp16_overflow 0
		.amdhsa_tg_split 0
		.amdhsa_exception_fp_ieee_invalid_op 0
		.amdhsa_exception_fp_denorm_src 0
		.amdhsa_exception_fp_ieee_div_zero 0
		.amdhsa_exception_fp_ieee_overflow 0
		.amdhsa_exception_fp_ieee_underflow 0
		.amdhsa_exception_fp_ieee_inexact 0
		.amdhsa_exception_int_div_zero 0
	.end_amdhsa_kernel
	.section	.text._ZN5aiter35fused_qk_rmsnorm_group_quant_kernelIDF16_DB8_Li512ELi16ELi8ELb0ELb0ELb1ELb0ELb0ELb0EEEvPT0_PvPT_S6_S6_PKS5_S8_S8_S8_S8_ffiiiiiiiiiiiii,"axG",@progbits,_ZN5aiter35fused_qk_rmsnorm_group_quant_kernelIDF16_DB8_Li512ELi16ELi8ELb0ELb0ELb1ELb0ELb0ELb0EEEvPT0_PvPT_S6_S6_PKS5_S8_S8_S8_S8_ffiiiiiiiiiiiii,comdat
.Lfunc_end929:
	.size	_ZN5aiter35fused_qk_rmsnorm_group_quant_kernelIDF16_DB8_Li512ELi16ELi8ELb0ELb0ELb1ELb0ELb0ELb0EEEvPT0_PvPT_S6_S6_PKS5_S8_S8_S8_S8_ffiiiiiiiiiiiii, .Lfunc_end929-_ZN5aiter35fused_qk_rmsnorm_group_quant_kernelIDF16_DB8_Li512ELi16ELi8ELb0ELb0ELb1ELb0ELb0ELb0EEEvPT0_PvPT_S6_S6_PKS5_S8_S8_S8_S8_ffiiiiiiiiiiiii
                                        ; -- End function
	.section	.AMDGPU.csdata,"",@progbits
; Kernel info:
; codeLenInByte = 3584
; NumSgprs: 36
; NumVgprs: 36
; NumAgprs: 0
; TotalNumVgprs: 36
; ScratchSize: 0
; MemoryBound: 0
; FloatMode: 240
; IeeeMode: 1
; LDSByteSize: 64 bytes/workgroup (compile time only)
; SGPRBlocks: 4
; VGPRBlocks: 4
; NumSGPRsForWavesPerEU: 36
; NumVGPRsForWavesPerEU: 36
; AccumOffset: 36
; Occupancy: 8
; WaveLimiterHint : 0
; COMPUTE_PGM_RSRC2:SCRATCH_EN: 0
; COMPUTE_PGM_RSRC2:USER_SGPR: 6
; COMPUTE_PGM_RSRC2:TRAP_HANDLER: 0
; COMPUTE_PGM_RSRC2:TGID_X_EN: 1
; COMPUTE_PGM_RSRC2:TGID_Y_EN: 1
; COMPUTE_PGM_RSRC2:TGID_Z_EN: 0
; COMPUTE_PGM_RSRC2:TIDIG_COMP_CNT: 0
; COMPUTE_PGM_RSRC3_GFX90A:ACCUM_OFFSET: 8
; COMPUTE_PGM_RSRC3_GFX90A:TG_SPLIT: 0
	.section	.text._ZN5aiter35fused_qk_rmsnorm_group_quant_kernelItDB8_Li512ELi16ELi8ELb0ELb0ELb1ELb0ELb0ELb0EEEvPT0_PvPT_S6_S6_PKS5_S8_S8_S8_S8_ffiiiiiiiiiiiii,"axG",@progbits,_ZN5aiter35fused_qk_rmsnorm_group_quant_kernelItDB8_Li512ELi16ELi8ELb0ELb0ELb1ELb0ELb0ELb0EEEvPT0_PvPT_S6_S6_PKS5_S8_S8_S8_S8_ffiiiiiiiiiiiii,comdat
	.protected	_ZN5aiter35fused_qk_rmsnorm_group_quant_kernelItDB8_Li512ELi16ELi8ELb0ELb0ELb1ELb0ELb0ELb0EEEvPT0_PvPT_S6_S6_PKS5_S8_S8_S8_S8_ffiiiiiiiiiiiii ; -- Begin function _ZN5aiter35fused_qk_rmsnorm_group_quant_kernelItDB8_Li512ELi16ELi8ELb0ELb0ELb1ELb0ELb0ELb0EEEvPT0_PvPT_S6_S6_PKS5_S8_S8_S8_S8_ffiiiiiiiiiiiii
	.globl	_ZN5aiter35fused_qk_rmsnorm_group_quant_kernelItDB8_Li512ELi16ELi8ELb0ELb0ELb1ELb0ELb0ELb0EEEvPT0_PvPT_S6_S6_PKS5_S8_S8_S8_S8_ffiiiiiiiiiiiii
	.p2align	8
	.type	_ZN5aiter35fused_qk_rmsnorm_group_quant_kernelItDB8_Li512ELi16ELi8ELb0ELb0ELb1ELb0ELb0ELb0EEEvPT0_PvPT_S6_S6_PKS5_S8_S8_S8_S8_ffiiiiiiiiiiiii,@function
_ZN5aiter35fused_qk_rmsnorm_group_quant_kernelItDB8_Li512ELi16ELi8ELb0ELb0ELb1ELb0ELb0ELb0EEEvPT0_PvPT_S6_S6_PKS5_S8_S8_S8_S8_ffiiiiiiiiiiiii: ; @_ZN5aiter35fused_qk_rmsnorm_group_quant_kernelItDB8_Li512ELi16ELi8ELb0ELb0ELb1ELb0ELb0ELb0EEEvPT0_PvPT_S6_S6_PKS5_S8_S8_S8_S8_ffiiiiiiiiiiiii
; %bb.0:
	s_load_dwordx4 s[16:19], s[4:5], 0x50
	s_waitcnt lgkmcnt(0)
	s_cmp_ge_i32 s6, s18
	s_cbranch_scc1 .LBB930_12
; %bb.1:
	s_load_dwordx2 s[12:13], s[4:5], 0x48
	s_load_dwordx2 s[30:31], s[4:5], 0x30
	s_load_dwordx4 s[20:23], s[4:5], 0x60
	s_cmp_lg_u32 s7, 0
	s_cselect_b64 s[14:15], -1, 0
	s_cmp_eq_u32 s7, 0
	s_cselect_b64 vcc, -1, 0
	s_and_b64 s[0:1], vcc, exec
	s_waitcnt lgkmcnt(0)
	s_cselect_b32 s7, s19, s20
	s_add_i32 s0, s7, 1
	s_lshr_b32 s1, s0, 31
	s_add_i32 s0, s0, s1
	s_lshl_b32 s0, s0, 1
	v_lshlrev_b32_e32 v1, 4, v0
	s_and_b32 s10, s0, -4
	v_cmp_gt_i32_e64 s[2:3], s7, v1
	v_mov_b32_e32 v18, 0
	v_mov_b32_e32 v6, 0
	;; [unrolled: 1-line block ×17, first 2 shown]
	s_and_saveexec_b64 s[0:1], s[2:3]
	s_cbranch_execz .LBB930_3
; %bb.2:
	s_load_dwordx2 s[8:9], s[4:5], 0x28
	s_load_dwordx2 s[26:27], s[4:5], 0x40
	s_and_b64 s[24:25], vcc, exec
	s_cselect_b32 s11, s21, s22
	v_lshlrev_b32_e32 v19, 5, v0
	s_waitcnt lgkmcnt(0)
	s_cselect_b32 s18, s9, s31
	s_cselect_b32 s21, s8, s30
	s_mul_hi_i32 s9, s11, s6
	s_mul_i32 s8, s11, s6
	s_lshl_b64 s[8:9], s[8:9], 1
	s_add_u32 s24, s21, s8
	s_addc_u32 s18, s18, s9
	s_and_b64 s[8:9], vcc, exec
	s_mov_b32 s11, 0x20000
	s_cselect_b32 s8, s26, s12
	s_cselect_b32 s9, s27, s13
	s_and_b32 s25, s18, 0xffff
	s_mov_b32 s26, s10
	s_mov_b32 s27, s11
	s_and_b32 s9, s9, 0xffff
	buffer_load_dwordx4 v[14:17], v19, s[24:27], 0 offen
	buffer_load_dwordx4 v[10:13], v19, s[24:27], 16 offen
	;; [unrolled: 1-line block ×4, first 2 shown]
.LBB930_3:
	s_or_b64 exec, exec, s[0:1]
	v_mov_b32_e32 v19, 0
	v_mov_b32_e32 v32, 0
	;; [unrolled: 1-line block ×15, first 2 shown]
	s_and_saveexec_b64 s[0:1], s[2:3]
	s_cbranch_execz .LBB930_5
; %bb.4:
	s_waitcnt vmcnt(3)
	v_cvt_f32_u32_sdwa v18, v14 dst_sel:DWORD dst_unused:UNUSED_PAD src0_sel:WORD_0
	v_cvt_f32_u32_sdwa v19, v14 dst_sel:DWORD dst_unused:UNUSED_PAD src0_sel:WORD_1
	v_cvt_f32_u32_sdwa v32, v15 dst_sel:DWORD dst_unused:UNUSED_PAD src0_sel:WORD_0
	v_cvt_f32_u32_sdwa v33, v15 dst_sel:DWORD dst_unused:UNUSED_PAD src0_sel:WORD_1
	;; [unrolled: 2-line block ×4, first 2 shown]
	s_waitcnt vmcnt(2)
	v_cvt_f32_u32_sdwa v24, v10 dst_sel:DWORD dst_unused:UNUSED_PAD src0_sel:WORD_0
	v_cvt_f32_u32_sdwa v25, v10 dst_sel:DWORD dst_unused:UNUSED_PAD src0_sel:WORD_1
	v_cvt_f32_u32_sdwa v28, v11 dst_sel:DWORD dst_unused:UNUSED_PAD src0_sel:WORD_0
	v_cvt_f32_u32_sdwa v29, v11 dst_sel:DWORD dst_unused:UNUSED_PAD src0_sel:WORD_1
	v_cvt_f32_u32_sdwa v22, v12 dst_sel:DWORD dst_unused:UNUSED_PAD src0_sel:WORD_0
	v_cvt_f32_u32_sdwa v23, v12 dst_sel:DWORD dst_unused:UNUSED_PAD src0_sel:WORD_1
	v_cvt_f32_u32_sdwa v20, v13 dst_sel:DWORD dst_unused:UNUSED_PAD src0_sel:WORD_0
	v_cvt_f32_u32_sdwa v21, v13 dst_sel:DWORD dst_unused:UNUSED_PAD src0_sel:WORD_1
.LBB930_5:
	s_or_b64 exec, exec, s[0:1]
	s_waitcnt vmcnt(2)
	v_mul_f32_e32 v10, v19, v19
	v_fmac_f32_e32 v10, v18, v18
	v_fmac_f32_e32 v10, v32, v32
	;; [unrolled: 1-line block ×15, first 2 shown]
	v_and_b32_e32 v12, 63, v0
	v_cmp_eq_u32_e64 s[0:1], 63, v12
	v_mov_b32_dpp v11, v10 quad_perm:[1,0,3,2] row_mask:0xf bank_mask:0xf
	v_add_f32_e32 v10, v10, v11
	s_nop 1
	v_mov_b32_dpp v11, v10 quad_perm:[2,3,0,1] row_mask:0xf bank_mask:0xf
	v_add_f32_e32 v10, v10, v11
	s_nop 1
	v_mov_b32_dpp v11, v10 row_half_mirror row_mask:0xf bank_mask:0xf
	v_add_f32_e32 v10, v10, v11
	s_nop 1
	v_mov_b32_dpp v11, v10 row_mirror row_mask:0xf bank_mask:0xf
	v_add_f32_e32 v10, v10, v11
	s_nop 1
	v_mov_b32_dpp v11, v10 row_bcast:15 row_mask:0xf bank_mask:0xf
	v_add_f32_e32 v10, v10, v11
	s_nop 1
	v_mov_b32_dpp v11, v10 row_bcast:31 row_mask:0xf bank_mask:0xf
	s_and_saveexec_b64 s[8:9], s[0:1]
	s_cbranch_execz .LBB930_7
; %bb.6:
	v_add_f32_e32 v10, v10, v11
	v_lshrrev_b32_e32 v11, 4, v0
	v_and_b32_e32 v11, 60, v11
	ds_write_b32 v11, v10 offset:32
.LBB930_7:
	s_or_b64 exec, exec, s[8:9]
	v_and_b32_e32 v10, 7, v0
	v_lshlrev_b32_e32 v34, 2, v10
	s_waitcnt lgkmcnt(0)
	s_barrier
	ds_read_b32 v11, v34 offset:32
	s_load_dwordx2 s[28:29], s[4:5], 0x18
	s_waitcnt lgkmcnt(0)
	v_mov_b32_dpp v12, v11 quad_perm:[1,0,3,2] row_mask:0xf bank_mask:0xf
	v_add_f32_e32 v11, v11, v12
	s_nop 1
	v_mov_b32_dpp v12, v11 quad_perm:[2,3,0,1] row_mask:0xf bank_mask:0xf
	v_add_f32_e32 v11, v11, v12
	s_nop 1
	v_mov_b32_dpp v12, v11 row_half_mirror row_mask:0xf bank_mask:0xf
	s_and_saveexec_b64 s[8:9], s[2:3]
	s_cbranch_execz .LBB930_9
; %bb.8:
	v_cvt_f32_u32_e32 v13, s7
	v_add_f32_e32 v11, v11, v12
	v_mov_b32_e32 v15, s17
	v_mov_b32_e32 v16, s16
	v_div_scale_f32 v12, s[24:25], v13, v13, v11
	v_rcp_f32_e32 v14, v12
	v_cndmask_b32_e32 v15, v15, v16, vcc
	s_mov_b32 s7, 0x800000
	v_fma_f32 v16, -v12, v14, 1.0
	v_fmac_f32_e32 v14, v16, v14
	v_div_scale_f32 v16, vcc, v11, v13, v11
	v_mul_f32_e32 v17, v16, v14
	v_fma_f32 v35, -v12, v17, v16
	v_fmac_f32_e32 v17, v35, v14
	v_fma_f32 v12, -v12, v17, v16
	v_div_fmas_f32 v12, v12, v14, v17
	v_div_fixup_f32 v11, v12, v13, v11
	v_add_f32_e32 v11, v15, v11
	v_mul_f32_e32 v12, 0x4b800000, v11
	v_cmp_gt_f32_e32 vcc, s7, v11
	v_cndmask_b32_e32 v11, v11, v12, vcc
	v_rsq_f32_e32 v11, v11
	v_mul_f32_e32 v12, 0x45800000, v11
	v_cndmask_b32_e32 v12, v11, v12, vcc
	v_mov_b32_e32 v13, v12
	;;#ASMSTART
	v_pk_mul_f32 v[14:15], v[18:19], v[12:13]
	;;#ASMEND
	s_waitcnt vmcnt(1)
	v_cvt_f32_u32_sdwa v19, v6 dst_sel:DWORD dst_unused:UNUSED_PAD src0_sel:WORD_1
	v_cvt_f32_u32_sdwa v18, v6 dst_sel:DWORD dst_unused:UNUSED_PAD src0_sel:WORD_0
	;;#ASMSTART
	v_pk_mul_f32 v[16:17], v[32:33], v[12:13]
	;;#ASMEND
	v_cvt_f32_u32_sdwa v33, v7 dst_sel:DWORD dst_unused:UNUSED_PAD src0_sel:WORD_1
	v_cvt_f32_u32_sdwa v32, v7 dst_sel:DWORD dst_unused:UNUSED_PAD src0_sel:WORD_0
	;;#ASMSTART
	v_pk_mul_f32 v[26:27], v[26:27], v[12:13]
	;;#ASMEND
	;;#ASMSTART
	v_pk_mul_f32 v[30:31], v[30:31], v[12:13]
	;;#ASMEND
	;; [unrolled: 3-line block ×6, first 2 shown]
	v_pk_add_f32 v[12:13], v[18:19], 1.0 op_sel_hi:[1,0]
	;;#ASMSTART
	v_pk_mul_f32 v[18:19], v[14:15], v[12:13]
	;;#ASMEND
	v_cvt_f32_u32_sdwa v15, v8 dst_sel:DWORD dst_unused:UNUSED_PAD src0_sel:WORD_1
	v_cvt_f32_u32_sdwa v14, v8 dst_sel:DWORD dst_unused:UNUSED_PAD src0_sel:WORD_0
	v_cvt_f32_u32_sdwa v21, v9 dst_sel:DWORD dst_unused:UNUSED_PAD src0_sel:WORD_1
	v_cvt_f32_u32_sdwa v20, v9 dst_sel:DWORD dst_unused:UNUSED_PAD src0_sel:WORD_0
	v_pk_add_f32 v[12:13], v[32:33], 1.0 op_sel_hi:[1,0]
	;;#ASMSTART
	v_pk_mul_f32 v[32:33], v[16:17], v[12:13]
	;;#ASMEND
	s_waitcnt vmcnt(0)
	v_cvt_f32_u32_sdwa v13, v2 dst_sel:DWORD dst_unused:UNUSED_PAD src0_sel:WORD_1
	v_cvt_f32_u32_sdwa v12, v2 dst_sel:DWORD dst_unused:UNUSED_PAD src0_sel:WORD_0
	v_pk_add_f32 v[8:9], v[14:15], 1.0 op_sel_hi:[1,0]
	;;#ASMSTART
	v_pk_mul_f32 v[26:27], v[26:27], v[8:9]
	;;#ASMEND
	v_pk_add_f32 v[8:9], v[20:21], 1.0 op_sel_hi:[1,0]
	v_cvt_f32_u32_sdwa v15, v3 dst_sel:DWORD dst_unused:UNUSED_PAD src0_sel:WORD_1
	v_cvt_f32_u32_sdwa v14, v3 dst_sel:DWORD dst_unused:UNUSED_PAD src0_sel:WORD_0
	;;#ASMSTART
	v_pk_mul_f32 v[30:31], v[30:31], v[8:9]
	;;#ASMEND
	v_cvt_f32_u32_sdwa v9, v4 dst_sel:DWORD dst_unused:UNUSED_PAD src0_sel:WORD_1
	v_cvt_f32_u32_sdwa v8, v4 dst_sel:DWORD dst_unused:UNUSED_PAD src0_sel:WORD_0
	v_pk_add_f32 v[2:3], v[12:13], 1.0 op_sel_hi:[1,0]
	v_cvt_f32_u32_sdwa v13, v5 dst_sel:DWORD dst_unused:UNUSED_PAD src0_sel:WORD_1
	v_cvt_f32_u32_sdwa v12, v5 dst_sel:DWORD dst_unused:UNUSED_PAD src0_sel:WORD_0
	;;#ASMSTART
	v_pk_mul_f32 v[24:25], v[24:25], v[2:3]
	;;#ASMEND
	v_pk_add_f32 v[2:3], v[14:15], 1.0 op_sel_hi:[1,0]
	;;#ASMSTART
	v_pk_mul_f32 v[28:29], v[28:29], v[2:3]
	;;#ASMEND
	v_pk_add_f32 v[2:3], v[8:9], 1.0 op_sel_hi:[1,0]
	;;#ASMSTART
	v_pk_mul_f32 v[22:23], v[22:23], v[2:3]
	;;#ASMEND
	v_pk_add_f32 v[2:3], v[12:13], 1.0 op_sel_hi:[1,0]
	;;#ASMSTART
	v_pk_mul_f32 v[20:21], v[6:7], v[2:3]
	;;#ASMEND
.LBB930_9:
	s_or_b64 exec, exec, s[8:9]
	s_load_dword s7, s[4:5], 0x80
	s_mov_b64 s[8:9], -1
	s_and_b64 vcc, exec, s[14:15]
	s_cbranch_vccnz .LBB930_13
; %bb.10:
	s_andn2_b64 vcc, exec, s[8:9]
	s_cbranch_vccz .LBB930_16
.LBB930_11:
	s_cmp_lt_i32 s20, 1
	s_cbranch_scc0 .LBB930_23
.LBB930_12:
	s_endpgm
.LBB930_13:
	s_and_saveexec_b64 s[14:15], s[2:3]
	s_cbranch_execz .LBB930_15
; %bb.14:
	s_waitcnt lgkmcnt(0)
	s_mul_hi_i32 s9, s7, s6
	s_mul_i32 s8, s7, s6
	s_lshl_b64 s[8:9], s[8:9], 1
	s_add_u32 s8, s28, s8
	s_addc_u32 s9, s29, s9
	s_mov_b32 s16, 0x7060302
	s_and_b32 s9, s9, 0xffff
	s_mov_b32 s11, 0x20000
	s_waitcnt vmcnt(0)
	v_perm_b32 v5, v31, v30, s16
	v_perm_b32 v4, v27, v26, s16
	;; [unrolled: 1-line block ×4, first 2 shown]
	v_lshlrev_b32_e32 v6, 5, v0
	buffer_store_dwordx4 v[2:5], v6, s[8:11], 0 offen
	;;#ASMSTART
	s_nop 0
	;;#ASMEND
	s_nop 0
	v_perm_b32 v5, v21, v20, s16
	v_perm_b32 v4, v23, v22, s16
	;; [unrolled: 1-line block ×4, first 2 shown]
	buffer_store_dwordx4 v[2:5], v6, s[8:11], 16 offen
	;;#ASMSTART
	s_nop 0
	;;#ASMEND
.LBB930_15:
	s_or_b64 exec, exec, s[14:15]
	s_cbranch_execnz .LBB930_11
.LBB930_16:
	s_waitcnt vmcnt(0)
	v_mov_b32_e32 v2, 0
	s_and_saveexec_b64 s[8:9], s[2:3]
	s_cbranch_execz .LBB930_18
; %bb.17:
	v_and_b32_e32 v2, 0x7fffffff, v18
	v_and_b32_e32 v3, 0x7fffffff, v19
	v_mov_b32_e32 v4, 0x2edbe6ff
	;;#ASMSTART
	v_max3_f32 v2, v4, v2, v3

	;;#ASMEND
	v_and_b32_e32 v3, 0x7fffffff, v32
	v_and_b32_e32 v4, 0x7fffffff, v33
	;;#ASMSTART
	v_max3_f32 v2, v2, v3, v4

	;;#ASMEND
	v_and_b32_e32 v3, 0x7fffffff, v26
	v_and_b32_e32 v4, 0x7fffffff, v27
	;; [unrolled: 6-line block ×7, first 2 shown]
	;;#ASMSTART
	v_max3_f32 v2, v2, v3, v4

	;;#ASMEND
.LBB930_18:
	s_or_b64 exec, exec, s[8:9]
	s_load_dwordx4 s[24:27], s[4:5], 0x70
	;;#ASMSTART
	v_max_f32 v3, v2, v2 quad_perm:[1,0,3,2] row_mask:0xf bank_mask:0xf bound_ctrl:1
	;;#ASMEND
	;;#ASMSTART
	v_max_f32 v2, v3, v3 quad_perm:[2,3,0,1] row_mask:0xf bank_mask:0xf bound_ctrl:1
	;;#ASMEND
	v_cmp_eq_u32_e32 vcc, 0, v10
	v_cmp_gt_i32_e64 s[8:9], s19, v1
	;;#ASMSTART
	v_max_f32 v3, v2, v2 row_half_mirror row_mask:0xf bank_mask:0xf bound_ctrl:1
	;;#ASMEND
	v_mul_f32_e32 v2, 0x3b124925, v3
	s_and_b64 s[10:11], vcc, s[8:9]
	s_and_saveexec_b64 s[8:9], s[10:11]
	s_cbranch_execz .LBB930_20
; %bb.19:
	s_load_dwordx2 s[10:11], s[4:5], 0x8
	s_waitcnt lgkmcnt(0)
	s_mul_hi_i32 s15, s25, s6
	s_mul_i32 s14, s25, s6
	v_lshrrev_b32_e32 v3, 3, v0
	s_lshl_b64 s[14:15], s[14:15], 2
	v_mad_i64_i32 v[4:5], s[26:27], s26, v3, 0
	s_add_u32 s10, s10, s14
	s_addc_u32 s11, s11, s15
	v_lshlrev_b64 v[4:5], 2, v[4:5]
	v_mov_b32_e32 v3, s11
	v_add_co_u32_e32 v4, vcc, s10, v4
	v_addc_co_u32_e32 v5, vcc, v3, v5, vcc
	global_store_dword v[4:5], v2, off
.LBB930_20:
	s_or_b64 exec, exec, s[8:9]
	;;#ASMSTART
	v_rcp_f32 v2, v2
	;;#ASMEND
	s_and_saveexec_b64 s[14:15], s[2:3]
	s_cbranch_execz .LBB930_22
; %bb.21:
	s_load_dwordx2 s[2:3], s[4:5], 0x0
	s_waitcnt lgkmcnt(0)
	s_mul_i32 s8, s24, s6
	s_mul_hi_i32 s9, s24, s6
	v_mov_b32_e32 v3, v2
	;;#ASMSTART
	v_pk_mul_f32 v[4:5], v[18:19], v[2:3]
	;;#ASMEND
	s_add_u32 s8, s2, s8
	s_addc_u32 s2, s3, s9
	s_add_i32 s3, s19, 3
	s_ashr_i32 s10, s3, 31
	v_mov_b32_e32 v10, 0xc3e00000
	v_mov_b32_e32 v11, 0x43e00000
	;;#ASMSTART
	v_med3_f32 v4, v4, v10, v11
v_med3_f32 v5, v5, v10, v11
v_cvt_pk_fp8_f32 v6, v4, v5
	;;#ASMEND
	s_and_b32 s9, s2, 0xffff
	s_lshr_b32 s2, s10, 30
	;;#ASMSTART
	v_pk_mul_f32 v[4:5], v[32:33], v[2:3]
	;;#ASMEND
	s_add_i32 s3, s3, s2
	;;#ASMSTART
	v_med3_f32 v4, v4, v10, v11
v_med3_f32 v5, v5, v10, v11
v_cvt_pk_fp8_f32 v7, v4, v5
	;;#ASMEND
	s_mov_b32 s2, 0x5040100
	v_perm_b32 v4, v7, v6, s2
	s_mov_b32 s2, 0x1060504
	v_perm_b32 v4, v4, v7, s2
	;;#ASMSTART
	v_pk_mul_f32 v[6:7], v[26:27], v[2:3]
	;;#ASMEND
	v_mov_b32_e32 v5, v7
	;;#ASMSTART
	v_med3_f32 v6, v6, v10, v11
v_med3_f32 v5, v5, v10, v11
v_cvt_pk_fp8_f32 v8, v6, v5
	;;#ASMEND
	;;#ASMSTART
	v_pk_mul_f32 v[6:7], v[30:31], v[2:3]
	;;#ASMEND
	v_mov_b32_e32 v5, v7
	;;#ASMSTART
	v_med3_f32 v6, v6, v10, v11
v_med3_f32 v5, v5, v10, v11
v_cvt_pk_fp8_f32 v7, v6, v5
	;;#ASMEND
	s_mov_b32 s2, 0x1000504
	v_perm_b32 v5, v8, v7, s2
	;;#ASMSTART
	v_pk_mul_f32 v[6:7], v[24:25], v[2:3]
	;;#ASMEND
	;;#ASMSTART
	v_med3_f32 v6, v6, v10, v11
v_med3_f32 v7, v7, v10, v11
v_cvt_pk_fp8_f32 v8, v6, v7
	;;#ASMEND
	;;#ASMSTART
	v_pk_mul_f32 v[6:7], v[28:29], v[2:3]
	;;#ASMEND
	;;#ASMSTART
	v_med3_f32 v6, v6, v10, v11
v_med3_f32 v7, v7, v10, v11
v_cvt_pk_fp8_f32 v9, v6, v7
	;;#ASMEND
	v_perm_b32 v6, v8, v9, s2
	;;#ASMSTART
	v_pk_mul_f32 v[8:9], v[22:23], v[2:3]
	;;#ASMEND
	v_mov_b32_e32 v7, v9
	;;#ASMSTART
	v_med3_f32 v8, v8, v10, v11
v_med3_f32 v7, v7, v10, v11
v_cvt_pk_fp8_f32 v9, v8, v7
	;;#ASMEND
	;;#ASMSTART
	v_pk_mul_f32 v[2:3], v[20:21], v[2:3]
	;;#ASMEND
	;;#ASMSTART
	v_med3_f32 v2, v2, v10, v11
v_med3_f32 v3, v3, v10, v11
v_cvt_pk_fp8_f32 v7, v2, v3
	;;#ASMEND
	s_and_b32 s10, s3, -4
	s_mov_b32 s11, 0x20000
	v_perm_b32 v7, v9, v7, s2
	buffer_store_dwordx4 v[4:7], v1, s[8:11], 0 offen
	;;#ASMSTART
	s_nop 0
	;;#ASMEND
.LBB930_22:
	s_or_b64 exec, exec, s[14:15]
	s_cmp_lt_i32 s20, 1
	s_cbranch_scc1 .LBB930_12
.LBB930_23:
	s_load_dword s2, s[4:5], 0x94
	s_waitcnt lgkmcnt(0)
	s_cmp_lg_u32 s2, 1
	s_cbranch_scc1 .LBB930_12
; %bb.24:
	s_lshl_b32 s2, s20, 1
	s_add_i32 s2, s2, 2
	v_cmp_gt_u32_e32 vcc, s20, v1
	s_and_b32 s14, s2, -4
	v_mov_b32_e32 v18, 0
	v_lshlrev_b32_e32 v1, 5, v0
	v_mov_b32_e32 v14, 0
	v_mov_b32_e32 v15, 0
	;; [unrolled: 1-line block ×8, first 2 shown]
	s_waitcnt vmcnt(1)
	v_mov_b32_e32 v6, 0
	v_mov_b32_e32 v7, 0
	;; [unrolled: 1-line block ×4, first 2 shown]
	s_waitcnt vmcnt(0)
	v_mov_b32_e32 v2, 0
	v_mov_b32_e32 v3, 0
	;; [unrolled: 1-line block ×4, first 2 shown]
	s_barrier
	s_and_saveexec_b64 s[2:3], vcc
	s_cbranch_execz .LBB930_26
; %bb.25:
	s_mul_hi_i32 s5, s22, s6
	s_mul_i32 s4, s22, s6
	s_and_b32 s13, s13, 0xffff
	s_lshl_b64 s[4:5], s[4:5], 1
	s_add_u32 s8, s30, s4
	s_mov_b32 s15, 0x20000
	s_addc_u32 s4, s31, s5
	s_and_b32 s9, s4, 0xffff
	s_mov_b32 s10, s14
	s_mov_b32 s11, s15
	buffer_load_dwordx4 v[14:17], v1, s[8:11], 0 offen
	buffer_load_dwordx4 v[10:13], v1, s[8:11], 16 offen
	;; [unrolled: 1-line block ×4, first 2 shown]
.LBB930_26:
	s_or_b64 exec, exec, s[2:3]
	v_mov_b32_e32 v19, 0
	v_mov_b32_e32 v32, 0
	;; [unrolled: 1-line block ×15, first 2 shown]
	s_and_saveexec_b64 s[2:3], vcc
	s_cbranch_execz .LBB930_28
; %bb.27:
	s_waitcnt vmcnt(3)
	v_cvt_f32_u32_sdwa v18, v14 dst_sel:DWORD dst_unused:UNUSED_PAD src0_sel:WORD_0
	v_cvt_f32_u32_sdwa v19, v14 dst_sel:DWORD dst_unused:UNUSED_PAD src0_sel:WORD_1
	v_cvt_f32_u32_sdwa v32, v15 dst_sel:DWORD dst_unused:UNUSED_PAD src0_sel:WORD_0
	v_cvt_f32_u32_sdwa v33, v15 dst_sel:DWORD dst_unused:UNUSED_PAD src0_sel:WORD_1
	;; [unrolled: 2-line block ×4, first 2 shown]
	s_waitcnt vmcnt(2)
	v_cvt_f32_u32_sdwa v26, v10 dst_sel:DWORD dst_unused:UNUSED_PAD src0_sel:WORD_0
	v_cvt_f32_u32_sdwa v27, v10 dst_sel:DWORD dst_unused:UNUSED_PAD src0_sel:WORD_1
	v_cvt_f32_u32_sdwa v24, v11 dst_sel:DWORD dst_unused:UNUSED_PAD src0_sel:WORD_0
	v_cvt_f32_u32_sdwa v25, v11 dst_sel:DWORD dst_unused:UNUSED_PAD src0_sel:WORD_1
	;; [unrolled: 2-line block ×4, first 2 shown]
.LBB930_28:
	s_or_b64 exec, exec, s[2:3]
	s_waitcnt vmcnt(2)
	v_mul_f32_e32 v10, v19, v19
	v_fmac_f32_e32 v10, v18, v18
	v_fmac_f32_e32 v10, v32, v32
	;; [unrolled: 1-line block ×15, first 2 shown]
	s_nop 1
	v_mov_b32_dpp v11, v10 quad_perm:[1,0,3,2] row_mask:0xf bank_mask:0xf
	v_add_f32_e32 v10, v10, v11
	s_nop 1
	v_mov_b32_dpp v11, v10 quad_perm:[2,3,0,1] row_mask:0xf bank_mask:0xf
	v_add_f32_e32 v10, v10, v11
	s_nop 1
	v_mov_b32_dpp v11, v10 row_half_mirror row_mask:0xf bank_mask:0xf
	v_add_f32_e32 v10, v10, v11
	s_nop 1
	v_mov_b32_dpp v11, v10 row_mirror row_mask:0xf bank_mask:0xf
	v_add_f32_e32 v10, v10, v11
	s_nop 1
	v_mov_b32_dpp v11, v10 row_bcast:15 row_mask:0xf bank_mask:0xf
	v_add_f32_e32 v10, v10, v11
	s_nop 1
	v_mov_b32_dpp v11, v10 row_bcast:31 row_mask:0xf bank_mask:0xf
	s_and_saveexec_b64 s[2:3], s[0:1]
	s_cbranch_execz .LBB930_30
; %bb.29:
	v_lshrrev_b32_e32 v0, 4, v0
	v_add_f32_e32 v10, v10, v11
	v_and_b32_e32 v0, 60, v0
	ds_write_b32 v0, v10
.LBB930_30:
	s_or_b64 exec, exec, s[2:3]
	s_waitcnt lgkmcnt(0)
	s_barrier
	ds_read_b32 v0, v34
	s_waitcnt lgkmcnt(0)
	s_nop 0
	v_mov_b32_dpp v10, v0 quad_perm:[1,0,3,2] row_mask:0xf bank_mask:0xf
	v_add_f32_e32 v0, v0, v10
	s_nop 1
	v_mov_b32_dpp v10, v0 quad_perm:[2,3,0,1] row_mask:0xf bank_mask:0xf
	v_add_f32_e32 v0, v0, v10
	s_nop 1
	v_mov_b32_dpp v10, v0 row_half_mirror row_mask:0xf bank_mask:0xf
	s_and_saveexec_b64 s[0:1], vcc
	s_cbranch_execz .LBB930_12
; %bb.31:
	v_cvt_f32_u32_e32 v11, s20
	v_add_f32_e32 v0, v0, v10
	s_mov_b32 s15, 0x20000
	v_div_scale_f32 v10, s[0:1], v11, v11, v0
	v_rcp_f32_e32 v12, v10
	v_div_scale_f32 v13, vcc, v0, v11, v0
	s_mov_b32 s0, 0x800000
	v_fma_f32 v14, -v10, v12, 1.0
	v_fmac_f32_e32 v12, v14, v12
	v_mul_f32_e32 v14, v13, v12
	v_fma_f32 v15, -v10, v14, v13
	v_fmac_f32_e32 v14, v15, v12
	v_fma_f32 v10, -v10, v14, v13
	v_div_fmas_f32 v10, v10, v12, v14
	v_div_fixup_f32 v0, v10, v11, v0
	v_add_f32_e32 v0, s17, v0
	v_mul_f32_e32 v10, 0x4b800000, v0
	v_cmp_gt_f32_e32 vcc, s0, v0
	v_cndmask_b32_e32 v0, v0, v10, vcc
	v_rsq_f32_e32 v0, v0
	s_mul_hi_i32 s1, s7, s6
	s_mul_i32 s0, s7, s6
	s_lshl_b64 s[0:1], s[0:1], 1
	v_mul_f32_e32 v10, 0x45800000, v0
	v_cndmask_b32_e32 v10, v0, v10, vcc
	v_mov_b32_e32 v11, v10
	;;#ASMSTART
	v_pk_mul_f32 v[12:13], v[18:19], v[10:11]
	;;#ASMEND
	;;#ASMSTART
	v_pk_mul_f32 v[14:15], v[32:33], v[10:11]
	;;#ASMEND
	;; [unrolled: 3-line block ×4, first 2 shown]
	s_waitcnt vmcnt(1)
	v_cvt_f32_u32_sdwa v29, v6 dst_sel:DWORD dst_unused:UNUSED_PAD src0_sel:WORD_1
	v_cvt_f32_u32_sdwa v28, v6 dst_sel:DWORD dst_unused:UNUSED_PAD src0_sel:WORD_0
	v_cvt_f32_u32_sdwa v31, v7 dst_sel:DWORD dst_unused:UNUSED_PAD src0_sel:WORD_1
	v_cvt_f32_u32_sdwa v30, v7 dst_sel:DWORD dst_unused:UNUSED_PAD src0_sel:WORD_0
	;;#ASMSTART
	v_pk_mul_f32 v[26:27], v[26:27], v[10:11]
	;;#ASMEND
	;;#ASMSTART
	v_pk_mul_f32 v[24:25], v[24:25], v[10:11]
	;;#ASMEND
	;; [unrolled: 3-line block ×4, first 2 shown]
	v_cvt_f32_u32_sdwa v21, v8 dst_sel:DWORD dst_unused:UNUSED_PAD src0_sel:WORD_1
	v_cvt_f32_u32_sdwa v20, v8 dst_sel:DWORD dst_unused:UNUSED_PAD src0_sel:WORD_0
	v_pk_add_f32 v[10:11], v[28:29], 1.0 op_sel_hi:[1,0]
	;;#ASMSTART
	v_pk_mul_f32 v[10:11], v[12:13], v[10:11]
	;;#ASMEND
	v_pk_add_f32 v[12:13], v[30:31], 1.0 op_sel_hi:[1,0]
	v_cvt_f32_u32_sdwa v29, v9 dst_sel:DWORD dst_unused:UNUSED_PAD src0_sel:WORD_1
	v_cvt_f32_u32_sdwa v28, v9 dst_sel:DWORD dst_unused:UNUSED_PAD src0_sel:WORD_0
	;;#ASMSTART
	v_pk_mul_f32 v[8:9], v[14:15], v[12:13]
	;;#ASMEND
	v_pk_add_f32 v[12:13], v[20:21], 1.0 op_sel_hi:[1,0]
	;;#ASMSTART
	v_pk_mul_f32 v[12:13], v[16:17], v[12:13]
	;;#ASMEND
	s_waitcnt vmcnt(0)
	v_cvt_f32_u32_sdwa v17, v2 dst_sel:DWORD dst_unused:UNUSED_PAD src0_sel:WORD_1
	v_cvt_f32_u32_sdwa v16, v2 dst_sel:DWORD dst_unused:UNUSED_PAD src0_sel:WORD_0
	v_cvt_f32_u32_sdwa v21, v3 dst_sel:DWORD dst_unused:UNUSED_PAD src0_sel:WORD_1
	v_cvt_f32_u32_sdwa v20, v3 dst_sel:DWORD dst_unused:UNUSED_PAD src0_sel:WORD_0
	v_pk_add_f32 v[14:15], v[28:29], 1.0 op_sel_hi:[1,0]
	;;#ASMSTART
	v_pk_mul_f32 v[14:15], v[18:19], v[14:15]
	;;#ASMEND
	v_pk_add_f32 v[2:3], v[16:17], 1.0 op_sel_hi:[1,0]
	v_cvt_f32_u32_sdwa v19, v4 dst_sel:DWORD dst_unused:UNUSED_PAD src0_sel:WORD_1
	v_cvt_f32_u32_sdwa v18, v4 dst_sel:DWORD dst_unused:UNUSED_PAD src0_sel:WORD_0
	;;#ASMSTART
	v_pk_mul_f32 v[16:17], v[26:27], v[2:3]
	;;#ASMEND
	v_pk_add_f32 v[2:3], v[20:21], 1.0 op_sel_hi:[1,0]
	v_cvt_f32_u32_sdwa v21, v5 dst_sel:DWORD dst_unused:UNUSED_PAD src0_sel:WORD_1
	v_cvt_f32_u32_sdwa v20, v5 dst_sel:DWORD dst_unused:UNUSED_PAD src0_sel:WORD_0
	s_add_u32 s12, s28, s0
	;;#ASMSTART
	v_pk_mul_f32 v[24:25], v[24:25], v[2:3]
	;;#ASMEND
	v_pk_add_f32 v[2:3], v[18:19], 1.0 op_sel_hi:[1,0]
	s_addc_u32 s0, s29, s1
	;;#ASMSTART
	v_pk_mul_f32 v[18:19], v[22:23], v[2:3]
	;;#ASMEND
	v_pk_add_f32 v[2:3], v[20:21], 1.0 op_sel_hi:[1,0]
	s_and_b32 s13, s0, 0xffff
	s_mov_b32 s0, 0x7060302
	;;#ASMSTART
	v_pk_mul_f32 v[6:7], v[6:7], v[2:3]
	;;#ASMEND
	v_perm_b32 v2, v11, v10, s0
	v_perm_b32 v3, v9, v8, s0
	;; [unrolled: 1-line block ×4, first 2 shown]
	buffer_store_dwordx4 v[2:5], v1, s[12:15], 0 offen
	;;#ASMSTART
	s_nop 0
	;;#ASMEND
	s_nop 0
	v_perm_b32 v2, v17, v16, s0
	v_perm_b32 v3, v25, v24, s0
	;; [unrolled: 1-line block ×4, first 2 shown]
	buffer_store_dwordx4 v[2:5], v1, s[12:15], 16 offen
	;;#ASMSTART
	s_nop 0
	;;#ASMEND
	s_endpgm
	.section	.rodata,"a",@progbits
	.p2align	6, 0x0
	.amdhsa_kernel _ZN5aiter35fused_qk_rmsnorm_group_quant_kernelItDB8_Li512ELi16ELi8ELb0ELb0ELb1ELb0ELb0ELb0EEEvPT0_PvPT_S6_S6_PKS5_S8_S8_S8_S8_ffiiiiiiiiiiiii
		.amdhsa_group_segment_fixed_size 64
		.amdhsa_private_segment_fixed_size 0
		.amdhsa_kernarg_size 400
		.amdhsa_user_sgpr_count 6
		.amdhsa_user_sgpr_private_segment_buffer 1
		.amdhsa_user_sgpr_dispatch_ptr 0
		.amdhsa_user_sgpr_queue_ptr 0
		.amdhsa_user_sgpr_kernarg_segment_ptr 1
		.amdhsa_user_sgpr_dispatch_id 0
		.amdhsa_user_sgpr_flat_scratch_init 0
		.amdhsa_user_sgpr_kernarg_preload_length 0
		.amdhsa_user_sgpr_kernarg_preload_offset 0
		.amdhsa_user_sgpr_private_segment_size 0
		.amdhsa_uses_dynamic_stack 0
		.amdhsa_system_sgpr_private_segment_wavefront_offset 0
		.amdhsa_system_sgpr_workgroup_id_x 1
		.amdhsa_system_sgpr_workgroup_id_y 1
		.amdhsa_system_sgpr_workgroup_id_z 0
		.amdhsa_system_sgpr_workgroup_info 0
		.amdhsa_system_vgpr_workitem_id 0
		.amdhsa_next_free_vgpr 36
		.amdhsa_next_free_sgpr 32
		.amdhsa_accum_offset 36
		.amdhsa_reserve_vcc 1
		.amdhsa_reserve_flat_scratch 0
		.amdhsa_float_round_mode_32 0
		.amdhsa_float_round_mode_16_64 0
		.amdhsa_float_denorm_mode_32 3
		.amdhsa_float_denorm_mode_16_64 3
		.amdhsa_dx10_clamp 1
		.amdhsa_ieee_mode 1
		.amdhsa_fp16_overflow 0
		.amdhsa_tg_split 0
		.amdhsa_exception_fp_ieee_invalid_op 0
		.amdhsa_exception_fp_denorm_src 0
		.amdhsa_exception_fp_ieee_div_zero 0
		.amdhsa_exception_fp_ieee_overflow 0
		.amdhsa_exception_fp_ieee_underflow 0
		.amdhsa_exception_fp_ieee_inexact 0
		.amdhsa_exception_int_div_zero 0
	.end_amdhsa_kernel
	.section	.text._ZN5aiter35fused_qk_rmsnorm_group_quant_kernelItDB8_Li512ELi16ELi8ELb0ELb0ELb1ELb0ELb0ELb0EEEvPT0_PvPT_S6_S6_PKS5_S8_S8_S8_S8_ffiiiiiiiiiiiii,"axG",@progbits,_ZN5aiter35fused_qk_rmsnorm_group_quant_kernelItDB8_Li512ELi16ELi8ELb0ELb0ELb1ELb0ELb0ELb0EEEvPT0_PvPT_S6_S6_PKS5_S8_S8_S8_S8_ffiiiiiiiiiiiii,comdat
.Lfunc_end930:
	.size	_ZN5aiter35fused_qk_rmsnorm_group_quant_kernelItDB8_Li512ELi16ELi8ELb0ELb0ELb1ELb0ELb0ELb0EEEvPT0_PvPT_S6_S6_PKS5_S8_S8_S8_S8_ffiiiiiiiiiiiii, .Lfunc_end930-_ZN5aiter35fused_qk_rmsnorm_group_quant_kernelItDB8_Li512ELi16ELi8ELb0ELb0ELb1ELb0ELb0ELb0EEEvPT0_PvPT_S6_S6_PKS5_S8_S8_S8_S8_ffiiiiiiiiiiiii
                                        ; -- End function
	.section	.AMDGPU.csdata,"",@progbits
; Kernel info:
; codeLenInByte = 3608
; NumSgprs: 36
; NumVgprs: 36
; NumAgprs: 0
; TotalNumVgprs: 36
; ScratchSize: 0
; MemoryBound: 0
; FloatMode: 240
; IeeeMode: 1
; LDSByteSize: 64 bytes/workgroup (compile time only)
; SGPRBlocks: 4
; VGPRBlocks: 4
; NumSGPRsForWavesPerEU: 36
; NumVGPRsForWavesPerEU: 36
; AccumOffset: 36
; Occupancy: 8
; WaveLimiterHint : 0
; COMPUTE_PGM_RSRC2:SCRATCH_EN: 0
; COMPUTE_PGM_RSRC2:USER_SGPR: 6
; COMPUTE_PGM_RSRC2:TRAP_HANDLER: 0
; COMPUTE_PGM_RSRC2:TGID_X_EN: 1
; COMPUTE_PGM_RSRC2:TGID_Y_EN: 1
; COMPUTE_PGM_RSRC2:TGID_Z_EN: 0
; COMPUTE_PGM_RSRC2:TIDIG_COMP_CNT: 0
; COMPUTE_PGM_RSRC3_GFX90A:ACCUM_OFFSET: 8
; COMPUTE_PGM_RSRC3_GFX90A:TG_SPLIT: 0
	.section	.text._ZN5aiter35fused_qk_rmsnorm_group_quant_kernelIDF16_N4opus5fp4_tELi512ELi16ELi8ELb0ELb0ELb1ELb0ELb0ELb0EEEvPT0_PvPT_S7_S7_PKS6_S9_S9_S9_S9_ffiiiiiiiiiiiii,"axG",@progbits,_ZN5aiter35fused_qk_rmsnorm_group_quant_kernelIDF16_N4opus5fp4_tELi512ELi16ELi8ELb0ELb0ELb1ELb0ELb0ELb0EEEvPT0_PvPT_S7_S7_PKS6_S9_S9_S9_S9_ffiiiiiiiiiiiii,comdat
	.protected	_ZN5aiter35fused_qk_rmsnorm_group_quant_kernelIDF16_N4opus5fp4_tELi512ELi16ELi8ELb0ELb0ELb1ELb0ELb0ELb0EEEvPT0_PvPT_S7_S7_PKS6_S9_S9_S9_S9_ffiiiiiiiiiiiii ; -- Begin function _ZN5aiter35fused_qk_rmsnorm_group_quant_kernelIDF16_N4opus5fp4_tELi512ELi16ELi8ELb0ELb0ELb1ELb0ELb0ELb0EEEvPT0_PvPT_S7_S7_PKS6_S9_S9_S9_S9_ffiiiiiiiiiiiii
	.globl	_ZN5aiter35fused_qk_rmsnorm_group_quant_kernelIDF16_N4opus5fp4_tELi512ELi16ELi8ELb0ELb0ELb1ELb0ELb0ELb0EEEvPT0_PvPT_S7_S7_PKS6_S9_S9_S9_S9_ffiiiiiiiiiiiii
	.p2align	8
	.type	_ZN5aiter35fused_qk_rmsnorm_group_quant_kernelIDF16_N4opus5fp4_tELi512ELi16ELi8ELb0ELb0ELb1ELb0ELb0ELb0EEEvPT0_PvPT_S7_S7_PKS6_S9_S9_S9_S9_ffiiiiiiiiiiiii,@function
_ZN5aiter35fused_qk_rmsnorm_group_quant_kernelIDF16_N4opus5fp4_tELi512ELi16ELi8ELb0ELb0ELb1ELb0ELb0ELb0EEEvPT0_PvPT_S7_S7_PKS6_S9_S9_S9_S9_ffiiiiiiiiiiiii: ; @_ZN5aiter35fused_qk_rmsnorm_group_quant_kernelIDF16_N4opus5fp4_tELi512ELi16ELi8ELb0ELb0ELb1ELb0ELb0ELb0EEEvPT0_PvPT_S7_S7_PKS6_S9_S9_S9_S9_ffiiiiiiiiiiiii
; %bb.0:
	s_load_dwordx4 s[16:19], s[4:5], 0x50
	s_waitcnt lgkmcnt(0)
	s_cmp_ge_i32 s6, s18
	s_cbranch_scc1 .LBB931_12
; %bb.1:
	s_load_dwordx2 s[12:13], s[4:5], 0x48
	s_load_dwordx2 s[30:31], s[4:5], 0x30
	s_load_dwordx4 s[20:23], s[4:5], 0x60
	s_cmp_lg_u32 s7, 0
	s_cselect_b64 s[14:15], -1, 0
	s_cmp_eq_u32 s7, 0
	s_cselect_b64 vcc, -1, 0
	s_and_b64 s[0:1], vcc, exec
	s_waitcnt lgkmcnt(0)
	s_cselect_b32 s7, s19, s20
	s_add_i32 s0, s7, 1
	s_lshr_b32 s1, s0, 31
	s_add_i32 s0, s0, s1
	s_lshl_b32 s0, s0, 1
	v_lshlrev_b32_e32 v1, 4, v0
	s_and_b32 s10, s0, -4
	v_cmp_gt_i32_e64 s[2:3], s7, v1
	v_mov_b32_e32 v18, 0
	v_mov_b32_e32 v6, 0
	;; [unrolled: 1-line block ×17, first 2 shown]
	s_and_saveexec_b64 s[0:1], s[2:3]
	s_cbranch_execz .LBB931_3
; %bb.2:
	s_load_dwordx2 s[8:9], s[4:5], 0x28
	s_load_dwordx2 s[26:27], s[4:5], 0x40
	s_and_b64 s[24:25], vcc, exec
	s_cselect_b32 s11, s21, s22
	v_lshlrev_b32_e32 v19, 5, v0
	s_waitcnt lgkmcnt(0)
	s_cselect_b32 s18, s9, s31
	s_cselect_b32 s21, s8, s30
	s_mul_hi_i32 s9, s11, s6
	s_mul_i32 s8, s11, s6
	s_lshl_b64 s[8:9], s[8:9], 1
	s_add_u32 s24, s21, s8
	s_addc_u32 s18, s18, s9
	s_and_b64 s[8:9], vcc, exec
	s_mov_b32 s11, 0x20000
	s_cselect_b32 s8, s26, s12
	s_cselect_b32 s9, s27, s13
	s_and_b32 s25, s18, 0xffff
	s_mov_b32 s26, s10
	s_mov_b32 s27, s11
	s_and_b32 s9, s9, 0xffff
	buffer_load_dwordx4 v[14:17], v19, s[24:27], 0 offen
	buffer_load_dwordx4 v[10:13], v19, s[24:27], 16 offen
	;; [unrolled: 1-line block ×4, first 2 shown]
.LBB931_3:
	s_or_b64 exec, exec, s[0:1]
	v_mov_b32_e32 v19, 0
	v_mov_b32_e32 v22, 0
	;; [unrolled: 1-line block ×15, first 2 shown]
	s_and_saveexec_b64 s[0:1], s[2:3]
	s_cbranch_execz .LBB931_5
; %bb.4:
	s_waitcnt vmcnt(3)
	v_cvt_f32_f16_sdwa v19, v14 dst_sel:DWORD dst_unused:UNUSED_PAD src0_sel:WORD_1
	v_cvt_f32_f16_e32 v18, v14
	v_cvt_f32_f16_sdwa v23, v15 dst_sel:DWORD dst_unused:UNUSED_PAD src0_sel:WORD_1
	v_cvt_f32_f16_e32 v22, v15
	;; [unrolled: 2-line block ×4, first 2 shown]
	s_waitcnt vmcnt(2)
	v_cvt_f32_f16_sdwa v27, v10 dst_sel:DWORD dst_unused:UNUSED_PAD src0_sel:WORD_1
	v_cvt_f32_f16_e32 v26, v10
	v_cvt_f32_f16_sdwa v33, v11 dst_sel:DWORD dst_unused:UNUSED_PAD src0_sel:WORD_1
	v_cvt_f32_f16_e32 v32, v11
	v_cvt_f32_f16_sdwa v31, v12 dst_sel:DWORD dst_unused:UNUSED_PAD src0_sel:WORD_1
	v_cvt_f32_f16_e32 v30, v12
	v_cvt_f32_f16_sdwa v25, v13 dst_sel:DWORD dst_unused:UNUSED_PAD src0_sel:WORD_1
	v_cvt_f32_f16_e32 v24, v13
.LBB931_5:
	s_or_b64 exec, exec, s[0:1]
	s_waitcnt vmcnt(2)
	v_mul_f32_e32 v10, v19, v19
	v_fmac_f32_e32 v10, v18, v18
	v_fmac_f32_e32 v10, v22, v22
	;; [unrolled: 1-line block ×15, first 2 shown]
	v_and_b32_e32 v12, 63, v0
	v_cmp_eq_u32_e64 s[0:1], 63, v12
	v_mov_b32_dpp v11, v10 quad_perm:[1,0,3,2] row_mask:0xf bank_mask:0xf
	v_add_f32_e32 v10, v10, v11
	s_nop 1
	v_mov_b32_dpp v11, v10 quad_perm:[2,3,0,1] row_mask:0xf bank_mask:0xf
	v_add_f32_e32 v10, v10, v11
	s_nop 1
	v_mov_b32_dpp v11, v10 row_half_mirror row_mask:0xf bank_mask:0xf
	v_add_f32_e32 v10, v10, v11
	s_nop 1
	v_mov_b32_dpp v11, v10 row_mirror row_mask:0xf bank_mask:0xf
	v_add_f32_e32 v10, v10, v11
	s_nop 1
	v_mov_b32_dpp v11, v10 row_bcast:15 row_mask:0xf bank_mask:0xf
	v_add_f32_e32 v10, v10, v11
	s_nop 1
	v_mov_b32_dpp v11, v10 row_bcast:31 row_mask:0xf bank_mask:0xf
	s_and_saveexec_b64 s[8:9], s[0:1]
	s_cbranch_execz .LBB931_7
; %bb.6:
	v_add_f32_e32 v10, v10, v11
	v_lshrrev_b32_e32 v11, 4, v0
	v_and_b32_e32 v11, 60, v11
	ds_write_b32 v11, v10 offset:32
.LBB931_7:
	s_or_b64 exec, exec, s[8:9]
	v_and_b32_e32 v10, 7, v0
	v_lshlrev_b32_e32 v34, 2, v10
	s_waitcnt lgkmcnt(0)
	s_barrier
	ds_read_b32 v11, v34 offset:32
	s_load_dwordx2 s[28:29], s[4:5], 0x18
	s_waitcnt lgkmcnt(0)
	v_mov_b32_dpp v12, v11 quad_perm:[1,0,3,2] row_mask:0xf bank_mask:0xf
	v_add_f32_e32 v11, v11, v12
	s_nop 1
	v_mov_b32_dpp v12, v11 quad_perm:[2,3,0,1] row_mask:0xf bank_mask:0xf
	v_add_f32_e32 v11, v11, v12
	s_nop 1
	v_mov_b32_dpp v12, v11 row_half_mirror row_mask:0xf bank_mask:0xf
	s_and_saveexec_b64 s[8:9], s[2:3]
	s_cbranch_execz .LBB931_9
; %bb.8:
	v_cvt_f32_u32_e32 v13, s7
	v_add_f32_e32 v11, v11, v12
	v_mov_b32_e32 v15, s17
	v_mov_b32_e32 v16, s16
	v_div_scale_f32 v12, s[24:25], v13, v13, v11
	v_rcp_f32_e32 v14, v12
	v_cndmask_b32_e32 v15, v15, v16, vcc
	s_mov_b32 s7, 0x800000
	v_fma_f32 v16, -v12, v14, 1.0
	v_fmac_f32_e32 v14, v16, v14
	v_div_scale_f32 v16, vcc, v11, v13, v11
	v_mul_f32_e32 v17, v16, v14
	v_fma_f32 v35, -v12, v17, v16
	v_fmac_f32_e32 v17, v35, v14
	v_fma_f32 v12, -v12, v17, v16
	v_div_fmas_f32 v12, v12, v14, v17
	v_div_fixup_f32 v11, v12, v13, v11
	v_add_f32_e32 v11, v15, v11
	v_mul_f32_e32 v12, 0x4b800000, v11
	v_cmp_gt_f32_e32 vcc, s7, v11
	v_cndmask_b32_e32 v11, v11, v12, vcc
	v_rsq_f32_e32 v11, v11
	v_mul_f32_e32 v12, 0x45800000, v11
	v_cndmask_b32_e32 v12, v11, v12, vcc
	v_mov_b32_e32 v13, v12
	;;#ASMSTART
	v_pk_mul_f32 v[14:15], v[18:19], v[12:13]
	;;#ASMEND
	s_waitcnt vmcnt(1)
	v_cvt_f32_f16_sdwa v19, v6 dst_sel:DWORD dst_unused:UNUSED_PAD src0_sel:WORD_1
	v_cvt_f32_f16_e32 v18, v6
	;;#ASMSTART
	v_pk_mul_f32 v[16:17], v[22:23], v[12:13]
	;;#ASMEND
	v_cvt_f32_f16_sdwa v23, v7 dst_sel:DWORD dst_unused:UNUSED_PAD src0_sel:WORD_1
	v_cvt_f32_f16_e32 v22, v7
	;;#ASMSTART
	v_pk_mul_f32 v[20:21], v[20:21], v[12:13]
	;;#ASMEND
	;;#ASMSTART
	v_pk_mul_f32 v[28:29], v[28:29], v[12:13]
	;;#ASMEND
	;; [unrolled: 3-line block ×6, first 2 shown]
	v_pk_add_f32 v[12:13], v[18:19], 1.0 op_sel_hi:[1,0]
	;;#ASMSTART
	v_pk_mul_f32 v[18:19], v[14:15], v[12:13]
	;;#ASMEND
	v_cvt_f32_f16_sdwa v15, v8 dst_sel:DWORD dst_unused:UNUSED_PAD src0_sel:WORD_1
	v_cvt_f32_f16_e32 v14, v8
	v_cvt_f32_f16_sdwa v25, v9 dst_sel:DWORD dst_unused:UNUSED_PAD src0_sel:WORD_1
	v_cvt_f32_f16_e32 v24, v9
	v_pk_add_f32 v[12:13], v[22:23], 1.0 op_sel_hi:[1,0]
	;;#ASMSTART
	v_pk_mul_f32 v[22:23], v[16:17], v[12:13]
	;;#ASMEND
	s_waitcnt vmcnt(0)
	v_cvt_f32_f16_sdwa v13, v2 dst_sel:DWORD dst_unused:UNUSED_PAD src0_sel:WORD_1
	v_cvt_f32_f16_e32 v12, v2
	v_pk_add_f32 v[8:9], v[14:15], 1.0 op_sel_hi:[1,0]
	;;#ASMSTART
	v_pk_mul_f32 v[20:21], v[20:21], v[8:9]
	;;#ASMEND
	v_pk_add_f32 v[8:9], v[24:25], 1.0 op_sel_hi:[1,0]
	v_cvt_f32_f16_sdwa v15, v3 dst_sel:DWORD dst_unused:UNUSED_PAD src0_sel:WORD_1
	v_cvt_f32_f16_e32 v14, v3
	;;#ASMSTART
	v_pk_mul_f32 v[28:29], v[28:29], v[8:9]
	;;#ASMEND
	v_cvt_f32_f16_sdwa v9, v4 dst_sel:DWORD dst_unused:UNUSED_PAD src0_sel:WORD_1
	v_cvt_f32_f16_e32 v8, v4
	v_pk_add_f32 v[2:3], v[12:13], 1.0 op_sel_hi:[1,0]
	v_cvt_f32_f16_sdwa v13, v5 dst_sel:DWORD dst_unused:UNUSED_PAD src0_sel:WORD_1
	v_cvt_f32_f16_e32 v12, v5
	;;#ASMSTART
	v_pk_mul_f32 v[26:27], v[26:27], v[2:3]
	;;#ASMEND
	v_pk_add_f32 v[2:3], v[14:15], 1.0 op_sel_hi:[1,0]
	;;#ASMSTART
	v_pk_mul_f32 v[32:33], v[32:33], v[2:3]
	;;#ASMEND
	v_pk_add_f32 v[2:3], v[8:9], 1.0 op_sel_hi:[1,0]
	;; [unrolled: 4-line block ×3, first 2 shown]
	;;#ASMSTART
	v_pk_mul_f32 v[24:25], v[6:7], v[2:3]
	;;#ASMEND
.LBB931_9:
	s_or_b64 exec, exec, s[8:9]
	s_load_dword s7, s[4:5], 0x80
	s_mov_b64 s[8:9], -1
	s_and_b64 vcc, exec, s[14:15]
	s_cbranch_vccnz .LBB931_13
; %bb.10:
	s_andn2_b64 vcc, exec, s[8:9]
	s_cbranch_vccz .LBB931_16
.LBB931_11:
	s_cmp_lt_i32 s20, 1
	s_cbranch_scc0 .LBB931_23
.LBB931_12:
	s_endpgm
.LBB931_13:
	s_and_saveexec_b64 s[14:15], s[2:3]
	s_cbranch_execz .LBB931_15
; %bb.14:
	s_waitcnt lgkmcnt(0)
	s_mul_hi_i32 s9, s7, s6
	s_mul_i32 s8, s7, s6
	s_waitcnt vmcnt(0)
	v_cvt_f16_f32_e32 v2, v18
	v_cvt_f16_f32_e32 v3, v22
	;; [unrolled: 1-line block ×8, first 2 shown]
	s_lshl_b64 s[8:9], s[8:9], 1
	s_add_u32 s8, s28, s8
	s_addc_u32 s9, s29, s9
	s_and_b32 s9, s9, 0xffff
	s_mov_b32 s11, 0x20000
	v_pack_b32_f16 v5, v5, v6
	v_pack_b32_f16 v4, v4, v7
	;; [unrolled: 1-line block ×4, first 2 shown]
	v_lshlrev_b32_e32 v6, 5, v0
	buffer_store_dwordx4 v[2:5], v6, s[8:11], 0 offen
	v_cvt_f16_f32_e32 v7, v25
	v_cvt_f16_f32_e32 v2, v26
	;; [unrolled: 1-line block ×8, first 2 shown]
	v_pack_b32_f16 v5, v5, v7
	v_pack_b32_f16 v4, v4, v8
	;; [unrolled: 1-line block ×4, first 2 shown]
	;;#ASMSTART
	s_nop 0
	;;#ASMEND
	buffer_store_dwordx4 v[2:5], v6, s[8:11], 16 offen
	;;#ASMSTART
	s_nop 0
	;;#ASMEND
.LBB931_15:
	s_or_b64 exec, exec, s[14:15]
	s_cbranch_execnz .LBB931_11
.LBB931_16:
	s_waitcnt vmcnt(0)
	v_mov_b32_e32 v2, 0
	s_and_saveexec_b64 s[8:9], s[2:3]
	s_cbranch_execz .LBB931_18
; %bb.17:
	v_and_b32_e32 v2, 0x7fffffff, v18
	v_and_b32_e32 v3, 0x7fffffff, v19
	v_mov_b32_e32 v4, 0x2edbe6ff
	;;#ASMSTART
	v_max3_f32 v2, v4, v2, v3

	;;#ASMEND
	v_and_b32_e32 v3, 0x7fffffff, v22
	v_and_b32_e32 v4, 0x7fffffff, v23
	;;#ASMSTART
	v_max3_f32 v2, v2, v3, v4

	;;#ASMEND
	v_and_b32_e32 v3, 0x7fffffff, v20
	v_and_b32_e32 v4, 0x7fffffff, v21
	;; [unrolled: 6-line block ×7, first 2 shown]
	;;#ASMSTART
	v_max3_f32 v2, v2, v3, v4

	;;#ASMEND
.LBB931_18:
	s_or_b64 exec, exec, s[8:9]
	s_load_dwordx4 s[24:27], s[4:5], 0x70
	v_cmp_eq_u32_e32 vcc, 0, v10
	v_cmp_gt_i32_e64 s[8:9], s19, v1
	s_and_b64 s[10:11], vcc, s[8:9]
	;;#ASMSTART
	v_max_f32 v3, v2, v2 quad_perm:[1,0,3,2] row_mask:0xf bank_mask:0xf bound_ctrl:1
	;;#ASMEND
	;;#ASMSTART
	v_max_f32 v4, v3, v3 quad_perm:[2,3,0,1] row_mask:0xf bank_mask:0xf bound_ctrl:1
	;;#ASMEND
	;;#ASMSTART
	v_max_f32 v2, v4, v4 row_half_mirror row_mask:0xf bank_mask:0xf bound_ctrl:1
	;;#ASMEND
	s_and_saveexec_b64 s[8:9], s[10:11]
	s_cbranch_execz .LBB931_20
; %bb.19:
	s_load_dwordx2 s[10:11], s[4:5], 0x8
	v_mul_f32_e32 v2, 0x3e2aaaab, v2
	v_lshrrev_b32_e32 v3, 23, v2
	v_and_b32_e32 v4, 0x7f800000, v2
	v_and_b32_e32 v2, 0x7fffff, v2
	v_cmp_ne_u32_e32 vcc, 0, v2
	s_waitcnt lgkmcnt(0)
	s_mul_i32 s16, s25, s6
	s_mov_b32 s14, 0x7f800000
	v_addc_co_u32_e32 v2, vcc, 0, v3, vcc
	s_mul_hi_i32 s15, s25, s6
	s_add_u32 s10, s10, s16
	v_cmp_ne_u32_e32 vcc, s14, v4
	s_addc_u32 s11, s11, s15
	v_lshrrev_b32_e32 v5, 3, v0
	v_cndmask_b32_e32 v4, -1, v2, vcc
	v_pk_mov_b32 v[2:3], s[10:11], s[10:11] op_sel:[0,1]
	v_mad_i64_i32 v[2:3], s[10:11], s26, v5, v[2:3]
	global_store_byte v[2:3], v4, off
.LBB931_20:
	s_or_b64 exec, exec, s[8:9]
	s_and_saveexec_b64 s[8:9], s[2:3]
	s_cbranch_execz .LBB931_22
; %bb.21:
	s_load_dwordx2 s[2:3], s[4:5], 0x0
	s_waitcnt lgkmcnt(0)
	s_mul_i32 s11, s24, s6
	s_mul_hi_i32 s10, s24, s6
	v_mov_b32_e32 v2, 0
	v_lshlrev_b32_e32 v4, 3, v0
	s_add_u32 s24, s2, s11
	s_addc_u32 s2, s3, s10
	s_lshr_b32 s3, s19, 31
	s_add_i32 s3, s19, s3
	s_ashr_i32 s3, s3, 1
	s_add_i32 s3, s3, 3
	s_ashr_i32 s10, s3, 31
	s_lshr_b32 s10, s10, 30
	s_add_i32 s3, s3, s10
	s_and_b32 s26, s3, -4
	s_and_b32 s25, s2, 0xffff
	s_mov_b32 s27, 0x20000
	v_mov_b32_e32 v3, v2
	buffer_store_dwordx2 v[2:3], v4, s[24:27], 0 offen
	;;#ASMSTART
	s_nop 0
	;;#ASMEND
.LBB931_22:
	s_or_b64 exec, exec, s[8:9]
	s_cmp_lt_i32 s20, 1
	s_cbranch_scc1 .LBB931_12
.LBB931_23:
	s_load_dword s2, s[4:5], 0x94
	s_waitcnt lgkmcnt(0)
	s_cmp_lg_u32 s2, 1
	s_cbranch_scc1 .LBB931_12
; %bb.24:
	s_lshl_b32 s2, s20, 1
	s_add_i32 s2, s2, 2
	v_cmp_gt_u32_e32 vcc, s20, v1
	s_and_b32 s14, s2, -4
	v_mov_b32_e32 v18, 0
	v_lshlrev_b32_e32 v1, 5, v0
	v_mov_b32_e32 v14, 0
	v_mov_b32_e32 v15, 0
	;; [unrolled: 1-line block ×8, first 2 shown]
	s_waitcnt vmcnt(1)
	v_mov_b32_e32 v6, 0
	v_mov_b32_e32 v7, 0
	v_mov_b32_e32 v8, 0
	v_mov_b32_e32 v9, 0
	s_waitcnt vmcnt(0)
	v_mov_b32_e32 v2, 0
	v_mov_b32_e32 v3, 0
	;; [unrolled: 1-line block ×4, first 2 shown]
	s_barrier
	s_and_saveexec_b64 s[2:3], vcc
	s_cbranch_execz .LBB931_26
; %bb.25:
	s_mul_hi_i32 s5, s22, s6
	s_mul_i32 s4, s22, s6
	s_and_b32 s13, s13, 0xffff
	s_lshl_b64 s[4:5], s[4:5], 1
	s_add_u32 s8, s30, s4
	s_mov_b32 s15, 0x20000
	s_addc_u32 s4, s31, s5
	s_and_b32 s9, s4, 0xffff
	s_mov_b32 s10, s14
	s_mov_b32 s11, s15
	buffer_load_dwordx4 v[14:17], v1, s[8:11], 0 offen
	buffer_load_dwordx4 v[10:13], v1, s[8:11], 16 offen
	;; [unrolled: 1-line block ×4, first 2 shown]
.LBB931_26:
	s_or_b64 exec, exec, s[2:3]
	v_mov_b32_e32 v19, 0
	v_mov_b32_e32 v32, 0
	;; [unrolled: 1-line block ×15, first 2 shown]
	s_and_saveexec_b64 s[2:3], vcc
	s_cbranch_execz .LBB931_28
; %bb.27:
	s_waitcnt vmcnt(3)
	v_cvt_f32_f16_sdwa v19, v14 dst_sel:DWORD dst_unused:UNUSED_PAD src0_sel:WORD_1
	v_cvt_f32_f16_e32 v18, v14
	v_cvt_f32_f16_sdwa v33, v15 dst_sel:DWORD dst_unused:UNUSED_PAD src0_sel:WORD_1
	v_cvt_f32_f16_e32 v32, v15
	;; [unrolled: 2-line block ×4, first 2 shown]
	s_waitcnt vmcnt(2)
	v_cvt_f32_f16_sdwa v27, v10 dst_sel:DWORD dst_unused:UNUSED_PAD src0_sel:WORD_1
	v_cvt_f32_f16_e32 v26, v10
	v_cvt_f32_f16_sdwa v25, v11 dst_sel:DWORD dst_unused:UNUSED_PAD src0_sel:WORD_1
	v_cvt_f32_f16_e32 v24, v11
	v_cvt_f32_f16_sdwa v23, v12 dst_sel:DWORD dst_unused:UNUSED_PAD src0_sel:WORD_1
	v_cvt_f32_f16_e32 v22, v12
	v_cvt_f32_f16_sdwa v21, v13 dst_sel:DWORD dst_unused:UNUSED_PAD src0_sel:WORD_1
	v_cvt_f32_f16_e32 v20, v13
.LBB931_28:
	s_or_b64 exec, exec, s[2:3]
	s_waitcnt vmcnt(2)
	v_mul_f32_e32 v10, v19, v19
	v_fmac_f32_e32 v10, v18, v18
	v_fmac_f32_e32 v10, v32, v32
	;; [unrolled: 1-line block ×15, first 2 shown]
	s_nop 1
	v_mov_b32_dpp v11, v10 quad_perm:[1,0,3,2] row_mask:0xf bank_mask:0xf
	v_add_f32_e32 v10, v10, v11
	s_nop 1
	v_mov_b32_dpp v11, v10 quad_perm:[2,3,0,1] row_mask:0xf bank_mask:0xf
	v_add_f32_e32 v10, v10, v11
	s_nop 1
	v_mov_b32_dpp v11, v10 row_half_mirror row_mask:0xf bank_mask:0xf
	v_add_f32_e32 v10, v10, v11
	s_nop 1
	v_mov_b32_dpp v11, v10 row_mirror row_mask:0xf bank_mask:0xf
	v_add_f32_e32 v10, v10, v11
	s_nop 1
	v_mov_b32_dpp v11, v10 row_bcast:15 row_mask:0xf bank_mask:0xf
	v_add_f32_e32 v10, v10, v11
	s_nop 1
	v_mov_b32_dpp v11, v10 row_bcast:31 row_mask:0xf bank_mask:0xf
	s_and_saveexec_b64 s[2:3], s[0:1]
	s_cbranch_execz .LBB931_30
; %bb.29:
	v_lshrrev_b32_e32 v0, 4, v0
	v_add_f32_e32 v10, v10, v11
	v_and_b32_e32 v0, 60, v0
	ds_write_b32 v0, v10
.LBB931_30:
	s_or_b64 exec, exec, s[2:3]
	s_waitcnt lgkmcnt(0)
	s_barrier
	ds_read_b32 v0, v34
	s_waitcnt lgkmcnt(0)
	s_nop 0
	v_mov_b32_dpp v10, v0 quad_perm:[1,0,3,2] row_mask:0xf bank_mask:0xf
	v_add_f32_e32 v0, v0, v10
	s_nop 1
	v_mov_b32_dpp v10, v0 quad_perm:[2,3,0,1] row_mask:0xf bank_mask:0xf
	v_add_f32_e32 v0, v0, v10
	s_nop 1
	v_mov_b32_dpp v10, v0 row_half_mirror row_mask:0xf bank_mask:0xf
	s_and_saveexec_b64 s[0:1], vcc
	s_cbranch_execz .LBB931_12
; %bb.31:
	v_cvt_f32_u32_e32 v11, s20
	v_add_f32_e32 v0, v0, v10
	s_mov_b32 s15, 0x20000
	v_div_scale_f32 v10, s[0:1], v11, v11, v0
	v_rcp_f32_e32 v12, v10
	v_div_scale_f32 v13, vcc, v0, v11, v0
	s_mov_b32 s0, 0x800000
	v_fma_f32 v14, -v10, v12, 1.0
	v_fmac_f32_e32 v12, v14, v12
	v_mul_f32_e32 v14, v13, v12
	v_fma_f32 v15, -v10, v14, v13
	v_fmac_f32_e32 v14, v15, v12
	v_fma_f32 v10, -v10, v14, v13
	v_div_fmas_f32 v10, v10, v12, v14
	v_div_fixup_f32 v0, v10, v11, v0
	v_add_f32_e32 v0, s17, v0
	v_mul_f32_e32 v10, 0x4b800000, v0
	v_cmp_gt_f32_e32 vcc, s0, v0
	v_cndmask_b32_e32 v0, v0, v10, vcc
	v_rsq_f32_e32 v0, v0
	s_mul_hi_i32 s1, s7, s6
	s_mul_i32 s0, s7, s6
	s_lshl_b64 s[0:1], s[0:1], 1
	v_mul_f32_e32 v10, 0x45800000, v0
	v_cndmask_b32_e32 v10, v0, v10, vcc
	v_mov_b32_e32 v11, v10
	;;#ASMSTART
	v_pk_mul_f32 v[12:13], v[18:19], v[10:11]
	;;#ASMEND
	;;#ASMSTART
	v_pk_mul_f32 v[14:15], v[32:33], v[10:11]
	;;#ASMEND
	;; [unrolled: 3-line block ×4, first 2 shown]
	s_waitcnt vmcnt(1)
	v_cvt_f32_f16_sdwa v29, v6 dst_sel:DWORD dst_unused:UNUSED_PAD src0_sel:WORD_1
	v_cvt_f32_f16_e32 v28, v6
	v_cvt_f32_f16_sdwa v31, v7 dst_sel:DWORD dst_unused:UNUSED_PAD src0_sel:WORD_1
	v_cvt_f32_f16_e32 v30, v7
	;;#ASMSTART
	v_pk_mul_f32 v[26:27], v[26:27], v[10:11]
	;;#ASMEND
	;;#ASMSTART
	v_pk_mul_f32 v[24:25], v[24:25], v[10:11]
	;;#ASMEND
	;; [unrolled: 3-line block ×4, first 2 shown]
	v_cvt_f32_f16_sdwa v21, v8 dst_sel:DWORD dst_unused:UNUSED_PAD src0_sel:WORD_1
	v_cvt_f32_f16_e32 v20, v8
	v_pk_add_f32 v[10:11], v[28:29], 1.0 op_sel_hi:[1,0]
	;;#ASMSTART
	v_pk_mul_f32 v[10:11], v[12:13], v[10:11]
	;;#ASMEND
	v_pk_add_f32 v[12:13], v[30:31], 1.0 op_sel_hi:[1,0]
	v_cvt_f32_f16_sdwa v29, v9 dst_sel:DWORD dst_unused:UNUSED_PAD src0_sel:WORD_1
	v_cvt_f32_f16_e32 v28, v9
	;;#ASMSTART
	v_pk_mul_f32 v[8:9], v[14:15], v[12:13]
	;;#ASMEND
	v_pk_add_f32 v[12:13], v[20:21], 1.0 op_sel_hi:[1,0]
	;;#ASMSTART
	v_pk_mul_f32 v[12:13], v[16:17], v[12:13]
	;;#ASMEND
	s_waitcnt vmcnt(0)
	v_cvt_f32_f16_sdwa v17, v2 dst_sel:DWORD dst_unused:UNUSED_PAD src0_sel:WORD_1
	v_cvt_f32_f16_e32 v16, v2
	v_cvt_f32_f16_sdwa v21, v3 dst_sel:DWORD dst_unused:UNUSED_PAD src0_sel:WORD_1
	v_cvt_f32_f16_e32 v20, v3
	v_pk_add_f32 v[14:15], v[28:29], 1.0 op_sel_hi:[1,0]
	;;#ASMSTART
	v_pk_mul_f32 v[2:3], v[18:19], v[14:15]
	;;#ASMEND
	v_cvt_f32_f16_sdwa v19, v4 dst_sel:DWORD dst_unused:UNUSED_PAD src0_sel:WORD_1
	v_cvt_f32_f16_e32 v18, v4
	v_pk_add_f32 v[14:15], v[16:17], 1.0 op_sel_hi:[1,0]
	v_pk_add_f32 v[16:17], v[20:21], 1.0 op_sel_hi:[1,0]
	v_cvt_f32_f16_sdwa v21, v5 dst_sel:DWORD dst_unused:UNUSED_PAD src0_sel:WORD_1
	v_cvt_f32_f16_e32 v20, v5
	v_pk_add_f32 v[4:5], v[18:19], 1.0 op_sel_hi:[1,0]
	;;#ASMSTART
	v_pk_mul_f32 v[14:15], v[26:27], v[14:15]
	;;#ASMEND
	;;#ASMSTART
	v_pk_mul_f32 v[16:17], v[24:25], v[16:17]
	;;#ASMEND
	;; [unrolled: 3-line block ×3, first 2 shown]
	v_pk_add_f32 v[4:5], v[20:21], 1.0 op_sel_hi:[1,0]
	;;#ASMSTART
	v_pk_mul_f32 v[6:7], v[6:7], v[4:5]
	;;#ASMEND
	v_cvt_f16_f32_e32 v0, v10
	v_cvt_f16_f32_e32 v4, v11
	;; [unrolled: 1-line block ×8, first 2 shown]
	s_add_u32 s12, s28, s0
	s_addc_u32 s0, s29, s1
	s_and_b32 s13, s0, 0xffff
	v_pack_b32_f16 v2, v0, v4
	v_pack_b32_f16 v3, v5, v8
	;; [unrolled: 1-line block ×4, first 2 shown]
	buffer_store_dwordx4 v[2:5], v1, s[12:15], 0 offen
	v_cvt_f16_f32_e32 v0, v14
	v_cvt_f16_f32_e32 v2, v15
	;; [unrolled: 1-line block ×8, first 2 shown]
	v_pack_b32_f16 v2, v0, v2
	v_pack_b32_f16 v3, v3, v4
	;; [unrolled: 1-line block ×4, first 2 shown]
	;;#ASMSTART
	s_nop 0
	;;#ASMEND
	buffer_store_dwordx4 v[2:5], v1, s[12:15], 16 offen
	;;#ASMSTART
	s_nop 0
	;;#ASMEND
	s_endpgm
	.section	.rodata,"a",@progbits
	.p2align	6, 0x0
	.amdhsa_kernel _ZN5aiter35fused_qk_rmsnorm_group_quant_kernelIDF16_N4opus5fp4_tELi512ELi16ELi8ELb0ELb0ELb1ELb0ELb0ELb0EEEvPT0_PvPT_S7_S7_PKS6_S9_S9_S9_S9_ffiiiiiiiiiiiii
		.amdhsa_group_segment_fixed_size 64
		.amdhsa_private_segment_fixed_size 0
		.amdhsa_kernarg_size 400
		.amdhsa_user_sgpr_count 6
		.amdhsa_user_sgpr_private_segment_buffer 1
		.amdhsa_user_sgpr_dispatch_ptr 0
		.amdhsa_user_sgpr_queue_ptr 0
		.amdhsa_user_sgpr_kernarg_segment_ptr 1
		.amdhsa_user_sgpr_dispatch_id 0
		.amdhsa_user_sgpr_flat_scratch_init 0
		.amdhsa_user_sgpr_kernarg_preload_length 0
		.amdhsa_user_sgpr_kernarg_preload_offset 0
		.amdhsa_user_sgpr_private_segment_size 0
		.amdhsa_uses_dynamic_stack 0
		.amdhsa_system_sgpr_private_segment_wavefront_offset 0
		.amdhsa_system_sgpr_workgroup_id_x 1
		.amdhsa_system_sgpr_workgroup_id_y 1
		.amdhsa_system_sgpr_workgroup_id_z 0
		.amdhsa_system_sgpr_workgroup_info 0
		.amdhsa_system_vgpr_workitem_id 0
		.amdhsa_next_free_vgpr 36
		.amdhsa_next_free_sgpr 32
		.amdhsa_accum_offset 36
		.amdhsa_reserve_vcc 1
		.amdhsa_reserve_flat_scratch 0
		.amdhsa_float_round_mode_32 0
		.amdhsa_float_round_mode_16_64 0
		.amdhsa_float_denorm_mode_32 3
		.amdhsa_float_denorm_mode_16_64 3
		.amdhsa_dx10_clamp 1
		.amdhsa_ieee_mode 1
		.amdhsa_fp16_overflow 0
		.amdhsa_tg_split 0
		.amdhsa_exception_fp_ieee_invalid_op 0
		.amdhsa_exception_fp_denorm_src 0
		.amdhsa_exception_fp_ieee_div_zero 0
		.amdhsa_exception_fp_ieee_overflow 0
		.amdhsa_exception_fp_ieee_underflow 0
		.amdhsa_exception_fp_ieee_inexact 0
		.amdhsa_exception_int_div_zero 0
	.end_amdhsa_kernel
	.section	.text._ZN5aiter35fused_qk_rmsnorm_group_quant_kernelIDF16_N4opus5fp4_tELi512ELi16ELi8ELb0ELb0ELb1ELb0ELb0ELb0EEEvPT0_PvPT_S7_S7_PKS6_S9_S9_S9_S9_ffiiiiiiiiiiiii,"axG",@progbits,_ZN5aiter35fused_qk_rmsnorm_group_quant_kernelIDF16_N4opus5fp4_tELi512ELi16ELi8ELb0ELb0ELb1ELb0ELb0ELb0EEEvPT0_PvPT_S7_S7_PKS6_S9_S9_S9_S9_ffiiiiiiiiiiiii,comdat
.Lfunc_end931:
	.size	_ZN5aiter35fused_qk_rmsnorm_group_quant_kernelIDF16_N4opus5fp4_tELi512ELi16ELi8ELb0ELb0ELb1ELb0ELb0ELb0EEEvPT0_PvPT_S7_S7_PKS6_S9_S9_S9_S9_ffiiiiiiiiiiiii, .Lfunc_end931-_ZN5aiter35fused_qk_rmsnorm_group_quant_kernelIDF16_N4opus5fp4_tELi512ELi16ELi8ELb0ELb0ELb1ELb0ELb0ELb0EEEvPT0_PvPT_S7_S7_PKS6_S9_S9_S9_S9_ffiiiiiiiiiiiii
                                        ; -- End function
	.section	.AMDGPU.csdata,"",@progbits
; Kernel info:
; codeLenInByte = 3276
; NumSgprs: 36
; NumVgprs: 36
; NumAgprs: 0
; TotalNumVgprs: 36
; ScratchSize: 0
; MemoryBound: 0
; FloatMode: 240
; IeeeMode: 1
; LDSByteSize: 64 bytes/workgroup (compile time only)
; SGPRBlocks: 4
; VGPRBlocks: 4
; NumSGPRsForWavesPerEU: 36
; NumVGPRsForWavesPerEU: 36
; AccumOffset: 36
; Occupancy: 8
; WaveLimiterHint : 0
; COMPUTE_PGM_RSRC2:SCRATCH_EN: 0
; COMPUTE_PGM_RSRC2:USER_SGPR: 6
; COMPUTE_PGM_RSRC2:TRAP_HANDLER: 0
; COMPUTE_PGM_RSRC2:TGID_X_EN: 1
; COMPUTE_PGM_RSRC2:TGID_Y_EN: 1
; COMPUTE_PGM_RSRC2:TGID_Z_EN: 0
; COMPUTE_PGM_RSRC2:TIDIG_COMP_CNT: 0
; COMPUTE_PGM_RSRC3_GFX90A:ACCUM_OFFSET: 8
; COMPUTE_PGM_RSRC3_GFX90A:TG_SPLIT: 0
	.section	.text._ZN5aiter35fused_qk_rmsnorm_group_quant_kernelItN4opus5fp4_tELi512ELi16ELi8ELb0ELb0ELb1ELb0ELb0ELb0EEEvPT0_PvPT_S7_S7_PKS6_S9_S9_S9_S9_ffiiiiiiiiiiiii,"axG",@progbits,_ZN5aiter35fused_qk_rmsnorm_group_quant_kernelItN4opus5fp4_tELi512ELi16ELi8ELb0ELb0ELb1ELb0ELb0ELb0EEEvPT0_PvPT_S7_S7_PKS6_S9_S9_S9_S9_ffiiiiiiiiiiiii,comdat
	.protected	_ZN5aiter35fused_qk_rmsnorm_group_quant_kernelItN4opus5fp4_tELi512ELi16ELi8ELb0ELb0ELb1ELb0ELb0ELb0EEEvPT0_PvPT_S7_S7_PKS6_S9_S9_S9_S9_ffiiiiiiiiiiiii ; -- Begin function _ZN5aiter35fused_qk_rmsnorm_group_quant_kernelItN4opus5fp4_tELi512ELi16ELi8ELb0ELb0ELb1ELb0ELb0ELb0EEEvPT0_PvPT_S7_S7_PKS6_S9_S9_S9_S9_ffiiiiiiiiiiiii
	.globl	_ZN5aiter35fused_qk_rmsnorm_group_quant_kernelItN4opus5fp4_tELi512ELi16ELi8ELb0ELb0ELb1ELb0ELb0ELb0EEEvPT0_PvPT_S7_S7_PKS6_S9_S9_S9_S9_ffiiiiiiiiiiiii
	.p2align	8
	.type	_ZN5aiter35fused_qk_rmsnorm_group_quant_kernelItN4opus5fp4_tELi512ELi16ELi8ELb0ELb0ELb1ELb0ELb0ELb0EEEvPT0_PvPT_S7_S7_PKS6_S9_S9_S9_S9_ffiiiiiiiiiiiii,@function
_ZN5aiter35fused_qk_rmsnorm_group_quant_kernelItN4opus5fp4_tELi512ELi16ELi8ELb0ELb0ELb1ELb0ELb0ELb0EEEvPT0_PvPT_S7_S7_PKS6_S9_S9_S9_S9_ffiiiiiiiiiiiii: ; @_ZN5aiter35fused_qk_rmsnorm_group_quant_kernelItN4opus5fp4_tELi512ELi16ELi8ELb0ELb0ELb1ELb0ELb0ELb0EEEvPT0_PvPT_S7_S7_PKS6_S9_S9_S9_S9_ffiiiiiiiiiiiii
; %bb.0:
	s_load_dwordx4 s[16:19], s[4:5], 0x50
	s_waitcnt lgkmcnt(0)
	s_cmp_ge_i32 s6, s18
	s_cbranch_scc1 .LBB932_12
; %bb.1:
	s_load_dwordx2 s[12:13], s[4:5], 0x48
	s_load_dwordx2 s[30:31], s[4:5], 0x30
	s_load_dwordx4 s[20:23], s[4:5], 0x60
	s_cmp_lg_u32 s7, 0
	s_cselect_b64 s[14:15], -1, 0
	s_cmp_eq_u32 s7, 0
	s_cselect_b64 vcc, -1, 0
	s_and_b64 s[0:1], vcc, exec
	s_waitcnt lgkmcnt(0)
	s_cselect_b32 s7, s19, s20
	s_add_i32 s0, s7, 1
	s_lshr_b32 s1, s0, 31
	s_add_i32 s0, s0, s1
	s_lshl_b32 s0, s0, 1
	v_lshlrev_b32_e32 v1, 4, v0
	s_and_b32 s10, s0, -4
	v_cmp_gt_i32_e64 s[2:3], s7, v1
	v_mov_b32_e32 v18, 0
	v_mov_b32_e32 v6, 0
	;; [unrolled: 1-line block ×17, first 2 shown]
	s_and_saveexec_b64 s[0:1], s[2:3]
	s_cbranch_execz .LBB932_3
; %bb.2:
	s_load_dwordx2 s[8:9], s[4:5], 0x28
	s_load_dwordx2 s[26:27], s[4:5], 0x40
	s_and_b64 s[24:25], vcc, exec
	s_cselect_b32 s11, s21, s22
	v_lshlrev_b32_e32 v19, 5, v0
	s_waitcnt lgkmcnt(0)
	s_cselect_b32 s18, s9, s31
	s_cselect_b32 s21, s8, s30
	s_mul_hi_i32 s9, s11, s6
	s_mul_i32 s8, s11, s6
	s_lshl_b64 s[8:9], s[8:9], 1
	s_add_u32 s24, s21, s8
	s_addc_u32 s18, s18, s9
	s_and_b64 s[8:9], vcc, exec
	s_mov_b32 s11, 0x20000
	s_cselect_b32 s8, s26, s12
	s_cselect_b32 s9, s27, s13
	s_and_b32 s25, s18, 0xffff
	s_mov_b32 s26, s10
	s_mov_b32 s27, s11
	s_and_b32 s9, s9, 0xffff
	buffer_load_dwordx4 v[14:17], v19, s[24:27], 0 offen
	buffer_load_dwordx4 v[10:13], v19, s[24:27], 16 offen
	;; [unrolled: 1-line block ×4, first 2 shown]
.LBB932_3:
	s_or_b64 exec, exec, s[0:1]
	v_mov_b32_e32 v19, 0
	v_mov_b32_e32 v22, 0
	;; [unrolled: 1-line block ×15, first 2 shown]
	s_and_saveexec_b64 s[0:1], s[2:3]
	s_cbranch_execz .LBB932_5
; %bb.4:
	s_waitcnt vmcnt(3)
	v_cvt_f32_u32_sdwa v18, v14 dst_sel:DWORD dst_unused:UNUSED_PAD src0_sel:WORD_0
	v_cvt_f32_u32_sdwa v19, v14 dst_sel:DWORD dst_unused:UNUSED_PAD src0_sel:WORD_1
	v_cvt_f32_u32_sdwa v22, v15 dst_sel:DWORD dst_unused:UNUSED_PAD src0_sel:WORD_0
	v_cvt_f32_u32_sdwa v23, v15 dst_sel:DWORD dst_unused:UNUSED_PAD src0_sel:WORD_1
	;; [unrolled: 2-line block ×4, first 2 shown]
	s_waitcnt vmcnt(2)
	v_cvt_f32_u32_sdwa v24, v10 dst_sel:DWORD dst_unused:UNUSED_PAD src0_sel:WORD_0
	v_cvt_f32_u32_sdwa v25, v10 dst_sel:DWORD dst_unused:UNUSED_PAD src0_sel:WORD_1
	v_cvt_f32_u32_sdwa v32, v11 dst_sel:DWORD dst_unused:UNUSED_PAD src0_sel:WORD_0
	v_cvt_f32_u32_sdwa v33, v11 dst_sel:DWORD dst_unused:UNUSED_PAD src0_sel:WORD_1
	;; [unrolled: 2-line block ×4, first 2 shown]
.LBB932_5:
	s_or_b64 exec, exec, s[0:1]
	s_waitcnt vmcnt(2)
	v_mul_f32_e32 v10, v19, v19
	v_fmac_f32_e32 v10, v18, v18
	v_fmac_f32_e32 v10, v22, v22
	;; [unrolled: 1-line block ×15, first 2 shown]
	v_and_b32_e32 v12, 63, v0
	v_cmp_eq_u32_e64 s[0:1], 63, v12
	v_mov_b32_dpp v11, v10 quad_perm:[1,0,3,2] row_mask:0xf bank_mask:0xf
	v_add_f32_e32 v10, v10, v11
	s_nop 1
	v_mov_b32_dpp v11, v10 quad_perm:[2,3,0,1] row_mask:0xf bank_mask:0xf
	v_add_f32_e32 v10, v10, v11
	s_nop 1
	v_mov_b32_dpp v11, v10 row_half_mirror row_mask:0xf bank_mask:0xf
	v_add_f32_e32 v10, v10, v11
	s_nop 1
	v_mov_b32_dpp v11, v10 row_mirror row_mask:0xf bank_mask:0xf
	v_add_f32_e32 v10, v10, v11
	s_nop 1
	v_mov_b32_dpp v11, v10 row_bcast:15 row_mask:0xf bank_mask:0xf
	v_add_f32_e32 v10, v10, v11
	s_nop 1
	v_mov_b32_dpp v11, v10 row_bcast:31 row_mask:0xf bank_mask:0xf
	s_and_saveexec_b64 s[8:9], s[0:1]
	s_cbranch_execz .LBB932_7
; %bb.6:
	v_add_f32_e32 v10, v10, v11
	v_lshrrev_b32_e32 v11, 4, v0
	v_and_b32_e32 v11, 60, v11
	ds_write_b32 v11, v10 offset:32
.LBB932_7:
	s_or_b64 exec, exec, s[8:9]
	v_and_b32_e32 v10, 7, v0
	v_lshlrev_b32_e32 v34, 2, v10
	s_waitcnt lgkmcnt(0)
	s_barrier
	ds_read_b32 v11, v34 offset:32
	s_load_dwordx2 s[28:29], s[4:5], 0x18
	s_waitcnt lgkmcnt(0)
	v_mov_b32_dpp v12, v11 quad_perm:[1,0,3,2] row_mask:0xf bank_mask:0xf
	v_add_f32_e32 v11, v11, v12
	s_nop 1
	v_mov_b32_dpp v12, v11 quad_perm:[2,3,0,1] row_mask:0xf bank_mask:0xf
	v_add_f32_e32 v11, v11, v12
	s_nop 1
	v_mov_b32_dpp v12, v11 row_half_mirror row_mask:0xf bank_mask:0xf
	s_and_saveexec_b64 s[8:9], s[2:3]
	s_cbranch_execz .LBB932_9
; %bb.8:
	v_cvt_f32_u32_e32 v13, s7
	v_add_f32_e32 v11, v11, v12
	v_mov_b32_e32 v15, s17
	v_mov_b32_e32 v16, s16
	v_div_scale_f32 v12, s[24:25], v13, v13, v11
	v_rcp_f32_e32 v14, v12
	v_cndmask_b32_e32 v15, v15, v16, vcc
	s_mov_b32 s7, 0x800000
	v_fma_f32 v16, -v12, v14, 1.0
	v_fmac_f32_e32 v14, v16, v14
	v_div_scale_f32 v16, vcc, v11, v13, v11
	v_mul_f32_e32 v17, v16, v14
	v_fma_f32 v35, -v12, v17, v16
	v_fmac_f32_e32 v17, v35, v14
	v_fma_f32 v12, -v12, v17, v16
	v_div_fmas_f32 v12, v12, v14, v17
	v_div_fixup_f32 v11, v12, v13, v11
	v_add_f32_e32 v11, v15, v11
	v_mul_f32_e32 v12, 0x4b800000, v11
	v_cmp_gt_f32_e32 vcc, s7, v11
	v_cndmask_b32_e32 v11, v11, v12, vcc
	v_rsq_f32_e32 v11, v11
	v_mul_f32_e32 v12, 0x45800000, v11
	v_cndmask_b32_e32 v12, v11, v12, vcc
	v_mov_b32_e32 v13, v12
	;;#ASMSTART
	v_pk_mul_f32 v[14:15], v[18:19], v[12:13]
	;;#ASMEND
	s_waitcnt vmcnt(1)
	v_cvt_f32_u32_sdwa v19, v6 dst_sel:DWORD dst_unused:UNUSED_PAD src0_sel:WORD_1
	v_cvt_f32_u32_sdwa v18, v6 dst_sel:DWORD dst_unused:UNUSED_PAD src0_sel:WORD_0
	;;#ASMSTART
	v_pk_mul_f32 v[16:17], v[22:23], v[12:13]
	;;#ASMEND
	v_cvt_f32_u32_sdwa v23, v7 dst_sel:DWORD dst_unused:UNUSED_PAD src0_sel:WORD_1
	v_cvt_f32_u32_sdwa v22, v7 dst_sel:DWORD dst_unused:UNUSED_PAD src0_sel:WORD_0
	;;#ASMSTART
	v_pk_mul_f32 v[20:21], v[20:21], v[12:13]
	;;#ASMEND
	;;#ASMSTART
	v_pk_mul_f32 v[28:29], v[28:29], v[12:13]
	;;#ASMEND
	;; [unrolled: 3-line block ×6, first 2 shown]
	v_pk_add_f32 v[12:13], v[18:19], 1.0 op_sel_hi:[1,0]
	;;#ASMSTART
	v_pk_mul_f32 v[18:19], v[14:15], v[12:13]
	;;#ASMEND
	v_cvt_f32_u32_sdwa v15, v8 dst_sel:DWORD dst_unused:UNUSED_PAD src0_sel:WORD_1
	v_cvt_f32_u32_sdwa v14, v8 dst_sel:DWORD dst_unused:UNUSED_PAD src0_sel:WORD_0
	v_cvt_f32_u32_sdwa v27, v9 dst_sel:DWORD dst_unused:UNUSED_PAD src0_sel:WORD_1
	v_cvt_f32_u32_sdwa v26, v9 dst_sel:DWORD dst_unused:UNUSED_PAD src0_sel:WORD_0
	v_pk_add_f32 v[12:13], v[22:23], 1.0 op_sel_hi:[1,0]
	;;#ASMSTART
	v_pk_mul_f32 v[22:23], v[16:17], v[12:13]
	;;#ASMEND
	s_waitcnt vmcnt(0)
	v_cvt_f32_u32_sdwa v13, v2 dst_sel:DWORD dst_unused:UNUSED_PAD src0_sel:WORD_1
	v_cvt_f32_u32_sdwa v12, v2 dst_sel:DWORD dst_unused:UNUSED_PAD src0_sel:WORD_0
	v_pk_add_f32 v[8:9], v[14:15], 1.0 op_sel_hi:[1,0]
	;;#ASMSTART
	v_pk_mul_f32 v[20:21], v[20:21], v[8:9]
	;;#ASMEND
	v_pk_add_f32 v[8:9], v[26:27], 1.0 op_sel_hi:[1,0]
	v_cvt_f32_u32_sdwa v15, v3 dst_sel:DWORD dst_unused:UNUSED_PAD src0_sel:WORD_1
	v_cvt_f32_u32_sdwa v14, v3 dst_sel:DWORD dst_unused:UNUSED_PAD src0_sel:WORD_0
	;;#ASMSTART
	v_pk_mul_f32 v[28:29], v[28:29], v[8:9]
	;;#ASMEND
	v_cvt_f32_u32_sdwa v9, v4 dst_sel:DWORD dst_unused:UNUSED_PAD src0_sel:WORD_1
	v_cvt_f32_u32_sdwa v8, v4 dst_sel:DWORD dst_unused:UNUSED_PAD src0_sel:WORD_0
	v_pk_add_f32 v[2:3], v[12:13], 1.0 op_sel_hi:[1,0]
	v_cvt_f32_u32_sdwa v13, v5 dst_sel:DWORD dst_unused:UNUSED_PAD src0_sel:WORD_1
	v_cvt_f32_u32_sdwa v12, v5 dst_sel:DWORD dst_unused:UNUSED_PAD src0_sel:WORD_0
	;;#ASMSTART
	v_pk_mul_f32 v[24:25], v[24:25], v[2:3]
	;;#ASMEND
	v_pk_add_f32 v[2:3], v[14:15], 1.0 op_sel_hi:[1,0]
	;;#ASMSTART
	v_pk_mul_f32 v[32:33], v[32:33], v[2:3]
	;;#ASMEND
	v_pk_add_f32 v[2:3], v[8:9], 1.0 op_sel_hi:[1,0]
	;; [unrolled: 4-line block ×3, first 2 shown]
	;;#ASMSTART
	v_pk_mul_f32 v[26:27], v[6:7], v[2:3]
	;;#ASMEND
.LBB932_9:
	s_or_b64 exec, exec, s[8:9]
	s_load_dword s7, s[4:5], 0x80
	s_mov_b64 s[8:9], -1
	s_and_b64 vcc, exec, s[14:15]
	s_cbranch_vccnz .LBB932_13
; %bb.10:
	s_andn2_b64 vcc, exec, s[8:9]
	s_cbranch_vccz .LBB932_16
.LBB932_11:
	s_cmp_lt_i32 s20, 1
	s_cbranch_scc0 .LBB932_23
.LBB932_12:
	s_endpgm
.LBB932_13:
	s_and_saveexec_b64 s[14:15], s[2:3]
	s_cbranch_execz .LBB932_15
; %bb.14:
	s_waitcnt lgkmcnt(0)
	s_mul_hi_i32 s9, s7, s6
	s_mul_i32 s8, s7, s6
	s_lshl_b64 s[8:9], s[8:9], 1
	s_add_u32 s8, s28, s8
	s_addc_u32 s9, s29, s9
	s_mov_b32 s16, 0x7060302
	s_and_b32 s9, s9, 0xffff
	s_mov_b32 s11, 0x20000
	s_waitcnt vmcnt(0)
	v_perm_b32 v5, v29, v28, s16
	v_perm_b32 v4, v21, v20, s16
	;; [unrolled: 1-line block ×4, first 2 shown]
	v_lshlrev_b32_e32 v6, 5, v0
	buffer_store_dwordx4 v[2:5], v6, s[8:11], 0 offen
	;;#ASMSTART
	s_nop 0
	;;#ASMEND
	s_nop 0
	v_perm_b32 v5, v27, v26, s16
	v_perm_b32 v4, v31, v30, s16
	;; [unrolled: 1-line block ×4, first 2 shown]
	buffer_store_dwordx4 v[2:5], v6, s[8:11], 16 offen
	;;#ASMSTART
	s_nop 0
	;;#ASMEND
.LBB932_15:
	s_or_b64 exec, exec, s[14:15]
	s_cbranch_execnz .LBB932_11
.LBB932_16:
	s_waitcnt vmcnt(0)
	v_mov_b32_e32 v2, 0
	s_and_saveexec_b64 s[8:9], s[2:3]
	s_cbranch_execz .LBB932_18
; %bb.17:
	v_and_b32_e32 v2, 0x7fffffff, v18
	v_and_b32_e32 v3, 0x7fffffff, v19
	v_mov_b32_e32 v4, 0x2edbe6ff
	;;#ASMSTART
	v_max3_f32 v2, v4, v2, v3

	;;#ASMEND
	v_and_b32_e32 v3, 0x7fffffff, v22
	v_and_b32_e32 v4, 0x7fffffff, v23
	;;#ASMSTART
	v_max3_f32 v2, v2, v3, v4

	;;#ASMEND
	v_and_b32_e32 v3, 0x7fffffff, v20
	v_and_b32_e32 v4, 0x7fffffff, v21
	;; [unrolled: 6-line block ×7, first 2 shown]
	;;#ASMSTART
	v_max3_f32 v2, v2, v3, v4

	;;#ASMEND
.LBB932_18:
	s_or_b64 exec, exec, s[8:9]
	s_load_dwordx4 s[24:27], s[4:5], 0x70
	v_cmp_eq_u32_e32 vcc, 0, v10
	v_cmp_gt_i32_e64 s[8:9], s19, v1
	s_and_b64 s[10:11], vcc, s[8:9]
	;;#ASMSTART
	v_max_f32 v3, v2, v2 quad_perm:[1,0,3,2] row_mask:0xf bank_mask:0xf bound_ctrl:1
	;;#ASMEND
	;;#ASMSTART
	v_max_f32 v4, v3, v3 quad_perm:[2,3,0,1] row_mask:0xf bank_mask:0xf bound_ctrl:1
	;;#ASMEND
	;;#ASMSTART
	v_max_f32 v2, v4, v4 row_half_mirror row_mask:0xf bank_mask:0xf bound_ctrl:1
	;;#ASMEND
	s_and_saveexec_b64 s[8:9], s[10:11]
	s_cbranch_execz .LBB932_20
; %bb.19:
	s_load_dwordx2 s[10:11], s[4:5], 0x8
	v_mul_f32_e32 v2, 0x3e2aaaab, v2
	v_lshrrev_b32_e32 v3, 23, v2
	v_and_b32_e32 v4, 0x7f800000, v2
	v_and_b32_e32 v2, 0x7fffff, v2
	v_cmp_ne_u32_e32 vcc, 0, v2
	s_waitcnt lgkmcnt(0)
	s_mul_i32 s16, s25, s6
	s_mov_b32 s14, 0x7f800000
	v_addc_co_u32_e32 v2, vcc, 0, v3, vcc
	s_mul_hi_i32 s15, s25, s6
	s_add_u32 s10, s10, s16
	v_cmp_ne_u32_e32 vcc, s14, v4
	s_addc_u32 s11, s11, s15
	v_lshrrev_b32_e32 v5, 3, v0
	v_cndmask_b32_e32 v4, -1, v2, vcc
	v_pk_mov_b32 v[2:3], s[10:11], s[10:11] op_sel:[0,1]
	v_mad_i64_i32 v[2:3], s[10:11], s26, v5, v[2:3]
	global_store_byte v[2:3], v4, off
.LBB932_20:
	s_or_b64 exec, exec, s[8:9]
	s_and_saveexec_b64 s[8:9], s[2:3]
	s_cbranch_execz .LBB932_22
; %bb.21:
	s_load_dwordx2 s[2:3], s[4:5], 0x0
	s_waitcnt lgkmcnt(0)
	s_mul_i32 s11, s24, s6
	s_mul_hi_i32 s10, s24, s6
	v_mov_b32_e32 v2, 0
	v_lshlrev_b32_e32 v4, 3, v0
	s_add_u32 s24, s2, s11
	s_addc_u32 s2, s3, s10
	s_lshr_b32 s3, s19, 31
	s_add_i32 s3, s19, s3
	s_ashr_i32 s3, s3, 1
	s_add_i32 s3, s3, 3
	s_ashr_i32 s10, s3, 31
	s_lshr_b32 s10, s10, 30
	s_add_i32 s3, s3, s10
	s_and_b32 s26, s3, -4
	s_and_b32 s25, s2, 0xffff
	s_mov_b32 s27, 0x20000
	v_mov_b32_e32 v3, v2
	buffer_store_dwordx2 v[2:3], v4, s[24:27], 0 offen
	;;#ASMSTART
	s_nop 0
	;;#ASMEND
.LBB932_22:
	s_or_b64 exec, exec, s[8:9]
	s_cmp_lt_i32 s20, 1
	s_cbranch_scc1 .LBB932_12
.LBB932_23:
	s_load_dword s2, s[4:5], 0x94
	s_waitcnt lgkmcnt(0)
	s_cmp_lg_u32 s2, 1
	s_cbranch_scc1 .LBB932_12
; %bb.24:
	s_lshl_b32 s2, s20, 1
	s_add_i32 s2, s2, 2
	v_cmp_gt_u32_e32 vcc, s20, v1
	s_and_b32 s14, s2, -4
	v_mov_b32_e32 v18, 0
	v_lshlrev_b32_e32 v1, 5, v0
	v_mov_b32_e32 v14, 0
	v_mov_b32_e32 v15, 0
	;; [unrolled: 1-line block ×8, first 2 shown]
	s_waitcnt vmcnt(1)
	v_mov_b32_e32 v6, 0
	v_mov_b32_e32 v7, 0
	;; [unrolled: 1-line block ×4, first 2 shown]
	s_waitcnt vmcnt(0)
	v_mov_b32_e32 v2, 0
	v_mov_b32_e32 v3, 0
	;; [unrolled: 1-line block ×4, first 2 shown]
	s_barrier
	s_and_saveexec_b64 s[2:3], vcc
	s_cbranch_execz .LBB932_26
; %bb.25:
	s_mul_hi_i32 s5, s22, s6
	s_mul_i32 s4, s22, s6
	s_and_b32 s13, s13, 0xffff
	s_lshl_b64 s[4:5], s[4:5], 1
	s_add_u32 s8, s30, s4
	s_mov_b32 s15, 0x20000
	s_addc_u32 s4, s31, s5
	s_and_b32 s9, s4, 0xffff
	s_mov_b32 s10, s14
	s_mov_b32 s11, s15
	buffer_load_dwordx4 v[14:17], v1, s[8:11], 0 offen
	buffer_load_dwordx4 v[10:13], v1, s[8:11], 16 offen
	;; [unrolled: 1-line block ×4, first 2 shown]
.LBB932_26:
	s_or_b64 exec, exec, s[2:3]
	v_mov_b32_e32 v19, 0
	v_mov_b32_e32 v32, 0
	;; [unrolled: 1-line block ×15, first 2 shown]
	s_and_saveexec_b64 s[2:3], vcc
	s_cbranch_execz .LBB932_28
; %bb.27:
	s_waitcnt vmcnt(3)
	v_cvt_f32_u32_sdwa v18, v14 dst_sel:DWORD dst_unused:UNUSED_PAD src0_sel:WORD_0
	v_cvt_f32_u32_sdwa v19, v14 dst_sel:DWORD dst_unused:UNUSED_PAD src0_sel:WORD_1
	v_cvt_f32_u32_sdwa v32, v15 dst_sel:DWORD dst_unused:UNUSED_PAD src0_sel:WORD_0
	v_cvt_f32_u32_sdwa v33, v15 dst_sel:DWORD dst_unused:UNUSED_PAD src0_sel:WORD_1
	v_cvt_f32_u32_sdwa v30, v16 dst_sel:DWORD dst_unused:UNUSED_PAD src0_sel:WORD_0
	v_cvt_f32_u32_sdwa v31, v16 dst_sel:DWORD dst_unused:UNUSED_PAD src0_sel:WORD_1
	v_cvt_f32_u32_sdwa v28, v17 dst_sel:DWORD dst_unused:UNUSED_PAD src0_sel:WORD_0
	v_cvt_f32_u32_sdwa v29, v17 dst_sel:DWORD dst_unused:UNUSED_PAD src0_sel:WORD_1
	s_waitcnt vmcnt(2)
	v_cvt_f32_u32_sdwa v26, v10 dst_sel:DWORD dst_unused:UNUSED_PAD src0_sel:WORD_0
	v_cvt_f32_u32_sdwa v27, v10 dst_sel:DWORD dst_unused:UNUSED_PAD src0_sel:WORD_1
	v_cvt_f32_u32_sdwa v24, v11 dst_sel:DWORD dst_unused:UNUSED_PAD src0_sel:WORD_0
	v_cvt_f32_u32_sdwa v25, v11 dst_sel:DWORD dst_unused:UNUSED_PAD src0_sel:WORD_1
	v_cvt_f32_u32_sdwa v22, v12 dst_sel:DWORD dst_unused:UNUSED_PAD src0_sel:WORD_0
	v_cvt_f32_u32_sdwa v23, v12 dst_sel:DWORD dst_unused:UNUSED_PAD src0_sel:WORD_1
	v_cvt_f32_u32_sdwa v20, v13 dst_sel:DWORD dst_unused:UNUSED_PAD src0_sel:WORD_0
	v_cvt_f32_u32_sdwa v21, v13 dst_sel:DWORD dst_unused:UNUSED_PAD src0_sel:WORD_1
.LBB932_28:
	s_or_b64 exec, exec, s[2:3]
	s_waitcnt vmcnt(2)
	v_mul_f32_e32 v10, v19, v19
	v_fmac_f32_e32 v10, v18, v18
	v_fmac_f32_e32 v10, v32, v32
	;; [unrolled: 1-line block ×15, first 2 shown]
	s_nop 1
	v_mov_b32_dpp v11, v10 quad_perm:[1,0,3,2] row_mask:0xf bank_mask:0xf
	v_add_f32_e32 v10, v10, v11
	s_nop 1
	v_mov_b32_dpp v11, v10 quad_perm:[2,3,0,1] row_mask:0xf bank_mask:0xf
	v_add_f32_e32 v10, v10, v11
	s_nop 1
	v_mov_b32_dpp v11, v10 row_half_mirror row_mask:0xf bank_mask:0xf
	v_add_f32_e32 v10, v10, v11
	s_nop 1
	v_mov_b32_dpp v11, v10 row_mirror row_mask:0xf bank_mask:0xf
	v_add_f32_e32 v10, v10, v11
	s_nop 1
	v_mov_b32_dpp v11, v10 row_bcast:15 row_mask:0xf bank_mask:0xf
	v_add_f32_e32 v10, v10, v11
	s_nop 1
	v_mov_b32_dpp v11, v10 row_bcast:31 row_mask:0xf bank_mask:0xf
	s_and_saveexec_b64 s[2:3], s[0:1]
	s_cbranch_execz .LBB932_30
; %bb.29:
	v_lshrrev_b32_e32 v0, 4, v0
	v_add_f32_e32 v10, v10, v11
	v_and_b32_e32 v0, 60, v0
	ds_write_b32 v0, v10
.LBB932_30:
	s_or_b64 exec, exec, s[2:3]
	s_waitcnt lgkmcnt(0)
	s_barrier
	ds_read_b32 v0, v34
	s_waitcnt lgkmcnt(0)
	s_nop 0
	v_mov_b32_dpp v10, v0 quad_perm:[1,0,3,2] row_mask:0xf bank_mask:0xf
	v_add_f32_e32 v0, v0, v10
	s_nop 1
	v_mov_b32_dpp v10, v0 quad_perm:[2,3,0,1] row_mask:0xf bank_mask:0xf
	v_add_f32_e32 v0, v0, v10
	s_nop 1
	v_mov_b32_dpp v10, v0 row_half_mirror row_mask:0xf bank_mask:0xf
	s_and_saveexec_b64 s[0:1], vcc
	s_cbranch_execz .LBB932_12
; %bb.31:
	v_cvt_f32_u32_e32 v11, s20
	v_add_f32_e32 v0, v0, v10
	s_mov_b32 s15, 0x20000
	v_div_scale_f32 v10, s[0:1], v11, v11, v0
	v_rcp_f32_e32 v12, v10
	v_div_scale_f32 v13, vcc, v0, v11, v0
	s_mov_b32 s0, 0x800000
	v_fma_f32 v14, -v10, v12, 1.0
	v_fmac_f32_e32 v12, v14, v12
	v_mul_f32_e32 v14, v13, v12
	v_fma_f32 v15, -v10, v14, v13
	v_fmac_f32_e32 v14, v15, v12
	v_fma_f32 v10, -v10, v14, v13
	v_div_fmas_f32 v10, v10, v12, v14
	v_div_fixup_f32 v0, v10, v11, v0
	v_add_f32_e32 v0, s17, v0
	v_mul_f32_e32 v10, 0x4b800000, v0
	v_cmp_gt_f32_e32 vcc, s0, v0
	v_cndmask_b32_e32 v0, v0, v10, vcc
	v_rsq_f32_e32 v0, v0
	s_mul_hi_i32 s1, s7, s6
	s_mul_i32 s0, s7, s6
	s_lshl_b64 s[0:1], s[0:1], 1
	v_mul_f32_e32 v10, 0x45800000, v0
	v_cndmask_b32_e32 v10, v0, v10, vcc
	v_mov_b32_e32 v11, v10
	;;#ASMSTART
	v_pk_mul_f32 v[12:13], v[18:19], v[10:11]
	;;#ASMEND
	;;#ASMSTART
	v_pk_mul_f32 v[14:15], v[32:33], v[10:11]
	;;#ASMEND
	;; [unrolled: 3-line block ×4, first 2 shown]
	s_waitcnt vmcnt(1)
	v_cvt_f32_u32_sdwa v29, v6 dst_sel:DWORD dst_unused:UNUSED_PAD src0_sel:WORD_1
	v_cvt_f32_u32_sdwa v28, v6 dst_sel:DWORD dst_unused:UNUSED_PAD src0_sel:WORD_0
	v_cvt_f32_u32_sdwa v31, v7 dst_sel:DWORD dst_unused:UNUSED_PAD src0_sel:WORD_1
	v_cvt_f32_u32_sdwa v30, v7 dst_sel:DWORD dst_unused:UNUSED_PAD src0_sel:WORD_0
	;;#ASMSTART
	v_pk_mul_f32 v[26:27], v[26:27], v[10:11]
	;;#ASMEND
	;;#ASMSTART
	v_pk_mul_f32 v[24:25], v[24:25], v[10:11]
	;;#ASMEND
	;; [unrolled: 3-line block ×4, first 2 shown]
	v_cvt_f32_u32_sdwa v21, v8 dst_sel:DWORD dst_unused:UNUSED_PAD src0_sel:WORD_1
	v_cvt_f32_u32_sdwa v20, v8 dst_sel:DWORD dst_unused:UNUSED_PAD src0_sel:WORD_0
	v_pk_add_f32 v[10:11], v[28:29], 1.0 op_sel_hi:[1,0]
	;;#ASMSTART
	v_pk_mul_f32 v[10:11], v[12:13], v[10:11]
	;;#ASMEND
	v_pk_add_f32 v[12:13], v[30:31], 1.0 op_sel_hi:[1,0]
	v_cvt_f32_u32_sdwa v29, v9 dst_sel:DWORD dst_unused:UNUSED_PAD src0_sel:WORD_1
	v_cvt_f32_u32_sdwa v28, v9 dst_sel:DWORD dst_unused:UNUSED_PAD src0_sel:WORD_0
	;;#ASMSTART
	v_pk_mul_f32 v[8:9], v[14:15], v[12:13]
	;;#ASMEND
	v_pk_add_f32 v[12:13], v[20:21], 1.0 op_sel_hi:[1,0]
	;;#ASMSTART
	v_pk_mul_f32 v[12:13], v[16:17], v[12:13]
	;;#ASMEND
	s_waitcnt vmcnt(0)
	v_cvt_f32_u32_sdwa v17, v2 dst_sel:DWORD dst_unused:UNUSED_PAD src0_sel:WORD_1
	v_cvt_f32_u32_sdwa v16, v2 dst_sel:DWORD dst_unused:UNUSED_PAD src0_sel:WORD_0
	v_cvt_f32_u32_sdwa v21, v3 dst_sel:DWORD dst_unused:UNUSED_PAD src0_sel:WORD_1
	v_cvt_f32_u32_sdwa v20, v3 dst_sel:DWORD dst_unused:UNUSED_PAD src0_sel:WORD_0
	v_pk_add_f32 v[14:15], v[28:29], 1.0 op_sel_hi:[1,0]
	;;#ASMSTART
	v_pk_mul_f32 v[14:15], v[18:19], v[14:15]
	;;#ASMEND
	v_pk_add_f32 v[2:3], v[16:17], 1.0 op_sel_hi:[1,0]
	v_cvt_f32_u32_sdwa v19, v4 dst_sel:DWORD dst_unused:UNUSED_PAD src0_sel:WORD_1
	v_cvt_f32_u32_sdwa v18, v4 dst_sel:DWORD dst_unused:UNUSED_PAD src0_sel:WORD_0
	;;#ASMSTART
	v_pk_mul_f32 v[16:17], v[26:27], v[2:3]
	;;#ASMEND
	v_pk_add_f32 v[2:3], v[20:21], 1.0 op_sel_hi:[1,0]
	v_cvt_f32_u32_sdwa v21, v5 dst_sel:DWORD dst_unused:UNUSED_PAD src0_sel:WORD_1
	v_cvt_f32_u32_sdwa v20, v5 dst_sel:DWORD dst_unused:UNUSED_PAD src0_sel:WORD_0
	s_add_u32 s12, s28, s0
	;;#ASMSTART
	v_pk_mul_f32 v[24:25], v[24:25], v[2:3]
	;;#ASMEND
	v_pk_add_f32 v[2:3], v[18:19], 1.0 op_sel_hi:[1,0]
	s_addc_u32 s0, s29, s1
	;;#ASMSTART
	v_pk_mul_f32 v[18:19], v[22:23], v[2:3]
	;;#ASMEND
	v_pk_add_f32 v[2:3], v[20:21], 1.0 op_sel_hi:[1,0]
	s_and_b32 s13, s0, 0xffff
	s_mov_b32 s0, 0x7060302
	;;#ASMSTART
	v_pk_mul_f32 v[6:7], v[6:7], v[2:3]
	;;#ASMEND
	v_perm_b32 v2, v11, v10, s0
	v_perm_b32 v3, v9, v8, s0
	;; [unrolled: 1-line block ×4, first 2 shown]
	buffer_store_dwordx4 v[2:5], v1, s[12:15], 0 offen
	;;#ASMSTART
	s_nop 0
	;;#ASMEND
	s_nop 0
	v_perm_b32 v2, v17, v16, s0
	v_perm_b32 v3, v25, v24, s0
	;; [unrolled: 1-line block ×4, first 2 shown]
	buffer_store_dwordx4 v[2:5], v1, s[12:15], 16 offen
	;;#ASMSTART
	s_nop 0
	;;#ASMEND
	s_endpgm
	.section	.rodata,"a",@progbits
	.p2align	6, 0x0
	.amdhsa_kernel _ZN5aiter35fused_qk_rmsnorm_group_quant_kernelItN4opus5fp4_tELi512ELi16ELi8ELb0ELb0ELb1ELb0ELb0ELb0EEEvPT0_PvPT_S7_S7_PKS6_S9_S9_S9_S9_ffiiiiiiiiiiiii
		.amdhsa_group_segment_fixed_size 64
		.amdhsa_private_segment_fixed_size 0
		.amdhsa_kernarg_size 400
		.amdhsa_user_sgpr_count 6
		.amdhsa_user_sgpr_private_segment_buffer 1
		.amdhsa_user_sgpr_dispatch_ptr 0
		.amdhsa_user_sgpr_queue_ptr 0
		.amdhsa_user_sgpr_kernarg_segment_ptr 1
		.amdhsa_user_sgpr_dispatch_id 0
		.amdhsa_user_sgpr_flat_scratch_init 0
		.amdhsa_user_sgpr_kernarg_preload_length 0
		.amdhsa_user_sgpr_kernarg_preload_offset 0
		.amdhsa_user_sgpr_private_segment_size 0
		.amdhsa_uses_dynamic_stack 0
		.amdhsa_system_sgpr_private_segment_wavefront_offset 0
		.amdhsa_system_sgpr_workgroup_id_x 1
		.amdhsa_system_sgpr_workgroup_id_y 1
		.amdhsa_system_sgpr_workgroup_id_z 0
		.amdhsa_system_sgpr_workgroup_info 0
		.amdhsa_system_vgpr_workitem_id 0
		.amdhsa_next_free_vgpr 36
		.amdhsa_next_free_sgpr 32
		.amdhsa_accum_offset 36
		.amdhsa_reserve_vcc 1
		.amdhsa_reserve_flat_scratch 0
		.amdhsa_float_round_mode_32 0
		.amdhsa_float_round_mode_16_64 0
		.amdhsa_float_denorm_mode_32 3
		.amdhsa_float_denorm_mode_16_64 3
		.amdhsa_dx10_clamp 1
		.amdhsa_ieee_mode 1
		.amdhsa_fp16_overflow 0
		.amdhsa_tg_split 0
		.amdhsa_exception_fp_ieee_invalid_op 0
		.amdhsa_exception_fp_denorm_src 0
		.amdhsa_exception_fp_ieee_div_zero 0
		.amdhsa_exception_fp_ieee_overflow 0
		.amdhsa_exception_fp_ieee_underflow 0
		.amdhsa_exception_fp_ieee_inexact 0
		.amdhsa_exception_int_div_zero 0
	.end_amdhsa_kernel
	.section	.text._ZN5aiter35fused_qk_rmsnorm_group_quant_kernelItN4opus5fp4_tELi512ELi16ELi8ELb0ELb0ELb1ELb0ELb0ELb0EEEvPT0_PvPT_S7_S7_PKS6_S9_S9_S9_S9_ffiiiiiiiiiiiii,"axG",@progbits,_ZN5aiter35fused_qk_rmsnorm_group_quant_kernelItN4opus5fp4_tELi512ELi16ELi8ELb0ELb0ELb1ELb0ELb0ELb0EEEvPT0_PvPT_S7_S7_PKS6_S9_S9_S9_S9_ffiiiiiiiiiiiii,comdat
.Lfunc_end932:
	.size	_ZN5aiter35fused_qk_rmsnorm_group_quant_kernelItN4opus5fp4_tELi512ELi16ELi8ELb0ELb0ELb1ELb0ELb0ELb0EEEvPT0_PvPT_S7_S7_PKS6_S9_S9_S9_S9_ffiiiiiiiiiiiii, .Lfunc_end932-_ZN5aiter35fused_qk_rmsnorm_group_quant_kernelItN4opus5fp4_tELi512ELi16ELi8ELb0ELb0ELb1ELb0ELb0ELb0EEEvPT0_PvPT_S7_S7_PKS6_S9_S9_S9_S9_ffiiiiiiiiiiiii
                                        ; -- End function
	.section	.AMDGPU.csdata,"",@progbits
; Kernel info:
; codeLenInByte = 3300
; NumSgprs: 36
; NumVgprs: 36
; NumAgprs: 0
; TotalNumVgprs: 36
; ScratchSize: 0
; MemoryBound: 0
; FloatMode: 240
; IeeeMode: 1
; LDSByteSize: 64 bytes/workgroup (compile time only)
; SGPRBlocks: 4
; VGPRBlocks: 4
; NumSGPRsForWavesPerEU: 36
; NumVGPRsForWavesPerEU: 36
; AccumOffset: 36
; Occupancy: 8
; WaveLimiterHint : 0
; COMPUTE_PGM_RSRC2:SCRATCH_EN: 0
; COMPUTE_PGM_RSRC2:USER_SGPR: 6
; COMPUTE_PGM_RSRC2:TRAP_HANDLER: 0
; COMPUTE_PGM_RSRC2:TGID_X_EN: 1
; COMPUTE_PGM_RSRC2:TGID_Y_EN: 1
; COMPUTE_PGM_RSRC2:TGID_Z_EN: 0
; COMPUTE_PGM_RSRC2:TIDIG_COMP_CNT: 0
; COMPUTE_PGM_RSRC3_GFX90A:ACCUM_OFFSET: 8
; COMPUTE_PGM_RSRC3_GFX90A:TG_SPLIT: 0
	.section	.text._ZN5aiter35fused_qk_rmsnorm_group_quant_kernelIDF16_DB8_Li512ELi16ELi8ELb0ELb0ELb0ELb0ELb0ELb0EEEvPT0_PvPT_S6_S6_PKS5_S8_S8_S8_S8_ffiiiiiiiiiiiii,"axG",@progbits,_ZN5aiter35fused_qk_rmsnorm_group_quant_kernelIDF16_DB8_Li512ELi16ELi8ELb0ELb0ELb0ELb0ELb0ELb0EEEvPT0_PvPT_S6_S6_PKS5_S8_S8_S8_S8_ffiiiiiiiiiiiii,comdat
	.protected	_ZN5aiter35fused_qk_rmsnorm_group_quant_kernelIDF16_DB8_Li512ELi16ELi8ELb0ELb0ELb0ELb0ELb0ELb0EEEvPT0_PvPT_S6_S6_PKS5_S8_S8_S8_S8_ffiiiiiiiiiiiii ; -- Begin function _ZN5aiter35fused_qk_rmsnorm_group_quant_kernelIDF16_DB8_Li512ELi16ELi8ELb0ELb0ELb0ELb0ELb0ELb0EEEvPT0_PvPT_S6_S6_PKS5_S8_S8_S8_S8_ffiiiiiiiiiiiii
	.globl	_ZN5aiter35fused_qk_rmsnorm_group_quant_kernelIDF16_DB8_Li512ELi16ELi8ELb0ELb0ELb0ELb0ELb0ELb0EEEvPT0_PvPT_S6_S6_PKS5_S8_S8_S8_S8_ffiiiiiiiiiiiii
	.p2align	8
	.type	_ZN5aiter35fused_qk_rmsnorm_group_quant_kernelIDF16_DB8_Li512ELi16ELi8ELb0ELb0ELb0ELb0ELb0ELb0EEEvPT0_PvPT_S6_S6_PKS5_S8_S8_S8_S8_ffiiiiiiiiiiiii,@function
_ZN5aiter35fused_qk_rmsnorm_group_quant_kernelIDF16_DB8_Li512ELi16ELi8ELb0ELb0ELb0ELb0ELb0ELb0EEEvPT0_PvPT_S6_S6_PKS5_S8_S8_S8_S8_ffiiiiiiiiiiiii: ; @_ZN5aiter35fused_qk_rmsnorm_group_quant_kernelIDF16_DB8_Li512ELi16ELi8ELb0ELb0ELb0ELb0ELb0ELb0EEEvPT0_PvPT_S6_S6_PKS5_S8_S8_S8_S8_ffiiiiiiiiiiiii
; %bb.0:
	s_load_dwordx4 s[16:19], s[4:5], 0x50
	s_waitcnt lgkmcnt(0)
	s_cmp_ge_i32 s6, s18
	s_cbranch_scc1 .LBB933_12
; %bb.1:
	s_load_dwordx2 s[12:13], s[4:5], 0x48
	s_load_dwordx2 s[30:31], s[4:5], 0x30
	s_load_dwordx4 s[20:23], s[4:5], 0x60
	s_cmp_lg_u32 s7, 0
	s_cselect_b64 s[14:15], -1, 0
	s_cmp_eq_u32 s7, 0
	s_cselect_b64 vcc, -1, 0
	s_and_b64 s[0:1], vcc, exec
	s_waitcnt lgkmcnt(0)
	s_cselect_b32 s7, s19, s20
	s_add_i32 s0, s7, 1
	s_lshr_b32 s1, s0, 31
	s_add_i32 s0, s0, s1
	s_lshl_b32 s0, s0, 1
	v_lshlrev_b32_e32 v1, 4, v0
	s_and_b32 s10, s0, -4
	v_cmp_gt_i32_e64 s[2:3], s7, v1
	v_mov_b32_e32 v18, 0
	v_mov_b32_e32 v6, 0
	;; [unrolled: 1-line block ×17, first 2 shown]
	s_and_saveexec_b64 s[0:1], s[2:3]
	s_cbranch_execz .LBB933_3
; %bb.2:
	s_load_dwordx2 s[8:9], s[4:5], 0x28
	s_load_dwordx2 s[26:27], s[4:5], 0x40
	s_and_b64 s[24:25], vcc, exec
	s_cselect_b32 s11, s21, s22
	v_lshlrev_b32_e32 v19, 5, v0
	s_waitcnt lgkmcnt(0)
	s_cselect_b32 s18, s9, s31
	s_cselect_b32 s21, s8, s30
	s_mul_hi_i32 s9, s11, s6
	s_mul_i32 s8, s11, s6
	s_lshl_b64 s[8:9], s[8:9], 1
	s_add_u32 s24, s21, s8
	s_addc_u32 s18, s18, s9
	s_and_b64 s[8:9], vcc, exec
	s_mov_b32 s11, 0x20000
	s_cselect_b32 s8, s26, s12
	s_cselect_b32 s9, s27, s13
	s_and_b32 s25, s18, 0xffff
	s_mov_b32 s26, s10
	s_mov_b32 s27, s11
	s_and_b32 s9, s9, 0xffff
	buffer_load_dwordx4 v[14:17], v19, s[24:27], 0 offen
	buffer_load_dwordx4 v[10:13], v19, s[24:27], 16 offen
	;; [unrolled: 1-line block ×4, first 2 shown]
.LBB933_3:
	s_or_b64 exec, exec, s[0:1]
	v_mov_b32_e32 v19, 0
	v_mov_b32_e32 v32, 0
	;; [unrolled: 1-line block ×15, first 2 shown]
	s_and_saveexec_b64 s[0:1], s[2:3]
	s_cbranch_execz .LBB933_5
; %bb.4:
	s_waitcnt vmcnt(3)
	v_cvt_f32_f16_sdwa v19, v14 dst_sel:DWORD dst_unused:UNUSED_PAD src0_sel:WORD_1
	v_cvt_f32_f16_e32 v18, v14
	v_cvt_f32_f16_sdwa v33, v15 dst_sel:DWORD dst_unused:UNUSED_PAD src0_sel:WORD_1
	v_cvt_f32_f16_e32 v32, v15
	;; [unrolled: 2-line block ×4, first 2 shown]
	s_waitcnt vmcnt(2)
	v_cvt_f32_f16_sdwa v31, v10 dst_sel:DWORD dst_unused:UNUSED_PAD src0_sel:WORD_1
	v_cvt_f32_f16_e32 v30, v10
	v_cvt_f32_f16_sdwa v29, v11 dst_sel:DWORD dst_unused:UNUSED_PAD src0_sel:WORD_1
	v_cvt_f32_f16_e32 v28, v11
	;; [unrolled: 2-line block ×4, first 2 shown]
.LBB933_5:
	s_or_b64 exec, exec, s[0:1]
	s_waitcnt vmcnt(2)
	v_mul_f32_e32 v10, v19, v19
	v_fmac_f32_e32 v10, v18, v18
	v_fmac_f32_e32 v10, v32, v32
	;; [unrolled: 1-line block ×15, first 2 shown]
	v_and_b32_e32 v12, 63, v0
	v_cmp_eq_u32_e64 s[0:1], 63, v12
	v_mov_b32_dpp v11, v10 quad_perm:[1,0,3,2] row_mask:0xf bank_mask:0xf
	v_add_f32_e32 v10, v10, v11
	s_nop 1
	v_mov_b32_dpp v11, v10 quad_perm:[2,3,0,1] row_mask:0xf bank_mask:0xf
	v_add_f32_e32 v10, v10, v11
	s_nop 1
	v_mov_b32_dpp v11, v10 row_half_mirror row_mask:0xf bank_mask:0xf
	v_add_f32_e32 v10, v10, v11
	s_nop 1
	v_mov_b32_dpp v11, v10 row_mirror row_mask:0xf bank_mask:0xf
	v_add_f32_e32 v10, v10, v11
	s_nop 1
	v_mov_b32_dpp v11, v10 row_bcast:15 row_mask:0xf bank_mask:0xf
	v_add_f32_e32 v10, v10, v11
	s_nop 1
	v_mov_b32_dpp v11, v10 row_bcast:31 row_mask:0xf bank_mask:0xf
	s_and_saveexec_b64 s[8:9], s[0:1]
	s_cbranch_execz .LBB933_7
; %bb.6:
	v_add_f32_e32 v10, v10, v11
	v_lshrrev_b32_e32 v11, 4, v0
	v_and_b32_e32 v11, 60, v11
	ds_write_b32 v11, v10 offset:32
.LBB933_7:
	s_or_b64 exec, exec, s[8:9]
	v_and_b32_e32 v10, 7, v0
	v_lshlrev_b32_e32 v34, 2, v10
	s_waitcnt lgkmcnt(0)
	s_barrier
	ds_read_b32 v11, v34 offset:32
	s_load_dwordx2 s[28:29], s[4:5], 0x18
	s_waitcnt lgkmcnt(0)
	v_mov_b32_dpp v12, v11 quad_perm:[1,0,3,2] row_mask:0xf bank_mask:0xf
	v_add_f32_e32 v11, v11, v12
	s_nop 1
	v_mov_b32_dpp v12, v11 quad_perm:[2,3,0,1] row_mask:0xf bank_mask:0xf
	v_add_f32_e32 v11, v11, v12
	s_nop 1
	v_mov_b32_dpp v12, v11 row_half_mirror row_mask:0xf bank_mask:0xf
	s_and_saveexec_b64 s[8:9], s[2:3]
	s_cbranch_execz .LBB933_9
; %bb.8:
	v_cvt_f32_u32_e32 v13, s7
	v_add_f32_e32 v11, v11, v12
	v_mov_b32_e32 v15, s17
	v_mov_b32_e32 v16, s16
	v_div_scale_f32 v12, s[24:25], v13, v13, v11
	v_rcp_f32_e32 v14, v12
	v_cndmask_b32_e32 v15, v15, v16, vcc
	s_mov_b32 s7, 0x800000
	s_waitcnt vmcnt(1)
	v_cvt_f32_f16_sdwa v37, v9 dst_sel:DWORD dst_unused:UNUSED_PAD src0_sel:WORD_1
	v_fma_f32 v16, -v12, v14, 1.0
	v_fmac_f32_e32 v14, v16, v14
	v_div_scale_f32 v16, vcc, v11, v13, v11
	v_mul_f32_e32 v17, v16, v14
	v_fma_f32 v35, -v12, v17, v16
	v_fmac_f32_e32 v17, v35, v14
	v_fma_f32 v12, -v12, v17, v16
	v_div_fmas_f32 v12, v12, v14, v17
	v_div_fixup_f32 v11, v12, v13, v11
	v_add_f32_e32 v11, v15, v11
	v_mul_f32_e32 v12, 0x4b800000, v11
	v_cmp_gt_f32_e32 vcc, s7, v11
	v_cndmask_b32_e32 v11, v11, v12, vcc
	v_rsq_f32_e32 v11, v11
	v_cvt_f32_f16_e32 v36, v9
	s_waitcnt vmcnt(0)
	v_cvt_f32_f16_sdwa v9, v3 dst_sel:DWORD dst_unused:UNUSED_PAD src0_sel:WORD_1
	v_mul_f32_e32 v12, 0x45800000, v11
	v_cndmask_b32_e32 v12, v11, v12, vcc
	v_mov_b32_e32 v13, v12
	;;#ASMSTART
	v_pk_mul_f32 v[14:15], v[18:19], v[12:13]
	;;#ASMEND
	;;#ASMSTART
	v_pk_mul_f32 v[16:17], v[32:33], v[12:13]
	;;#ASMEND
	;; [unrolled: 3-line block ×8, first 2 shown]
	v_cvt_f32_f16_sdwa v19, v6 dst_sel:DWORD dst_unused:UNUSED_PAD src0_sel:WORD_1
	v_cvt_f32_f16_e32 v18, v6
	v_cvt_f32_f16_sdwa v21, v7 dst_sel:DWORD dst_unused:UNUSED_PAD src0_sel:WORD_1
	v_cvt_f32_f16_e32 v20, v7
	;; [unrolled: 2-line block ×3, first 2 shown]
	;;#ASMSTART
	v_pk_mul_f32 v[18:19], v[14:15], v[18:19]
	;;#ASMEND
	;;#ASMSTART
	v_pk_mul_f32 v[32:33], v[16:17], v[20:21]
	;;#ASMEND
	;; [unrolled: 3-line block ×4, first 2 shown]
	v_cvt_f32_f16_sdwa v7, v2 dst_sel:DWORD dst_unused:UNUSED_PAD src0_sel:WORD_1
	v_cvt_f32_f16_e32 v6, v2
	v_cvt_f32_f16_e32 v8, v3
	v_cvt_f32_f16_sdwa v3, v4 dst_sel:DWORD dst_unused:UNUSED_PAD src0_sel:WORD_1
	v_cvt_f32_f16_e32 v2, v4
	v_cvt_f32_f16_sdwa v15, v5 dst_sel:DWORD dst_unused:UNUSED_PAD src0_sel:WORD_1
	v_cvt_f32_f16_e32 v14, v5
	;;#ASMSTART
	v_pk_mul_f32 v[30:31], v[30:31], v[6:7]
	;;#ASMEND
	;;#ASMSTART
	v_pk_mul_f32 v[28:29], v[28:29], v[8:9]
	;;#ASMEND
	;; [unrolled: 3-line block ×4, first 2 shown]
.LBB933_9:
	s_or_b64 exec, exec, s[8:9]
	s_load_dword s7, s[4:5], 0x80
	s_mov_b64 s[8:9], -1
	s_and_b64 vcc, exec, s[14:15]
	s_cbranch_vccnz .LBB933_13
; %bb.10:
	s_andn2_b64 vcc, exec, s[8:9]
	s_cbranch_vccz .LBB933_16
.LBB933_11:
	s_cmp_lt_i32 s20, 1
	s_cbranch_scc0 .LBB933_23
.LBB933_12:
	s_endpgm
.LBB933_13:
	s_and_saveexec_b64 s[14:15], s[2:3]
	s_cbranch_execz .LBB933_15
; %bb.14:
	s_waitcnt lgkmcnt(0)
	s_mul_hi_i32 s9, s7, s6
	s_mul_i32 s8, s7, s6
	s_waitcnt vmcnt(0)
	v_cvt_f16_f32_e32 v2, v18
	v_cvt_f16_f32_e32 v3, v32
	;; [unrolled: 1-line block ×8, first 2 shown]
	s_lshl_b64 s[8:9], s[8:9], 1
	s_add_u32 s8, s28, s8
	s_addc_u32 s9, s29, s9
	s_and_b32 s9, s9, 0xffff
	s_mov_b32 s11, 0x20000
	v_pack_b32_f16 v5, v5, v6
	v_pack_b32_f16 v4, v4, v7
	;; [unrolled: 1-line block ×4, first 2 shown]
	v_lshlrev_b32_e32 v6, 5, v0
	buffer_store_dwordx4 v[2:5], v6, s[8:11], 0 offen
	v_cvt_f16_f32_e32 v7, v21
	v_cvt_f16_f32_e32 v2, v30
	;; [unrolled: 1-line block ×8, first 2 shown]
	v_pack_b32_f16 v5, v5, v7
	v_pack_b32_f16 v4, v4, v8
	;; [unrolled: 1-line block ×4, first 2 shown]
	;;#ASMSTART
	s_nop 0
	;;#ASMEND
	buffer_store_dwordx4 v[2:5], v6, s[8:11], 16 offen
	;;#ASMSTART
	s_nop 0
	;;#ASMEND
.LBB933_15:
	s_or_b64 exec, exec, s[14:15]
	s_cbranch_execnz .LBB933_11
.LBB933_16:
	s_waitcnt vmcnt(0)
	v_mov_b32_e32 v2, 0
	s_and_saveexec_b64 s[8:9], s[2:3]
	s_cbranch_execz .LBB933_18
; %bb.17:
	v_and_b32_e32 v2, 0x7fffffff, v18
	v_and_b32_e32 v3, 0x7fffffff, v19
	v_mov_b32_e32 v4, 0x2edbe6ff
	;;#ASMSTART
	v_max3_f32 v2, v4, v2, v3

	;;#ASMEND
	v_and_b32_e32 v3, 0x7fffffff, v32
	v_and_b32_e32 v4, 0x7fffffff, v33
	;;#ASMSTART
	v_max3_f32 v2, v2, v3, v4

	;;#ASMEND
	v_and_b32_e32 v3, 0x7fffffff, v26
	v_and_b32_e32 v4, 0x7fffffff, v27
	;; [unrolled: 6-line block ×7, first 2 shown]
	;;#ASMSTART
	v_max3_f32 v2, v2, v3, v4

	;;#ASMEND
.LBB933_18:
	s_or_b64 exec, exec, s[8:9]
	s_load_dwordx4 s[24:27], s[4:5], 0x70
	;;#ASMSTART
	v_max_f32 v3, v2, v2 quad_perm:[1,0,3,2] row_mask:0xf bank_mask:0xf bound_ctrl:1
	;;#ASMEND
	;;#ASMSTART
	v_max_f32 v2, v3, v3 quad_perm:[2,3,0,1] row_mask:0xf bank_mask:0xf bound_ctrl:1
	;;#ASMEND
	v_cmp_eq_u32_e32 vcc, 0, v10
	v_cmp_gt_i32_e64 s[8:9], s19, v1
	;;#ASMSTART
	v_max_f32 v3, v2, v2 row_half_mirror row_mask:0xf bank_mask:0xf bound_ctrl:1
	;;#ASMEND
	v_mul_f32_e32 v2, 0x3b124925, v3
	s_and_b64 s[10:11], vcc, s[8:9]
	s_and_saveexec_b64 s[8:9], s[10:11]
	s_cbranch_execz .LBB933_20
; %bb.19:
	s_load_dwordx2 s[10:11], s[4:5], 0x8
	s_waitcnt lgkmcnt(0)
	s_mul_hi_i32 s15, s25, s6
	s_mul_i32 s14, s25, s6
	v_lshrrev_b32_e32 v3, 3, v0
	s_lshl_b64 s[14:15], s[14:15], 2
	v_mad_i64_i32 v[4:5], s[26:27], s26, v3, 0
	s_add_u32 s10, s10, s14
	s_addc_u32 s11, s11, s15
	v_lshlrev_b64 v[4:5], 2, v[4:5]
	v_mov_b32_e32 v3, s11
	v_add_co_u32_e32 v4, vcc, s10, v4
	v_addc_co_u32_e32 v5, vcc, v3, v5, vcc
	global_store_dword v[4:5], v2, off
.LBB933_20:
	s_or_b64 exec, exec, s[8:9]
	;;#ASMSTART
	v_rcp_f32 v2, v2
	;;#ASMEND
	s_and_saveexec_b64 s[14:15], s[2:3]
	s_cbranch_execz .LBB933_22
; %bb.21:
	s_load_dwordx2 s[2:3], s[4:5], 0x0
	s_waitcnt lgkmcnt(0)
	s_mul_i32 s8, s24, s6
	s_mul_hi_i32 s9, s24, s6
	v_mov_b32_e32 v3, v2
	;;#ASMSTART
	v_pk_mul_f32 v[4:5], v[18:19], v[2:3]
	;;#ASMEND
	s_add_u32 s8, s2, s8
	s_addc_u32 s2, s3, s9
	s_add_i32 s3, s19, 3
	s_ashr_i32 s10, s3, 31
	v_mov_b32_e32 v10, 0xc3e00000
	v_mov_b32_e32 v11, 0x43e00000
	;;#ASMSTART
	v_med3_f32 v4, v4, v10, v11
v_med3_f32 v5, v5, v10, v11
v_cvt_pk_fp8_f32 v6, v4, v5
	;;#ASMEND
	s_and_b32 s9, s2, 0xffff
	s_lshr_b32 s2, s10, 30
	;;#ASMSTART
	v_pk_mul_f32 v[4:5], v[32:33], v[2:3]
	;;#ASMEND
	s_add_i32 s3, s3, s2
	;;#ASMSTART
	v_med3_f32 v4, v4, v10, v11
v_med3_f32 v5, v5, v10, v11
v_cvt_pk_fp8_f32 v7, v4, v5
	;;#ASMEND
	s_mov_b32 s2, 0x5040100
	v_perm_b32 v4, v7, v6, s2
	s_mov_b32 s2, 0x1060504
	v_perm_b32 v4, v4, v7, s2
	;;#ASMSTART
	v_pk_mul_f32 v[6:7], v[26:27], v[2:3]
	;;#ASMEND
	v_mov_b32_e32 v5, v7
	;;#ASMSTART
	v_med3_f32 v6, v6, v10, v11
v_med3_f32 v5, v5, v10, v11
v_cvt_pk_fp8_f32 v8, v6, v5
	;;#ASMEND
	;;#ASMSTART
	v_pk_mul_f32 v[6:7], v[24:25], v[2:3]
	;;#ASMEND
	v_mov_b32_e32 v5, v6
	;;#ASMSTART
	v_med3_f32 v5, v5, v10, v11
v_med3_f32 v7, v7, v10, v11
v_cvt_pk_fp8_f32 v6, v5, v7
	;;#ASMEND
	s_mov_b32 s2, 0x1000504
	v_perm_b32 v5, v8, v6, s2
	;;#ASMSTART
	v_pk_mul_f32 v[6:7], v[30:31], v[2:3]
	;;#ASMEND
	;;#ASMSTART
	v_med3_f32 v6, v6, v10, v11
v_med3_f32 v7, v7, v10, v11
v_cvt_pk_fp8_f32 v8, v6, v7
	;;#ASMEND
	;;#ASMSTART
	v_pk_mul_f32 v[6:7], v[28:29], v[2:3]
	;;#ASMEND
	;;#ASMSTART
	v_med3_f32 v6, v6, v10, v11
v_med3_f32 v7, v7, v10, v11
v_cvt_pk_fp8_f32 v9, v6, v7
	;;#ASMEND
	v_perm_b32 v6, v8, v9, s2
	;;#ASMSTART
	v_pk_mul_f32 v[8:9], v[22:23], v[2:3]
	;;#ASMEND
	v_mov_b32_e32 v7, v9
	;;#ASMSTART
	v_med3_f32 v8, v8, v10, v11
v_med3_f32 v7, v7, v10, v11
v_cvt_pk_fp8_f32 v9, v8, v7
	;;#ASMEND
	;;#ASMSTART
	v_pk_mul_f32 v[2:3], v[20:21], v[2:3]
	;;#ASMEND
	;;#ASMSTART
	v_med3_f32 v2, v2, v10, v11
v_med3_f32 v3, v3, v10, v11
v_cvt_pk_fp8_f32 v7, v2, v3
	;;#ASMEND
	s_and_b32 s10, s3, -4
	s_mov_b32 s11, 0x20000
	v_perm_b32 v7, v9, v7, s2
	buffer_store_dwordx4 v[4:7], v1, s[8:11], 0 offen
	;;#ASMSTART
	s_nop 0
	;;#ASMEND
.LBB933_22:
	s_or_b64 exec, exec, s[14:15]
	s_cmp_lt_i32 s20, 1
	s_cbranch_scc1 .LBB933_12
.LBB933_23:
	s_load_dword s2, s[4:5], 0x94
	s_waitcnt lgkmcnt(0)
	s_cmp_lg_u32 s2, 1
	s_cbranch_scc1 .LBB933_12
; %bb.24:
	s_lshl_b32 s2, s20, 1
	s_add_i32 s2, s2, 2
	v_cmp_gt_u32_e32 vcc, s20, v1
	s_and_b32 s14, s2, -4
	v_mov_b32_e32 v18, 0
	v_lshlrev_b32_e32 v1, 5, v0
	v_mov_b32_e32 v14, 0
	v_mov_b32_e32 v15, 0
	;; [unrolled: 1-line block ×8, first 2 shown]
	s_waitcnt vmcnt(1)
	v_mov_b32_e32 v6, 0
	v_mov_b32_e32 v7, 0
	;; [unrolled: 1-line block ×4, first 2 shown]
	s_waitcnt vmcnt(0)
	v_mov_b32_e32 v2, 0
	v_mov_b32_e32 v3, 0
	;; [unrolled: 1-line block ×4, first 2 shown]
	s_barrier
	s_and_saveexec_b64 s[2:3], vcc
	s_cbranch_execz .LBB933_26
; %bb.25:
	s_mul_hi_i32 s5, s22, s6
	s_mul_i32 s4, s22, s6
	s_and_b32 s13, s13, 0xffff
	s_lshl_b64 s[4:5], s[4:5], 1
	s_add_u32 s8, s30, s4
	s_mov_b32 s15, 0x20000
	s_addc_u32 s4, s31, s5
	s_and_b32 s9, s4, 0xffff
	s_mov_b32 s10, s14
	s_mov_b32 s11, s15
	buffer_load_dwordx4 v[14:17], v1, s[8:11], 0 offen
	buffer_load_dwordx4 v[10:13], v1, s[8:11], 16 offen
	;; [unrolled: 1-line block ×4, first 2 shown]
.LBB933_26:
	s_or_b64 exec, exec, s[2:3]
	v_mov_b32_e32 v19, 0
	v_mov_b32_e32 v32, 0
	;; [unrolled: 1-line block ×15, first 2 shown]
	s_and_saveexec_b64 s[2:3], vcc
	s_cbranch_execz .LBB933_28
; %bb.27:
	s_waitcnt vmcnt(3)
	v_cvt_f32_f16_sdwa v19, v14 dst_sel:DWORD dst_unused:UNUSED_PAD src0_sel:WORD_1
	v_cvt_f32_f16_e32 v18, v14
	v_cvt_f32_f16_sdwa v33, v15 dst_sel:DWORD dst_unused:UNUSED_PAD src0_sel:WORD_1
	v_cvt_f32_f16_e32 v32, v15
	;; [unrolled: 2-line block ×4, first 2 shown]
	s_waitcnt vmcnt(2)
	v_cvt_f32_f16_sdwa v27, v10 dst_sel:DWORD dst_unused:UNUSED_PAD src0_sel:WORD_1
	v_cvt_f32_f16_e32 v26, v10
	v_cvt_f32_f16_sdwa v25, v11 dst_sel:DWORD dst_unused:UNUSED_PAD src0_sel:WORD_1
	v_cvt_f32_f16_e32 v24, v11
	;; [unrolled: 2-line block ×4, first 2 shown]
.LBB933_28:
	s_or_b64 exec, exec, s[2:3]
	s_waitcnt vmcnt(2)
	v_mul_f32_e32 v10, v19, v19
	v_fmac_f32_e32 v10, v18, v18
	v_fmac_f32_e32 v10, v32, v32
	;; [unrolled: 1-line block ×15, first 2 shown]
	s_nop 1
	v_mov_b32_dpp v11, v10 quad_perm:[1,0,3,2] row_mask:0xf bank_mask:0xf
	v_add_f32_e32 v10, v10, v11
	s_nop 1
	v_mov_b32_dpp v11, v10 quad_perm:[2,3,0,1] row_mask:0xf bank_mask:0xf
	v_add_f32_e32 v10, v10, v11
	s_nop 1
	v_mov_b32_dpp v11, v10 row_half_mirror row_mask:0xf bank_mask:0xf
	v_add_f32_e32 v10, v10, v11
	s_nop 1
	v_mov_b32_dpp v11, v10 row_mirror row_mask:0xf bank_mask:0xf
	v_add_f32_e32 v10, v10, v11
	s_nop 1
	v_mov_b32_dpp v11, v10 row_bcast:15 row_mask:0xf bank_mask:0xf
	v_add_f32_e32 v10, v10, v11
	s_nop 1
	v_mov_b32_dpp v11, v10 row_bcast:31 row_mask:0xf bank_mask:0xf
	s_and_saveexec_b64 s[2:3], s[0:1]
	s_cbranch_execz .LBB933_30
; %bb.29:
	v_lshrrev_b32_e32 v0, 4, v0
	v_add_f32_e32 v10, v10, v11
	v_and_b32_e32 v0, 60, v0
	ds_write_b32 v0, v10
.LBB933_30:
	s_or_b64 exec, exec, s[2:3]
	s_waitcnt lgkmcnt(0)
	s_barrier
	ds_read_b32 v0, v34
	s_waitcnt lgkmcnt(0)
	s_nop 0
	v_mov_b32_dpp v10, v0 quad_perm:[1,0,3,2] row_mask:0xf bank_mask:0xf
	v_add_f32_e32 v0, v0, v10
	s_nop 1
	v_mov_b32_dpp v10, v0 quad_perm:[2,3,0,1] row_mask:0xf bank_mask:0xf
	v_add_f32_e32 v0, v0, v10
	s_nop 1
	v_mov_b32_dpp v10, v0 row_half_mirror row_mask:0xf bank_mask:0xf
	s_and_saveexec_b64 s[0:1], vcc
	s_cbranch_execz .LBB933_12
; %bb.31:
	v_cvt_f32_u32_e32 v11, s20
	v_add_f32_e32 v0, v0, v10
	s_mov_b32 s15, 0x20000
	v_div_scale_f32 v10, s[0:1], v11, v11, v0
	v_rcp_f32_e32 v12, v10
	v_div_scale_f32 v13, vcc, v0, v11, v0
	s_mov_b32 s0, 0x800000
	v_fma_f32 v14, -v10, v12, 1.0
	v_fmac_f32_e32 v12, v14, v12
	v_mul_f32_e32 v14, v13, v12
	v_fma_f32 v15, -v10, v14, v13
	v_fmac_f32_e32 v14, v15, v12
	v_fma_f32 v10, -v10, v14, v13
	v_div_fmas_f32 v10, v10, v12, v14
	v_div_fixup_f32 v0, v10, v11, v0
	v_add_f32_e32 v0, s17, v0
	v_mul_f32_e32 v10, 0x4b800000, v0
	v_cmp_gt_f32_e32 vcc, s0, v0
	v_cndmask_b32_e32 v0, v0, v10, vcc
	v_rsq_f32_e32 v0, v0
	s_mul_hi_i32 s1, s7, s6
	s_mul_i32 s0, s7, s6
	s_lshl_b64 s[0:1], s[0:1], 1
	v_mul_f32_e32 v10, 0x45800000, v0
	v_cndmask_b32_e32 v10, v0, v10, vcc
	v_mov_b32_e32 v11, v10
	;;#ASMSTART
	v_pk_mul_f32 v[12:13], v[18:19], v[10:11]
	;;#ASMEND
	;;#ASMSTART
	v_pk_mul_f32 v[14:15], v[32:33], v[10:11]
	;;#ASMEND
	;;#ASMSTART
	v_pk_mul_f32 v[16:17], v[30:31], v[10:11]
	;;#ASMEND
	;;#ASMSTART
	v_pk_mul_f32 v[18:19], v[28:29], v[10:11]
	;;#ASMEND
	;;#ASMSTART
	v_pk_mul_f32 v[26:27], v[26:27], v[10:11]
	;;#ASMEND
	;;#ASMSTART
	v_pk_mul_f32 v[24:25], v[24:25], v[10:11]
	;;#ASMEND
	;;#ASMSTART
	v_pk_mul_f32 v[22:23], v[22:23], v[10:11]
	;;#ASMEND
	;;#ASMSTART
	v_pk_mul_f32 v[10:11], v[20:21], v[10:11]
	;;#ASMEND
	s_waitcnt vmcnt(1)
	v_cvt_f32_f16_sdwa v21, v6 dst_sel:DWORD dst_unused:UNUSED_PAD src0_sel:WORD_1
	v_cvt_f32_f16_e32 v20, v6
	v_cvt_f32_f16_sdwa v29, v7 dst_sel:DWORD dst_unused:UNUSED_PAD src0_sel:WORD_1
	v_cvt_f32_f16_e32 v28, v7
	;; [unrolled: 2-line block ×4, first 2 shown]
	;;#ASMSTART
	v_pk_mul_f32 v[8:9], v[12:13], v[20:21]
	;;#ASMEND
	;;#ASMSTART
	v_pk_mul_f32 v[12:13], v[14:15], v[28:29]
	;;#ASMEND
	;; [unrolled: 3-line block ×4, first 2 shown]
	s_waitcnt vmcnt(0)
	v_cvt_f32_f16_sdwa v17, v2 dst_sel:DWORD dst_unused:UNUSED_PAD src0_sel:WORD_1
	v_cvt_f32_f16_e32 v16, v2
	v_cvt_f32_f16_sdwa v19, v3 dst_sel:DWORD dst_unused:UNUSED_PAD src0_sel:WORD_1
	v_cvt_f32_f16_e32 v18, v3
	;; [unrolled: 2-line block ×4, first 2 shown]
	;;#ASMSTART
	v_pk_mul_f32 v[16:17], v[26:27], v[16:17]
	;;#ASMEND
	;;#ASMSTART
	v_pk_mul_f32 v[18:19], v[24:25], v[18:19]
	;;#ASMEND
	;; [unrolled: 3-line block ×3, first 2 shown]
	v_cvt_f16_f32_e32 v0, v8
	v_cvt_f16_f32_e32 v2, v9
	;; [unrolled: 1-line block ×8, first 2 shown]
	s_add_u32 s12, s28, s0
	s_addc_u32 s0, s29, s1
	s_and_b32 s13, s0, 0xffff
	v_pack_b32_f16 v2, v0, v2
	v_pack_b32_f16 v3, v3, v4
	;; [unrolled: 1-line block ×4, first 2 shown]
	;;#ASMSTART
	v_pk_mul_f32 v[10:11], v[10:11], v[20:21]
	;;#ASMEND
	buffer_store_dwordx4 v[2:5], v1, s[12:15], 0 offen
	v_cvt_f16_f32_e32 v0, v16
	v_cvt_f16_f32_e32 v2, v17
	;; [unrolled: 1-line block ×8, first 2 shown]
	v_pack_b32_f16 v2, v0, v2
	v_pack_b32_f16 v3, v3, v4
	;; [unrolled: 1-line block ×4, first 2 shown]
	;;#ASMSTART
	s_nop 0
	;;#ASMEND
	buffer_store_dwordx4 v[2:5], v1, s[12:15], 16 offen
	;;#ASMSTART
	s_nop 0
	;;#ASMEND
	s_endpgm
	.section	.rodata,"a",@progbits
	.p2align	6, 0x0
	.amdhsa_kernel _ZN5aiter35fused_qk_rmsnorm_group_quant_kernelIDF16_DB8_Li512ELi16ELi8ELb0ELb0ELb0ELb0ELb0ELb0EEEvPT0_PvPT_S6_S6_PKS5_S8_S8_S8_S8_ffiiiiiiiiiiiii
		.amdhsa_group_segment_fixed_size 64
		.amdhsa_private_segment_fixed_size 0
		.amdhsa_kernarg_size 400
		.amdhsa_user_sgpr_count 6
		.amdhsa_user_sgpr_private_segment_buffer 1
		.amdhsa_user_sgpr_dispatch_ptr 0
		.amdhsa_user_sgpr_queue_ptr 0
		.amdhsa_user_sgpr_kernarg_segment_ptr 1
		.amdhsa_user_sgpr_dispatch_id 0
		.amdhsa_user_sgpr_flat_scratch_init 0
		.amdhsa_user_sgpr_kernarg_preload_length 0
		.amdhsa_user_sgpr_kernarg_preload_offset 0
		.amdhsa_user_sgpr_private_segment_size 0
		.amdhsa_uses_dynamic_stack 0
		.amdhsa_system_sgpr_private_segment_wavefront_offset 0
		.amdhsa_system_sgpr_workgroup_id_x 1
		.amdhsa_system_sgpr_workgroup_id_y 1
		.amdhsa_system_sgpr_workgroup_id_z 0
		.amdhsa_system_sgpr_workgroup_info 0
		.amdhsa_system_vgpr_workitem_id 0
		.amdhsa_next_free_vgpr 38
		.amdhsa_next_free_sgpr 32
		.amdhsa_accum_offset 40
		.amdhsa_reserve_vcc 1
		.amdhsa_reserve_flat_scratch 0
		.amdhsa_float_round_mode_32 0
		.amdhsa_float_round_mode_16_64 0
		.amdhsa_float_denorm_mode_32 3
		.amdhsa_float_denorm_mode_16_64 3
		.amdhsa_dx10_clamp 1
		.amdhsa_ieee_mode 1
		.amdhsa_fp16_overflow 0
		.amdhsa_tg_split 0
		.amdhsa_exception_fp_ieee_invalid_op 0
		.amdhsa_exception_fp_denorm_src 0
		.amdhsa_exception_fp_ieee_div_zero 0
		.amdhsa_exception_fp_ieee_overflow 0
		.amdhsa_exception_fp_ieee_underflow 0
		.amdhsa_exception_fp_ieee_inexact 0
		.amdhsa_exception_int_div_zero 0
	.end_amdhsa_kernel
	.section	.text._ZN5aiter35fused_qk_rmsnorm_group_quant_kernelIDF16_DB8_Li512ELi16ELi8ELb0ELb0ELb0ELb0ELb0ELb0EEEvPT0_PvPT_S6_S6_PKS5_S8_S8_S8_S8_ffiiiiiiiiiiiii,"axG",@progbits,_ZN5aiter35fused_qk_rmsnorm_group_quant_kernelIDF16_DB8_Li512ELi16ELi8ELb0ELb0ELb0ELb0ELb0ELb0EEEvPT0_PvPT_S6_S6_PKS5_S8_S8_S8_S8_ffiiiiiiiiiiiii,comdat
.Lfunc_end933:
	.size	_ZN5aiter35fused_qk_rmsnorm_group_quant_kernelIDF16_DB8_Li512ELi16ELi8ELb0ELb0ELb0ELb0ELb0ELb0EEEvPT0_PvPT_S6_S6_PKS5_S8_S8_S8_S8_ffiiiiiiiiiiiii, .Lfunc_end933-_ZN5aiter35fused_qk_rmsnorm_group_quant_kernelIDF16_DB8_Li512ELi16ELi8ELb0ELb0ELb0ELb0ELb0ELb0EEEvPT0_PvPT_S6_S6_PKS5_S8_S8_S8_S8_ffiiiiiiiiiiiii
                                        ; -- End function
	.section	.AMDGPU.csdata,"",@progbits
; Kernel info:
; codeLenInByte = 3456
; NumSgprs: 36
; NumVgprs: 38
; NumAgprs: 0
; TotalNumVgprs: 38
; ScratchSize: 0
; MemoryBound: 0
; FloatMode: 240
; IeeeMode: 1
; LDSByteSize: 64 bytes/workgroup (compile time only)
; SGPRBlocks: 4
; VGPRBlocks: 4
; NumSGPRsForWavesPerEU: 36
; NumVGPRsForWavesPerEU: 38
; AccumOffset: 40
; Occupancy: 8
; WaveLimiterHint : 0
; COMPUTE_PGM_RSRC2:SCRATCH_EN: 0
; COMPUTE_PGM_RSRC2:USER_SGPR: 6
; COMPUTE_PGM_RSRC2:TRAP_HANDLER: 0
; COMPUTE_PGM_RSRC2:TGID_X_EN: 1
; COMPUTE_PGM_RSRC2:TGID_Y_EN: 1
; COMPUTE_PGM_RSRC2:TGID_Z_EN: 0
; COMPUTE_PGM_RSRC2:TIDIG_COMP_CNT: 0
; COMPUTE_PGM_RSRC3_GFX90A:ACCUM_OFFSET: 9
; COMPUTE_PGM_RSRC3_GFX90A:TG_SPLIT: 0
	.section	.text._ZN5aiter35fused_qk_rmsnorm_group_quant_kernelItDB8_Li512ELi16ELi8ELb0ELb0ELb0ELb0ELb0ELb0EEEvPT0_PvPT_S6_S6_PKS5_S8_S8_S8_S8_ffiiiiiiiiiiiii,"axG",@progbits,_ZN5aiter35fused_qk_rmsnorm_group_quant_kernelItDB8_Li512ELi16ELi8ELb0ELb0ELb0ELb0ELb0ELb0EEEvPT0_PvPT_S6_S6_PKS5_S8_S8_S8_S8_ffiiiiiiiiiiiii,comdat
	.protected	_ZN5aiter35fused_qk_rmsnorm_group_quant_kernelItDB8_Li512ELi16ELi8ELb0ELb0ELb0ELb0ELb0ELb0EEEvPT0_PvPT_S6_S6_PKS5_S8_S8_S8_S8_ffiiiiiiiiiiiii ; -- Begin function _ZN5aiter35fused_qk_rmsnorm_group_quant_kernelItDB8_Li512ELi16ELi8ELb0ELb0ELb0ELb0ELb0ELb0EEEvPT0_PvPT_S6_S6_PKS5_S8_S8_S8_S8_ffiiiiiiiiiiiii
	.globl	_ZN5aiter35fused_qk_rmsnorm_group_quant_kernelItDB8_Li512ELi16ELi8ELb0ELb0ELb0ELb0ELb0ELb0EEEvPT0_PvPT_S6_S6_PKS5_S8_S8_S8_S8_ffiiiiiiiiiiiii
	.p2align	8
	.type	_ZN5aiter35fused_qk_rmsnorm_group_quant_kernelItDB8_Li512ELi16ELi8ELb0ELb0ELb0ELb0ELb0ELb0EEEvPT0_PvPT_S6_S6_PKS5_S8_S8_S8_S8_ffiiiiiiiiiiiii,@function
_ZN5aiter35fused_qk_rmsnorm_group_quant_kernelItDB8_Li512ELi16ELi8ELb0ELb0ELb0ELb0ELb0ELb0EEEvPT0_PvPT_S6_S6_PKS5_S8_S8_S8_S8_ffiiiiiiiiiiiii: ; @_ZN5aiter35fused_qk_rmsnorm_group_quant_kernelItDB8_Li512ELi16ELi8ELb0ELb0ELb0ELb0ELb0ELb0EEEvPT0_PvPT_S6_S6_PKS5_S8_S8_S8_S8_ffiiiiiiiiiiiii
; %bb.0:
	s_load_dwordx4 s[16:19], s[4:5], 0x50
	s_waitcnt lgkmcnt(0)
	s_cmp_ge_i32 s6, s18
	s_cbranch_scc1 .LBB934_12
; %bb.1:
	s_load_dwordx2 s[12:13], s[4:5], 0x48
	s_load_dwordx2 s[30:31], s[4:5], 0x30
	s_load_dwordx4 s[20:23], s[4:5], 0x60
	s_cmp_lg_u32 s7, 0
	s_cselect_b64 s[14:15], -1, 0
	s_cmp_eq_u32 s7, 0
	s_cselect_b64 vcc, -1, 0
	s_and_b64 s[0:1], vcc, exec
	s_waitcnt lgkmcnt(0)
	s_cselect_b32 s7, s19, s20
	s_add_i32 s0, s7, 1
	s_lshr_b32 s1, s0, 31
	s_add_i32 s0, s0, s1
	s_lshl_b32 s0, s0, 1
	v_lshlrev_b32_e32 v1, 4, v0
	s_and_b32 s10, s0, -4
	v_cmp_gt_i32_e64 s[2:3], s7, v1
	v_mov_b32_e32 v18, 0
	v_mov_b32_e32 v6, 0
	;; [unrolled: 1-line block ×17, first 2 shown]
	s_and_saveexec_b64 s[0:1], s[2:3]
	s_cbranch_execz .LBB934_3
; %bb.2:
	s_load_dwordx2 s[8:9], s[4:5], 0x28
	s_load_dwordx2 s[26:27], s[4:5], 0x40
	s_and_b64 s[24:25], vcc, exec
	s_cselect_b32 s11, s21, s22
	v_lshlrev_b32_e32 v19, 5, v0
	s_waitcnt lgkmcnt(0)
	s_cselect_b32 s18, s9, s31
	s_cselect_b32 s21, s8, s30
	s_mul_hi_i32 s9, s11, s6
	s_mul_i32 s8, s11, s6
	s_lshl_b64 s[8:9], s[8:9], 1
	s_add_u32 s24, s21, s8
	s_addc_u32 s18, s18, s9
	s_and_b64 s[8:9], vcc, exec
	s_mov_b32 s11, 0x20000
	s_cselect_b32 s8, s26, s12
	s_cselect_b32 s9, s27, s13
	s_and_b32 s25, s18, 0xffff
	s_mov_b32 s26, s10
	s_mov_b32 s27, s11
	s_and_b32 s9, s9, 0xffff
	buffer_load_dwordx4 v[14:17], v19, s[24:27], 0 offen
	buffer_load_dwordx4 v[10:13], v19, s[24:27], 16 offen
	;; [unrolled: 1-line block ×4, first 2 shown]
.LBB934_3:
	s_or_b64 exec, exec, s[0:1]
	v_mov_b32_e32 v19, 0
	v_mov_b32_e32 v32, 0
	;; [unrolled: 1-line block ×15, first 2 shown]
	s_and_saveexec_b64 s[0:1], s[2:3]
	s_cbranch_execz .LBB934_5
; %bb.4:
	s_waitcnt vmcnt(3)
	v_cvt_f32_u32_sdwa v18, v14 dst_sel:DWORD dst_unused:UNUSED_PAD src0_sel:WORD_0
	v_cvt_f32_u32_sdwa v19, v14 dst_sel:DWORD dst_unused:UNUSED_PAD src0_sel:WORD_1
	v_cvt_f32_u32_sdwa v32, v15 dst_sel:DWORD dst_unused:UNUSED_PAD src0_sel:WORD_0
	v_cvt_f32_u32_sdwa v33, v15 dst_sel:DWORD dst_unused:UNUSED_PAD src0_sel:WORD_1
	;; [unrolled: 2-line block ×4, first 2 shown]
	s_waitcnt vmcnt(2)
	v_cvt_f32_u32_sdwa v30, v10 dst_sel:DWORD dst_unused:UNUSED_PAD src0_sel:WORD_0
	v_cvt_f32_u32_sdwa v31, v10 dst_sel:DWORD dst_unused:UNUSED_PAD src0_sel:WORD_1
	v_cvt_f32_u32_sdwa v28, v11 dst_sel:DWORD dst_unused:UNUSED_PAD src0_sel:WORD_0
	v_cvt_f32_u32_sdwa v29, v11 dst_sel:DWORD dst_unused:UNUSED_PAD src0_sel:WORD_1
	;; [unrolled: 2-line block ×4, first 2 shown]
.LBB934_5:
	s_or_b64 exec, exec, s[0:1]
	s_waitcnt vmcnt(2)
	v_mul_f32_e32 v10, v19, v19
	v_fmac_f32_e32 v10, v18, v18
	v_fmac_f32_e32 v10, v32, v32
	;; [unrolled: 1-line block ×15, first 2 shown]
	v_and_b32_e32 v12, 63, v0
	v_cmp_eq_u32_e64 s[0:1], 63, v12
	v_mov_b32_dpp v11, v10 quad_perm:[1,0,3,2] row_mask:0xf bank_mask:0xf
	v_add_f32_e32 v10, v10, v11
	s_nop 1
	v_mov_b32_dpp v11, v10 quad_perm:[2,3,0,1] row_mask:0xf bank_mask:0xf
	v_add_f32_e32 v10, v10, v11
	s_nop 1
	v_mov_b32_dpp v11, v10 row_half_mirror row_mask:0xf bank_mask:0xf
	v_add_f32_e32 v10, v10, v11
	s_nop 1
	v_mov_b32_dpp v11, v10 row_mirror row_mask:0xf bank_mask:0xf
	v_add_f32_e32 v10, v10, v11
	s_nop 1
	v_mov_b32_dpp v11, v10 row_bcast:15 row_mask:0xf bank_mask:0xf
	v_add_f32_e32 v10, v10, v11
	s_nop 1
	v_mov_b32_dpp v11, v10 row_bcast:31 row_mask:0xf bank_mask:0xf
	s_and_saveexec_b64 s[8:9], s[0:1]
	s_cbranch_execz .LBB934_7
; %bb.6:
	v_add_f32_e32 v10, v10, v11
	v_lshrrev_b32_e32 v11, 4, v0
	v_and_b32_e32 v11, 60, v11
	ds_write_b32 v11, v10 offset:32
.LBB934_7:
	s_or_b64 exec, exec, s[8:9]
	v_and_b32_e32 v10, 7, v0
	v_lshlrev_b32_e32 v34, 2, v10
	s_waitcnt lgkmcnt(0)
	s_barrier
	ds_read_b32 v11, v34 offset:32
	s_load_dwordx2 s[28:29], s[4:5], 0x18
	s_waitcnt lgkmcnt(0)
	v_mov_b32_dpp v12, v11 quad_perm:[1,0,3,2] row_mask:0xf bank_mask:0xf
	v_add_f32_e32 v11, v11, v12
	s_nop 1
	v_mov_b32_dpp v12, v11 quad_perm:[2,3,0,1] row_mask:0xf bank_mask:0xf
	v_add_f32_e32 v11, v11, v12
	s_nop 1
	v_mov_b32_dpp v12, v11 row_half_mirror row_mask:0xf bank_mask:0xf
	s_and_saveexec_b64 s[8:9], s[2:3]
	s_cbranch_execz .LBB934_9
; %bb.8:
	v_cvt_f32_u32_e32 v13, s7
	v_add_f32_e32 v11, v11, v12
	v_mov_b32_e32 v15, s17
	v_mov_b32_e32 v16, s16
	v_div_scale_f32 v12, s[24:25], v13, v13, v11
	v_rcp_f32_e32 v14, v12
	v_cndmask_b32_e32 v15, v15, v16, vcc
	s_mov_b32 s7, 0x800000
	s_waitcnt vmcnt(1)
	v_cvt_f32_u32_sdwa v37, v9 dst_sel:DWORD dst_unused:UNUSED_PAD src0_sel:WORD_1
	v_fma_f32 v16, -v12, v14, 1.0
	v_fmac_f32_e32 v14, v16, v14
	v_div_scale_f32 v16, vcc, v11, v13, v11
	v_mul_f32_e32 v17, v16, v14
	v_fma_f32 v35, -v12, v17, v16
	v_fmac_f32_e32 v17, v35, v14
	v_fma_f32 v12, -v12, v17, v16
	v_div_fmas_f32 v12, v12, v14, v17
	v_div_fixup_f32 v11, v12, v13, v11
	v_add_f32_e32 v11, v15, v11
	v_mul_f32_e32 v12, 0x4b800000, v11
	v_cmp_gt_f32_e32 vcc, s7, v11
	v_cndmask_b32_e32 v11, v11, v12, vcc
	v_rsq_f32_e32 v11, v11
	v_cvt_f32_u32_sdwa v36, v9 dst_sel:DWORD dst_unused:UNUSED_PAD src0_sel:WORD_0
	s_waitcnt vmcnt(0)
	v_cvt_f32_u32_sdwa v9, v3 dst_sel:DWORD dst_unused:UNUSED_PAD src0_sel:WORD_1
	v_mul_f32_e32 v12, 0x45800000, v11
	v_cndmask_b32_e32 v12, v11, v12, vcc
	v_mov_b32_e32 v13, v12
	;;#ASMSTART
	v_pk_mul_f32 v[14:15], v[18:19], v[12:13]
	;;#ASMEND
	;;#ASMSTART
	v_pk_mul_f32 v[16:17], v[32:33], v[12:13]
	;;#ASMEND
	;; [unrolled: 3-line block ×8, first 2 shown]
	v_cvt_f32_u32_sdwa v19, v6 dst_sel:DWORD dst_unused:UNUSED_PAD src0_sel:WORD_1
	v_cvt_f32_u32_sdwa v18, v6 dst_sel:DWORD dst_unused:UNUSED_PAD src0_sel:WORD_0
	v_cvt_f32_u32_sdwa v21, v7 dst_sel:DWORD dst_unused:UNUSED_PAD src0_sel:WORD_1
	v_cvt_f32_u32_sdwa v20, v7 dst_sel:DWORD dst_unused:UNUSED_PAD src0_sel:WORD_0
	;; [unrolled: 2-line block ×3, first 2 shown]
	;;#ASMSTART
	v_pk_mul_f32 v[18:19], v[14:15], v[18:19]
	;;#ASMEND
	;;#ASMSTART
	v_pk_mul_f32 v[32:33], v[16:17], v[20:21]
	;;#ASMEND
	;; [unrolled: 3-line block ×4, first 2 shown]
	v_cvt_f32_u32_sdwa v7, v2 dst_sel:DWORD dst_unused:UNUSED_PAD src0_sel:WORD_1
	v_cvt_f32_u32_sdwa v6, v2 dst_sel:DWORD dst_unused:UNUSED_PAD src0_sel:WORD_0
	v_cvt_f32_u32_sdwa v8, v3 dst_sel:DWORD dst_unused:UNUSED_PAD src0_sel:WORD_0
	v_cvt_f32_u32_sdwa v3, v4 dst_sel:DWORD dst_unused:UNUSED_PAD src0_sel:WORD_1
	v_cvt_f32_u32_sdwa v2, v4 dst_sel:DWORD dst_unused:UNUSED_PAD src0_sel:WORD_0
	v_cvt_f32_u32_sdwa v15, v5 dst_sel:DWORD dst_unused:UNUSED_PAD src0_sel:WORD_1
	v_cvt_f32_u32_sdwa v14, v5 dst_sel:DWORD dst_unused:UNUSED_PAD src0_sel:WORD_0
	;;#ASMSTART
	v_pk_mul_f32 v[30:31], v[30:31], v[6:7]
	;;#ASMEND
	;;#ASMSTART
	v_pk_mul_f32 v[28:29], v[28:29], v[8:9]
	;;#ASMEND
	;; [unrolled: 3-line block ×4, first 2 shown]
.LBB934_9:
	s_or_b64 exec, exec, s[8:9]
	s_load_dword s7, s[4:5], 0x80
	s_mov_b64 s[8:9], -1
	s_and_b64 vcc, exec, s[14:15]
	s_cbranch_vccnz .LBB934_13
; %bb.10:
	s_andn2_b64 vcc, exec, s[8:9]
	s_cbranch_vccz .LBB934_16
.LBB934_11:
	s_cmp_lt_i32 s20, 1
	s_cbranch_scc0 .LBB934_23
.LBB934_12:
	s_endpgm
.LBB934_13:
	s_and_saveexec_b64 s[14:15], s[2:3]
	s_cbranch_execz .LBB934_15
; %bb.14:
	s_waitcnt lgkmcnt(0)
	s_mul_hi_i32 s9, s7, s6
	s_mul_i32 s8, s7, s6
	s_lshl_b64 s[8:9], s[8:9], 1
	s_add_u32 s8, s28, s8
	s_addc_u32 s9, s29, s9
	s_mov_b32 s16, 0x7060302
	s_and_b32 s9, s9, 0xffff
	s_mov_b32 s11, 0x20000
	s_waitcnt vmcnt(0)
	v_perm_b32 v5, v25, v24, s16
	v_perm_b32 v4, v27, v26, s16
	;; [unrolled: 1-line block ×4, first 2 shown]
	v_lshlrev_b32_e32 v6, 5, v0
	buffer_store_dwordx4 v[2:5], v6, s[8:11], 0 offen
	;;#ASMSTART
	s_nop 0
	;;#ASMEND
	s_nop 0
	v_perm_b32 v5, v21, v20, s16
	v_perm_b32 v4, v23, v22, s16
	;; [unrolled: 1-line block ×4, first 2 shown]
	buffer_store_dwordx4 v[2:5], v6, s[8:11], 16 offen
	;;#ASMSTART
	s_nop 0
	;;#ASMEND
.LBB934_15:
	s_or_b64 exec, exec, s[14:15]
	s_cbranch_execnz .LBB934_11
.LBB934_16:
	s_waitcnt vmcnt(0)
	v_mov_b32_e32 v2, 0
	s_and_saveexec_b64 s[8:9], s[2:3]
	s_cbranch_execz .LBB934_18
; %bb.17:
	v_and_b32_e32 v2, 0x7fffffff, v18
	v_and_b32_e32 v3, 0x7fffffff, v19
	v_mov_b32_e32 v4, 0x2edbe6ff
	;;#ASMSTART
	v_max3_f32 v2, v4, v2, v3

	;;#ASMEND
	v_and_b32_e32 v3, 0x7fffffff, v32
	v_and_b32_e32 v4, 0x7fffffff, v33
	;;#ASMSTART
	v_max3_f32 v2, v2, v3, v4

	;;#ASMEND
	v_and_b32_e32 v3, 0x7fffffff, v26
	v_and_b32_e32 v4, 0x7fffffff, v27
	;; [unrolled: 6-line block ×7, first 2 shown]
	;;#ASMSTART
	v_max3_f32 v2, v2, v3, v4

	;;#ASMEND
.LBB934_18:
	s_or_b64 exec, exec, s[8:9]
	s_load_dwordx4 s[24:27], s[4:5], 0x70
	;;#ASMSTART
	v_max_f32 v3, v2, v2 quad_perm:[1,0,3,2] row_mask:0xf bank_mask:0xf bound_ctrl:1
	;;#ASMEND
	;;#ASMSTART
	v_max_f32 v2, v3, v3 quad_perm:[2,3,0,1] row_mask:0xf bank_mask:0xf bound_ctrl:1
	;;#ASMEND
	v_cmp_eq_u32_e32 vcc, 0, v10
	v_cmp_gt_i32_e64 s[8:9], s19, v1
	;;#ASMSTART
	v_max_f32 v3, v2, v2 row_half_mirror row_mask:0xf bank_mask:0xf bound_ctrl:1
	;;#ASMEND
	v_mul_f32_e32 v2, 0x3b124925, v3
	s_and_b64 s[10:11], vcc, s[8:9]
	s_and_saveexec_b64 s[8:9], s[10:11]
	s_cbranch_execz .LBB934_20
; %bb.19:
	s_load_dwordx2 s[10:11], s[4:5], 0x8
	s_waitcnt lgkmcnt(0)
	s_mul_hi_i32 s15, s25, s6
	s_mul_i32 s14, s25, s6
	v_lshrrev_b32_e32 v3, 3, v0
	s_lshl_b64 s[14:15], s[14:15], 2
	v_mad_i64_i32 v[4:5], s[26:27], s26, v3, 0
	s_add_u32 s10, s10, s14
	s_addc_u32 s11, s11, s15
	v_lshlrev_b64 v[4:5], 2, v[4:5]
	v_mov_b32_e32 v3, s11
	v_add_co_u32_e32 v4, vcc, s10, v4
	v_addc_co_u32_e32 v5, vcc, v3, v5, vcc
	global_store_dword v[4:5], v2, off
.LBB934_20:
	s_or_b64 exec, exec, s[8:9]
	;;#ASMSTART
	v_rcp_f32 v2, v2
	;;#ASMEND
	s_and_saveexec_b64 s[14:15], s[2:3]
	s_cbranch_execz .LBB934_22
; %bb.21:
	s_load_dwordx2 s[2:3], s[4:5], 0x0
	s_waitcnt lgkmcnt(0)
	s_mul_i32 s8, s24, s6
	s_mul_hi_i32 s9, s24, s6
	v_mov_b32_e32 v3, v2
	;;#ASMSTART
	v_pk_mul_f32 v[4:5], v[18:19], v[2:3]
	;;#ASMEND
	s_add_u32 s8, s2, s8
	s_addc_u32 s2, s3, s9
	s_add_i32 s3, s19, 3
	s_ashr_i32 s10, s3, 31
	v_mov_b32_e32 v10, 0xc3e00000
	v_mov_b32_e32 v11, 0x43e00000
	;;#ASMSTART
	v_med3_f32 v4, v4, v10, v11
v_med3_f32 v5, v5, v10, v11
v_cvt_pk_fp8_f32 v6, v4, v5
	;;#ASMEND
	s_and_b32 s9, s2, 0xffff
	s_lshr_b32 s2, s10, 30
	;;#ASMSTART
	v_pk_mul_f32 v[4:5], v[32:33], v[2:3]
	;;#ASMEND
	s_add_i32 s3, s3, s2
	;;#ASMSTART
	v_med3_f32 v4, v4, v10, v11
v_med3_f32 v5, v5, v10, v11
v_cvt_pk_fp8_f32 v7, v4, v5
	;;#ASMEND
	s_mov_b32 s2, 0x5040100
	v_perm_b32 v4, v7, v6, s2
	s_mov_b32 s2, 0x1060504
	v_perm_b32 v4, v4, v7, s2
	;;#ASMSTART
	v_pk_mul_f32 v[6:7], v[26:27], v[2:3]
	;;#ASMEND
	v_mov_b32_e32 v5, v7
	;;#ASMSTART
	v_med3_f32 v6, v6, v10, v11
v_med3_f32 v5, v5, v10, v11
v_cvt_pk_fp8_f32 v8, v6, v5
	;;#ASMEND
	;;#ASMSTART
	v_pk_mul_f32 v[6:7], v[24:25], v[2:3]
	;;#ASMEND
	v_mov_b32_e32 v5, v7
	;;#ASMSTART
	v_med3_f32 v6, v6, v10, v11
v_med3_f32 v5, v5, v10, v11
v_cvt_pk_fp8_f32 v7, v6, v5
	;;#ASMEND
	s_mov_b32 s2, 0x1000504
	v_perm_b32 v5, v8, v7, s2
	;;#ASMSTART
	v_pk_mul_f32 v[6:7], v[30:31], v[2:3]
	;;#ASMEND
	;;#ASMSTART
	v_med3_f32 v6, v6, v10, v11
v_med3_f32 v7, v7, v10, v11
v_cvt_pk_fp8_f32 v8, v6, v7
	;;#ASMEND
	;;#ASMSTART
	v_pk_mul_f32 v[6:7], v[28:29], v[2:3]
	;;#ASMEND
	;;#ASMSTART
	v_med3_f32 v6, v6, v10, v11
v_med3_f32 v7, v7, v10, v11
v_cvt_pk_fp8_f32 v9, v6, v7
	;;#ASMEND
	v_perm_b32 v6, v8, v9, s2
	;;#ASMSTART
	v_pk_mul_f32 v[8:9], v[22:23], v[2:3]
	;;#ASMEND
	v_mov_b32_e32 v7, v9
	;;#ASMSTART
	v_med3_f32 v8, v8, v10, v11
v_med3_f32 v7, v7, v10, v11
v_cvt_pk_fp8_f32 v9, v8, v7
	;;#ASMEND
	;;#ASMSTART
	v_pk_mul_f32 v[2:3], v[20:21], v[2:3]
	;;#ASMEND
	;;#ASMSTART
	v_med3_f32 v2, v2, v10, v11
v_med3_f32 v3, v3, v10, v11
v_cvt_pk_fp8_f32 v7, v2, v3
	;;#ASMEND
	s_and_b32 s10, s3, -4
	s_mov_b32 s11, 0x20000
	v_perm_b32 v7, v9, v7, s2
	buffer_store_dwordx4 v[4:7], v1, s[8:11], 0 offen
	;;#ASMSTART
	s_nop 0
	;;#ASMEND
.LBB934_22:
	s_or_b64 exec, exec, s[14:15]
	s_cmp_lt_i32 s20, 1
	s_cbranch_scc1 .LBB934_12
.LBB934_23:
	s_load_dword s2, s[4:5], 0x94
	s_waitcnt lgkmcnt(0)
	s_cmp_lg_u32 s2, 1
	s_cbranch_scc1 .LBB934_12
; %bb.24:
	s_lshl_b32 s2, s20, 1
	s_add_i32 s2, s2, 2
	v_cmp_gt_u32_e32 vcc, s20, v1
	s_and_b32 s14, s2, -4
	v_mov_b32_e32 v18, 0
	v_lshlrev_b32_e32 v1, 5, v0
	v_mov_b32_e32 v14, 0
	v_mov_b32_e32 v15, 0
	;; [unrolled: 1-line block ×8, first 2 shown]
	s_waitcnt vmcnt(1)
	v_mov_b32_e32 v6, 0
	v_mov_b32_e32 v7, 0
	v_mov_b32_e32 v8, 0
	v_mov_b32_e32 v9, 0
	s_waitcnt vmcnt(0)
	v_mov_b32_e32 v2, 0
	v_mov_b32_e32 v3, 0
	;; [unrolled: 1-line block ×4, first 2 shown]
	s_barrier
	s_and_saveexec_b64 s[2:3], vcc
	s_cbranch_execz .LBB934_26
; %bb.25:
	s_mul_hi_i32 s5, s22, s6
	s_mul_i32 s4, s22, s6
	s_and_b32 s13, s13, 0xffff
	s_lshl_b64 s[4:5], s[4:5], 1
	s_add_u32 s8, s30, s4
	s_mov_b32 s15, 0x20000
	s_addc_u32 s4, s31, s5
	s_and_b32 s9, s4, 0xffff
	s_mov_b32 s10, s14
	s_mov_b32 s11, s15
	buffer_load_dwordx4 v[14:17], v1, s[8:11], 0 offen
	buffer_load_dwordx4 v[10:13], v1, s[8:11], 16 offen
	;; [unrolled: 1-line block ×4, first 2 shown]
.LBB934_26:
	s_or_b64 exec, exec, s[2:3]
	v_mov_b32_e32 v19, 0
	v_mov_b32_e32 v32, 0
	;; [unrolled: 1-line block ×15, first 2 shown]
	s_and_saveexec_b64 s[2:3], vcc
	s_cbranch_execz .LBB934_28
; %bb.27:
	s_waitcnt vmcnt(3)
	v_cvt_f32_u32_sdwa v18, v14 dst_sel:DWORD dst_unused:UNUSED_PAD src0_sel:WORD_0
	v_cvt_f32_u32_sdwa v19, v14 dst_sel:DWORD dst_unused:UNUSED_PAD src0_sel:WORD_1
	v_cvt_f32_u32_sdwa v32, v15 dst_sel:DWORD dst_unused:UNUSED_PAD src0_sel:WORD_0
	v_cvt_f32_u32_sdwa v33, v15 dst_sel:DWORD dst_unused:UNUSED_PAD src0_sel:WORD_1
	;; [unrolled: 2-line block ×4, first 2 shown]
	s_waitcnt vmcnt(2)
	v_cvt_f32_u32_sdwa v26, v10 dst_sel:DWORD dst_unused:UNUSED_PAD src0_sel:WORD_0
	v_cvt_f32_u32_sdwa v27, v10 dst_sel:DWORD dst_unused:UNUSED_PAD src0_sel:WORD_1
	v_cvt_f32_u32_sdwa v24, v11 dst_sel:DWORD dst_unused:UNUSED_PAD src0_sel:WORD_0
	v_cvt_f32_u32_sdwa v25, v11 dst_sel:DWORD dst_unused:UNUSED_PAD src0_sel:WORD_1
	;; [unrolled: 2-line block ×4, first 2 shown]
.LBB934_28:
	s_or_b64 exec, exec, s[2:3]
	s_waitcnt vmcnt(2)
	v_mul_f32_e32 v10, v19, v19
	v_fmac_f32_e32 v10, v18, v18
	v_fmac_f32_e32 v10, v32, v32
	;; [unrolled: 1-line block ×15, first 2 shown]
	s_nop 1
	v_mov_b32_dpp v11, v10 quad_perm:[1,0,3,2] row_mask:0xf bank_mask:0xf
	v_add_f32_e32 v10, v10, v11
	s_nop 1
	v_mov_b32_dpp v11, v10 quad_perm:[2,3,0,1] row_mask:0xf bank_mask:0xf
	v_add_f32_e32 v10, v10, v11
	s_nop 1
	v_mov_b32_dpp v11, v10 row_half_mirror row_mask:0xf bank_mask:0xf
	v_add_f32_e32 v10, v10, v11
	s_nop 1
	v_mov_b32_dpp v11, v10 row_mirror row_mask:0xf bank_mask:0xf
	v_add_f32_e32 v10, v10, v11
	s_nop 1
	v_mov_b32_dpp v11, v10 row_bcast:15 row_mask:0xf bank_mask:0xf
	v_add_f32_e32 v10, v10, v11
	s_nop 1
	v_mov_b32_dpp v11, v10 row_bcast:31 row_mask:0xf bank_mask:0xf
	s_and_saveexec_b64 s[2:3], s[0:1]
	s_cbranch_execz .LBB934_30
; %bb.29:
	v_lshrrev_b32_e32 v0, 4, v0
	v_add_f32_e32 v10, v10, v11
	v_and_b32_e32 v0, 60, v0
	ds_write_b32 v0, v10
.LBB934_30:
	s_or_b64 exec, exec, s[2:3]
	s_waitcnt lgkmcnt(0)
	s_barrier
	ds_read_b32 v0, v34
	s_waitcnt lgkmcnt(0)
	s_nop 0
	v_mov_b32_dpp v10, v0 quad_perm:[1,0,3,2] row_mask:0xf bank_mask:0xf
	v_add_f32_e32 v0, v0, v10
	s_nop 1
	v_mov_b32_dpp v10, v0 quad_perm:[2,3,0,1] row_mask:0xf bank_mask:0xf
	v_add_f32_e32 v0, v0, v10
	s_nop 1
	v_mov_b32_dpp v10, v0 row_half_mirror row_mask:0xf bank_mask:0xf
	s_and_saveexec_b64 s[0:1], vcc
	s_cbranch_execz .LBB934_12
; %bb.31:
	v_cvt_f32_u32_e32 v11, s20
	v_add_f32_e32 v0, v0, v10
	s_mov_b32 s15, 0x20000
	v_div_scale_f32 v10, s[0:1], v11, v11, v0
	v_rcp_f32_e32 v12, v10
	v_div_scale_f32 v13, vcc, v0, v11, v0
	s_mov_b32 s0, 0x800000
	v_fma_f32 v14, -v10, v12, 1.0
	v_fmac_f32_e32 v12, v14, v12
	v_mul_f32_e32 v14, v13, v12
	v_fma_f32 v15, -v10, v14, v13
	v_fmac_f32_e32 v14, v15, v12
	v_fma_f32 v10, -v10, v14, v13
	v_div_fmas_f32 v10, v10, v12, v14
	v_div_fixup_f32 v0, v10, v11, v0
	v_add_f32_e32 v0, s17, v0
	v_mul_f32_e32 v10, 0x4b800000, v0
	v_cmp_gt_f32_e32 vcc, s0, v0
	v_cndmask_b32_e32 v0, v0, v10, vcc
	v_rsq_f32_e32 v0, v0
	s_mul_hi_i32 s1, s7, s6
	s_mul_i32 s0, s7, s6
	s_lshl_b64 s[0:1], s[0:1], 1
	v_mul_f32_e32 v10, 0x45800000, v0
	v_cndmask_b32_e32 v10, v0, v10, vcc
	v_mov_b32_e32 v11, v10
	s_add_u32 s12, s28, s0
	;;#ASMSTART
	v_pk_mul_f32 v[12:13], v[18:19], v[10:11]
	;;#ASMEND
	;;#ASMSTART
	v_pk_mul_f32 v[14:15], v[32:33], v[10:11]
	;;#ASMEND
	;; [unrolled: 3-line block ×8, first 2 shown]
	s_waitcnt vmcnt(1)
	v_cvt_f32_u32_sdwa v21, v6 dst_sel:DWORD dst_unused:UNUSED_PAD src0_sel:WORD_1
	v_cvt_f32_u32_sdwa v20, v6 dst_sel:DWORD dst_unused:UNUSED_PAD src0_sel:WORD_0
	v_cvt_f32_u32_sdwa v29, v7 dst_sel:DWORD dst_unused:UNUSED_PAD src0_sel:WORD_1
	v_cvt_f32_u32_sdwa v28, v7 dst_sel:DWORD dst_unused:UNUSED_PAD src0_sel:WORD_0
	;; [unrolled: 2-line block ×3, first 2 shown]
	s_addc_u32 s0, s29, s1
	v_cvt_f32_u32_sdwa v31, v9 dst_sel:DWORD dst_unused:UNUSED_PAD src0_sel:WORD_1
	v_cvt_f32_u32_sdwa v30, v9 dst_sel:DWORD dst_unused:UNUSED_PAD src0_sel:WORD_0
	;;#ASMSTART
	v_pk_mul_f32 v[8:9], v[12:13], v[20:21]
	;;#ASMEND
	;;#ASMSTART
	v_pk_mul_f32 v[12:13], v[14:15], v[28:29]
	;;#ASMEND
	;; [unrolled: 3-line block ×4, first 2 shown]
	s_waitcnt vmcnt(0)
	v_cvt_f32_u32_sdwa v17, v2 dst_sel:DWORD dst_unused:UNUSED_PAD src0_sel:WORD_1
	v_cvt_f32_u32_sdwa v16, v2 dst_sel:DWORD dst_unused:UNUSED_PAD src0_sel:WORD_0
	v_cvt_f32_u32_sdwa v19, v3 dst_sel:DWORD dst_unused:UNUSED_PAD src0_sel:WORD_1
	v_cvt_f32_u32_sdwa v18, v3 dst_sel:DWORD dst_unused:UNUSED_PAD src0_sel:WORD_0
	;; [unrolled: 2-line block ×3, first 2 shown]
	s_and_b32 s13, s0, 0xffff
	s_mov_b32 s0, 0x7060302
	v_cvt_f32_u32_sdwa v21, v5 dst_sel:DWORD dst_unused:UNUSED_PAD src0_sel:WORD_1
	v_cvt_f32_u32_sdwa v20, v5 dst_sel:DWORD dst_unused:UNUSED_PAD src0_sel:WORD_0
	;;#ASMSTART
	v_pk_mul_f32 v[16:17], v[26:27], v[16:17]
	;;#ASMEND
	;;#ASMSTART
	v_pk_mul_f32 v[18:19], v[24:25], v[18:19]
	;;#ASMEND
	;; [unrolled: 3-line block ×3, first 2 shown]
	v_perm_b32 v2, v9, v8, s0
	v_perm_b32 v3, v13, v12, s0
	;; [unrolled: 1-line block ×4, first 2 shown]
	;;#ASMSTART
	v_pk_mul_f32 v[10:11], v[10:11], v[20:21]
	;;#ASMEND
	buffer_store_dwordx4 v[2:5], v1, s[12:15], 0 offen
	;;#ASMSTART
	s_nop 0
	;;#ASMEND
	s_nop 0
	v_perm_b32 v2, v17, v16, s0
	v_perm_b32 v3, v19, v18, s0
	v_perm_b32 v4, v23, v22, s0
	v_perm_b32 v5, v11, v10, s0
	buffer_store_dwordx4 v[2:5], v1, s[12:15], 16 offen
	;;#ASMSTART
	s_nop 0
	;;#ASMEND
	s_endpgm
	.section	.rodata,"a",@progbits
	.p2align	6, 0x0
	.amdhsa_kernel _ZN5aiter35fused_qk_rmsnorm_group_quant_kernelItDB8_Li512ELi16ELi8ELb0ELb0ELb0ELb0ELb0ELb0EEEvPT0_PvPT_S6_S6_PKS5_S8_S8_S8_S8_ffiiiiiiiiiiiii
		.amdhsa_group_segment_fixed_size 64
		.amdhsa_private_segment_fixed_size 0
		.amdhsa_kernarg_size 400
		.amdhsa_user_sgpr_count 6
		.amdhsa_user_sgpr_private_segment_buffer 1
		.amdhsa_user_sgpr_dispatch_ptr 0
		.amdhsa_user_sgpr_queue_ptr 0
		.amdhsa_user_sgpr_kernarg_segment_ptr 1
		.amdhsa_user_sgpr_dispatch_id 0
		.amdhsa_user_sgpr_flat_scratch_init 0
		.amdhsa_user_sgpr_kernarg_preload_length 0
		.amdhsa_user_sgpr_kernarg_preload_offset 0
		.amdhsa_user_sgpr_private_segment_size 0
		.amdhsa_uses_dynamic_stack 0
		.amdhsa_system_sgpr_private_segment_wavefront_offset 0
		.amdhsa_system_sgpr_workgroup_id_x 1
		.amdhsa_system_sgpr_workgroup_id_y 1
		.amdhsa_system_sgpr_workgroup_id_z 0
		.amdhsa_system_sgpr_workgroup_info 0
		.amdhsa_system_vgpr_workitem_id 0
		.amdhsa_next_free_vgpr 38
		.amdhsa_next_free_sgpr 32
		.amdhsa_accum_offset 40
		.amdhsa_reserve_vcc 1
		.amdhsa_reserve_flat_scratch 0
		.amdhsa_float_round_mode_32 0
		.amdhsa_float_round_mode_16_64 0
		.amdhsa_float_denorm_mode_32 3
		.amdhsa_float_denorm_mode_16_64 3
		.amdhsa_dx10_clamp 1
		.amdhsa_ieee_mode 1
		.amdhsa_fp16_overflow 0
		.amdhsa_tg_split 0
		.amdhsa_exception_fp_ieee_invalid_op 0
		.amdhsa_exception_fp_denorm_src 0
		.amdhsa_exception_fp_ieee_div_zero 0
		.amdhsa_exception_fp_ieee_overflow 0
		.amdhsa_exception_fp_ieee_underflow 0
		.amdhsa_exception_fp_ieee_inexact 0
		.amdhsa_exception_int_div_zero 0
	.end_amdhsa_kernel
	.section	.text._ZN5aiter35fused_qk_rmsnorm_group_quant_kernelItDB8_Li512ELi16ELi8ELb0ELb0ELb0ELb0ELb0ELb0EEEvPT0_PvPT_S6_S6_PKS5_S8_S8_S8_S8_ffiiiiiiiiiiiii,"axG",@progbits,_ZN5aiter35fused_qk_rmsnorm_group_quant_kernelItDB8_Li512ELi16ELi8ELb0ELb0ELb0ELb0ELb0ELb0EEEvPT0_PvPT_S6_S6_PKS5_S8_S8_S8_S8_ffiiiiiiiiiiiii,comdat
.Lfunc_end934:
	.size	_ZN5aiter35fused_qk_rmsnorm_group_quant_kernelItDB8_Li512ELi16ELi8ELb0ELb0ELb0ELb0ELb0ELb0EEEvPT0_PvPT_S6_S6_PKS5_S8_S8_S8_S8_ffiiiiiiiiiiiii, .Lfunc_end934-_ZN5aiter35fused_qk_rmsnorm_group_quant_kernelItDB8_Li512ELi16ELi8ELb0ELb0ELb0ELb0ELb0ELb0EEEvPT0_PvPT_S6_S6_PKS5_S8_S8_S8_S8_ffiiiiiiiiiiiii
                                        ; -- End function
	.section	.AMDGPU.csdata,"",@progbits
; Kernel info:
; codeLenInByte = 3480
; NumSgprs: 36
; NumVgprs: 38
; NumAgprs: 0
; TotalNumVgprs: 38
; ScratchSize: 0
; MemoryBound: 0
; FloatMode: 240
; IeeeMode: 1
; LDSByteSize: 64 bytes/workgroup (compile time only)
; SGPRBlocks: 4
; VGPRBlocks: 4
; NumSGPRsForWavesPerEU: 36
; NumVGPRsForWavesPerEU: 38
; AccumOffset: 40
; Occupancy: 8
; WaveLimiterHint : 0
; COMPUTE_PGM_RSRC2:SCRATCH_EN: 0
; COMPUTE_PGM_RSRC2:USER_SGPR: 6
; COMPUTE_PGM_RSRC2:TRAP_HANDLER: 0
; COMPUTE_PGM_RSRC2:TGID_X_EN: 1
; COMPUTE_PGM_RSRC2:TGID_Y_EN: 1
; COMPUTE_PGM_RSRC2:TGID_Z_EN: 0
; COMPUTE_PGM_RSRC2:TIDIG_COMP_CNT: 0
; COMPUTE_PGM_RSRC3_GFX90A:ACCUM_OFFSET: 9
; COMPUTE_PGM_RSRC3_GFX90A:TG_SPLIT: 0
	.section	.text._ZN5aiter35fused_qk_rmsnorm_group_quant_kernelIDF16_N4opus5fp4_tELi512ELi16ELi8ELb0ELb0ELb0ELb0ELb0ELb0EEEvPT0_PvPT_S7_S7_PKS6_S9_S9_S9_S9_ffiiiiiiiiiiiii,"axG",@progbits,_ZN5aiter35fused_qk_rmsnorm_group_quant_kernelIDF16_N4opus5fp4_tELi512ELi16ELi8ELb0ELb0ELb0ELb0ELb0ELb0EEEvPT0_PvPT_S7_S7_PKS6_S9_S9_S9_S9_ffiiiiiiiiiiiii,comdat
	.protected	_ZN5aiter35fused_qk_rmsnorm_group_quant_kernelIDF16_N4opus5fp4_tELi512ELi16ELi8ELb0ELb0ELb0ELb0ELb0ELb0EEEvPT0_PvPT_S7_S7_PKS6_S9_S9_S9_S9_ffiiiiiiiiiiiii ; -- Begin function _ZN5aiter35fused_qk_rmsnorm_group_quant_kernelIDF16_N4opus5fp4_tELi512ELi16ELi8ELb0ELb0ELb0ELb0ELb0ELb0EEEvPT0_PvPT_S7_S7_PKS6_S9_S9_S9_S9_ffiiiiiiiiiiiii
	.globl	_ZN5aiter35fused_qk_rmsnorm_group_quant_kernelIDF16_N4opus5fp4_tELi512ELi16ELi8ELb0ELb0ELb0ELb0ELb0ELb0EEEvPT0_PvPT_S7_S7_PKS6_S9_S9_S9_S9_ffiiiiiiiiiiiii
	.p2align	8
	.type	_ZN5aiter35fused_qk_rmsnorm_group_quant_kernelIDF16_N4opus5fp4_tELi512ELi16ELi8ELb0ELb0ELb0ELb0ELb0ELb0EEEvPT0_PvPT_S7_S7_PKS6_S9_S9_S9_S9_ffiiiiiiiiiiiii,@function
_ZN5aiter35fused_qk_rmsnorm_group_quant_kernelIDF16_N4opus5fp4_tELi512ELi16ELi8ELb0ELb0ELb0ELb0ELb0ELb0EEEvPT0_PvPT_S7_S7_PKS6_S9_S9_S9_S9_ffiiiiiiiiiiiii: ; @_ZN5aiter35fused_qk_rmsnorm_group_quant_kernelIDF16_N4opus5fp4_tELi512ELi16ELi8ELb0ELb0ELb0ELb0ELb0ELb0EEEvPT0_PvPT_S7_S7_PKS6_S9_S9_S9_S9_ffiiiiiiiiiiiii
; %bb.0:
	s_load_dwordx4 s[16:19], s[4:5], 0x50
	s_waitcnt lgkmcnt(0)
	s_cmp_ge_i32 s6, s18
	s_cbranch_scc1 .LBB935_12
; %bb.1:
	s_load_dwordx2 s[12:13], s[4:5], 0x48
	s_load_dwordx2 s[30:31], s[4:5], 0x30
	s_load_dwordx4 s[20:23], s[4:5], 0x60
	s_cmp_lg_u32 s7, 0
	s_cselect_b64 s[14:15], -1, 0
	s_cmp_eq_u32 s7, 0
	s_cselect_b64 vcc, -1, 0
	s_and_b64 s[0:1], vcc, exec
	s_waitcnt lgkmcnt(0)
	s_cselect_b32 s7, s19, s20
	s_add_i32 s0, s7, 1
	s_lshr_b32 s1, s0, 31
	s_add_i32 s0, s0, s1
	s_lshl_b32 s0, s0, 1
	v_lshlrev_b32_e32 v1, 4, v0
	s_and_b32 s10, s0, -4
	v_cmp_gt_i32_e64 s[2:3], s7, v1
	v_mov_b32_e32 v18, 0
	v_mov_b32_e32 v6, 0
	;; [unrolled: 1-line block ×17, first 2 shown]
	s_and_saveexec_b64 s[0:1], s[2:3]
	s_cbranch_execz .LBB935_3
; %bb.2:
	s_load_dwordx2 s[8:9], s[4:5], 0x28
	s_load_dwordx2 s[26:27], s[4:5], 0x40
	s_and_b64 s[24:25], vcc, exec
	s_cselect_b32 s11, s21, s22
	v_lshlrev_b32_e32 v19, 5, v0
	s_waitcnt lgkmcnt(0)
	s_cselect_b32 s18, s9, s31
	s_cselect_b32 s21, s8, s30
	s_mul_hi_i32 s9, s11, s6
	s_mul_i32 s8, s11, s6
	s_lshl_b64 s[8:9], s[8:9], 1
	s_add_u32 s24, s21, s8
	s_addc_u32 s18, s18, s9
	s_and_b64 s[8:9], vcc, exec
	s_mov_b32 s11, 0x20000
	s_cselect_b32 s8, s26, s12
	s_cselect_b32 s9, s27, s13
	s_and_b32 s25, s18, 0xffff
	s_mov_b32 s26, s10
	s_mov_b32 s27, s11
	s_and_b32 s9, s9, 0xffff
	buffer_load_dwordx4 v[14:17], v19, s[24:27], 0 offen
	buffer_load_dwordx4 v[10:13], v19, s[24:27], 16 offen
	;; [unrolled: 1-line block ×4, first 2 shown]
.LBB935_3:
	s_or_b64 exec, exec, s[0:1]
	v_mov_b32_e32 v19, 0
	v_mov_b32_e32 v24, 0
	v_mov_b32_e32 v25, 0
	v_mov_b32_e32 v20, 0
	v_mov_b32_e32 v21, 0
	v_mov_b32_e32 v22, 0
	v_mov_b32_e32 v23, 0
	v_mov_b32_e32 v32, 0
	v_mov_b32_e32 v33, 0
	v_mov_b32_e32 v30, 0
	v_mov_b32_e32 v31, 0
	v_mov_b32_e32 v26, 0
	v_mov_b32_e32 v27, 0
	v_mov_b32_e32 v28, 0
	v_mov_b32_e32 v29, 0
	s_and_saveexec_b64 s[0:1], s[2:3]
	s_cbranch_execz .LBB935_5
; %bb.4:
	s_waitcnt vmcnt(3)
	v_cvt_f32_f16_sdwa v19, v14 dst_sel:DWORD dst_unused:UNUSED_PAD src0_sel:WORD_1
	v_cvt_f32_f16_e32 v18, v14
	v_cvt_f32_f16_sdwa v25, v15 dst_sel:DWORD dst_unused:UNUSED_PAD src0_sel:WORD_1
	v_cvt_f32_f16_e32 v24, v15
	;; [unrolled: 2-line block ×4, first 2 shown]
	s_waitcnt vmcnt(2)
	v_cvt_f32_f16_sdwa v33, v10 dst_sel:DWORD dst_unused:UNUSED_PAD src0_sel:WORD_1
	v_cvt_f32_f16_e32 v32, v10
	v_cvt_f32_f16_sdwa v31, v11 dst_sel:DWORD dst_unused:UNUSED_PAD src0_sel:WORD_1
	v_cvt_f32_f16_e32 v30, v11
	;; [unrolled: 2-line block ×4, first 2 shown]
.LBB935_5:
	s_or_b64 exec, exec, s[0:1]
	s_waitcnt vmcnt(2)
	v_mul_f32_e32 v10, v19, v19
	v_fmac_f32_e32 v10, v18, v18
	v_fmac_f32_e32 v10, v24, v24
	;; [unrolled: 1-line block ×15, first 2 shown]
	v_and_b32_e32 v12, 63, v0
	v_cmp_eq_u32_e64 s[0:1], 63, v12
	v_mov_b32_dpp v11, v10 quad_perm:[1,0,3,2] row_mask:0xf bank_mask:0xf
	v_add_f32_e32 v10, v10, v11
	s_nop 1
	v_mov_b32_dpp v11, v10 quad_perm:[2,3,0,1] row_mask:0xf bank_mask:0xf
	v_add_f32_e32 v10, v10, v11
	s_nop 1
	v_mov_b32_dpp v11, v10 row_half_mirror row_mask:0xf bank_mask:0xf
	v_add_f32_e32 v10, v10, v11
	s_nop 1
	v_mov_b32_dpp v11, v10 row_mirror row_mask:0xf bank_mask:0xf
	v_add_f32_e32 v10, v10, v11
	s_nop 1
	v_mov_b32_dpp v11, v10 row_bcast:15 row_mask:0xf bank_mask:0xf
	v_add_f32_e32 v10, v10, v11
	s_nop 1
	v_mov_b32_dpp v11, v10 row_bcast:31 row_mask:0xf bank_mask:0xf
	s_and_saveexec_b64 s[8:9], s[0:1]
	s_cbranch_execz .LBB935_7
; %bb.6:
	v_add_f32_e32 v10, v10, v11
	v_lshrrev_b32_e32 v11, 4, v0
	v_and_b32_e32 v11, 60, v11
	ds_write_b32 v11, v10 offset:32
.LBB935_7:
	s_or_b64 exec, exec, s[8:9]
	v_and_b32_e32 v10, 7, v0
	v_lshlrev_b32_e32 v34, 2, v10
	s_waitcnt lgkmcnt(0)
	s_barrier
	ds_read_b32 v11, v34 offset:32
	s_load_dwordx2 s[28:29], s[4:5], 0x18
	s_waitcnt lgkmcnt(0)
	v_mov_b32_dpp v12, v11 quad_perm:[1,0,3,2] row_mask:0xf bank_mask:0xf
	v_add_f32_e32 v11, v11, v12
	s_nop 1
	v_mov_b32_dpp v12, v11 quad_perm:[2,3,0,1] row_mask:0xf bank_mask:0xf
	v_add_f32_e32 v11, v11, v12
	s_nop 1
	v_mov_b32_dpp v12, v11 row_half_mirror row_mask:0xf bank_mask:0xf
	s_and_saveexec_b64 s[8:9], s[2:3]
	s_cbranch_execz .LBB935_9
; %bb.8:
	v_cvt_f32_u32_e32 v13, s7
	v_add_f32_e32 v11, v11, v12
	v_mov_b32_e32 v15, s17
	v_mov_b32_e32 v16, s16
	v_div_scale_f32 v12, s[24:25], v13, v13, v11
	v_rcp_f32_e32 v14, v12
	v_cndmask_b32_e32 v15, v15, v16, vcc
	s_mov_b32 s7, 0x800000
	v_fma_f32 v16, -v12, v14, 1.0
	v_fmac_f32_e32 v14, v16, v14
	v_div_scale_f32 v16, vcc, v11, v13, v11
	v_mul_f32_e32 v17, v16, v14
	v_fma_f32 v35, -v12, v17, v16
	v_fmac_f32_e32 v17, v35, v14
	v_fma_f32 v12, -v12, v17, v16
	v_div_fmas_f32 v12, v12, v14, v17
	v_div_fixup_f32 v11, v12, v13, v11
	v_add_f32_e32 v11, v15, v11
	v_mul_f32_e32 v12, 0x4b800000, v11
	v_cmp_gt_f32_e32 vcc, s7, v11
	v_cndmask_b32_e32 v11, v11, v12, vcc
	v_rsq_f32_e32 v11, v11
	v_mul_f32_e32 v12, 0x45800000, v11
	v_cndmask_b32_e32 v12, v11, v12, vcc
	v_mov_b32_e32 v13, v12
	;;#ASMSTART
	v_pk_mul_f32 v[14:15], v[18:19], v[12:13]
	;;#ASMEND
	;;#ASMSTART
	v_pk_mul_f32 v[16:17], v[24:25], v[12:13]
	;;#ASMEND
	;; [unrolled: 3-line block ×8, first 2 shown]
	s_waitcnt vmcnt(1)
	v_cvt_f32_f16_sdwa v19, v6 dst_sel:DWORD dst_unused:UNUSED_PAD src0_sel:WORD_1
	v_cvt_f32_f16_e32 v18, v6
	v_cvt_f32_f16_sdwa v25, v7 dst_sel:DWORD dst_unused:UNUSED_PAD src0_sel:WORD_1
	v_cvt_f32_f16_e32 v24, v7
	;; [unrolled: 2-line block ×4, first 2 shown]
	;;#ASMSTART
	v_pk_mul_f32 v[18:19], v[14:15], v[18:19]
	;;#ASMEND
	;;#ASMSTART
	v_pk_mul_f32 v[24:25], v[16:17], v[24:25]
	;;#ASMEND
	;; [unrolled: 3-line block ×4, first 2 shown]
	s_waitcnt vmcnt(0)
	v_cvt_f32_f16_sdwa v7, v2 dst_sel:DWORD dst_unused:UNUSED_PAD src0_sel:WORD_1
	v_cvt_f32_f16_e32 v6, v2
	v_cvt_f32_f16_sdwa v9, v3 dst_sel:DWORD dst_unused:UNUSED_PAD src0_sel:WORD_1
	v_cvt_f32_f16_e32 v8, v3
	;; [unrolled: 2-line block ×4, first 2 shown]
	;;#ASMSTART
	v_pk_mul_f32 v[32:33], v[32:33], v[6:7]
	;;#ASMEND
	;;#ASMSTART
	v_pk_mul_f32 v[30:31], v[30:31], v[8:9]
	;;#ASMEND
	;; [unrolled: 3-line block ×4, first 2 shown]
.LBB935_9:
	s_or_b64 exec, exec, s[8:9]
	s_load_dword s7, s[4:5], 0x80
	s_mov_b64 s[8:9], -1
	s_and_b64 vcc, exec, s[14:15]
	s_cbranch_vccnz .LBB935_13
; %bb.10:
	s_andn2_b64 vcc, exec, s[8:9]
	s_cbranch_vccz .LBB935_16
.LBB935_11:
	s_cmp_lt_i32 s20, 1
	s_cbranch_scc0 .LBB935_23
.LBB935_12:
	s_endpgm
.LBB935_13:
	s_and_saveexec_b64 s[14:15], s[2:3]
	s_cbranch_execz .LBB935_15
; %bb.14:
	s_waitcnt lgkmcnt(0)
	s_mul_hi_i32 s9, s7, s6
	s_mul_i32 s8, s7, s6
	s_waitcnt vmcnt(0)
	v_cvt_f16_f32_e32 v2, v18
	v_cvt_f16_f32_e32 v3, v24
	;; [unrolled: 1-line block ×8, first 2 shown]
	s_lshl_b64 s[8:9], s[8:9], 1
	s_add_u32 s8, s28, s8
	s_addc_u32 s9, s29, s9
	s_and_b32 s9, s9, 0xffff
	s_mov_b32 s11, 0x20000
	v_pack_b32_f16 v5, v5, v6
	v_pack_b32_f16 v4, v4, v7
	;; [unrolled: 1-line block ×4, first 2 shown]
	v_lshlrev_b32_e32 v6, 5, v0
	buffer_store_dwordx4 v[2:5], v6, s[8:11], 0 offen
	v_cvt_f16_f32_e32 v7, v29
	v_cvt_f16_f32_e32 v2, v32
	;; [unrolled: 1-line block ×8, first 2 shown]
	v_pack_b32_f16 v5, v5, v7
	v_pack_b32_f16 v4, v4, v8
	;; [unrolled: 1-line block ×4, first 2 shown]
	;;#ASMSTART
	s_nop 0
	;;#ASMEND
	buffer_store_dwordx4 v[2:5], v6, s[8:11], 16 offen
	;;#ASMSTART
	s_nop 0
	;;#ASMEND
.LBB935_15:
	s_or_b64 exec, exec, s[14:15]
	s_cbranch_execnz .LBB935_11
.LBB935_16:
	s_waitcnt vmcnt(0)
	v_mov_b32_e32 v2, 0
	s_and_saveexec_b64 s[8:9], s[2:3]
	s_cbranch_execz .LBB935_18
; %bb.17:
	v_and_b32_e32 v2, 0x7fffffff, v18
	v_and_b32_e32 v3, 0x7fffffff, v19
	v_mov_b32_e32 v4, 0x2edbe6ff
	;;#ASMSTART
	v_max3_f32 v2, v4, v2, v3

	;;#ASMEND
	v_and_b32_e32 v3, 0x7fffffff, v24
	v_and_b32_e32 v4, 0x7fffffff, v25
	;;#ASMSTART
	v_max3_f32 v2, v2, v3, v4

	;;#ASMEND
	v_and_b32_e32 v3, 0x7fffffff, v20
	v_and_b32_e32 v4, 0x7fffffff, v21
	;; [unrolled: 6-line block ×7, first 2 shown]
	;;#ASMSTART
	v_max3_f32 v2, v2, v3, v4

	;;#ASMEND
.LBB935_18:
	s_or_b64 exec, exec, s[8:9]
	s_load_dwordx4 s[24:27], s[4:5], 0x70
	v_cmp_eq_u32_e32 vcc, 0, v10
	v_cmp_gt_i32_e64 s[8:9], s19, v1
	s_and_b64 s[10:11], vcc, s[8:9]
	;;#ASMSTART
	v_max_f32 v3, v2, v2 quad_perm:[1,0,3,2] row_mask:0xf bank_mask:0xf bound_ctrl:1
	;;#ASMEND
	;;#ASMSTART
	v_max_f32 v4, v3, v3 quad_perm:[2,3,0,1] row_mask:0xf bank_mask:0xf bound_ctrl:1
	;;#ASMEND
	;;#ASMSTART
	v_max_f32 v2, v4, v4 row_half_mirror row_mask:0xf bank_mask:0xf bound_ctrl:1
	;;#ASMEND
	s_and_saveexec_b64 s[8:9], s[10:11]
	s_cbranch_execz .LBB935_20
; %bb.19:
	s_load_dwordx2 s[10:11], s[4:5], 0x8
	v_mul_f32_e32 v2, 0x3e2aaaab, v2
	v_lshrrev_b32_e32 v3, 23, v2
	v_and_b32_e32 v4, 0x7f800000, v2
	v_and_b32_e32 v2, 0x7fffff, v2
	v_cmp_ne_u32_e32 vcc, 0, v2
	s_waitcnt lgkmcnt(0)
	s_mul_i32 s16, s25, s6
	s_mov_b32 s14, 0x7f800000
	v_addc_co_u32_e32 v2, vcc, 0, v3, vcc
	s_mul_hi_i32 s15, s25, s6
	s_add_u32 s10, s10, s16
	v_cmp_ne_u32_e32 vcc, s14, v4
	s_addc_u32 s11, s11, s15
	v_lshrrev_b32_e32 v5, 3, v0
	v_cndmask_b32_e32 v4, -1, v2, vcc
	v_pk_mov_b32 v[2:3], s[10:11], s[10:11] op_sel:[0,1]
	v_mad_i64_i32 v[2:3], s[10:11], s26, v5, v[2:3]
	global_store_byte v[2:3], v4, off
.LBB935_20:
	s_or_b64 exec, exec, s[8:9]
	s_and_saveexec_b64 s[8:9], s[2:3]
	s_cbranch_execz .LBB935_22
; %bb.21:
	s_load_dwordx2 s[2:3], s[4:5], 0x0
	s_waitcnt lgkmcnt(0)
	s_mul_i32 s11, s24, s6
	s_mul_hi_i32 s10, s24, s6
	v_mov_b32_e32 v2, 0
	v_lshlrev_b32_e32 v4, 3, v0
	s_add_u32 s24, s2, s11
	s_addc_u32 s2, s3, s10
	s_lshr_b32 s3, s19, 31
	s_add_i32 s3, s19, s3
	s_ashr_i32 s3, s3, 1
	s_add_i32 s3, s3, 3
	s_ashr_i32 s10, s3, 31
	s_lshr_b32 s10, s10, 30
	s_add_i32 s3, s3, s10
	s_and_b32 s26, s3, -4
	s_and_b32 s25, s2, 0xffff
	s_mov_b32 s27, 0x20000
	v_mov_b32_e32 v3, v2
	buffer_store_dwordx2 v[2:3], v4, s[24:27], 0 offen
	;;#ASMSTART
	s_nop 0
	;;#ASMEND
.LBB935_22:
	s_or_b64 exec, exec, s[8:9]
	s_cmp_lt_i32 s20, 1
	s_cbranch_scc1 .LBB935_12
.LBB935_23:
	s_load_dword s2, s[4:5], 0x94
	s_waitcnt lgkmcnt(0)
	s_cmp_lg_u32 s2, 1
	s_cbranch_scc1 .LBB935_12
; %bb.24:
	s_lshl_b32 s2, s20, 1
	s_add_i32 s2, s2, 2
	v_cmp_gt_u32_e32 vcc, s20, v1
	s_and_b32 s14, s2, -4
	v_mov_b32_e32 v18, 0
	v_lshlrev_b32_e32 v1, 5, v0
	v_mov_b32_e32 v14, 0
	v_mov_b32_e32 v15, 0
	;; [unrolled: 1-line block ×8, first 2 shown]
	s_waitcnt vmcnt(1)
	v_mov_b32_e32 v6, 0
	v_mov_b32_e32 v7, 0
	;; [unrolled: 1-line block ×4, first 2 shown]
	s_waitcnt vmcnt(0)
	v_mov_b32_e32 v2, 0
	v_mov_b32_e32 v3, 0
	v_mov_b32_e32 v4, 0
	v_mov_b32_e32 v5, 0
	s_barrier
	s_and_saveexec_b64 s[2:3], vcc
	s_cbranch_execz .LBB935_26
; %bb.25:
	s_mul_hi_i32 s5, s22, s6
	s_mul_i32 s4, s22, s6
	s_and_b32 s13, s13, 0xffff
	s_lshl_b64 s[4:5], s[4:5], 1
	s_add_u32 s8, s30, s4
	s_mov_b32 s15, 0x20000
	s_addc_u32 s4, s31, s5
	s_and_b32 s9, s4, 0xffff
	s_mov_b32 s10, s14
	s_mov_b32 s11, s15
	buffer_load_dwordx4 v[14:17], v1, s[8:11], 0 offen
	buffer_load_dwordx4 v[10:13], v1, s[8:11], 16 offen
	;; [unrolled: 1-line block ×4, first 2 shown]
.LBB935_26:
	s_or_b64 exec, exec, s[2:3]
	v_mov_b32_e32 v19, 0
	v_mov_b32_e32 v32, 0
	;; [unrolled: 1-line block ×15, first 2 shown]
	s_and_saveexec_b64 s[2:3], vcc
	s_cbranch_execz .LBB935_28
; %bb.27:
	s_waitcnt vmcnt(3)
	v_cvt_f32_f16_sdwa v19, v14 dst_sel:DWORD dst_unused:UNUSED_PAD src0_sel:WORD_1
	v_cvt_f32_f16_e32 v18, v14
	v_cvt_f32_f16_sdwa v33, v15 dst_sel:DWORD dst_unused:UNUSED_PAD src0_sel:WORD_1
	v_cvt_f32_f16_e32 v32, v15
	;; [unrolled: 2-line block ×4, first 2 shown]
	s_waitcnt vmcnt(2)
	v_cvt_f32_f16_sdwa v27, v10 dst_sel:DWORD dst_unused:UNUSED_PAD src0_sel:WORD_1
	v_cvt_f32_f16_e32 v26, v10
	v_cvt_f32_f16_sdwa v25, v11 dst_sel:DWORD dst_unused:UNUSED_PAD src0_sel:WORD_1
	v_cvt_f32_f16_e32 v24, v11
	;; [unrolled: 2-line block ×4, first 2 shown]
.LBB935_28:
	s_or_b64 exec, exec, s[2:3]
	s_waitcnt vmcnt(2)
	v_mul_f32_e32 v10, v19, v19
	v_fmac_f32_e32 v10, v18, v18
	v_fmac_f32_e32 v10, v32, v32
	;; [unrolled: 1-line block ×15, first 2 shown]
	s_nop 1
	v_mov_b32_dpp v11, v10 quad_perm:[1,0,3,2] row_mask:0xf bank_mask:0xf
	v_add_f32_e32 v10, v10, v11
	s_nop 1
	v_mov_b32_dpp v11, v10 quad_perm:[2,3,0,1] row_mask:0xf bank_mask:0xf
	v_add_f32_e32 v10, v10, v11
	s_nop 1
	v_mov_b32_dpp v11, v10 row_half_mirror row_mask:0xf bank_mask:0xf
	v_add_f32_e32 v10, v10, v11
	s_nop 1
	v_mov_b32_dpp v11, v10 row_mirror row_mask:0xf bank_mask:0xf
	v_add_f32_e32 v10, v10, v11
	s_nop 1
	v_mov_b32_dpp v11, v10 row_bcast:15 row_mask:0xf bank_mask:0xf
	v_add_f32_e32 v10, v10, v11
	s_nop 1
	v_mov_b32_dpp v11, v10 row_bcast:31 row_mask:0xf bank_mask:0xf
	s_and_saveexec_b64 s[2:3], s[0:1]
	s_cbranch_execz .LBB935_30
; %bb.29:
	v_lshrrev_b32_e32 v0, 4, v0
	v_add_f32_e32 v10, v10, v11
	v_and_b32_e32 v0, 60, v0
	ds_write_b32 v0, v10
.LBB935_30:
	s_or_b64 exec, exec, s[2:3]
	s_waitcnt lgkmcnt(0)
	s_barrier
	ds_read_b32 v0, v34
	s_waitcnt lgkmcnt(0)
	s_nop 0
	v_mov_b32_dpp v10, v0 quad_perm:[1,0,3,2] row_mask:0xf bank_mask:0xf
	v_add_f32_e32 v0, v0, v10
	s_nop 1
	v_mov_b32_dpp v10, v0 quad_perm:[2,3,0,1] row_mask:0xf bank_mask:0xf
	v_add_f32_e32 v0, v0, v10
	s_nop 1
	v_mov_b32_dpp v10, v0 row_half_mirror row_mask:0xf bank_mask:0xf
	s_and_saveexec_b64 s[0:1], vcc
	s_cbranch_execz .LBB935_12
; %bb.31:
	v_cvt_f32_u32_e32 v11, s20
	v_add_f32_e32 v0, v0, v10
	s_mov_b32 s15, 0x20000
	v_div_scale_f32 v10, s[0:1], v11, v11, v0
	v_rcp_f32_e32 v12, v10
	v_div_scale_f32 v13, vcc, v0, v11, v0
	s_mov_b32 s0, 0x800000
	v_fma_f32 v14, -v10, v12, 1.0
	v_fmac_f32_e32 v12, v14, v12
	v_mul_f32_e32 v14, v13, v12
	v_fma_f32 v15, -v10, v14, v13
	v_fmac_f32_e32 v14, v15, v12
	v_fma_f32 v10, -v10, v14, v13
	v_div_fmas_f32 v10, v10, v12, v14
	v_div_fixup_f32 v0, v10, v11, v0
	v_add_f32_e32 v0, s17, v0
	v_mul_f32_e32 v10, 0x4b800000, v0
	v_cmp_gt_f32_e32 vcc, s0, v0
	v_cndmask_b32_e32 v0, v0, v10, vcc
	v_rsq_f32_e32 v0, v0
	s_mul_hi_i32 s1, s7, s6
	s_mul_i32 s0, s7, s6
	s_lshl_b64 s[0:1], s[0:1], 1
	v_mul_f32_e32 v10, 0x45800000, v0
	v_cndmask_b32_e32 v10, v0, v10, vcc
	v_mov_b32_e32 v11, v10
	;;#ASMSTART
	v_pk_mul_f32 v[12:13], v[18:19], v[10:11]
	;;#ASMEND
	;;#ASMSTART
	v_pk_mul_f32 v[14:15], v[32:33], v[10:11]
	;;#ASMEND
	;;#ASMSTART
	v_pk_mul_f32 v[16:17], v[30:31], v[10:11]
	;;#ASMEND
	;;#ASMSTART
	v_pk_mul_f32 v[18:19], v[28:29], v[10:11]
	;;#ASMEND
	;;#ASMSTART
	v_pk_mul_f32 v[26:27], v[26:27], v[10:11]
	;;#ASMEND
	;;#ASMSTART
	v_pk_mul_f32 v[24:25], v[24:25], v[10:11]
	;;#ASMEND
	;;#ASMSTART
	v_pk_mul_f32 v[22:23], v[22:23], v[10:11]
	;;#ASMEND
	;;#ASMSTART
	v_pk_mul_f32 v[10:11], v[20:21], v[10:11]
	;;#ASMEND
	s_waitcnt vmcnt(1)
	v_cvt_f32_f16_sdwa v21, v6 dst_sel:DWORD dst_unused:UNUSED_PAD src0_sel:WORD_1
	v_cvt_f32_f16_e32 v20, v6
	v_cvt_f32_f16_sdwa v29, v7 dst_sel:DWORD dst_unused:UNUSED_PAD src0_sel:WORD_1
	v_cvt_f32_f16_e32 v28, v7
	;; [unrolled: 2-line block ×4, first 2 shown]
	;;#ASMSTART
	v_pk_mul_f32 v[8:9], v[12:13], v[20:21]
	;;#ASMEND
	;;#ASMSTART
	v_pk_mul_f32 v[12:13], v[14:15], v[28:29]
	;;#ASMEND
	;; [unrolled: 3-line block ×4, first 2 shown]
	s_waitcnt vmcnt(0)
	v_cvt_f32_f16_sdwa v17, v2 dst_sel:DWORD dst_unused:UNUSED_PAD src0_sel:WORD_1
	v_cvt_f32_f16_e32 v16, v2
	v_cvt_f32_f16_sdwa v19, v3 dst_sel:DWORD dst_unused:UNUSED_PAD src0_sel:WORD_1
	v_cvt_f32_f16_e32 v18, v3
	;; [unrolled: 2-line block ×4, first 2 shown]
	;;#ASMSTART
	v_pk_mul_f32 v[16:17], v[26:27], v[16:17]
	;;#ASMEND
	;;#ASMSTART
	v_pk_mul_f32 v[18:19], v[24:25], v[18:19]
	;;#ASMEND
	;;#ASMSTART
	v_pk_mul_f32 v[22:23], v[22:23], v[2:3]
	;;#ASMEND
	v_cvt_f16_f32_e32 v0, v8
	v_cvt_f16_f32_e32 v2, v9
	;; [unrolled: 1-line block ×8, first 2 shown]
	s_add_u32 s12, s28, s0
	s_addc_u32 s0, s29, s1
	s_and_b32 s13, s0, 0xffff
	v_pack_b32_f16 v2, v0, v2
	v_pack_b32_f16 v3, v3, v4
	;; [unrolled: 1-line block ×4, first 2 shown]
	;;#ASMSTART
	v_pk_mul_f32 v[10:11], v[10:11], v[20:21]
	;;#ASMEND
	buffer_store_dwordx4 v[2:5], v1, s[12:15], 0 offen
	v_cvt_f16_f32_e32 v0, v16
	v_cvt_f16_f32_e32 v2, v17
	;; [unrolled: 1-line block ×8, first 2 shown]
	v_pack_b32_f16 v2, v0, v2
	v_pack_b32_f16 v3, v3, v4
	;; [unrolled: 1-line block ×4, first 2 shown]
	;;#ASMSTART
	s_nop 0
	;;#ASMEND
	buffer_store_dwordx4 v[2:5], v1, s[12:15], 16 offen
	;;#ASMSTART
	s_nop 0
	;;#ASMEND
	s_endpgm
	.section	.rodata,"a",@progbits
	.p2align	6, 0x0
	.amdhsa_kernel _ZN5aiter35fused_qk_rmsnorm_group_quant_kernelIDF16_N4opus5fp4_tELi512ELi16ELi8ELb0ELb0ELb0ELb0ELb0ELb0EEEvPT0_PvPT_S7_S7_PKS6_S9_S9_S9_S9_ffiiiiiiiiiiiii
		.amdhsa_group_segment_fixed_size 64
		.amdhsa_private_segment_fixed_size 0
		.amdhsa_kernarg_size 400
		.amdhsa_user_sgpr_count 6
		.amdhsa_user_sgpr_private_segment_buffer 1
		.amdhsa_user_sgpr_dispatch_ptr 0
		.amdhsa_user_sgpr_queue_ptr 0
		.amdhsa_user_sgpr_kernarg_segment_ptr 1
		.amdhsa_user_sgpr_dispatch_id 0
		.amdhsa_user_sgpr_flat_scratch_init 0
		.amdhsa_user_sgpr_kernarg_preload_length 0
		.amdhsa_user_sgpr_kernarg_preload_offset 0
		.amdhsa_user_sgpr_private_segment_size 0
		.amdhsa_uses_dynamic_stack 0
		.amdhsa_system_sgpr_private_segment_wavefront_offset 0
		.amdhsa_system_sgpr_workgroup_id_x 1
		.amdhsa_system_sgpr_workgroup_id_y 1
		.amdhsa_system_sgpr_workgroup_id_z 0
		.amdhsa_system_sgpr_workgroup_info 0
		.amdhsa_system_vgpr_workitem_id 0
		.amdhsa_next_free_vgpr 36
		.amdhsa_next_free_sgpr 32
		.amdhsa_accum_offset 36
		.amdhsa_reserve_vcc 1
		.amdhsa_reserve_flat_scratch 0
		.amdhsa_float_round_mode_32 0
		.amdhsa_float_round_mode_16_64 0
		.amdhsa_float_denorm_mode_32 3
		.amdhsa_float_denorm_mode_16_64 3
		.amdhsa_dx10_clamp 1
		.amdhsa_ieee_mode 1
		.amdhsa_fp16_overflow 0
		.amdhsa_tg_split 0
		.amdhsa_exception_fp_ieee_invalid_op 0
		.amdhsa_exception_fp_denorm_src 0
		.amdhsa_exception_fp_ieee_div_zero 0
		.amdhsa_exception_fp_ieee_overflow 0
		.amdhsa_exception_fp_ieee_underflow 0
		.amdhsa_exception_fp_ieee_inexact 0
		.amdhsa_exception_int_div_zero 0
	.end_amdhsa_kernel
	.section	.text._ZN5aiter35fused_qk_rmsnorm_group_quant_kernelIDF16_N4opus5fp4_tELi512ELi16ELi8ELb0ELb0ELb0ELb0ELb0ELb0EEEvPT0_PvPT_S7_S7_PKS6_S9_S9_S9_S9_ffiiiiiiiiiiiii,"axG",@progbits,_ZN5aiter35fused_qk_rmsnorm_group_quant_kernelIDF16_N4opus5fp4_tELi512ELi16ELi8ELb0ELb0ELb0ELb0ELb0ELb0EEEvPT0_PvPT_S7_S7_PKS6_S9_S9_S9_S9_ffiiiiiiiiiiiii,comdat
.Lfunc_end935:
	.size	_ZN5aiter35fused_qk_rmsnorm_group_quant_kernelIDF16_N4opus5fp4_tELi512ELi16ELi8ELb0ELb0ELb0ELb0ELb0ELb0EEEvPT0_PvPT_S7_S7_PKS6_S9_S9_S9_S9_ffiiiiiiiiiiiii, .Lfunc_end935-_ZN5aiter35fused_qk_rmsnorm_group_quant_kernelIDF16_N4opus5fp4_tELi512ELi16ELi8ELb0ELb0ELb0ELb0ELb0ELb0EEEvPT0_PvPT_S7_S7_PKS6_S9_S9_S9_S9_ffiiiiiiiiiiiii
                                        ; -- End function
	.section	.AMDGPU.csdata,"",@progbits
; Kernel info:
; codeLenInByte = 3148
; NumSgprs: 36
; NumVgprs: 36
; NumAgprs: 0
; TotalNumVgprs: 36
; ScratchSize: 0
; MemoryBound: 0
; FloatMode: 240
; IeeeMode: 1
; LDSByteSize: 64 bytes/workgroup (compile time only)
; SGPRBlocks: 4
; VGPRBlocks: 4
; NumSGPRsForWavesPerEU: 36
; NumVGPRsForWavesPerEU: 36
; AccumOffset: 36
; Occupancy: 8
; WaveLimiterHint : 0
; COMPUTE_PGM_RSRC2:SCRATCH_EN: 0
; COMPUTE_PGM_RSRC2:USER_SGPR: 6
; COMPUTE_PGM_RSRC2:TRAP_HANDLER: 0
; COMPUTE_PGM_RSRC2:TGID_X_EN: 1
; COMPUTE_PGM_RSRC2:TGID_Y_EN: 1
; COMPUTE_PGM_RSRC2:TGID_Z_EN: 0
; COMPUTE_PGM_RSRC2:TIDIG_COMP_CNT: 0
; COMPUTE_PGM_RSRC3_GFX90A:ACCUM_OFFSET: 8
; COMPUTE_PGM_RSRC3_GFX90A:TG_SPLIT: 0
	.section	.text._ZN5aiter35fused_qk_rmsnorm_group_quant_kernelItN4opus5fp4_tELi512ELi16ELi8ELb0ELb0ELb0ELb0ELb0ELb0EEEvPT0_PvPT_S7_S7_PKS6_S9_S9_S9_S9_ffiiiiiiiiiiiii,"axG",@progbits,_ZN5aiter35fused_qk_rmsnorm_group_quant_kernelItN4opus5fp4_tELi512ELi16ELi8ELb0ELb0ELb0ELb0ELb0ELb0EEEvPT0_PvPT_S7_S7_PKS6_S9_S9_S9_S9_ffiiiiiiiiiiiii,comdat
	.protected	_ZN5aiter35fused_qk_rmsnorm_group_quant_kernelItN4opus5fp4_tELi512ELi16ELi8ELb0ELb0ELb0ELb0ELb0ELb0EEEvPT0_PvPT_S7_S7_PKS6_S9_S9_S9_S9_ffiiiiiiiiiiiii ; -- Begin function _ZN5aiter35fused_qk_rmsnorm_group_quant_kernelItN4opus5fp4_tELi512ELi16ELi8ELb0ELb0ELb0ELb0ELb0ELb0EEEvPT0_PvPT_S7_S7_PKS6_S9_S9_S9_S9_ffiiiiiiiiiiiii
	.globl	_ZN5aiter35fused_qk_rmsnorm_group_quant_kernelItN4opus5fp4_tELi512ELi16ELi8ELb0ELb0ELb0ELb0ELb0ELb0EEEvPT0_PvPT_S7_S7_PKS6_S9_S9_S9_S9_ffiiiiiiiiiiiii
	.p2align	8
	.type	_ZN5aiter35fused_qk_rmsnorm_group_quant_kernelItN4opus5fp4_tELi512ELi16ELi8ELb0ELb0ELb0ELb0ELb0ELb0EEEvPT0_PvPT_S7_S7_PKS6_S9_S9_S9_S9_ffiiiiiiiiiiiii,@function
_ZN5aiter35fused_qk_rmsnorm_group_quant_kernelItN4opus5fp4_tELi512ELi16ELi8ELb0ELb0ELb0ELb0ELb0ELb0EEEvPT0_PvPT_S7_S7_PKS6_S9_S9_S9_S9_ffiiiiiiiiiiiii: ; @_ZN5aiter35fused_qk_rmsnorm_group_quant_kernelItN4opus5fp4_tELi512ELi16ELi8ELb0ELb0ELb0ELb0ELb0ELb0EEEvPT0_PvPT_S7_S7_PKS6_S9_S9_S9_S9_ffiiiiiiiiiiiii
; %bb.0:
	s_load_dwordx4 s[16:19], s[4:5], 0x50
	s_waitcnt lgkmcnt(0)
	s_cmp_ge_i32 s6, s18
	s_cbranch_scc1 .LBB936_12
; %bb.1:
	s_load_dwordx2 s[12:13], s[4:5], 0x48
	s_load_dwordx2 s[30:31], s[4:5], 0x30
	s_load_dwordx4 s[20:23], s[4:5], 0x60
	s_cmp_lg_u32 s7, 0
	s_cselect_b64 s[14:15], -1, 0
	s_cmp_eq_u32 s7, 0
	s_cselect_b64 vcc, -1, 0
	s_and_b64 s[0:1], vcc, exec
	s_waitcnt lgkmcnt(0)
	s_cselect_b32 s7, s19, s20
	s_add_i32 s0, s7, 1
	s_lshr_b32 s1, s0, 31
	s_add_i32 s0, s0, s1
	s_lshl_b32 s0, s0, 1
	v_lshlrev_b32_e32 v1, 4, v0
	s_and_b32 s10, s0, -4
	v_cmp_gt_i32_e64 s[2:3], s7, v1
	v_mov_b32_e32 v18, 0
	v_mov_b32_e32 v6, 0
	;; [unrolled: 1-line block ×17, first 2 shown]
	s_and_saveexec_b64 s[0:1], s[2:3]
	s_cbranch_execz .LBB936_3
; %bb.2:
	s_load_dwordx2 s[8:9], s[4:5], 0x28
	s_load_dwordx2 s[26:27], s[4:5], 0x40
	s_and_b64 s[24:25], vcc, exec
	s_cselect_b32 s11, s21, s22
	v_lshlrev_b32_e32 v19, 5, v0
	s_waitcnt lgkmcnt(0)
	s_cselect_b32 s18, s9, s31
	s_cselect_b32 s21, s8, s30
	s_mul_hi_i32 s9, s11, s6
	s_mul_i32 s8, s11, s6
	s_lshl_b64 s[8:9], s[8:9], 1
	s_add_u32 s24, s21, s8
	s_addc_u32 s18, s18, s9
	s_and_b64 s[8:9], vcc, exec
	s_mov_b32 s11, 0x20000
	s_cselect_b32 s8, s26, s12
	s_cselect_b32 s9, s27, s13
	s_and_b32 s25, s18, 0xffff
	s_mov_b32 s26, s10
	s_mov_b32 s27, s11
	s_and_b32 s9, s9, 0xffff
	buffer_load_dwordx4 v[14:17], v19, s[24:27], 0 offen
	buffer_load_dwordx4 v[10:13], v19, s[24:27], 16 offen
	;; [unrolled: 1-line block ×4, first 2 shown]
.LBB936_3:
	s_or_b64 exec, exec, s[0:1]
	v_mov_b32_e32 v19, 0
	v_mov_b32_e32 v24, 0
	;; [unrolled: 1-line block ×15, first 2 shown]
	s_and_saveexec_b64 s[0:1], s[2:3]
	s_cbranch_execz .LBB936_5
; %bb.4:
	s_waitcnt vmcnt(3)
	v_cvt_f32_u32_sdwa v18, v14 dst_sel:DWORD dst_unused:UNUSED_PAD src0_sel:WORD_0
	v_cvt_f32_u32_sdwa v19, v14 dst_sel:DWORD dst_unused:UNUSED_PAD src0_sel:WORD_1
	v_cvt_f32_u32_sdwa v24, v15 dst_sel:DWORD dst_unused:UNUSED_PAD src0_sel:WORD_0
	v_cvt_f32_u32_sdwa v25, v15 dst_sel:DWORD dst_unused:UNUSED_PAD src0_sel:WORD_1
	;; [unrolled: 2-line block ×4, first 2 shown]
	s_waitcnt vmcnt(2)
	v_cvt_f32_u32_sdwa v32, v10 dst_sel:DWORD dst_unused:UNUSED_PAD src0_sel:WORD_0
	v_cvt_f32_u32_sdwa v33, v10 dst_sel:DWORD dst_unused:UNUSED_PAD src0_sel:WORD_1
	v_cvt_f32_u32_sdwa v30, v11 dst_sel:DWORD dst_unused:UNUSED_PAD src0_sel:WORD_0
	v_cvt_f32_u32_sdwa v31, v11 dst_sel:DWORD dst_unused:UNUSED_PAD src0_sel:WORD_1
	;; [unrolled: 2-line block ×4, first 2 shown]
.LBB936_5:
	s_or_b64 exec, exec, s[0:1]
	s_waitcnt vmcnt(2)
	v_mul_f32_e32 v10, v19, v19
	v_fmac_f32_e32 v10, v18, v18
	v_fmac_f32_e32 v10, v24, v24
	v_fmac_f32_e32 v10, v25, v25
	v_fmac_f32_e32 v10, v20, v20
	v_fmac_f32_e32 v10, v21, v21
	v_fmac_f32_e32 v10, v22, v22
	v_fmac_f32_e32 v10, v23, v23
	v_fmac_f32_e32 v10, v32, v32
	v_fmac_f32_e32 v10, v33, v33
	v_fmac_f32_e32 v10, v30, v30
	v_fmac_f32_e32 v10, v31, v31
	v_fmac_f32_e32 v10, v26, v26
	v_fmac_f32_e32 v10, v27, v27
	v_fmac_f32_e32 v10, v28, v28
	v_fmac_f32_e32 v10, v29, v29
	v_and_b32_e32 v12, 63, v0
	v_cmp_eq_u32_e64 s[0:1], 63, v12
	v_mov_b32_dpp v11, v10 quad_perm:[1,0,3,2] row_mask:0xf bank_mask:0xf
	v_add_f32_e32 v10, v10, v11
	s_nop 1
	v_mov_b32_dpp v11, v10 quad_perm:[2,3,0,1] row_mask:0xf bank_mask:0xf
	v_add_f32_e32 v10, v10, v11
	s_nop 1
	v_mov_b32_dpp v11, v10 row_half_mirror row_mask:0xf bank_mask:0xf
	v_add_f32_e32 v10, v10, v11
	s_nop 1
	v_mov_b32_dpp v11, v10 row_mirror row_mask:0xf bank_mask:0xf
	v_add_f32_e32 v10, v10, v11
	s_nop 1
	v_mov_b32_dpp v11, v10 row_bcast:15 row_mask:0xf bank_mask:0xf
	v_add_f32_e32 v10, v10, v11
	s_nop 1
	v_mov_b32_dpp v11, v10 row_bcast:31 row_mask:0xf bank_mask:0xf
	s_and_saveexec_b64 s[8:9], s[0:1]
	s_cbranch_execz .LBB936_7
; %bb.6:
	v_add_f32_e32 v10, v10, v11
	v_lshrrev_b32_e32 v11, 4, v0
	v_and_b32_e32 v11, 60, v11
	ds_write_b32 v11, v10 offset:32
.LBB936_7:
	s_or_b64 exec, exec, s[8:9]
	v_and_b32_e32 v10, 7, v0
	v_lshlrev_b32_e32 v34, 2, v10
	s_waitcnt lgkmcnt(0)
	s_barrier
	ds_read_b32 v11, v34 offset:32
	s_load_dwordx2 s[28:29], s[4:5], 0x18
	s_waitcnt lgkmcnt(0)
	v_mov_b32_dpp v12, v11 quad_perm:[1,0,3,2] row_mask:0xf bank_mask:0xf
	v_add_f32_e32 v11, v11, v12
	s_nop 1
	v_mov_b32_dpp v12, v11 quad_perm:[2,3,0,1] row_mask:0xf bank_mask:0xf
	v_add_f32_e32 v11, v11, v12
	s_nop 1
	v_mov_b32_dpp v12, v11 row_half_mirror row_mask:0xf bank_mask:0xf
	s_and_saveexec_b64 s[8:9], s[2:3]
	s_cbranch_execz .LBB936_9
; %bb.8:
	v_cvt_f32_u32_e32 v13, s7
	v_add_f32_e32 v11, v11, v12
	v_mov_b32_e32 v15, s17
	v_mov_b32_e32 v16, s16
	v_div_scale_f32 v12, s[24:25], v13, v13, v11
	v_rcp_f32_e32 v14, v12
	v_cndmask_b32_e32 v15, v15, v16, vcc
	s_mov_b32 s7, 0x800000
	v_fma_f32 v16, -v12, v14, 1.0
	v_fmac_f32_e32 v14, v16, v14
	v_div_scale_f32 v16, vcc, v11, v13, v11
	v_mul_f32_e32 v17, v16, v14
	v_fma_f32 v35, -v12, v17, v16
	v_fmac_f32_e32 v17, v35, v14
	v_fma_f32 v12, -v12, v17, v16
	v_div_fmas_f32 v12, v12, v14, v17
	v_div_fixup_f32 v11, v12, v13, v11
	v_add_f32_e32 v11, v15, v11
	v_mul_f32_e32 v12, 0x4b800000, v11
	v_cmp_gt_f32_e32 vcc, s7, v11
	v_cndmask_b32_e32 v11, v11, v12, vcc
	v_rsq_f32_e32 v11, v11
	v_mul_f32_e32 v12, 0x45800000, v11
	v_cndmask_b32_e32 v12, v11, v12, vcc
	v_mov_b32_e32 v13, v12
	;;#ASMSTART
	v_pk_mul_f32 v[14:15], v[18:19], v[12:13]
	;;#ASMEND
	;;#ASMSTART
	v_pk_mul_f32 v[16:17], v[24:25], v[12:13]
	;;#ASMEND
	;; [unrolled: 3-line block ×8, first 2 shown]
	s_waitcnt vmcnt(1)
	v_cvt_f32_u32_sdwa v19, v6 dst_sel:DWORD dst_unused:UNUSED_PAD src0_sel:WORD_1
	v_cvt_f32_u32_sdwa v18, v6 dst_sel:DWORD dst_unused:UNUSED_PAD src0_sel:WORD_0
	v_cvt_f32_u32_sdwa v25, v7 dst_sel:DWORD dst_unused:UNUSED_PAD src0_sel:WORD_1
	v_cvt_f32_u32_sdwa v24, v7 dst_sel:DWORD dst_unused:UNUSED_PAD src0_sel:WORD_0
	;; [unrolled: 2-line block ×4, first 2 shown]
	;;#ASMSTART
	v_pk_mul_f32 v[18:19], v[14:15], v[18:19]
	;;#ASMEND
	;;#ASMSTART
	v_pk_mul_f32 v[24:25], v[16:17], v[24:25]
	;;#ASMEND
	;; [unrolled: 3-line block ×4, first 2 shown]
	s_waitcnt vmcnt(0)
	v_cvt_f32_u32_sdwa v7, v2 dst_sel:DWORD dst_unused:UNUSED_PAD src0_sel:WORD_1
	v_cvt_f32_u32_sdwa v6, v2 dst_sel:DWORD dst_unused:UNUSED_PAD src0_sel:WORD_0
	v_cvt_f32_u32_sdwa v9, v3 dst_sel:DWORD dst_unused:UNUSED_PAD src0_sel:WORD_1
	v_cvt_f32_u32_sdwa v8, v3 dst_sel:DWORD dst_unused:UNUSED_PAD src0_sel:WORD_0
	;; [unrolled: 2-line block ×4, first 2 shown]
	;;#ASMSTART
	v_pk_mul_f32 v[32:33], v[32:33], v[6:7]
	;;#ASMEND
	;;#ASMSTART
	v_pk_mul_f32 v[30:31], v[30:31], v[8:9]
	;;#ASMEND
	;; [unrolled: 3-line block ×4, first 2 shown]
.LBB936_9:
	s_or_b64 exec, exec, s[8:9]
	s_load_dword s7, s[4:5], 0x80
	s_mov_b64 s[8:9], -1
	s_and_b64 vcc, exec, s[14:15]
	s_cbranch_vccnz .LBB936_13
; %bb.10:
	s_andn2_b64 vcc, exec, s[8:9]
	s_cbranch_vccz .LBB936_16
.LBB936_11:
	s_cmp_lt_i32 s20, 1
	s_cbranch_scc0 .LBB936_23
.LBB936_12:
	s_endpgm
.LBB936_13:
	s_and_saveexec_b64 s[14:15], s[2:3]
	s_cbranch_execz .LBB936_15
; %bb.14:
	s_waitcnt lgkmcnt(0)
	s_mul_hi_i32 s9, s7, s6
	s_mul_i32 s8, s7, s6
	s_lshl_b64 s[8:9], s[8:9], 1
	s_add_u32 s8, s28, s8
	s_addc_u32 s9, s29, s9
	s_mov_b32 s16, 0x7060302
	s_and_b32 s9, s9, 0xffff
	s_mov_b32 s11, 0x20000
	s_waitcnt vmcnt(0)
	v_perm_b32 v5, v23, v22, s16
	v_perm_b32 v4, v21, v20, s16
	;; [unrolled: 1-line block ×4, first 2 shown]
	v_lshlrev_b32_e32 v6, 5, v0
	buffer_store_dwordx4 v[2:5], v6, s[8:11], 0 offen
	;;#ASMSTART
	s_nop 0
	;;#ASMEND
	s_nop 0
	v_perm_b32 v5, v29, v28, s16
	v_perm_b32 v4, v27, v26, s16
	v_perm_b32 v3, v31, v30, s16
	v_perm_b32 v2, v33, v32, s16
	buffer_store_dwordx4 v[2:5], v6, s[8:11], 16 offen
	;;#ASMSTART
	s_nop 0
	;;#ASMEND
.LBB936_15:
	s_or_b64 exec, exec, s[14:15]
	s_cbranch_execnz .LBB936_11
.LBB936_16:
	s_waitcnt vmcnt(0)
	v_mov_b32_e32 v2, 0
	s_and_saveexec_b64 s[8:9], s[2:3]
	s_cbranch_execz .LBB936_18
; %bb.17:
	v_and_b32_e32 v2, 0x7fffffff, v18
	v_and_b32_e32 v3, 0x7fffffff, v19
	v_mov_b32_e32 v4, 0x2edbe6ff
	;;#ASMSTART
	v_max3_f32 v2, v4, v2, v3

	;;#ASMEND
	v_and_b32_e32 v3, 0x7fffffff, v24
	v_and_b32_e32 v4, 0x7fffffff, v25
	;;#ASMSTART
	v_max3_f32 v2, v2, v3, v4

	;;#ASMEND
	v_and_b32_e32 v3, 0x7fffffff, v20
	v_and_b32_e32 v4, 0x7fffffff, v21
	;; [unrolled: 6-line block ×7, first 2 shown]
	;;#ASMSTART
	v_max3_f32 v2, v2, v3, v4

	;;#ASMEND
.LBB936_18:
	s_or_b64 exec, exec, s[8:9]
	s_load_dwordx4 s[24:27], s[4:5], 0x70
	v_cmp_eq_u32_e32 vcc, 0, v10
	v_cmp_gt_i32_e64 s[8:9], s19, v1
	s_and_b64 s[10:11], vcc, s[8:9]
	;;#ASMSTART
	v_max_f32 v3, v2, v2 quad_perm:[1,0,3,2] row_mask:0xf bank_mask:0xf bound_ctrl:1
	;;#ASMEND
	;;#ASMSTART
	v_max_f32 v4, v3, v3 quad_perm:[2,3,0,1] row_mask:0xf bank_mask:0xf bound_ctrl:1
	;;#ASMEND
	;;#ASMSTART
	v_max_f32 v2, v4, v4 row_half_mirror row_mask:0xf bank_mask:0xf bound_ctrl:1
	;;#ASMEND
	s_and_saveexec_b64 s[8:9], s[10:11]
	s_cbranch_execz .LBB936_20
; %bb.19:
	s_load_dwordx2 s[10:11], s[4:5], 0x8
	v_mul_f32_e32 v2, 0x3e2aaaab, v2
	v_lshrrev_b32_e32 v3, 23, v2
	v_and_b32_e32 v4, 0x7f800000, v2
	v_and_b32_e32 v2, 0x7fffff, v2
	v_cmp_ne_u32_e32 vcc, 0, v2
	s_waitcnt lgkmcnt(0)
	s_mul_i32 s16, s25, s6
	s_mov_b32 s14, 0x7f800000
	v_addc_co_u32_e32 v2, vcc, 0, v3, vcc
	s_mul_hi_i32 s15, s25, s6
	s_add_u32 s10, s10, s16
	v_cmp_ne_u32_e32 vcc, s14, v4
	s_addc_u32 s11, s11, s15
	v_lshrrev_b32_e32 v5, 3, v0
	v_cndmask_b32_e32 v4, -1, v2, vcc
	v_pk_mov_b32 v[2:3], s[10:11], s[10:11] op_sel:[0,1]
	v_mad_i64_i32 v[2:3], s[10:11], s26, v5, v[2:3]
	global_store_byte v[2:3], v4, off
.LBB936_20:
	s_or_b64 exec, exec, s[8:9]
	s_and_saveexec_b64 s[8:9], s[2:3]
	s_cbranch_execz .LBB936_22
; %bb.21:
	s_load_dwordx2 s[2:3], s[4:5], 0x0
	s_waitcnt lgkmcnt(0)
	s_mul_i32 s11, s24, s6
	s_mul_hi_i32 s10, s24, s6
	v_mov_b32_e32 v2, 0
	v_lshlrev_b32_e32 v4, 3, v0
	s_add_u32 s24, s2, s11
	s_addc_u32 s2, s3, s10
	s_lshr_b32 s3, s19, 31
	s_add_i32 s3, s19, s3
	s_ashr_i32 s3, s3, 1
	s_add_i32 s3, s3, 3
	s_ashr_i32 s10, s3, 31
	s_lshr_b32 s10, s10, 30
	s_add_i32 s3, s3, s10
	s_and_b32 s26, s3, -4
	s_and_b32 s25, s2, 0xffff
	s_mov_b32 s27, 0x20000
	v_mov_b32_e32 v3, v2
	buffer_store_dwordx2 v[2:3], v4, s[24:27], 0 offen
	;;#ASMSTART
	s_nop 0
	;;#ASMEND
.LBB936_22:
	s_or_b64 exec, exec, s[8:9]
	s_cmp_lt_i32 s20, 1
	s_cbranch_scc1 .LBB936_12
.LBB936_23:
	s_load_dword s2, s[4:5], 0x94
	s_waitcnt lgkmcnt(0)
	s_cmp_lg_u32 s2, 1
	s_cbranch_scc1 .LBB936_12
; %bb.24:
	s_lshl_b32 s2, s20, 1
	s_add_i32 s2, s2, 2
	v_cmp_gt_u32_e32 vcc, s20, v1
	s_and_b32 s14, s2, -4
	v_mov_b32_e32 v18, 0
	v_lshlrev_b32_e32 v1, 5, v0
	v_mov_b32_e32 v14, 0
	v_mov_b32_e32 v15, 0
	;; [unrolled: 1-line block ×8, first 2 shown]
	s_waitcnt vmcnt(1)
	v_mov_b32_e32 v6, 0
	v_mov_b32_e32 v7, 0
	;; [unrolled: 1-line block ×4, first 2 shown]
	s_waitcnt vmcnt(0)
	v_mov_b32_e32 v2, 0
	v_mov_b32_e32 v3, 0
	;; [unrolled: 1-line block ×4, first 2 shown]
	s_barrier
	s_and_saveexec_b64 s[2:3], vcc
	s_cbranch_execz .LBB936_26
; %bb.25:
	s_mul_hi_i32 s5, s22, s6
	s_mul_i32 s4, s22, s6
	s_and_b32 s13, s13, 0xffff
	s_lshl_b64 s[4:5], s[4:5], 1
	s_add_u32 s8, s30, s4
	s_mov_b32 s15, 0x20000
	s_addc_u32 s4, s31, s5
	s_and_b32 s9, s4, 0xffff
	s_mov_b32 s10, s14
	s_mov_b32 s11, s15
	buffer_load_dwordx4 v[14:17], v1, s[8:11], 0 offen
	buffer_load_dwordx4 v[10:13], v1, s[8:11], 16 offen
	;; [unrolled: 1-line block ×4, first 2 shown]
.LBB936_26:
	s_or_b64 exec, exec, s[2:3]
	v_mov_b32_e32 v19, 0
	v_mov_b32_e32 v32, 0
	;; [unrolled: 1-line block ×15, first 2 shown]
	s_and_saveexec_b64 s[2:3], vcc
	s_cbranch_execz .LBB936_28
; %bb.27:
	s_waitcnt vmcnt(3)
	v_cvt_f32_u32_sdwa v18, v14 dst_sel:DWORD dst_unused:UNUSED_PAD src0_sel:WORD_0
	v_cvt_f32_u32_sdwa v19, v14 dst_sel:DWORD dst_unused:UNUSED_PAD src0_sel:WORD_1
	v_cvt_f32_u32_sdwa v32, v15 dst_sel:DWORD dst_unused:UNUSED_PAD src0_sel:WORD_0
	v_cvt_f32_u32_sdwa v33, v15 dst_sel:DWORD dst_unused:UNUSED_PAD src0_sel:WORD_1
	;; [unrolled: 2-line block ×4, first 2 shown]
	s_waitcnt vmcnt(2)
	v_cvt_f32_u32_sdwa v26, v10 dst_sel:DWORD dst_unused:UNUSED_PAD src0_sel:WORD_0
	v_cvt_f32_u32_sdwa v27, v10 dst_sel:DWORD dst_unused:UNUSED_PAD src0_sel:WORD_1
	v_cvt_f32_u32_sdwa v24, v11 dst_sel:DWORD dst_unused:UNUSED_PAD src0_sel:WORD_0
	v_cvt_f32_u32_sdwa v25, v11 dst_sel:DWORD dst_unused:UNUSED_PAD src0_sel:WORD_1
	;; [unrolled: 2-line block ×4, first 2 shown]
.LBB936_28:
	s_or_b64 exec, exec, s[2:3]
	s_waitcnt vmcnt(2)
	v_mul_f32_e32 v10, v19, v19
	v_fmac_f32_e32 v10, v18, v18
	v_fmac_f32_e32 v10, v32, v32
	;; [unrolled: 1-line block ×15, first 2 shown]
	s_nop 1
	v_mov_b32_dpp v11, v10 quad_perm:[1,0,3,2] row_mask:0xf bank_mask:0xf
	v_add_f32_e32 v10, v10, v11
	s_nop 1
	v_mov_b32_dpp v11, v10 quad_perm:[2,3,0,1] row_mask:0xf bank_mask:0xf
	v_add_f32_e32 v10, v10, v11
	s_nop 1
	v_mov_b32_dpp v11, v10 row_half_mirror row_mask:0xf bank_mask:0xf
	v_add_f32_e32 v10, v10, v11
	s_nop 1
	v_mov_b32_dpp v11, v10 row_mirror row_mask:0xf bank_mask:0xf
	v_add_f32_e32 v10, v10, v11
	s_nop 1
	v_mov_b32_dpp v11, v10 row_bcast:15 row_mask:0xf bank_mask:0xf
	v_add_f32_e32 v10, v10, v11
	s_nop 1
	v_mov_b32_dpp v11, v10 row_bcast:31 row_mask:0xf bank_mask:0xf
	s_and_saveexec_b64 s[2:3], s[0:1]
	s_cbranch_execz .LBB936_30
; %bb.29:
	v_lshrrev_b32_e32 v0, 4, v0
	v_add_f32_e32 v10, v10, v11
	v_and_b32_e32 v0, 60, v0
	ds_write_b32 v0, v10
.LBB936_30:
	s_or_b64 exec, exec, s[2:3]
	s_waitcnt lgkmcnt(0)
	s_barrier
	ds_read_b32 v0, v34
	s_waitcnt lgkmcnt(0)
	s_nop 0
	v_mov_b32_dpp v10, v0 quad_perm:[1,0,3,2] row_mask:0xf bank_mask:0xf
	v_add_f32_e32 v0, v0, v10
	s_nop 1
	v_mov_b32_dpp v10, v0 quad_perm:[2,3,0,1] row_mask:0xf bank_mask:0xf
	v_add_f32_e32 v0, v0, v10
	s_nop 1
	v_mov_b32_dpp v10, v0 row_half_mirror row_mask:0xf bank_mask:0xf
	s_and_saveexec_b64 s[0:1], vcc
	s_cbranch_execz .LBB936_12
; %bb.31:
	v_cvt_f32_u32_e32 v11, s20
	v_add_f32_e32 v0, v0, v10
	s_mov_b32 s15, 0x20000
	v_div_scale_f32 v10, s[0:1], v11, v11, v0
	v_rcp_f32_e32 v12, v10
	v_div_scale_f32 v13, vcc, v0, v11, v0
	s_mov_b32 s0, 0x800000
	v_fma_f32 v14, -v10, v12, 1.0
	v_fmac_f32_e32 v12, v14, v12
	v_mul_f32_e32 v14, v13, v12
	v_fma_f32 v15, -v10, v14, v13
	v_fmac_f32_e32 v14, v15, v12
	v_fma_f32 v10, -v10, v14, v13
	v_div_fmas_f32 v10, v10, v12, v14
	v_div_fixup_f32 v0, v10, v11, v0
	v_add_f32_e32 v0, s17, v0
	v_mul_f32_e32 v10, 0x4b800000, v0
	v_cmp_gt_f32_e32 vcc, s0, v0
	v_cndmask_b32_e32 v0, v0, v10, vcc
	v_rsq_f32_e32 v0, v0
	s_mul_hi_i32 s1, s7, s6
	s_mul_i32 s0, s7, s6
	s_lshl_b64 s[0:1], s[0:1], 1
	v_mul_f32_e32 v10, 0x45800000, v0
	v_cndmask_b32_e32 v10, v0, v10, vcc
	v_mov_b32_e32 v11, v10
	s_add_u32 s12, s28, s0
	;;#ASMSTART
	v_pk_mul_f32 v[12:13], v[18:19], v[10:11]
	;;#ASMEND
	;;#ASMSTART
	v_pk_mul_f32 v[14:15], v[32:33], v[10:11]
	;;#ASMEND
	;; [unrolled: 3-line block ×8, first 2 shown]
	s_waitcnt vmcnt(1)
	v_cvt_f32_u32_sdwa v21, v6 dst_sel:DWORD dst_unused:UNUSED_PAD src0_sel:WORD_1
	v_cvt_f32_u32_sdwa v20, v6 dst_sel:DWORD dst_unused:UNUSED_PAD src0_sel:WORD_0
	v_cvt_f32_u32_sdwa v29, v7 dst_sel:DWORD dst_unused:UNUSED_PAD src0_sel:WORD_1
	v_cvt_f32_u32_sdwa v28, v7 dst_sel:DWORD dst_unused:UNUSED_PAD src0_sel:WORD_0
	;; [unrolled: 2-line block ×3, first 2 shown]
	s_addc_u32 s0, s29, s1
	v_cvt_f32_u32_sdwa v31, v9 dst_sel:DWORD dst_unused:UNUSED_PAD src0_sel:WORD_1
	v_cvt_f32_u32_sdwa v30, v9 dst_sel:DWORD dst_unused:UNUSED_PAD src0_sel:WORD_0
	;;#ASMSTART
	v_pk_mul_f32 v[8:9], v[12:13], v[20:21]
	;;#ASMEND
	;;#ASMSTART
	v_pk_mul_f32 v[12:13], v[14:15], v[28:29]
	;;#ASMEND
	;; [unrolled: 3-line block ×4, first 2 shown]
	s_waitcnt vmcnt(0)
	v_cvt_f32_u32_sdwa v17, v2 dst_sel:DWORD dst_unused:UNUSED_PAD src0_sel:WORD_1
	v_cvt_f32_u32_sdwa v16, v2 dst_sel:DWORD dst_unused:UNUSED_PAD src0_sel:WORD_0
	v_cvt_f32_u32_sdwa v19, v3 dst_sel:DWORD dst_unused:UNUSED_PAD src0_sel:WORD_1
	v_cvt_f32_u32_sdwa v18, v3 dst_sel:DWORD dst_unused:UNUSED_PAD src0_sel:WORD_0
	;; [unrolled: 2-line block ×3, first 2 shown]
	s_and_b32 s13, s0, 0xffff
	s_mov_b32 s0, 0x7060302
	v_cvt_f32_u32_sdwa v21, v5 dst_sel:DWORD dst_unused:UNUSED_PAD src0_sel:WORD_1
	v_cvt_f32_u32_sdwa v20, v5 dst_sel:DWORD dst_unused:UNUSED_PAD src0_sel:WORD_0
	;;#ASMSTART
	v_pk_mul_f32 v[16:17], v[26:27], v[16:17]
	;;#ASMEND
	;;#ASMSTART
	v_pk_mul_f32 v[18:19], v[24:25], v[18:19]
	;;#ASMEND
	;; [unrolled: 3-line block ×3, first 2 shown]
	v_perm_b32 v2, v9, v8, s0
	v_perm_b32 v3, v13, v12, s0
	;; [unrolled: 1-line block ×4, first 2 shown]
	;;#ASMSTART
	v_pk_mul_f32 v[10:11], v[10:11], v[20:21]
	;;#ASMEND
	buffer_store_dwordx4 v[2:5], v1, s[12:15], 0 offen
	;;#ASMSTART
	s_nop 0
	;;#ASMEND
	s_nop 0
	v_perm_b32 v2, v17, v16, s0
	v_perm_b32 v3, v19, v18, s0
	;; [unrolled: 1-line block ×4, first 2 shown]
	buffer_store_dwordx4 v[2:5], v1, s[12:15], 16 offen
	;;#ASMSTART
	s_nop 0
	;;#ASMEND
	s_endpgm
	.section	.rodata,"a",@progbits
	.p2align	6, 0x0
	.amdhsa_kernel _ZN5aiter35fused_qk_rmsnorm_group_quant_kernelItN4opus5fp4_tELi512ELi16ELi8ELb0ELb0ELb0ELb0ELb0ELb0EEEvPT0_PvPT_S7_S7_PKS6_S9_S9_S9_S9_ffiiiiiiiiiiiii
		.amdhsa_group_segment_fixed_size 64
		.amdhsa_private_segment_fixed_size 0
		.amdhsa_kernarg_size 400
		.amdhsa_user_sgpr_count 6
		.amdhsa_user_sgpr_private_segment_buffer 1
		.amdhsa_user_sgpr_dispatch_ptr 0
		.amdhsa_user_sgpr_queue_ptr 0
		.amdhsa_user_sgpr_kernarg_segment_ptr 1
		.amdhsa_user_sgpr_dispatch_id 0
		.amdhsa_user_sgpr_flat_scratch_init 0
		.amdhsa_user_sgpr_kernarg_preload_length 0
		.amdhsa_user_sgpr_kernarg_preload_offset 0
		.amdhsa_user_sgpr_private_segment_size 0
		.amdhsa_uses_dynamic_stack 0
		.amdhsa_system_sgpr_private_segment_wavefront_offset 0
		.amdhsa_system_sgpr_workgroup_id_x 1
		.amdhsa_system_sgpr_workgroup_id_y 1
		.amdhsa_system_sgpr_workgroup_id_z 0
		.amdhsa_system_sgpr_workgroup_info 0
		.amdhsa_system_vgpr_workitem_id 0
		.amdhsa_next_free_vgpr 36
		.amdhsa_next_free_sgpr 32
		.amdhsa_accum_offset 36
		.amdhsa_reserve_vcc 1
		.amdhsa_reserve_flat_scratch 0
		.amdhsa_float_round_mode_32 0
		.amdhsa_float_round_mode_16_64 0
		.amdhsa_float_denorm_mode_32 3
		.amdhsa_float_denorm_mode_16_64 3
		.amdhsa_dx10_clamp 1
		.amdhsa_ieee_mode 1
		.amdhsa_fp16_overflow 0
		.amdhsa_tg_split 0
		.amdhsa_exception_fp_ieee_invalid_op 0
		.amdhsa_exception_fp_denorm_src 0
		.amdhsa_exception_fp_ieee_div_zero 0
		.amdhsa_exception_fp_ieee_overflow 0
		.amdhsa_exception_fp_ieee_underflow 0
		.amdhsa_exception_fp_ieee_inexact 0
		.amdhsa_exception_int_div_zero 0
	.end_amdhsa_kernel
	.section	.text._ZN5aiter35fused_qk_rmsnorm_group_quant_kernelItN4opus5fp4_tELi512ELi16ELi8ELb0ELb0ELb0ELb0ELb0ELb0EEEvPT0_PvPT_S7_S7_PKS6_S9_S9_S9_S9_ffiiiiiiiiiiiii,"axG",@progbits,_ZN5aiter35fused_qk_rmsnorm_group_quant_kernelItN4opus5fp4_tELi512ELi16ELi8ELb0ELb0ELb0ELb0ELb0ELb0EEEvPT0_PvPT_S7_S7_PKS6_S9_S9_S9_S9_ffiiiiiiiiiiiii,comdat
.Lfunc_end936:
	.size	_ZN5aiter35fused_qk_rmsnorm_group_quant_kernelItN4opus5fp4_tELi512ELi16ELi8ELb0ELb0ELb0ELb0ELb0ELb0EEEvPT0_PvPT_S7_S7_PKS6_S9_S9_S9_S9_ffiiiiiiiiiiiii, .Lfunc_end936-_ZN5aiter35fused_qk_rmsnorm_group_quant_kernelItN4opus5fp4_tELi512ELi16ELi8ELb0ELb0ELb0ELb0ELb0ELb0EEEvPT0_PvPT_S7_S7_PKS6_S9_S9_S9_S9_ffiiiiiiiiiiiii
                                        ; -- End function
	.section	.AMDGPU.csdata,"",@progbits
; Kernel info:
; codeLenInByte = 3172
; NumSgprs: 36
; NumVgprs: 36
; NumAgprs: 0
; TotalNumVgprs: 36
; ScratchSize: 0
; MemoryBound: 0
; FloatMode: 240
; IeeeMode: 1
; LDSByteSize: 64 bytes/workgroup (compile time only)
; SGPRBlocks: 4
; VGPRBlocks: 4
; NumSGPRsForWavesPerEU: 36
; NumVGPRsForWavesPerEU: 36
; AccumOffset: 36
; Occupancy: 8
; WaveLimiterHint : 0
; COMPUTE_PGM_RSRC2:SCRATCH_EN: 0
; COMPUTE_PGM_RSRC2:USER_SGPR: 6
; COMPUTE_PGM_RSRC2:TRAP_HANDLER: 0
; COMPUTE_PGM_RSRC2:TGID_X_EN: 1
; COMPUTE_PGM_RSRC2:TGID_Y_EN: 1
; COMPUTE_PGM_RSRC2:TGID_Z_EN: 0
; COMPUTE_PGM_RSRC2:TIDIG_COMP_CNT: 0
; COMPUTE_PGM_RSRC3_GFX90A:ACCUM_OFFSET: 8
; COMPUTE_PGM_RSRC3_GFX90A:TG_SPLIT: 0
	.section	.text._ZN5aiter35fused_qk_rmsnorm_group_quant_kernelIDF16_DB8_Li512ELi16ELi4ELb1ELb1ELb1ELb1ELb0ELb0EEEvPT0_PvPT_S6_S6_PKS5_S8_S8_S8_S8_ffiiiiiiiiiiiii,"axG",@progbits,_ZN5aiter35fused_qk_rmsnorm_group_quant_kernelIDF16_DB8_Li512ELi16ELi4ELb1ELb1ELb1ELb1ELb0ELb0EEEvPT0_PvPT_S6_S6_PKS5_S8_S8_S8_S8_ffiiiiiiiiiiiii,comdat
	.protected	_ZN5aiter35fused_qk_rmsnorm_group_quant_kernelIDF16_DB8_Li512ELi16ELi4ELb1ELb1ELb1ELb1ELb0ELb0EEEvPT0_PvPT_S6_S6_PKS5_S8_S8_S8_S8_ffiiiiiiiiiiiii ; -- Begin function _ZN5aiter35fused_qk_rmsnorm_group_quant_kernelIDF16_DB8_Li512ELi16ELi4ELb1ELb1ELb1ELb1ELb0ELb0EEEvPT0_PvPT_S6_S6_PKS5_S8_S8_S8_S8_ffiiiiiiiiiiiii
	.globl	_ZN5aiter35fused_qk_rmsnorm_group_quant_kernelIDF16_DB8_Li512ELi16ELi4ELb1ELb1ELb1ELb1ELb0ELb0EEEvPT0_PvPT_S6_S6_PKS5_S8_S8_S8_S8_ffiiiiiiiiiiiii
	.p2align	8
	.type	_ZN5aiter35fused_qk_rmsnorm_group_quant_kernelIDF16_DB8_Li512ELi16ELi4ELb1ELb1ELb1ELb1ELb0ELb0EEEvPT0_PvPT_S6_S6_PKS5_S8_S8_S8_S8_ffiiiiiiiiiiiii,@function
_ZN5aiter35fused_qk_rmsnorm_group_quant_kernelIDF16_DB8_Li512ELi16ELi4ELb1ELb1ELb1ELb1ELb0ELb0EEEvPT0_PvPT_S6_S6_PKS5_S8_S8_S8_S8_ffiiiiiiiiiiiii: ; @_ZN5aiter35fused_qk_rmsnorm_group_quant_kernelIDF16_DB8_Li512ELi16ELi4ELb1ELb1ELb1ELb1ELb0ELb0EEEvPT0_PvPT_S6_S6_PKS5_S8_S8_S8_S8_ffiiiiiiiiiiiii
; %bb.0:
	s_load_dwordx8 s[12:19], s[4:5], 0x50
	s_waitcnt lgkmcnt(0)
	s_cmp_ge_i32 s6, s14
	s_cbranch_scc1 .LBB937_17
; %bb.1:
	s_cmp_lg_u32 s7, 0
	s_cselect_b64 s[22:23], -1, 0
	s_cmp_eq_u32 s7, 0
	s_cselect_b64 s[2:3], -1, 0
	s_and_b64 s[0:1], s[2:3], exec
	s_cselect_b32 s7, s15, s16
	s_load_dwordx2 s[10:11], s[4:5], 0x30
	s_load_dwordx2 s[20:21], s[4:5], 0x48
	s_add_i32 s0, s7, 1
	s_lshr_b32 s1, s0, 31
	s_add_i32 s0, s0, s1
	s_lshl_b32 s0, s0, 1
	v_lshlrev_b32_e32 v1, 4, v0
	s_and_b32 s30, s0, -4
	v_cmp_gt_i32_e64 s[0:1], s7, v1
	v_mov_b32_e32 v6, 0
	v_mov_b32_e32 v7, 0
	;; [unrolled: 1-line block ×16, first 2 shown]
	s_and_saveexec_b64 s[8:9], s[0:1]
	s_cbranch_execz .LBB937_3
; %bb.2:
	s_load_dwordx2 s[14:15], s[4:5], 0x28
	s_load_dwordx2 s[26:27], s[4:5], 0x40
	s_and_b64 s[24:25], s[2:3], exec
	s_cselect_b32 s17, s17, s18
	s_mov_b32 s31, 0x20000
	s_waitcnt lgkmcnt(0)
	s_cselect_b32 s25, s15, s11
	s_cselect_b32 s24, s14, s10
	s_mul_hi_i32 s15, s17, s6
	s_mul_i32 s14, s17, s6
	s_lshl_b64 s[14:15], s[14:15], 1
	s_add_u32 s24, s24, s14
	s_addc_u32 s17, s25, s15
	s_and_b64 s[14:15], s[2:3], exec
	s_cselect_b32 s28, s26, s20
	s_cselect_b32 s14, s27, s21
	s_and_b32 s25, s17, 0xffff
	s_mov_b32 s26, s30
	s_mov_b32 s27, s31
	v_lshlrev_b32_e32 v18, 5, v0
	s_and_b32 s29, s14, 0xffff
	buffer_load_dwordx4 v[10:13], v18, s[24:27], 0 offen
	buffer_load_dwordx4 v[14:17], v18, s[24:27], 16 offen
	buffer_load_dwordx4 v[6:9], v18, s[28:31], 0 offen
	buffer_load_dwordx4 v[2:5], v18, s[28:31], 16 offen
.LBB937_3:
	s_or_b64 exec, exec, s[8:9]
	s_load_dwordx4 s[24:27], s[4:5], 0x7c
	s_and_b64 vcc, exec, s[22:23]
	s_cbranch_vccz .LBB937_7
; %bb.4:
	v_mov_b32_e32 v19, 0
	v_mov_b32_e32 v18, 0
	;; [unrolled: 1-line block ×16, first 2 shown]
	s_and_saveexec_b64 s[8:9], s[0:1]
	s_cbranch_execz .LBB937_6
; %bb.5:
	s_waitcnt vmcnt(3)
	v_cvt_f32_f16_sdwa v27, v10 dst_sel:DWORD dst_unused:UNUSED_PAD src0_sel:WORD_1
	v_cvt_f32_f16_e32 v26, v10
	v_cvt_f32_f16_sdwa v31, v11 dst_sel:DWORD dst_unused:UNUSED_PAD src0_sel:WORD_1
	v_cvt_f32_f16_e32 v30, v11
	;; [unrolled: 2-line block ×4, first 2 shown]
	s_waitcnt vmcnt(2)
	v_cvt_f32_f16_sdwa v21, v14 dst_sel:DWORD dst_unused:UNUSED_PAD src0_sel:WORD_1
	v_cvt_f32_f16_e32 v20, v14
	v_cvt_f32_f16_sdwa v25, v15 dst_sel:DWORD dst_unused:UNUSED_PAD src0_sel:WORD_1
	v_cvt_f32_f16_e32 v24, v15
	;; [unrolled: 2-line block ×4, first 2 shown]
.LBB937_6:
	s_or_b64 exec, exec, s[8:9]
	s_cbranch_execz .LBB937_8
	s_branch .LBB937_11
.LBB937_7:
                                        ; implicit-def: $vgpr19
                                        ; implicit-def: $vgpr23
                                        ; implicit-def: $vgpr25
                                        ; implicit-def: $vgpr21
                                        ; implicit-def: $vgpr33
                                        ; implicit-def: $vgpr29
                                        ; implicit-def: $vgpr31
                                        ; implicit-def: $vgpr27
.LBB937_8:
	v_mov_b32_e32 v19, 0
	v_mov_b32_e32 v18, 0
	v_mov_b32_e32 v23, 0
	v_mov_b32_e32 v22, 0
	v_mov_b32_e32 v25, 0
	v_mov_b32_e32 v24, 0
	v_mov_b32_e32 v21, 0
	v_mov_b32_e32 v20, 0
	v_mov_b32_e32 v33, 0
	v_mov_b32_e32 v32, 0
	v_mov_b32_e32 v29, 0
	v_mov_b32_e32 v28, 0
	v_mov_b32_e32 v31, 0
	v_mov_b32_e32 v30, 0
	v_mov_b32_e32 v27, 0
	v_mov_b32_e32 v26, 0
	s_and_saveexec_b64 s[8:9], s[0:1]
	s_cbranch_execz .LBB937_10
; %bb.9:
	s_load_dwordx2 s[14:15], s[4:5], 0x38
	s_mul_hi_i32 s29, s19, s6
	s_mul_i32 s28, s19, s6
	s_lshl_b64 s[28:29], s[28:29], 1
	s_mov_b32 s31, 0x20000
	s_waitcnt lgkmcnt(0)
	s_add_u32 s28, s14, s28
	s_addc_u32 s14, s15, s29
	s_and_b32 s29, s14, 0xffff
	v_lshlrev_b32_e32 v48, 5, v0
	buffer_load_dwordx4 v[18:21], v48, s[28:31], 16 offen
	buffer_load_dwordx4 v[22:25], v48, s[28:31], 0 offen
	s_waitcnt vmcnt(4)
	v_cvt_f32_f16_sdwa v27, v14 dst_sel:DWORD dst_unused:UNUSED_PAD src0_sel:WORD_1
	v_cvt_f32_f16_e32 v26, v14
	v_cvt_f32_f16_sdwa v29, v15 dst_sel:DWORD dst_unused:UNUSED_PAD src0_sel:WORD_1
	v_cvt_f32_f16_e32 v28, v15
	v_cvt_f32_f16_sdwa v15, v16 dst_sel:DWORD dst_unused:UNUSED_PAD src0_sel:WORD_1
	v_cvt_f32_f16_e32 v14, v16
	v_cvt_f32_f16_sdwa v31, v17 dst_sel:DWORD dst_unused:UNUSED_PAD src0_sel:WORD_1
	v_cvt_f32_f16_e32 v30, v17
	v_cvt_f32_f16_sdwa v17, v10 dst_sel:DWORD dst_unused:UNUSED_PAD src0_sel:WORD_1
	v_cvt_f32_f16_e32 v16, v10
	v_cvt_f32_f16_sdwa v33, v11 dst_sel:DWORD dst_unused:UNUSED_PAD src0_sel:WORD_1
	v_cvt_f32_f16_e32 v32, v11
	v_cvt_f32_f16_sdwa v11, v12 dst_sel:DWORD dst_unused:UNUSED_PAD src0_sel:WORD_1
	v_cvt_f32_f16_e32 v10, v12
	v_cvt_f32_f16_sdwa v35, v13 dst_sel:DWORD dst_unused:UNUSED_PAD src0_sel:WORD_1
	v_cvt_f32_f16_e32 v34, v13
	s_load_dwordx2 s[14:15], s[4:5], 0x20
	s_mul_hi_i32 s27, s26, s6
	s_mul_i32 s26, s26, s6
	s_lshl_b64 s[26:27], s[26:27], 1
	s_waitcnt lgkmcnt(0)
	s_add_u32 s28, s14, s26
	s_addc_u32 s14, s15, s27
	s_and_b32 s29, s14, 0xffff
	s_waitcnt vmcnt(1)
	v_cvt_f32_f16_e32 v12, v18
	v_cvt_f32_f16_sdwa v13, v18 dst_sel:DWORD dst_unused:UNUSED_PAD src0_sel:WORD_1
	v_cvt_f32_f16_e32 v18, v19
	v_cvt_f32_f16_sdwa v19, v19 dst_sel:DWORD dst_unused:UNUSED_PAD src0_sel:WORD_1
	;; [unrolled: 2-line block ×4, first 2 shown]
	s_waitcnt vmcnt(0)
	v_cvt_f32_f16_e32 v40, v22
	v_cvt_f32_f16_sdwa v41, v22 dst_sel:DWORD dst_unused:UNUSED_PAD src0_sel:WORD_1
	v_cvt_f32_f16_e32 v42, v23
	v_cvt_f32_f16_sdwa v43, v23 dst_sel:DWORD dst_unused:UNUSED_PAD src0_sel:WORD_1
	;; [unrolled: 2-line block ×4, first 2 shown]
	v_pk_add_f32 v[20:21], v[26:27], v[12:13]
	v_pk_add_f32 v[24:25], v[28:29], v[18:19]
	;; [unrolled: 1-line block ×8, first 2 shown]
	v_cvt_f16_f32_e32 v10, v27
	v_cvt_f16_f32_e32 v14, v26
	;; [unrolled: 1-line block ×16, first 2 shown]
	v_pack_b32_f16 v13, v17, v13
	v_pack_b32_f16 v12, v16, v12
	;; [unrolled: 1-line block ×8, first 2 shown]
	buffer_store_dwordx4 v[10:13], v48, s[28:31], 0 offen
	;;#ASMSTART
	s_nop 0
	;;#ASMEND
	buffer_store_dwordx4 v[14:17], v48, s[28:31], 16 offen
	;;#ASMSTART
	s_nop 0
	;;#ASMEND
.LBB937_10:
	s_or_b64 exec, exec, s[8:9]
.LBB937_11:
	s_waitcnt vmcnt(3)
	v_mul_f32_e32 v10, v27, v27
	v_fmac_f32_e32 v10, v26, v26
	v_fmac_f32_e32 v10, v30, v30
	;; [unrolled: 1-line block ×15, first 2 shown]
	v_and_b32_e32 v12, 63, v0
	v_cmp_eq_u32_e64 s[8:9], 63, v12
	v_mov_b32_dpp v11, v10 quad_perm:[1,0,3,2] row_mask:0xf bank_mask:0xf
	v_add_f32_e32 v10, v10, v11
	s_nop 1
	v_mov_b32_dpp v11, v10 quad_perm:[2,3,0,1] row_mask:0xf bank_mask:0xf
	v_add_f32_e32 v10, v10, v11
	s_nop 1
	v_mov_b32_dpp v11, v10 row_half_mirror row_mask:0xf bank_mask:0xf
	v_add_f32_e32 v10, v10, v11
	s_nop 1
	v_mov_b32_dpp v11, v10 row_mirror row_mask:0xf bank_mask:0xf
	v_add_f32_e32 v10, v10, v11
	s_nop 1
	v_mov_b32_dpp v11, v10 row_bcast:15 row_mask:0xf bank_mask:0xf
	v_add_f32_e32 v10, v10, v11
	s_nop 1
	v_mov_b32_dpp v11, v10 row_bcast:31 row_mask:0xf bank_mask:0xf
	s_and_saveexec_b64 s[14:15], s[8:9]
	s_cbranch_execz .LBB937_13
; %bb.12:
	v_add_f32_e32 v10, v10, v11
	v_lshrrev_b32_e32 v11, 4, v0
	v_and_b32_e32 v11, 60, v11
	ds_write_b32 v11, v10 offset:32
.LBB937_13:
	s_or_b64 exec, exec, s[14:15]
	v_and_b32_e32 v10, 7, v0
	v_lshlrev_b32_e32 v34, 2, v10
	s_waitcnt lgkmcnt(0)
	s_barrier
	ds_read_b32 v10, v34 offset:32
	s_load_dwordx2 s[14:15], s[4:5], 0x18
	s_waitcnt lgkmcnt(0)
	v_mov_b32_dpp v11, v10 quad_perm:[1,0,3,2] row_mask:0xf bank_mask:0xf
	v_add_f32_e32 v10, v10, v11
	s_nop 1
	v_mov_b32_dpp v11, v10 quad_perm:[2,3,0,1] row_mask:0xf bank_mask:0xf
	v_add_f32_e32 v10, v10, v11
	s_nop 1
	v_mov_b32_dpp v11, v10 row_half_mirror row_mask:0xf bank_mask:0xf
	s_and_saveexec_b64 s[26:27], s[0:1]
	s_cbranch_execnz .LBB937_18
; %bb.14:
	s_or_b64 exec, exec, s[26:27]
	s_mov_b64 s[2:3], -1
	s_and_b64 vcc, exec, s[22:23]
	s_cbranch_vccnz .LBB937_19
.LBB937_15:
	s_andn2_b64 vcc, exec, s[2:3]
	s_cbranch_vccz .LBB937_22
.LBB937_16:
	s_cmp_lt_i32 s16, 1
	s_cbranch_scc0 .LBB937_25
.LBB937_17:
	s_endpgm
.LBB937_18:
	v_cvt_f32_u32_e32 v12, s7
	v_add_f32_e32 v10, v10, v11
	s_waitcnt vmcnt(2)
	v_mov_b32_e32 v14, s13
	v_mov_b32_e32 v15, s12
	v_div_scale_f32 v11, s[28:29], v12, v12, v10
	v_rcp_f32_e32 v13, v11
	v_cndmask_b32_e64 v14, v14, v15, s[2:3]
	s_mov_b32 s2, 0x800000
	v_fma_f32 v15, -v11, v13, 1.0
	v_fmac_f32_e32 v13, v15, v13
	v_div_scale_f32 v15, vcc, v10, v12, v10
	v_mul_f32_e32 v16, v15, v13
	v_fma_f32 v17, -v11, v16, v15
	v_fmac_f32_e32 v16, v17, v13
	v_fma_f32 v11, -v11, v16, v15
	v_div_fmas_f32 v11, v11, v13, v16
	v_div_fixup_f32 v10, v11, v12, v10
	v_add_f32_e32 v10, v14, v10
	v_mul_f32_e32 v11, 0x4b800000, v10
	v_cmp_gt_f32_e32 vcc, s2, v10
	v_cndmask_b32_e32 v10, v10, v11, vcc
	v_rsq_f32_e32 v10, v10
	v_mul_f32_e32 v11, 0x45800000, v10
	v_cndmask_b32_e32 v10, v10, v11, vcc
	v_mov_b32_e32 v11, v10
	;;#ASMSTART
	v_pk_mul_f32 v[12:13], v[26:27], v[10:11]
	;;#ASMEND
	s_waitcnt vmcnt(1)
	v_cvt_f32_f16_sdwa v27, v6 dst_sel:DWORD dst_unused:UNUSED_PAD src0_sel:WORD_1
	v_cvt_f32_f16_e32 v26, v6
	;;#ASMSTART
	v_pk_mul_f32 v[14:15], v[30:31], v[10:11]
	;;#ASMEND
	;;#ASMSTART
	v_pk_mul_f32 v[16:17], v[28:29], v[10:11]
	;;#ASMEND
	v_cvt_f32_f16_sdwa v29, v7 dst_sel:DWORD dst_unused:UNUSED_PAD src0_sel:WORD_1
	v_cvt_f32_f16_e32 v28, v7
	;;#ASMSTART
	v_pk_mul_f32 v[32:33], v[32:33], v[10:11]
	;;#ASMEND
	;;#ASMSTART
	v_pk_mul_f32 v[20:21], v[20:21], v[10:11]
	;;#ASMEND
	;;#ASMSTART
	v_pk_mul_f32 v[24:25], v[24:25], v[10:11]
	;;#ASMEND
	;;#ASMSTART
	v_pk_mul_f32 v[22:23], v[22:23], v[10:11]
	;;#ASMEND
	;;#ASMSTART
	v_pk_mul_f32 v[6:7], v[18:19], v[10:11]
	;;#ASMEND
	v_pk_add_f32 v[10:11], v[26:27], 1.0 op_sel_hi:[1,0]
	;;#ASMSTART
	v_pk_mul_f32 v[26:27], v[12:13], v[10:11]
	;;#ASMEND
	v_cvt_f32_f16_sdwa v13, v8 dst_sel:DWORD dst_unused:UNUSED_PAD src0_sel:WORD_1
	v_cvt_f32_f16_e32 v12, v8
	v_cvt_f32_f16_sdwa v19, v9 dst_sel:DWORD dst_unused:UNUSED_PAD src0_sel:WORD_1
	v_cvt_f32_f16_e32 v18, v9
	v_pk_add_f32 v[10:11], v[28:29], 1.0 op_sel_hi:[1,0]
	;;#ASMSTART
	v_pk_mul_f32 v[30:31], v[14:15], v[10:11]
	;;#ASMEND
	s_waitcnt vmcnt(0)
	v_cvt_f32_f16_sdwa v11, v2 dst_sel:DWORD dst_unused:UNUSED_PAD src0_sel:WORD_1
	v_cvt_f32_f16_e32 v10, v2
	v_pk_add_f32 v[8:9], v[12:13], 1.0 op_sel_hi:[1,0]
	;;#ASMSTART
	v_pk_mul_f32 v[28:29], v[16:17], v[8:9]
	;;#ASMEND
	v_pk_add_f32 v[8:9], v[18:19], 1.0 op_sel_hi:[1,0]
	v_cvt_f32_f16_sdwa v13, v3 dst_sel:DWORD dst_unused:UNUSED_PAD src0_sel:WORD_1
	v_cvt_f32_f16_e32 v12, v3
	;;#ASMSTART
	v_pk_mul_f32 v[32:33], v[32:33], v[8:9]
	;;#ASMEND
	v_cvt_f32_f16_sdwa v9, v4 dst_sel:DWORD dst_unused:UNUSED_PAD src0_sel:WORD_1
	v_cvt_f32_f16_e32 v8, v4
	v_pk_add_f32 v[2:3], v[10:11], 1.0 op_sel_hi:[1,0]
	v_cvt_f32_f16_sdwa v11, v5 dst_sel:DWORD dst_unused:UNUSED_PAD src0_sel:WORD_1
	v_cvt_f32_f16_e32 v10, v5
	;;#ASMSTART
	v_pk_mul_f32 v[20:21], v[20:21], v[2:3]
	;;#ASMEND
	v_pk_add_f32 v[2:3], v[12:13], 1.0 op_sel_hi:[1,0]
	;;#ASMSTART
	v_pk_mul_f32 v[24:25], v[24:25], v[2:3]
	;;#ASMEND
	v_pk_add_f32 v[2:3], v[8:9], 1.0 op_sel_hi:[1,0]
	;;#ASMSTART
	v_pk_mul_f32 v[22:23], v[22:23], v[2:3]
	;;#ASMEND
	v_pk_add_f32 v[2:3], v[10:11], 1.0 op_sel_hi:[1,0]
	;;#ASMSTART
	v_pk_mul_f32 v[18:19], v[6:7], v[2:3]
	;;#ASMEND
	s_or_b64 exec, exec, s[26:27]
	s_mov_b64 s[2:3], -1
	s_and_b64 vcc, exec, s[22:23]
	s_cbranch_vccz .LBB937_15
.LBB937_19:
	s_and_saveexec_b64 s[2:3], s[0:1]
	s_cbranch_execz .LBB937_21
; %bb.20:
	s_mul_hi_i32 s23, s25, s6
	s_mul_i32 s22, s25, s6
	s_waitcnt vmcnt(0)
	v_cvt_f16_f32_e32 v2, v26
	v_cvt_f16_f32_e32 v3, v30
	;; [unrolled: 1-line block ×8, first 2 shown]
	s_lshl_b64 s[22:23], s[22:23], 1
	s_add_u32 s28, s14, s22
	s_addc_u32 s7, s15, s23
	s_and_b32 s29, s7, 0xffff
	s_mov_b32 s31, 0x20000
	v_pack_b32_f16 v5, v5, v6
	v_pack_b32_f16 v4, v4, v7
	;; [unrolled: 1-line block ×4, first 2 shown]
	v_lshlrev_b32_e32 v6, 5, v0
	buffer_store_dwordx4 v[2:5], v6, s[28:31], 0 offen
	v_cvt_f16_f32_e32 v7, v19
	v_cvt_f16_f32_e32 v2, v20
	;; [unrolled: 1-line block ×8, first 2 shown]
	v_pack_b32_f16 v5, v5, v7
	v_pack_b32_f16 v4, v4, v8
	;; [unrolled: 1-line block ×4, first 2 shown]
	;;#ASMSTART
	s_nop 0
	;;#ASMEND
	buffer_store_dwordx4 v[2:5], v6, s[28:31], 16 offen
	;;#ASMSTART
	s_nop 0
	;;#ASMEND
.LBB937_21:
	s_or_b64 exec, exec, s[2:3]
	s_cbranch_execnz .LBB937_16
.LBB937_22:
	s_and_saveexec_b64 s[2:3], s[0:1]
	s_cbranch_execz .LBB937_24
; %bb.23:
	s_load_dwordx2 s[0:1], s[4:5], 0x10
	s_mul_hi_i32 s23, s24, s6
	s_mul_i32 s22, s24, s6
	s_waitcnt vmcnt(0)
	v_cvt_f16_f32_e32 v2, v26
	v_cvt_f16_f32_e32 v3, v30
	;; [unrolled: 1-line block ×8, first 2 shown]
	s_lshl_b64 s[22:23], s[22:23], 1
	s_waitcnt lgkmcnt(0)
	s_add_u32 s28, s0, s22
	s_addc_u32 s0, s1, s23
	s_mov_b32 s31, 0x20000
	s_and_b32 s29, s0, 0xffff
	v_pack_b32_f16 v5, v5, v6
	v_pack_b32_f16 v4, v4, v7
	v_pack_b32_f16 v3, v3, v8
	v_pack_b32_f16 v2, v2, v9
	v_lshlrev_b32_e32 v6, 5, v0
	buffer_store_dwordx4 v[2:5], v6, s[28:31], 0 offen
	v_cvt_f16_f32_e32 v7, v19
	v_cvt_f16_f32_e32 v2, v20
	;; [unrolled: 1-line block ×8, first 2 shown]
	v_pack_b32_f16 v5, v5, v7
	v_pack_b32_f16 v4, v4, v8
	v_pack_b32_f16 v3, v3, v9
	v_pack_b32_f16 v2, v2, v10
	;;#ASMSTART
	s_nop 0
	;;#ASMEND
	buffer_store_dwordx4 v[2:5], v6, s[28:31], 16 offen
	;;#ASMSTART
	s_nop 0
	;;#ASMEND
.LBB937_24:
	s_or_b64 exec, exec, s[2:3]
	s_cmp_lt_i32 s16, 1
	s_cbranch_scc1 .LBB937_17
.LBB937_25:
	s_load_dword s0, s[4:5], 0x94
	s_waitcnt lgkmcnt(0)
	s_cmp_lg_u32 s0, 1
	s_cbranch_scc1 .LBB937_17
; %bb.26:
	s_lshl_b32 s0, s16, 1
	s_add_i32 s0, s0, 2
	v_cmp_gt_u32_e32 vcc, s16, v1
	s_and_b32 s22, s0, -4
	v_mov_b32_e32 v18, 0
	v_lshlrev_b32_e32 v1, 5, v0
	s_waitcnt vmcnt(2)
	v_mov_b32_e32 v14, 0
	v_mov_b32_e32 v15, 0
	;; [unrolled: 1-line block ×8, first 2 shown]
	s_waitcnt vmcnt(1)
	v_mov_b32_e32 v6, 0
	v_mov_b32_e32 v7, 0
	;; [unrolled: 1-line block ×4, first 2 shown]
	s_waitcnt vmcnt(0)
	v_mov_b32_e32 v2, 0
	v_mov_b32_e32 v3, 0
	;; [unrolled: 1-line block ×4, first 2 shown]
	s_barrier
	s_and_saveexec_b64 s[0:1], vcc
	s_cbranch_execz .LBB937_28
; %bb.27:
	s_mul_hi_i32 s3, s18, s6
	s_mul_i32 s2, s18, s6
	s_and_b32 s21, s21, 0xffff
	s_lshl_b64 s[2:3], s[2:3], 1
	s_add_u32 s28, s10, s2
	s_mov_b32 s23, 0x20000
	s_addc_u32 s2, s11, s3
	s_and_b32 s29, s2, 0xffff
	s_mov_b32 s30, s22
	s_mov_b32 s31, s23
	buffer_load_dwordx4 v[14:17], v1, s[28:31], 0 offen
	buffer_load_dwordx4 v[10:13], v1, s[28:31], 16 offen
	;; [unrolled: 1-line block ×4, first 2 shown]
.LBB937_28:
	s_or_b64 exec, exec, s[0:1]
	v_mov_b32_e32 v19, 0
	v_mov_b32_e32 v32, 0
	;; [unrolled: 1-line block ×15, first 2 shown]
	s_and_saveexec_b64 s[0:1], vcc
	s_cbranch_execz .LBB937_30
; %bb.29:
	s_waitcnt vmcnt(3)
	v_cvt_f32_f16_sdwa v19, v14 dst_sel:DWORD dst_unused:UNUSED_PAD src0_sel:WORD_1
	v_cvt_f32_f16_e32 v18, v14
	v_cvt_f32_f16_sdwa v33, v15 dst_sel:DWORD dst_unused:UNUSED_PAD src0_sel:WORD_1
	v_cvt_f32_f16_e32 v32, v15
	;; [unrolled: 2-line block ×4, first 2 shown]
	s_waitcnt vmcnt(2)
	v_cvt_f32_f16_sdwa v27, v10 dst_sel:DWORD dst_unused:UNUSED_PAD src0_sel:WORD_1
	v_cvt_f32_f16_e32 v26, v10
	v_cvt_f32_f16_sdwa v25, v11 dst_sel:DWORD dst_unused:UNUSED_PAD src0_sel:WORD_1
	v_cvt_f32_f16_e32 v24, v11
	;; [unrolled: 2-line block ×4, first 2 shown]
.LBB937_30:
	s_or_b64 exec, exec, s[0:1]
	s_waitcnt vmcnt(2)
	v_mul_f32_e32 v10, v19, v19
	v_fmac_f32_e32 v10, v18, v18
	v_fmac_f32_e32 v10, v32, v32
	;; [unrolled: 1-line block ×15, first 2 shown]
	s_nop 1
	v_mov_b32_dpp v11, v10 quad_perm:[1,0,3,2] row_mask:0xf bank_mask:0xf
	v_add_f32_e32 v10, v10, v11
	s_nop 1
	v_mov_b32_dpp v11, v10 quad_perm:[2,3,0,1] row_mask:0xf bank_mask:0xf
	v_add_f32_e32 v10, v10, v11
	s_nop 1
	v_mov_b32_dpp v11, v10 row_half_mirror row_mask:0xf bank_mask:0xf
	v_add_f32_e32 v10, v10, v11
	s_nop 1
	v_mov_b32_dpp v11, v10 row_mirror row_mask:0xf bank_mask:0xf
	v_add_f32_e32 v10, v10, v11
	s_nop 1
	v_mov_b32_dpp v11, v10 row_bcast:15 row_mask:0xf bank_mask:0xf
	v_add_f32_e32 v10, v10, v11
	s_nop 1
	v_mov_b32_dpp v11, v10 row_bcast:31 row_mask:0xf bank_mask:0xf
	s_and_saveexec_b64 s[0:1], s[8:9]
	s_cbranch_execz .LBB937_32
; %bb.31:
	v_lshrrev_b32_e32 v0, 4, v0
	v_add_f32_e32 v10, v10, v11
	v_and_b32_e32 v0, 60, v0
	ds_write_b32 v0, v10
.LBB937_32:
	s_or_b64 exec, exec, s[0:1]
	s_waitcnt lgkmcnt(0)
	s_barrier
	ds_read_b32 v0, v34
	s_waitcnt lgkmcnt(0)
	s_nop 0
	v_mov_b32_dpp v10, v0 quad_perm:[1,0,3,2] row_mask:0xf bank_mask:0xf
	v_add_f32_e32 v0, v0, v10
	s_nop 1
	v_mov_b32_dpp v10, v0 quad_perm:[2,3,0,1] row_mask:0xf bank_mask:0xf
	v_add_f32_e32 v0, v0, v10
	s_nop 1
	v_mov_b32_dpp v10, v0 row_half_mirror row_mask:0xf bank_mask:0xf
	s_and_saveexec_b64 s[0:1], vcc
	s_cbranch_execz .LBB937_17
; %bb.33:
	v_cvt_f32_u32_e32 v11, s16
	v_add_f32_e32 v0, v0, v10
	s_mov_b32 s23, 0x20000
	v_div_scale_f32 v10, s[0:1], v11, v11, v0
	v_rcp_f32_e32 v12, v10
	v_div_scale_f32 v13, vcc, v0, v11, v0
	s_mov_b32 s0, 0x800000
	v_fma_f32 v14, -v10, v12, 1.0
	v_fmac_f32_e32 v12, v14, v12
	v_mul_f32_e32 v14, v13, v12
	v_fma_f32 v15, -v10, v14, v13
	v_fmac_f32_e32 v14, v15, v12
	v_fma_f32 v10, -v10, v14, v13
	v_div_fmas_f32 v10, v10, v12, v14
	v_div_fixup_f32 v0, v10, v11, v0
	v_add_f32_e32 v0, s13, v0
	v_mul_f32_e32 v10, 0x4b800000, v0
	v_cmp_gt_f32_e32 vcc, s0, v0
	v_cndmask_b32_e32 v0, v0, v10, vcc
	v_rsq_f32_e32 v0, v0
	s_mul_hi_i32 s1, s25, s6
	s_mul_i32 s0, s25, s6
	s_lshl_b64 s[0:1], s[0:1], 1
	v_mul_f32_e32 v10, 0x45800000, v0
	v_cndmask_b32_e32 v10, v0, v10, vcc
	v_mov_b32_e32 v11, v10
	;;#ASMSTART
	v_pk_mul_f32 v[12:13], v[18:19], v[10:11]
	;;#ASMEND
	;;#ASMSTART
	v_pk_mul_f32 v[14:15], v[32:33], v[10:11]
	;;#ASMEND
	;; [unrolled: 3-line block ×4, first 2 shown]
	s_waitcnt vmcnt(1)
	v_cvt_f32_f16_sdwa v29, v6 dst_sel:DWORD dst_unused:UNUSED_PAD src0_sel:WORD_1
	v_cvt_f32_f16_e32 v28, v6
	v_cvt_f32_f16_sdwa v31, v7 dst_sel:DWORD dst_unused:UNUSED_PAD src0_sel:WORD_1
	v_cvt_f32_f16_e32 v30, v7
	;;#ASMSTART
	v_pk_mul_f32 v[26:27], v[26:27], v[10:11]
	;;#ASMEND
	;;#ASMSTART
	v_pk_mul_f32 v[24:25], v[24:25], v[10:11]
	;;#ASMEND
	;;#ASMSTART
	v_pk_mul_f32 v[22:23], v[22:23], v[10:11]
	;;#ASMEND
	;;#ASMSTART
	v_pk_mul_f32 v[6:7], v[20:21], v[10:11]
	;;#ASMEND
	v_cvt_f32_f16_sdwa v21, v8 dst_sel:DWORD dst_unused:UNUSED_PAD src0_sel:WORD_1
	v_cvt_f32_f16_e32 v20, v8
	v_pk_add_f32 v[10:11], v[28:29], 1.0 op_sel_hi:[1,0]
	;;#ASMSTART
	v_pk_mul_f32 v[10:11], v[12:13], v[10:11]
	;;#ASMEND
	v_pk_add_f32 v[12:13], v[30:31], 1.0 op_sel_hi:[1,0]
	v_cvt_f32_f16_sdwa v29, v9 dst_sel:DWORD dst_unused:UNUSED_PAD src0_sel:WORD_1
	v_cvt_f32_f16_e32 v28, v9
	;;#ASMSTART
	v_pk_mul_f32 v[8:9], v[14:15], v[12:13]
	;;#ASMEND
	v_pk_add_f32 v[12:13], v[20:21], 1.0 op_sel_hi:[1,0]
	;;#ASMSTART
	v_pk_mul_f32 v[12:13], v[16:17], v[12:13]
	;;#ASMEND
	s_waitcnt vmcnt(0)
	v_cvt_f32_f16_sdwa v17, v2 dst_sel:DWORD dst_unused:UNUSED_PAD src0_sel:WORD_1
	v_cvt_f32_f16_e32 v16, v2
	v_cvt_f32_f16_sdwa v21, v3 dst_sel:DWORD dst_unused:UNUSED_PAD src0_sel:WORD_1
	v_cvt_f32_f16_e32 v20, v3
	v_pk_add_f32 v[14:15], v[28:29], 1.0 op_sel_hi:[1,0]
	;;#ASMSTART
	v_pk_mul_f32 v[2:3], v[18:19], v[14:15]
	;;#ASMEND
	v_cvt_f32_f16_sdwa v19, v4 dst_sel:DWORD dst_unused:UNUSED_PAD src0_sel:WORD_1
	v_cvt_f32_f16_e32 v18, v4
	v_pk_add_f32 v[14:15], v[16:17], 1.0 op_sel_hi:[1,0]
	v_pk_add_f32 v[16:17], v[20:21], 1.0 op_sel_hi:[1,0]
	v_cvt_f32_f16_sdwa v21, v5 dst_sel:DWORD dst_unused:UNUSED_PAD src0_sel:WORD_1
	v_cvt_f32_f16_e32 v20, v5
	v_pk_add_f32 v[4:5], v[18:19], 1.0 op_sel_hi:[1,0]
	;;#ASMSTART
	v_pk_mul_f32 v[14:15], v[26:27], v[14:15]
	;;#ASMEND
	;;#ASMSTART
	v_pk_mul_f32 v[16:17], v[24:25], v[16:17]
	;;#ASMEND
	;; [unrolled: 3-line block ×3, first 2 shown]
	v_pk_add_f32 v[4:5], v[20:21], 1.0 op_sel_hi:[1,0]
	;;#ASMSTART
	v_pk_mul_f32 v[6:7], v[6:7], v[4:5]
	;;#ASMEND
	v_cvt_f16_f32_e32 v0, v10
	v_cvt_f16_f32_e32 v4, v11
	;; [unrolled: 1-line block ×8, first 2 shown]
	s_add_u32 s20, s14, s0
	s_addc_u32 s0, s15, s1
	s_and_b32 s21, s0, 0xffff
	v_pack_b32_f16 v2, v0, v4
	v_pack_b32_f16 v3, v5, v8
	;; [unrolled: 1-line block ×4, first 2 shown]
	buffer_store_dwordx4 v[2:5], v1, s[20:23], 0 offen
	v_cvt_f16_f32_e32 v0, v14
	v_cvt_f16_f32_e32 v2, v15
	;; [unrolled: 1-line block ×8, first 2 shown]
	v_pack_b32_f16 v2, v0, v2
	v_pack_b32_f16 v3, v3, v4
	;; [unrolled: 1-line block ×4, first 2 shown]
	;;#ASMSTART
	s_nop 0
	;;#ASMEND
	buffer_store_dwordx4 v[2:5], v1, s[20:23], 16 offen
	;;#ASMSTART
	s_nop 0
	;;#ASMEND
	s_endpgm
	.section	.rodata,"a",@progbits
	.p2align	6, 0x0
	.amdhsa_kernel _ZN5aiter35fused_qk_rmsnorm_group_quant_kernelIDF16_DB8_Li512ELi16ELi4ELb1ELb1ELb1ELb1ELb0ELb0EEEvPT0_PvPT_S6_S6_PKS5_S8_S8_S8_S8_ffiiiiiiiiiiiii
		.amdhsa_group_segment_fixed_size 64
		.amdhsa_private_segment_fixed_size 0
		.amdhsa_kernarg_size 400
		.amdhsa_user_sgpr_count 6
		.amdhsa_user_sgpr_private_segment_buffer 1
		.amdhsa_user_sgpr_dispatch_ptr 0
		.amdhsa_user_sgpr_queue_ptr 0
		.amdhsa_user_sgpr_kernarg_segment_ptr 1
		.amdhsa_user_sgpr_dispatch_id 0
		.amdhsa_user_sgpr_flat_scratch_init 0
		.amdhsa_user_sgpr_kernarg_preload_length 0
		.amdhsa_user_sgpr_kernarg_preload_offset 0
		.amdhsa_user_sgpr_private_segment_size 0
		.amdhsa_uses_dynamic_stack 0
		.amdhsa_system_sgpr_private_segment_wavefront_offset 0
		.amdhsa_system_sgpr_workgroup_id_x 1
		.amdhsa_system_sgpr_workgroup_id_y 1
		.amdhsa_system_sgpr_workgroup_id_z 0
		.amdhsa_system_sgpr_workgroup_info 0
		.amdhsa_system_vgpr_workitem_id 0
		.amdhsa_next_free_vgpr 49
		.amdhsa_next_free_sgpr 32
		.amdhsa_accum_offset 52
		.amdhsa_reserve_vcc 1
		.amdhsa_reserve_flat_scratch 0
		.amdhsa_float_round_mode_32 0
		.amdhsa_float_round_mode_16_64 0
		.amdhsa_float_denorm_mode_32 3
		.amdhsa_float_denorm_mode_16_64 3
		.amdhsa_dx10_clamp 1
		.amdhsa_ieee_mode 1
		.amdhsa_fp16_overflow 0
		.amdhsa_tg_split 0
		.amdhsa_exception_fp_ieee_invalid_op 0
		.amdhsa_exception_fp_denorm_src 0
		.amdhsa_exception_fp_ieee_div_zero 0
		.amdhsa_exception_fp_ieee_overflow 0
		.amdhsa_exception_fp_ieee_underflow 0
		.amdhsa_exception_fp_ieee_inexact 0
		.amdhsa_exception_int_div_zero 0
	.end_amdhsa_kernel
	.section	.text._ZN5aiter35fused_qk_rmsnorm_group_quant_kernelIDF16_DB8_Li512ELi16ELi4ELb1ELb1ELb1ELb1ELb0ELb0EEEvPT0_PvPT_S6_S6_PKS5_S8_S8_S8_S8_ffiiiiiiiiiiiii,"axG",@progbits,_ZN5aiter35fused_qk_rmsnorm_group_quant_kernelIDF16_DB8_Li512ELi16ELi4ELb1ELb1ELb1ELb1ELb0ELb0EEEvPT0_PvPT_S6_S6_PKS5_S8_S8_S8_S8_ffiiiiiiiiiiiii,comdat
.Lfunc_end937:
	.size	_ZN5aiter35fused_qk_rmsnorm_group_quant_kernelIDF16_DB8_Li512ELi16ELi4ELb1ELb1ELb1ELb1ELb0ELb0EEEvPT0_PvPT_S6_S6_PKS5_S8_S8_S8_S8_ffiiiiiiiiiiiii, .Lfunc_end937-_ZN5aiter35fused_qk_rmsnorm_group_quant_kernelIDF16_DB8_Li512ELi16ELi4ELb1ELb1ELb1ELb1ELb0ELb0EEEvPT0_PvPT_S6_S6_PKS5_S8_S8_S8_S8_ffiiiiiiiiiiiii
                                        ; -- End function
	.section	.AMDGPU.csdata,"",@progbits
; Kernel info:
; codeLenInByte = 3640
; NumSgprs: 36
; NumVgprs: 49
; NumAgprs: 0
; TotalNumVgprs: 49
; ScratchSize: 0
; MemoryBound: 0
; FloatMode: 240
; IeeeMode: 1
; LDSByteSize: 64 bytes/workgroup (compile time only)
; SGPRBlocks: 4
; VGPRBlocks: 6
; NumSGPRsForWavesPerEU: 36
; NumVGPRsForWavesPerEU: 49
; AccumOffset: 52
; Occupancy: 8
; WaveLimiterHint : 0
; COMPUTE_PGM_RSRC2:SCRATCH_EN: 0
; COMPUTE_PGM_RSRC2:USER_SGPR: 6
; COMPUTE_PGM_RSRC2:TRAP_HANDLER: 0
; COMPUTE_PGM_RSRC2:TGID_X_EN: 1
; COMPUTE_PGM_RSRC2:TGID_Y_EN: 1
; COMPUTE_PGM_RSRC2:TGID_Z_EN: 0
; COMPUTE_PGM_RSRC2:TIDIG_COMP_CNT: 0
; COMPUTE_PGM_RSRC3_GFX90A:ACCUM_OFFSET: 12
; COMPUTE_PGM_RSRC3_GFX90A:TG_SPLIT: 0
	.section	.text._ZN5aiter35fused_qk_rmsnorm_group_quant_kernelItDB8_Li512ELi16ELi4ELb1ELb1ELb1ELb1ELb0ELb0EEEvPT0_PvPT_S6_S6_PKS5_S8_S8_S8_S8_ffiiiiiiiiiiiii,"axG",@progbits,_ZN5aiter35fused_qk_rmsnorm_group_quant_kernelItDB8_Li512ELi16ELi4ELb1ELb1ELb1ELb1ELb0ELb0EEEvPT0_PvPT_S6_S6_PKS5_S8_S8_S8_S8_ffiiiiiiiiiiiii,comdat
	.protected	_ZN5aiter35fused_qk_rmsnorm_group_quant_kernelItDB8_Li512ELi16ELi4ELb1ELb1ELb1ELb1ELb0ELb0EEEvPT0_PvPT_S6_S6_PKS5_S8_S8_S8_S8_ffiiiiiiiiiiiii ; -- Begin function _ZN5aiter35fused_qk_rmsnorm_group_quant_kernelItDB8_Li512ELi16ELi4ELb1ELb1ELb1ELb1ELb0ELb0EEEvPT0_PvPT_S6_S6_PKS5_S8_S8_S8_S8_ffiiiiiiiiiiiii
	.globl	_ZN5aiter35fused_qk_rmsnorm_group_quant_kernelItDB8_Li512ELi16ELi4ELb1ELb1ELb1ELb1ELb0ELb0EEEvPT0_PvPT_S6_S6_PKS5_S8_S8_S8_S8_ffiiiiiiiiiiiii
	.p2align	8
	.type	_ZN5aiter35fused_qk_rmsnorm_group_quant_kernelItDB8_Li512ELi16ELi4ELb1ELb1ELb1ELb1ELb0ELb0EEEvPT0_PvPT_S6_S6_PKS5_S8_S8_S8_S8_ffiiiiiiiiiiiii,@function
_ZN5aiter35fused_qk_rmsnorm_group_quant_kernelItDB8_Li512ELi16ELi4ELb1ELb1ELb1ELb1ELb0ELb0EEEvPT0_PvPT_S6_S6_PKS5_S8_S8_S8_S8_ffiiiiiiiiiiiii: ; @_ZN5aiter35fused_qk_rmsnorm_group_quant_kernelItDB8_Li512ELi16ELi4ELb1ELb1ELb1ELb1ELb0ELb0EEEvPT0_PvPT_S6_S6_PKS5_S8_S8_S8_S8_ffiiiiiiiiiiiii
; %bb.0:
	s_load_dwordx8 s[12:19], s[4:5], 0x50
	s_waitcnt lgkmcnt(0)
	s_cmp_ge_i32 s6, s14
	s_cbranch_scc1 .LBB938_17
; %bb.1:
	s_cmp_lg_u32 s7, 0
	s_cselect_b64 s[22:23], -1, 0
	s_cmp_eq_u32 s7, 0
	s_cselect_b64 s[2:3], -1, 0
	s_and_b64 s[0:1], s[2:3], exec
	s_cselect_b32 s7, s15, s16
	s_load_dwordx2 s[10:11], s[4:5], 0x30
	s_load_dwordx2 s[20:21], s[4:5], 0x48
	s_add_i32 s0, s7, 1
	s_lshr_b32 s1, s0, 31
	s_add_i32 s0, s0, s1
	s_lshl_b32 s0, s0, 1
	v_lshlrev_b32_e32 v1, 4, v0
	s_and_b32 s30, s0, -4
	v_cmp_gt_i32_e64 s[0:1], s7, v1
	v_mov_b32_e32 v62, 0
	v_mov_b32_e32 v63, 0
	;; [unrolled: 1-line block ×16, first 2 shown]
	s_and_saveexec_b64 s[8:9], s[0:1]
	s_cbranch_execz .LBB938_3
; %bb.2:
	s_load_dwordx2 s[14:15], s[4:5], 0x28
	s_load_dwordx2 s[26:27], s[4:5], 0x40
	s_and_b64 s[24:25], s[2:3], exec
	s_cselect_b32 s17, s17, s18
	s_mov_b32 s31, 0x20000
	s_waitcnt lgkmcnt(0)
	s_cselect_b32 s25, s15, s11
	s_cselect_b32 s24, s14, s10
	s_mul_hi_i32 s15, s17, s6
	s_mul_i32 s14, s17, s6
	s_lshl_b64 s[14:15], s[14:15], 1
	s_add_u32 s24, s24, s14
	s_addc_u32 s17, s25, s15
	s_and_b64 s[14:15], s[2:3], exec
	s_cselect_b32 s28, s26, s20
	s_cselect_b32 s14, s27, s21
	s_and_b32 s25, s17, 0xffff
	s_mov_b32 s26, s30
	s_mov_b32 s27, s31
	v_lshlrev_b32_e32 v2, 5, v0
	s_and_b32 s29, s14, 0xffff
	buffer_load_dwordx4 v[66:69], v2, s[24:27], 0 offen
	buffer_load_dwordx4 v[70:73], v2, s[24:27], 16 offen
	buffer_load_dwordx4 v[62:65], v2, s[28:31], 0 offen
	buffer_load_dwordx4 v[58:61], v2, s[28:31], 16 offen
.LBB938_3:
	s_or_b64 exec, exec, s[8:9]
	s_load_dwordx4 s[24:27], s[4:5], 0x7c
	s_and_b64 vcc, exec, s[22:23]
	s_cbranch_vccz .LBB938_7
; %bb.4:
	v_mov_b32_e32 v75, 0
	v_mov_b32_e32 v74, 0
	;; [unrolled: 1-line block ×16, first 2 shown]
	s_and_saveexec_b64 s[8:9], s[0:1]
	s_cbranch_execz .LBB938_6
; %bb.5:
	s_waitcnt vmcnt(3)
	v_cvt_f32_u32_sdwa v2, v66 dst_sel:DWORD dst_unused:UNUSED_PAD src0_sel:WORD_0
	v_cvt_f32_u32_sdwa v3, v66 dst_sel:DWORD dst_unused:UNUSED_PAD src0_sel:WORD_1
	v_cvt_f32_u32_sdwa v6, v67 dst_sel:DWORD dst_unused:UNUSED_PAD src0_sel:WORD_0
	v_cvt_f32_u32_sdwa v7, v67 dst_sel:DWORD dst_unused:UNUSED_PAD src0_sel:WORD_1
	v_cvt_f32_u32_sdwa v40, v68 dst_sel:DWORD dst_unused:UNUSED_PAD src0_sel:WORD_0
	v_cvt_f32_u32_sdwa v41, v68 dst_sel:DWORD dst_unused:UNUSED_PAD src0_sel:WORD_1
	v_cvt_f32_u32_sdwa v30, v69 dst_sel:DWORD dst_unused:UNUSED_PAD src0_sel:WORD_0
	v_cvt_f32_u32_sdwa v31, v69 dst_sel:DWORD dst_unused:UNUSED_PAD src0_sel:WORD_1
	s_waitcnt vmcnt(2)
	v_cvt_f32_u32_sdwa v50, v70 dst_sel:DWORD dst_unused:UNUSED_PAD src0_sel:WORD_0
	v_cvt_f32_u32_sdwa v51, v70 dst_sel:DWORD dst_unused:UNUSED_PAD src0_sel:WORD_1
	v_cvt_f32_u32_sdwa v24, v71 dst_sel:DWORD dst_unused:UNUSED_PAD src0_sel:WORD_0
	v_cvt_f32_u32_sdwa v25, v71 dst_sel:DWORD dst_unused:UNUSED_PAD src0_sel:WORD_1
	;; [unrolled: 2-line block ×4, first 2 shown]
.LBB938_6:
	s_or_b64 exec, exec, s[8:9]
	s_cbranch_execz .LBB938_8
	s_branch .LBB938_11
.LBB938_7:
                                        ; implicit-def: $vgpr2_vgpr3_vgpr4_vgpr5_vgpr6_vgpr7_vgpr8_vgpr9_vgpr10_vgpr11_vgpr12_vgpr13_vgpr14_vgpr15_vgpr16_vgpr17
                                        ; implicit-def: $vgpr36_vgpr37_vgpr38_vgpr39_vgpr40_vgpr41_vgpr42_vgpr43_vgpr44_vgpr45_vgpr46_vgpr47_vgpr48_vgpr49_vgpr50_vgpr51
                                        ; implicit-def: $vgpr4_vgpr5_vgpr6_vgpr7_vgpr8_vgpr9_vgpr10_vgpr11_vgpr12_vgpr13_vgpr14_vgpr15_vgpr16_vgpr17_vgpr18_vgpr19
                                        ; implicit-def: $vgpr24_vgpr25_vgpr26_vgpr27_vgpr28_vgpr29_vgpr30_vgpr31_vgpr32_vgpr33_vgpr34_vgpr35_vgpr36_vgpr37_vgpr38_vgpr39
                                        ; implicit-def: $vgpr75
                                        ; implicit-def: $vgpr42_vgpr43_vgpr44_vgpr45_vgpr46_vgpr47_vgpr48_vgpr49_vgpr50_vgpr51_vgpr52_vgpr53_vgpr54_vgpr55_vgpr56_vgpr57
                                        ; implicit-def: $vgpr14_vgpr15_vgpr16_vgpr17_vgpr18_vgpr19_vgpr20_vgpr21_vgpr22_vgpr23_vgpr24_vgpr25_vgpr26_vgpr27_vgpr28_vgpr29
                                        ; implicit-def: $vgpr8_vgpr9_vgpr10_vgpr11_vgpr12_vgpr13_vgpr14_vgpr15_vgpr16_vgpr17_vgpr18_vgpr19_vgpr20_vgpr21_vgpr22_vgpr23
.LBB938_8:
	v_mov_b32_e32 v75, 0
	v_mov_b32_e32 v74, 0
	v_mov_b32_e32 v21, 0
	v_mov_b32_e32 v20, 0
	v_mov_b32_e32 v25, 0
	v_mov_b32_e32 v24, 0
	v_mov_b32_e32 v51, 0
	v_mov_b32_e32 v50, 0
	v_mov_b32_e32 v31, 0
	v_mov_b32_e32 v30, 0
	v_mov_b32_e32 v41, 0
	v_mov_b32_e32 v40, 0
	v_mov_b32_e32 v7, 0
	v_mov_b32_e32 v6, 0
	v_mov_b32_e32 v3, 0
	v_mov_b32_e32 v2, 0
	s_and_saveexec_b64 s[8:9], s[0:1]
	s_cbranch_execz .LBB938_10
; %bb.9:
	s_load_dwordx2 s[14:15], s[4:5], 0x38
	s_mul_hi_i32 s29, s19, s6
	s_mul_i32 s28, s19, s6
	s_lshl_b64 s[28:29], s[28:29], 1
	s_mov_b32 s31, 0x20000
	s_waitcnt lgkmcnt(0)
	s_add_u32 s28, s14, s28
	s_addc_u32 s14, s15, s29
	s_and_b32 s29, s14, 0xffff
	v_lshlrev_b32_e32 v38, 5, v0
	buffer_load_dwordx4 v[6:9], v38, s[28:31], 16 offen
	buffer_load_dwordx4 v[10:13], v38, s[28:31], 0 offen
	s_load_dwordx2 s[14:15], s[4:5], 0x20
	s_waitcnt vmcnt(5)
	v_cvt_f32_u32_sdwa v3, v66 dst_sel:DWORD dst_unused:UNUSED_PAD src0_sel:WORD_1
	v_cvt_f32_u32_sdwa v2, v66 dst_sel:DWORD dst_unused:UNUSED_PAD src0_sel:WORD_0
	v_cvt_f32_u32_sdwa v21, v67 dst_sel:DWORD dst_unused:UNUSED_PAD src0_sel:WORD_1
	v_cvt_f32_u32_sdwa v20, v67 dst_sel:DWORD dst_unused:UNUSED_PAD src0_sel:WORD_0
	;; [unrolled: 2-line block ×4, first 2 shown]
	s_waitcnt vmcnt(4)
	v_cvt_f32_u32_sdwa v5, v70 dst_sel:DWORD dst_unused:UNUSED_PAD src0_sel:WORD_1
	v_cvt_f32_u32_sdwa v4, v70 dst_sel:DWORD dst_unused:UNUSED_PAD src0_sel:WORD_0
	v_cvt_f32_u32_sdwa v15, v71 dst_sel:DWORD dst_unused:UNUSED_PAD src0_sel:WORD_1
	v_cvt_f32_u32_sdwa v14, v71 dst_sel:DWORD dst_unused:UNUSED_PAD src0_sel:WORD_0
	;; [unrolled: 2-line block ×3, first 2 shown]
	v_cvt_f32_u32_sdwa v18, v73 dst_sel:DWORD dst_unused:UNUSED_PAD src0_sel:WORD_0
	v_cvt_f32_u32_sdwa v19, v73 dst_sel:DWORD dst_unused:UNUSED_PAD src0_sel:WORD_1
	s_mul_hi_i32 s27, s26, s6
	s_mul_i32 s26, s26, s6
	s_lshl_b64 s[26:27], s[26:27], 1
	s_waitcnt lgkmcnt(0)
	s_add_u32 s28, s14, s26
	s_mov_b32 s17, 0x7060302
	s_addc_u32 s14, s15, s27
	s_and_b32 s29, s14, 0xffff
	s_waitcnt vmcnt(1)
	v_cvt_f32_u32_sdwa v27, v6 dst_sel:DWORD dst_unused:UNUSED_PAD src0_sel:WORD_1
	v_cvt_f32_u32_sdwa v26, v6 dst_sel:DWORD dst_unused:UNUSED_PAD src0_sel:WORD_0
	v_cvt_f32_u32_sdwa v29, v7 dst_sel:DWORD dst_unused:UNUSED_PAD src0_sel:WORD_1
	v_cvt_f32_u32_sdwa v28, v7 dst_sel:DWORD dst_unused:UNUSED_PAD src0_sel:WORD_0
	;; [unrolled: 2-line block ×3, first 2 shown]
	v_cvt_f32_u32_sdwa v34, v9 dst_sel:DWORD dst_unused:UNUSED_PAD src0_sel:WORD_0
	v_cvt_f32_u32_sdwa v35, v9 dst_sel:DWORD dst_unused:UNUSED_PAD src0_sel:WORD_1
	s_waitcnt vmcnt(0)
	v_cvt_f32_u32_sdwa v37, v10 dst_sel:DWORD dst_unused:UNUSED_PAD src0_sel:WORD_1
	v_cvt_f32_u32_sdwa v36, v10 dst_sel:DWORD dst_unused:UNUSED_PAD src0_sel:WORD_0
	v_cvt_f32_u32_sdwa v7, v12 dst_sel:DWORD dst_unused:UNUSED_PAD src0_sel:WORD_1
	v_cvt_f32_u32_sdwa v6, v12 dst_sel:DWORD dst_unused:UNUSED_PAD src0_sel:WORD_0
	;; [unrolled: 2-line block ×4, first 2 shown]
	v_pk_add_f32 v[40:41], v[22:23], v[6:7]
	v_pk_add_f32 v[30:31], v[24:25], v[8:9]
	;; [unrolled: 1-line block ×4, first 2 shown]
	v_perm_b32 v11, v31, v30, s17
	v_perm_b32 v10, v41, v40, s17
	;; [unrolled: 1-line block ×4, first 2 shown]
	v_pk_add_f32 v[74:75], v[18:19], v[34:35]
	v_pk_add_f32 v[20:21], v[16:17], v[32:33]
	;; [unrolled: 1-line block ×4, first 2 shown]
	buffer_store_dwordx4 v[8:11], v38, s[28:31], 0 offen
	;;#ASMSTART
	s_nop 0
	;;#ASMEND
	s_nop 0
	v_perm_b32 v11, v75, v74, s17
	v_perm_b32 v10, v21, v20, s17
	;; [unrolled: 1-line block ×4, first 2 shown]
	buffer_store_dwordx4 v[8:11], v38, s[28:31], 16 offen
	;;#ASMSTART
	s_nop 0
	;;#ASMEND
.LBB938_10:
	s_or_b64 exec, exec, s[8:9]
.LBB938_11:
	v_mul_f32_e32 v4, v3, v3
	v_fmac_f32_e32 v4, v2, v2
	v_fmac_f32_e32 v4, v6, v6
	;; [unrolled: 1-line block ×15, first 2 shown]
	s_nop 1
	v_mov_b32_dpp v5, v4 quad_perm:[1,0,3,2] row_mask:0xf bank_mask:0xf
	v_add_f32_e32 v4, v4, v5
	s_nop 1
	v_mov_b32_dpp v5, v4 quad_perm:[2,3,0,1] row_mask:0xf bank_mask:0xf
	v_add_f32_e32 v4, v4, v5
	s_nop 1
	v_mov_b32_dpp v5, v4 row_half_mirror row_mask:0xf bank_mask:0xf
	v_add_f32_e32 v4, v4, v5
	s_nop 1
	v_mov_b32_dpp v5, v4 row_mirror row_mask:0xf bank_mask:0xf
	v_add_f32_e32 v4, v4, v5
	s_nop 1
	v_mov_b32_dpp v5, v4 row_bcast:15 row_mask:0xf bank_mask:0xf
	v_add_f32_e32 v4, v4, v5
	v_and_b32_e32 v5, 63, v0
	v_cmp_eq_u32_e64 s[8:9], 63, v5
	s_nop 0
	v_mov_b32_dpp v5, v4 row_bcast:31 row_mask:0xf bank_mask:0xf
	s_and_saveexec_b64 s[14:15], s[8:9]
	s_cbranch_execz .LBB938_13
; %bb.12:
	v_add_f32_e32 v4, v4, v5
	v_lshrrev_b32_e32 v5, 4, v0
	v_and_b32_e32 v5, 60, v5
	ds_write_b32 v5, v4 offset:32
.LBB938_13:
	s_or_b64 exec, exec, s[14:15]
	v_and_b32_e32 v4, 7, v0
	v_lshlrev_b32_e32 v34, 2, v4
	s_waitcnt lgkmcnt(0)
	s_barrier
	ds_read_b32 v4, v34 offset:32
	s_load_dwordx2 s[14:15], s[4:5], 0x18
	s_waitcnt lgkmcnt(0)
	v_mov_b32_dpp v5, v4 quad_perm:[1,0,3,2] row_mask:0xf bank_mask:0xf
	v_add_f32_e32 v4, v4, v5
	s_nop 1
	v_mov_b32_dpp v5, v4 quad_perm:[2,3,0,1] row_mask:0xf bank_mask:0xf
	v_add_f32_e32 v4, v4, v5
	s_nop 1
	v_mov_b32_dpp v5, v4 row_half_mirror row_mask:0xf bank_mask:0xf
	s_and_saveexec_b64 s[26:27], s[0:1]
	s_cbranch_execnz .LBB938_18
; %bb.14:
	s_or_b64 exec, exec, s[26:27]
	s_mov_b64 s[2:3], -1
	s_and_b64 vcc, exec, s[22:23]
	s_cbranch_vccnz .LBB938_19
.LBB938_15:
	s_andn2_b64 vcc, exec, s[2:3]
	s_cbranch_vccz .LBB938_22
.LBB938_16:
	s_cmp_lt_i32 s16, 1
	s_cbranch_scc0 .LBB938_25
.LBB938_17:
	s_endpgm
.LBB938_18:
	v_add_f32_e32 v4, v4, v5
	v_cvt_f32_u32_e32 v5, s7
	s_waitcnt vmcnt(1)
	v_cvt_f32_u32_sdwa v15, v62 dst_sel:DWORD dst_unused:UNUSED_PAD src0_sel:WORD_1
	v_cvt_f32_u32_sdwa v14, v62 dst_sel:DWORD dst_unused:UNUSED_PAD src0_sel:WORD_0
	v_cvt_f32_u32_sdwa v23, v65 dst_sel:DWORD dst_unused:UNUSED_PAD src0_sel:WORD_1
	v_div_scale_f32 v8, s[28:29], v5, v5, v4
	v_rcp_f32_e32 v9, v8
	v_pk_add_f32 v[14:15], v[14:15], 1.0 op_sel_hi:[1,0]
	v_cvt_f32_u32_sdwa v22, v65 dst_sel:DWORD dst_unused:UNUSED_PAD src0_sel:WORD_0
	s_waitcnt vmcnt(0)
	v_cvt_f32_u32_sdwa v27, v60 dst_sel:DWORD dst_unused:UNUSED_PAD src0_sel:WORD_1
	v_fma_f32 v10, -v8, v9, 1.0
	v_fmac_f32_e32 v9, v10, v9
	v_div_scale_f32 v10, vcc, v4, v5, v4
	v_mul_f32_e32 v11, v10, v9
	v_fma_f32 v12, -v8, v11, v10
	v_fmac_f32_e32 v11, v12, v9
	v_fma_f32 v8, -v8, v11, v10
	v_div_fmas_f32 v8, v8, v9, v11
	v_div_fixup_f32 v4, v8, v5, v4
	v_mov_b32_e32 v5, s13
	v_mov_b32_e32 v8, s12
	v_cndmask_b32_e64 v5, v5, v8, s[2:3]
	v_add_f32_e32 v4, v5, v4
	s_mov_b32 s2, 0x800000
	v_mul_f32_e32 v5, 0x4b800000, v4
	v_cmp_gt_f32_e32 vcc, s2, v4
	v_cndmask_b32_e32 v4, v4, v5, vcc
	v_rsq_f32_e32 v4, v4
	v_cvt_f32_u32_sdwa v26, v60 dst_sel:DWORD dst_unused:UNUSED_PAD src0_sel:WORD_0
	v_cvt_f32_u32_sdwa v29, v61 dst_sel:DWORD dst_unused:UNUSED_PAD src0_sel:WORD_1
	v_cvt_f32_u32_sdwa v28, v61 dst_sel:DWORD dst_unused:UNUSED_PAD src0_sel:WORD_0
	v_mul_f32_e32 v5, 0x45800000, v4
	v_cndmask_b32_e32 v4, v4, v5, vcc
	v_mov_b32_e32 v5, v4
	;;#ASMSTART
	v_pk_mul_f32 v[2:3], v[2:3], v[4:5]
	;;#ASMEND
	;;#ASMSTART
	v_pk_mul_f32 v[6:7], v[6:7], v[4:5]
	;;#ASMEND
	;; [unrolled: 3-line block ×9, first 2 shown]
	v_cvt_f32_u32_sdwa v15, v63 dst_sel:DWORD dst_unused:UNUSED_PAD src0_sel:WORD_1
	v_cvt_f32_u32_sdwa v14, v63 dst_sel:DWORD dst_unused:UNUSED_PAD src0_sel:WORD_0
	v_cvt_f32_u32_sdwa v21, v64 dst_sel:DWORD dst_unused:UNUSED_PAD src0_sel:WORD_1
	v_cvt_f32_u32_sdwa v20, v64 dst_sel:DWORD dst_unused:UNUSED_PAD src0_sel:WORD_0
	v_cvt_f32_u32_sdwa v25, v59 dst_sel:DWORD dst_unused:UNUSED_PAD src0_sel:WORD_1
	v_pk_add_f32 v[14:15], v[14:15], 1.0 op_sel_hi:[1,0]
	v_cvt_f32_u32_sdwa v24, v59 dst_sel:DWORD dst_unused:UNUSED_PAD src0_sel:WORD_0
	;;#ASMSTART
	v_pk_mul_f32 v[6:7], v[6:7], v[14:15]
	;;#ASMEND
	v_pk_add_f32 v[14:15], v[20:21], 1.0 op_sel_hi:[1,0]
	v_pk_add_f32 v[20:21], v[22:23], 1.0 op_sel_hi:[1,0]
	v_cvt_f32_u32_sdwa v23, v58 dst_sel:DWORD dst_unused:UNUSED_PAD src0_sel:WORD_1
	v_cvt_f32_u32_sdwa v22, v58 dst_sel:DWORD dst_unused:UNUSED_PAD src0_sel:WORD_0
	v_pk_add_f32 v[24:25], v[24:25], 1.0 op_sel_hi:[1,0]
	v_pk_add_f32 v[26:27], v[26:27], 1.0 op_sel_hi:[1,0]
	;; [unrolled: 1-line block ×4, first 2 shown]
	;;#ASMSTART
	v_pk_mul_f32 v[40:41], v[8:9], v[14:15]
	;;#ASMEND
	;;#ASMSTART
	v_pk_mul_f32 v[30:31], v[10:11], v[20:21]
	;;#ASMEND
	;; [unrolled: 3-line block ×6, first 2 shown]
	s_or_b64 exec, exec, s[26:27]
	s_mov_b64 s[2:3], -1
	s_and_b64 vcc, exec, s[22:23]
	s_cbranch_vccz .LBB938_15
.LBB938_19:
	s_and_saveexec_b64 s[2:3], s[0:1]
	s_cbranch_execz .LBB938_21
; %bb.20:
	s_mul_hi_i32 s23, s25, s6
	s_mul_i32 s22, s25, s6
	s_lshl_b64 s[22:23], s[22:23], 1
	s_add_u32 s28, s14, s22
	s_addc_u32 s7, s15, s23
	s_and_b32 s29, s7, 0xffff
	s_mov_b32 s7, 0x7060302
	s_mov_b32 s31, 0x20000
	v_perm_b32 v11, v31, v30, s7
	v_perm_b32 v10, v41, v40, s7
	;; [unrolled: 1-line block ×4, first 2 shown]
	v_lshlrev_b32_e32 v4, 5, v0
	buffer_store_dwordx4 v[8:11], v4, s[28:31], 0 offen
	;;#ASMSTART
	s_nop 0
	;;#ASMEND
	s_nop 0
	v_perm_b32 v11, v75, v74, s7
	v_perm_b32 v10, v21, v20, s7
	;; [unrolled: 1-line block ×4, first 2 shown]
	buffer_store_dwordx4 v[8:11], v4, s[28:31], 16 offen
	;;#ASMSTART
	s_nop 0
	;;#ASMEND
.LBB938_21:
	s_or_b64 exec, exec, s[2:3]
	s_cbranch_execnz .LBB938_16
.LBB938_22:
	s_and_saveexec_b64 s[2:3], s[0:1]
	s_cbranch_execz .LBB938_24
; %bb.23:
	s_load_dwordx2 s[0:1], s[4:5], 0x10
	s_mul_hi_i32 s23, s24, s6
	s_mul_i32 s22, s24, s6
	s_lshl_b64 s[22:23], s[22:23], 1
	s_mov_b32 s7, 0x7060302
	s_waitcnt lgkmcnt(0)
	s_add_u32 s28, s0, s22
	s_addc_u32 s0, s1, s23
	v_perm_b32 v9, v31, v30, s7
	v_perm_b32 v8, v41, v40, s7
	;; [unrolled: 1-line block ×4, first 2 shown]
	s_and_b32 s29, s0, 0xffff
	s_mov_b32 s31, 0x20000
	v_lshlrev_b32_e32 v10, 5, v0
	v_perm_b32 v5, v75, v74, s7
	v_perm_b32 v4, v21, v20, s7
	;; [unrolled: 1-line block ×4, first 2 shown]
	buffer_store_dwordx4 v[6:9], v10, s[28:31], 0 offen
	;;#ASMSTART
	s_nop 0
	;;#ASMEND
	buffer_store_dwordx4 v[2:5], v10, s[28:31], 16 offen
	;;#ASMSTART
	s_nop 0
	;;#ASMEND
.LBB938_24:
	s_or_b64 exec, exec, s[2:3]
	s_cmp_lt_i32 s16, 1
	s_cbranch_scc1 .LBB938_17
.LBB938_25:
	s_load_dword s0, s[4:5], 0x94
	s_waitcnt lgkmcnt(0)
	s_cmp_lg_u32 s0, 1
	s_cbranch_scc1 .LBB938_17
; %bb.26:
	s_lshl_b32 s0, s16, 1
	s_add_i32 s0, s0, 2
	v_cmp_gt_u32_e32 vcc, s16, v1
	s_and_b32 s22, s0, -4
	v_mov_b32_e32 v18, 0
	v_lshlrev_b32_e32 v1, 5, v0
	v_mov_b32_e32 v14, 0
	v_mov_b32_e32 v15, 0
	;; [unrolled: 1-line block ×16, first 2 shown]
	s_barrier
	s_and_saveexec_b64 s[0:1], vcc
	s_cbranch_execz .LBB938_28
; %bb.27:
	s_mul_hi_i32 s3, s18, s6
	s_mul_i32 s2, s18, s6
	s_and_b32 s21, s21, 0xffff
	s_lshl_b64 s[2:3], s[2:3], 1
	s_add_u32 s28, s10, s2
	s_mov_b32 s23, 0x20000
	s_addc_u32 s2, s11, s3
	s_and_b32 s29, s2, 0xffff
	s_mov_b32 s30, s22
	s_mov_b32 s31, s23
	buffer_load_dwordx4 v[14:17], v1, s[28:31], 0 offen
	buffer_load_dwordx4 v[10:13], v1, s[28:31], 16 offen
	;; [unrolled: 1-line block ×4, first 2 shown]
.LBB938_28:
	s_or_b64 exec, exec, s[0:1]
	v_mov_b32_e32 v19, 0
	v_mov_b32_e32 v32, 0
	;; [unrolled: 1-line block ×15, first 2 shown]
	s_and_saveexec_b64 s[0:1], vcc
	s_cbranch_execz .LBB938_30
; %bb.29:
	s_waitcnt vmcnt(3)
	v_cvt_f32_u32_sdwa v18, v14 dst_sel:DWORD dst_unused:UNUSED_PAD src0_sel:WORD_0
	v_cvt_f32_u32_sdwa v19, v14 dst_sel:DWORD dst_unused:UNUSED_PAD src0_sel:WORD_1
	v_cvt_f32_u32_sdwa v32, v15 dst_sel:DWORD dst_unused:UNUSED_PAD src0_sel:WORD_0
	v_cvt_f32_u32_sdwa v33, v15 dst_sel:DWORD dst_unused:UNUSED_PAD src0_sel:WORD_1
	;; [unrolled: 2-line block ×4, first 2 shown]
	s_waitcnt vmcnt(2)
	v_cvt_f32_u32_sdwa v26, v10 dst_sel:DWORD dst_unused:UNUSED_PAD src0_sel:WORD_0
	v_cvt_f32_u32_sdwa v27, v10 dst_sel:DWORD dst_unused:UNUSED_PAD src0_sel:WORD_1
	v_cvt_f32_u32_sdwa v24, v11 dst_sel:DWORD dst_unused:UNUSED_PAD src0_sel:WORD_0
	v_cvt_f32_u32_sdwa v25, v11 dst_sel:DWORD dst_unused:UNUSED_PAD src0_sel:WORD_1
	;; [unrolled: 2-line block ×4, first 2 shown]
.LBB938_30:
	s_or_b64 exec, exec, s[0:1]
	s_waitcnt vmcnt(2)
	v_mul_f32_e32 v10, v19, v19
	v_fmac_f32_e32 v10, v18, v18
	v_fmac_f32_e32 v10, v32, v32
	;; [unrolled: 1-line block ×15, first 2 shown]
	s_nop 1
	v_mov_b32_dpp v11, v10 quad_perm:[1,0,3,2] row_mask:0xf bank_mask:0xf
	v_add_f32_e32 v10, v10, v11
	s_nop 1
	v_mov_b32_dpp v11, v10 quad_perm:[2,3,0,1] row_mask:0xf bank_mask:0xf
	v_add_f32_e32 v10, v10, v11
	s_nop 1
	v_mov_b32_dpp v11, v10 row_half_mirror row_mask:0xf bank_mask:0xf
	v_add_f32_e32 v10, v10, v11
	s_nop 1
	v_mov_b32_dpp v11, v10 row_mirror row_mask:0xf bank_mask:0xf
	v_add_f32_e32 v10, v10, v11
	s_nop 1
	v_mov_b32_dpp v11, v10 row_bcast:15 row_mask:0xf bank_mask:0xf
	v_add_f32_e32 v10, v10, v11
	s_nop 1
	v_mov_b32_dpp v11, v10 row_bcast:31 row_mask:0xf bank_mask:0xf
	s_and_saveexec_b64 s[0:1], s[8:9]
	s_cbranch_execz .LBB938_32
; %bb.31:
	v_lshrrev_b32_e32 v0, 4, v0
	v_add_f32_e32 v10, v10, v11
	v_and_b32_e32 v0, 60, v0
	ds_write_b32 v0, v10
.LBB938_32:
	s_or_b64 exec, exec, s[0:1]
	s_waitcnt lgkmcnt(0)
	s_barrier
	ds_read_b32 v0, v34
	s_waitcnt lgkmcnt(0)
	s_nop 0
	v_mov_b32_dpp v10, v0 quad_perm:[1,0,3,2] row_mask:0xf bank_mask:0xf
	v_add_f32_e32 v0, v0, v10
	s_nop 1
	v_mov_b32_dpp v10, v0 quad_perm:[2,3,0,1] row_mask:0xf bank_mask:0xf
	v_add_f32_e32 v0, v0, v10
	s_nop 1
	v_mov_b32_dpp v10, v0 row_half_mirror row_mask:0xf bank_mask:0xf
	s_and_saveexec_b64 s[0:1], vcc
	s_cbranch_execz .LBB938_17
; %bb.33:
	v_cvt_f32_u32_e32 v11, s16
	v_add_f32_e32 v0, v0, v10
	s_mov_b32 s23, 0x20000
	v_div_scale_f32 v10, s[0:1], v11, v11, v0
	v_rcp_f32_e32 v12, v10
	v_div_scale_f32 v13, vcc, v0, v11, v0
	s_mov_b32 s0, 0x800000
	v_fma_f32 v14, -v10, v12, 1.0
	v_fmac_f32_e32 v12, v14, v12
	v_mul_f32_e32 v14, v13, v12
	v_fma_f32 v15, -v10, v14, v13
	v_fmac_f32_e32 v14, v15, v12
	v_fma_f32 v10, -v10, v14, v13
	v_div_fmas_f32 v10, v10, v12, v14
	v_div_fixup_f32 v0, v10, v11, v0
	v_add_f32_e32 v0, s13, v0
	v_mul_f32_e32 v10, 0x4b800000, v0
	v_cmp_gt_f32_e32 vcc, s0, v0
	v_cndmask_b32_e32 v0, v0, v10, vcc
	v_rsq_f32_e32 v0, v0
	s_mul_hi_i32 s1, s25, s6
	s_mul_i32 s0, s25, s6
	s_lshl_b64 s[0:1], s[0:1], 1
	v_mul_f32_e32 v10, 0x45800000, v0
	v_cndmask_b32_e32 v10, v0, v10, vcc
	v_mov_b32_e32 v11, v10
	;;#ASMSTART
	v_pk_mul_f32 v[12:13], v[18:19], v[10:11]
	;;#ASMEND
	;;#ASMSTART
	v_pk_mul_f32 v[14:15], v[32:33], v[10:11]
	;;#ASMEND
	;; [unrolled: 3-line block ×4, first 2 shown]
	s_waitcnt vmcnt(1)
	v_cvt_f32_u32_sdwa v29, v6 dst_sel:DWORD dst_unused:UNUSED_PAD src0_sel:WORD_1
	v_cvt_f32_u32_sdwa v28, v6 dst_sel:DWORD dst_unused:UNUSED_PAD src0_sel:WORD_0
	v_cvt_f32_u32_sdwa v31, v7 dst_sel:DWORD dst_unused:UNUSED_PAD src0_sel:WORD_1
	v_cvt_f32_u32_sdwa v30, v7 dst_sel:DWORD dst_unused:UNUSED_PAD src0_sel:WORD_0
	;;#ASMSTART
	v_pk_mul_f32 v[26:27], v[26:27], v[10:11]
	;;#ASMEND
	;;#ASMSTART
	v_pk_mul_f32 v[24:25], v[24:25], v[10:11]
	;;#ASMEND
	;; [unrolled: 3-line block ×4, first 2 shown]
	v_cvt_f32_u32_sdwa v21, v8 dst_sel:DWORD dst_unused:UNUSED_PAD src0_sel:WORD_1
	v_cvt_f32_u32_sdwa v20, v8 dst_sel:DWORD dst_unused:UNUSED_PAD src0_sel:WORD_0
	v_pk_add_f32 v[10:11], v[28:29], 1.0 op_sel_hi:[1,0]
	;;#ASMSTART
	v_pk_mul_f32 v[10:11], v[12:13], v[10:11]
	;;#ASMEND
	v_pk_add_f32 v[12:13], v[30:31], 1.0 op_sel_hi:[1,0]
	v_cvt_f32_u32_sdwa v29, v9 dst_sel:DWORD dst_unused:UNUSED_PAD src0_sel:WORD_1
	v_cvt_f32_u32_sdwa v28, v9 dst_sel:DWORD dst_unused:UNUSED_PAD src0_sel:WORD_0
	;;#ASMSTART
	v_pk_mul_f32 v[8:9], v[14:15], v[12:13]
	;;#ASMEND
	v_pk_add_f32 v[12:13], v[20:21], 1.0 op_sel_hi:[1,0]
	;;#ASMSTART
	v_pk_mul_f32 v[12:13], v[16:17], v[12:13]
	;;#ASMEND
	s_waitcnt vmcnt(0)
	v_cvt_f32_u32_sdwa v17, v2 dst_sel:DWORD dst_unused:UNUSED_PAD src0_sel:WORD_1
	v_cvt_f32_u32_sdwa v16, v2 dst_sel:DWORD dst_unused:UNUSED_PAD src0_sel:WORD_0
	v_cvt_f32_u32_sdwa v21, v3 dst_sel:DWORD dst_unused:UNUSED_PAD src0_sel:WORD_1
	v_cvt_f32_u32_sdwa v20, v3 dst_sel:DWORD dst_unused:UNUSED_PAD src0_sel:WORD_0
	v_pk_add_f32 v[14:15], v[28:29], 1.0 op_sel_hi:[1,0]
	;;#ASMSTART
	v_pk_mul_f32 v[14:15], v[18:19], v[14:15]
	;;#ASMEND
	v_pk_add_f32 v[2:3], v[16:17], 1.0 op_sel_hi:[1,0]
	v_cvt_f32_u32_sdwa v19, v4 dst_sel:DWORD dst_unused:UNUSED_PAD src0_sel:WORD_1
	v_cvt_f32_u32_sdwa v18, v4 dst_sel:DWORD dst_unused:UNUSED_PAD src0_sel:WORD_0
	;;#ASMSTART
	v_pk_mul_f32 v[16:17], v[26:27], v[2:3]
	;;#ASMEND
	v_pk_add_f32 v[2:3], v[20:21], 1.0 op_sel_hi:[1,0]
	v_cvt_f32_u32_sdwa v21, v5 dst_sel:DWORD dst_unused:UNUSED_PAD src0_sel:WORD_1
	v_cvt_f32_u32_sdwa v20, v5 dst_sel:DWORD dst_unused:UNUSED_PAD src0_sel:WORD_0
	s_add_u32 s20, s14, s0
	;;#ASMSTART
	v_pk_mul_f32 v[24:25], v[24:25], v[2:3]
	;;#ASMEND
	v_pk_add_f32 v[2:3], v[18:19], 1.0 op_sel_hi:[1,0]
	s_addc_u32 s0, s15, s1
	;;#ASMSTART
	v_pk_mul_f32 v[18:19], v[22:23], v[2:3]
	;;#ASMEND
	v_pk_add_f32 v[2:3], v[20:21], 1.0 op_sel_hi:[1,0]
	s_and_b32 s21, s0, 0xffff
	s_mov_b32 s0, 0x7060302
	;;#ASMSTART
	v_pk_mul_f32 v[6:7], v[6:7], v[2:3]
	;;#ASMEND
	v_perm_b32 v2, v11, v10, s0
	v_perm_b32 v3, v9, v8, s0
	;; [unrolled: 1-line block ×4, first 2 shown]
	buffer_store_dwordx4 v[2:5], v1, s[20:23], 0 offen
	;;#ASMSTART
	s_nop 0
	;;#ASMEND
	s_nop 0
	v_perm_b32 v2, v17, v16, s0
	v_perm_b32 v3, v25, v24, s0
	;; [unrolled: 1-line block ×4, first 2 shown]
	buffer_store_dwordx4 v[2:5], v1, s[20:23], 16 offen
	;;#ASMSTART
	s_nop 0
	;;#ASMEND
	s_endpgm
	.section	.rodata,"a",@progbits
	.p2align	6, 0x0
	.amdhsa_kernel _ZN5aiter35fused_qk_rmsnorm_group_quant_kernelItDB8_Li512ELi16ELi4ELb1ELb1ELb1ELb1ELb0ELb0EEEvPT0_PvPT_S6_S6_PKS5_S8_S8_S8_S8_ffiiiiiiiiiiiii
		.amdhsa_group_segment_fixed_size 64
		.amdhsa_private_segment_fixed_size 0
		.amdhsa_kernarg_size 400
		.amdhsa_user_sgpr_count 6
		.amdhsa_user_sgpr_private_segment_buffer 1
		.amdhsa_user_sgpr_dispatch_ptr 0
		.amdhsa_user_sgpr_queue_ptr 0
		.amdhsa_user_sgpr_kernarg_segment_ptr 1
		.amdhsa_user_sgpr_dispatch_id 0
		.amdhsa_user_sgpr_flat_scratch_init 0
		.amdhsa_user_sgpr_kernarg_preload_length 0
		.amdhsa_user_sgpr_kernarg_preload_offset 0
		.amdhsa_user_sgpr_private_segment_size 0
		.amdhsa_uses_dynamic_stack 0
		.amdhsa_system_sgpr_private_segment_wavefront_offset 0
		.amdhsa_system_sgpr_workgroup_id_x 1
		.amdhsa_system_sgpr_workgroup_id_y 1
		.amdhsa_system_sgpr_workgroup_id_z 0
		.amdhsa_system_sgpr_workgroup_info 0
		.amdhsa_system_vgpr_workitem_id 0
		.amdhsa_next_free_vgpr 76
		.amdhsa_next_free_sgpr 32
		.amdhsa_accum_offset 76
		.amdhsa_reserve_vcc 1
		.amdhsa_reserve_flat_scratch 0
		.amdhsa_float_round_mode_32 0
		.amdhsa_float_round_mode_16_64 0
		.amdhsa_float_denorm_mode_32 3
		.amdhsa_float_denorm_mode_16_64 3
		.amdhsa_dx10_clamp 1
		.amdhsa_ieee_mode 1
		.amdhsa_fp16_overflow 0
		.amdhsa_tg_split 0
		.amdhsa_exception_fp_ieee_invalid_op 0
		.amdhsa_exception_fp_denorm_src 0
		.amdhsa_exception_fp_ieee_div_zero 0
		.amdhsa_exception_fp_ieee_overflow 0
		.amdhsa_exception_fp_ieee_underflow 0
		.amdhsa_exception_fp_ieee_inexact 0
		.amdhsa_exception_int_div_zero 0
	.end_amdhsa_kernel
	.section	.text._ZN5aiter35fused_qk_rmsnorm_group_quant_kernelItDB8_Li512ELi16ELi4ELb1ELb1ELb1ELb1ELb0ELb0EEEvPT0_PvPT_S6_S6_PKS5_S8_S8_S8_S8_ffiiiiiiiiiiiii,"axG",@progbits,_ZN5aiter35fused_qk_rmsnorm_group_quant_kernelItDB8_Li512ELi16ELi4ELb1ELb1ELb1ELb1ELb0ELb0EEEvPT0_PvPT_S6_S6_PKS5_S8_S8_S8_S8_ffiiiiiiiiiiiii,comdat
.Lfunc_end938:
	.size	_ZN5aiter35fused_qk_rmsnorm_group_quant_kernelItDB8_Li512ELi16ELi4ELb1ELb1ELb1ELb1ELb0ELb0EEEvPT0_PvPT_S6_S6_PKS5_S8_S8_S8_S8_ffiiiiiiiiiiiii, .Lfunc_end938-_ZN5aiter35fused_qk_rmsnorm_group_quant_kernelItDB8_Li512ELi16ELi4ELb1ELb1ELb1ELb1ELb0ELb0EEEvPT0_PvPT_S6_S6_PKS5_S8_S8_S8_S8_ffiiiiiiiiiiiii
                                        ; -- End function
	.section	.AMDGPU.csdata,"",@progbits
; Kernel info:
; codeLenInByte = 3600
; NumSgprs: 36
; NumVgprs: 76
; NumAgprs: 0
; TotalNumVgprs: 76
; ScratchSize: 0
; MemoryBound: 0
; FloatMode: 240
; IeeeMode: 1
; LDSByteSize: 64 bytes/workgroup (compile time only)
; SGPRBlocks: 4
; VGPRBlocks: 9
; NumSGPRsForWavesPerEU: 36
; NumVGPRsForWavesPerEU: 76
; AccumOffset: 76
; Occupancy: 6
; WaveLimiterHint : 0
; COMPUTE_PGM_RSRC2:SCRATCH_EN: 0
; COMPUTE_PGM_RSRC2:USER_SGPR: 6
; COMPUTE_PGM_RSRC2:TRAP_HANDLER: 0
; COMPUTE_PGM_RSRC2:TGID_X_EN: 1
; COMPUTE_PGM_RSRC2:TGID_Y_EN: 1
; COMPUTE_PGM_RSRC2:TGID_Z_EN: 0
; COMPUTE_PGM_RSRC2:TIDIG_COMP_CNT: 0
; COMPUTE_PGM_RSRC3_GFX90A:ACCUM_OFFSET: 18
; COMPUTE_PGM_RSRC3_GFX90A:TG_SPLIT: 0
	.section	.text._ZN5aiter35fused_qk_rmsnorm_group_quant_kernelIDF16_N4opus5fp4_tELi512ELi16ELi4ELb1ELb1ELb1ELb1ELb0ELb0EEEvPT0_PvPT_S7_S7_PKS6_S9_S9_S9_S9_ffiiiiiiiiiiiii,"axG",@progbits,_ZN5aiter35fused_qk_rmsnorm_group_quant_kernelIDF16_N4opus5fp4_tELi512ELi16ELi4ELb1ELb1ELb1ELb1ELb0ELb0EEEvPT0_PvPT_S7_S7_PKS6_S9_S9_S9_S9_ffiiiiiiiiiiiii,comdat
	.protected	_ZN5aiter35fused_qk_rmsnorm_group_quant_kernelIDF16_N4opus5fp4_tELi512ELi16ELi4ELb1ELb1ELb1ELb1ELb0ELb0EEEvPT0_PvPT_S7_S7_PKS6_S9_S9_S9_S9_ffiiiiiiiiiiiii ; -- Begin function _ZN5aiter35fused_qk_rmsnorm_group_quant_kernelIDF16_N4opus5fp4_tELi512ELi16ELi4ELb1ELb1ELb1ELb1ELb0ELb0EEEvPT0_PvPT_S7_S7_PKS6_S9_S9_S9_S9_ffiiiiiiiiiiiii
	.globl	_ZN5aiter35fused_qk_rmsnorm_group_quant_kernelIDF16_N4opus5fp4_tELi512ELi16ELi4ELb1ELb1ELb1ELb1ELb0ELb0EEEvPT0_PvPT_S7_S7_PKS6_S9_S9_S9_S9_ffiiiiiiiiiiiii
	.p2align	8
	.type	_ZN5aiter35fused_qk_rmsnorm_group_quant_kernelIDF16_N4opus5fp4_tELi512ELi16ELi4ELb1ELb1ELb1ELb1ELb0ELb0EEEvPT0_PvPT_S7_S7_PKS6_S9_S9_S9_S9_ffiiiiiiiiiiiii,@function
_ZN5aiter35fused_qk_rmsnorm_group_quant_kernelIDF16_N4opus5fp4_tELi512ELi16ELi4ELb1ELb1ELb1ELb1ELb0ELb0EEEvPT0_PvPT_S7_S7_PKS6_S9_S9_S9_S9_ffiiiiiiiiiiiii: ; @_ZN5aiter35fused_qk_rmsnorm_group_quant_kernelIDF16_N4opus5fp4_tELi512ELi16ELi4ELb1ELb1ELb1ELb1ELb0ELb0EEEvPT0_PvPT_S7_S7_PKS6_S9_S9_S9_S9_ffiiiiiiiiiiiii
; %bb.0:
	s_load_dwordx8 s[12:19], s[4:5], 0x50
	s_waitcnt lgkmcnt(0)
	s_cmp_ge_i32 s6, s14
	s_cbranch_scc1 .LBB939_17
; %bb.1:
	s_cmp_lg_u32 s7, 0
	s_cselect_b64 s[22:23], -1, 0
	s_cmp_eq_u32 s7, 0
	s_cselect_b64 s[2:3], -1, 0
	s_and_b64 s[0:1], s[2:3], exec
	s_cselect_b32 s7, s15, s16
	s_load_dwordx2 s[10:11], s[4:5], 0x30
	s_load_dwordx2 s[20:21], s[4:5], 0x48
	s_add_i32 s0, s7, 1
	s_lshr_b32 s1, s0, 31
	s_add_i32 s0, s0, s1
	s_lshl_b32 s0, s0, 1
	v_lshlrev_b32_e32 v1, 4, v0
	s_and_b32 s30, s0, -4
	v_cmp_gt_i32_e64 s[0:1], s7, v1
	v_mov_b32_e32 v6, 0
	v_mov_b32_e32 v7, 0
	;; [unrolled: 1-line block ×16, first 2 shown]
	s_and_saveexec_b64 s[8:9], s[0:1]
	s_cbranch_execz .LBB939_3
; %bb.2:
	s_load_dwordx2 s[14:15], s[4:5], 0x28
	s_load_dwordx2 s[26:27], s[4:5], 0x40
	s_and_b64 s[24:25], s[2:3], exec
	s_cselect_b32 s17, s17, s18
	s_mov_b32 s31, 0x20000
	s_waitcnt lgkmcnt(0)
	s_cselect_b32 s25, s15, s11
	s_cselect_b32 s24, s14, s10
	s_mul_hi_i32 s15, s17, s6
	s_mul_i32 s14, s17, s6
	s_lshl_b64 s[14:15], s[14:15], 1
	s_add_u32 s24, s24, s14
	s_addc_u32 s17, s25, s15
	s_and_b64 s[14:15], s[2:3], exec
	s_cselect_b32 s28, s26, s20
	s_cselect_b32 s14, s27, s21
	s_and_b32 s25, s17, 0xffff
	s_mov_b32 s26, s30
	s_mov_b32 s27, s31
	v_lshlrev_b32_e32 v18, 5, v0
	s_and_b32 s29, s14, 0xffff
	buffer_load_dwordx4 v[10:13], v18, s[24:27], 0 offen
	buffer_load_dwordx4 v[14:17], v18, s[24:27], 16 offen
	;; [unrolled: 1-line block ×4, first 2 shown]
.LBB939_3:
	s_or_b64 exec, exec, s[8:9]
	s_load_dwordx4 s[24:27], s[4:5], 0x7c
	s_and_b64 vcc, exec, s[22:23]
	s_cbranch_vccz .LBB939_7
; %bb.4:
	v_mov_b32_e32 v19, 0
	v_mov_b32_e32 v18, 0
	;; [unrolled: 1-line block ×16, first 2 shown]
	s_and_saveexec_b64 s[8:9], s[0:1]
	s_cbranch_execz .LBB939_6
; %bb.5:
	s_waitcnt vmcnt(3)
	v_cvt_f32_f16_sdwa v27, v10 dst_sel:DWORD dst_unused:UNUSED_PAD src0_sel:WORD_1
	v_cvt_f32_f16_e32 v26, v10
	v_cvt_f32_f16_sdwa v31, v11 dst_sel:DWORD dst_unused:UNUSED_PAD src0_sel:WORD_1
	v_cvt_f32_f16_e32 v30, v11
	;; [unrolled: 2-line block ×4, first 2 shown]
	s_waitcnt vmcnt(2)
	v_cvt_f32_f16_sdwa v21, v14 dst_sel:DWORD dst_unused:UNUSED_PAD src0_sel:WORD_1
	v_cvt_f32_f16_e32 v20, v14
	v_cvt_f32_f16_sdwa v25, v15 dst_sel:DWORD dst_unused:UNUSED_PAD src0_sel:WORD_1
	v_cvt_f32_f16_e32 v24, v15
	v_cvt_f32_f16_sdwa v23, v16 dst_sel:DWORD dst_unused:UNUSED_PAD src0_sel:WORD_1
	v_cvt_f32_f16_e32 v22, v16
	v_cvt_f32_f16_sdwa v19, v17 dst_sel:DWORD dst_unused:UNUSED_PAD src0_sel:WORD_1
	v_cvt_f32_f16_e32 v18, v17
.LBB939_6:
	s_or_b64 exec, exec, s[8:9]
	s_cbranch_execz .LBB939_8
	s_branch .LBB939_11
.LBB939_7:
                                        ; implicit-def: $vgpr19
                                        ; implicit-def: $vgpr23
                                        ; implicit-def: $vgpr25
                                        ; implicit-def: $vgpr21
                                        ; implicit-def: $vgpr33
                                        ; implicit-def: $vgpr29
                                        ; implicit-def: $vgpr31
                                        ; implicit-def: $vgpr27
.LBB939_8:
	v_mov_b32_e32 v19, 0
	v_mov_b32_e32 v18, 0
	;; [unrolled: 1-line block ×16, first 2 shown]
	s_and_saveexec_b64 s[8:9], s[0:1]
	s_cbranch_execz .LBB939_10
; %bb.9:
	s_load_dwordx2 s[14:15], s[4:5], 0x38
	s_mul_hi_i32 s29, s19, s6
	s_mul_i32 s28, s19, s6
	s_lshl_b64 s[28:29], s[28:29], 1
	s_mov_b32 s31, 0x20000
	s_waitcnt lgkmcnt(0)
	s_add_u32 s28, s14, s28
	s_addc_u32 s14, s15, s29
	s_and_b32 s29, s14, 0xffff
	v_lshlrev_b32_e32 v48, 5, v0
	buffer_load_dwordx4 v[18:21], v48, s[28:31], 16 offen
	buffer_load_dwordx4 v[22:25], v48, s[28:31], 0 offen
	s_waitcnt vmcnt(4)
	v_cvt_f32_f16_sdwa v27, v14 dst_sel:DWORD dst_unused:UNUSED_PAD src0_sel:WORD_1
	v_cvt_f32_f16_e32 v26, v14
	v_cvt_f32_f16_sdwa v29, v15 dst_sel:DWORD dst_unused:UNUSED_PAD src0_sel:WORD_1
	v_cvt_f32_f16_e32 v28, v15
	;; [unrolled: 2-line block ×8, first 2 shown]
	s_load_dwordx2 s[14:15], s[4:5], 0x20
	s_mul_hi_i32 s27, s26, s6
	s_mul_i32 s26, s26, s6
	s_lshl_b64 s[26:27], s[26:27], 1
	s_waitcnt lgkmcnt(0)
	s_add_u32 s28, s14, s26
	s_addc_u32 s14, s15, s27
	s_and_b32 s29, s14, 0xffff
	s_waitcnt vmcnt(1)
	v_cvt_f32_f16_e32 v12, v18
	v_cvt_f32_f16_sdwa v13, v18 dst_sel:DWORD dst_unused:UNUSED_PAD src0_sel:WORD_1
	v_cvt_f32_f16_e32 v18, v19
	v_cvt_f32_f16_sdwa v19, v19 dst_sel:DWORD dst_unused:UNUSED_PAD src0_sel:WORD_1
	;; [unrolled: 2-line block ×4, first 2 shown]
	s_waitcnt vmcnt(0)
	v_cvt_f32_f16_e32 v40, v22
	v_cvt_f32_f16_sdwa v41, v22 dst_sel:DWORD dst_unused:UNUSED_PAD src0_sel:WORD_1
	v_cvt_f32_f16_e32 v42, v23
	v_cvt_f32_f16_sdwa v43, v23 dst_sel:DWORD dst_unused:UNUSED_PAD src0_sel:WORD_1
	;; [unrolled: 2-line block ×4, first 2 shown]
	v_pk_add_f32 v[20:21], v[26:27], v[12:13]
	v_pk_add_f32 v[24:25], v[28:29], v[18:19]
	v_pk_add_f32 v[22:23], v[14:15], v[36:37]
	v_pk_add_f32 v[18:19], v[30:31], v[38:39]
	v_pk_add_f32 v[26:27], v[16:17], v[40:41]
	v_pk_add_f32 v[30:31], v[32:33], v[42:43]
	v_pk_add_f32 v[28:29], v[10:11], v[44:45]
	v_pk_add_f32 v[32:33], v[34:35], v[46:47]
	v_cvt_f16_f32_e32 v10, v27
	v_cvt_f16_f32_e32 v14, v26
	v_cvt_f16_f32_e32 v11, v31
	v_cvt_f16_f32_e32 v15, v30
	v_cvt_f16_f32_e32 v12, v29
	v_cvt_f16_f32_e32 v16, v28
	v_cvt_f16_f32_e32 v13, v33
	v_cvt_f16_f32_e32 v17, v32
	v_cvt_f16_f32_e32 v34, v20
	v_cvt_f16_f32_e32 v35, v21
	v_cvt_f16_f32_e32 v36, v24
	v_cvt_f16_f32_e32 v37, v25
	v_cvt_f16_f32_e32 v38, v22
	v_cvt_f16_f32_e32 v39, v23
	v_cvt_f16_f32_e32 v40, v18
	v_cvt_f16_f32_e32 v41, v19
	v_pack_b32_f16 v13, v17, v13
	v_pack_b32_f16 v12, v16, v12
	;; [unrolled: 1-line block ×8, first 2 shown]
	buffer_store_dwordx4 v[10:13], v48, s[28:31], 0 offen
	;;#ASMSTART
	s_nop 0
	;;#ASMEND
	buffer_store_dwordx4 v[14:17], v48, s[28:31], 16 offen
	;;#ASMSTART
	s_nop 0
	;;#ASMEND
.LBB939_10:
	s_or_b64 exec, exec, s[8:9]
.LBB939_11:
	s_waitcnt vmcnt(3)
	v_mul_f32_e32 v10, v27, v27
	v_fmac_f32_e32 v10, v26, v26
	v_fmac_f32_e32 v10, v30, v30
	;; [unrolled: 1-line block ×15, first 2 shown]
	v_and_b32_e32 v12, 63, v0
	v_cmp_eq_u32_e64 s[8:9], 63, v12
	v_mov_b32_dpp v11, v10 quad_perm:[1,0,3,2] row_mask:0xf bank_mask:0xf
	v_add_f32_e32 v10, v10, v11
	s_nop 1
	v_mov_b32_dpp v11, v10 quad_perm:[2,3,0,1] row_mask:0xf bank_mask:0xf
	v_add_f32_e32 v10, v10, v11
	s_nop 1
	v_mov_b32_dpp v11, v10 row_half_mirror row_mask:0xf bank_mask:0xf
	v_add_f32_e32 v10, v10, v11
	s_nop 1
	v_mov_b32_dpp v11, v10 row_mirror row_mask:0xf bank_mask:0xf
	v_add_f32_e32 v10, v10, v11
	s_nop 1
	v_mov_b32_dpp v11, v10 row_bcast:15 row_mask:0xf bank_mask:0xf
	v_add_f32_e32 v10, v10, v11
	s_nop 1
	v_mov_b32_dpp v11, v10 row_bcast:31 row_mask:0xf bank_mask:0xf
	s_and_saveexec_b64 s[14:15], s[8:9]
	s_cbranch_execz .LBB939_13
; %bb.12:
	v_add_f32_e32 v10, v10, v11
	v_lshrrev_b32_e32 v11, 4, v0
	v_and_b32_e32 v11, 60, v11
	ds_write_b32 v11, v10 offset:32
.LBB939_13:
	s_or_b64 exec, exec, s[14:15]
	v_and_b32_e32 v10, 7, v0
	v_lshlrev_b32_e32 v34, 2, v10
	s_waitcnt lgkmcnt(0)
	s_barrier
	ds_read_b32 v10, v34 offset:32
	s_load_dwordx2 s[14:15], s[4:5], 0x18
	s_waitcnt lgkmcnt(0)
	v_mov_b32_dpp v11, v10 quad_perm:[1,0,3,2] row_mask:0xf bank_mask:0xf
	v_add_f32_e32 v10, v10, v11
	s_nop 1
	v_mov_b32_dpp v11, v10 quad_perm:[2,3,0,1] row_mask:0xf bank_mask:0xf
	v_add_f32_e32 v10, v10, v11
	s_nop 1
	v_mov_b32_dpp v11, v10 row_half_mirror row_mask:0xf bank_mask:0xf
	s_and_saveexec_b64 s[26:27], s[0:1]
	s_cbranch_execnz .LBB939_18
; %bb.14:
	s_or_b64 exec, exec, s[26:27]
	s_mov_b64 s[2:3], -1
	s_and_b64 vcc, exec, s[22:23]
	s_cbranch_vccnz .LBB939_19
.LBB939_15:
	s_andn2_b64 vcc, exec, s[2:3]
	s_cbranch_vccz .LBB939_22
.LBB939_16:
	s_cmp_lt_i32 s16, 1
	s_cbranch_scc0 .LBB939_25
.LBB939_17:
	s_endpgm
.LBB939_18:
	v_cvt_f32_u32_e32 v12, s7
	v_add_f32_e32 v10, v10, v11
	s_waitcnt vmcnt(2)
	v_mov_b32_e32 v14, s13
	v_mov_b32_e32 v15, s12
	v_div_scale_f32 v11, s[28:29], v12, v12, v10
	v_rcp_f32_e32 v13, v11
	v_cndmask_b32_e64 v14, v14, v15, s[2:3]
	s_mov_b32 s2, 0x800000
	v_fma_f32 v15, -v11, v13, 1.0
	v_fmac_f32_e32 v13, v15, v13
	v_div_scale_f32 v15, vcc, v10, v12, v10
	v_mul_f32_e32 v16, v15, v13
	v_fma_f32 v17, -v11, v16, v15
	v_fmac_f32_e32 v16, v17, v13
	v_fma_f32 v11, -v11, v16, v15
	v_div_fmas_f32 v11, v11, v13, v16
	v_div_fixup_f32 v10, v11, v12, v10
	v_add_f32_e32 v10, v14, v10
	v_mul_f32_e32 v11, 0x4b800000, v10
	v_cmp_gt_f32_e32 vcc, s2, v10
	v_cndmask_b32_e32 v10, v10, v11, vcc
	v_rsq_f32_e32 v10, v10
	v_mul_f32_e32 v11, 0x45800000, v10
	v_cndmask_b32_e32 v10, v10, v11, vcc
	v_mov_b32_e32 v11, v10
	;;#ASMSTART
	v_pk_mul_f32 v[12:13], v[26:27], v[10:11]
	;;#ASMEND
	s_waitcnt vmcnt(1)
	v_cvt_f32_f16_sdwa v27, v6 dst_sel:DWORD dst_unused:UNUSED_PAD src0_sel:WORD_1
	v_cvt_f32_f16_e32 v26, v6
	;;#ASMSTART
	v_pk_mul_f32 v[14:15], v[30:31], v[10:11]
	;;#ASMEND
	;;#ASMSTART
	v_pk_mul_f32 v[16:17], v[28:29], v[10:11]
	;;#ASMEND
	v_cvt_f32_f16_sdwa v29, v7 dst_sel:DWORD dst_unused:UNUSED_PAD src0_sel:WORD_1
	v_cvt_f32_f16_e32 v28, v7
	;;#ASMSTART
	v_pk_mul_f32 v[32:33], v[32:33], v[10:11]
	;;#ASMEND
	;;#ASMSTART
	v_pk_mul_f32 v[20:21], v[20:21], v[10:11]
	;;#ASMEND
	;; [unrolled: 3-line block ×5, first 2 shown]
	v_pk_add_f32 v[10:11], v[26:27], 1.0 op_sel_hi:[1,0]
	;;#ASMSTART
	v_pk_mul_f32 v[26:27], v[12:13], v[10:11]
	;;#ASMEND
	v_cvt_f32_f16_sdwa v13, v8 dst_sel:DWORD dst_unused:UNUSED_PAD src0_sel:WORD_1
	v_cvt_f32_f16_e32 v12, v8
	v_cvt_f32_f16_sdwa v19, v9 dst_sel:DWORD dst_unused:UNUSED_PAD src0_sel:WORD_1
	v_cvt_f32_f16_e32 v18, v9
	v_pk_add_f32 v[10:11], v[28:29], 1.0 op_sel_hi:[1,0]
	;;#ASMSTART
	v_pk_mul_f32 v[30:31], v[14:15], v[10:11]
	;;#ASMEND
	s_waitcnt vmcnt(0)
	v_cvt_f32_f16_sdwa v11, v2 dst_sel:DWORD dst_unused:UNUSED_PAD src0_sel:WORD_1
	v_cvt_f32_f16_e32 v10, v2
	v_pk_add_f32 v[8:9], v[12:13], 1.0 op_sel_hi:[1,0]
	;;#ASMSTART
	v_pk_mul_f32 v[28:29], v[16:17], v[8:9]
	;;#ASMEND
	v_pk_add_f32 v[8:9], v[18:19], 1.0 op_sel_hi:[1,0]
	v_cvt_f32_f16_sdwa v13, v3 dst_sel:DWORD dst_unused:UNUSED_PAD src0_sel:WORD_1
	v_cvt_f32_f16_e32 v12, v3
	;;#ASMSTART
	v_pk_mul_f32 v[32:33], v[32:33], v[8:9]
	;;#ASMEND
	v_cvt_f32_f16_sdwa v9, v4 dst_sel:DWORD dst_unused:UNUSED_PAD src0_sel:WORD_1
	v_cvt_f32_f16_e32 v8, v4
	v_pk_add_f32 v[2:3], v[10:11], 1.0 op_sel_hi:[1,0]
	v_cvt_f32_f16_sdwa v11, v5 dst_sel:DWORD dst_unused:UNUSED_PAD src0_sel:WORD_1
	v_cvt_f32_f16_e32 v10, v5
	;;#ASMSTART
	v_pk_mul_f32 v[20:21], v[20:21], v[2:3]
	;;#ASMEND
	v_pk_add_f32 v[2:3], v[12:13], 1.0 op_sel_hi:[1,0]
	;;#ASMSTART
	v_pk_mul_f32 v[24:25], v[24:25], v[2:3]
	;;#ASMEND
	v_pk_add_f32 v[2:3], v[8:9], 1.0 op_sel_hi:[1,0]
	;; [unrolled: 4-line block ×3, first 2 shown]
	;;#ASMSTART
	v_pk_mul_f32 v[18:19], v[6:7], v[2:3]
	;;#ASMEND
	s_or_b64 exec, exec, s[26:27]
	s_mov_b64 s[2:3], -1
	s_and_b64 vcc, exec, s[22:23]
	s_cbranch_vccz .LBB939_15
.LBB939_19:
	s_and_saveexec_b64 s[2:3], s[0:1]
	s_cbranch_execz .LBB939_21
; %bb.20:
	s_mul_hi_i32 s23, s25, s6
	s_mul_i32 s22, s25, s6
	s_waitcnt vmcnt(0)
	v_cvt_f16_f32_e32 v2, v26
	v_cvt_f16_f32_e32 v3, v30
	;; [unrolled: 1-line block ×8, first 2 shown]
	s_lshl_b64 s[22:23], s[22:23], 1
	s_add_u32 s28, s14, s22
	s_addc_u32 s7, s15, s23
	s_and_b32 s29, s7, 0xffff
	s_mov_b32 s31, 0x20000
	v_pack_b32_f16 v5, v5, v6
	v_pack_b32_f16 v4, v4, v7
	;; [unrolled: 1-line block ×4, first 2 shown]
	v_lshlrev_b32_e32 v6, 5, v0
	buffer_store_dwordx4 v[2:5], v6, s[28:31], 0 offen
	v_cvt_f16_f32_e32 v7, v19
	v_cvt_f16_f32_e32 v2, v20
	;; [unrolled: 1-line block ×8, first 2 shown]
	v_pack_b32_f16 v5, v5, v7
	v_pack_b32_f16 v4, v4, v8
	;; [unrolled: 1-line block ×4, first 2 shown]
	;;#ASMSTART
	s_nop 0
	;;#ASMEND
	buffer_store_dwordx4 v[2:5], v6, s[28:31], 16 offen
	;;#ASMSTART
	s_nop 0
	;;#ASMEND
.LBB939_21:
	s_or_b64 exec, exec, s[2:3]
	s_cbranch_execnz .LBB939_16
.LBB939_22:
	s_and_saveexec_b64 s[2:3], s[0:1]
	s_cbranch_execz .LBB939_24
; %bb.23:
	s_load_dwordx2 s[0:1], s[4:5], 0x10
	s_mul_hi_i32 s23, s24, s6
	s_mul_i32 s22, s24, s6
	s_waitcnt vmcnt(0)
	v_cvt_f16_f32_e32 v2, v26
	v_cvt_f16_f32_e32 v3, v30
	;; [unrolled: 1-line block ×8, first 2 shown]
	s_lshl_b64 s[22:23], s[22:23], 1
	s_waitcnt lgkmcnt(0)
	s_add_u32 s28, s0, s22
	s_addc_u32 s0, s1, s23
	s_mov_b32 s31, 0x20000
	s_and_b32 s29, s0, 0xffff
	v_pack_b32_f16 v5, v5, v6
	v_pack_b32_f16 v4, v4, v7
	;; [unrolled: 1-line block ×4, first 2 shown]
	v_lshlrev_b32_e32 v6, 5, v0
	buffer_store_dwordx4 v[2:5], v6, s[28:31], 0 offen
	v_cvt_f16_f32_e32 v7, v19
	v_cvt_f16_f32_e32 v2, v20
	;; [unrolled: 1-line block ×8, first 2 shown]
	v_pack_b32_f16 v5, v5, v7
	v_pack_b32_f16 v4, v4, v8
	;; [unrolled: 1-line block ×4, first 2 shown]
	;;#ASMSTART
	s_nop 0
	;;#ASMEND
	buffer_store_dwordx4 v[2:5], v6, s[28:31], 16 offen
	;;#ASMSTART
	s_nop 0
	;;#ASMEND
.LBB939_24:
	s_or_b64 exec, exec, s[2:3]
	s_cmp_lt_i32 s16, 1
	s_cbranch_scc1 .LBB939_17
.LBB939_25:
	s_load_dword s0, s[4:5], 0x94
	s_waitcnt lgkmcnt(0)
	s_cmp_lg_u32 s0, 1
	s_cbranch_scc1 .LBB939_17
; %bb.26:
	s_lshl_b32 s0, s16, 1
	s_add_i32 s0, s0, 2
	v_cmp_gt_u32_e32 vcc, s16, v1
	s_and_b32 s22, s0, -4
	v_mov_b32_e32 v18, 0
	v_lshlrev_b32_e32 v1, 5, v0
	s_waitcnt vmcnt(2)
	v_mov_b32_e32 v14, 0
	v_mov_b32_e32 v15, 0
	;; [unrolled: 1-line block ×8, first 2 shown]
	s_waitcnt vmcnt(1)
	v_mov_b32_e32 v6, 0
	v_mov_b32_e32 v7, 0
	;; [unrolled: 1-line block ×4, first 2 shown]
	s_waitcnt vmcnt(0)
	v_mov_b32_e32 v2, 0
	v_mov_b32_e32 v3, 0
	;; [unrolled: 1-line block ×4, first 2 shown]
	s_barrier
	s_and_saveexec_b64 s[0:1], vcc
	s_cbranch_execz .LBB939_28
; %bb.27:
	s_mul_hi_i32 s3, s18, s6
	s_mul_i32 s2, s18, s6
	s_and_b32 s21, s21, 0xffff
	s_lshl_b64 s[2:3], s[2:3], 1
	s_add_u32 s28, s10, s2
	s_mov_b32 s23, 0x20000
	s_addc_u32 s2, s11, s3
	s_and_b32 s29, s2, 0xffff
	s_mov_b32 s30, s22
	s_mov_b32 s31, s23
	buffer_load_dwordx4 v[14:17], v1, s[28:31], 0 offen
	buffer_load_dwordx4 v[10:13], v1, s[28:31], 16 offen
	buffer_load_dwordx4 v[6:9], v1, s[20:23], 0 offen
	buffer_load_dwordx4 v[2:5], v1, s[20:23], 16 offen
.LBB939_28:
	s_or_b64 exec, exec, s[0:1]
	v_mov_b32_e32 v19, 0
	v_mov_b32_e32 v32, 0
	;; [unrolled: 1-line block ×15, first 2 shown]
	s_and_saveexec_b64 s[0:1], vcc
	s_cbranch_execz .LBB939_30
; %bb.29:
	s_waitcnt vmcnt(3)
	v_cvt_f32_f16_sdwa v19, v14 dst_sel:DWORD dst_unused:UNUSED_PAD src0_sel:WORD_1
	v_cvt_f32_f16_e32 v18, v14
	v_cvt_f32_f16_sdwa v33, v15 dst_sel:DWORD dst_unused:UNUSED_PAD src0_sel:WORD_1
	v_cvt_f32_f16_e32 v32, v15
	;; [unrolled: 2-line block ×4, first 2 shown]
	s_waitcnt vmcnt(2)
	v_cvt_f32_f16_sdwa v27, v10 dst_sel:DWORD dst_unused:UNUSED_PAD src0_sel:WORD_1
	v_cvt_f32_f16_e32 v26, v10
	v_cvt_f32_f16_sdwa v25, v11 dst_sel:DWORD dst_unused:UNUSED_PAD src0_sel:WORD_1
	v_cvt_f32_f16_e32 v24, v11
	;; [unrolled: 2-line block ×4, first 2 shown]
.LBB939_30:
	s_or_b64 exec, exec, s[0:1]
	s_waitcnt vmcnt(2)
	v_mul_f32_e32 v10, v19, v19
	v_fmac_f32_e32 v10, v18, v18
	v_fmac_f32_e32 v10, v32, v32
	;; [unrolled: 1-line block ×15, first 2 shown]
	s_nop 1
	v_mov_b32_dpp v11, v10 quad_perm:[1,0,3,2] row_mask:0xf bank_mask:0xf
	v_add_f32_e32 v10, v10, v11
	s_nop 1
	v_mov_b32_dpp v11, v10 quad_perm:[2,3,0,1] row_mask:0xf bank_mask:0xf
	v_add_f32_e32 v10, v10, v11
	s_nop 1
	v_mov_b32_dpp v11, v10 row_half_mirror row_mask:0xf bank_mask:0xf
	v_add_f32_e32 v10, v10, v11
	s_nop 1
	v_mov_b32_dpp v11, v10 row_mirror row_mask:0xf bank_mask:0xf
	v_add_f32_e32 v10, v10, v11
	s_nop 1
	v_mov_b32_dpp v11, v10 row_bcast:15 row_mask:0xf bank_mask:0xf
	v_add_f32_e32 v10, v10, v11
	s_nop 1
	v_mov_b32_dpp v11, v10 row_bcast:31 row_mask:0xf bank_mask:0xf
	s_and_saveexec_b64 s[0:1], s[8:9]
	s_cbranch_execz .LBB939_32
; %bb.31:
	v_lshrrev_b32_e32 v0, 4, v0
	v_add_f32_e32 v10, v10, v11
	v_and_b32_e32 v0, 60, v0
	ds_write_b32 v0, v10
.LBB939_32:
	s_or_b64 exec, exec, s[0:1]
	s_waitcnt lgkmcnt(0)
	s_barrier
	ds_read_b32 v0, v34
	s_waitcnt lgkmcnt(0)
	s_nop 0
	v_mov_b32_dpp v10, v0 quad_perm:[1,0,3,2] row_mask:0xf bank_mask:0xf
	v_add_f32_e32 v0, v0, v10
	s_nop 1
	v_mov_b32_dpp v10, v0 quad_perm:[2,3,0,1] row_mask:0xf bank_mask:0xf
	v_add_f32_e32 v0, v0, v10
	s_nop 1
	v_mov_b32_dpp v10, v0 row_half_mirror row_mask:0xf bank_mask:0xf
	s_and_saveexec_b64 s[0:1], vcc
	s_cbranch_execz .LBB939_17
; %bb.33:
	v_cvt_f32_u32_e32 v11, s16
	v_add_f32_e32 v0, v0, v10
	s_mov_b32 s23, 0x20000
	v_div_scale_f32 v10, s[0:1], v11, v11, v0
	v_rcp_f32_e32 v12, v10
	v_div_scale_f32 v13, vcc, v0, v11, v0
	s_mov_b32 s0, 0x800000
	v_fma_f32 v14, -v10, v12, 1.0
	v_fmac_f32_e32 v12, v14, v12
	v_mul_f32_e32 v14, v13, v12
	v_fma_f32 v15, -v10, v14, v13
	v_fmac_f32_e32 v14, v15, v12
	v_fma_f32 v10, -v10, v14, v13
	v_div_fmas_f32 v10, v10, v12, v14
	v_div_fixup_f32 v0, v10, v11, v0
	v_add_f32_e32 v0, s13, v0
	v_mul_f32_e32 v10, 0x4b800000, v0
	v_cmp_gt_f32_e32 vcc, s0, v0
	v_cndmask_b32_e32 v0, v0, v10, vcc
	v_rsq_f32_e32 v0, v0
	s_mul_hi_i32 s1, s25, s6
	s_mul_i32 s0, s25, s6
	s_lshl_b64 s[0:1], s[0:1], 1
	v_mul_f32_e32 v10, 0x45800000, v0
	v_cndmask_b32_e32 v10, v0, v10, vcc
	v_mov_b32_e32 v11, v10
	;;#ASMSTART
	v_pk_mul_f32 v[12:13], v[18:19], v[10:11]
	;;#ASMEND
	;;#ASMSTART
	v_pk_mul_f32 v[14:15], v[32:33], v[10:11]
	;;#ASMEND
	;; [unrolled: 3-line block ×4, first 2 shown]
	s_waitcnt vmcnt(1)
	v_cvt_f32_f16_sdwa v29, v6 dst_sel:DWORD dst_unused:UNUSED_PAD src0_sel:WORD_1
	v_cvt_f32_f16_e32 v28, v6
	v_cvt_f32_f16_sdwa v31, v7 dst_sel:DWORD dst_unused:UNUSED_PAD src0_sel:WORD_1
	v_cvt_f32_f16_e32 v30, v7
	;;#ASMSTART
	v_pk_mul_f32 v[26:27], v[26:27], v[10:11]
	;;#ASMEND
	;;#ASMSTART
	v_pk_mul_f32 v[24:25], v[24:25], v[10:11]
	;;#ASMEND
	;; [unrolled: 3-line block ×4, first 2 shown]
	v_cvt_f32_f16_sdwa v21, v8 dst_sel:DWORD dst_unused:UNUSED_PAD src0_sel:WORD_1
	v_cvt_f32_f16_e32 v20, v8
	v_pk_add_f32 v[10:11], v[28:29], 1.0 op_sel_hi:[1,0]
	;;#ASMSTART
	v_pk_mul_f32 v[10:11], v[12:13], v[10:11]
	;;#ASMEND
	v_pk_add_f32 v[12:13], v[30:31], 1.0 op_sel_hi:[1,0]
	v_cvt_f32_f16_sdwa v29, v9 dst_sel:DWORD dst_unused:UNUSED_PAD src0_sel:WORD_1
	v_cvt_f32_f16_e32 v28, v9
	;;#ASMSTART
	v_pk_mul_f32 v[8:9], v[14:15], v[12:13]
	;;#ASMEND
	v_pk_add_f32 v[12:13], v[20:21], 1.0 op_sel_hi:[1,0]
	;;#ASMSTART
	v_pk_mul_f32 v[12:13], v[16:17], v[12:13]
	;;#ASMEND
	s_waitcnt vmcnt(0)
	v_cvt_f32_f16_sdwa v17, v2 dst_sel:DWORD dst_unused:UNUSED_PAD src0_sel:WORD_1
	v_cvt_f32_f16_e32 v16, v2
	v_cvt_f32_f16_sdwa v21, v3 dst_sel:DWORD dst_unused:UNUSED_PAD src0_sel:WORD_1
	v_cvt_f32_f16_e32 v20, v3
	v_pk_add_f32 v[14:15], v[28:29], 1.0 op_sel_hi:[1,0]
	;;#ASMSTART
	v_pk_mul_f32 v[2:3], v[18:19], v[14:15]
	;;#ASMEND
	v_cvt_f32_f16_sdwa v19, v4 dst_sel:DWORD dst_unused:UNUSED_PAD src0_sel:WORD_1
	v_cvt_f32_f16_e32 v18, v4
	v_pk_add_f32 v[14:15], v[16:17], 1.0 op_sel_hi:[1,0]
	v_pk_add_f32 v[16:17], v[20:21], 1.0 op_sel_hi:[1,0]
	v_cvt_f32_f16_sdwa v21, v5 dst_sel:DWORD dst_unused:UNUSED_PAD src0_sel:WORD_1
	v_cvt_f32_f16_e32 v20, v5
	v_pk_add_f32 v[4:5], v[18:19], 1.0 op_sel_hi:[1,0]
	;;#ASMSTART
	v_pk_mul_f32 v[14:15], v[26:27], v[14:15]
	;;#ASMEND
	;;#ASMSTART
	v_pk_mul_f32 v[16:17], v[24:25], v[16:17]
	;;#ASMEND
	;; [unrolled: 3-line block ×3, first 2 shown]
	v_pk_add_f32 v[4:5], v[20:21], 1.0 op_sel_hi:[1,0]
	;;#ASMSTART
	v_pk_mul_f32 v[6:7], v[6:7], v[4:5]
	;;#ASMEND
	v_cvt_f16_f32_e32 v0, v10
	v_cvt_f16_f32_e32 v4, v11
	;; [unrolled: 1-line block ×8, first 2 shown]
	s_add_u32 s20, s14, s0
	s_addc_u32 s0, s15, s1
	s_and_b32 s21, s0, 0xffff
	v_pack_b32_f16 v2, v0, v4
	v_pack_b32_f16 v3, v5, v8
	;; [unrolled: 1-line block ×4, first 2 shown]
	buffer_store_dwordx4 v[2:5], v1, s[20:23], 0 offen
	v_cvt_f16_f32_e32 v0, v14
	v_cvt_f16_f32_e32 v2, v15
	;; [unrolled: 1-line block ×8, first 2 shown]
	v_pack_b32_f16 v2, v0, v2
	v_pack_b32_f16 v3, v3, v4
	v_pack_b32_f16 v4, v5, v8
	v_pack_b32_f16 v5, v6, v7
	;;#ASMSTART
	s_nop 0
	;;#ASMEND
	buffer_store_dwordx4 v[2:5], v1, s[20:23], 16 offen
	;;#ASMSTART
	s_nop 0
	;;#ASMEND
	s_endpgm
	.section	.rodata,"a",@progbits
	.p2align	6, 0x0
	.amdhsa_kernel _ZN5aiter35fused_qk_rmsnorm_group_quant_kernelIDF16_N4opus5fp4_tELi512ELi16ELi4ELb1ELb1ELb1ELb1ELb0ELb0EEEvPT0_PvPT_S7_S7_PKS6_S9_S9_S9_S9_ffiiiiiiiiiiiii
		.amdhsa_group_segment_fixed_size 64
		.amdhsa_private_segment_fixed_size 0
		.amdhsa_kernarg_size 400
		.amdhsa_user_sgpr_count 6
		.amdhsa_user_sgpr_private_segment_buffer 1
		.amdhsa_user_sgpr_dispatch_ptr 0
		.amdhsa_user_sgpr_queue_ptr 0
		.amdhsa_user_sgpr_kernarg_segment_ptr 1
		.amdhsa_user_sgpr_dispatch_id 0
		.amdhsa_user_sgpr_flat_scratch_init 0
		.amdhsa_user_sgpr_kernarg_preload_length 0
		.amdhsa_user_sgpr_kernarg_preload_offset 0
		.amdhsa_user_sgpr_private_segment_size 0
		.amdhsa_uses_dynamic_stack 0
		.amdhsa_system_sgpr_private_segment_wavefront_offset 0
		.amdhsa_system_sgpr_workgroup_id_x 1
		.amdhsa_system_sgpr_workgroup_id_y 1
		.amdhsa_system_sgpr_workgroup_id_z 0
		.amdhsa_system_sgpr_workgroup_info 0
		.amdhsa_system_vgpr_workitem_id 0
		.amdhsa_next_free_vgpr 49
		.amdhsa_next_free_sgpr 32
		.amdhsa_accum_offset 52
		.amdhsa_reserve_vcc 1
		.amdhsa_reserve_flat_scratch 0
		.amdhsa_float_round_mode_32 0
		.amdhsa_float_round_mode_16_64 0
		.amdhsa_float_denorm_mode_32 3
		.amdhsa_float_denorm_mode_16_64 3
		.amdhsa_dx10_clamp 1
		.amdhsa_ieee_mode 1
		.amdhsa_fp16_overflow 0
		.amdhsa_tg_split 0
		.amdhsa_exception_fp_ieee_invalid_op 0
		.amdhsa_exception_fp_denorm_src 0
		.amdhsa_exception_fp_ieee_div_zero 0
		.amdhsa_exception_fp_ieee_overflow 0
		.amdhsa_exception_fp_ieee_underflow 0
		.amdhsa_exception_fp_ieee_inexact 0
		.amdhsa_exception_int_div_zero 0
	.end_amdhsa_kernel
	.section	.text._ZN5aiter35fused_qk_rmsnorm_group_quant_kernelIDF16_N4opus5fp4_tELi512ELi16ELi4ELb1ELb1ELb1ELb1ELb0ELb0EEEvPT0_PvPT_S7_S7_PKS6_S9_S9_S9_S9_ffiiiiiiiiiiiii,"axG",@progbits,_ZN5aiter35fused_qk_rmsnorm_group_quant_kernelIDF16_N4opus5fp4_tELi512ELi16ELi4ELb1ELb1ELb1ELb1ELb0ELb0EEEvPT0_PvPT_S7_S7_PKS6_S9_S9_S9_S9_ffiiiiiiiiiiiii,comdat
.Lfunc_end939:
	.size	_ZN5aiter35fused_qk_rmsnorm_group_quant_kernelIDF16_N4opus5fp4_tELi512ELi16ELi4ELb1ELb1ELb1ELb1ELb0ELb0EEEvPT0_PvPT_S7_S7_PKS6_S9_S9_S9_S9_ffiiiiiiiiiiiii, .Lfunc_end939-_ZN5aiter35fused_qk_rmsnorm_group_quant_kernelIDF16_N4opus5fp4_tELi512ELi16ELi4ELb1ELb1ELb1ELb1ELb0ELb0EEEvPT0_PvPT_S7_S7_PKS6_S9_S9_S9_S9_ffiiiiiiiiiiiii
                                        ; -- End function
	.section	.AMDGPU.csdata,"",@progbits
; Kernel info:
; codeLenInByte = 3640
; NumSgprs: 36
; NumVgprs: 49
; NumAgprs: 0
; TotalNumVgprs: 49
; ScratchSize: 0
; MemoryBound: 0
; FloatMode: 240
; IeeeMode: 1
; LDSByteSize: 64 bytes/workgroup (compile time only)
; SGPRBlocks: 4
; VGPRBlocks: 6
; NumSGPRsForWavesPerEU: 36
; NumVGPRsForWavesPerEU: 49
; AccumOffset: 52
; Occupancy: 8
; WaveLimiterHint : 0
; COMPUTE_PGM_RSRC2:SCRATCH_EN: 0
; COMPUTE_PGM_RSRC2:USER_SGPR: 6
; COMPUTE_PGM_RSRC2:TRAP_HANDLER: 0
; COMPUTE_PGM_RSRC2:TGID_X_EN: 1
; COMPUTE_PGM_RSRC2:TGID_Y_EN: 1
; COMPUTE_PGM_RSRC2:TGID_Z_EN: 0
; COMPUTE_PGM_RSRC2:TIDIG_COMP_CNT: 0
; COMPUTE_PGM_RSRC3_GFX90A:ACCUM_OFFSET: 12
; COMPUTE_PGM_RSRC3_GFX90A:TG_SPLIT: 0
	.section	.text._ZN5aiter35fused_qk_rmsnorm_group_quant_kernelItN4opus5fp4_tELi512ELi16ELi4ELb1ELb1ELb1ELb1ELb0ELb0EEEvPT0_PvPT_S7_S7_PKS6_S9_S9_S9_S9_ffiiiiiiiiiiiii,"axG",@progbits,_ZN5aiter35fused_qk_rmsnorm_group_quant_kernelItN4opus5fp4_tELi512ELi16ELi4ELb1ELb1ELb1ELb1ELb0ELb0EEEvPT0_PvPT_S7_S7_PKS6_S9_S9_S9_S9_ffiiiiiiiiiiiii,comdat
	.protected	_ZN5aiter35fused_qk_rmsnorm_group_quant_kernelItN4opus5fp4_tELi512ELi16ELi4ELb1ELb1ELb1ELb1ELb0ELb0EEEvPT0_PvPT_S7_S7_PKS6_S9_S9_S9_S9_ffiiiiiiiiiiiii ; -- Begin function _ZN5aiter35fused_qk_rmsnorm_group_quant_kernelItN4opus5fp4_tELi512ELi16ELi4ELb1ELb1ELb1ELb1ELb0ELb0EEEvPT0_PvPT_S7_S7_PKS6_S9_S9_S9_S9_ffiiiiiiiiiiiii
	.globl	_ZN5aiter35fused_qk_rmsnorm_group_quant_kernelItN4opus5fp4_tELi512ELi16ELi4ELb1ELb1ELb1ELb1ELb0ELb0EEEvPT0_PvPT_S7_S7_PKS6_S9_S9_S9_S9_ffiiiiiiiiiiiii
	.p2align	8
	.type	_ZN5aiter35fused_qk_rmsnorm_group_quant_kernelItN4opus5fp4_tELi512ELi16ELi4ELb1ELb1ELb1ELb1ELb0ELb0EEEvPT0_PvPT_S7_S7_PKS6_S9_S9_S9_S9_ffiiiiiiiiiiiii,@function
_ZN5aiter35fused_qk_rmsnorm_group_quant_kernelItN4opus5fp4_tELi512ELi16ELi4ELb1ELb1ELb1ELb1ELb0ELb0EEEvPT0_PvPT_S7_S7_PKS6_S9_S9_S9_S9_ffiiiiiiiiiiiii: ; @_ZN5aiter35fused_qk_rmsnorm_group_quant_kernelItN4opus5fp4_tELi512ELi16ELi4ELb1ELb1ELb1ELb1ELb0ELb0EEEvPT0_PvPT_S7_S7_PKS6_S9_S9_S9_S9_ffiiiiiiiiiiiii
; %bb.0:
	s_load_dwordx8 s[12:19], s[4:5], 0x50
	s_waitcnt lgkmcnt(0)
	s_cmp_ge_i32 s6, s14
	s_cbranch_scc1 .LBB940_17
; %bb.1:
	s_cmp_lg_u32 s7, 0
	s_cselect_b64 s[22:23], -1, 0
	s_cmp_eq_u32 s7, 0
	s_cselect_b64 s[2:3], -1, 0
	s_and_b64 s[0:1], s[2:3], exec
	s_cselect_b32 s7, s15, s16
	s_load_dwordx2 s[10:11], s[4:5], 0x30
	s_load_dwordx2 s[20:21], s[4:5], 0x48
	s_add_i32 s0, s7, 1
	s_lshr_b32 s1, s0, 31
	s_add_i32 s0, s0, s1
	s_lshl_b32 s0, s0, 1
	v_lshlrev_b32_e32 v1, 4, v0
	s_and_b32 s30, s0, -4
	v_cmp_gt_i32_e64 s[0:1], s7, v1
	v_mov_b32_e32 v62, 0
	v_mov_b32_e32 v63, 0
	;; [unrolled: 1-line block ×16, first 2 shown]
	s_and_saveexec_b64 s[8:9], s[0:1]
	s_cbranch_execz .LBB940_3
; %bb.2:
	s_load_dwordx2 s[14:15], s[4:5], 0x28
	s_load_dwordx2 s[26:27], s[4:5], 0x40
	s_and_b64 s[24:25], s[2:3], exec
	s_cselect_b32 s17, s17, s18
	s_mov_b32 s31, 0x20000
	s_waitcnt lgkmcnt(0)
	s_cselect_b32 s25, s15, s11
	s_cselect_b32 s24, s14, s10
	s_mul_hi_i32 s15, s17, s6
	s_mul_i32 s14, s17, s6
	s_lshl_b64 s[14:15], s[14:15], 1
	s_add_u32 s24, s24, s14
	s_addc_u32 s17, s25, s15
	s_and_b64 s[14:15], s[2:3], exec
	s_cselect_b32 s28, s26, s20
	s_cselect_b32 s14, s27, s21
	s_and_b32 s25, s17, 0xffff
	s_mov_b32 s26, s30
	s_mov_b32 s27, s31
	v_lshlrev_b32_e32 v2, 5, v0
	s_and_b32 s29, s14, 0xffff
	buffer_load_dwordx4 v[66:69], v2, s[24:27], 0 offen
	buffer_load_dwordx4 v[70:73], v2, s[24:27], 16 offen
	;; [unrolled: 1-line block ×4, first 2 shown]
.LBB940_3:
	s_or_b64 exec, exec, s[8:9]
	s_load_dwordx4 s[24:27], s[4:5], 0x7c
	s_and_b64 vcc, exec, s[22:23]
	s_cbranch_vccz .LBB940_7
; %bb.4:
	v_mov_b32_e32 v75, 0
	v_mov_b32_e32 v74, 0
	;; [unrolled: 1-line block ×16, first 2 shown]
	s_and_saveexec_b64 s[8:9], s[0:1]
	s_cbranch_execz .LBB940_6
; %bb.5:
	s_waitcnt vmcnt(3)
	v_cvt_f32_u32_sdwa v2, v66 dst_sel:DWORD dst_unused:UNUSED_PAD src0_sel:WORD_0
	v_cvt_f32_u32_sdwa v3, v66 dst_sel:DWORD dst_unused:UNUSED_PAD src0_sel:WORD_1
	v_cvt_f32_u32_sdwa v6, v67 dst_sel:DWORD dst_unused:UNUSED_PAD src0_sel:WORD_0
	v_cvt_f32_u32_sdwa v7, v67 dst_sel:DWORD dst_unused:UNUSED_PAD src0_sel:WORD_1
	;; [unrolled: 2-line block ×4, first 2 shown]
	s_waitcnt vmcnt(2)
	v_cvt_f32_u32_sdwa v50, v70 dst_sel:DWORD dst_unused:UNUSED_PAD src0_sel:WORD_0
	v_cvt_f32_u32_sdwa v51, v70 dst_sel:DWORD dst_unused:UNUSED_PAD src0_sel:WORD_1
	v_cvt_f32_u32_sdwa v24, v71 dst_sel:DWORD dst_unused:UNUSED_PAD src0_sel:WORD_0
	v_cvt_f32_u32_sdwa v25, v71 dst_sel:DWORD dst_unused:UNUSED_PAD src0_sel:WORD_1
	;; [unrolled: 2-line block ×4, first 2 shown]
.LBB940_6:
	s_or_b64 exec, exec, s[8:9]
	s_cbranch_execz .LBB940_8
	s_branch .LBB940_11
.LBB940_7:
                                        ; implicit-def: $vgpr2_vgpr3_vgpr4_vgpr5_vgpr6_vgpr7_vgpr8_vgpr9_vgpr10_vgpr11_vgpr12_vgpr13_vgpr14_vgpr15_vgpr16_vgpr17
                                        ; implicit-def: $vgpr36_vgpr37_vgpr38_vgpr39_vgpr40_vgpr41_vgpr42_vgpr43_vgpr44_vgpr45_vgpr46_vgpr47_vgpr48_vgpr49_vgpr50_vgpr51
                                        ; implicit-def: $vgpr4_vgpr5_vgpr6_vgpr7_vgpr8_vgpr9_vgpr10_vgpr11_vgpr12_vgpr13_vgpr14_vgpr15_vgpr16_vgpr17_vgpr18_vgpr19
                                        ; implicit-def: $vgpr24_vgpr25_vgpr26_vgpr27_vgpr28_vgpr29_vgpr30_vgpr31_vgpr32_vgpr33_vgpr34_vgpr35_vgpr36_vgpr37_vgpr38_vgpr39
                                        ; implicit-def: $vgpr75
                                        ; implicit-def: $vgpr42_vgpr43_vgpr44_vgpr45_vgpr46_vgpr47_vgpr48_vgpr49_vgpr50_vgpr51_vgpr52_vgpr53_vgpr54_vgpr55_vgpr56_vgpr57
                                        ; implicit-def: $vgpr14_vgpr15_vgpr16_vgpr17_vgpr18_vgpr19_vgpr20_vgpr21_vgpr22_vgpr23_vgpr24_vgpr25_vgpr26_vgpr27_vgpr28_vgpr29
                                        ; implicit-def: $vgpr8_vgpr9_vgpr10_vgpr11_vgpr12_vgpr13_vgpr14_vgpr15_vgpr16_vgpr17_vgpr18_vgpr19_vgpr20_vgpr21_vgpr22_vgpr23
.LBB940_8:
	v_mov_b32_e32 v75, 0
	v_mov_b32_e32 v74, 0
	;; [unrolled: 1-line block ×16, first 2 shown]
	s_and_saveexec_b64 s[8:9], s[0:1]
	s_cbranch_execz .LBB940_10
; %bb.9:
	s_load_dwordx2 s[14:15], s[4:5], 0x38
	s_mul_hi_i32 s29, s19, s6
	s_mul_i32 s28, s19, s6
	s_lshl_b64 s[28:29], s[28:29], 1
	s_mov_b32 s31, 0x20000
	s_waitcnt lgkmcnt(0)
	s_add_u32 s28, s14, s28
	s_addc_u32 s14, s15, s29
	s_and_b32 s29, s14, 0xffff
	v_lshlrev_b32_e32 v38, 5, v0
	buffer_load_dwordx4 v[6:9], v38, s[28:31], 16 offen
	buffer_load_dwordx4 v[10:13], v38, s[28:31], 0 offen
	s_load_dwordx2 s[14:15], s[4:5], 0x20
	s_waitcnt vmcnt(5)
	v_cvt_f32_u32_sdwa v3, v66 dst_sel:DWORD dst_unused:UNUSED_PAD src0_sel:WORD_1
	v_cvt_f32_u32_sdwa v2, v66 dst_sel:DWORD dst_unused:UNUSED_PAD src0_sel:WORD_0
	v_cvt_f32_u32_sdwa v21, v67 dst_sel:DWORD dst_unused:UNUSED_PAD src0_sel:WORD_1
	v_cvt_f32_u32_sdwa v20, v67 dst_sel:DWORD dst_unused:UNUSED_PAD src0_sel:WORD_0
	;; [unrolled: 2-line block ×4, first 2 shown]
	s_waitcnt vmcnt(4)
	v_cvt_f32_u32_sdwa v5, v70 dst_sel:DWORD dst_unused:UNUSED_PAD src0_sel:WORD_1
	v_cvt_f32_u32_sdwa v4, v70 dst_sel:DWORD dst_unused:UNUSED_PAD src0_sel:WORD_0
	v_cvt_f32_u32_sdwa v15, v71 dst_sel:DWORD dst_unused:UNUSED_PAD src0_sel:WORD_1
	v_cvt_f32_u32_sdwa v14, v71 dst_sel:DWORD dst_unused:UNUSED_PAD src0_sel:WORD_0
	;; [unrolled: 2-line block ×3, first 2 shown]
	v_cvt_f32_u32_sdwa v18, v73 dst_sel:DWORD dst_unused:UNUSED_PAD src0_sel:WORD_0
	v_cvt_f32_u32_sdwa v19, v73 dst_sel:DWORD dst_unused:UNUSED_PAD src0_sel:WORD_1
	s_mul_hi_i32 s27, s26, s6
	s_mul_i32 s26, s26, s6
	s_lshl_b64 s[26:27], s[26:27], 1
	s_waitcnt lgkmcnt(0)
	s_add_u32 s28, s14, s26
	s_mov_b32 s17, 0x7060302
	s_addc_u32 s14, s15, s27
	s_and_b32 s29, s14, 0xffff
	s_waitcnt vmcnt(1)
	v_cvt_f32_u32_sdwa v27, v6 dst_sel:DWORD dst_unused:UNUSED_PAD src0_sel:WORD_1
	v_cvt_f32_u32_sdwa v26, v6 dst_sel:DWORD dst_unused:UNUSED_PAD src0_sel:WORD_0
	v_cvt_f32_u32_sdwa v29, v7 dst_sel:DWORD dst_unused:UNUSED_PAD src0_sel:WORD_1
	v_cvt_f32_u32_sdwa v28, v7 dst_sel:DWORD dst_unused:UNUSED_PAD src0_sel:WORD_0
	;; [unrolled: 2-line block ×3, first 2 shown]
	v_cvt_f32_u32_sdwa v34, v9 dst_sel:DWORD dst_unused:UNUSED_PAD src0_sel:WORD_0
	v_cvt_f32_u32_sdwa v35, v9 dst_sel:DWORD dst_unused:UNUSED_PAD src0_sel:WORD_1
	s_waitcnt vmcnt(0)
	v_cvt_f32_u32_sdwa v37, v10 dst_sel:DWORD dst_unused:UNUSED_PAD src0_sel:WORD_1
	v_cvt_f32_u32_sdwa v36, v10 dst_sel:DWORD dst_unused:UNUSED_PAD src0_sel:WORD_0
	v_cvt_f32_u32_sdwa v7, v12 dst_sel:DWORD dst_unused:UNUSED_PAD src0_sel:WORD_1
	v_cvt_f32_u32_sdwa v6, v12 dst_sel:DWORD dst_unused:UNUSED_PAD src0_sel:WORD_0
	;; [unrolled: 2-line block ×4, first 2 shown]
	v_pk_add_f32 v[40:41], v[22:23], v[6:7]
	v_pk_add_f32 v[30:31], v[24:25], v[8:9]
	v_pk_add_f32 v[2:3], v[2:3], v[36:37]
	v_pk_add_f32 v[6:7], v[20:21], v[12:13]
	v_perm_b32 v11, v31, v30, s17
	v_perm_b32 v10, v41, v40, s17
	;; [unrolled: 1-line block ×4, first 2 shown]
	v_pk_add_f32 v[74:75], v[18:19], v[34:35]
	v_pk_add_f32 v[20:21], v[16:17], v[32:33]
	v_pk_add_f32 v[24:25], v[14:15], v[28:29]
	v_pk_add_f32 v[50:51], v[4:5], v[26:27]
	buffer_store_dwordx4 v[8:11], v38, s[28:31], 0 offen
	;;#ASMSTART
	s_nop 0
	;;#ASMEND
	s_nop 0
	v_perm_b32 v11, v75, v74, s17
	v_perm_b32 v10, v21, v20, s17
	;; [unrolled: 1-line block ×4, first 2 shown]
	buffer_store_dwordx4 v[8:11], v38, s[28:31], 16 offen
	;;#ASMSTART
	s_nop 0
	;;#ASMEND
.LBB940_10:
	s_or_b64 exec, exec, s[8:9]
.LBB940_11:
	v_mul_f32_e32 v4, v3, v3
	v_fmac_f32_e32 v4, v2, v2
	v_fmac_f32_e32 v4, v6, v6
	;; [unrolled: 1-line block ×15, first 2 shown]
	s_nop 1
	v_mov_b32_dpp v5, v4 quad_perm:[1,0,3,2] row_mask:0xf bank_mask:0xf
	v_add_f32_e32 v4, v4, v5
	s_nop 1
	v_mov_b32_dpp v5, v4 quad_perm:[2,3,0,1] row_mask:0xf bank_mask:0xf
	v_add_f32_e32 v4, v4, v5
	s_nop 1
	v_mov_b32_dpp v5, v4 row_half_mirror row_mask:0xf bank_mask:0xf
	v_add_f32_e32 v4, v4, v5
	s_nop 1
	v_mov_b32_dpp v5, v4 row_mirror row_mask:0xf bank_mask:0xf
	v_add_f32_e32 v4, v4, v5
	s_nop 1
	v_mov_b32_dpp v5, v4 row_bcast:15 row_mask:0xf bank_mask:0xf
	v_add_f32_e32 v4, v4, v5
	v_and_b32_e32 v5, 63, v0
	v_cmp_eq_u32_e64 s[8:9], 63, v5
	s_nop 0
	v_mov_b32_dpp v5, v4 row_bcast:31 row_mask:0xf bank_mask:0xf
	s_and_saveexec_b64 s[14:15], s[8:9]
	s_cbranch_execz .LBB940_13
; %bb.12:
	v_add_f32_e32 v4, v4, v5
	v_lshrrev_b32_e32 v5, 4, v0
	v_and_b32_e32 v5, 60, v5
	ds_write_b32 v5, v4 offset:32
.LBB940_13:
	s_or_b64 exec, exec, s[14:15]
	v_and_b32_e32 v4, 7, v0
	v_lshlrev_b32_e32 v34, 2, v4
	s_waitcnt lgkmcnt(0)
	s_barrier
	ds_read_b32 v4, v34 offset:32
	s_load_dwordx2 s[14:15], s[4:5], 0x18
	s_waitcnt lgkmcnt(0)
	v_mov_b32_dpp v5, v4 quad_perm:[1,0,3,2] row_mask:0xf bank_mask:0xf
	v_add_f32_e32 v4, v4, v5
	s_nop 1
	v_mov_b32_dpp v5, v4 quad_perm:[2,3,0,1] row_mask:0xf bank_mask:0xf
	v_add_f32_e32 v4, v4, v5
	s_nop 1
	v_mov_b32_dpp v5, v4 row_half_mirror row_mask:0xf bank_mask:0xf
	s_and_saveexec_b64 s[26:27], s[0:1]
	s_cbranch_execnz .LBB940_18
; %bb.14:
	s_or_b64 exec, exec, s[26:27]
	s_mov_b64 s[2:3], -1
	s_and_b64 vcc, exec, s[22:23]
	s_cbranch_vccnz .LBB940_19
.LBB940_15:
	s_andn2_b64 vcc, exec, s[2:3]
	s_cbranch_vccz .LBB940_22
.LBB940_16:
	s_cmp_lt_i32 s16, 1
	s_cbranch_scc0 .LBB940_25
.LBB940_17:
	s_endpgm
.LBB940_18:
	v_add_f32_e32 v4, v4, v5
	v_cvt_f32_u32_e32 v5, s7
	s_waitcnt vmcnt(1)
	v_cvt_f32_u32_sdwa v15, v62 dst_sel:DWORD dst_unused:UNUSED_PAD src0_sel:WORD_1
	v_cvt_f32_u32_sdwa v14, v62 dst_sel:DWORD dst_unused:UNUSED_PAD src0_sel:WORD_0
	v_cvt_f32_u32_sdwa v23, v65 dst_sel:DWORD dst_unused:UNUSED_PAD src0_sel:WORD_1
	v_div_scale_f32 v8, s[28:29], v5, v5, v4
	v_rcp_f32_e32 v9, v8
	v_pk_add_f32 v[14:15], v[14:15], 1.0 op_sel_hi:[1,0]
	v_cvt_f32_u32_sdwa v22, v65 dst_sel:DWORD dst_unused:UNUSED_PAD src0_sel:WORD_0
	s_waitcnt vmcnt(0)
	v_cvt_f32_u32_sdwa v27, v60 dst_sel:DWORD dst_unused:UNUSED_PAD src0_sel:WORD_1
	v_fma_f32 v10, -v8, v9, 1.0
	v_fmac_f32_e32 v9, v10, v9
	v_div_scale_f32 v10, vcc, v4, v5, v4
	v_mul_f32_e32 v11, v10, v9
	v_fma_f32 v12, -v8, v11, v10
	v_fmac_f32_e32 v11, v12, v9
	v_fma_f32 v8, -v8, v11, v10
	v_div_fmas_f32 v8, v8, v9, v11
	v_div_fixup_f32 v4, v8, v5, v4
	v_mov_b32_e32 v5, s13
	v_mov_b32_e32 v8, s12
	v_cndmask_b32_e64 v5, v5, v8, s[2:3]
	v_add_f32_e32 v4, v5, v4
	s_mov_b32 s2, 0x800000
	v_mul_f32_e32 v5, 0x4b800000, v4
	v_cmp_gt_f32_e32 vcc, s2, v4
	v_cndmask_b32_e32 v4, v4, v5, vcc
	v_rsq_f32_e32 v4, v4
	v_cvt_f32_u32_sdwa v26, v60 dst_sel:DWORD dst_unused:UNUSED_PAD src0_sel:WORD_0
	v_cvt_f32_u32_sdwa v29, v61 dst_sel:DWORD dst_unused:UNUSED_PAD src0_sel:WORD_1
	v_cvt_f32_u32_sdwa v28, v61 dst_sel:DWORD dst_unused:UNUSED_PAD src0_sel:WORD_0
	v_mul_f32_e32 v5, 0x45800000, v4
	v_cndmask_b32_e32 v4, v4, v5, vcc
	v_mov_b32_e32 v5, v4
	;;#ASMSTART
	v_pk_mul_f32 v[2:3], v[2:3], v[4:5]
	;;#ASMEND
	;;#ASMSTART
	v_pk_mul_f32 v[6:7], v[6:7], v[4:5]
	;;#ASMEND
	;; [unrolled: 3-line block ×9, first 2 shown]
	v_cvt_f32_u32_sdwa v15, v63 dst_sel:DWORD dst_unused:UNUSED_PAD src0_sel:WORD_1
	v_cvt_f32_u32_sdwa v14, v63 dst_sel:DWORD dst_unused:UNUSED_PAD src0_sel:WORD_0
	v_cvt_f32_u32_sdwa v21, v64 dst_sel:DWORD dst_unused:UNUSED_PAD src0_sel:WORD_1
	v_cvt_f32_u32_sdwa v20, v64 dst_sel:DWORD dst_unused:UNUSED_PAD src0_sel:WORD_0
	v_cvt_f32_u32_sdwa v25, v59 dst_sel:DWORD dst_unused:UNUSED_PAD src0_sel:WORD_1
	v_pk_add_f32 v[14:15], v[14:15], 1.0 op_sel_hi:[1,0]
	v_cvt_f32_u32_sdwa v24, v59 dst_sel:DWORD dst_unused:UNUSED_PAD src0_sel:WORD_0
	;;#ASMSTART
	v_pk_mul_f32 v[6:7], v[6:7], v[14:15]
	;;#ASMEND
	v_pk_add_f32 v[14:15], v[20:21], 1.0 op_sel_hi:[1,0]
	v_pk_add_f32 v[20:21], v[22:23], 1.0 op_sel_hi:[1,0]
	v_cvt_f32_u32_sdwa v23, v58 dst_sel:DWORD dst_unused:UNUSED_PAD src0_sel:WORD_1
	v_cvt_f32_u32_sdwa v22, v58 dst_sel:DWORD dst_unused:UNUSED_PAD src0_sel:WORD_0
	v_pk_add_f32 v[24:25], v[24:25], 1.0 op_sel_hi:[1,0]
	v_pk_add_f32 v[26:27], v[26:27], 1.0 op_sel_hi:[1,0]
	;; [unrolled: 1-line block ×4, first 2 shown]
	;;#ASMSTART
	v_pk_mul_f32 v[40:41], v[8:9], v[14:15]
	;;#ASMEND
	;;#ASMSTART
	v_pk_mul_f32 v[30:31], v[10:11], v[20:21]
	;;#ASMEND
	;; [unrolled: 3-line block ×6, first 2 shown]
	s_or_b64 exec, exec, s[26:27]
	s_mov_b64 s[2:3], -1
	s_and_b64 vcc, exec, s[22:23]
	s_cbranch_vccz .LBB940_15
.LBB940_19:
	s_and_saveexec_b64 s[2:3], s[0:1]
	s_cbranch_execz .LBB940_21
; %bb.20:
	s_mul_hi_i32 s23, s25, s6
	s_mul_i32 s22, s25, s6
	s_lshl_b64 s[22:23], s[22:23], 1
	s_add_u32 s28, s14, s22
	s_addc_u32 s7, s15, s23
	s_and_b32 s29, s7, 0xffff
	s_mov_b32 s7, 0x7060302
	s_mov_b32 s31, 0x20000
	v_perm_b32 v11, v31, v30, s7
	v_perm_b32 v10, v41, v40, s7
	;; [unrolled: 1-line block ×4, first 2 shown]
	v_lshlrev_b32_e32 v4, 5, v0
	buffer_store_dwordx4 v[8:11], v4, s[28:31], 0 offen
	;;#ASMSTART
	s_nop 0
	;;#ASMEND
	s_nop 0
	v_perm_b32 v11, v75, v74, s7
	v_perm_b32 v10, v21, v20, s7
	;; [unrolled: 1-line block ×4, first 2 shown]
	buffer_store_dwordx4 v[8:11], v4, s[28:31], 16 offen
	;;#ASMSTART
	s_nop 0
	;;#ASMEND
.LBB940_21:
	s_or_b64 exec, exec, s[2:3]
	s_cbranch_execnz .LBB940_16
.LBB940_22:
	s_and_saveexec_b64 s[2:3], s[0:1]
	s_cbranch_execz .LBB940_24
; %bb.23:
	s_load_dwordx2 s[0:1], s[4:5], 0x10
	s_mul_hi_i32 s23, s24, s6
	s_mul_i32 s22, s24, s6
	s_lshl_b64 s[22:23], s[22:23], 1
	s_mov_b32 s7, 0x7060302
	s_waitcnt lgkmcnt(0)
	s_add_u32 s28, s0, s22
	s_addc_u32 s0, s1, s23
	v_perm_b32 v9, v31, v30, s7
	v_perm_b32 v8, v41, v40, s7
	;; [unrolled: 1-line block ×4, first 2 shown]
	s_and_b32 s29, s0, 0xffff
	s_mov_b32 s31, 0x20000
	v_lshlrev_b32_e32 v10, 5, v0
	v_perm_b32 v5, v75, v74, s7
	v_perm_b32 v4, v21, v20, s7
	;; [unrolled: 1-line block ×4, first 2 shown]
	buffer_store_dwordx4 v[6:9], v10, s[28:31], 0 offen
	;;#ASMSTART
	s_nop 0
	;;#ASMEND
	buffer_store_dwordx4 v[2:5], v10, s[28:31], 16 offen
	;;#ASMSTART
	s_nop 0
	;;#ASMEND
.LBB940_24:
	s_or_b64 exec, exec, s[2:3]
	s_cmp_lt_i32 s16, 1
	s_cbranch_scc1 .LBB940_17
.LBB940_25:
	s_load_dword s0, s[4:5], 0x94
	s_waitcnt lgkmcnt(0)
	s_cmp_lg_u32 s0, 1
	s_cbranch_scc1 .LBB940_17
; %bb.26:
	s_lshl_b32 s0, s16, 1
	s_add_i32 s0, s0, 2
	v_cmp_gt_u32_e32 vcc, s16, v1
	s_and_b32 s22, s0, -4
	v_mov_b32_e32 v18, 0
	v_lshlrev_b32_e32 v1, 5, v0
	v_mov_b32_e32 v14, 0
	v_mov_b32_e32 v15, 0
	v_mov_b32_e32 v16, 0
	v_mov_b32_e32 v17, 0
	v_mov_b32_e32 v10, 0
	v_mov_b32_e32 v11, 0
	v_mov_b32_e32 v12, 0
	v_mov_b32_e32 v13, 0
	v_mov_b32_e32 v6, 0
	v_mov_b32_e32 v7, 0
	v_mov_b32_e32 v8, 0
	v_mov_b32_e32 v9, 0
	v_mov_b32_e32 v2, 0
	v_mov_b32_e32 v3, 0
	v_mov_b32_e32 v4, 0
	v_mov_b32_e32 v5, 0
	s_barrier
	s_and_saveexec_b64 s[0:1], vcc
	s_cbranch_execz .LBB940_28
; %bb.27:
	s_mul_hi_i32 s3, s18, s6
	s_mul_i32 s2, s18, s6
	s_and_b32 s21, s21, 0xffff
	s_lshl_b64 s[2:3], s[2:3], 1
	s_add_u32 s28, s10, s2
	s_mov_b32 s23, 0x20000
	s_addc_u32 s2, s11, s3
	s_and_b32 s29, s2, 0xffff
	s_mov_b32 s30, s22
	s_mov_b32 s31, s23
	buffer_load_dwordx4 v[14:17], v1, s[28:31], 0 offen
	buffer_load_dwordx4 v[10:13], v1, s[28:31], 16 offen
	;; [unrolled: 1-line block ×4, first 2 shown]
.LBB940_28:
	s_or_b64 exec, exec, s[0:1]
	v_mov_b32_e32 v19, 0
	v_mov_b32_e32 v32, 0
	;; [unrolled: 1-line block ×15, first 2 shown]
	s_and_saveexec_b64 s[0:1], vcc
	s_cbranch_execz .LBB940_30
; %bb.29:
	s_waitcnt vmcnt(3)
	v_cvt_f32_u32_sdwa v18, v14 dst_sel:DWORD dst_unused:UNUSED_PAD src0_sel:WORD_0
	v_cvt_f32_u32_sdwa v19, v14 dst_sel:DWORD dst_unused:UNUSED_PAD src0_sel:WORD_1
	v_cvt_f32_u32_sdwa v32, v15 dst_sel:DWORD dst_unused:UNUSED_PAD src0_sel:WORD_0
	v_cvt_f32_u32_sdwa v33, v15 dst_sel:DWORD dst_unused:UNUSED_PAD src0_sel:WORD_1
	;; [unrolled: 2-line block ×4, first 2 shown]
	s_waitcnt vmcnt(2)
	v_cvt_f32_u32_sdwa v26, v10 dst_sel:DWORD dst_unused:UNUSED_PAD src0_sel:WORD_0
	v_cvt_f32_u32_sdwa v27, v10 dst_sel:DWORD dst_unused:UNUSED_PAD src0_sel:WORD_1
	v_cvt_f32_u32_sdwa v24, v11 dst_sel:DWORD dst_unused:UNUSED_PAD src0_sel:WORD_0
	v_cvt_f32_u32_sdwa v25, v11 dst_sel:DWORD dst_unused:UNUSED_PAD src0_sel:WORD_1
	;; [unrolled: 2-line block ×4, first 2 shown]
.LBB940_30:
	s_or_b64 exec, exec, s[0:1]
	s_waitcnt vmcnt(2)
	v_mul_f32_e32 v10, v19, v19
	v_fmac_f32_e32 v10, v18, v18
	v_fmac_f32_e32 v10, v32, v32
	;; [unrolled: 1-line block ×15, first 2 shown]
	s_nop 1
	v_mov_b32_dpp v11, v10 quad_perm:[1,0,3,2] row_mask:0xf bank_mask:0xf
	v_add_f32_e32 v10, v10, v11
	s_nop 1
	v_mov_b32_dpp v11, v10 quad_perm:[2,3,0,1] row_mask:0xf bank_mask:0xf
	v_add_f32_e32 v10, v10, v11
	s_nop 1
	v_mov_b32_dpp v11, v10 row_half_mirror row_mask:0xf bank_mask:0xf
	v_add_f32_e32 v10, v10, v11
	s_nop 1
	v_mov_b32_dpp v11, v10 row_mirror row_mask:0xf bank_mask:0xf
	v_add_f32_e32 v10, v10, v11
	s_nop 1
	v_mov_b32_dpp v11, v10 row_bcast:15 row_mask:0xf bank_mask:0xf
	v_add_f32_e32 v10, v10, v11
	s_nop 1
	v_mov_b32_dpp v11, v10 row_bcast:31 row_mask:0xf bank_mask:0xf
	s_and_saveexec_b64 s[0:1], s[8:9]
	s_cbranch_execz .LBB940_32
; %bb.31:
	v_lshrrev_b32_e32 v0, 4, v0
	v_add_f32_e32 v10, v10, v11
	v_and_b32_e32 v0, 60, v0
	ds_write_b32 v0, v10
.LBB940_32:
	s_or_b64 exec, exec, s[0:1]
	s_waitcnt lgkmcnt(0)
	s_barrier
	ds_read_b32 v0, v34
	s_waitcnt lgkmcnt(0)
	s_nop 0
	v_mov_b32_dpp v10, v0 quad_perm:[1,0,3,2] row_mask:0xf bank_mask:0xf
	v_add_f32_e32 v0, v0, v10
	s_nop 1
	v_mov_b32_dpp v10, v0 quad_perm:[2,3,0,1] row_mask:0xf bank_mask:0xf
	v_add_f32_e32 v0, v0, v10
	s_nop 1
	v_mov_b32_dpp v10, v0 row_half_mirror row_mask:0xf bank_mask:0xf
	s_and_saveexec_b64 s[0:1], vcc
	s_cbranch_execz .LBB940_17
; %bb.33:
	v_cvt_f32_u32_e32 v11, s16
	v_add_f32_e32 v0, v0, v10
	s_mov_b32 s23, 0x20000
	v_div_scale_f32 v10, s[0:1], v11, v11, v0
	v_rcp_f32_e32 v12, v10
	v_div_scale_f32 v13, vcc, v0, v11, v0
	s_mov_b32 s0, 0x800000
	v_fma_f32 v14, -v10, v12, 1.0
	v_fmac_f32_e32 v12, v14, v12
	v_mul_f32_e32 v14, v13, v12
	v_fma_f32 v15, -v10, v14, v13
	v_fmac_f32_e32 v14, v15, v12
	v_fma_f32 v10, -v10, v14, v13
	v_div_fmas_f32 v10, v10, v12, v14
	v_div_fixup_f32 v0, v10, v11, v0
	v_add_f32_e32 v0, s13, v0
	v_mul_f32_e32 v10, 0x4b800000, v0
	v_cmp_gt_f32_e32 vcc, s0, v0
	v_cndmask_b32_e32 v0, v0, v10, vcc
	v_rsq_f32_e32 v0, v0
	s_mul_hi_i32 s1, s25, s6
	s_mul_i32 s0, s25, s6
	s_lshl_b64 s[0:1], s[0:1], 1
	v_mul_f32_e32 v10, 0x45800000, v0
	v_cndmask_b32_e32 v10, v0, v10, vcc
	v_mov_b32_e32 v11, v10
	;;#ASMSTART
	v_pk_mul_f32 v[12:13], v[18:19], v[10:11]
	;;#ASMEND
	;;#ASMSTART
	v_pk_mul_f32 v[14:15], v[32:33], v[10:11]
	;;#ASMEND
	;; [unrolled: 3-line block ×4, first 2 shown]
	s_waitcnt vmcnt(1)
	v_cvt_f32_u32_sdwa v29, v6 dst_sel:DWORD dst_unused:UNUSED_PAD src0_sel:WORD_1
	v_cvt_f32_u32_sdwa v28, v6 dst_sel:DWORD dst_unused:UNUSED_PAD src0_sel:WORD_0
	v_cvt_f32_u32_sdwa v31, v7 dst_sel:DWORD dst_unused:UNUSED_PAD src0_sel:WORD_1
	v_cvt_f32_u32_sdwa v30, v7 dst_sel:DWORD dst_unused:UNUSED_PAD src0_sel:WORD_0
	;;#ASMSTART
	v_pk_mul_f32 v[26:27], v[26:27], v[10:11]
	;;#ASMEND
	;;#ASMSTART
	v_pk_mul_f32 v[24:25], v[24:25], v[10:11]
	;;#ASMEND
	;;#ASMSTART
	v_pk_mul_f32 v[22:23], v[22:23], v[10:11]
	;;#ASMEND
	;;#ASMSTART
	v_pk_mul_f32 v[6:7], v[20:21], v[10:11]
	;;#ASMEND
	v_cvt_f32_u32_sdwa v21, v8 dst_sel:DWORD dst_unused:UNUSED_PAD src0_sel:WORD_1
	v_cvt_f32_u32_sdwa v20, v8 dst_sel:DWORD dst_unused:UNUSED_PAD src0_sel:WORD_0
	v_pk_add_f32 v[10:11], v[28:29], 1.0 op_sel_hi:[1,0]
	;;#ASMSTART
	v_pk_mul_f32 v[10:11], v[12:13], v[10:11]
	;;#ASMEND
	v_pk_add_f32 v[12:13], v[30:31], 1.0 op_sel_hi:[1,0]
	v_cvt_f32_u32_sdwa v29, v9 dst_sel:DWORD dst_unused:UNUSED_PAD src0_sel:WORD_1
	v_cvt_f32_u32_sdwa v28, v9 dst_sel:DWORD dst_unused:UNUSED_PAD src0_sel:WORD_0
	;;#ASMSTART
	v_pk_mul_f32 v[8:9], v[14:15], v[12:13]
	;;#ASMEND
	v_pk_add_f32 v[12:13], v[20:21], 1.0 op_sel_hi:[1,0]
	;;#ASMSTART
	v_pk_mul_f32 v[12:13], v[16:17], v[12:13]
	;;#ASMEND
	s_waitcnt vmcnt(0)
	v_cvt_f32_u32_sdwa v17, v2 dst_sel:DWORD dst_unused:UNUSED_PAD src0_sel:WORD_1
	v_cvt_f32_u32_sdwa v16, v2 dst_sel:DWORD dst_unused:UNUSED_PAD src0_sel:WORD_0
	v_cvt_f32_u32_sdwa v21, v3 dst_sel:DWORD dst_unused:UNUSED_PAD src0_sel:WORD_1
	v_cvt_f32_u32_sdwa v20, v3 dst_sel:DWORD dst_unused:UNUSED_PAD src0_sel:WORD_0
	v_pk_add_f32 v[14:15], v[28:29], 1.0 op_sel_hi:[1,0]
	;;#ASMSTART
	v_pk_mul_f32 v[14:15], v[18:19], v[14:15]
	;;#ASMEND
	v_pk_add_f32 v[2:3], v[16:17], 1.0 op_sel_hi:[1,0]
	v_cvt_f32_u32_sdwa v19, v4 dst_sel:DWORD dst_unused:UNUSED_PAD src0_sel:WORD_1
	v_cvt_f32_u32_sdwa v18, v4 dst_sel:DWORD dst_unused:UNUSED_PAD src0_sel:WORD_0
	;;#ASMSTART
	v_pk_mul_f32 v[16:17], v[26:27], v[2:3]
	;;#ASMEND
	v_pk_add_f32 v[2:3], v[20:21], 1.0 op_sel_hi:[1,0]
	v_cvt_f32_u32_sdwa v21, v5 dst_sel:DWORD dst_unused:UNUSED_PAD src0_sel:WORD_1
	v_cvt_f32_u32_sdwa v20, v5 dst_sel:DWORD dst_unused:UNUSED_PAD src0_sel:WORD_0
	s_add_u32 s20, s14, s0
	;;#ASMSTART
	v_pk_mul_f32 v[24:25], v[24:25], v[2:3]
	;;#ASMEND
	v_pk_add_f32 v[2:3], v[18:19], 1.0 op_sel_hi:[1,0]
	s_addc_u32 s0, s15, s1
	;;#ASMSTART
	v_pk_mul_f32 v[18:19], v[22:23], v[2:3]
	;;#ASMEND
	v_pk_add_f32 v[2:3], v[20:21], 1.0 op_sel_hi:[1,0]
	s_and_b32 s21, s0, 0xffff
	s_mov_b32 s0, 0x7060302
	;;#ASMSTART
	v_pk_mul_f32 v[6:7], v[6:7], v[2:3]
	;;#ASMEND
	v_perm_b32 v2, v11, v10, s0
	v_perm_b32 v3, v9, v8, s0
	;; [unrolled: 1-line block ×4, first 2 shown]
	buffer_store_dwordx4 v[2:5], v1, s[20:23], 0 offen
	;;#ASMSTART
	s_nop 0
	;;#ASMEND
	s_nop 0
	v_perm_b32 v2, v17, v16, s0
	v_perm_b32 v3, v25, v24, s0
	;; [unrolled: 1-line block ×4, first 2 shown]
	buffer_store_dwordx4 v[2:5], v1, s[20:23], 16 offen
	;;#ASMSTART
	s_nop 0
	;;#ASMEND
	s_endpgm
	.section	.rodata,"a",@progbits
	.p2align	6, 0x0
	.amdhsa_kernel _ZN5aiter35fused_qk_rmsnorm_group_quant_kernelItN4opus5fp4_tELi512ELi16ELi4ELb1ELb1ELb1ELb1ELb0ELb0EEEvPT0_PvPT_S7_S7_PKS6_S9_S9_S9_S9_ffiiiiiiiiiiiii
		.amdhsa_group_segment_fixed_size 64
		.amdhsa_private_segment_fixed_size 0
		.amdhsa_kernarg_size 400
		.amdhsa_user_sgpr_count 6
		.amdhsa_user_sgpr_private_segment_buffer 1
		.amdhsa_user_sgpr_dispatch_ptr 0
		.amdhsa_user_sgpr_queue_ptr 0
		.amdhsa_user_sgpr_kernarg_segment_ptr 1
		.amdhsa_user_sgpr_dispatch_id 0
		.amdhsa_user_sgpr_flat_scratch_init 0
		.amdhsa_user_sgpr_kernarg_preload_length 0
		.amdhsa_user_sgpr_kernarg_preload_offset 0
		.amdhsa_user_sgpr_private_segment_size 0
		.amdhsa_uses_dynamic_stack 0
		.amdhsa_system_sgpr_private_segment_wavefront_offset 0
		.amdhsa_system_sgpr_workgroup_id_x 1
		.amdhsa_system_sgpr_workgroup_id_y 1
		.amdhsa_system_sgpr_workgroup_id_z 0
		.amdhsa_system_sgpr_workgroup_info 0
		.amdhsa_system_vgpr_workitem_id 0
		.amdhsa_next_free_vgpr 76
		.amdhsa_next_free_sgpr 32
		.amdhsa_accum_offset 76
		.amdhsa_reserve_vcc 1
		.amdhsa_reserve_flat_scratch 0
		.amdhsa_float_round_mode_32 0
		.amdhsa_float_round_mode_16_64 0
		.amdhsa_float_denorm_mode_32 3
		.amdhsa_float_denorm_mode_16_64 3
		.amdhsa_dx10_clamp 1
		.amdhsa_ieee_mode 1
		.amdhsa_fp16_overflow 0
		.amdhsa_tg_split 0
		.amdhsa_exception_fp_ieee_invalid_op 0
		.amdhsa_exception_fp_denorm_src 0
		.amdhsa_exception_fp_ieee_div_zero 0
		.amdhsa_exception_fp_ieee_overflow 0
		.amdhsa_exception_fp_ieee_underflow 0
		.amdhsa_exception_fp_ieee_inexact 0
		.amdhsa_exception_int_div_zero 0
	.end_amdhsa_kernel
	.section	.text._ZN5aiter35fused_qk_rmsnorm_group_quant_kernelItN4opus5fp4_tELi512ELi16ELi4ELb1ELb1ELb1ELb1ELb0ELb0EEEvPT0_PvPT_S7_S7_PKS6_S9_S9_S9_S9_ffiiiiiiiiiiiii,"axG",@progbits,_ZN5aiter35fused_qk_rmsnorm_group_quant_kernelItN4opus5fp4_tELi512ELi16ELi4ELb1ELb1ELb1ELb1ELb0ELb0EEEvPT0_PvPT_S7_S7_PKS6_S9_S9_S9_S9_ffiiiiiiiiiiiii,comdat
.Lfunc_end940:
	.size	_ZN5aiter35fused_qk_rmsnorm_group_quant_kernelItN4opus5fp4_tELi512ELi16ELi4ELb1ELb1ELb1ELb1ELb0ELb0EEEvPT0_PvPT_S7_S7_PKS6_S9_S9_S9_S9_ffiiiiiiiiiiiii, .Lfunc_end940-_ZN5aiter35fused_qk_rmsnorm_group_quant_kernelItN4opus5fp4_tELi512ELi16ELi4ELb1ELb1ELb1ELb1ELb0ELb0EEEvPT0_PvPT_S7_S7_PKS6_S9_S9_S9_S9_ffiiiiiiiiiiiii
                                        ; -- End function
	.section	.AMDGPU.csdata,"",@progbits
; Kernel info:
; codeLenInByte = 3600
; NumSgprs: 36
; NumVgprs: 76
; NumAgprs: 0
; TotalNumVgprs: 76
; ScratchSize: 0
; MemoryBound: 0
; FloatMode: 240
; IeeeMode: 1
; LDSByteSize: 64 bytes/workgroup (compile time only)
; SGPRBlocks: 4
; VGPRBlocks: 9
; NumSGPRsForWavesPerEU: 36
; NumVGPRsForWavesPerEU: 76
; AccumOffset: 76
; Occupancy: 6
; WaveLimiterHint : 0
; COMPUTE_PGM_RSRC2:SCRATCH_EN: 0
; COMPUTE_PGM_RSRC2:USER_SGPR: 6
; COMPUTE_PGM_RSRC2:TRAP_HANDLER: 0
; COMPUTE_PGM_RSRC2:TGID_X_EN: 1
; COMPUTE_PGM_RSRC2:TGID_Y_EN: 1
; COMPUTE_PGM_RSRC2:TGID_Z_EN: 0
; COMPUTE_PGM_RSRC2:TIDIG_COMP_CNT: 0
; COMPUTE_PGM_RSRC3_GFX90A:ACCUM_OFFSET: 18
; COMPUTE_PGM_RSRC3_GFX90A:TG_SPLIT: 0
	.section	.text._ZN5aiter35fused_qk_rmsnorm_group_quant_kernelIDF16_DB8_Li512ELi16ELi4ELb1ELb1ELb0ELb1ELb0ELb0EEEvPT0_PvPT_S6_S6_PKS5_S8_S8_S8_S8_ffiiiiiiiiiiiii,"axG",@progbits,_ZN5aiter35fused_qk_rmsnorm_group_quant_kernelIDF16_DB8_Li512ELi16ELi4ELb1ELb1ELb0ELb1ELb0ELb0EEEvPT0_PvPT_S6_S6_PKS5_S8_S8_S8_S8_ffiiiiiiiiiiiii,comdat
	.protected	_ZN5aiter35fused_qk_rmsnorm_group_quant_kernelIDF16_DB8_Li512ELi16ELi4ELb1ELb1ELb0ELb1ELb0ELb0EEEvPT0_PvPT_S6_S6_PKS5_S8_S8_S8_S8_ffiiiiiiiiiiiii ; -- Begin function _ZN5aiter35fused_qk_rmsnorm_group_quant_kernelIDF16_DB8_Li512ELi16ELi4ELb1ELb1ELb0ELb1ELb0ELb0EEEvPT0_PvPT_S6_S6_PKS5_S8_S8_S8_S8_ffiiiiiiiiiiiii
	.globl	_ZN5aiter35fused_qk_rmsnorm_group_quant_kernelIDF16_DB8_Li512ELi16ELi4ELb1ELb1ELb0ELb1ELb0ELb0EEEvPT0_PvPT_S6_S6_PKS5_S8_S8_S8_S8_ffiiiiiiiiiiiii
	.p2align	8
	.type	_ZN5aiter35fused_qk_rmsnorm_group_quant_kernelIDF16_DB8_Li512ELi16ELi4ELb1ELb1ELb0ELb1ELb0ELb0EEEvPT0_PvPT_S6_S6_PKS5_S8_S8_S8_S8_ffiiiiiiiiiiiii,@function
_ZN5aiter35fused_qk_rmsnorm_group_quant_kernelIDF16_DB8_Li512ELi16ELi4ELb1ELb1ELb0ELb1ELb0ELb0EEEvPT0_PvPT_S6_S6_PKS5_S8_S8_S8_S8_ffiiiiiiiiiiiii: ; @_ZN5aiter35fused_qk_rmsnorm_group_quant_kernelIDF16_DB8_Li512ELi16ELi4ELb1ELb1ELb0ELb1ELb0ELb0EEEvPT0_PvPT_S6_S6_PKS5_S8_S8_S8_S8_ffiiiiiiiiiiiii
; %bb.0:
	s_load_dwordx8 s[12:19], s[4:5], 0x50
	s_waitcnt lgkmcnt(0)
	s_cmp_ge_i32 s6, s14
	s_cbranch_scc1 .LBB941_17
; %bb.1:
	s_cmp_lg_u32 s7, 0
	s_cselect_b64 s[22:23], -1, 0
	s_cmp_eq_u32 s7, 0
	s_cselect_b64 s[2:3], -1, 0
	s_and_b64 s[0:1], s[2:3], exec
	s_cselect_b32 s7, s15, s16
	s_load_dwordx2 s[10:11], s[4:5], 0x30
	s_load_dwordx2 s[20:21], s[4:5], 0x48
	s_add_i32 s0, s7, 1
	s_lshr_b32 s1, s0, 31
	s_add_i32 s0, s0, s1
	s_lshl_b32 s0, s0, 1
	v_lshlrev_b32_e32 v1, 4, v0
	s_and_b32 s30, s0, -4
	v_cmp_gt_i32_e64 s[0:1], s7, v1
	v_mov_b32_e32 v6, 0
	v_mov_b32_e32 v7, 0
	;; [unrolled: 1-line block ×16, first 2 shown]
	s_and_saveexec_b64 s[8:9], s[0:1]
	s_cbranch_execz .LBB941_3
; %bb.2:
	s_load_dwordx2 s[14:15], s[4:5], 0x28
	s_load_dwordx2 s[26:27], s[4:5], 0x40
	s_and_b64 s[24:25], s[2:3], exec
	s_cselect_b32 s17, s17, s18
	s_mov_b32 s31, 0x20000
	s_waitcnt lgkmcnt(0)
	s_cselect_b32 s25, s15, s11
	s_cselect_b32 s24, s14, s10
	s_mul_hi_i32 s15, s17, s6
	s_mul_i32 s14, s17, s6
	s_lshl_b64 s[14:15], s[14:15], 1
	s_add_u32 s24, s24, s14
	s_addc_u32 s17, s25, s15
	s_and_b64 s[14:15], s[2:3], exec
	s_cselect_b32 s28, s26, s20
	s_cselect_b32 s14, s27, s21
	s_and_b32 s25, s17, 0xffff
	s_mov_b32 s26, s30
	s_mov_b32 s27, s31
	v_lshlrev_b32_e32 v18, 5, v0
	s_and_b32 s29, s14, 0xffff
	buffer_load_dwordx4 v[10:13], v18, s[24:27], 0 offen
	buffer_load_dwordx4 v[14:17], v18, s[24:27], 16 offen
	;; [unrolled: 1-line block ×4, first 2 shown]
.LBB941_3:
	s_or_b64 exec, exec, s[8:9]
	s_load_dwordx4 s[24:27], s[4:5], 0x7c
	s_and_b64 vcc, exec, s[22:23]
	s_cbranch_vccz .LBB941_7
; %bb.4:
	v_mov_b32_e32 v19, 0
	v_mov_b32_e32 v18, 0
	;; [unrolled: 1-line block ×16, first 2 shown]
	s_and_saveexec_b64 s[8:9], s[0:1]
	s_cbranch_execz .LBB941_6
; %bb.5:
	s_waitcnt vmcnt(3)
	v_cvt_f32_f16_sdwa v33, v10 dst_sel:DWORD dst_unused:UNUSED_PAD src0_sel:WORD_1
	v_cvt_f32_f16_e32 v32, v10
	v_cvt_f32_f16_sdwa v31, v11 dst_sel:DWORD dst_unused:UNUSED_PAD src0_sel:WORD_1
	v_cvt_f32_f16_e32 v30, v11
	;; [unrolled: 2-line block ×4, first 2 shown]
	s_waitcnt vmcnt(2)
	v_cvt_f32_f16_sdwa v25, v14 dst_sel:DWORD dst_unused:UNUSED_PAD src0_sel:WORD_1
	v_cvt_f32_f16_e32 v24, v14
	v_cvt_f32_f16_sdwa v23, v15 dst_sel:DWORD dst_unused:UNUSED_PAD src0_sel:WORD_1
	v_cvt_f32_f16_e32 v22, v15
	v_cvt_f32_f16_sdwa v21, v16 dst_sel:DWORD dst_unused:UNUSED_PAD src0_sel:WORD_1
	v_cvt_f32_f16_e32 v20, v16
	v_cvt_f32_f16_sdwa v19, v17 dst_sel:DWORD dst_unused:UNUSED_PAD src0_sel:WORD_1
	v_cvt_f32_f16_e32 v18, v17
.LBB941_6:
	s_or_b64 exec, exec, s[8:9]
	s_cbranch_execz .LBB941_8
	s_branch .LBB941_11
.LBB941_7:
                                        ; implicit-def: $vgpr19
                                        ; implicit-def: $vgpr21
                                        ; implicit-def: $vgpr23
                                        ; implicit-def: $vgpr25
                                        ; implicit-def: $vgpr29
                                        ; implicit-def: $vgpr27
                                        ; implicit-def: $vgpr31
                                        ; implicit-def: $vgpr33
.LBB941_8:
	v_mov_b32_e32 v19, 0
	v_mov_b32_e32 v18, 0
	;; [unrolled: 1-line block ×16, first 2 shown]
	s_and_saveexec_b64 s[8:9], s[0:1]
	s_cbranch_execz .LBB941_10
; %bb.9:
	s_load_dwordx2 s[14:15], s[4:5], 0x38
	s_mul_hi_i32 s29, s19, s6
	s_mul_i32 s28, s19, s6
	s_lshl_b64 s[28:29], s[28:29], 1
	s_mov_b32 s31, 0x20000
	s_waitcnt lgkmcnt(0)
	s_add_u32 s28, s14, s28
	s_addc_u32 s14, s15, s29
	s_and_b32 s29, s14, 0xffff
	v_lshlrev_b32_e32 v48, 5, v0
	buffer_load_dwordx4 v[18:21], v48, s[28:31], 16 offen
	buffer_load_dwordx4 v[22:25], v48, s[28:31], 0 offen
	s_waitcnt vmcnt(4)
	v_cvt_f32_f16_sdwa v27, v14 dst_sel:DWORD dst_unused:UNUSED_PAD src0_sel:WORD_1
	v_cvt_f32_f16_e32 v26, v14
	v_cvt_f32_f16_sdwa v29, v15 dst_sel:DWORD dst_unused:UNUSED_PAD src0_sel:WORD_1
	v_cvt_f32_f16_e32 v28, v15
	;; [unrolled: 2-line block ×8, first 2 shown]
	s_load_dwordx2 s[14:15], s[4:5], 0x20
	s_mul_hi_i32 s27, s26, s6
	s_mul_i32 s26, s26, s6
	s_lshl_b64 s[26:27], s[26:27], 1
	s_waitcnt lgkmcnt(0)
	s_add_u32 s28, s14, s26
	s_addc_u32 s14, s15, s27
	s_and_b32 s29, s14, 0xffff
	s_waitcnt vmcnt(1)
	v_cvt_f32_f16_e32 v12, v18
	v_cvt_f32_f16_sdwa v13, v18 dst_sel:DWORD dst_unused:UNUSED_PAD src0_sel:WORD_1
	v_cvt_f32_f16_e32 v18, v19
	v_cvt_f32_f16_sdwa v19, v19 dst_sel:DWORD dst_unused:UNUSED_PAD src0_sel:WORD_1
	;; [unrolled: 2-line block ×4, first 2 shown]
	s_waitcnt vmcnt(0)
	v_cvt_f32_f16_e32 v40, v22
	v_cvt_f32_f16_sdwa v41, v22 dst_sel:DWORD dst_unused:UNUSED_PAD src0_sel:WORD_1
	v_cvt_f32_f16_e32 v42, v23
	v_cvt_f32_f16_sdwa v43, v23 dst_sel:DWORD dst_unused:UNUSED_PAD src0_sel:WORD_1
	;; [unrolled: 2-line block ×4, first 2 shown]
	v_pk_add_f32 v[24:25], v[26:27], v[12:13]
	v_pk_add_f32 v[22:23], v[28:29], v[18:19]
	;; [unrolled: 1-line block ×8, first 2 shown]
	v_cvt_f16_f32_e32 v10, v33
	v_cvt_f16_f32_e32 v14, v32
	;; [unrolled: 1-line block ×16, first 2 shown]
	v_pack_b32_f16 v13, v17, v13
	v_pack_b32_f16 v12, v16, v12
	;; [unrolled: 1-line block ×8, first 2 shown]
	buffer_store_dwordx4 v[10:13], v48, s[28:31], 0 offen
	;;#ASMSTART
	s_nop 0
	;;#ASMEND
	buffer_store_dwordx4 v[14:17], v48, s[28:31], 16 offen
	;;#ASMSTART
	s_nop 0
	;;#ASMEND
.LBB941_10:
	s_or_b64 exec, exec, s[8:9]
.LBB941_11:
	s_waitcnt vmcnt(3)
	v_mul_f32_e32 v10, v33, v33
	v_fmac_f32_e32 v10, v32, v32
	v_fmac_f32_e32 v10, v30, v30
	;; [unrolled: 1-line block ×15, first 2 shown]
	v_and_b32_e32 v12, 63, v0
	v_cmp_eq_u32_e64 s[8:9], 63, v12
	v_mov_b32_dpp v11, v10 quad_perm:[1,0,3,2] row_mask:0xf bank_mask:0xf
	v_add_f32_e32 v10, v10, v11
	s_nop 1
	v_mov_b32_dpp v11, v10 quad_perm:[2,3,0,1] row_mask:0xf bank_mask:0xf
	v_add_f32_e32 v10, v10, v11
	s_nop 1
	v_mov_b32_dpp v11, v10 row_half_mirror row_mask:0xf bank_mask:0xf
	v_add_f32_e32 v10, v10, v11
	s_nop 1
	v_mov_b32_dpp v11, v10 row_mirror row_mask:0xf bank_mask:0xf
	v_add_f32_e32 v10, v10, v11
	s_nop 1
	v_mov_b32_dpp v11, v10 row_bcast:15 row_mask:0xf bank_mask:0xf
	v_add_f32_e32 v10, v10, v11
	s_nop 1
	v_mov_b32_dpp v11, v10 row_bcast:31 row_mask:0xf bank_mask:0xf
	s_and_saveexec_b64 s[14:15], s[8:9]
	s_cbranch_execz .LBB941_13
; %bb.12:
	v_add_f32_e32 v10, v10, v11
	v_lshrrev_b32_e32 v11, 4, v0
	v_and_b32_e32 v11, 60, v11
	ds_write_b32 v11, v10 offset:32
.LBB941_13:
	s_or_b64 exec, exec, s[14:15]
	v_and_b32_e32 v10, 7, v0
	v_lshlrev_b32_e32 v34, 2, v10
	s_waitcnt lgkmcnt(0)
	s_barrier
	ds_read_b32 v10, v34 offset:32
	s_load_dwordx2 s[14:15], s[4:5], 0x18
	s_waitcnt lgkmcnt(0)
	v_mov_b32_dpp v11, v10 quad_perm:[1,0,3,2] row_mask:0xf bank_mask:0xf
	v_add_f32_e32 v10, v10, v11
	s_nop 1
	v_mov_b32_dpp v11, v10 quad_perm:[2,3,0,1] row_mask:0xf bank_mask:0xf
	v_add_f32_e32 v10, v10, v11
	s_nop 1
	v_mov_b32_dpp v11, v10 row_half_mirror row_mask:0xf bank_mask:0xf
	s_and_saveexec_b64 s[26:27], s[0:1]
	s_cbranch_execnz .LBB941_18
; %bb.14:
	s_or_b64 exec, exec, s[26:27]
	s_mov_b64 s[2:3], -1
	s_and_b64 vcc, exec, s[22:23]
	s_cbranch_vccnz .LBB941_19
.LBB941_15:
	s_andn2_b64 vcc, exec, s[2:3]
	s_cbranch_vccz .LBB941_22
.LBB941_16:
	s_cmp_lt_i32 s16, 1
	s_cbranch_scc0 .LBB941_25
.LBB941_17:
	s_endpgm
.LBB941_18:
	v_cvt_f32_u32_e32 v12, s7
	v_add_f32_e32 v10, v10, v11
	s_waitcnt vmcnt(2)
	v_mov_b32_e32 v14, s13
	v_mov_b32_e32 v15, s12
	v_div_scale_f32 v11, s[28:29], v12, v12, v10
	v_rcp_f32_e32 v13, v11
	v_cndmask_b32_e64 v14, v14, v15, s[2:3]
	s_mov_b32 s2, 0x800000
	s_waitcnt vmcnt(1)
	v_cvt_f32_f16_sdwa v37, v9 dst_sel:DWORD dst_unused:UNUSED_PAD src0_sel:WORD_1
	v_fma_f32 v15, -v11, v13, 1.0
	v_fmac_f32_e32 v13, v15, v13
	v_div_scale_f32 v15, vcc, v10, v12, v10
	v_mul_f32_e32 v16, v15, v13
	v_fma_f32 v17, -v11, v16, v15
	v_fmac_f32_e32 v16, v17, v13
	v_fma_f32 v11, -v11, v16, v15
	v_div_fmas_f32 v11, v11, v13, v16
	v_div_fixup_f32 v10, v11, v12, v10
	v_add_f32_e32 v10, v14, v10
	v_mul_f32_e32 v11, 0x4b800000, v10
	v_cmp_gt_f32_e32 vcc, s2, v10
	v_cndmask_b32_e32 v10, v10, v11, vcc
	v_rsq_f32_e32 v10, v10
	v_cvt_f32_f16_e32 v36, v9
	s_waitcnt vmcnt(0)
	v_cvt_f32_f16_sdwa v9, v3 dst_sel:DWORD dst_unused:UNUSED_PAD src0_sel:WORD_1
	v_mul_f32_e32 v11, 0x45800000, v10
	v_cndmask_b32_e32 v10, v10, v11, vcc
	v_mov_b32_e32 v11, v10
	;;#ASMSTART
	v_pk_mul_f32 v[12:13], v[32:33], v[10:11]
	;;#ASMEND
	;;#ASMSTART
	v_pk_mul_f32 v[14:15], v[30:31], v[10:11]
	;;#ASMEND
	;; [unrolled: 3-line block ×8, first 2 shown]
	v_cvt_f32_f16_sdwa v19, v6 dst_sel:DWORD dst_unused:UNUSED_PAD src0_sel:WORD_1
	v_cvt_f32_f16_e32 v18, v6
	v_cvt_f32_f16_sdwa v27, v7 dst_sel:DWORD dst_unused:UNUSED_PAD src0_sel:WORD_1
	v_cvt_f32_f16_e32 v26, v7
	;; [unrolled: 2-line block ×3, first 2 shown]
	;;#ASMSTART
	v_pk_mul_f32 v[32:33], v[12:13], v[18:19]
	;;#ASMEND
	;;#ASMSTART
	v_pk_mul_f32 v[30:31], v[14:15], v[26:27]
	;;#ASMEND
	;;#ASMSTART
	v_pk_mul_f32 v[26:27], v[16:17], v[6:7]
	;;#ASMEND
	;;#ASMSTART
	v_pk_mul_f32 v[28:29], v[28:29], v[36:37]
	;;#ASMEND
	v_cvt_f32_f16_sdwa v7, v2 dst_sel:DWORD dst_unused:UNUSED_PAD src0_sel:WORD_1
	v_cvt_f32_f16_e32 v6, v2
	v_cvt_f32_f16_e32 v8, v3
	v_cvt_f32_f16_sdwa v3, v4 dst_sel:DWORD dst_unused:UNUSED_PAD src0_sel:WORD_1
	v_cvt_f32_f16_e32 v2, v4
	v_cvt_f32_f16_sdwa v13, v5 dst_sel:DWORD dst_unused:UNUSED_PAD src0_sel:WORD_1
	v_cvt_f32_f16_e32 v12, v5
	;;#ASMSTART
	v_pk_mul_f32 v[24:25], v[24:25], v[6:7]
	;;#ASMEND
	;;#ASMSTART
	v_pk_mul_f32 v[22:23], v[22:23], v[8:9]
	;;#ASMEND
	;; [unrolled: 3-line block ×4, first 2 shown]
	s_or_b64 exec, exec, s[26:27]
	s_mov_b64 s[2:3], -1
	s_and_b64 vcc, exec, s[22:23]
	s_cbranch_vccz .LBB941_15
.LBB941_19:
	s_and_saveexec_b64 s[2:3], s[0:1]
	s_cbranch_execz .LBB941_21
; %bb.20:
	s_mul_hi_i32 s23, s25, s6
	s_mul_i32 s22, s25, s6
	s_waitcnt vmcnt(0)
	v_cvt_f16_f32_e32 v2, v32
	v_cvt_f16_f32_e32 v3, v30
	;; [unrolled: 1-line block ×8, first 2 shown]
	s_lshl_b64 s[22:23], s[22:23], 1
	s_add_u32 s28, s14, s22
	s_addc_u32 s7, s15, s23
	s_and_b32 s29, s7, 0xffff
	s_mov_b32 s31, 0x20000
	v_pack_b32_f16 v5, v5, v6
	v_pack_b32_f16 v4, v4, v7
	;; [unrolled: 1-line block ×4, first 2 shown]
	v_lshlrev_b32_e32 v6, 5, v0
	buffer_store_dwordx4 v[2:5], v6, s[28:31], 0 offen
	v_cvt_f16_f32_e32 v7, v19
	v_cvt_f16_f32_e32 v2, v24
	;; [unrolled: 1-line block ×8, first 2 shown]
	v_pack_b32_f16 v5, v5, v7
	v_pack_b32_f16 v4, v4, v8
	;; [unrolled: 1-line block ×4, first 2 shown]
	;;#ASMSTART
	s_nop 0
	;;#ASMEND
	buffer_store_dwordx4 v[2:5], v6, s[28:31], 16 offen
	;;#ASMSTART
	s_nop 0
	;;#ASMEND
.LBB941_21:
	s_or_b64 exec, exec, s[2:3]
	s_cbranch_execnz .LBB941_16
.LBB941_22:
	s_and_saveexec_b64 s[2:3], s[0:1]
	s_cbranch_execz .LBB941_24
; %bb.23:
	s_load_dwordx2 s[0:1], s[4:5], 0x10
	s_mul_hi_i32 s23, s24, s6
	s_mul_i32 s22, s24, s6
	s_waitcnt vmcnt(0)
	v_cvt_f16_f32_e32 v2, v32
	v_cvt_f16_f32_e32 v3, v30
	;; [unrolled: 1-line block ×8, first 2 shown]
	s_lshl_b64 s[22:23], s[22:23], 1
	s_waitcnt lgkmcnt(0)
	s_add_u32 s28, s0, s22
	s_addc_u32 s0, s1, s23
	s_mov_b32 s31, 0x20000
	s_and_b32 s29, s0, 0xffff
	v_pack_b32_f16 v5, v5, v6
	v_pack_b32_f16 v4, v4, v7
	;; [unrolled: 1-line block ×4, first 2 shown]
	v_lshlrev_b32_e32 v6, 5, v0
	buffer_store_dwordx4 v[2:5], v6, s[28:31], 0 offen
	v_cvt_f16_f32_e32 v7, v19
	v_cvt_f16_f32_e32 v2, v24
	;; [unrolled: 1-line block ×8, first 2 shown]
	v_pack_b32_f16 v5, v5, v7
	v_pack_b32_f16 v4, v4, v8
	v_pack_b32_f16 v3, v3, v9
	v_pack_b32_f16 v2, v2, v10
	;;#ASMSTART
	s_nop 0
	;;#ASMEND
	buffer_store_dwordx4 v[2:5], v6, s[28:31], 16 offen
	;;#ASMSTART
	s_nop 0
	;;#ASMEND
.LBB941_24:
	s_or_b64 exec, exec, s[2:3]
	s_cmp_lt_i32 s16, 1
	s_cbranch_scc1 .LBB941_17
.LBB941_25:
	s_load_dword s0, s[4:5], 0x94
	s_waitcnt lgkmcnt(0)
	s_cmp_lg_u32 s0, 1
	s_cbranch_scc1 .LBB941_17
; %bb.26:
	s_lshl_b32 s0, s16, 1
	s_add_i32 s0, s0, 2
	v_cmp_gt_u32_e32 vcc, s16, v1
	s_and_b32 s22, s0, -4
	v_mov_b32_e32 v18, 0
	v_lshlrev_b32_e32 v1, 5, v0
	s_waitcnt vmcnt(2)
	v_mov_b32_e32 v14, 0
	v_mov_b32_e32 v15, 0
	;; [unrolled: 1-line block ×8, first 2 shown]
	s_waitcnt vmcnt(1)
	v_mov_b32_e32 v6, 0
	v_mov_b32_e32 v7, 0
	v_mov_b32_e32 v8, 0
	v_mov_b32_e32 v9, 0
	s_waitcnt vmcnt(0)
	v_mov_b32_e32 v2, 0
	v_mov_b32_e32 v3, 0
	v_mov_b32_e32 v4, 0
	v_mov_b32_e32 v5, 0
	s_barrier
	s_and_saveexec_b64 s[0:1], vcc
	s_cbranch_execz .LBB941_28
; %bb.27:
	s_mul_hi_i32 s3, s18, s6
	s_mul_i32 s2, s18, s6
	s_and_b32 s21, s21, 0xffff
	s_lshl_b64 s[2:3], s[2:3], 1
	s_add_u32 s28, s10, s2
	s_mov_b32 s23, 0x20000
	s_addc_u32 s2, s11, s3
	s_and_b32 s29, s2, 0xffff
	s_mov_b32 s30, s22
	s_mov_b32 s31, s23
	buffer_load_dwordx4 v[14:17], v1, s[28:31], 0 offen
	buffer_load_dwordx4 v[10:13], v1, s[28:31], 16 offen
	;; [unrolled: 1-line block ×4, first 2 shown]
.LBB941_28:
	s_or_b64 exec, exec, s[0:1]
	v_mov_b32_e32 v19, 0
	v_mov_b32_e32 v32, 0
	;; [unrolled: 1-line block ×15, first 2 shown]
	s_and_saveexec_b64 s[0:1], vcc
	s_cbranch_execz .LBB941_30
; %bb.29:
	s_waitcnt vmcnt(3)
	v_cvt_f32_f16_sdwa v19, v14 dst_sel:DWORD dst_unused:UNUSED_PAD src0_sel:WORD_1
	v_cvt_f32_f16_e32 v18, v14
	v_cvt_f32_f16_sdwa v33, v15 dst_sel:DWORD dst_unused:UNUSED_PAD src0_sel:WORD_1
	v_cvt_f32_f16_e32 v32, v15
	v_cvt_f32_f16_sdwa v31, v16 dst_sel:DWORD dst_unused:UNUSED_PAD src0_sel:WORD_1
	v_cvt_f32_f16_e32 v30, v16
	v_cvt_f32_f16_sdwa v29, v17 dst_sel:DWORD dst_unused:UNUSED_PAD src0_sel:WORD_1
	v_cvt_f32_f16_e32 v28, v17
	s_waitcnt vmcnt(2)
	v_cvt_f32_f16_sdwa v27, v10 dst_sel:DWORD dst_unused:UNUSED_PAD src0_sel:WORD_1
	v_cvt_f32_f16_e32 v26, v10
	v_cvt_f32_f16_sdwa v25, v11 dst_sel:DWORD dst_unused:UNUSED_PAD src0_sel:WORD_1
	v_cvt_f32_f16_e32 v24, v11
	;; [unrolled: 2-line block ×4, first 2 shown]
.LBB941_30:
	s_or_b64 exec, exec, s[0:1]
	s_waitcnt vmcnt(2)
	v_mul_f32_e32 v10, v19, v19
	v_fmac_f32_e32 v10, v18, v18
	v_fmac_f32_e32 v10, v32, v32
	;; [unrolled: 1-line block ×15, first 2 shown]
	s_nop 1
	v_mov_b32_dpp v11, v10 quad_perm:[1,0,3,2] row_mask:0xf bank_mask:0xf
	v_add_f32_e32 v10, v10, v11
	s_nop 1
	v_mov_b32_dpp v11, v10 quad_perm:[2,3,0,1] row_mask:0xf bank_mask:0xf
	v_add_f32_e32 v10, v10, v11
	s_nop 1
	v_mov_b32_dpp v11, v10 row_half_mirror row_mask:0xf bank_mask:0xf
	v_add_f32_e32 v10, v10, v11
	s_nop 1
	v_mov_b32_dpp v11, v10 row_mirror row_mask:0xf bank_mask:0xf
	v_add_f32_e32 v10, v10, v11
	s_nop 1
	v_mov_b32_dpp v11, v10 row_bcast:15 row_mask:0xf bank_mask:0xf
	v_add_f32_e32 v10, v10, v11
	s_nop 1
	v_mov_b32_dpp v11, v10 row_bcast:31 row_mask:0xf bank_mask:0xf
	s_and_saveexec_b64 s[0:1], s[8:9]
	s_cbranch_execz .LBB941_32
; %bb.31:
	v_lshrrev_b32_e32 v0, 4, v0
	v_add_f32_e32 v10, v10, v11
	v_and_b32_e32 v0, 60, v0
	ds_write_b32 v0, v10
.LBB941_32:
	s_or_b64 exec, exec, s[0:1]
	s_waitcnt lgkmcnt(0)
	s_barrier
	ds_read_b32 v0, v34
	s_waitcnt lgkmcnt(0)
	s_nop 0
	v_mov_b32_dpp v10, v0 quad_perm:[1,0,3,2] row_mask:0xf bank_mask:0xf
	v_add_f32_e32 v0, v0, v10
	s_nop 1
	v_mov_b32_dpp v10, v0 quad_perm:[2,3,0,1] row_mask:0xf bank_mask:0xf
	v_add_f32_e32 v0, v0, v10
	s_nop 1
	v_mov_b32_dpp v10, v0 row_half_mirror row_mask:0xf bank_mask:0xf
	s_and_saveexec_b64 s[0:1], vcc
	s_cbranch_execz .LBB941_17
; %bb.33:
	v_cvt_f32_u32_e32 v11, s16
	v_add_f32_e32 v0, v0, v10
	s_mov_b32 s23, 0x20000
	v_div_scale_f32 v10, s[0:1], v11, v11, v0
	v_rcp_f32_e32 v12, v10
	v_div_scale_f32 v13, vcc, v0, v11, v0
	s_mov_b32 s0, 0x800000
	v_fma_f32 v14, -v10, v12, 1.0
	v_fmac_f32_e32 v12, v14, v12
	v_mul_f32_e32 v14, v13, v12
	v_fma_f32 v15, -v10, v14, v13
	v_fmac_f32_e32 v14, v15, v12
	v_fma_f32 v10, -v10, v14, v13
	v_div_fmas_f32 v10, v10, v12, v14
	v_div_fixup_f32 v0, v10, v11, v0
	v_add_f32_e32 v0, s13, v0
	v_mul_f32_e32 v10, 0x4b800000, v0
	v_cmp_gt_f32_e32 vcc, s0, v0
	v_cndmask_b32_e32 v0, v0, v10, vcc
	v_rsq_f32_e32 v0, v0
	s_mul_hi_i32 s1, s25, s6
	s_mul_i32 s0, s25, s6
	s_lshl_b64 s[0:1], s[0:1], 1
	v_mul_f32_e32 v10, 0x45800000, v0
	v_cndmask_b32_e32 v10, v0, v10, vcc
	v_mov_b32_e32 v11, v10
	;;#ASMSTART
	v_pk_mul_f32 v[12:13], v[18:19], v[10:11]
	;;#ASMEND
	;;#ASMSTART
	v_pk_mul_f32 v[14:15], v[32:33], v[10:11]
	;;#ASMEND
	;; [unrolled: 3-line block ×8, first 2 shown]
	s_waitcnt vmcnt(1)
	v_cvt_f32_f16_sdwa v21, v6 dst_sel:DWORD dst_unused:UNUSED_PAD src0_sel:WORD_1
	v_cvt_f32_f16_e32 v20, v6
	v_cvt_f32_f16_sdwa v29, v7 dst_sel:DWORD dst_unused:UNUSED_PAD src0_sel:WORD_1
	v_cvt_f32_f16_e32 v28, v7
	;; [unrolled: 2-line block ×4, first 2 shown]
	;;#ASMSTART
	v_pk_mul_f32 v[8:9], v[12:13], v[20:21]
	;;#ASMEND
	;;#ASMSTART
	v_pk_mul_f32 v[12:13], v[14:15], v[28:29]
	;;#ASMEND
	;; [unrolled: 3-line block ×4, first 2 shown]
	s_waitcnt vmcnt(0)
	v_cvt_f32_f16_sdwa v17, v2 dst_sel:DWORD dst_unused:UNUSED_PAD src0_sel:WORD_1
	v_cvt_f32_f16_e32 v16, v2
	v_cvt_f32_f16_sdwa v19, v3 dst_sel:DWORD dst_unused:UNUSED_PAD src0_sel:WORD_1
	v_cvt_f32_f16_e32 v18, v3
	;; [unrolled: 2-line block ×4, first 2 shown]
	;;#ASMSTART
	v_pk_mul_f32 v[16:17], v[26:27], v[16:17]
	;;#ASMEND
	;;#ASMSTART
	v_pk_mul_f32 v[18:19], v[24:25], v[18:19]
	;;#ASMEND
	;; [unrolled: 3-line block ×3, first 2 shown]
	v_cvt_f16_f32_e32 v0, v8
	v_cvt_f16_f32_e32 v2, v9
	;; [unrolled: 1-line block ×8, first 2 shown]
	s_add_u32 s20, s14, s0
	s_addc_u32 s0, s15, s1
	s_and_b32 s21, s0, 0xffff
	v_pack_b32_f16 v2, v0, v2
	v_pack_b32_f16 v3, v3, v4
	;; [unrolled: 1-line block ×4, first 2 shown]
	;;#ASMSTART
	v_pk_mul_f32 v[10:11], v[10:11], v[20:21]
	;;#ASMEND
	buffer_store_dwordx4 v[2:5], v1, s[20:23], 0 offen
	v_cvt_f16_f32_e32 v0, v16
	v_cvt_f16_f32_e32 v2, v17
	;; [unrolled: 1-line block ×8, first 2 shown]
	v_pack_b32_f16 v2, v0, v2
	v_pack_b32_f16 v3, v3, v4
	;; [unrolled: 1-line block ×4, first 2 shown]
	;;#ASMSTART
	s_nop 0
	;;#ASMEND
	buffer_store_dwordx4 v[2:5], v1, s[20:23], 16 offen
	;;#ASMSTART
	s_nop 0
	;;#ASMEND
	s_endpgm
	.section	.rodata,"a",@progbits
	.p2align	6, 0x0
	.amdhsa_kernel _ZN5aiter35fused_qk_rmsnorm_group_quant_kernelIDF16_DB8_Li512ELi16ELi4ELb1ELb1ELb0ELb1ELb0ELb0EEEvPT0_PvPT_S6_S6_PKS5_S8_S8_S8_S8_ffiiiiiiiiiiiii
		.amdhsa_group_segment_fixed_size 64
		.amdhsa_private_segment_fixed_size 0
		.amdhsa_kernarg_size 400
		.amdhsa_user_sgpr_count 6
		.amdhsa_user_sgpr_private_segment_buffer 1
		.amdhsa_user_sgpr_dispatch_ptr 0
		.amdhsa_user_sgpr_queue_ptr 0
		.amdhsa_user_sgpr_kernarg_segment_ptr 1
		.amdhsa_user_sgpr_dispatch_id 0
		.amdhsa_user_sgpr_flat_scratch_init 0
		.amdhsa_user_sgpr_kernarg_preload_length 0
		.amdhsa_user_sgpr_kernarg_preload_offset 0
		.amdhsa_user_sgpr_private_segment_size 0
		.amdhsa_uses_dynamic_stack 0
		.amdhsa_system_sgpr_private_segment_wavefront_offset 0
		.amdhsa_system_sgpr_workgroup_id_x 1
		.amdhsa_system_sgpr_workgroup_id_y 1
		.amdhsa_system_sgpr_workgroup_id_z 0
		.amdhsa_system_sgpr_workgroup_info 0
		.amdhsa_system_vgpr_workitem_id 0
		.amdhsa_next_free_vgpr 49
		.amdhsa_next_free_sgpr 32
		.amdhsa_accum_offset 52
		.amdhsa_reserve_vcc 1
		.amdhsa_reserve_flat_scratch 0
		.amdhsa_float_round_mode_32 0
		.amdhsa_float_round_mode_16_64 0
		.amdhsa_float_denorm_mode_32 3
		.amdhsa_float_denorm_mode_16_64 3
		.amdhsa_dx10_clamp 1
		.amdhsa_ieee_mode 1
		.amdhsa_fp16_overflow 0
		.amdhsa_tg_split 0
		.amdhsa_exception_fp_ieee_invalid_op 0
		.amdhsa_exception_fp_denorm_src 0
		.amdhsa_exception_fp_ieee_div_zero 0
		.amdhsa_exception_fp_ieee_overflow 0
		.amdhsa_exception_fp_ieee_underflow 0
		.amdhsa_exception_fp_ieee_inexact 0
		.amdhsa_exception_int_div_zero 0
	.end_amdhsa_kernel
	.section	.text._ZN5aiter35fused_qk_rmsnorm_group_quant_kernelIDF16_DB8_Li512ELi16ELi4ELb1ELb1ELb0ELb1ELb0ELb0EEEvPT0_PvPT_S6_S6_PKS5_S8_S8_S8_S8_ffiiiiiiiiiiiii,"axG",@progbits,_ZN5aiter35fused_qk_rmsnorm_group_quant_kernelIDF16_DB8_Li512ELi16ELi4ELb1ELb1ELb0ELb1ELb0ELb0EEEvPT0_PvPT_S6_S6_PKS5_S8_S8_S8_S8_ffiiiiiiiiiiiii,comdat
.Lfunc_end941:
	.size	_ZN5aiter35fused_qk_rmsnorm_group_quant_kernelIDF16_DB8_Li512ELi16ELi4ELb1ELb1ELb0ELb1ELb0ELb0EEEvPT0_PvPT_S6_S6_PKS5_S8_S8_S8_S8_ffiiiiiiiiiiiii, .Lfunc_end941-_ZN5aiter35fused_qk_rmsnorm_group_quant_kernelIDF16_DB8_Li512ELi16ELi4ELb1ELb1ELb0ELb1ELb0ELb0EEEvPT0_PvPT_S6_S6_PKS5_S8_S8_S8_S8_ffiiiiiiiiiiiii
                                        ; -- End function
	.section	.AMDGPU.csdata,"",@progbits
; Kernel info:
; codeLenInByte = 3512
; NumSgprs: 36
; NumVgprs: 49
; NumAgprs: 0
; TotalNumVgprs: 49
; ScratchSize: 0
; MemoryBound: 0
; FloatMode: 240
; IeeeMode: 1
; LDSByteSize: 64 bytes/workgroup (compile time only)
; SGPRBlocks: 4
; VGPRBlocks: 6
; NumSGPRsForWavesPerEU: 36
; NumVGPRsForWavesPerEU: 49
; AccumOffset: 52
; Occupancy: 8
; WaveLimiterHint : 0
; COMPUTE_PGM_RSRC2:SCRATCH_EN: 0
; COMPUTE_PGM_RSRC2:USER_SGPR: 6
; COMPUTE_PGM_RSRC2:TRAP_HANDLER: 0
; COMPUTE_PGM_RSRC2:TGID_X_EN: 1
; COMPUTE_PGM_RSRC2:TGID_Y_EN: 1
; COMPUTE_PGM_RSRC2:TGID_Z_EN: 0
; COMPUTE_PGM_RSRC2:TIDIG_COMP_CNT: 0
; COMPUTE_PGM_RSRC3_GFX90A:ACCUM_OFFSET: 12
; COMPUTE_PGM_RSRC3_GFX90A:TG_SPLIT: 0
	.section	.text._ZN5aiter35fused_qk_rmsnorm_group_quant_kernelItDB8_Li512ELi16ELi4ELb1ELb1ELb0ELb1ELb0ELb0EEEvPT0_PvPT_S6_S6_PKS5_S8_S8_S8_S8_ffiiiiiiiiiiiii,"axG",@progbits,_ZN5aiter35fused_qk_rmsnorm_group_quant_kernelItDB8_Li512ELi16ELi4ELb1ELb1ELb0ELb1ELb0ELb0EEEvPT0_PvPT_S6_S6_PKS5_S8_S8_S8_S8_ffiiiiiiiiiiiii,comdat
	.protected	_ZN5aiter35fused_qk_rmsnorm_group_quant_kernelItDB8_Li512ELi16ELi4ELb1ELb1ELb0ELb1ELb0ELb0EEEvPT0_PvPT_S6_S6_PKS5_S8_S8_S8_S8_ffiiiiiiiiiiiii ; -- Begin function _ZN5aiter35fused_qk_rmsnorm_group_quant_kernelItDB8_Li512ELi16ELi4ELb1ELb1ELb0ELb1ELb0ELb0EEEvPT0_PvPT_S6_S6_PKS5_S8_S8_S8_S8_ffiiiiiiiiiiiii
	.globl	_ZN5aiter35fused_qk_rmsnorm_group_quant_kernelItDB8_Li512ELi16ELi4ELb1ELb1ELb0ELb1ELb0ELb0EEEvPT0_PvPT_S6_S6_PKS5_S8_S8_S8_S8_ffiiiiiiiiiiiii
	.p2align	8
	.type	_ZN5aiter35fused_qk_rmsnorm_group_quant_kernelItDB8_Li512ELi16ELi4ELb1ELb1ELb0ELb1ELb0ELb0EEEvPT0_PvPT_S6_S6_PKS5_S8_S8_S8_S8_ffiiiiiiiiiiiii,@function
_ZN5aiter35fused_qk_rmsnorm_group_quant_kernelItDB8_Li512ELi16ELi4ELb1ELb1ELb0ELb1ELb0ELb0EEEvPT0_PvPT_S6_S6_PKS5_S8_S8_S8_S8_ffiiiiiiiiiiiii: ; @_ZN5aiter35fused_qk_rmsnorm_group_quant_kernelItDB8_Li512ELi16ELi4ELb1ELb1ELb0ELb1ELb0ELb0EEEvPT0_PvPT_S6_S6_PKS5_S8_S8_S8_S8_ffiiiiiiiiiiiii
; %bb.0:
	s_load_dwordx8 s[12:19], s[4:5], 0x50
	s_waitcnt lgkmcnt(0)
	s_cmp_ge_i32 s6, s14
	s_cbranch_scc1 .LBB942_17
; %bb.1:
	s_cmp_lg_u32 s7, 0
	s_cselect_b64 s[22:23], -1, 0
	s_cmp_eq_u32 s7, 0
	s_cselect_b64 s[2:3], -1, 0
	s_and_b64 s[0:1], s[2:3], exec
	s_cselect_b32 s7, s15, s16
	s_load_dwordx2 s[10:11], s[4:5], 0x30
	s_load_dwordx2 s[20:21], s[4:5], 0x48
	s_add_i32 s0, s7, 1
	s_lshr_b32 s1, s0, 31
	s_add_i32 s0, s0, s1
	s_lshl_b32 s0, s0, 1
	v_lshlrev_b32_e32 v1, 4, v0
	s_and_b32 s30, s0, -4
	v_cmp_gt_i32_e64 s[0:1], s7, v1
	v_mov_b32_e32 v76, 0
	v_mov_b32_e32 v77, 0
	;; [unrolled: 1-line block ×16, first 2 shown]
	s_and_saveexec_b64 s[8:9], s[0:1]
	s_cbranch_execz .LBB942_3
; %bb.2:
	s_load_dwordx2 s[14:15], s[4:5], 0x28
	s_load_dwordx2 s[26:27], s[4:5], 0x40
	s_and_b64 s[24:25], s[2:3], exec
	s_cselect_b32 s17, s17, s18
	s_mov_b32 s31, 0x20000
	s_waitcnt lgkmcnt(0)
	s_cselect_b32 s25, s15, s11
	s_cselect_b32 s24, s14, s10
	s_mul_hi_i32 s15, s17, s6
	s_mul_i32 s14, s17, s6
	s_lshl_b64 s[14:15], s[14:15], 1
	s_add_u32 s24, s24, s14
	s_addc_u32 s17, s25, s15
	s_and_b64 s[14:15], s[2:3], exec
	s_cselect_b32 s28, s26, s20
	s_cselect_b32 s14, s27, s21
	s_and_b32 s25, s17, 0xffff
	s_mov_b32 s26, s30
	s_mov_b32 s27, s31
	v_lshlrev_b32_e32 v2, 5, v0
	s_and_b32 s29, s14, 0xffff
	buffer_load_dwordx4 v[80:83], v2, s[24:27], 0 offen
	buffer_load_dwordx4 v[84:87], v2, s[24:27], 16 offen
	;; [unrolled: 1-line block ×4, first 2 shown]
.LBB942_3:
	s_or_b64 exec, exec, s[8:9]
	s_load_dwordx4 s[24:27], s[4:5], 0x7c
	s_and_b64 vcc, exec, s[22:23]
	s_cbranch_vccz .LBB942_7
; %bb.4:
	v_mov_b32_e32 v89, 0
	v_mov_b32_e32 v88, 0
	;; [unrolled: 1-line block ×16, first 2 shown]
	s_and_saveexec_b64 s[8:9], s[0:1]
	s_cbranch_execz .LBB942_6
; %bb.5:
	s_waitcnt vmcnt(3)
	v_cvt_f32_u32_sdwa v18, v80 dst_sel:DWORD dst_unused:UNUSED_PAD src0_sel:WORD_0
	v_cvt_f32_u32_sdwa v19, v80 dst_sel:DWORD dst_unused:UNUSED_PAD src0_sel:WORD_1
	v_cvt_f32_u32_sdwa v4, v81 dst_sel:DWORD dst_unused:UNUSED_PAD src0_sel:WORD_0
	v_cvt_f32_u32_sdwa v5, v81 dst_sel:DWORD dst_unused:UNUSED_PAD src0_sel:WORD_1
	;; [unrolled: 2-line block ×4, first 2 shown]
	s_waitcnt vmcnt(2)
	v_cvt_f32_u32_sdwa v64, v84 dst_sel:DWORD dst_unused:UNUSED_PAD src0_sel:WORD_0
	v_cvt_f32_u32_sdwa v65, v84 dst_sel:DWORD dst_unused:UNUSED_PAD src0_sel:WORD_1
	v_cvt_f32_u32_sdwa v48, v85 dst_sel:DWORD dst_unused:UNUSED_PAD src0_sel:WORD_0
	v_cvt_f32_u32_sdwa v49, v85 dst_sel:DWORD dst_unused:UNUSED_PAD src0_sel:WORD_1
	;; [unrolled: 2-line block ×4, first 2 shown]
.LBB942_6:
	s_or_b64 exec, exec, s[8:9]
	s_cbranch_execz .LBB942_8
	s_branch .LBB942_11
.LBB942_7:
                                        ; implicit-def: $vgpr18_vgpr19_vgpr20_vgpr21_vgpr22_vgpr23_vgpr24_vgpr25_vgpr26_vgpr27_vgpr28_vgpr29_vgpr30_vgpr31_vgpr32_vgpr33
                                        ; implicit-def: $vgpr50_vgpr51_vgpr52_vgpr53_vgpr54_vgpr55_vgpr56_vgpr57_vgpr58_vgpr59_vgpr60_vgpr61_vgpr62_vgpr63_vgpr64_vgpr65
                                        ; implicit-def: $vgpr30_vgpr31_vgpr32_vgpr33_vgpr34_vgpr35_vgpr36_vgpr37_vgpr38_vgpr39_vgpr40_vgpr41_vgpr42_vgpr43_vgpr44_vgpr45
                                        ; implicit-def: $vgpr89
                                        ; implicit-def: $vgpr2_vgpr3_vgpr4_vgpr5_vgpr6_vgpr7_vgpr8_vgpr9_vgpr10_vgpr11_vgpr12_vgpr13_vgpr14_vgpr15_vgpr16_vgpr17
                                        ; implicit-def: $vgpr56_vgpr57_vgpr58_vgpr59_vgpr60_vgpr61_vgpr62_vgpr63_vgpr64_vgpr65_vgpr66_vgpr67_vgpr68_vgpr69_vgpr70_vgpr71
                                        ; implicit-def: $vgpr38_vgpr39_vgpr40_vgpr41_vgpr42_vgpr43_vgpr44_vgpr45_vgpr46_vgpr47_vgpr48_vgpr49_vgpr50_vgpr51_vgpr52_vgpr53
                                        ; implicit-def: $vgpr20_vgpr21_vgpr22_vgpr23_vgpr24_vgpr25_vgpr26_vgpr27_vgpr28_vgpr29_vgpr30_vgpr31_vgpr32_vgpr33_vgpr34_vgpr35
.LBB942_8:
	v_mov_b32_e32 v89, 0
	v_mov_b32_e32 v88, 0
	;; [unrolled: 1-line block ×16, first 2 shown]
	s_and_saveexec_b64 s[8:9], s[0:1]
	s_cbranch_execz .LBB942_10
; %bb.9:
	s_load_dwordx2 s[14:15], s[4:5], 0x38
	s_mul_hi_i32 s29, s19, s6
	s_mul_i32 s28, s19, s6
	s_lshl_b64 s[28:29], s[28:29], 1
	s_mov_b32 s31, 0x20000
	s_waitcnt lgkmcnt(0)
	s_add_u32 s28, s14, s28
	s_addc_u32 s14, s15, s29
	s_and_b32 s29, s14, 0xffff
	v_lshlrev_b32_e32 v38, 5, v0
	buffer_load_dwordx4 v[4:7], v38, s[28:31], 16 offen
	buffer_load_dwordx4 v[8:11], v38, s[28:31], 0 offen
	s_load_dwordx2 s[14:15], s[4:5], 0x20
	s_waitcnt vmcnt(5)
	v_cvt_f32_u32_sdwa v19, v80 dst_sel:DWORD dst_unused:UNUSED_PAD src0_sel:WORD_1
	v_cvt_f32_u32_sdwa v18, v80 dst_sel:DWORD dst_unused:UNUSED_PAD src0_sel:WORD_0
	v_cvt_f32_u32_sdwa v21, v81 dst_sel:DWORD dst_unused:UNUSED_PAD src0_sel:WORD_1
	v_cvt_f32_u32_sdwa v20, v81 dst_sel:DWORD dst_unused:UNUSED_PAD src0_sel:WORD_0
	;; [unrolled: 2-line block ×4, first 2 shown]
	s_waitcnt vmcnt(4)
	v_cvt_f32_u32_sdwa v3, v84 dst_sel:DWORD dst_unused:UNUSED_PAD src0_sel:WORD_1
	v_cvt_f32_u32_sdwa v2, v84 dst_sel:DWORD dst_unused:UNUSED_PAD src0_sel:WORD_0
	v_cvt_f32_u32_sdwa v13, v85 dst_sel:DWORD dst_unused:UNUSED_PAD src0_sel:WORD_1
	v_cvt_f32_u32_sdwa v12, v85 dst_sel:DWORD dst_unused:UNUSED_PAD src0_sel:WORD_0
	;; [unrolled: 2-line block ×3, first 2 shown]
	v_cvt_f32_u32_sdwa v16, v87 dst_sel:DWORD dst_unused:UNUSED_PAD src0_sel:WORD_0
	v_cvt_f32_u32_sdwa v17, v87 dst_sel:DWORD dst_unused:UNUSED_PAD src0_sel:WORD_1
	s_mul_hi_i32 s27, s26, s6
	s_mul_i32 s26, s26, s6
	s_lshl_b64 s[26:27], s[26:27], 1
	s_waitcnt lgkmcnt(0)
	s_add_u32 s28, s14, s26
	s_mov_b32 s17, 0x7060302
	s_addc_u32 s14, s15, s27
	s_and_b32 s29, s14, 0xffff
	s_waitcnt vmcnt(1)
	v_cvt_f32_u32_sdwa v27, v4 dst_sel:DWORD dst_unused:UNUSED_PAD src0_sel:WORD_1
	v_cvt_f32_u32_sdwa v26, v4 dst_sel:DWORD dst_unused:UNUSED_PAD src0_sel:WORD_0
	v_cvt_f32_u32_sdwa v29, v5 dst_sel:DWORD dst_unused:UNUSED_PAD src0_sel:WORD_1
	v_cvt_f32_u32_sdwa v28, v5 dst_sel:DWORD dst_unused:UNUSED_PAD src0_sel:WORD_0
	;; [unrolled: 2-line block ×3, first 2 shown]
	v_cvt_f32_u32_sdwa v32, v7 dst_sel:DWORD dst_unused:UNUSED_PAD src0_sel:WORD_0
	v_cvt_f32_u32_sdwa v33, v7 dst_sel:DWORD dst_unused:UNUSED_PAD src0_sel:WORD_1
	s_waitcnt vmcnt(0)
	v_cvt_f32_u32_sdwa v35, v8 dst_sel:DWORD dst_unused:UNUSED_PAD src0_sel:WORD_1
	v_cvt_f32_u32_sdwa v34, v8 dst_sel:DWORD dst_unused:UNUSED_PAD src0_sel:WORD_0
	v_cvt_f32_u32_sdwa v5, v10 dst_sel:DWORD dst_unused:UNUSED_PAD src0_sel:WORD_1
	v_cvt_f32_u32_sdwa v4, v10 dst_sel:DWORD dst_unused:UNUSED_PAD src0_sel:WORD_0
	;; [unrolled: 2-line block ×4, first 2 shown]
	v_pk_add_f32 v[54:55], v[22:23], v[4:5]
	v_pk_add_f32 v[36:37], v[24:25], v[6:7]
	;; [unrolled: 1-line block ×4, first 2 shown]
	v_perm_b32 v9, v37, v36, s17
	v_perm_b32 v8, v55, v54, s17
	;; [unrolled: 1-line block ×4, first 2 shown]
	v_pk_add_f32 v[88:89], v[16:17], v[32:33]
	v_pk_add_f32 v[32:33], v[14:15], v[30:31]
	;; [unrolled: 1-line block ×4, first 2 shown]
	buffer_store_dwordx4 v[6:9], v38, s[28:31], 0 offen
	;;#ASMSTART
	s_nop 0
	;;#ASMEND
	s_nop 0
	v_perm_b32 v9, v89, v88, s17
	v_perm_b32 v8, v33, v32, s17
	;; [unrolled: 1-line block ×4, first 2 shown]
	buffer_store_dwordx4 v[6:9], v38, s[28:31], 16 offen
	;;#ASMSTART
	s_nop 0
	;;#ASMEND
.LBB942_10:
	s_or_b64 exec, exec, s[8:9]
.LBB942_11:
	v_mul_f32_e32 v2, v19, v19
	v_fmac_f32_e32 v2, v18, v18
	v_fmac_f32_e32 v2, v4, v4
	;; [unrolled: 1-line block ×15, first 2 shown]
	s_nop 1
	v_mov_b32_dpp v3, v2 quad_perm:[1,0,3,2] row_mask:0xf bank_mask:0xf
	v_add_f32_e32 v2, v2, v3
	s_nop 1
	v_mov_b32_dpp v3, v2 quad_perm:[2,3,0,1] row_mask:0xf bank_mask:0xf
	v_add_f32_e32 v2, v2, v3
	s_nop 1
	v_mov_b32_dpp v3, v2 row_half_mirror row_mask:0xf bank_mask:0xf
	v_add_f32_e32 v2, v2, v3
	s_nop 1
	v_mov_b32_dpp v3, v2 row_mirror row_mask:0xf bank_mask:0xf
	v_add_f32_e32 v2, v2, v3
	s_nop 1
	v_mov_b32_dpp v3, v2 row_bcast:15 row_mask:0xf bank_mask:0xf
	v_add_f32_e32 v2, v2, v3
	v_and_b32_e32 v3, 63, v0
	v_cmp_eq_u32_e64 s[8:9], 63, v3
	s_nop 0
	v_mov_b32_dpp v3, v2 row_bcast:31 row_mask:0xf bank_mask:0xf
	s_and_saveexec_b64 s[14:15], s[8:9]
	s_cbranch_execz .LBB942_13
; %bb.12:
	v_add_f32_e32 v2, v2, v3
	v_lshrrev_b32_e32 v3, 4, v0
	v_and_b32_e32 v3, 60, v3
	ds_write_b32 v3, v2 offset:32
.LBB942_13:
	s_or_b64 exec, exec, s[14:15]
	v_and_b32_e32 v2, 7, v0
	v_lshlrev_b32_e32 v34, 2, v2
	s_waitcnt lgkmcnt(0)
	s_barrier
	ds_read_b32 v2, v34 offset:32
	s_load_dwordx2 s[14:15], s[4:5], 0x18
	s_waitcnt lgkmcnt(0)
	v_mov_b32_dpp v3, v2 quad_perm:[1,0,3,2] row_mask:0xf bank_mask:0xf
	v_add_f32_e32 v2, v2, v3
	s_nop 1
	v_mov_b32_dpp v3, v2 quad_perm:[2,3,0,1] row_mask:0xf bank_mask:0xf
	v_add_f32_e32 v2, v2, v3
	s_nop 1
	v_mov_b32_dpp v3, v2 row_half_mirror row_mask:0xf bank_mask:0xf
	s_and_saveexec_b64 s[26:27], s[0:1]
	s_cbranch_execnz .LBB942_18
; %bb.14:
	s_or_b64 exec, exec, s[26:27]
	s_mov_b64 s[2:3], -1
	s_and_b64 vcc, exec, s[22:23]
	s_cbranch_vccnz .LBB942_19
.LBB942_15:
	s_andn2_b64 vcc, exec, s[2:3]
	s_cbranch_vccz .LBB942_22
.LBB942_16:
	s_cmp_lt_i32 s16, 1
	s_cbranch_scc0 .LBB942_25
.LBB942_17:
	s_endpgm
.LBB942_18:
	v_add_f32_e32 v2, v2, v3
	v_cvt_f32_u32_e32 v3, s7
	s_waitcnt vmcnt(1)
	v_cvt_f32_u32_sdwa v17, v76 dst_sel:DWORD dst_unused:UNUSED_PAD src0_sel:WORD_1
	v_cvt_f32_u32_sdwa v16, v76 dst_sel:DWORD dst_unused:UNUSED_PAD src0_sel:WORD_0
	v_cvt_f32_u32_sdwa v21, v77 dst_sel:DWORD dst_unused:UNUSED_PAD src0_sel:WORD_1
	v_div_scale_f32 v6, s[28:29], v3, v3, v2
	v_rcp_f32_e32 v7, v6
	v_cvt_f32_u32_sdwa v20, v77 dst_sel:DWORD dst_unused:UNUSED_PAD src0_sel:WORD_0
	s_waitcnt vmcnt(0)
	v_cvt_f32_u32_sdwa v25, v73 dst_sel:DWORD dst_unused:UNUSED_PAD src0_sel:WORD_1
	v_cvt_f32_u32_sdwa v24, v73 dst_sel:DWORD dst_unused:UNUSED_PAD src0_sel:WORD_0
	v_fma_f32 v8, -v6, v7, 1.0
	v_fmac_f32_e32 v7, v8, v7
	v_div_scale_f32 v8, vcc, v2, v3, v2
	v_mul_f32_e32 v9, v8, v7
	v_fma_f32 v10, -v6, v9, v8
	v_fmac_f32_e32 v9, v10, v7
	v_fma_f32 v6, -v6, v9, v8
	v_div_fmas_f32 v6, v6, v7, v9
	v_div_fixup_f32 v2, v6, v3, v2
	v_mov_b32_e32 v3, s13
	v_mov_b32_e32 v6, s12
	v_cndmask_b32_e64 v3, v3, v6, s[2:3]
	v_add_f32_e32 v2, v3, v2
	s_mov_b32 s2, 0x800000
	v_mul_f32_e32 v3, 0x4b800000, v2
	v_cmp_gt_f32_e32 vcc, s2, v2
	v_cndmask_b32_e32 v2, v2, v3, vcc
	v_rsq_f32_e32 v2, v2
	v_cvt_f32_u32_sdwa v27, v74 dst_sel:DWORD dst_unused:UNUSED_PAD src0_sel:WORD_1
	v_cvt_f32_u32_sdwa v26, v74 dst_sel:DWORD dst_unused:UNUSED_PAD src0_sel:WORD_0
	v_cvt_f32_u32_sdwa v29, v75 dst_sel:DWORD dst_unused:UNUSED_PAD src0_sel:WORD_1
	v_mul_f32_e32 v3, 0x45800000, v2
	v_cndmask_b32_e32 v2, v2, v3, vcc
	v_mov_b32_e32 v3, v2
	;;#ASMSTART
	v_pk_mul_f32 v[6:7], v[18:19], v[2:3]
	;;#ASMEND
	;;#ASMSTART
	v_pk_mul_f32 v[4:5], v[4:5], v[2:3]
	;;#ASMEND
	;; [unrolled: 3-line block ×10, first 2 shown]
	v_cvt_f32_u32_sdwa v7, v78 dst_sel:DWORD dst_unused:UNUSED_PAD src0_sel:WORD_1
	v_cvt_f32_u32_sdwa v6, v78 dst_sel:DWORD dst_unused:UNUSED_PAD src0_sel:WORD_0
	v_cvt_f32_u32_sdwa v17, v79 dst_sel:DWORD dst_unused:UNUSED_PAD src0_sel:WORD_1
	v_cvt_f32_u32_sdwa v16, v79 dst_sel:DWORD dst_unused:UNUSED_PAD src0_sel:WORD_0
	;; [unrolled: 2-line block ×3, first 2 shown]
	v_cvt_f32_u32_sdwa v28, v75 dst_sel:DWORD dst_unused:UNUSED_PAD src0_sel:WORD_0
	;;#ASMSTART
	v_pk_mul_f32 v[54:55], v[8:9], v[6:7]
	;;#ASMEND
	;;#ASMSTART
	v_pk_mul_f32 v[36:37], v[10:11], v[16:17]
	;;#ASMEND
	;; [unrolled: 3-line block ×6, first 2 shown]
	s_or_b64 exec, exec, s[26:27]
	s_mov_b64 s[2:3], -1
	s_and_b64 vcc, exec, s[22:23]
	s_cbranch_vccz .LBB942_15
.LBB942_19:
	s_and_saveexec_b64 s[2:3], s[0:1]
	s_cbranch_execz .LBB942_21
; %bb.20:
	s_mul_hi_i32 s23, s25, s6
	s_mul_i32 s22, s25, s6
	s_lshl_b64 s[22:23], s[22:23], 1
	s_add_u32 s28, s14, s22
	s_addc_u32 s7, s15, s23
	s_and_b32 s29, s7, 0xffff
	s_mov_b32 s7, 0x7060302
	s_mov_b32 s31, 0x20000
	v_perm_b32 v9, v37, v36, s7
	v_perm_b32 v8, v55, v54, s7
	;; [unrolled: 1-line block ×4, first 2 shown]
	v_lshlrev_b32_e32 v2, 5, v0
	buffer_store_dwordx4 v[6:9], v2, s[28:31], 0 offen
	;;#ASMSTART
	s_nop 0
	;;#ASMEND
	s_nop 0
	v_perm_b32 v9, v89, v88, s7
	v_perm_b32 v8, v33, v32, s7
	;; [unrolled: 1-line block ×4, first 2 shown]
	buffer_store_dwordx4 v[6:9], v2, s[28:31], 16 offen
	;;#ASMSTART
	s_nop 0
	;;#ASMEND
.LBB942_21:
	s_or_b64 exec, exec, s[2:3]
	s_cbranch_execnz .LBB942_16
.LBB942_22:
	s_and_saveexec_b64 s[2:3], s[0:1]
	s_cbranch_execz .LBB942_24
; %bb.23:
	s_load_dwordx2 s[0:1], s[4:5], 0x10
	s_mul_hi_i32 s23, s24, s6
	s_mul_i32 s22, s24, s6
	s_lshl_b64 s[22:23], s[22:23], 1
	s_mov_b32 s7, 0x7060302
	s_waitcnt lgkmcnt(0)
	s_add_u32 s28, s0, s22
	s_addc_u32 s0, s1, s23
	v_perm_b32 v7, v37, v36, s7
	v_perm_b32 v6, v55, v54, s7
	;; [unrolled: 1-line block ×4, first 2 shown]
	s_and_b32 s29, s0, 0xffff
	s_mov_b32 s31, 0x20000
	v_lshlrev_b32_e32 v8, 5, v0
	buffer_store_dwordx4 v[4:7], v8, s[28:31], 0 offen
	v_perm_b32 v3, v49, v48, s7
	v_perm_b32 v5, v89, v88, s7
	v_perm_b32 v4, v33, v32, s7
	v_perm_b32 v2, v65, v64, s7
	;;#ASMSTART
	s_nop 0
	;;#ASMEND
	buffer_store_dwordx4 v[2:5], v8, s[28:31], 16 offen
	;;#ASMSTART
	s_nop 0
	;;#ASMEND
.LBB942_24:
	s_or_b64 exec, exec, s[2:3]
	s_cmp_lt_i32 s16, 1
	s_cbranch_scc1 .LBB942_17
.LBB942_25:
	s_load_dword s0, s[4:5], 0x94
	s_waitcnt lgkmcnt(0)
	s_cmp_lg_u32 s0, 1
	s_cbranch_scc1 .LBB942_17
; %bb.26:
	s_lshl_b32 s0, s16, 1
	s_add_i32 s0, s0, 2
	v_cmp_gt_u32_e32 vcc, s16, v1
	s_and_b32 s22, s0, -4
	v_mov_b32_e32 v18, 0
	v_lshlrev_b32_e32 v1, 5, v0
	v_mov_b32_e32 v14, 0
	v_mov_b32_e32 v15, 0
	;; [unrolled: 1-line block ×16, first 2 shown]
	s_barrier
	s_and_saveexec_b64 s[0:1], vcc
	s_cbranch_execz .LBB942_28
; %bb.27:
	s_mul_hi_i32 s3, s18, s6
	s_mul_i32 s2, s18, s6
	s_and_b32 s21, s21, 0xffff
	s_lshl_b64 s[2:3], s[2:3], 1
	s_add_u32 s28, s10, s2
	s_mov_b32 s23, 0x20000
	s_addc_u32 s2, s11, s3
	s_and_b32 s29, s2, 0xffff
	s_mov_b32 s30, s22
	s_mov_b32 s31, s23
	buffer_load_dwordx4 v[14:17], v1, s[28:31], 0 offen
	buffer_load_dwordx4 v[10:13], v1, s[28:31], 16 offen
	;; [unrolled: 1-line block ×4, first 2 shown]
.LBB942_28:
	s_or_b64 exec, exec, s[0:1]
	v_mov_b32_e32 v19, 0
	v_mov_b32_e32 v32, 0
	;; [unrolled: 1-line block ×15, first 2 shown]
	s_and_saveexec_b64 s[0:1], vcc
	s_cbranch_execz .LBB942_30
; %bb.29:
	s_waitcnt vmcnt(3)
	v_cvt_f32_u32_sdwa v18, v14 dst_sel:DWORD dst_unused:UNUSED_PAD src0_sel:WORD_0
	v_cvt_f32_u32_sdwa v19, v14 dst_sel:DWORD dst_unused:UNUSED_PAD src0_sel:WORD_1
	v_cvt_f32_u32_sdwa v32, v15 dst_sel:DWORD dst_unused:UNUSED_PAD src0_sel:WORD_0
	v_cvt_f32_u32_sdwa v33, v15 dst_sel:DWORD dst_unused:UNUSED_PAD src0_sel:WORD_1
	;; [unrolled: 2-line block ×4, first 2 shown]
	s_waitcnt vmcnt(2)
	v_cvt_f32_u32_sdwa v26, v10 dst_sel:DWORD dst_unused:UNUSED_PAD src0_sel:WORD_0
	v_cvt_f32_u32_sdwa v27, v10 dst_sel:DWORD dst_unused:UNUSED_PAD src0_sel:WORD_1
	v_cvt_f32_u32_sdwa v24, v11 dst_sel:DWORD dst_unused:UNUSED_PAD src0_sel:WORD_0
	v_cvt_f32_u32_sdwa v25, v11 dst_sel:DWORD dst_unused:UNUSED_PAD src0_sel:WORD_1
	v_cvt_f32_u32_sdwa v22, v12 dst_sel:DWORD dst_unused:UNUSED_PAD src0_sel:WORD_0
	v_cvt_f32_u32_sdwa v23, v12 dst_sel:DWORD dst_unused:UNUSED_PAD src0_sel:WORD_1
	v_cvt_f32_u32_sdwa v20, v13 dst_sel:DWORD dst_unused:UNUSED_PAD src0_sel:WORD_0
	v_cvt_f32_u32_sdwa v21, v13 dst_sel:DWORD dst_unused:UNUSED_PAD src0_sel:WORD_1
.LBB942_30:
	s_or_b64 exec, exec, s[0:1]
	s_waitcnt vmcnt(2)
	v_mul_f32_e32 v10, v19, v19
	v_fmac_f32_e32 v10, v18, v18
	v_fmac_f32_e32 v10, v32, v32
	;; [unrolled: 1-line block ×15, first 2 shown]
	s_nop 1
	v_mov_b32_dpp v11, v10 quad_perm:[1,0,3,2] row_mask:0xf bank_mask:0xf
	v_add_f32_e32 v10, v10, v11
	s_nop 1
	v_mov_b32_dpp v11, v10 quad_perm:[2,3,0,1] row_mask:0xf bank_mask:0xf
	v_add_f32_e32 v10, v10, v11
	s_nop 1
	v_mov_b32_dpp v11, v10 row_half_mirror row_mask:0xf bank_mask:0xf
	v_add_f32_e32 v10, v10, v11
	s_nop 1
	v_mov_b32_dpp v11, v10 row_mirror row_mask:0xf bank_mask:0xf
	v_add_f32_e32 v10, v10, v11
	s_nop 1
	v_mov_b32_dpp v11, v10 row_bcast:15 row_mask:0xf bank_mask:0xf
	v_add_f32_e32 v10, v10, v11
	s_nop 1
	v_mov_b32_dpp v11, v10 row_bcast:31 row_mask:0xf bank_mask:0xf
	s_and_saveexec_b64 s[0:1], s[8:9]
	s_cbranch_execz .LBB942_32
; %bb.31:
	v_lshrrev_b32_e32 v0, 4, v0
	v_add_f32_e32 v10, v10, v11
	v_and_b32_e32 v0, 60, v0
	ds_write_b32 v0, v10
.LBB942_32:
	s_or_b64 exec, exec, s[0:1]
	s_waitcnt lgkmcnt(0)
	s_barrier
	ds_read_b32 v0, v34
	s_waitcnt lgkmcnt(0)
	s_nop 0
	v_mov_b32_dpp v10, v0 quad_perm:[1,0,3,2] row_mask:0xf bank_mask:0xf
	v_add_f32_e32 v0, v0, v10
	s_nop 1
	v_mov_b32_dpp v10, v0 quad_perm:[2,3,0,1] row_mask:0xf bank_mask:0xf
	v_add_f32_e32 v0, v0, v10
	s_nop 1
	v_mov_b32_dpp v10, v0 row_half_mirror row_mask:0xf bank_mask:0xf
	s_and_saveexec_b64 s[0:1], vcc
	s_cbranch_execz .LBB942_17
; %bb.33:
	v_cvt_f32_u32_e32 v11, s16
	v_add_f32_e32 v0, v0, v10
	s_mov_b32 s23, 0x20000
	v_div_scale_f32 v10, s[0:1], v11, v11, v0
	v_rcp_f32_e32 v12, v10
	v_div_scale_f32 v13, vcc, v0, v11, v0
	s_mov_b32 s0, 0x800000
	v_fma_f32 v14, -v10, v12, 1.0
	v_fmac_f32_e32 v12, v14, v12
	v_mul_f32_e32 v14, v13, v12
	v_fma_f32 v15, -v10, v14, v13
	v_fmac_f32_e32 v14, v15, v12
	v_fma_f32 v10, -v10, v14, v13
	v_div_fmas_f32 v10, v10, v12, v14
	v_div_fixup_f32 v0, v10, v11, v0
	v_add_f32_e32 v0, s13, v0
	v_mul_f32_e32 v10, 0x4b800000, v0
	v_cmp_gt_f32_e32 vcc, s0, v0
	v_cndmask_b32_e32 v0, v0, v10, vcc
	v_rsq_f32_e32 v0, v0
	s_mul_hi_i32 s1, s25, s6
	s_mul_i32 s0, s25, s6
	s_lshl_b64 s[0:1], s[0:1], 1
	v_mul_f32_e32 v10, 0x45800000, v0
	v_cndmask_b32_e32 v10, v0, v10, vcc
	v_mov_b32_e32 v11, v10
	s_add_u32 s20, s14, s0
	;;#ASMSTART
	v_pk_mul_f32 v[12:13], v[18:19], v[10:11]
	;;#ASMEND
	;;#ASMSTART
	v_pk_mul_f32 v[14:15], v[32:33], v[10:11]
	;;#ASMEND
	;; [unrolled: 3-line block ×8, first 2 shown]
	s_waitcnt vmcnt(1)
	v_cvt_f32_u32_sdwa v21, v6 dst_sel:DWORD dst_unused:UNUSED_PAD src0_sel:WORD_1
	v_cvt_f32_u32_sdwa v20, v6 dst_sel:DWORD dst_unused:UNUSED_PAD src0_sel:WORD_0
	v_cvt_f32_u32_sdwa v29, v7 dst_sel:DWORD dst_unused:UNUSED_PAD src0_sel:WORD_1
	v_cvt_f32_u32_sdwa v28, v7 dst_sel:DWORD dst_unused:UNUSED_PAD src0_sel:WORD_0
	;; [unrolled: 2-line block ×3, first 2 shown]
	s_addc_u32 s0, s15, s1
	v_cvt_f32_u32_sdwa v31, v9 dst_sel:DWORD dst_unused:UNUSED_PAD src0_sel:WORD_1
	v_cvt_f32_u32_sdwa v30, v9 dst_sel:DWORD dst_unused:UNUSED_PAD src0_sel:WORD_0
	;;#ASMSTART
	v_pk_mul_f32 v[8:9], v[12:13], v[20:21]
	;;#ASMEND
	;;#ASMSTART
	v_pk_mul_f32 v[12:13], v[14:15], v[28:29]
	;;#ASMEND
	;; [unrolled: 3-line block ×4, first 2 shown]
	s_waitcnt vmcnt(0)
	v_cvt_f32_u32_sdwa v17, v2 dst_sel:DWORD dst_unused:UNUSED_PAD src0_sel:WORD_1
	v_cvt_f32_u32_sdwa v16, v2 dst_sel:DWORD dst_unused:UNUSED_PAD src0_sel:WORD_0
	v_cvt_f32_u32_sdwa v19, v3 dst_sel:DWORD dst_unused:UNUSED_PAD src0_sel:WORD_1
	v_cvt_f32_u32_sdwa v18, v3 dst_sel:DWORD dst_unused:UNUSED_PAD src0_sel:WORD_0
	;; [unrolled: 2-line block ×3, first 2 shown]
	s_and_b32 s21, s0, 0xffff
	s_mov_b32 s0, 0x7060302
	v_cvt_f32_u32_sdwa v21, v5 dst_sel:DWORD dst_unused:UNUSED_PAD src0_sel:WORD_1
	v_cvt_f32_u32_sdwa v20, v5 dst_sel:DWORD dst_unused:UNUSED_PAD src0_sel:WORD_0
	;;#ASMSTART
	v_pk_mul_f32 v[16:17], v[26:27], v[16:17]
	;;#ASMEND
	;;#ASMSTART
	v_pk_mul_f32 v[18:19], v[24:25], v[18:19]
	;;#ASMEND
	;;#ASMSTART
	v_pk_mul_f32 v[22:23], v[22:23], v[2:3]
	;;#ASMEND
	v_perm_b32 v2, v9, v8, s0
	v_perm_b32 v3, v13, v12, s0
	v_perm_b32 v4, v7, v6, s0
	v_perm_b32 v5, v15, v14, s0
	;;#ASMSTART
	v_pk_mul_f32 v[10:11], v[10:11], v[20:21]
	;;#ASMEND
	buffer_store_dwordx4 v[2:5], v1, s[20:23], 0 offen
	;;#ASMSTART
	s_nop 0
	;;#ASMEND
	s_nop 0
	v_perm_b32 v2, v17, v16, s0
	v_perm_b32 v3, v19, v18, s0
	;; [unrolled: 1-line block ×4, first 2 shown]
	buffer_store_dwordx4 v[2:5], v1, s[20:23], 16 offen
	;;#ASMSTART
	s_nop 0
	;;#ASMEND
	s_endpgm
	.section	.rodata,"a",@progbits
	.p2align	6, 0x0
	.amdhsa_kernel _ZN5aiter35fused_qk_rmsnorm_group_quant_kernelItDB8_Li512ELi16ELi4ELb1ELb1ELb0ELb1ELb0ELb0EEEvPT0_PvPT_S6_S6_PKS5_S8_S8_S8_S8_ffiiiiiiiiiiiii
		.amdhsa_group_segment_fixed_size 64
		.amdhsa_private_segment_fixed_size 0
		.amdhsa_kernarg_size 400
		.amdhsa_user_sgpr_count 6
		.amdhsa_user_sgpr_private_segment_buffer 1
		.amdhsa_user_sgpr_dispatch_ptr 0
		.amdhsa_user_sgpr_queue_ptr 0
		.amdhsa_user_sgpr_kernarg_segment_ptr 1
		.amdhsa_user_sgpr_dispatch_id 0
		.amdhsa_user_sgpr_flat_scratch_init 0
		.amdhsa_user_sgpr_kernarg_preload_length 0
		.amdhsa_user_sgpr_kernarg_preload_offset 0
		.amdhsa_user_sgpr_private_segment_size 0
		.amdhsa_uses_dynamic_stack 0
		.amdhsa_system_sgpr_private_segment_wavefront_offset 0
		.amdhsa_system_sgpr_workgroup_id_x 1
		.amdhsa_system_sgpr_workgroup_id_y 1
		.amdhsa_system_sgpr_workgroup_id_z 0
		.amdhsa_system_sgpr_workgroup_info 0
		.amdhsa_system_vgpr_workitem_id 0
		.amdhsa_next_free_vgpr 90
		.amdhsa_next_free_sgpr 32
		.amdhsa_accum_offset 92
		.amdhsa_reserve_vcc 1
		.amdhsa_reserve_flat_scratch 0
		.amdhsa_float_round_mode_32 0
		.amdhsa_float_round_mode_16_64 0
		.amdhsa_float_denorm_mode_32 3
		.amdhsa_float_denorm_mode_16_64 3
		.amdhsa_dx10_clamp 1
		.amdhsa_ieee_mode 1
		.amdhsa_fp16_overflow 0
		.amdhsa_tg_split 0
		.amdhsa_exception_fp_ieee_invalid_op 0
		.amdhsa_exception_fp_denorm_src 0
		.amdhsa_exception_fp_ieee_div_zero 0
		.amdhsa_exception_fp_ieee_overflow 0
		.amdhsa_exception_fp_ieee_underflow 0
		.amdhsa_exception_fp_ieee_inexact 0
		.amdhsa_exception_int_div_zero 0
	.end_amdhsa_kernel
	.section	.text._ZN5aiter35fused_qk_rmsnorm_group_quant_kernelItDB8_Li512ELi16ELi4ELb1ELb1ELb0ELb1ELb0ELb0EEEvPT0_PvPT_S6_S6_PKS5_S8_S8_S8_S8_ffiiiiiiiiiiiii,"axG",@progbits,_ZN5aiter35fused_qk_rmsnorm_group_quant_kernelItDB8_Li512ELi16ELi4ELb1ELb1ELb0ELb1ELb0ELb0EEEvPT0_PvPT_S6_S6_PKS5_S8_S8_S8_S8_ffiiiiiiiiiiiii,comdat
.Lfunc_end942:
	.size	_ZN5aiter35fused_qk_rmsnorm_group_quant_kernelItDB8_Li512ELi16ELi4ELb1ELb1ELb0ELb1ELb0ELb0EEEvPT0_PvPT_S6_S6_PKS5_S8_S8_S8_S8_ffiiiiiiiiiiiii, .Lfunc_end942-_ZN5aiter35fused_qk_rmsnorm_group_quant_kernelItDB8_Li512ELi16ELi4ELb1ELb1ELb0ELb1ELb0ELb0EEEvPT0_PvPT_S6_S6_PKS5_S8_S8_S8_S8_ffiiiiiiiiiiiii
                                        ; -- End function
	.section	.AMDGPU.csdata,"",@progbits
; Kernel info:
; codeLenInByte = 3472
; NumSgprs: 36
; NumVgprs: 90
; NumAgprs: 0
; TotalNumVgprs: 90
; ScratchSize: 0
; MemoryBound: 0
; FloatMode: 240
; IeeeMode: 1
; LDSByteSize: 64 bytes/workgroup (compile time only)
; SGPRBlocks: 4
; VGPRBlocks: 11
; NumSGPRsForWavesPerEU: 36
; NumVGPRsForWavesPerEU: 90
; AccumOffset: 92
; Occupancy: 5
; WaveLimiterHint : 0
; COMPUTE_PGM_RSRC2:SCRATCH_EN: 0
; COMPUTE_PGM_RSRC2:USER_SGPR: 6
; COMPUTE_PGM_RSRC2:TRAP_HANDLER: 0
; COMPUTE_PGM_RSRC2:TGID_X_EN: 1
; COMPUTE_PGM_RSRC2:TGID_Y_EN: 1
; COMPUTE_PGM_RSRC2:TGID_Z_EN: 0
; COMPUTE_PGM_RSRC2:TIDIG_COMP_CNT: 0
; COMPUTE_PGM_RSRC3_GFX90A:ACCUM_OFFSET: 22
; COMPUTE_PGM_RSRC3_GFX90A:TG_SPLIT: 0
	.section	.text._ZN5aiter35fused_qk_rmsnorm_group_quant_kernelIDF16_N4opus5fp4_tELi512ELi16ELi4ELb1ELb1ELb0ELb1ELb0ELb0EEEvPT0_PvPT_S7_S7_PKS6_S9_S9_S9_S9_ffiiiiiiiiiiiii,"axG",@progbits,_ZN5aiter35fused_qk_rmsnorm_group_quant_kernelIDF16_N4opus5fp4_tELi512ELi16ELi4ELb1ELb1ELb0ELb1ELb0ELb0EEEvPT0_PvPT_S7_S7_PKS6_S9_S9_S9_S9_ffiiiiiiiiiiiii,comdat
	.protected	_ZN5aiter35fused_qk_rmsnorm_group_quant_kernelIDF16_N4opus5fp4_tELi512ELi16ELi4ELb1ELb1ELb0ELb1ELb0ELb0EEEvPT0_PvPT_S7_S7_PKS6_S9_S9_S9_S9_ffiiiiiiiiiiiii ; -- Begin function _ZN5aiter35fused_qk_rmsnorm_group_quant_kernelIDF16_N4opus5fp4_tELi512ELi16ELi4ELb1ELb1ELb0ELb1ELb0ELb0EEEvPT0_PvPT_S7_S7_PKS6_S9_S9_S9_S9_ffiiiiiiiiiiiii
	.globl	_ZN5aiter35fused_qk_rmsnorm_group_quant_kernelIDF16_N4opus5fp4_tELi512ELi16ELi4ELb1ELb1ELb0ELb1ELb0ELb0EEEvPT0_PvPT_S7_S7_PKS6_S9_S9_S9_S9_ffiiiiiiiiiiiii
	.p2align	8
	.type	_ZN5aiter35fused_qk_rmsnorm_group_quant_kernelIDF16_N4opus5fp4_tELi512ELi16ELi4ELb1ELb1ELb0ELb1ELb0ELb0EEEvPT0_PvPT_S7_S7_PKS6_S9_S9_S9_S9_ffiiiiiiiiiiiii,@function
_ZN5aiter35fused_qk_rmsnorm_group_quant_kernelIDF16_N4opus5fp4_tELi512ELi16ELi4ELb1ELb1ELb0ELb1ELb0ELb0EEEvPT0_PvPT_S7_S7_PKS6_S9_S9_S9_S9_ffiiiiiiiiiiiii: ; @_ZN5aiter35fused_qk_rmsnorm_group_quant_kernelIDF16_N4opus5fp4_tELi512ELi16ELi4ELb1ELb1ELb0ELb1ELb0ELb0EEEvPT0_PvPT_S7_S7_PKS6_S9_S9_S9_S9_ffiiiiiiiiiiiii
; %bb.0:
	s_load_dwordx8 s[12:19], s[4:5], 0x50
	s_waitcnt lgkmcnt(0)
	s_cmp_ge_i32 s6, s14
	s_cbranch_scc1 .LBB943_17
; %bb.1:
	s_cmp_lg_u32 s7, 0
	s_cselect_b64 s[22:23], -1, 0
	s_cmp_eq_u32 s7, 0
	s_cselect_b64 s[2:3], -1, 0
	s_and_b64 s[0:1], s[2:3], exec
	s_cselect_b32 s7, s15, s16
	s_load_dwordx2 s[10:11], s[4:5], 0x30
	s_load_dwordx2 s[20:21], s[4:5], 0x48
	s_add_i32 s0, s7, 1
	s_lshr_b32 s1, s0, 31
	s_add_i32 s0, s0, s1
	s_lshl_b32 s0, s0, 1
	v_lshlrev_b32_e32 v1, 4, v0
	s_and_b32 s30, s0, -4
	v_cmp_gt_i32_e64 s[0:1], s7, v1
	v_mov_b32_e32 v6, 0
	v_mov_b32_e32 v7, 0
	v_mov_b32_e32 v8, 0
	v_mov_b32_e32 v9, 0
	v_mov_b32_e32 v2, 0
	v_mov_b32_e32 v3, 0
	v_mov_b32_e32 v4, 0
	v_mov_b32_e32 v5, 0
	v_mov_b32_e32 v10, 0
	v_mov_b32_e32 v11, 0
	v_mov_b32_e32 v12, 0
	v_mov_b32_e32 v13, 0
	v_mov_b32_e32 v14, 0
	v_mov_b32_e32 v15, 0
	v_mov_b32_e32 v16, 0
	v_mov_b32_e32 v17, 0
	s_and_saveexec_b64 s[8:9], s[0:1]
	s_cbranch_execz .LBB943_3
; %bb.2:
	s_load_dwordx2 s[14:15], s[4:5], 0x28
	s_load_dwordx2 s[26:27], s[4:5], 0x40
	s_and_b64 s[24:25], s[2:3], exec
	s_cselect_b32 s17, s17, s18
	s_mov_b32 s31, 0x20000
	s_waitcnt lgkmcnt(0)
	s_cselect_b32 s25, s15, s11
	s_cselect_b32 s24, s14, s10
	s_mul_hi_i32 s15, s17, s6
	s_mul_i32 s14, s17, s6
	s_lshl_b64 s[14:15], s[14:15], 1
	s_add_u32 s24, s24, s14
	s_addc_u32 s17, s25, s15
	s_and_b64 s[14:15], s[2:3], exec
	s_cselect_b32 s28, s26, s20
	s_cselect_b32 s14, s27, s21
	s_and_b32 s25, s17, 0xffff
	s_mov_b32 s26, s30
	s_mov_b32 s27, s31
	v_lshlrev_b32_e32 v18, 5, v0
	s_and_b32 s29, s14, 0xffff
	buffer_load_dwordx4 v[10:13], v18, s[24:27], 0 offen
	buffer_load_dwordx4 v[14:17], v18, s[24:27], 16 offen
	;; [unrolled: 1-line block ×4, first 2 shown]
.LBB943_3:
	s_or_b64 exec, exec, s[8:9]
	s_load_dwordx4 s[24:27], s[4:5], 0x7c
	s_and_b64 vcc, exec, s[22:23]
	s_cbranch_vccz .LBB943_7
; %bb.4:
	v_mov_b32_e32 v19, 0
	v_mov_b32_e32 v18, 0
	;; [unrolled: 1-line block ×16, first 2 shown]
	s_and_saveexec_b64 s[8:9], s[0:1]
	s_cbranch_execz .LBB943_6
; %bb.5:
	s_waitcnt vmcnt(3)
	v_cvt_f32_f16_sdwa v33, v10 dst_sel:DWORD dst_unused:UNUSED_PAD src0_sel:WORD_1
	v_cvt_f32_f16_e32 v32, v10
	v_cvt_f32_f16_sdwa v31, v11 dst_sel:DWORD dst_unused:UNUSED_PAD src0_sel:WORD_1
	v_cvt_f32_f16_e32 v30, v11
	;; [unrolled: 2-line block ×4, first 2 shown]
	s_waitcnt vmcnt(2)
	v_cvt_f32_f16_sdwa v25, v14 dst_sel:DWORD dst_unused:UNUSED_PAD src0_sel:WORD_1
	v_cvt_f32_f16_e32 v24, v14
	v_cvt_f32_f16_sdwa v23, v15 dst_sel:DWORD dst_unused:UNUSED_PAD src0_sel:WORD_1
	v_cvt_f32_f16_e32 v22, v15
	;; [unrolled: 2-line block ×4, first 2 shown]
.LBB943_6:
	s_or_b64 exec, exec, s[8:9]
	s_cbranch_execz .LBB943_8
	s_branch .LBB943_11
.LBB943_7:
                                        ; implicit-def: $vgpr19
                                        ; implicit-def: $vgpr21
                                        ; implicit-def: $vgpr23
                                        ; implicit-def: $vgpr25
                                        ; implicit-def: $vgpr29
                                        ; implicit-def: $vgpr27
                                        ; implicit-def: $vgpr31
                                        ; implicit-def: $vgpr33
.LBB943_8:
	v_mov_b32_e32 v19, 0
	v_mov_b32_e32 v18, 0
	;; [unrolled: 1-line block ×16, first 2 shown]
	s_and_saveexec_b64 s[8:9], s[0:1]
	s_cbranch_execz .LBB943_10
; %bb.9:
	s_load_dwordx2 s[14:15], s[4:5], 0x38
	s_mul_hi_i32 s29, s19, s6
	s_mul_i32 s28, s19, s6
	s_lshl_b64 s[28:29], s[28:29], 1
	s_mov_b32 s31, 0x20000
	s_waitcnt lgkmcnt(0)
	s_add_u32 s28, s14, s28
	s_addc_u32 s14, s15, s29
	s_and_b32 s29, s14, 0xffff
	v_lshlrev_b32_e32 v48, 5, v0
	buffer_load_dwordx4 v[18:21], v48, s[28:31], 16 offen
	buffer_load_dwordx4 v[22:25], v48, s[28:31], 0 offen
	s_waitcnt vmcnt(4)
	v_cvt_f32_f16_sdwa v27, v14 dst_sel:DWORD dst_unused:UNUSED_PAD src0_sel:WORD_1
	v_cvt_f32_f16_e32 v26, v14
	v_cvt_f32_f16_sdwa v29, v15 dst_sel:DWORD dst_unused:UNUSED_PAD src0_sel:WORD_1
	v_cvt_f32_f16_e32 v28, v15
	v_cvt_f32_f16_sdwa v15, v16 dst_sel:DWORD dst_unused:UNUSED_PAD src0_sel:WORD_1
	v_cvt_f32_f16_e32 v14, v16
	v_cvt_f32_f16_sdwa v31, v17 dst_sel:DWORD dst_unused:UNUSED_PAD src0_sel:WORD_1
	v_cvt_f32_f16_e32 v30, v17
	v_cvt_f32_f16_sdwa v17, v10 dst_sel:DWORD dst_unused:UNUSED_PAD src0_sel:WORD_1
	v_cvt_f32_f16_e32 v16, v10
	v_cvt_f32_f16_sdwa v35, v11 dst_sel:DWORD dst_unused:UNUSED_PAD src0_sel:WORD_1
	v_cvt_f32_f16_e32 v34, v11
	v_cvt_f32_f16_sdwa v11, v12 dst_sel:DWORD dst_unused:UNUSED_PAD src0_sel:WORD_1
	v_cvt_f32_f16_e32 v10, v12
	v_cvt_f32_f16_sdwa v37, v13 dst_sel:DWORD dst_unused:UNUSED_PAD src0_sel:WORD_1
	v_cvt_f32_f16_e32 v36, v13
	s_load_dwordx2 s[14:15], s[4:5], 0x20
	s_mul_hi_i32 s27, s26, s6
	s_mul_i32 s26, s26, s6
	s_lshl_b64 s[26:27], s[26:27], 1
	s_waitcnt lgkmcnt(0)
	s_add_u32 s28, s14, s26
	s_addc_u32 s14, s15, s27
	s_and_b32 s29, s14, 0xffff
	s_waitcnt vmcnt(1)
	v_cvt_f32_f16_e32 v12, v18
	v_cvt_f32_f16_sdwa v13, v18 dst_sel:DWORD dst_unused:UNUSED_PAD src0_sel:WORD_1
	v_cvt_f32_f16_e32 v18, v19
	v_cvt_f32_f16_sdwa v19, v19 dst_sel:DWORD dst_unused:UNUSED_PAD src0_sel:WORD_1
	;; [unrolled: 2-line block ×4, first 2 shown]
	s_waitcnt vmcnt(0)
	v_cvt_f32_f16_e32 v40, v22
	v_cvt_f32_f16_sdwa v41, v22 dst_sel:DWORD dst_unused:UNUSED_PAD src0_sel:WORD_1
	v_cvt_f32_f16_e32 v42, v23
	v_cvt_f32_f16_sdwa v43, v23 dst_sel:DWORD dst_unused:UNUSED_PAD src0_sel:WORD_1
	;; [unrolled: 2-line block ×4, first 2 shown]
	v_pk_add_f32 v[24:25], v[26:27], v[12:13]
	v_pk_add_f32 v[22:23], v[28:29], v[18:19]
	;; [unrolled: 1-line block ×8, first 2 shown]
	v_cvt_f16_f32_e32 v10, v33
	v_cvt_f16_f32_e32 v14, v32
	;; [unrolled: 1-line block ×16, first 2 shown]
	v_pack_b32_f16 v13, v17, v13
	v_pack_b32_f16 v12, v16, v12
	;; [unrolled: 1-line block ×8, first 2 shown]
	buffer_store_dwordx4 v[10:13], v48, s[28:31], 0 offen
	;;#ASMSTART
	s_nop 0
	;;#ASMEND
	buffer_store_dwordx4 v[14:17], v48, s[28:31], 16 offen
	;;#ASMSTART
	s_nop 0
	;;#ASMEND
.LBB943_10:
	s_or_b64 exec, exec, s[8:9]
.LBB943_11:
	s_waitcnt vmcnt(3)
	v_mul_f32_e32 v10, v33, v33
	v_fmac_f32_e32 v10, v32, v32
	v_fmac_f32_e32 v10, v30, v30
	;; [unrolled: 1-line block ×15, first 2 shown]
	v_and_b32_e32 v12, 63, v0
	v_cmp_eq_u32_e64 s[8:9], 63, v12
	v_mov_b32_dpp v11, v10 quad_perm:[1,0,3,2] row_mask:0xf bank_mask:0xf
	v_add_f32_e32 v10, v10, v11
	s_nop 1
	v_mov_b32_dpp v11, v10 quad_perm:[2,3,0,1] row_mask:0xf bank_mask:0xf
	v_add_f32_e32 v10, v10, v11
	s_nop 1
	v_mov_b32_dpp v11, v10 row_half_mirror row_mask:0xf bank_mask:0xf
	v_add_f32_e32 v10, v10, v11
	s_nop 1
	v_mov_b32_dpp v11, v10 row_mirror row_mask:0xf bank_mask:0xf
	v_add_f32_e32 v10, v10, v11
	s_nop 1
	v_mov_b32_dpp v11, v10 row_bcast:15 row_mask:0xf bank_mask:0xf
	v_add_f32_e32 v10, v10, v11
	s_nop 1
	v_mov_b32_dpp v11, v10 row_bcast:31 row_mask:0xf bank_mask:0xf
	s_and_saveexec_b64 s[14:15], s[8:9]
	s_cbranch_execz .LBB943_13
; %bb.12:
	v_add_f32_e32 v10, v10, v11
	v_lshrrev_b32_e32 v11, 4, v0
	v_and_b32_e32 v11, 60, v11
	ds_write_b32 v11, v10 offset:32
.LBB943_13:
	s_or_b64 exec, exec, s[14:15]
	v_and_b32_e32 v10, 7, v0
	v_lshlrev_b32_e32 v34, 2, v10
	s_waitcnt lgkmcnt(0)
	s_barrier
	ds_read_b32 v10, v34 offset:32
	s_load_dwordx2 s[14:15], s[4:5], 0x18
	s_waitcnt lgkmcnt(0)
	v_mov_b32_dpp v11, v10 quad_perm:[1,0,3,2] row_mask:0xf bank_mask:0xf
	v_add_f32_e32 v10, v10, v11
	s_nop 1
	v_mov_b32_dpp v11, v10 quad_perm:[2,3,0,1] row_mask:0xf bank_mask:0xf
	v_add_f32_e32 v10, v10, v11
	s_nop 1
	v_mov_b32_dpp v11, v10 row_half_mirror row_mask:0xf bank_mask:0xf
	s_and_saveexec_b64 s[26:27], s[0:1]
	s_cbranch_execnz .LBB943_18
; %bb.14:
	s_or_b64 exec, exec, s[26:27]
	s_mov_b64 s[2:3], -1
	s_and_b64 vcc, exec, s[22:23]
	s_cbranch_vccnz .LBB943_19
.LBB943_15:
	s_andn2_b64 vcc, exec, s[2:3]
	s_cbranch_vccz .LBB943_22
.LBB943_16:
	s_cmp_lt_i32 s16, 1
	s_cbranch_scc0 .LBB943_25
.LBB943_17:
	s_endpgm
.LBB943_18:
	v_cvt_f32_u32_e32 v12, s7
	v_add_f32_e32 v10, v10, v11
	s_waitcnt vmcnt(2)
	v_mov_b32_e32 v14, s13
	v_mov_b32_e32 v15, s12
	v_div_scale_f32 v11, s[28:29], v12, v12, v10
	v_rcp_f32_e32 v13, v11
	v_cndmask_b32_e64 v14, v14, v15, s[2:3]
	s_mov_b32 s2, 0x800000
	s_waitcnt vmcnt(1)
	v_cvt_f32_f16_sdwa v37, v9 dst_sel:DWORD dst_unused:UNUSED_PAD src0_sel:WORD_1
	v_fma_f32 v15, -v11, v13, 1.0
	v_fmac_f32_e32 v13, v15, v13
	v_div_scale_f32 v15, vcc, v10, v12, v10
	v_mul_f32_e32 v16, v15, v13
	v_fma_f32 v17, -v11, v16, v15
	v_fmac_f32_e32 v16, v17, v13
	v_fma_f32 v11, -v11, v16, v15
	v_div_fmas_f32 v11, v11, v13, v16
	v_div_fixup_f32 v10, v11, v12, v10
	v_add_f32_e32 v10, v14, v10
	v_mul_f32_e32 v11, 0x4b800000, v10
	v_cmp_gt_f32_e32 vcc, s2, v10
	v_cndmask_b32_e32 v10, v10, v11, vcc
	v_rsq_f32_e32 v10, v10
	v_cvt_f32_f16_e32 v36, v9
	s_waitcnt vmcnt(0)
	v_cvt_f32_f16_sdwa v9, v3 dst_sel:DWORD dst_unused:UNUSED_PAD src0_sel:WORD_1
	v_mul_f32_e32 v11, 0x45800000, v10
	v_cndmask_b32_e32 v10, v10, v11, vcc
	v_mov_b32_e32 v11, v10
	;;#ASMSTART
	v_pk_mul_f32 v[12:13], v[32:33], v[10:11]
	;;#ASMEND
	;;#ASMSTART
	v_pk_mul_f32 v[14:15], v[30:31], v[10:11]
	;;#ASMEND
	;;#ASMSTART
	v_pk_mul_f32 v[16:17], v[26:27], v[10:11]
	;;#ASMEND
	;;#ASMSTART
	v_pk_mul_f32 v[28:29], v[28:29], v[10:11]
	;;#ASMEND
	;;#ASMSTART
	v_pk_mul_f32 v[24:25], v[24:25], v[10:11]
	;;#ASMEND
	;;#ASMSTART
	v_pk_mul_f32 v[22:23], v[22:23], v[10:11]
	;;#ASMEND
	;;#ASMSTART
	v_pk_mul_f32 v[20:21], v[20:21], v[10:11]
	;;#ASMEND
	;;#ASMSTART
	v_pk_mul_f32 v[10:11], v[18:19], v[10:11]
	;;#ASMEND
	v_cvt_f32_f16_sdwa v19, v6 dst_sel:DWORD dst_unused:UNUSED_PAD src0_sel:WORD_1
	v_cvt_f32_f16_e32 v18, v6
	v_cvt_f32_f16_sdwa v27, v7 dst_sel:DWORD dst_unused:UNUSED_PAD src0_sel:WORD_1
	v_cvt_f32_f16_e32 v26, v7
	;; [unrolled: 2-line block ×3, first 2 shown]
	;;#ASMSTART
	v_pk_mul_f32 v[32:33], v[12:13], v[18:19]
	;;#ASMEND
	;;#ASMSTART
	v_pk_mul_f32 v[30:31], v[14:15], v[26:27]
	;;#ASMEND
	;; [unrolled: 3-line block ×4, first 2 shown]
	v_cvt_f32_f16_sdwa v7, v2 dst_sel:DWORD dst_unused:UNUSED_PAD src0_sel:WORD_1
	v_cvt_f32_f16_e32 v6, v2
	v_cvt_f32_f16_e32 v8, v3
	v_cvt_f32_f16_sdwa v3, v4 dst_sel:DWORD dst_unused:UNUSED_PAD src0_sel:WORD_1
	v_cvt_f32_f16_e32 v2, v4
	v_cvt_f32_f16_sdwa v13, v5 dst_sel:DWORD dst_unused:UNUSED_PAD src0_sel:WORD_1
	v_cvt_f32_f16_e32 v12, v5
	;;#ASMSTART
	v_pk_mul_f32 v[24:25], v[24:25], v[6:7]
	;;#ASMEND
	;;#ASMSTART
	v_pk_mul_f32 v[22:23], v[22:23], v[8:9]
	;;#ASMEND
	;; [unrolled: 3-line block ×4, first 2 shown]
	s_or_b64 exec, exec, s[26:27]
	s_mov_b64 s[2:3], -1
	s_and_b64 vcc, exec, s[22:23]
	s_cbranch_vccz .LBB943_15
.LBB943_19:
	s_and_saveexec_b64 s[2:3], s[0:1]
	s_cbranch_execz .LBB943_21
; %bb.20:
	s_mul_hi_i32 s23, s25, s6
	s_mul_i32 s22, s25, s6
	s_waitcnt vmcnt(0)
	v_cvt_f16_f32_e32 v2, v32
	v_cvt_f16_f32_e32 v3, v30
	;; [unrolled: 1-line block ×8, first 2 shown]
	s_lshl_b64 s[22:23], s[22:23], 1
	s_add_u32 s28, s14, s22
	s_addc_u32 s7, s15, s23
	s_and_b32 s29, s7, 0xffff
	s_mov_b32 s31, 0x20000
	v_pack_b32_f16 v5, v5, v6
	v_pack_b32_f16 v4, v4, v7
	;; [unrolled: 1-line block ×4, first 2 shown]
	v_lshlrev_b32_e32 v6, 5, v0
	buffer_store_dwordx4 v[2:5], v6, s[28:31], 0 offen
	v_cvt_f16_f32_e32 v7, v19
	v_cvt_f16_f32_e32 v2, v24
	v_cvt_f16_f32_e32 v3, v22
	v_cvt_f16_f32_e32 v4, v20
	v_cvt_f16_f32_e32 v5, v18
	v_cvt_f16_f32_e32 v8, v21
	v_cvt_f16_f32_e32 v9, v23
	v_cvt_f16_f32_e32 v10, v25
	v_pack_b32_f16 v5, v5, v7
	v_pack_b32_f16 v4, v4, v8
	;; [unrolled: 1-line block ×4, first 2 shown]
	;;#ASMSTART
	s_nop 0
	;;#ASMEND
	buffer_store_dwordx4 v[2:5], v6, s[28:31], 16 offen
	;;#ASMSTART
	s_nop 0
	;;#ASMEND
.LBB943_21:
	s_or_b64 exec, exec, s[2:3]
	s_cbranch_execnz .LBB943_16
.LBB943_22:
	s_and_saveexec_b64 s[2:3], s[0:1]
	s_cbranch_execz .LBB943_24
; %bb.23:
	s_load_dwordx2 s[0:1], s[4:5], 0x10
	s_mul_hi_i32 s23, s24, s6
	s_mul_i32 s22, s24, s6
	s_waitcnt vmcnt(0)
	v_cvt_f16_f32_e32 v2, v32
	v_cvt_f16_f32_e32 v3, v30
	;; [unrolled: 1-line block ×8, first 2 shown]
	s_lshl_b64 s[22:23], s[22:23], 1
	s_waitcnt lgkmcnt(0)
	s_add_u32 s28, s0, s22
	s_addc_u32 s0, s1, s23
	s_mov_b32 s31, 0x20000
	s_and_b32 s29, s0, 0xffff
	v_pack_b32_f16 v5, v5, v6
	v_pack_b32_f16 v4, v4, v7
	;; [unrolled: 1-line block ×4, first 2 shown]
	v_lshlrev_b32_e32 v6, 5, v0
	buffer_store_dwordx4 v[2:5], v6, s[28:31], 0 offen
	v_cvt_f16_f32_e32 v7, v19
	v_cvt_f16_f32_e32 v2, v24
	;; [unrolled: 1-line block ×8, first 2 shown]
	v_pack_b32_f16 v5, v5, v7
	v_pack_b32_f16 v4, v4, v8
	;; [unrolled: 1-line block ×4, first 2 shown]
	;;#ASMSTART
	s_nop 0
	;;#ASMEND
	buffer_store_dwordx4 v[2:5], v6, s[28:31], 16 offen
	;;#ASMSTART
	s_nop 0
	;;#ASMEND
.LBB943_24:
	s_or_b64 exec, exec, s[2:3]
	s_cmp_lt_i32 s16, 1
	s_cbranch_scc1 .LBB943_17
.LBB943_25:
	s_load_dword s0, s[4:5], 0x94
	s_waitcnt lgkmcnt(0)
	s_cmp_lg_u32 s0, 1
	s_cbranch_scc1 .LBB943_17
; %bb.26:
	s_lshl_b32 s0, s16, 1
	s_add_i32 s0, s0, 2
	v_cmp_gt_u32_e32 vcc, s16, v1
	s_and_b32 s22, s0, -4
	v_mov_b32_e32 v18, 0
	v_lshlrev_b32_e32 v1, 5, v0
	s_waitcnt vmcnt(2)
	v_mov_b32_e32 v14, 0
	v_mov_b32_e32 v15, 0
	;; [unrolled: 1-line block ×8, first 2 shown]
	s_waitcnt vmcnt(1)
	v_mov_b32_e32 v6, 0
	v_mov_b32_e32 v7, 0
	;; [unrolled: 1-line block ×4, first 2 shown]
	s_waitcnt vmcnt(0)
	v_mov_b32_e32 v2, 0
	v_mov_b32_e32 v3, 0
	;; [unrolled: 1-line block ×4, first 2 shown]
	s_barrier
	s_and_saveexec_b64 s[0:1], vcc
	s_cbranch_execz .LBB943_28
; %bb.27:
	s_mul_hi_i32 s3, s18, s6
	s_mul_i32 s2, s18, s6
	s_and_b32 s21, s21, 0xffff
	s_lshl_b64 s[2:3], s[2:3], 1
	s_add_u32 s28, s10, s2
	s_mov_b32 s23, 0x20000
	s_addc_u32 s2, s11, s3
	s_and_b32 s29, s2, 0xffff
	s_mov_b32 s30, s22
	s_mov_b32 s31, s23
	buffer_load_dwordx4 v[14:17], v1, s[28:31], 0 offen
	buffer_load_dwordx4 v[10:13], v1, s[28:31], 16 offen
	;; [unrolled: 1-line block ×4, first 2 shown]
.LBB943_28:
	s_or_b64 exec, exec, s[0:1]
	v_mov_b32_e32 v19, 0
	v_mov_b32_e32 v32, 0
	;; [unrolled: 1-line block ×15, first 2 shown]
	s_and_saveexec_b64 s[0:1], vcc
	s_cbranch_execz .LBB943_30
; %bb.29:
	s_waitcnt vmcnt(3)
	v_cvt_f32_f16_sdwa v19, v14 dst_sel:DWORD dst_unused:UNUSED_PAD src0_sel:WORD_1
	v_cvt_f32_f16_e32 v18, v14
	v_cvt_f32_f16_sdwa v33, v15 dst_sel:DWORD dst_unused:UNUSED_PAD src0_sel:WORD_1
	v_cvt_f32_f16_e32 v32, v15
	;; [unrolled: 2-line block ×4, first 2 shown]
	s_waitcnt vmcnt(2)
	v_cvt_f32_f16_sdwa v27, v10 dst_sel:DWORD dst_unused:UNUSED_PAD src0_sel:WORD_1
	v_cvt_f32_f16_e32 v26, v10
	v_cvt_f32_f16_sdwa v25, v11 dst_sel:DWORD dst_unused:UNUSED_PAD src0_sel:WORD_1
	v_cvt_f32_f16_e32 v24, v11
	;; [unrolled: 2-line block ×4, first 2 shown]
.LBB943_30:
	s_or_b64 exec, exec, s[0:1]
	s_waitcnt vmcnt(2)
	v_mul_f32_e32 v10, v19, v19
	v_fmac_f32_e32 v10, v18, v18
	v_fmac_f32_e32 v10, v32, v32
	;; [unrolled: 1-line block ×15, first 2 shown]
	s_nop 1
	v_mov_b32_dpp v11, v10 quad_perm:[1,0,3,2] row_mask:0xf bank_mask:0xf
	v_add_f32_e32 v10, v10, v11
	s_nop 1
	v_mov_b32_dpp v11, v10 quad_perm:[2,3,0,1] row_mask:0xf bank_mask:0xf
	v_add_f32_e32 v10, v10, v11
	s_nop 1
	v_mov_b32_dpp v11, v10 row_half_mirror row_mask:0xf bank_mask:0xf
	v_add_f32_e32 v10, v10, v11
	s_nop 1
	v_mov_b32_dpp v11, v10 row_mirror row_mask:0xf bank_mask:0xf
	v_add_f32_e32 v10, v10, v11
	s_nop 1
	v_mov_b32_dpp v11, v10 row_bcast:15 row_mask:0xf bank_mask:0xf
	v_add_f32_e32 v10, v10, v11
	s_nop 1
	v_mov_b32_dpp v11, v10 row_bcast:31 row_mask:0xf bank_mask:0xf
	s_and_saveexec_b64 s[0:1], s[8:9]
	s_cbranch_execz .LBB943_32
; %bb.31:
	v_lshrrev_b32_e32 v0, 4, v0
	v_add_f32_e32 v10, v10, v11
	v_and_b32_e32 v0, 60, v0
	ds_write_b32 v0, v10
.LBB943_32:
	s_or_b64 exec, exec, s[0:1]
	s_waitcnt lgkmcnt(0)
	s_barrier
	ds_read_b32 v0, v34
	s_waitcnt lgkmcnt(0)
	s_nop 0
	v_mov_b32_dpp v10, v0 quad_perm:[1,0,3,2] row_mask:0xf bank_mask:0xf
	v_add_f32_e32 v0, v0, v10
	s_nop 1
	v_mov_b32_dpp v10, v0 quad_perm:[2,3,0,1] row_mask:0xf bank_mask:0xf
	v_add_f32_e32 v0, v0, v10
	s_nop 1
	v_mov_b32_dpp v10, v0 row_half_mirror row_mask:0xf bank_mask:0xf
	s_and_saveexec_b64 s[0:1], vcc
	s_cbranch_execz .LBB943_17
; %bb.33:
	v_cvt_f32_u32_e32 v11, s16
	v_add_f32_e32 v0, v0, v10
	s_mov_b32 s23, 0x20000
	v_div_scale_f32 v10, s[0:1], v11, v11, v0
	v_rcp_f32_e32 v12, v10
	v_div_scale_f32 v13, vcc, v0, v11, v0
	s_mov_b32 s0, 0x800000
	v_fma_f32 v14, -v10, v12, 1.0
	v_fmac_f32_e32 v12, v14, v12
	v_mul_f32_e32 v14, v13, v12
	v_fma_f32 v15, -v10, v14, v13
	v_fmac_f32_e32 v14, v15, v12
	v_fma_f32 v10, -v10, v14, v13
	v_div_fmas_f32 v10, v10, v12, v14
	v_div_fixup_f32 v0, v10, v11, v0
	v_add_f32_e32 v0, s13, v0
	v_mul_f32_e32 v10, 0x4b800000, v0
	v_cmp_gt_f32_e32 vcc, s0, v0
	v_cndmask_b32_e32 v0, v0, v10, vcc
	v_rsq_f32_e32 v0, v0
	s_mul_hi_i32 s1, s25, s6
	s_mul_i32 s0, s25, s6
	s_lshl_b64 s[0:1], s[0:1], 1
	v_mul_f32_e32 v10, 0x45800000, v0
	v_cndmask_b32_e32 v10, v0, v10, vcc
	v_mov_b32_e32 v11, v10
	;;#ASMSTART
	v_pk_mul_f32 v[12:13], v[18:19], v[10:11]
	;;#ASMEND
	;;#ASMSTART
	v_pk_mul_f32 v[14:15], v[32:33], v[10:11]
	;;#ASMEND
	;; [unrolled: 3-line block ×8, first 2 shown]
	s_waitcnt vmcnt(1)
	v_cvt_f32_f16_sdwa v21, v6 dst_sel:DWORD dst_unused:UNUSED_PAD src0_sel:WORD_1
	v_cvt_f32_f16_e32 v20, v6
	v_cvt_f32_f16_sdwa v29, v7 dst_sel:DWORD dst_unused:UNUSED_PAD src0_sel:WORD_1
	v_cvt_f32_f16_e32 v28, v7
	;; [unrolled: 2-line block ×4, first 2 shown]
	;;#ASMSTART
	v_pk_mul_f32 v[8:9], v[12:13], v[20:21]
	;;#ASMEND
	;;#ASMSTART
	v_pk_mul_f32 v[12:13], v[14:15], v[28:29]
	;;#ASMEND
	;; [unrolled: 3-line block ×4, first 2 shown]
	s_waitcnt vmcnt(0)
	v_cvt_f32_f16_sdwa v17, v2 dst_sel:DWORD dst_unused:UNUSED_PAD src0_sel:WORD_1
	v_cvt_f32_f16_e32 v16, v2
	v_cvt_f32_f16_sdwa v19, v3 dst_sel:DWORD dst_unused:UNUSED_PAD src0_sel:WORD_1
	v_cvt_f32_f16_e32 v18, v3
	;; [unrolled: 2-line block ×4, first 2 shown]
	;;#ASMSTART
	v_pk_mul_f32 v[16:17], v[26:27], v[16:17]
	;;#ASMEND
	;;#ASMSTART
	v_pk_mul_f32 v[18:19], v[24:25], v[18:19]
	;;#ASMEND
	;; [unrolled: 3-line block ×3, first 2 shown]
	v_cvt_f16_f32_e32 v0, v8
	v_cvt_f16_f32_e32 v2, v9
	v_cvt_f16_f32_e32 v3, v12
	v_cvt_f16_f32_e32 v4, v13
	v_cvt_f16_f32_e32 v5, v6
	v_cvt_f16_f32_e32 v6, v7
	v_cvt_f16_f32_e32 v7, v14
	v_cvt_f16_f32_e32 v8, v15
	s_add_u32 s20, s14, s0
	s_addc_u32 s0, s15, s1
	s_and_b32 s21, s0, 0xffff
	v_pack_b32_f16 v2, v0, v2
	v_pack_b32_f16 v3, v3, v4
	v_pack_b32_f16 v4, v5, v6
	v_pack_b32_f16 v5, v7, v8
	;;#ASMSTART
	v_pk_mul_f32 v[10:11], v[10:11], v[20:21]
	;;#ASMEND
	buffer_store_dwordx4 v[2:5], v1, s[20:23], 0 offen
	v_cvt_f16_f32_e32 v0, v16
	v_cvt_f16_f32_e32 v2, v17
	;; [unrolled: 1-line block ×8, first 2 shown]
	v_pack_b32_f16 v2, v0, v2
	v_pack_b32_f16 v3, v3, v4
	;; [unrolled: 1-line block ×4, first 2 shown]
	;;#ASMSTART
	s_nop 0
	;;#ASMEND
	buffer_store_dwordx4 v[2:5], v1, s[20:23], 16 offen
	;;#ASMSTART
	s_nop 0
	;;#ASMEND
	s_endpgm
	.section	.rodata,"a",@progbits
	.p2align	6, 0x0
	.amdhsa_kernel _ZN5aiter35fused_qk_rmsnorm_group_quant_kernelIDF16_N4opus5fp4_tELi512ELi16ELi4ELb1ELb1ELb0ELb1ELb0ELb0EEEvPT0_PvPT_S7_S7_PKS6_S9_S9_S9_S9_ffiiiiiiiiiiiii
		.amdhsa_group_segment_fixed_size 64
		.amdhsa_private_segment_fixed_size 0
		.amdhsa_kernarg_size 400
		.amdhsa_user_sgpr_count 6
		.amdhsa_user_sgpr_private_segment_buffer 1
		.amdhsa_user_sgpr_dispatch_ptr 0
		.amdhsa_user_sgpr_queue_ptr 0
		.amdhsa_user_sgpr_kernarg_segment_ptr 1
		.amdhsa_user_sgpr_dispatch_id 0
		.amdhsa_user_sgpr_flat_scratch_init 0
		.amdhsa_user_sgpr_kernarg_preload_length 0
		.amdhsa_user_sgpr_kernarg_preload_offset 0
		.amdhsa_user_sgpr_private_segment_size 0
		.amdhsa_uses_dynamic_stack 0
		.amdhsa_system_sgpr_private_segment_wavefront_offset 0
		.amdhsa_system_sgpr_workgroup_id_x 1
		.amdhsa_system_sgpr_workgroup_id_y 1
		.amdhsa_system_sgpr_workgroup_id_z 0
		.amdhsa_system_sgpr_workgroup_info 0
		.amdhsa_system_vgpr_workitem_id 0
		.amdhsa_next_free_vgpr 49
		.amdhsa_next_free_sgpr 32
		.amdhsa_accum_offset 52
		.amdhsa_reserve_vcc 1
		.amdhsa_reserve_flat_scratch 0
		.amdhsa_float_round_mode_32 0
		.amdhsa_float_round_mode_16_64 0
		.amdhsa_float_denorm_mode_32 3
		.amdhsa_float_denorm_mode_16_64 3
		.amdhsa_dx10_clamp 1
		.amdhsa_ieee_mode 1
		.amdhsa_fp16_overflow 0
		.amdhsa_tg_split 0
		.amdhsa_exception_fp_ieee_invalid_op 0
		.amdhsa_exception_fp_denorm_src 0
		.amdhsa_exception_fp_ieee_div_zero 0
		.amdhsa_exception_fp_ieee_overflow 0
		.amdhsa_exception_fp_ieee_underflow 0
		.amdhsa_exception_fp_ieee_inexact 0
		.amdhsa_exception_int_div_zero 0
	.end_amdhsa_kernel
	.section	.text._ZN5aiter35fused_qk_rmsnorm_group_quant_kernelIDF16_N4opus5fp4_tELi512ELi16ELi4ELb1ELb1ELb0ELb1ELb0ELb0EEEvPT0_PvPT_S7_S7_PKS6_S9_S9_S9_S9_ffiiiiiiiiiiiii,"axG",@progbits,_ZN5aiter35fused_qk_rmsnorm_group_quant_kernelIDF16_N4opus5fp4_tELi512ELi16ELi4ELb1ELb1ELb0ELb1ELb0ELb0EEEvPT0_PvPT_S7_S7_PKS6_S9_S9_S9_S9_ffiiiiiiiiiiiii,comdat
.Lfunc_end943:
	.size	_ZN5aiter35fused_qk_rmsnorm_group_quant_kernelIDF16_N4opus5fp4_tELi512ELi16ELi4ELb1ELb1ELb0ELb1ELb0ELb0EEEvPT0_PvPT_S7_S7_PKS6_S9_S9_S9_S9_ffiiiiiiiiiiiii, .Lfunc_end943-_ZN5aiter35fused_qk_rmsnorm_group_quant_kernelIDF16_N4opus5fp4_tELi512ELi16ELi4ELb1ELb1ELb0ELb1ELb0ELb0EEEvPT0_PvPT_S7_S7_PKS6_S9_S9_S9_S9_ffiiiiiiiiiiiii
                                        ; -- End function
	.section	.AMDGPU.csdata,"",@progbits
; Kernel info:
; codeLenInByte = 3512
; NumSgprs: 36
; NumVgprs: 49
; NumAgprs: 0
; TotalNumVgprs: 49
; ScratchSize: 0
; MemoryBound: 0
; FloatMode: 240
; IeeeMode: 1
; LDSByteSize: 64 bytes/workgroup (compile time only)
; SGPRBlocks: 4
; VGPRBlocks: 6
; NumSGPRsForWavesPerEU: 36
; NumVGPRsForWavesPerEU: 49
; AccumOffset: 52
; Occupancy: 8
; WaveLimiterHint : 0
; COMPUTE_PGM_RSRC2:SCRATCH_EN: 0
; COMPUTE_PGM_RSRC2:USER_SGPR: 6
; COMPUTE_PGM_RSRC2:TRAP_HANDLER: 0
; COMPUTE_PGM_RSRC2:TGID_X_EN: 1
; COMPUTE_PGM_RSRC2:TGID_Y_EN: 1
; COMPUTE_PGM_RSRC2:TGID_Z_EN: 0
; COMPUTE_PGM_RSRC2:TIDIG_COMP_CNT: 0
; COMPUTE_PGM_RSRC3_GFX90A:ACCUM_OFFSET: 12
; COMPUTE_PGM_RSRC3_GFX90A:TG_SPLIT: 0
	.section	.text._ZN5aiter35fused_qk_rmsnorm_group_quant_kernelItN4opus5fp4_tELi512ELi16ELi4ELb1ELb1ELb0ELb1ELb0ELb0EEEvPT0_PvPT_S7_S7_PKS6_S9_S9_S9_S9_ffiiiiiiiiiiiii,"axG",@progbits,_ZN5aiter35fused_qk_rmsnorm_group_quant_kernelItN4opus5fp4_tELi512ELi16ELi4ELb1ELb1ELb0ELb1ELb0ELb0EEEvPT0_PvPT_S7_S7_PKS6_S9_S9_S9_S9_ffiiiiiiiiiiiii,comdat
	.protected	_ZN5aiter35fused_qk_rmsnorm_group_quant_kernelItN4opus5fp4_tELi512ELi16ELi4ELb1ELb1ELb0ELb1ELb0ELb0EEEvPT0_PvPT_S7_S7_PKS6_S9_S9_S9_S9_ffiiiiiiiiiiiii ; -- Begin function _ZN5aiter35fused_qk_rmsnorm_group_quant_kernelItN4opus5fp4_tELi512ELi16ELi4ELb1ELb1ELb0ELb1ELb0ELb0EEEvPT0_PvPT_S7_S7_PKS6_S9_S9_S9_S9_ffiiiiiiiiiiiii
	.globl	_ZN5aiter35fused_qk_rmsnorm_group_quant_kernelItN4opus5fp4_tELi512ELi16ELi4ELb1ELb1ELb0ELb1ELb0ELb0EEEvPT0_PvPT_S7_S7_PKS6_S9_S9_S9_S9_ffiiiiiiiiiiiii
	.p2align	8
	.type	_ZN5aiter35fused_qk_rmsnorm_group_quant_kernelItN4opus5fp4_tELi512ELi16ELi4ELb1ELb1ELb0ELb1ELb0ELb0EEEvPT0_PvPT_S7_S7_PKS6_S9_S9_S9_S9_ffiiiiiiiiiiiii,@function
_ZN5aiter35fused_qk_rmsnorm_group_quant_kernelItN4opus5fp4_tELi512ELi16ELi4ELb1ELb1ELb0ELb1ELb0ELb0EEEvPT0_PvPT_S7_S7_PKS6_S9_S9_S9_S9_ffiiiiiiiiiiiii: ; @_ZN5aiter35fused_qk_rmsnorm_group_quant_kernelItN4opus5fp4_tELi512ELi16ELi4ELb1ELb1ELb0ELb1ELb0ELb0EEEvPT0_PvPT_S7_S7_PKS6_S9_S9_S9_S9_ffiiiiiiiiiiiii
; %bb.0:
	s_load_dwordx8 s[12:19], s[4:5], 0x50
	s_waitcnt lgkmcnt(0)
	s_cmp_ge_i32 s6, s14
	s_cbranch_scc1 .LBB944_17
; %bb.1:
	s_cmp_lg_u32 s7, 0
	s_cselect_b64 s[22:23], -1, 0
	s_cmp_eq_u32 s7, 0
	s_cselect_b64 s[2:3], -1, 0
	s_and_b64 s[0:1], s[2:3], exec
	s_cselect_b32 s7, s15, s16
	s_load_dwordx2 s[10:11], s[4:5], 0x30
	s_load_dwordx2 s[20:21], s[4:5], 0x48
	s_add_i32 s0, s7, 1
	s_lshr_b32 s1, s0, 31
	s_add_i32 s0, s0, s1
	s_lshl_b32 s0, s0, 1
	v_lshlrev_b32_e32 v1, 4, v0
	s_and_b32 s30, s0, -4
	v_cmp_gt_i32_e64 s[0:1], s7, v1
	v_mov_b32_e32 v76, 0
	v_mov_b32_e32 v77, 0
	;; [unrolled: 1-line block ×16, first 2 shown]
	s_and_saveexec_b64 s[8:9], s[0:1]
	s_cbranch_execz .LBB944_3
; %bb.2:
	s_load_dwordx2 s[14:15], s[4:5], 0x28
	s_load_dwordx2 s[26:27], s[4:5], 0x40
	s_and_b64 s[24:25], s[2:3], exec
	s_cselect_b32 s17, s17, s18
	s_mov_b32 s31, 0x20000
	s_waitcnt lgkmcnt(0)
	s_cselect_b32 s25, s15, s11
	s_cselect_b32 s24, s14, s10
	s_mul_hi_i32 s15, s17, s6
	s_mul_i32 s14, s17, s6
	s_lshl_b64 s[14:15], s[14:15], 1
	s_add_u32 s24, s24, s14
	s_addc_u32 s17, s25, s15
	s_and_b64 s[14:15], s[2:3], exec
	s_cselect_b32 s28, s26, s20
	s_cselect_b32 s14, s27, s21
	s_and_b32 s25, s17, 0xffff
	s_mov_b32 s26, s30
	s_mov_b32 s27, s31
	v_lshlrev_b32_e32 v2, 5, v0
	s_and_b32 s29, s14, 0xffff
	buffer_load_dwordx4 v[80:83], v2, s[24:27], 0 offen
	buffer_load_dwordx4 v[84:87], v2, s[24:27], 16 offen
	;; [unrolled: 1-line block ×4, first 2 shown]
.LBB944_3:
	s_or_b64 exec, exec, s[8:9]
	s_load_dwordx4 s[24:27], s[4:5], 0x7c
	s_and_b64 vcc, exec, s[22:23]
	s_cbranch_vccz .LBB944_7
; %bb.4:
	v_mov_b32_e32 v89, 0
	v_mov_b32_e32 v88, 0
	;; [unrolled: 1-line block ×16, first 2 shown]
	s_and_saveexec_b64 s[8:9], s[0:1]
	s_cbranch_execz .LBB944_6
; %bb.5:
	s_waitcnt vmcnt(3)
	v_cvt_f32_u32_sdwa v18, v80 dst_sel:DWORD dst_unused:UNUSED_PAD src0_sel:WORD_0
	v_cvt_f32_u32_sdwa v19, v80 dst_sel:DWORD dst_unused:UNUSED_PAD src0_sel:WORD_1
	v_cvt_f32_u32_sdwa v4, v81 dst_sel:DWORD dst_unused:UNUSED_PAD src0_sel:WORD_0
	v_cvt_f32_u32_sdwa v5, v81 dst_sel:DWORD dst_unused:UNUSED_PAD src0_sel:WORD_1
	;; [unrolled: 2-line block ×4, first 2 shown]
	s_waitcnt vmcnt(2)
	v_cvt_f32_u32_sdwa v64, v84 dst_sel:DWORD dst_unused:UNUSED_PAD src0_sel:WORD_0
	v_cvt_f32_u32_sdwa v65, v84 dst_sel:DWORD dst_unused:UNUSED_PAD src0_sel:WORD_1
	v_cvt_f32_u32_sdwa v48, v85 dst_sel:DWORD dst_unused:UNUSED_PAD src0_sel:WORD_0
	v_cvt_f32_u32_sdwa v49, v85 dst_sel:DWORD dst_unused:UNUSED_PAD src0_sel:WORD_1
	;; [unrolled: 2-line block ×4, first 2 shown]
.LBB944_6:
	s_or_b64 exec, exec, s[8:9]
	s_cbranch_execz .LBB944_8
	s_branch .LBB944_11
.LBB944_7:
                                        ; implicit-def: $vgpr18_vgpr19_vgpr20_vgpr21_vgpr22_vgpr23_vgpr24_vgpr25_vgpr26_vgpr27_vgpr28_vgpr29_vgpr30_vgpr31_vgpr32_vgpr33
                                        ; implicit-def: $vgpr50_vgpr51_vgpr52_vgpr53_vgpr54_vgpr55_vgpr56_vgpr57_vgpr58_vgpr59_vgpr60_vgpr61_vgpr62_vgpr63_vgpr64_vgpr65
                                        ; implicit-def: $vgpr30_vgpr31_vgpr32_vgpr33_vgpr34_vgpr35_vgpr36_vgpr37_vgpr38_vgpr39_vgpr40_vgpr41_vgpr42_vgpr43_vgpr44_vgpr45
                                        ; implicit-def: $vgpr89
                                        ; implicit-def: $vgpr2_vgpr3_vgpr4_vgpr5_vgpr6_vgpr7_vgpr8_vgpr9_vgpr10_vgpr11_vgpr12_vgpr13_vgpr14_vgpr15_vgpr16_vgpr17
                                        ; implicit-def: $vgpr56_vgpr57_vgpr58_vgpr59_vgpr60_vgpr61_vgpr62_vgpr63_vgpr64_vgpr65_vgpr66_vgpr67_vgpr68_vgpr69_vgpr70_vgpr71
                                        ; implicit-def: $vgpr38_vgpr39_vgpr40_vgpr41_vgpr42_vgpr43_vgpr44_vgpr45_vgpr46_vgpr47_vgpr48_vgpr49_vgpr50_vgpr51_vgpr52_vgpr53
                                        ; implicit-def: $vgpr20_vgpr21_vgpr22_vgpr23_vgpr24_vgpr25_vgpr26_vgpr27_vgpr28_vgpr29_vgpr30_vgpr31_vgpr32_vgpr33_vgpr34_vgpr35
.LBB944_8:
	v_mov_b32_e32 v89, 0
	v_mov_b32_e32 v88, 0
	;; [unrolled: 1-line block ×16, first 2 shown]
	s_and_saveexec_b64 s[8:9], s[0:1]
	s_cbranch_execz .LBB944_10
; %bb.9:
	s_load_dwordx2 s[14:15], s[4:5], 0x38
	s_mul_hi_i32 s29, s19, s6
	s_mul_i32 s28, s19, s6
	s_lshl_b64 s[28:29], s[28:29], 1
	s_mov_b32 s31, 0x20000
	s_waitcnt lgkmcnt(0)
	s_add_u32 s28, s14, s28
	s_addc_u32 s14, s15, s29
	s_and_b32 s29, s14, 0xffff
	v_lshlrev_b32_e32 v38, 5, v0
	buffer_load_dwordx4 v[4:7], v38, s[28:31], 16 offen
	buffer_load_dwordx4 v[8:11], v38, s[28:31], 0 offen
	s_load_dwordx2 s[14:15], s[4:5], 0x20
	s_waitcnt vmcnt(5)
	v_cvt_f32_u32_sdwa v19, v80 dst_sel:DWORD dst_unused:UNUSED_PAD src0_sel:WORD_1
	v_cvt_f32_u32_sdwa v18, v80 dst_sel:DWORD dst_unused:UNUSED_PAD src0_sel:WORD_0
	v_cvt_f32_u32_sdwa v21, v81 dst_sel:DWORD dst_unused:UNUSED_PAD src0_sel:WORD_1
	v_cvt_f32_u32_sdwa v20, v81 dst_sel:DWORD dst_unused:UNUSED_PAD src0_sel:WORD_0
	;; [unrolled: 2-line block ×4, first 2 shown]
	s_waitcnt vmcnt(4)
	v_cvt_f32_u32_sdwa v3, v84 dst_sel:DWORD dst_unused:UNUSED_PAD src0_sel:WORD_1
	v_cvt_f32_u32_sdwa v2, v84 dst_sel:DWORD dst_unused:UNUSED_PAD src0_sel:WORD_0
	v_cvt_f32_u32_sdwa v13, v85 dst_sel:DWORD dst_unused:UNUSED_PAD src0_sel:WORD_1
	v_cvt_f32_u32_sdwa v12, v85 dst_sel:DWORD dst_unused:UNUSED_PAD src0_sel:WORD_0
	;; [unrolled: 2-line block ×3, first 2 shown]
	v_cvt_f32_u32_sdwa v16, v87 dst_sel:DWORD dst_unused:UNUSED_PAD src0_sel:WORD_0
	v_cvt_f32_u32_sdwa v17, v87 dst_sel:DWORD dst_unused:UNUSED_PAD src0_sel:WORD_1
	s_mul_hi_i32 s27, s26, s6
	s_mul_i32 s26, s26, s6
	s_lshl_b64 s[26:27], s[26:27], 1
	s_waitcnt lgkmcnt(0)
	s_add_u32 s28, s14, s26
	s_mov_b32 s17, 0x7060302
	s_addc_u32 s14, s15, s27
	s_and_b32 s29, s14, 0xffff
	s_waitcnt vmcnt(1)
	v_cvt_f32_u32_sdwa v27, v4 dst_sel:DWORD dst_unused:UNUSED_PAD src0_sel:WORD_1
	v_cvt_f32_u32_sdwa v26, v4 dst_sel:DWORD dst_unused:UNUSED_PAD src0_sel:WORD_0
	v_cvt_f32_u32_sdwa v29, v5 dst_sel:DWORD dst_unused:UNUSED_PAD src0_sel:WORD_1
	v_cvt_f32_u32_sdwa v28, v5 dst_sel:DWORD dst_unused:UNUSED_PAD src0_sel:WORD_0
	;; [unrolled: 2-line block ×3, first 2 shown]
	v_cvt_f32_u32_sdwa v32, v7 dst_sel:DWORD dst_unused:UNUSED_PAD src0_sel:WORD_0
	v_cvt_f32_u32_sdwa v33, v7 dst_sel:DWORD dst_unused:UNUSED_PAD src0_sel:WORD_1
	s_waitcnt vmcnt(0)
	v_cvt_f32_u32_sdwa v35, v8 dst_sel:DWORD dst_unused:UNUSED_PAD src0_sel:WORD_1
	v_cvt_f32_u32_sdwa v34, v8 dst_sel:DWORD dst_unused:UNUSED_PAD src0_sel:WORD_0
	v_cvt_f32_u32_sdwa v5, v10 dst_sel:DWORD dst_unused:UNUSED_PAD src0_sel:WORD_1
	v_cvt_f32_u32_sdwa v4, v10 dst_sel:DWORD dst_unused:UNUSED_PAD src0_sel:WORD_0
	;; [unrolled: 2-line block ×4, first 2 shown]
	v_pk_add_f32 v[54:55], v[22:23], v[4:5]
	v_pk_add_f32 v[36:37], v[24:25], v[6:7]
	;; [unrolled: 1-line block ×4, first 2 shown]
	v_perm_b32 v9, v37, v36, s17
	v_perm_b32 v8, v55, v54, s17
	;; [unrolled: 1-line block ×4, first 2 shown]
	v_pk_add_f32 v[88:89], v[16:17], v[32:33]
	v_pk_add_f32 v[32:33], v[14:15], v[30:31]
	;; [unrolled: 1-line block ×4, first 2 shown]
	buffer_store_dwordx4 v[6:9], v38, s[28:31], 0 offen
	;;#ASMSTART
	s_nop 0
	;;#ASMEND
	s_nop 0
	v_perm_b32 v9, v89, v88, s17
	v_perm_b32 v8, v33, v32, s17
	;; [unrolled: 1-line block ×4, first 2 shown]
	buffer_store_dwordx4 v[6:9], v38, s[28:31], 16 offen
	;;#ASMSTART
	s_nop 0
	;;#ASMEND
.LBB944_10:
	s_or_b64 exec, exec, s[8:9]
.LBB944_11:
	v_mul_f32_e32 v2, v19, v19
	v_fmac_f32_e32 v2, v18, v18
	v_fmac_f32_e32 v2, v4, v4
	v_fmac_f32_e32 v2, v5, v5
	v_fmac_f32_e32 v2, v54, v54
	v_fmac_f32_e32 v2, v55, v55
	v_fmac_f32_e32 v2, v36, v36
	v_fmac_f32_e32 v2, v37, v37
	v_fmac_f32_e32 v2, v64, v64
	v_fmac_f32_e32 v2, v65, v65
	v_fmac_f32_e32 v2, v48, v48
	v_fmac_f32_e32 v2, v49, v49
	v_fmac_f32_e32 v2, v32, v32
	v_fmac_f32_e32 v2, v33, v33
	v_fmac_f32_e32 v2, v88, v88
	v_fmac_f32_e32 v2, v89, v89
	s_nop 1
	v_mov_b32_dpp v3, v2 quad_perm:[1,0,3,2] row_mask:0xf bank_mask:0xf
	v_add_f32_e32 v2, v2, v3
	s_nop 1
	v_mov_b32_dpp v3, v2 quad_perm:[2,3,0,1] row_mask:0xf bank_mask:0xf
	v_add_f32_e32 v2, v2, v3
	s_nop 1
	v_mov_b32_dpp v3, v2 row_half_mirror row_mask:0xf bank_mask:0xf
	v_add_f32_e32 v2, v2, v3
	s_nop 1
	v_mov_b32_dpp v3, v2 row_mirror row_mask:0xf bank_mask:0xf
	v_add_f32_e32 v2, v2, v3
	s_nop 1
	v_mov_b32_dpp v3, v2 row_bcast:15 row_mask:0xf bank_mask:0xf
	v_add_f32_e32 v2, v2, v3
	v_and_b32_e32 v3, 63, v0
	v_cmp_eq_u32_e64 s[8:9], 63, v3
	s_nop 0
	v_mov_b32_dpp v3, v2 row_bcast:31 row_mask:0xf bank_mask:0xf
	s_and_saveexec_b64 s[14:15], s[8:9]
	s_cbranch_execz .LBB944_13
; %bb.12:
	v_add_f32_e32 v2, v2, v3
	v_lshrrev_b32_e32 v3, 4, v0
	v_and_b32_e32 v3, 60, v3
	ds_write_b32 v3, v2 offset:32
.LBB944_13:
	s_or_b64 exec, exec, s[14:15]
	v_and_b32_e32 v2, 7, v0
	v_lshlrev_b32_e32 v34, 2, v2
	s_waitcnt lgkmcnt(0)
	s_barrier
	ds_read_b32 v2, v34 offset:32
	s_load_dwordx2 s[14:15], s[4:5], 0x18
	s_waitcnt lgkmcnt(0)
	v_mov_b32_dpp v3, v2 quad_perm:[1,0,3,2] row_mask:0xf bank_mask:0xf
	v_add_f32_e32 v2, v2, v3
	s_nop 1
	v_mov_b32_dpp v3, v2 quad_perm:[2,3,0,1] row_mask:0xf bank_mask:0xf
	v_add_f32_e32 v2, v2, v3
	s_nop 1
	v_mov_b32_dpp v3, v2 row_half_mirror row_mask:0xf bank_mask:0xf
	s_and_saveexec_b64 s[26:27], s[0:1]
	s_cbranch_execnz .LBB944_18
; %bb.14:
	s_or_b64 exec, exec, s[26:27]
	s_mov_b64 s[2:3], -1
	s_and_b64 vcc, exec, s[22:23]
	s_cbranch_vccnz .LBB944_19
.LBB944_15:
	s_andn2_b64 vcc, exec, s[2:3]
	s_cbranch_vccz .LBB944_22
.LBB944_16:
	s_cmp_lt_i32 s16, 1
	s_cbranch_scc0 .LBB944_25
.LBB944_17:
	s_endpgm
.LBB944_18:
	v_add_f32_e32 v2, v2, v3
	v_cvt_f32_u32_e32 v3, s7
	s_waitcnt vmcnt(1)
	v_cvt_f32_u32_sdwa v17, v76 dst_sel:DWORD dst_unused:UNUSED_PAD src0_sel:WORD_1
	v_cvt_f32_u32_sdwa v16, v76 dst_sel:DWORD dst_unused:UNUSED_PAD src0_sel:WORD_0
	v_cvt_f32_u32_sdwa v21, v77 dst_sel:DWORD dst_unused:UNUSED_PAD src0_sel:WORD_1
	v_div_scale_f32 v6, s[28:29], v3, v3, v2
	v_rcp_f32_e32 v7, v6
	v_cvt_f32_u32_sdwa v20, v77 dst_sel:DWORD dst_unused:UNUSED_PAD src0_sel:WORD_0
	s_waitcnt vmcnt(0)
	v_cvt_f32_u32_sdwa v25, v73 dst_sel:DWORD dst_unused:UNUSED_PAD src0_sel:WORD_1
	v_cvt_f32_u32_sdwa v24, v73 dst_sel:DWORD dst_unused:UNUSED_PAD src0_sel:WORD_0
	v_fma_f32 v8, -v6, v7, 1.0
	v_fmac_f32_e32 v7, v8, v7
	v_div_scale_f32 v8, vcc, v2, v3, v2
	v_mul_f32_e32 v9, v8, v7
	v_fma_f32 v10, -v6, v9, v8
	v_fmac_f32_e32 v9, v10, v7
	v_fma_f32 v6, -v6, v9, v8
	v_div_fmas_f32 v6, v6, v7, v9
	v_div_fixup_f32 v2, v6, v3, v2
	v_mov_b32_e32 v3, s13
	v_mov_b32_e32 v6, s12
	v_cndmask_b32_e64 v3, v3, v6, s[2:3]
	v_add_f32_e32 v2, v3, v2
	s_mov_b32 s2, 0x800000
	v_mul_f32_e32 v3, 0x4b800000, v2
	v_cmp_gt_f32_e32 vcc, s2, v2
	v_cndmask_b32_e32 v2, v2, v3, vcc
	v_rsq_f32_e32 v2, v2
	v_cvt_f32_u32_sdwa v27, v74 dst_sel:DWORD dst_unused:UNUSED_PAD src0_sel:WORD_1
	v_cvt_f32_u32_sdwa v26, v74 dst_sel:DWORD dst_unused:UNUSED_PAD src0_sel:WORD_0
	v_cvt_f32_u32_sdwa v29, v75 dst_sel:DWORD dst_unused:UNUSED_PAD src0_sel:WORD_1
	v_mul_f32_e32 v3, 0x45800000, v2
	v_cndmask_b32_e32 v2, v2, v3, vcc
	v_mov_b32_e32 v3, v2
	;;#ASMSTART
	v_pk_mul_f32 v[6:7], v[18:19], v[2:3]
	;;#ASMEND
	;;#ASMSTART
	v_pk_mul_f32 v[4:5], v[4:5], v[2:3]
	;;#ASMEND
	;; [unrolled: 3-line block ×10, first 2 shown]
	v_cvt_f32_u32_sdwa v7, v78 dst_sel:DWORD dst_unused:UNUSED_PAD src0_sel:WORD_1
	v_cvt_f32_u32_sdwa v6, v78 dst_sel:DWORD dst_unused:UNUSED_PAD src0_sel:WORD_0
	v_cvt_f32_u32_sdwa v17, v79 dst_sel:DWORD dst_unused:UNUSED_PAD src0_sel:WORD_1
	v_cvt_f32_u32_sdwa v16, v79 dst_sel:DWORD dst_unused:UNUSED_PAD src0_sel:WORD_0
	;; [unrolled: 2-line block ×3, first 2 shown]
	v_cvt_f32_u32_sdwa v28, v75 dst_sel:DWORD dst_unused:UNUSED_PAD src0_sel:WORD_0
	;;#ASMSTART
	v_pk_mul_f32 v[54:55], v[8:9], v[6:7]
	;;#ASMEND
	;;#ASMSTART
	v_pk_mul_f32 v[36:37], v[10:11], v[16:17]
	;;#ASMEND
	;; [unrolled: 3-line block ×6, first 2 shown]
	s_or_b64 exec, exec, s[26:27]
	s_mov_b64 s[2:3], -1
	s_and_b64 vcc, exec, s[22:23]
	s_cbranch_vccz .LBB944_15
.LBB944_19:
	s_and_saveexec_b64 s[2:3], s[0:1]
	s_cbranch_execz .LBB944_21
; %bb.20:
	s_mul_hi_i32 s23, s25, s6
	s_mul_i32 s22, s25, s6
	s_lshl_b64 s[22:23], s[22:23], 1
	s_add_u32 s28, s14, s22
	s_addc_u32 s7, s15, s23
	s_and_b32 s29, s7, 0xffff
	s_mov_b32 s7, 0x7060302
	s_mov_b32 s31, 0x20000
	v_perm_b32 v9, v37, v36, s7
	v_perm_b32 v8, v55, v54, s7
	;; [unrolled: 1-line block ×4, first 2 shown]
	v_lshlrev_b32_e32 v2, 5, v0
	buffer_store_dwordx4 v[6:9], v2, s[28:31], 0 offen
	;;#ASMSTART
	s_nop 0
	;;#ASMEND
	s_nop 0
	v_perm_b32 v9, v89, v88, s7
	v_perm_b32 v8, v33, v32, s7
	;; [unrolled: 1-line block ×4, first 2 shown]
	buffer_store_dwordx4 v[6:9], v2, s[28:31], 16 offen
	;;#ASMSTART
	s_nop 0
	;;#ASMEND
.LBB944_21:
	s_or_b64 exec, exec, s[2:3]
	s_cbranch_execnz .LBB944_16
.LBB944_22:
	s_and_saveexec_b64 s[2:3], s[0:1]
	s_cbranch_execz .LBB944_24
; %bb.23:
	s_load_dwordx2 s[0:1], s[4:5], 0x10
	s_mul_hi_i32 s23, s24, s6
	s_mul_i32 s22, s24, s6
	s_lshl_b64 s[22:23], s[22:23], 1
	s_mov_b32 s7, 0x7060302
	s_waitcnt lgkmcnt(0)
	s_add_u32 s28, s0, s22
	s_addc_u32 s0, s1, s23
	v_perm_b32 v7, v37, v36, s7
	v_perm_b32 v6, v55, v54, s7
	;; [unrolled: 1-line block ×4, first 2 shown]
	s_and_b32 s29, s0, 0xffff
	s_mov_b32 s31, 0x20000
	v_lshlrev_b32_e32 v8, 5, v0
	buffer_store_dwordx4 v[4:7], v8, s[28:31], 0 offen
	v_perm_b32 v3, v49, v48, s7
	v_perm_b32 v5, v89, v88, s7
	;; [unrolled: 1-line block ×4, first 2 shown]
	;;#ASMSTART
	s_nop 0
	;;#ASMEND
	buffer_store_dwordx4 v[2:5], v8, s[28:31], 16 offen
	;;#ASMSTART
	s_nop 0
	;;#ASMEND
.LBB944_24:
	s_or_b64 exec, exec, s[2:3]
	s_cmp_lt_i32 s16, 1
	s_cbranch_scc1 .LBB944_17
.LBB944_25:
	s_load_dword s0, s[4:5], 0x94
	s_waitcnt lgkmcnt(0)
	s_cmp_lg_u32 s0, 1
	s_cbranch_scc1 .LBB944_17
; %bb.26:
	s_lshl_b32 s0, s16, 1
	s_add_i32 s0, s0, 2
	v_cmp_gt_u32_e32 vcc, s16, v1
	s_and_b32 s22, s0, -4
	v_mov_b32_e32 v18, 0
	v_lshlrev_b32_e32 v1, 5, v0
	v_mov_b32_e32 v14, 0
	v_mov_b32_e32 v15, 0
	;; [unrolled: 1-line block ×16, first 2 shown]
	s_barrier
	s_and_saveexec_b64 s[0:1], vcc
	s_cbranch_execz .LBB944_28
; %bb.27:
	s_mul_hi_i32 s3, s18, s6
	s_mul_i32 s2, s18, s6
	s_and_b32 s21, s21, 0xffff
	s_lshl_b64 s[2:3], s[2:3], 1
	s_add_u32 s28, s10, s2
	s_mov_b32 s23, 0x20000
	s_addc_u32 s2, s11, s3
	s_and_b32 s29, s2, 0xffff
	s_mov_b32 s30, s22
	s_mov_b32 s31, s23
	buffer_load_dwordx4 v[14:17], v1, s[28:31], 0 offen
	buffer_load_dwordx4 v[10:13], v1, s[28:31], 16 offen
	;; [unrolled: 1-line block ×4, first 2 shown]
.LBB944_28:
	s_or_b64 exec, exec, s[0:1]
	v_mov_b32_e32 v19, 0
	v_mov_b32_e32 v32, 0
	;; [unrolled: 1-line block ×15, first 2 shown]
	s_and_saveexec_b64 s[0:1], vcc
	s_cbranch_execz .LBB944_30
; %bb.29:
	s_waitcnt vmcnt(3)
	v_cvt_f32_u32_sdwa v18, v14 dst_sel:DWORD dst_unused:UNUSED_PAD src0_sel:WORD_0
	v_cvt_f32_u32_sdwa v19, v14 dst_sel:DWORD dst_unused:UNUSED_PAD src0_sel:WORD_1
	v_cvt_f32_u32_sdwa v32, v15 dst_sel:DWORD dst_unused:UNUSED_PAD src0_sel:WORD_0
	v_cvt_f32_u32_sdwa v33, v15 dst_sel:DWORD dst_unused:UNUSED_PAD src0_sel:WORD_1
	v_cvt_f32_u32_sdwa v30, v16 dst_sel:DWORD dst_unused:UNUSED_PAD src0_sel:WORD_0
	v_cvt_f32_u32_sdwa v31, v16 dst_sel:DWORD dst_unused:UNUSED_PAD src0_sel:WORD_1
	v_cvt_f32_u32_sdwa v28, v17 dst_sel:DWORD dst_unused:UNUSED_PAD src0_sel:WORD_0
	v_cvt_f32_u32_sdwa v29, v17 dst_sel:DWORD dst_unused:UNUSED_PAD src0_sel:WORD_1
	s_waitcnt vmcnt(2)
	v_cvt_f32_u32_sdwa v26, v10 dst_sel:DWORD dst_unused:UNUSED_PAD src0_sel:WORD_0
	v_cvt_f32_u32_sdwa v27, v10 dst_sel:DWORD dst_unused:UNUSED_PAD src0_sel:WORD_1
	v_cvt_f32_u32_sdwa v24, v11 dst_sel:DWORD dst_unused:UNUSED_PAD src0_sel:WORD_0
	v_cvt_f32_u32_sdwa v25, v11 dst_sel:DWORD dst_unused:UNUSED_PAD src0_sel:WORD_1
	v_cvt_f32_u32_sdwa v22, v12 dst_sel:DWORD dst_unused:UNUSED_PAD src0_sel:WORD_0
	v_cvt_f32_u32_sdwa v23, v12 dst_sel:DWORD dst_unused:UNUSED_PAD src0_sel:WORD_1
	v_cvt_f32_u32_sdwa v20, v13 dst_sel:DWORD dst_unused:UNUSED_PAD src0_sel:WORD_0
	v_cvt_f32_u32_sdwa v21, v13 dst_sel:DWORD dst_unused:UNUSED_PAD src0_sel:WORD_1
.LBB944_30:
	s_or_b64 exec, exec, s[0:1]
	s_waitcnt vmcnt(2)
	v_mul_f32_e32 v10, v19, v19
	v_fmac_f32_e32 v10, v18, v18
	v_fmac_f32_e32 v10, v32, v32
	v_fmac_f32_e32 v10, v33, v33
	v_fmac_f32_e32 v10, v30, v30
	v_fmac_f32_e32 v10, v31, v31
	v_fmac_f32_e32 v10, v28, v28
	v_fmac_f32_e32 v10, v29, v29
	v_fmac_f32_e32 v10, v26, v26
	v_fmac_f32_e32 v10, v27, v27
	v_fmac_f32_e32 v10, v24, v24
	v_fmac_f32_e32 v10, v25, v25
	v_fmac_f32_e32 v10, v22, v22
	v_fmac_f32_e32 v10, v23, v23
	v_fmac_f32_e32 v10, v20, v20
	v_fmac_f32_e32 v10, v21, v21
	s_nop 1
	v_mov_b32_dpp v11, v10 quad_perm:[1,0,3,2] row_mask:0xf bank_mask:0xf
	v_add_f32_e32 v10, v10, v11
	s_nop 1
	v_mov_b32_dpp v11, v10 quad_perm:[2,3,0,1] row_mask:0xf bank_mask:0xf
	v_add_f32_e32 v10, v10, v11
	s_nop 1
	v_mov_b32_dpp v11, v10 row_half_mirror row_mask:0xf bank_mask:0xf
	v_add_f32_e32 v10, v10, v11
	s_nop 1
	v_mov_b32_dpp v11, v10 row_mirror row_mask:0xf bank_mask:0xf
	v_add_f32_e32 v10, v10, v11
	s_nop 1
	v_mov_b32_dpp v11, v10 row_bcast:15 row_mask:0xf bank_mask:0xf
	v_add_f32_e32 v10, v10, v11
	s_nop 1
	v_mov_b32_dpp v11, v10 row_bcast:31 row_mask:0xf bank_mask:0xf
	s_and_saveexec_b64 s[0:1], s[8:9]
	s_cbranch_execz .LBB944_32
; %bb.31:
	v_lshrrev_b32_e32 v0, 4, v0
	v_add_f32_e32 v10, v10, v11
	v_and_b32_e32 v0, 60, v0
	ds_write_b32 v0, v10
.LBB944_32:
	s_or_b64 exec, exec, s[0:1]
	s_waitcnt lgkmcnt(0)
	s_barrier
	ds_read_b32 v0, v34
	s_waitcnt lgkmcnt(0)
	s_nop 0
	v_mov_b32_dpp v10, v0 quad_perm:[1,0,3,2] row_mask:0xf bank_mask:0xf
	v_add_f32_e32 v0, v0, v10
	s_nop 1
	v_mov_b32_dpp v10, v0 quad_perm:[2,3,0,1] row_mask:0xf bank_mask:0xf
	v_add_f32_e32 v0, v0, v10
	s_nop 1
	v_mov_b32_dpp v10, v0 row_half_mirror row_mask:0xf bank_mask:0xf
	s_and_saveexec_b64 s[0:1], vcc
	s_cbranch_execz .LBB944_17
; %bb.33:
	v_cvt_f32_u32_e32 v11, s16
	v_add_f32_e32 v0, v0, v10
	s_mov_b32 s23, 0x20000
	v_div_scale_f32 v10, s[0:1], v11, v11, v0
	v_rcp_f32_e32 v12, v10
	v_div_scale_f32 v13, vcc, v0, v11, v0
	s_mov_b32 s0, 0x800000
	v_fma_f32 v14, -v10, v12, 1.0
	v_fmac_f32_e32 v12, v14, v12
	v_mul_f32_e32 v14, v13, v12
	v_fma_f32 v15, -v10, v14, v13
	v_fmac_f32_e32 v14, v15, v12
	v_fma_f32 v10, -v10, v14, v13
	v_div_fmas_f32 v10, v10, v12, v14
	v_div_fixup_f32 v0, v10, v11, v0
	v_add_f32_e32 v0, s13, v0
	v_mul_f32_e32 v10, 0x4b800000, v0
	v_cmp_gt_f32_e32 vcc, s0, v0
	v_cndmask_b32_e32 v0, v0, v10, vcc
	v_rsq_f32_e32 v0, v0
	s_mul_hi_i32 s1, s25, s6
	s_mul_i32 s0, s25, s6
	s_lshl_b64 s[0:1], s[0:1], 1
	v_mul_f32_e32 v10, 0x45800000, v0
	v_cndmask_b32_e32 v10, v0, v10, vcc
	v_mov_b32_e32 v11, v10
	s_add_u32 s20, s14, s0
	;;#ASMSTART
	v_pk_mul_f32 v[12:13], v[18:19], v[10:11]
	;;#ASMEND
	;;#ASMSTART
	v_pk_mul_f32 v[14:15], v[32:33], v[10:11]
	;;#ASMEND
	;; [unrolled: 3-line block ×8, first 2 shown]
	s_waitcnt vmcnt(1)
	v_cvt_f32_u32_sdwa v21, v6 dst_sel:DWORD dst_unused:UNUSED_PAD src0_sel:WORD_1
	v_cvt_f32_u32_sdwa v20, v6 dst_sel:DWORD dst_unused:UNUSED_PAD src0_sel:WORD_0
	v_cvt_f32_u32_sdwa v29, v7 dst_sel:DWORD dst_unused:UNUSED_PAD src0_sel:WORD_1
	v_cvt_f32_u32_sdwa v28, v7 dst_sel:DWORD dst_unused:UNUSED_PAD src0_sel:WORD_0
	;; [unrolled: 2-line block ×3, first 2 shown]
	s_addc_u32 s0, s15, s1
	v_cvt_f32_u32_sdwa v31, v9 dst_sel:DWORD dst_unused:UNUSED_PAD src0_sel:WORD_1
	v_cvt_f32_u32_sdwa v30, v9 dst_sel:DWORD dst_unused:UNUSED_PAD src0_sel:WORD_0
	;;#ASMSTART
	v_pk_mul_f32 v[8:9], v[12:13], v[20:21]
	;;#ASMEND
	;;#ASMSTART
	v_pk_mul_f32 v[12:13], v[14:15], v[28:29]
	;;#ASMEND
	;; [unrolled: 3-line block ×4, first 2 shown]
	s_waitcnt vmcnt(0)
	v_cvt_f32_u32_sdwa v17, v2 dst_sel:DWORD dst_unused:UNUSED_PAD src0_sel:WORD_1
	v_cvt_f32_u32_sdwa v16, v2 dst_sel:DWORD dst_unused:UNUSED_PAD src0_sel:WORD_0
	v_cvt_f32_u32_sdwa v19, v3 dst_sel:DWORD dst_unused:UNUSED_PAD src0_sel:WORD_1
	v_cvt_f32_u32_sdwa v18, v3 dst_sel:DWORD dst_unused:UNUSED_PAD src0_sel:WORD_0
	;; [unrolled: 2-line block ×3, first 2 shown]
	s_and_b32 s21, s0, 0xffff
	s_mov_b32 s0, 0x7060302
	v_cvt_f32_u32_sdwa v21, v5 dst_sel:DWORD dst_unused:UNUSED_PAD src0_sel:WORD_1
	v_cvt_f32_u32_sdwa v20, v5 dst_sel:DWORD dst_unused:UNUSED_PAD src0_sel:WORD_0
	;;#ASMSTART
	v_pk_mul_f32 v[16:17], v[26:27], v[16:17]
	;;#ASMEND
	;;#ASMSTART
	v_pk_mul_f32 v[18:19], v[24:25], v[18:19]
	;;#ASMEND
	;; [unrolled: 3-line block ×3, first 2 shown]
	v_perm_b32 v2, v9, v8, s0
	v_perm_b32 v3, v13, v12, s0
	;; [unrolled: 1-line block ×4, first 2 shown]
	;;#ASMSTART
	v_pk_mul_f32 v[10:11], v[10:11], v[20:21]
	;;#ASMEND
	buffer_store_dwordx4 v[2:5], v1, s[20:23], 0 offen
	;;#ASMSTART
	s_nop 0
	;;#ASMEND
	s_nop 0
	v_perm_b32 v2, v17, v16, s0
	v_perm_b32 v3, v19, v18, s0
	;; [unrolled: 1-line block ×4, first 2 shown]
	buffer_store_dwordx4 v[2:5], v1, s[20:23], 16 offen
	;;#ASMSTART
	s_nop 0
	;;#ASMEND
	s_endpgm
	.section	.rodata,"a",@progbits
	.p2align	6, 0x0
	.amdhsa_kernel _ZN5aiter35fused_qk_rmsnorm_group_quant_kernelItN4opus5fp4_tELi512ELi16ELi4ELb1ELb1ELb0ELb1ELb0ELb0EEEvPT0_PvPT_S7_S7_PKS6_S9_S9_S9_S9_ffiiiiiiiiiiiii
		.amdhsa_group_segment_fixed_size 64
		.amdhsa_private_segment_fixed_size 0
		.amdhsa_kernarg_size 400
		.amdhsa_user_sgpr_count 6
		.amdhsa_user_sgpr_private_segment_buffer 1
		.amdhsa_user_sgpr_dispatch_ptr 0
		.amdhsa_user_sgpr_queue_ptr 0
		.amdhsa_user_sgpr_kernarg_segment_ptr 1
		.amdhsa_user_sgpr_dispatch_id 0
		.amdhsa_user_sgpr_flat_scratch_init 0
		.amdhsa_user_sgpr_kernarg_preload_length 0
		.amdhsa_user_sgpr_kernarg_preload_offset 0
		.amdhsa_user_sgpr_private_segment_size 0
		.amdhsa_uses_dynamic_stack 0
		.amdhsa_system_sgpr_private_segment_wavefront_offset 0
		.amdhsa_system_sgpr_workgroup_id_x 1
		.amdhsa_system_sgpr_workgroup_id_y 1
		.amdhsa_system_sgpr_workgroup_id_z 0
		.amdhsa_system_sgpr_workgroup_info 0
		.amdhsa_system_vgpr_workitem_id 0
		.amdhsa_next_free_vgpr 90
		.amdhsa_next_free_sgpr 32
		.amdhsa_accum_offset 92
		.amdhsa_reserve_vcc 1
		.amdhsa_reserve_flat_scratch 0
		.amdhsa_float_round_mode_32 0
		.amdhsa_float_round_mode_16_64 0
		.amdhsa_float_denorm_mode_32 3
		.amdhsa_float_denorm_mode_16_64 3
		.amdhsa_dx10_clamp 1
		.amdhsa_ieee_mode 1
		.amdhsa_fp16_overflow 0
		.amdhsa_tg_split 0
		.amdhsa_exception_fp_ieee_invalid_op 0
		.amdhsa_exception_fp_denorm_src 0
		.amdhsa_exception_fp_ieee_div_zero 0
		.amdhsa_exception_fp_ieee_overflow 0
		.amdhsa_exception_fp_ieee_underflow 0
		.amdhsa_exception_fp_ieee_inexact 0
		.amdhsa_exception_int_div_zero 0
	.end_amdhsa_kernel
	.section	.text._ZN5aiter35fused_qk_rmsnorm_group_quant_kernelItN4opus5fp4_tELi512ELi16ELi4ELb1ELb1ELb0ELb1ELb0ELb0EEEvPT0_PvPT_S7_S7_PKS6_S9_S9_S9_S9_ffiiiiiiiiiiiii,"axG",@progbits,_ZN5aiter35fused_qk_rmsnorm_group_quant_kernelItN4opus5fp4_tELi512ELi16ELi4ELb1ELb1ELb0ELb1ELb0ELb0EEEvPT0_PvPT_S7_S7_PKS6_S9_S9_S9_S9_ffiiiiiiiiiiiii,comdat
.Lfunc_end944:
	.size	_ZN5aiter35fused_qk_rmsnorm_group_quant_kernelItN4opus5fp4_tELi512ELi16ELi4ELb1ELb1ELb0ELb1ELb0ELb0EEEvPT0_PvPT_S7_S7_PKS6_S9_S9_S9_S9_ffiiiiiiiiiiiii, .Lfunc_end944-_ZN5aiter35fused_qk_rmsnorm_group_quant_kernelItN4opus5fp4_tELi512ELi16ELi4ELb1ELb1ELb0ELb1ELb0ELb0EEEvPT0_PvPT_S7_S7_PKS6_S9_S9_S9_S9_ffiiiiiiiiiiiii
                                        ; -- End function
	.section	.AMDGPU.csdata,"",@progbits
; Kernel info:
; codeLenInByte = 3472
; NumSgprs: 36
; NumVgprs: 90
; NumAgprs: 0
; TotalNumVgprs: 90
; ScratchSize: 0
; MemoryBound: 0
; FloatMode: 240
; IeeeMode: 1
; LDSByteSize: 64 bytes/workgroup (compile time only)
; SGPRBlocks: 4
; VGPRBlocks: 11
; NumSGPRsForWavesPerEU: 36
; NumVGPRsForWavesPerEU: 90
; AccumOffset: 92
; Occupancy: 5
; WaveLimiterHint : 0
; COMPUTE_PGM_RSRC2:SCRATCH_EN: 0
; COMPUTE_PGM_RSRC2:USER_SGPR: 6
; COMPUTE_PGM_RSRC2:TRAP_HANDLER: 0
; COMPUTE_PGM_RSRC2:TGID_X_EN: 1
; COMPUTE_PGM_RSRC2:TGID_Y_EN: 1
; COMPUTE_PGM_RSRC2:TGID_Z_EN: 0
; COMPUTE_PGM_RSRC2:TIDIG_COMP_CNT: 0
; COMPUTE_PGM_RSRC3_GFX90A:ACCUM_OFFSET: 22
; COMPUTE_PGM_RSRC3_GFX90A:TG_SPLIT: 0
	.section	.text._ZN5aiter35fused_qk_rmsnorm_group_quant_kernelIDF16_DB8_Li512ELi16ELi4ELb0ELb1ELb1ELb1ELb0ELb0EEEvPT0_PvPT_S6_S6_PKS5_S8_S8_S8_S8_ffiiiiiiiiiiiii,"axG",@progbits,_ZN5aiter35fused_qk_rmsnorm_group_quant_kernelIDF16_DB8_Li512ELi16ELi4ELb0ELb1ELb1ELb1ELb0ELb0EEEvPT0_PvPT_S6_S6_PKS5_S8_S8_S8_S8_ffiiiiiiiiiiiii,comdat
	.protected	_ZN5aiter35fused_qk_rmsnorm_group_quant_kernelIDF16_DB8_Li512ELi16ELi4ELb0ELb1ELb1ELb1ELb0ELb0EEEvPT0_PvPT_S6_S6_PKS5_S8_S8_S8_S8_ffiiiiiiiiiiiii ; -- Begin function _ZN5aiter35fused_qk_rmsnorm_group_quant_kernelIDF16_DB8_Li512ELi16ELi4ELb0ELb1ELb1ELb1ELb0ELb0EEEvPT0_PvPT_S6_S6_PKS5_S8_S8_S8_S8_ffiiiiiiiiiiiii
	.globl	_ZN5aiter35fused_qk_rmsnorm_group_quant_kernelIDF16_DB8_Li512ELi16ELi4ELb0ELb1ELb1ELb1ELb0ELb0EEEvPT0_PvPT_S6_S6_PKS5_S8_S8_S8_S8_ffiiiiiiiiiiiii
	.p2align	8
	.type	_ZN5aiter35fused_qk_rmsnorm_group_quant_kernelIDF16_DB8_Li512ELi16ELi4ELb0ELb1ELb1ELb1ELb0ELb0EEEvPT0_PvPT_S6_S6_PKS5_S8_S8_S8_S8_ffiiiiiiiiiiiii,@function
_ZN5aiter35fused_qk_rmsnorm_group_quant_kernelIDF16_DB8_Li512ELi16ELi4ELb0ELb1ELb1ELb1ELb0ELb0EEEvPT0_PvPT_S6_S6_PKS5_S8_S8_S8_S8_ffiiiiiiiiiiiii: ; @_ZN5aiter35fused_qk_rmsnorm_group_quant_kernelIDF16_DB8_Li512ELi16ELi4ELb0ELb1ELb1ELb1ELb0ELb0EEEvPT0_PvPT_S6_S6_PKS5_S8_S8_S8_S8_ffiiiiiiiiiiiii
; %bb.0:
	s_load_dwordx4 s[12:15], s[4:5], 0x50
	s_waitcnt lgkmcnt(0)
	s_cmp_ge_i32 s6, s14
	s_cbranch_scc1 .LBB945_12
; %bb.1:
	s_load_dwordx2 s[24:25], s[4:5], 0x30
	s_load_dwordx2 s[8:9], s[4:5], 0x48
	s_load_dwordx4 s[16:19], s[4:5], 0x60
	s_cmp_lg_u32 s7, 0
	s_cselect_b64 s[10:11], -1, 0
	s_cmp_eq_u32 s7, 0
	s_cselect_b64 vcc, -1, 0
	s_and_b64 s[0:1], vcc, exec
	s_waitcnt lgkmcnt(0)
	s_cselect_b32 s7, s15, s16
	s_add_i32 s0, s7, 1
	s_lshr_b32 s1, s0, 31
	s_add_i32 s0, s0, s1
	s_lshl_b32 s0, s0, 1
	v_lshlrev_b32_e32 v1, 4, v0
	s_and_b32 s22, s0, -4
	v_cmp_gt_i32_e64 s[2:3], s7, v1
	v_mov_b32_e32 v18, 0
	v_mov_b32_e32 v6, 0
	v_mov_b32_e32 v7, 0
	v_mov_b32_e32 v8, 0
	v_mov_b32_e32 v9, 0
	v_mov_b32_e32 v2, 0
	v_mov_b32_e32 v3, 0
	v_mov_b32_e32 v4, 0
	v_mov_b32_e32 v5, 0
	v_mov_b32_e32 v14, 0
	v_mov_b32_e32 v15, 0
	v_mov_b32_e32 v16, 0
	v_mov_b32_e32 v17, 0
	v_mov_b32_e32 v10, 0
	v_mov_b32_e32 v11, 0
	v_mov_b32_e32 v12, 0
	v_mov_b32_e32 v13, 0
	s_and_saveexec_b64 s[0:1], s[2:3]
	s_cbranch_execz .LBB945_3
; %bb.2:
	s_load_dwordx2 s[14:15], s[4:5], 0x28
	s_load_dwordx2 s[20:21], s[4:5], 0x40
	s_and_b64 s[26:27], vcc, exec
	s_cselect_b32 s17, s17, s18
	s_mov_b32 s30, s22
	s_waitcnt lgkmcnt(0)
	s_cselect_b32 s19, s15, s25
	s_cselect_b32 s23, s14, s24
	s_mul_hi_i32 s15, s17, s6
	s_mul_i32 s14, s17, s6
	s_lshl_b64 s[14:15], s[14:15], 1
	s_add_u32 s28, s23, s14
	s_addc_u32 s17, s19, s15
	s_and_b64 s[14:15], vcc, exec
	s_mov_b32 s23, 0x20000
	s_cselect_b32 s20, s20, s8
	s_cselect_b32 s14, s21, s9
	s_and_b32 s29, s17, 0xffff
	s_mov_b32 s31, s23
	v_lshlrev_b32_e32 v19, 5, v0
	s_and_b32 s21, s14, 0xffff
	buffer_load_dwordx4 v[14:17], v19, s[28:31], 0 offen
	buffer_load_dwordx4 v[10:13], v19, s[28:31], 16 offen
	;; [unrolled: 1-line block ×4, first 2 shown]
.LBB945_3:
	s_or_b64 exec, exec, s[0:1]
	v_mov_b32_e32 v19, 0
	v_mov_b32_e32 v22, 0
	;; [unrolled: 1-line block ×15, first 2 shown]
	s_and_saveexec_b64 s[0:1], s[2:3]
	s_cbranch_execz .LBB945_5
; %bb.4:
	s_waitcnt vmcnt(3)
	v_cvt_f32_f16_sdwa v19, v14 dst_sel:DWORD dst_unused:UNUSED_PAD src0_sel:WORD_1
	v_cvt_f32_f16_e32 v18, v14
	v_cvt_f32_f16_sdwa v23, v15 dst_sel:DWORD dst_unused:UNUSED_PAD src0_sel:WORD_1
	v_cvt_f32_f16_e32 v22, v15
	;; [unrolled: 2-line block ×4, first 2 shown]
	s_waitcnt vmcnt(2)
	v_cvt_f32_f16_sdwa v21, v10 dst_sel:DWORD dst_unused:UNUSED_PAD src0_sel:WORD_1
	v_cvt_f32_f16_e32 v20, v10
	v_cvt_f32_f16_sdwa v29, v11 dst_sel:DWORD dst_unused:UNUSED_PAD src0_sel:WORD_1
	v_cvt_f32_f16_e32 v28, v11
	;; [unrolled: 2-line block ×4, first 2 shown]
.LBB945_5:
	s_or_b64 exec, exec, s[0:1]
	s_waitcnt vmcnt(2)
	v_mul_f32_e32 v10, v19, v19
	v_fmac_f32_e32 v10, v18, v18
	v_fmac_f32_e32 v10, v22, v22
	;; [unrolled: 1-line block ×15, first 2 shown]
	v_and_b32_e32 v12, 63, v0
	v_cmp_eq_u32_e64 s[0:1], 63, v12
	v_mov_b32_dpp v11, v10 quad_perm:[1,0,3,2] row_mask:0xf bank_mask:0xf
	v_add_f32_e32 v10, v10, v11
	s_nop 1
	v_mov_b32_dpp v11, v10 quad_perm:[2,3,0,1] row_mask:0xf bank_mask:0xf
	v_add_f32_e32 v10, v10, v11
	s_nop 1
	v_mov_b32_dpp v11, v10 row_half_mirror row_mask:0xf bank_mask:0xf
	v_add_f32_e32 v10, v10, v11
	s_nop 1
	v_mov_b32_dpp v11, v10 row_mirror row_mask:0xf bank_mask:0xf
	v_add_f32_e32 v10, v10, v11
	s_nop 1
	v_mov_b32_dpp v11, v10 row_bcast:15 row_mask:0xf bank_mask:0xf
	v_add_f32_e32 v10, v10, v11
	s_nop 1
	v_mov_b32_dpp v11, v10 row_bcast:31 row_mask:0xf bank_mask:0xf
	s_and_saveexec_b64 s[14:15], s[0:1]
	s_cbranch_execz .LBB945_7
; %bb.6:
	v_add_f32_e32 v10, v10, v11
	v_lshrrev_b32_e32 v11, 4, v0
	v_and_b32_e32 v11, 60, v11
	ds_write_b32 v11, v10 offset:32
.LBB945_7:
	s_or_b64 exec, exec, s[14:15]
	v_and_b32_e32 v10, 7, v0
	v_lshlrev_b32_e32 v34, 2, v10
	s_waitcnt lgkmcnt(0)
	s_barrier
	ds_read_b32 v10, v34 offset:32
	s_load_dwordx2 s[14:15], s[4:5], 0x18
	s_waitcnt lgkmcnt(0)
	v_mov_b32_dpp v11, v10 quad_perm:[1,0,3,2] row_mask:0xf bank_mask:0xf
	v_add_f32_e32 v10, v10, v11
	s_nop 1
	v_mov_b32_dpp v11, v10 quad_perm:[2,3,0,1] row_mask:0xf bank_mask:0xf
	v_add_f32_e32 v10, v10, v11
	s_nop 1
	v_mov_b32_dpp v11, v10 row_half_mirror row_mask:0xf bank_mask:0xf
	s_and_saveexec_b64 s[20:21], s[2:3]
	s_cbranch_execz .LBB945_9
; %bb.8:
	v_cvt_f32_u32_e32 v12, s7
	v_add_f32_e32 v10, v10, v11
	v_mov_b32_e32 v14, s13
	v_mov_b32_e32 v15, s12
	v_div_scale_f32 v11, s[26:27], v12, v12, v10
	v_rcp_f32_e32 v13, v11
	v_cndmask_b32_e32 v14, v14, v15, vcc
	s_mov_b32 s7, 0x800000
	v_fma_f32 v15, -v11, v13, 1.0
	v_fmac_f32_e32 v13, v15, v13
	v_div_scale_f32 v15, vcc, v10, v12, v10
	v_mul_f32_e32 v16, v15, v13
	v_fma_f32 v17, -v11, v16, v15
	v_fmac_f32_e32 v16, v17, v13
	v_fma_f32 v11, -v11, v16, v15
	v_div_fmas_f32 v11, v11, v13, v16
	v_div_fixup_f32 v10, v11, v12, v10
	v_add_f32_e32 v10, v14, v10
	v_mul_f32_e32 v11, 0x4b800000, v10
	v_cmp_gt_f32_e32 vcc, s7, v10
	v_cndmask_b32_e32 v10, v10, v11, vcc
	v_rsq_f32_e32 v10, v10
	v_mul_f32_e32 v11, 0x45800000, v10
	v_cndmask_b32_e32 v10, v10, v11, vcc
	v_mov_b32_e32 v11, v10
	;;#ASMSTART
	v_pk_mul_f32 v[12:13], v[18:19], v[10:11]
	;;#ASMEND
	s_waitcnt vmcnt(1)
	v_cvt_f32_f16_sdwa v19, v6 dst_sel:DWORD dst_unused:UNUSED_PAD src0_sel:WORD_1
	v_cvt_f32_f16_e32 v18, v6
	;;#ASMSTART
	v_pk_mul_f32 v[14:15], v[22:23], v[10:11]
	;;#ASMEND
	v_cvt_f32_f16_sdwa v23, v7 dst_sel:DWORD dst_unused:UNUSED_PAD src0_sel:WORD_1
	v_cvt_f32_f16_e32 v22, v7
	;;#ASMSTART
	v_pk_mul_f32 v[16:17], v[24:25], v[10:11]
	;;#ASMEND
	;;#ASMSTART
	v_pk_mul_f32 v[32:33], v[32:33], v[10:11]
	;;#ASMEND
	;; [unrolled: 3-line block ×6, first 2 shown]
	v_pk_add_f32 v[10:11], v[18:19], 1.0 op_sel_hi:[1,0]
	;;#ASMSTART
	v_pk_mul_f32 v[18:19], v[12:13], v[10:11]
	;;#ASMEND
	v_cvt_f32_f16_sdwa v13, v8 dst_sel:DWORD dst_unused:UNUSED_PAD src0_sel:WORD_1
	v_cvt_f32_f16_e32 v12, v8
	v_cvt_f32_f16_sdwa v27, v9 dst_sel:DWORD dst_unused:UNUSED_PAD src0_sel:WORD_1
	v_cvt_f32_f16_e32 v26, v9
	v_pk_add_f32 v[10:11], v[22:23], 1.0 op_sel_hi:[1,0]
	;;#ASMSTART
	v_pk_mul_f32 v[22:23], v[14:15], v[10:11]
	;;#ASMEND
	s_waitcnt vmcnt(0)
	v_cvt_f32_f16_sdwa v11, v2 dst_sel:DWORD dst_unused:UNUSED_PAD src0_sel:WORD_1
	v_cvt_f32_f16_e32 v10, v2
	v_pk_add_f32 v[8:9], v[12:13], 1.0 op_sel_hi:[1,0]
	;;#ASMSTART
	v_pk_mul_f32 v[24:25], v[16:17], v[8:9]
	;;#ASMEND
	v_pk_add_f32 v[8:9], v[26:27], 1.0 op_sel_hi:[1,0]
	v_cvt_f32_f16_sdwa v13, v3 dst_sel:DWORD dst_unused:UNUSED_PAD src0_sel:WORD_1
	v_cvt_f32_f16_e32 v12, v3
	;;#ASMSTART
	v_pk_mul_f32 v[32:33], v[32:33], v[8:9]
	;;#ASMEND
	v_cvt_f32_f16_sdwa v9, v4 dst_sel:DWORD dst_unused:UNUSED_PAD src0_sel:WORD_1
	v_cvt_f32_f16_e32 v8, v4
	v_pk_add_f32 v[2:3], v[10:11], 1.0 op_sel_hi:[1,0]
	v_cvt_f32_f16_sdwa v11, v5 dst_sel:DWORD dst_unused:UNUSED_PAD src0_sel:WORD_1
	v_cvt_f32_f16_e32 v10, v5
	;;#ASMSTART
	v_pk_mul_f32 v[20:21], v[20:21], v[2:3]
	;;#ASMEND
	v_pk_add_f32 v[2:3], v[12:13], 1.0 op_sel_hi:[1,0]
	;;#ASMSTART
	v_pk_mul_f32 v[28:29], v[28:29], v[2:3]
	;;#ASMEND
	v_pk_add_f32 v[2:3], v[8:9], 1.0 op_sel_hi:[1,0]
	;; [unrolled: 4-line block ×3, first 2 shown]
	;;#ASMSTART
	v_pk_mul_f32 v[26:27], v[6:7], v[2:3]
	;;#ASMEND
.LBB945_9:
	s_or_b64 exec, exec, s[20:21]
	s_load_dwordx2 s[26:27], s[4:5], 0x7c
	s_mov_b64 s[20:21], -1
	s_and_b64 vcc, exec, s[10:11]
	s_cbranch_vccnz .LBB945_13
; %bb.10:
	s_andn2_b64 vcc, exec, s[20:21]
	s_cbranch_vccz .LBB945_16
.LBB945_11:
	s_cmp_lt_i32 s16, 1
	s_cbranch_scc0 .LBB945_19
.LBB945_12:
	s_endpgm
.LBB945_13:
	s_and_saveexec_b64 s[10:11], s[2:3]
	s_cbranch_execz .LBB945_15
; %bb.14:
	s_waitcnt lgkmcnt(0)
	s_mul_hi_i32 s21, s27, s6
	s_mul_i32 s20, s27, s6
	s_waitcnt vmcnt(0)
	v_cvt_f16_f32_e32 v2, v18
	v_cvt_f16_f32_e32 v3, v22
	;; [unrolled: 1-line block ×8, first 2 shown]
	s_lshl_b64 s[20:21], s[20:21], 1
	s_add_u32 s20, s14, s20
	s_addc_u32 s7, s15, s21
	s_and_b32 s21, s7, 0xffff
	s_mov_b32 s23, 0x20000
	v_pack_b32_f16 v5, v5, v6
	v_pack_b32_f16 v4, v4, v7
	;; [unrolled: 1-line block ×4, first 2 shown]
	v_lshlrev_b32_e32 v6, 5, v0
	buffer_store_dwordx4 v[2:5], v6, s[20:23], 0 offen
	v_cvt_f16_f32_e32 v7, v27
	v_cvt_f16_f32_e32 v2, v20
	;; [unrolled: 1-line block ×8, first 2 shown]
	v_pack_b32_f16 v5, v5, v7
	v_pack_b32_f16 v4, v4, v8
	;; [unrolled: 1-line block ×4, first 2 shown]
	;;#ASMSTART
	s_nop 0
	;;#ASMEND
	buffer_store_dwordx4 v[2:5], v6, s[20:23], 16 offen
	;;#ASMSTART
	s_nop 0
	;;#ASMEND
.LBB945_15:
	s_or_b64 exec, exec, s[10:11]
	s_cbranch_execnz .LBB945_11
.LBB945_16:
	s_and_saveexec_b64 s[10:11], s[2:3]
	s_cbranch_execz .LBB945_18
; %bb.17:
	s_load_dwordx2 s[2:3], s[4:5], 0x10
	s_waitcnt lgkmcnt(0)
	s_mul_hi_i32 s21, s26, s6
	s_mul_i32 s20, s26, s6
	s_waitcnt vmcnt(0)
	v_cvt_f16_f32_e32 v2, v18
	v_cvt_f16_f32_e32 v3, v22
	;; [unrolled: 1-line block ×8, first 2 shown]
	s_lshl_b64 s[20:21], s[20:21], 1
	s_add_u32 s20, s2, s20
	s_addc_u32 s2, s3, s21
	s_mov_b32 s23, 0x20000
	s_and_b32 s21, s2, 0xffff
	v_pack_b32_f16 v5, v5, v6
	v_pack_b32_f16 v4, v4, v7
	;; [unrolled: 1-line block ×4, first 2 shown]
	v_lshlrev_b32_e32 v6, 5, v0
	buffer_store_dwordx4 v[2:5], v6, s[20:23], 0 offen
	v_cvt_f16_f32_e32 v7, v27
	v_cvt_f16_f32_e32 v2, v20
	;; [unrolled: 1-line block ×8, first 2 shown]
	v_pack_b32_f16 v5, v5, v7
	v_pack_b32_f16 v4, v4, v8
	;; [unrolled: 1-line block ×4, first 2 shown]
	;;#ASMSTART
	s_nop 0
	;;#ASMEND
	buffer_store_dwordx4 v[2:5], v6, s[20:23], 16 offen
	;;#ASMSTART
	s_nop 0
	;;#ASMEND
.LBB945_18:
	s_or_b64 exec, exec, s[10:11]
	s_cmp_lt_i32 s16, 1
	s_cbranch_scc1 .LBB945_12
.LBB945_19:
	s_load_dword s2, s[4:5], 0x94
	s_waitcnt lgkmcnt(0)
	s_cmp_lg_u32 s2, 1
	s_cbranch_scc1 .LBB945_12
; %bb.20:
	s_lshl_b32 s2, s16, 1
	s_add_i32 s2, s2, 2
	v_cmp_gt_u32_e32 vcc, s16, v1
	s_and_b32 s10, s2, -4
	v_mov_b32_e32 v18, 0
	v_lshlrev_b32_e32 v1, 5, v0
	v_mov_b32_e32 v14, 0
	v_mov_b32_e32 v15, 0
	;; [unrolled: 1-line block ×8, first 2 shown]
	s_waitcnt vmcnt(1)
	v_mov_b32_e32 v6, 0
	v_mov_b32_e32 v7, 0
	;; [unrolled: 1-line block ×4, first 2 shown]
	s_waitcnt vmcnt(0)
	v_mov_b32_e32 v2, 0
	v_mov_b32_e32 v3, 0
	;; [unrolled: 1-line block ×4, first 2 shown]
	s_barrier
	s_and_saveexec_b64 s[2:3], vcc
	s_cbranch_execz .LBB945_22
; %bb.21:
	s_mul_hi_i32 s5, s18, s6
	s_mul_i32 s4, s18, s6
	s_and_b32 s9, s9, 0xffff
	s_lshl_b64 s[4:5], s[4:5], 1
	s_add_u32 s20, s24, s4
	s_mov_b32 s11, 0x20000
	s_addc_u32 s4, s25, s5
	s_and_b32 s21, s4, 0xffff
	s_mov_b32 s22, s10
	s_mov_b32 s23, s11
	buffer_load_dwordx4 v[14:17], v1, s[20:23], 0 offen
	buffer_load_dwordx4 v[10:13], v1, s[20:23], 16 offen
	;; [unrolled: 1-line block ×4, first 2 shown]
.LBB945_22:
	s_or_b64 exec, exec, s[2:3]
	v_mov_b32_e32 v19, 0
	v_mov_b32_e32 v32, 0
	;; [unrolled: 1-line block ×15, first 2 shown]
	s_and_saveexec_b64 s[2:3], vcc
	s_cbranch_execz .LBB945_24
; %bb.23:
	s_waitcnt vmcnt(3)
	v_cvt_f32_f16_sdwa v19, v14 dst_sel:DWORD dst_unused:UNUSED_PAD src0_sel:WORD_1
	v_cvt_f32_f16_e32 v18, v14
	v_cvt_f32_f16_sdwa v33, v15 dst_sel:DWORD dst_unused:UNUSED_PAD src0_sel:WORD_1
	v_cvt_f32_f16_e32 v32, v15
	;; [unrolled: 2-line block ×4, first 2 shown]
	s_waitcnt vmcnt(2)
	v_cvt_f32_f16_sdwa v27, v10 dst_sel:DWORD dst_unused:UNUSED_PAD src0_sel:WORD_1
	v_cvt_f32_f16_e32 v26, v10
	v_cvt_f32_f16_sdwa v25, v11 dst_sel:DWORD dst_unused:UNUSED_PAD src0_sel:WORD_1
	v_cvt_f32_f16_e32 v24, v11
	v_cvt_f32_f16_sdwa v23, v12 dst_sel:DWORD dst_unused:UNUSED_PAD src0_sel:WORD_1
	v_cvt_f32_f16_e32 v22, v12
	v_cvt_f32_f16_sdwa v21, v13 dst_sel:DWORD dst_unused:UNUSED_PAD src0_sel:WORD_1
	v_cvt_f32_f16_e32 v20, v13
.LBB945_24:
	s_or_b64 exec, exec, s[2:3]
	s_waitcnt vmcnt(2)
	v_mul_f32_e32 v10, v19, v19
	v_fmac_f32_e32 v10, v18, v18
	v_fmac_f32_e32 v10, v32, v32
	;; [unrolled: 1-line block ×15, first 2 shown]
	s_nop 1
	v_mov_b32_dpp v11, v10 quad_perm:[1,0,3,2] row_mask:0xf bank_mask:0xf
	v_add_f32_e32 v10, v10, v11
	s_nop 1
	v_mov_b32_dpp v11, v10 quad_perm:[2,3,0,1] row_mask:0xf bank_mask:0xf
	v_add_f32_e32 v10, v10, v11
	s_nop 1
	v_mov_b32_dpp v11, v10 row_half_mirror row_mask:0xf bank_mask:0xf
	v_add_f32_e32 v10, v10, v11
	s_nop 1
	v_mov_b32_dpp v11, v10 row_mirror row_mask:0xf bank_mask:0xf
	v_add_f32_e32 v10, v10, v11
	s_nop 1
	v_mov_b32_dpp v11, v10 row_bcast:15 row_mask:0xf bank_mask:0xf
	v_add_f32_e32 v10, v10, v11
	s_nop 1
	v_mov_b32_dpp v11, v10 row_bcast:31 row_mask:0xf bank_mask:0xf
	s_and_saveexec_b64 s[2:3], s[0:1]
	s_cbranch_execz .LBB945_26
; %bb.25:
	v_lshrrev_b32_e32 v0, 4, v0
	v_add_f32_e32 v10, v10, v11
	v_and_b32_e32 v0, 60, v0
	ds_write_b32 v0, v10
.LBB945_26:
	s_or_b64 exec, exec, s[2:3]
	s_waitcnt lgkmcnt(0)
	s_barrier
	ds_read_b32 v0, v34
	s_waitcnt lgkmcnt(0)
	s_nop 0
	v_mov_b32_dpp v10, v0 quad_perm:[1,0,3,2] row_mask:0xf bank_mask:0xf
	v_add_f32_e32 v0, v0, v10
	s_nop 1
	v_mov_b32_dpp v10, v0 quad_perm:[2,3,0,1] row_mask:0xf bank_mask:0xf
	v_add_f32_e32 v0, v0, v10
	s_nop 1
	v_mov_b32_dpp v10, v0 row_half_mirror row_mask:0xf bank_mask:0xf
	s_and_saveexec_b64 s[0:1], vcc
	s_cbranch_execz .LBB945_12
; %bb.27:
	v_cvt_f32_u32_e32 v11, s16
	v_add_f32_e32 v0, v0, v10
	s_mov_b32 s11, 0x20000
	v_div_scale_f32 v10, s[0:1], v11, v11, v0
	v_rcp_f32_e32 v12, v10
	v_div_scale_f32 v13, vcc, v0, v11, v0
	s_mov_b32 s0, 0x800000
	v_fma_f32 v14, -v10, v12, 1.0
	v_fmac_f32_e32 v12, v14, v12
	v_mul_f32_e32 v14, v13, v12
	v_fma_f32 v15, -v10, v14, v13
	v_fmac_f32_e32 v14, v15, v12
	v_fma_f32 v10, -v10, v14, v13
	v_div_fmas_f32 v10, v10, v12, v14
	v_div_fixup_f32 v0, v10, v11, v0
	v_add_f32_e32 v0, s13, v0
	v_mul_f32_e32 v10, 0x4b800000, v0
	v_cmp_gt_f32_e32 vcc, s0, v0
	v_cndmask_b32_e32 v0, v0, v10, vcc
	v_rsq_f32_e32 v0, v0
	s_mul_hi_i32 s1, s27, s6
	s_mul_i32 s0, s27, s6
	s_lshl_b64 s[0:1], s[0:1], 1
	v_mul_f32_e32 v10, 0x45800000, v0
	v_cndmask_b32_e32 v10, v0, v10, vcc
	v_mov_b32_e32 v11, v10
	;;#ASMSTART
	v_pk_mul_f32 v[12:13], v[18:19], v[10:11]
	;;#ASMEND
	;;#ASMSTART
	v_pk_mul_f32 v[14:15], v[32:33], v[10:11]
	;;#ASMEND
	;; [unrolled: 3-line block ×4, first 2 shown]
	s_waitcnt vmcnt(1)
	v_cvt_f32_f16_sdwa v29, v6 dst_sel:DWORD dst_unused:UNUSED_PAD src0_sel:WORD_1
	v_cvt_f32_f16_e32 v28, v6
	v_cvt_f32_f16_sdwa v31, v7 dst_sel:DWORD dst_unused:UNUSED_PAD src0_sel:WORD_1
	v_cvt_f32_f16_e32 v30, v7
	;;#ASMSTART
	v_pk_mul_f32 v[26:27], v[26:27], v[10:11]
	;;#ASMEND
	;;#ASMSTART
	v_pk_mul_f32 v[24:25], v[24:25], v[10:11]
	;;#ASMEND
	;; [unrolled: 3-line block ×4, first 2 shown]
	v_cvt_f32_f16_sdwa v21, v8 dst_sel:DWORD dst_unused:UNUSED_PAD src0_sel:WORD_1
	v_cvt_f32_f16_e32 v20, v8
	v_pk_add_f32 v[10:11], v[28:29], 1.0 op_sel_hi:[1,0]
	;;#ASMSTART
	v_pk_mul_f32 v[10:11], v[12:13], v[10:11]
	;;#ASMEND
	v_pk_add_f32 v[12:13], v[30:31], 1.0 op_sel_hi:[1,0]
	v_cvt_f32_f16_sdwa v29, v9 dst_sel:DWORD dst_unused:UNUSED_PAD src0_sel:WORD_1
	v_cvt_f32_f16_e32 v28, v9
	;;#ASMSTART
	v_pk_mul_f32 v[8:9], v[14:15], v[12:13]
	;;#ASMEND
	v_pk_add_f32 v[12:13], v[20:21], 1.0 op_sel_hi:[1,0]
	;;#ASMSTART
	v_pk_mul_f32 v[12:13], v[16:17], v[12:13]
	;;#ASMEND
	s_waitcnt vmcnt(0)
	v_cvt_f32_f16_sdwa v17, v2 dst_sel:DWORD dst_unused:UNUSED_PAD src0_sel:WORD_1
	v_cvt_f32_f16_e32 v16, v2
	v_cvt_f32_f16_sdwa v21, v3 dst_sel:DWORD dst_unused:UNUSED_PAD src0_sel:WORD_1
	v_cvt_f32_f16_e32 v20, v3
	v_pk_add_f32 v[14:15], v[28:29], 1.0 op_sel_hi:[1,0]
	;;#ASMSTART
	v_pk_mul_f32 v[2:3], v[18:19], v[14:15]
	;;#ASMEND
	v_cvt_f32_f16_sdwa v19, v4 dst_sel:DWORD dst_unused:UNUSED_PAD src0_sel:WORD_1
	v_cvt_f32_f16_e32 v18, v4
	v_pk_add_f32 v[14:15], v[16:17], 1.0 op_sel_hi:[1,0]
	v_pk_add_f32 v[16:17], v[20:21], 1.0 op_sel_hi:[1,0]
	v_cvt_f32_f16_sdwa v21, v5 dst_sel:DWORD dst_unused:UNUSED_PAD src0_sel:WORD_1
	v_cvt_f32_f16_e32 v20, v5
	v_pk_add_f32 v[4:5], v[18:19], 1.0 op_sel_hi:[1,0]
	;;#ASMSTART
	v_pk_mul_f32 v[14:15], v[26:27], v[14:15]
	;;#ASMEND
	;;#ASMSTART
	v_pk_mul_f32 v[16:17], v[24:25], v[16:17]
	;;#ASMEND
	;; [unrolled: 3-line block ×3, first 2 shown]
	v_pk_add_f32 v[4:5], v[20:21], 1.0 op_sel_hi:[1,0]
	;;#ASMSTART
	v_pk_mul_f32 v[6:7], v[6:7], v[4:5]
	;;#ASMEND
	v_cvt_f16_f32_e32 v0, v10
	v_cvt_f16_f32_e32 v4, v11
	v_cvt_f16_f32_e32 v5, v8
	v_cvt_f16_f32_e32 v8, v9
	v_cvt_f16_f32_e32 v9, v12
	v_cvt_f16_f32_e32 v10, v13
	v_cvt_f16_f32_e32 v11, v2
	v_cvt_f16_f32_e32 v12, v3
	s_add_u32 s8, s14, s0
	s_addc_u32 s0, s15, s1
	s_and_b32 s9, s0, 0xffff
	v_pack_b32_f16 v2, v0, v4
	v_pack_b32_f16 v3, v5, v8
	;; [unrolled: 1-line block ×4, first 2 shown]
	buffer_store_dwordx4 v[2:5], v1, s[8:11], 0 offen
	v_cvt_f16_f32_e32 v0, v14
	v_cvt_f16_f32_e32 v2, v15
	v_cvt_f16_f32_e32 v3, v16
	v_cvt_f16_f32_e32 v4, v17
	v_cvt_f16_f32_e32 v5, v18
	v_cvt_f16_f32_e32 v8, v19
	v_cvt_f16_f32_e32 v6, v6
	v_cvt_f16_f32_e32 v7, v7
	v_pack_b32_f16 v2, v0, v2
	v_pack_b32_f16 v3, v3, v4
	;; [unrolled: 1-line block ×4, first 2 shown]
	;;#ASMSTART
	s_nop 0
	;;#ASMEND
	buffer_store_dwordx4 v[2:5], v1, s[8:11], 16 offen
	;;#ASMSTART
	s_nop 0
	;;#ASMEND
	s_endpgm
	.section	.rodata,"a",@progbits
	.p2align	6, 0x0
	.amdhsa_kernel _ZN5aiter35fused_qk_rmsnorm_group_quant_kernelIDF16_DB8_Li512ELi16ELi4ELb0ELb1ELb1ELb1ELb0ELb0EEEvPT0_PvPT_S6_S6_PKS5_S8_S8_S8_S8_ffiiiiiiiiiiiii
		.amdhsa_group_segment_fixed_size 64
		.amdhsa_private_segment_fixed_size 0
		.amdhsa_kernarg_size 400
		.amdhsa_user_sgpr_count 6
		.amdhsa_user_sgpr_private_segment_buffer 1
		.amdhsa_user_sgpr_dispatch_ptr 0
		.amdhsa_user_sgpr_queue_ptr 0
		.amdhsa_user_sgpr_kernarg_segment_ptr 1
		.amdhsa_user_sgpr_dispatch_id 0
		.amdhsa_user_sgpr_flat_scratch_init 0
		.amdhsa_user_sgpr_kernarg_preload_length 0
		.amdhsa_user_sgpr_kernarg_preload_offset 0
		.amdhsa_user_sgpr_private_segment_size 0
		.amdhsa_uses_dynamic_stack 0
		.amdhsa_system_sgpr_private_segment_wavefront_offset 0
		.amdhsa_system_sgpr_workgroup_id_x 1
		.amdhsa_system_sgpr_workgroup_id_y 1
		.amdhsa_system_sgpr_workgroup_id_z 0
		.amdhsa_system_sgpr_workgroup_info 0
		.amdhsa_system_vgpr_workitem_id 0
		.amdhsa_next_free_vgpr 35
		.amdhsa_next_free_sgpr 32
		.amdhsa_accum_offset 36
		.amdhsa_reserve_vcc 1
		.amdhsa_reserve_flat_scratch 0
		.amdhsa_float_round_mode_32 0
		.amdhsa_float_round_mode_16_64 0
		.amdhsa_float_denorm_mode_32 3
		.amdhsa_float_denorm_mode_16_64 3
		.amdhsa_dx10_clamp 1
		.amdhsa_ieee_mode 1
		.amdhsa_fp16_overflow 0
		.amdhsa_tg_split 0
		.amdhsa_exception_fp_ieee_invalid_op 0
		.amdhsa_exception_fp_denorm_src 0
		.amdhsa_exception_fp_ieee_div_zero 0
		.amdhsa_exception_fp_ieee_overflow 0
		.amdhsa_exception_fp_ieee_underflow 0
		.amdhsa_exception_fp_ieee_inexact 0
		.amdhsa_exception_int_div_zero 0
	.end_amdhsa_kernel
	.section	.text._ZN5aiter35fused_qk_rmsnorm_group_quant_kernelIDF16_DB8_Li512ELi16ELi4ELb0ELb1ELb1ELb1ELb0ELb0EEEvPT0_PvPT_S6_S6_PKS5_S8_S8_S8_S8_ffiiiiiiiiiiiii,"axG",@progbits,_ZN5aiter35fused_qk_rmsnorm_group_quant_kernelIDF16_DB8_Li512ELi16ELi4ELb0ELb1ELb1ELb1ELb0ELb0EEEvPT0_PvPT_S6_S6_PKS5_S8_S8_S8_S8_ffiiiiiiiiiiiii,comdat
.Lfunc_end945:
	.size	_ZN5aiter35fused_qk_rmsnorm_group_quant_kernelIDF16_DB8_Li512ELi16ELi4ELb0ELb1ELb1ELb1ELb0ELb0EEEvPT0_PvPT_S6_S6_PKS5_S8_S8_S8_S8_ffiiiiiiiiiiiii, .Lfunc_end945-_ZN5aiter35fused_qk_rmsnorm_group_quant_kernelIDF16_DB8_Li512ELi16ELi4ELb0ELb1ELb1ELb1ELb0ELb0EEEvPT0_PvPT_S6_S6_PKS5_S8_S8_S8_S8_ffiiiiiiiiiiiii
                                        ; -- End function
	.section	.AMDGPU.csdata,"",@progbits
; Kernel info:
; codeLenInByte = 3000
; NumSgprs: 36
; NumVgprs: 35
; NumAgprs: 0
; TotalNumVgprs: 35
; ScratchSize: 0
; MemoryBound: 0
; FloatMode: 240
; IeeeMode: 1
; LDSByteSize: 64 bytes/workgroup (compile time only)
; SGPRBlocks: 4
; VGPRBlocks: 4
; NumSGPRsForWavesPerEU: 36
; NumVGPRsForWavesPerEU: 35
; AccumOffset: 36
; Occupancy: 8
; WaveLimiterHint : 0
; COMPUTE_PGM_RSRC2:SCRATCH_EN: 0
; COMPUTE_PGM_RSRC2:USER_SGPR: 6
; COMPUTE_PGM_RSRC2:TRAP_HANDLER: 0
; COMPUTE_PGM_RSRC2:TGID_X_EN: 1
; COMPUTE_PGM_RSRC2:TGID_Y_EN: 1
; COMPUTE_PGM_RSRC2:TGID_Z_EN: 0
; COMPUTE_PGM_RSRC2:TIDIG_COMP_CNT: 0
; COMPUTE_PGM_RSRC3_GFX90A:ACCUM_OFFSET: 8
; COMPUTE_PGM_RSRC3_GFX90A:TG_SPLIT: 0
	.section	.text._ZN5aiter35fused_qk_rmsnorm_group_quant_kernelItDB8_Li512ELi16ELi4ELb0ELb1ELb1ELb1ELb0ELb0EEEvPT0_PvPT_S6_S6_PKS5_S8_S8_S8_S8_ffiiiiiiiiiiiii,"axG",@progbits,_ZN5aiter35fused_qk_rmsnorm_group_quant_kernelItDB8_Li512ELi16ELi4ELb0ELb1ELb1ELb1ELb0ELb0EEEvPT0_PvPT_S6_S6_PKS5_S8_S8_S8_S8_ffiiiiiiiiiiiii,comdat
	.protected	_ZN5aiter35fused_qk_rmsnorm_group_quant_kernelItDB8_Li512ELi16ELi4ELb0ELb1ELb1ELb1ELb0ELb0EEEvPT0_PvPT_S6_S6_PKS5_S8_S8_S8_S8_ffiiiiiiiiiiiii ; -- Begin function _ZN5aiter35fused_qk_rmsnorm_group_quant_kernelItDB8_Li512ELi16ELi4ELb0ELb1ELb1ELb1ELb0ELb0EEEvPT0_PvPT_S6_S6_PKS5_S8_S8_S8_S8_ffiiiiiiiiiiiii
	.globl	_ZN5aiter35fused_qk_rmsnorm_group_quant_kernelItDB8_Li512ELi16ELi4ELb0ELb1ELb1ELb1ELb0ELb0EEEvPT0_PvPT_S6_S6_PKS5_S8_S8_S8_S8_ffiiiiiiiiiiiii
	.p2align	8
	.type	_ZN5aiter35fused_qk_rmsnorm_group_quant_kernelItDB8_Li512ELi16ELi4ELb0ELb1ELb1ELb1ELb0ELb0EEEvPT0_PvPT_S6_S6_PKS5_S8_S8_S8_S8_ffiiiiiiiiiiiii,@function
_ZN5aiter35fused_qk_rmsnorm_group_quant_kernelItDB8_Li512ELi16ELi4ELb0ELb1ELb1ELb1ELb0ELb0EEEvPT0_PvPT_S6_S6_PKS5_S8_S8_S8_S8_ffiiiiiiiiiiiii: ; @_ZN5aiter35fused_qk_rmsnorm_group_quant_kernelItDB8_Li512ELi16ELi4ELb0ELb1ELb1ELb1ELb0ELb0EEEvPT0_PvPT_S6_S6_PKS5_S8_S8_S8_S8_ffiiiiiiiiiiiii
; %bb.0:
	s_load_dwordx4 s[12:15], s[4:5], 0x50
	s_waitcnt lgkmcnt(0)
	s_cmp_ge_i32 s6, s14
	s_cbranch_scc1 .LBB946_12
; %bb.1:
	s_load_dwordx2 s[24:25], s[4:5], 0x30
	s_load_dwordx2 s[8:9], s[4:5], 0x48
	s_load_dwordx4 s[16:19], s[4:5], 0x60
	s_cmp_lg_u32 s7, 0
	s_cselect_b64 s[10:11], -1, 0
	s_cmp_eq_u32 s7, 0
	s_cselect_b64 vcc, -1, 0
	s_and_b64 s[0:1], vcc, exec
	s_waitcnt lgkmcnt(0)
	s_cselect_b32 s7, s15, s16
	s_add_i32 s0, s7, 1
	s_lshr_b32 s1, s0, 31
	s_add_i32 s0, s0, s1
	s_lshl_b32 s0, s0, 1
	v_lshlrev_b32_e32 v1, 4, v0
	s_and_b32 s22, s0, -4
	v_cmp_gt_i32_e64 s[2:3], s7, v1
	v_mov_b32_e32 v18, 0
	v_mov_b32_e32 v6, 0
	;; [unrolled: 1-line block ×17, first 2 shown]
	s_and_saveexec_b64 s[0:1], s[2:3]
	s_cbranch_execz .LBB946_3
; %bb.2:
	s_load_dwordx2 s[14:15], s[4:5], 0x28
	s_load_dwordx2 s[20:21], s[4:5], 0x40
	s_and_b64 s[26:27], vcc, exec
	s_cselect_b32 s17, s17, s18
	s_mov_b32 s30, s22
	s_waitcnt lgkmcnt(0)
	s_cselect_b32 s19, s15, s25
	s_cselect_b32 s23, s14, s24
	s_mul_hi_i32 s15, s17, s6
	s_mul_i32 s14, s17, s6
	s_lshl_b64 s[14:15], s[14:15], 1
	s_add_u32 s28, s23, s14
	s_addc_u32 s17, s19, s15
	s_and_b64 s[14:15], vcc, exec
	s_mov_b32 s23, 0x20000
	s_cselect_b32 s20, s20, s8
	s_cselect_b32 s14, s21, s9
	s_and_b32 s29, s17, 0xffff
	s_mov_b32 s31, s23
	v_lshlrev_b32_e32 v19, 5, v0
	s_and_b32 s21, s14, 0xffff
	buffer_load_dwordx4 v[14:17], v19, s[28:31], 0 offen
	buffer_load_dwordx4 v[10:13], v19, s[28:31], 16 offen
	;; [unrolled: 1-line block ×4, first 2 shown]
.LBB946_3:
	s_or_b64 exec, exec, s[0:1]
	v_mov_b32_e32 v19, 0
	v_mov_b32_e32 v20, 0
	;; [unrolled: 1-line block ×15, first 2 shown]
	s_and_saveexec_b64 s[0:1], s[2:3]
	s_cbranch_execz .LBB946_5
; %bb.4:
	s_waitcnt vmcnt(3)
	v_cvt_f32_u32_sdwa v18, v14 dst_sel:DWORD dst_unused:UNUSED_PAD src0_sel:WORD_0
	v_cvt_f32_u32_sdwa v19, v14 dst_sel:DWORD dst_unused:UNUSED_PAD src0_sel:WORD_1
	v_cvt_f32_u32_sdwa v20, v15 dst_sel:DWORD dst_unused:UNUSED_PAD src0_sel:WORD_0
	v_cvt_f32_u32_sdwa v21, v15 dst_sel:DWORD dst_unused:UNUSED_PAD src0_sel:WORD_1
	v_cvt_f32_u32_sdwa v22, v16 dst_sel:DWORD dst_unused:UNUSED_PAD src0_sel:WORD_0
	v_cvt_f32_u32_sdwa v23, v16 dst_sel:DWORD dst_unused:UNUSED_PAD src0_sel:WORD_1
	v_cvt_f32_u32_sdwa v26, v17 dst_sel:DWORD dst_unused:UNUSED_PAD src0_sel:WORD_0
	v_cvt_f32_u32_sdwa v27, v17 dst_sel:DWORD dst_unused:UNUSED_PAD src0_sel:WORD_1
	s_waitcnt vmcnt(2)
	v_cvt_f32_u32_sdwa v24, v10 dst_sel:DWORD dst_unused:UNUSED_PAD src0_sel:WORD_0
	v_cvt_f32_u32_sdwa v25, v10 dst_sel:DWORD dst_unused:UNUSED_PAD src0_sel:WORD_1
	v_cvt_f32_u32_sdwa v30, v11 dst_sel:DWORD dst_unused:UNUSED_PAD src0_sel:WORD_0
	v_cvt_f32_u32_sdwa v31, v11 dst_sel:DWORD dst_unused:UNUSED_PAD src0_sel:WORD_1
	;; [unrolled: 2-line block ×4, first 2 shown]
.LBB946_5:
	s_or_b64 exec, exec, s[0:1]
	s_waitcnt vmcnt(2)
	v_mul_f32_e32 v10, v19, v19
	v_fmac_f32_e32 v10, v18, v18
	v_fmac_f32_e32 v10, v20, v20
	;; [unrolled: 1-line block ×15, first 2 shown]
	v_and_b32_e32 v12, 63, v0
	v_cmp_eq_u32_e64 s[0:1], 63, v12
	v_mov_b32_dpp v11, v10 quad_perm:[1,0,3,2] row_mask:0xf bank_mask:0xf
	v_add_f32_e32 v10, v10, v11
	s_nop 1
	v_mov_b32_dpp v11, v10 quad_perm:[2,3,0,1] row_mask:0xf bank_mask:0xf
	v_add_f32_e32 v10, v10, v11
	s_nop 1
	v_mov_b32_dpp v11, v10 row_half_mirror row_mask:0xf bank_mask:0xf
	v_add_f32_e32 v10, v10, v11
	s_nop 1
	v_mov_b32_dpp v11, v10 row_mirror row_mask:0xf bank_mask:0xf
	v_add_f32_e32 v10, v10, v11
	s_nop 1
	v_mov_b32_dpp v11, v10 row_bcast:15 row_mask:0xf bank_mask:0xf
	v_add_f32_e32 v10, v10, v11
	s_nop 1
	v_mov_b32_dpp v11, v10 row_bcast:31 row_mask:0xf bank_mask:0xf
	s_and_saveexec_b64 s[14:15], s[0:1]
	s_cbranch_execz .LBB946_7
; %bb.6:
	v_add_f32_e32 v10, v10, v11
	v_lshrrev_b32_e32 v11, 4, v0
	v_and_b32_e32 v11, 60, v11
	ds_write_b32 v11, v10 offset:32
.LBB946_7:
	s_or_b64 exec, exec, s[14:15]
	v_and_b32_e32 v10, 7, v0
	v_lshlrev_b32_e32 v34, 2, v10
	s_waitcnt lgkmcnt(0)
	s_barrier
	ds_read_b32 v10, v34 offset:32
	s_load_dwordx2 s[14:15], s[4:5], 0x18
	s_waitcnt lgkmcnt(0)
	v_mov_b32_dpp v11, v10 quad_perm:[1,0,3,2] row_mask:0xf bank_mask:0xf
	v_add_f32_e32 v10, v10, v11
	s_nop 1
	v_mov_b32_dpp v11, v10 quad_perm:[2,3,0,1] row_mask:0xf bank_mask:0xf
	v_add_f32_e32 v10, v10, v11
	s_nop 1
	v_mov_b32_dpp v11, v10 row_half_mirror row_mask:0xf bank_mask:0xf
	s_and_saveexec_b64 s[20:21], s[2:3]
	s_cbranch_execz .LBB946_9
; %bb.8:
	v_cvt_f32_u32_e32 v12, s7
	v_add_f32_e32 v10, v10, v11
	v_mov_b32_e32 v14, s13
	v_mov_b32_e32 v15, s12
	v_div_scale_f32 v11, s[26:27], v12, v12, v10
	v_rcp_f32_e32 v13, v11
	v_cndmask_b32_e32 v14, v14, v15, vcc
	s_mov_b32 s7, 0x800000
	v_fma_f32 v15, -v11, v13, 1.0
	v_fmac_f32_e32 v13, v15, v13
	v_div_scale_f32 v15, vcc, v10, v12, v10
	v_mul_f32_e32 v16, v15, v13
	v_fma_f32 v17, -v11, v16, v15
	v_fmac_f32_e32 v16, v17, v13
	v_fma_f32 v11, -v11, v16, v15
	v_div_fmas_f32 v11, v11, v13, v16
	v_div_fixup_f32 v10, v11, v12, v10
	v_add_f32_e32 v10, v14, v10
	v_mul_f32_e32 v11, 0x4b800000, v10
	v_cmp_gt_f32_e32 vcc, s7, v10
	v_cndmask_b32_e32 v10, v10, v11, vcc
	v_rsq_f32_e32 v10, v10
	v_mul_f32_e32 v11, 0x45800000, v10
	v_cndmask_b32_e32 v10, v10, v11, vcc
	v_mov_b32_e32 v11, v10
	;;#ASMSTART
	v_pk_mul_f32 v[12:13], v[18:19], v[10:11]
	;;#ASMEND
	s_waitcnt vmcnt(1)
	v_cvt_f32_u32_sdwa v19, v6 dst_sel:DWORD dst_unused:UNUSED_PAD src0_sel:WORD_1
	v_cvt_f32_u32_sdwa v18, v6 dst_sel:DWORD dst_unused:UNUSED_PAD src0_sel:WORD_0
	;;#ASMSTART
	v_pk_mul_f32 v[14:15], v[20:21], v[10:11]
	;;#ASMEND
	v_cvt_f32_u32_sdwa v21, v7 dst_sel:DWORD dst_unused:UNUSED_PAD src0_sel:WORD_1
	v_cvt_f32_u32_sdwa v20, v7 dst_sel:DWORD dst_unused:UNUSED_PAD src0_sel:WORD_0
	;;#ASMSTART
	v_pk_mul_f32 v[16:17], v[22:23], v[10:11]
	;;#ASMEND
	;;#ASMSTART
	v_pk_mul_f32 v[26:27], v[26:27], v[10:11]
	;;#ASMEND
	;; [unrolled: 3-line block ×6, first 2 shown]
	v_pk_add_f32 v[10:11], v[18:19], 1.0 op_sel_hi:[1,0]
	;;#ASMSTART
	v_pk_mul_f32 v[18:19], v[12:13], v[10:11]
	;;#ASMEND
	v_cvt_f32_u32_sdwa v13, v8 dst_sel:DWORD dst_unused:UNUSED_PAD src0_sel:WORD_1
	v_cvt_f32_u32_sdwa v12, v8 dst_sel:DWORD dst_unused:UNUSED_PAD src0_sel:WORD_0
	v_cvt_f32_u32_sdwa v29, v9 dst_sel:DWORD dst_unused:UNUSED_PAD src0_sel:WORD_1
	v_cvt_f32_u32_sdwa v28, v9 dst_sel:DWORD dst_unused:UNUSED_PAD src0_sel:WORD_0
	v_pk_add_f32 v[10:11], v[20:21], 1.0 op_sel_hi:[1,0]
	;;#ASMSTART
	v_pk_mul_f32 v[20:21], v[14:15], v[10:11]
	;;#ASMEND
	s_waitcnt vmcnt(0)
	v_cvt_f32_u32_sdwa v11, v2 dst_sel:DWORD dst_unused:UNUSED_PAD src0_sel:WORD_1
	v_cvt_f32_u32_sdwa v10, v2 dst_sel:DWORD dst_unused:UNUSED_PAD src0_sel:WORD_0
	v_pk_add_f32 v[8:9], v[12:13], 1.0 op_sel_hi:[1,0]
	;;#ASMSTART
	v_pk_mul_f32 v[22:23], v[16:17], v[8:9]
	;;#ASMEND
	v_pk_add_f32 v[8:9], v[28:29], 1.0 op_sel_hi:[1,0]
	v_cvt_f32_u32_sdwa v13, v3 dst_sel:DWORD dst_unused:UNUSED_PAD src0_sel:WORD_1
	v_cvt_f32_u32_sdwa v12, v3 dst_sel:DWORD dst_unused:UNUSED_PAD src0_sel:WORD_0
	;;#ASMSTART
	v_pk_mul_f32 v[26:27], v[26:27], v[8:9]
	;;#ASMEND
	v_cvt_f32_u32_sdwa v9, v4 dst_sel:DWORD dst_unused:UNUSED_PAD src0_sel:WORD_1
	v_cvt_f32_u32_sdwa v8, v4 dst_sel:DWORD dst_unused:UNUSED_PAD src0_sel:WORD_0
	v_pk_add_f32 v[2:3], v[10:11], 1.0 op_sel_hi:[1,0]
	v_cvt_f32_u32_sdwa v11, v5 dst_sel:DWORD dst_unused:UNUSED_PAD src0_sel:WORD_1
	v_cvt_f32_u32_sdwa v10, v5 dst_sel:DWORD dst_unused:UNUSED_PAD src0_sel:WORD_0
	;;#ASMSTART
	v_pk_mul_f32 v[24:25], v[24:25], v[2:3]
	;;#ASMEND
	v_pk_add_f32 v[2:3], v[12:13], 1.0 op_sel_hi:[1,0]
	;;#ASMSTART
	v_pk_mul_f32 v[30:31], v[30:31], v[2:3]
	;;#ASMEND
	v_pk_add_f32 v[2:3], v[8:9], 1.0 op_sel_hi:[1,0]
	;; [unrolled: 4-line block ×3, first 2 shown]
	;;#ASMSTART
	v_pk_mul_f32 v[28:29], v[6:7], v[2:3]
	;;#ASMEND
.LBB946_9:
	s_or_b64 exec, exec, s[20:21]
	s_load_dwordx2 s[26:27], s[4:5], 0x7c
	s_mov_b64 s[20:21], -1
	s_and_b64 vcc, exec, s[10:11]
	s_cbranch_vccnz .LBB946_13
; %bb.10:
	s_andn2_b64 vcc, exec, s[20:21]
	s_cbranch_vccz .LBB946_16
.LBB946_11:
	s_cmp_lt_i32 s16, 1
	s_cbranch_scc0 .LBB946_19
.LBB946_12:
	s_endpgm
.LBB946_13:
	s_and_saveexec_b64 s[10:11], s[2:3]
	s_cbranch_execz .LBB946_15
; %bb.14:
	s_waitcnt lgkmcnt(0)
	s_mul_hi_i32 s21, s27, s6
	s_mul_i32 s20, s27, s6
	s_lshl_b64 s[20:21], s[20:21], 1
	s_add_u32 s20, s14, s20
	s_addc_u32 s7, s15, s21
	s_and_b32 s21, s7, 0xffff
	s_mov_b32 s7, 0x7060302
	s_mov_b32 s23, 0x20000
	s_waitcnt vmcnt(0)
	v_perm_b32 v5, v27, v26, s7
	v_perm_b32 v4, v23, v22, s7
	;; [unrolled: 1-line block ×4, first 2 shown]
	v_lshlrev_b32_e32 v6, 5, v0
	buffer_store_dwordx4 v[2:5], v6, s[20:23], 0 offen
	;;#ASMSTART
	s_nop 0
	;;#ASMEND
	s_nop 0
	v_perm_b32 v5, v29, v28, s7
	v_perm_b32 v4, v33, v32, s7
	;; [unrolled: 1-line block ×4, first 2 shown]
	buffer_store_dwordx4 v[2:5], v6, s[20:23], 16 offen
	;;#ASMSTART
	s_nop 0
	;;#ASMEND
.LBB946_15:
	s_or_b64 exec, exec, s[10:11]
	s_cbranch_execnz .LBB946_11
.LBB946_16:
	s_and_saveexec_b64 s[10:11], s[2:3]
	s_cbranch_execz .LBB946_18
; %bb.17:
	s_load_dwordx2 s[2:3], s[4:5], 0x10
	s_waitcnt lgkmcnt(0)
	s_mul_hi_i32 s21, s26, s6
	s_mul_i32 s20, s26, s6
	s_lshl_b64 s[20:21], s[20:21], 1
	s_mov_b32 s23, 0x20000
	s_add_u32 s20, s2, s20
	s_addc_u32 s2, s3, s21
	s_and_b32 s21, s2, 0xffff
	s_mov_b32 s2, 0x7060302
	s_waitcnt vmcnt(0)
	v_perm_b32 v5, v27, v26, s2
	v_perm_b32 v4, v23, v22, s2
	;; [unrolled: 1-line block ×4, first 2 shown]
	v_lshlrev_b32_e32 v6, 5, v0
	buffer_store_dwordx4 v[2:5], v6, s[20:23], 0 offen
	;;#ASMSTART
	s_nop 0
	;;#ASMEND
	s_nop 0
	v_perm_b32 v5, v29, v28, s2
	v_perm_b32 v4, v33, v32, s2
	;; [unrolled: 1-line block ×4, first 2 shown]
	buffer_store_dwordx4 v[2:5], v6, s[20:23], 16 offen
	;;#ASMSTART
	s_nop 0
	;;#ASMEND
.LBB946_18:
	s_or_b64 exec, exec, s[10:11]
	s_cmp_lt_i32 s16, 1
	s_cbranch_scc1 .LBB946_12
.LBB946_19:
	s_load_dword s2, s[4:5], 0x94
	s_waitcnt lgkmcnt(0)
	s_cmp_lg_u32 s2, 1
	s_cbranch_scc1 .LBB946_12
; %bb.20:
	s_lshl_b32 s2, s16, 1
	s_add_i32 s2, s2, 2
	v_cmp_gt_u32_e32 vcc, s16, v1
	s_and_b32 s10, s2, -4
	v_mov_b32_e32 v18, 0
	v_lshlrev_b32_e32 v1, 5, v0
	v_mov_b32_e32 v14, 0
	v_mov_b32_e32 v15, 0
	;; [unrolled: 1-line block ×8, first 2 shown]
	s_waitcnt vmcnt(1)
	v_mov_b32_e32 v6, 0
	v_mov_b32_e32 v7, 0
	;; [unrolled: 1-line block ×4, first 2 shown]
	s_waitcnt vmcnt(0)
	v_mov_b32_e32 v2, 0
	v_mov_b32_e32 v3, 0
	;; [unrolled: 1-line block ×4, first 2 shown]
	s_barrier
	s_and_saveexec_b64 s[2:3], vcc
	s_cbranch_execz .LBB946_22
; %bb.21:
	s_mul_hi_i32 s5, s18, s6
	s_mul_i32 s4, s18, s6
	s_and_b32 s9, s9, 0xffff
	s_lshl_b64 s[4:5], s[4:5], 1
	s_add_u32 s20, s24, s4
	s_mov_b32 s11, 0x20000
	s_addc_u32 s4, s25, s5
	s_and_b32 s21, s4, 0xffff
	s_mov_b32 s22, s10
	s_mov_b32 s23, s11
	buffer_load_dwordx4 v[14:17], v1, s[20:23], 0 offen
	buffer_load_dwordx4 v[10:13], v1, s[20:23], 16 offen
	;; [unrolled: 1-line block ×4, first 2 shown]
.LBB946_22:
	s_or_b64 exec, exec, s[2:3]
	v_mov_b32_e32 v19, 0
	v_mov_b32_e32 v32, 0
	;; [unrolled: 1-line block ×15, first 2 shown]
	s_and_saveexec_b64 s[2:3], vcc
	s_cbranch_execz .LBB946_24
; %bb.23:
	s_waitcnt vmcnt(3)
	v_cvt_f32_u32_sdwa v18, v14 dst_sel:DWORD dst_unused:UNUSED_PAD src0_sel:WORD_0
	v_cvt_f32_u32_sdwa v19, v14 dst_sel:DWORD dst_unused:UNUSED_PAD src0_sel:WORD_1
	v_cvt_f32_u32_sdwa v32, v15 dst_sel:DWORD dst_unused:UNUSED_PAD src0_sel:WORD_0
	v_cvt_f32_u32_sdwa v33, v15 dst_sel:DWORD dst_unused:UNUSED_PAD src0_sel:WORD_1
	;; [unrolled: 2-line block ×4, first 2 shown]
	s_waitcnt vmcnt(2)
	v_cvt_f32_u32_sdwa v26, v10 dst_sel:DWORD dst_unused:UNUSED_PAD src0_sel:WORD_0
	v_cvt_f32_u32_sdwa v27, v10 dst_sel:DWORD dst_unused:UNUSED_PAD src0_sel:WORD_1
	v_cvt_f32_u32_sdwa v24, v11 dst_sel:DWORD dst_unused:UNUSED_PAD src0_sel:WORD_0
	v_cvt_f32_u32_sdwa v25, v11 dst_sel:DWORD dst_unused:UNUSED_PAD src0_sel:WORD_1
	;; [unrolled: 2-line block ×4, first 2 shown]
.LBB946_24:
	s_or_b64 exec, exec, s[2:3]
	s_waitcnt vmcnt(2)
	v_mul_f32_e32 v10, v19, v19
	v_fmac_f32_e32 v10, v18, v18
	v_fmac_f32_e32 v10, v32, v32
	;; [unrolled: 1-line block ×15, first 2 shown]
	s_nop 1
	v_mov_b32_dpp v11, v10 quad_perm:[1,0,3,2] row_mask:0xf bank_mask:0xf
	v_add_f32_e32 v10, v10, v11
	s_nop 1
	v_mov_b32_dpp v11, v10 quad_perm:[2,3,0,1] row_mask:0xf bank_mask:0xf
	v_add_f32_e32 v10, v10, v11
	s_nop 1
	v_mov_b32_dpp v11, v10 row_half_mirror row_mask:0xf bank_mask:0xf
	v_add_f32_e32 v10, v10, v11
	s_nop 1
	v_mov_b32_dpp v11, v10 row_mirror row_mask:0xf bank_mask:0xf
	v_add_f32_e32 v10, v10, v11
	s_nop 1
	v_mov_b32_dpp v11, v10 row_bcast:15 row_mask:0xf bank_mask:0xf
	v_add_f32_e32 v10, v10, v11
	s_nop 1
	v_mov_b32_dpp v11, v10 row_bcast:31 row_mask:0xf bank_mask:0xf
	s_and_saveexec_b64 s[2:3], s[0:1]
	s_cbranch_execz .LBB946_26
; %bb.25:
	v_lshrrev_b32_e32 v0, 4, v0
	v_add_f32_e32 v10, v10, v11
	v_and_b32_e32 v0, 60, v0
	ds_write_b32 v0, v10
.LBB946_26:
	s_or_b64 exec, exec, s[2:3]
	s_waitcnt lgkmcnt(0)
	s_barrier
	ds_read_b32 v0, v34
	s_waitcnt lgkmcnt(0)
	s_nop 0
	v_mov_b32_dpp v10, v0 quad_perm:[1,0,3,2] row_mask:0xf bank_mask:0xf
	v_add_f32_e32 v0, v0, v10
	s_nop 1
	v_mov_b32_dpp v10, v0 quad_perm:[2,3,0,1] row_mask:0xf bank_mask:0xf
	v_add_f32_e32 v0, v0, v10
	s_nop 1
	v_mov_b32_dpp v10, v0 row_half_mirror row_mask:0xf bank_mask:0xf
	s_and_saveexec_b64 s[0:1], vcc
	s_cbranch_execz .LBB946_12
; %bb.27:
	v_cvt_f32_u32_e32 v11, s16
	v_add_f32_e32 v0, v0, v10
	s_mov_b32 s11, 0x20000
	v_div_scale_f32 v10, s[0:1], v11, v11, v0
	v_rcp_f32_e32 v12, v10
	v_div_scale_f32 v13, vcc, v0, v11, v0
	s_mov_b32 s0, 0x800000
	v_fma_f32 v14, -v10, v12, 1.0
	v_fmac_f32_e32 v12, v14, v12
	v_mul_f32_e32 v14, v13, v12
	v_fma_f32 v15, -v10, v14, v13
	v_fmac_f32_e32 v14, v15, v12
	v_fma_f32 v10, -v10, v14, v13
	v_div_fmas_f32 v10, v10, v12, v14
	v_div_fixup_f32 v0, v10, v11, v0
	v_add_f32_e32 v0, s13, v0
	v_mul_f32_e32 v10, 0x4b800000, v0
	v_cmp_gt_f32_e32 vcc, s0, v0
	v_cndmask_b32_e32 v0, v0, v10, vcc
	v_rsq_f32_e32 v0, v0
	s_mul_hi_i32 s1, s27, s6
	s_mul_i32 s0, s27, s6
	s_lshl_b64 s[0:1], s[0:1], 1
	v_mul_f32_e32 v10, 0x45800000, v0
	v_cndmask_b32_e32 v10, v0, v10, vcc
	v_mov_b32_e32 v11, v10
	;;#ASMSTART
	v_pk_mul_f32 v[12:13], v[18:19], v[10:11]
	;;#ASMEND
	;;#ASMSTART
	v_pk_mul_f32 v[14:15], v[32:33], v[10:11]
	;;#ASMEND
	;; [unrolled: 3-line block ×4, first 2 shown]
	s_waitcnt vmcnt(1)
	v_cvt_f32_u32_sdwa v29, v6 dst_sel:DWORD dst_unused:UNUSED_PAD src0_sel:WORD_1
	v_cvt_f32_u32_sdwa v28, v6 dst_sel:DWORD dst_unused:UNUSED_PAD src0_sel:WORD_0
	v_cvt_f32_u32_sdwa v31, v7 dst_sel:DWORD dst_unused:UNUSED_PAD src0_sel:WORD_1
	v_cvt_f32_u32_sdwa v30, v7 dst_sel:DWORD dst_unused:UNUSED_PAD src0_sel:WORD_0
	;;#ASMSTART
	v_pk_mul_f32 v[26:27], v[26:27], v[10:11]
	;;#ASMEND
	;;#ASMSTART
	v_pk_mul_f32 v[24:25], v[24:25], v[10:11]
	;;#ASMEND
	;; [unrolled: 3-line block ×4, first 2 shown]
	v_cvt_f32_u32_sdwa v21, v8 dst_sel:DWORD dst_unused:UNUSED_PAD src0_sel:WORD_1
	v_cvt_f32_u32_sdwa v20, v8 dst_sel:DWORD dst_unused:UNUSED_PAD src0_sel:WORD_0
	v_pk_add_f32 v[10:11], v[28:29], 1.0 op_sel_hi:[1,0]
	;;#ASMSTART
	v_pk_mul_f32 v[10:11], v[12:13], v[10:11]
	;;#ASMEND
	v_pk_add_f32 v[12:13], v[30:31], 1.0 op_sel_hi:[1,0]
	v_cvt_f32_u32_sdwa v29, v9 dst_sel:DWORD dst_unused:UNUSED_PAD src0_sel:WORD_1
	v_cvt_f32_u32_sdwa v28, v9 dst_sel:DWORD dst_unused:UNUSED_PAD src0_sel:WORD_0
	;;#ASMSTART
	v_pk_mul_f32 v[8:9], v[14:15], v[12:13]
	;;#ASMEND
	v_pk_add_f32 v[12:13], v[20:21], 1.0 op_sel_hi:[1,0]
	;;#ASMSTART
	v_pk_mul_f32 v[12:13], v[16:17], v[12:13]
	;;#ASMEND
	s_waitcnt vmcnt(0)
	v_cvt_f32_u32_sdwa v17, v2 dst_sel:DWORD dst_unused:UNUSED_PAD src0_sel:WORD_1
	v_cvt_f32_u32_sdwa v16, v2 dst_sel:DWORD dst_unused:UNUSED_PAD src0_sel:WORD_0
	v_cvt_f32_u32_sdwa v21, v3 dst_sel:DWORD dst_unused:UNUSED_PAD src0_sel:WORD_1
	v_cvt_f32_u32_sdwa v20, v3 dst_sel:DWORD dst_unused:UNUSED_PAD src0_sel:WORD_0
	v_pk_add_f32 v[14:15], v[28:29], 1.0 op_sel_hi:[1,0]
	;;#ASMSTART
	v_pk_mul_f32 v[14:15], v[18:19], v[14:15]
	;;#ASMEND
	v_pk_add_f32 v[2:3], v[16:17], 1.0 op_sel_hi:[1,0]
	v_cvt_f32_u32_sdwa v19, v4 dst_sel:DWORD dst_unused:UNUSED_PAD src0_sel:WORD_1
	v_cvt_f32_u32_sdwa v18, v4 dst_sel:DWORD dst_unused:UNUSED_PAD src0_sel:WORD_0
	;;#ASMSTART
	v_pk_mul_f32 v[16:17], v[26:27], v[2:3]
	;;#ASMEND
	v_pk_add_f32 v[2:3], v[20:21], 1.0 op_sel_hi:[1,0]
	v_cvt_f32_u32_sdwa v21, v5 dst_sel:DWORD dst_unused:UNUSED_PAD src0_sel:WORD_1
	v_cvt_f32_u32_sdwa v20, v5 dst_sel:DWORD dst_unused:UNUSED_PAD src0_sel:WORD_0
	s_add_u32 s8, s14, s0
	;;#ASMSTART
	v_pk_mul_f32 v[24:25], v[24:25], v[2:3]
	;;#ASMEND
	v_pk_add_f32 v[2:3], v[18:19], 1.0 op_sel_hi:[1,0]
	s_addc_u32 s0, s15, s1
	;;#ASMSTART
	v_pk_mul_f32 v[18:19], v[22:23], v[2:3]
	;;#ASMEND
	v_pk_add_f32 v[2:3], v[20:21], 1.0 op_sel_hi:[1,0]
	s_and_b32 s9, s0, 0xffff
	s_mov_b32 s0, 0x7060302
	;;#ASMSTART
	v_pk_mul_f32 v[6:7], v[6:7], v[2:3]
	;;#ASMEND
	v_perm_b32 v2, v11, v10, s0
	v_perm_b32 v3, v9, v8, s0
	;; [unrolled: 1-line block ×4, first 2 shown]
	buffer_store_dwordx4 v[2:5], v1, s[8:11], 0 offen
	;;#ASMSTART
	s_nop 0
	;;#ASMEND
	s_nop 0
	v_perm_b32 v2, v17, v16, s0
	v_perm_b32 v3, v25, v24, s0
	;; [unrolled: 1-line block ×4, first 2 shown]
	buffer_store_dwordx4 v[2:5], v1, s[8:11], 16 offen
	;;#ASMSTART
	s_nop 0
	;;#ASMEND
	s_endpgm
	.section	.rodata,"a",@progbits
	.p2align	6, 0x0
	.amdhsa_kernel _ZN5aiter35fused_qk_rmsnorm_group_quant_kernelItDB8_Li512ELi16ELi4ELb0ELb1ELb1ELb1ELb0ELb0EEEvPT0_PvPT_S6_S6_PKS5_S8_S8_S8_S8_ffiiiiiiiiiiiii
		.amdhsa_group_segment_fixed_size 64
		.amdhsa_private_segment_fixed_size 0
		.amdhsa_kernarg_size 400
		.amdhsa_user_sgpr_count 6
		.amdhsa_user_sgpr_private_segment_buffer 1
		.amdhsa_user_sgpr_dispatch_ptr 0
		.amdhsa_user_sgpr_queue_ptr 0
		.amdhsa_user_sgpr_kernarg_segment_ptr 1
		.amdhsa_user_sgpr_dispatch_id 0
		.amdhsa_user_sgpr_flat_scratch_init 0
		.amdhsa_user_sgpr_kernarg_preload_length 0
		.amdhsa_user_sgpr_kernarg_preload_offset 0
		.amdhsa_user_sgpr_private_segment_size 0
		.amdhsa_uses_dynamic_stack 0
		.amdhsa_system_sgpr_private_segment_wavefront_offset 0
		.amdhsa_system_sgpr_workgroup_id_x 1
		.amdhsa_system_sgpr_workgroup_id_y 1
		.amdhsa_system_sgpr_workgroup_id_z 0
		.amdhsa_system_sgpr_workgroup_info 0
		.amdhsa_system_vgpr_workitem_id 0
		.amdhsa_next_free_vgpr 35
		.amdhsa_next_free_sgpr 32
		.amdhsa_accum_offset 36
		.amdhsa_reserve_vcc 1
		.amdhsa_reserve_flat_scratch 0
		.amdhsa_float_round_mode_32 0
		.amdhsa_float_round_mode_16_64 0
		.amdhsa_float_denorm_mode_32 3
		.amdhsa_float_denorm_mode_16_64 3
		.amdhsa_dx10_clamp 1
		.amdhsa_ieee_mode 1
		.amdhsa_fp16_overflow 0
		.amdhsa_tg_split 0
		.amdhsa_exception_fp_ieee_invalid_op 0
		.amdhsa_exception_fp_denorm_src 0
		.amdhsa_exception_fp_ieee_div_zero 0
		.amdhsa_exception_fp_ieee_overflow 0
		.amdhsa_exception_fp_ieee_underflow 0
		.amdhsa_exception_fp_ieee_inexact 0
		.amdhsa_exception_int_div_zero 0
	.end_amdhsa_kernel
	.section	.text._ZN5aiter35fused_qk_rmsnorm_group_quant_kernelItDB8_Li512ELi16ELi4ELb0ELb1ELb1ELb1ELb0ELb0EEEvPT0_PvPT_S6_S6_PKS5_S8_S8_S8_S8_ffiiiiiiiiiiiii,"axG",@progbits,_ZN5aiter35fused_qk_rmsnorm_group_quant_kernelItDB8_Li512ELi16ELi4ELb0ELb1ELb1ELb1ELb0ELb0EEEvPT0_PvPT_S6_S6_PKS5_S8_S8_S8_S8_ffiiiiiiiiiiiii,comdat
.Lfunc_end946:
	.size	_ZN5aiter35fused_qk_rmsnorm_group_quant_kernelItDB8_Li512ELi16ELi4ELb0ELb1ELb1ELb1ELb0ELb0EEEvPT0_PvPT_S6_S6_PKS5_S8_S8_S8_S8_ffiiiiiiiiiiiii, .Lfunc_end946-_ZN5aiter35fused_qk_rmsnorm_group_quant_kernelItDB8_Li512ELi16ELi4ELb0ELb1ELb1ELb1ELb0ELb0EEEvPT0_PvPT_S6_S6_PKS5_S8_S8_S8_S8_ffiiiiiiiiiiiii
                                        ; -- End function
	.section	.AMDGPU.csdata,"",@progbits
; Kernel info:
; codeLenInByte = 2972
; NumSgprs: 36
; NumVgprs: 35
; NumAgprs: 0
; TotalNumVgprs: 35
; ScratchSize: 0
; MemoryBound: 0
; FloatMode: 240
; IeeeMode: 1
; LDSByteSize: 64 bytes/workgroup (compile time only)
; SGPRBlocks: 4
; VGPRBlocks: 4
; NumSGPRsForWavesPerEU: 36
; NumVGPRsForWavesPerEU: 35
; AccumOffset: 36
; Occupancy: 8
; WaveLimiterHint : 0
; COMPUTE_PGM_RSRC2:SCRATCH_EN: 0
; COMPUTE_PGM_RSRC2:USER_SGPR: 6
; COMPUTE_PGM_RSRC2:TRAP_HANDLER: 0
; COMPUTE_PGM_RSRC2:TGID_X_EN: 1
; COMPUTE_PGM_RSRC2:TGID_Y_EN: 1
; COMPUTE_PGM_RSRC2:TGID_Z_EN: 0
; COMPUTE_PGM_RSRC2:TIDIG_COMP_CNT: 0
; COMPUTE_PGM_RSRC3_GFX90A:ACCUM_OFFSET: 8
; COMPUTE_PGM_RSRC3_GFX90A:TG_SPLIT: 0
	.section	.text._ZN5aiter35fused_qk_rmsnorm_group_quant_kernelIDF16_N4opus5fp4_tELi512ELi16ELi4ELb0ELb1ELb1ELb1ELb0ELb0EEEvPT0_PvPT_S7_S7_PKS6_S9_S9_S9_S9_ffiiiiiiiiiiiii,"axG",@progbits,_ZN5aiter35fused_qk_rmsnorm_group_quant_kernelIDF16_N4opus5fp4_tELi512ELi16ELi4ELb0ELb1ELb1ELb1ELb0ELb0EEEvPT0_PvPT_S7_S7_PKS6_S9_S9_S9_S9_ffiiiiiiiiiiiii,comdat
	.protected	_ZN5aiter35fused_qk_rmsnorm_group_quant_kernelIDF16_N4opus5fp4_tELi512ELi16ELi4ELb0ELb1ELb1ELb1ELb0ELb0EEEvPT0_PvPT_S7_S7_PKS6_S9_S9_S9_S9_ffiiiiiiiiiiiii ; -- Begin function _ZN5aiter35fused_qk_rmsnorm_group_quant_kernelIDF16_N4opus5fp4_tELi512ELi16ELi4ELb0ELb1ELb1ELb1ELb0ELb0EEEvPT0_PvPT_S7_S7_PKS6_S9_S9_S9_S9_ffiiiiiiiiiiiii
	.globl	_ZN5aiter35fused_qk_rmsnorm_group_quant_kernelIDF16_N4opus5fp4_tELi512ELi16ELi4ELb0ELb1ELb1ELb1ELb0ELb0EEEvPT0_PvPT_S7_S7_PKS6_S9_S9_S9_S9_ffiiiiiiiiiiiii
	.p2align	8
	.type	_ZN5aiter35fused_qk_rmsnorm_group_quant_kernelIDF16_N4opus5fp4_tELi512ELi16ELi4ELb0ELb1ELb1ELb1ELb0ELb0EEEvPT0_PvPT_S7_S7_PKS6_S9_S9_S9_S9_ffiiiiiiiiiiiii,@function
_ZN5aiter35fused_qk_rmsnorm_group_quant_kernelIDF16_N4opus5fp4_tELi512ELi16ELi4ELb0ELb1ELb1ELb1ELb0ELb0EEEvPT0_PvPT_S7_S7_PKS6_S9_S9_S9_S9_ffiiiiiiiiiiiii: ; @_ZN5aiter35fused_qk_rmsnorm_group_quant_kernelIDF16_N4opus5fp4_tELi512ELi16ELi4ELb0ELb1ELb1ELb1ELb0ELb0EEEvPT0_PvPT_S7_S7_PKS6_S9_S9_S9_S9_ffiiiiiiiiiiiii
; %bb.0:
	s_load_dwordx4 s[12:15], s[4:5], 0x50
	s_waitcnt lgkmcnt(0)
	s_cmp_ge_i32 s6, s14
	s_cbranch_scc1 .LBB947_12
; %bb.1:
	s_load_dwordx2 s[24:25], s[4:5], 0x30
	s_load_dwordx2 s[8:9], s[4:5], 0x48
	s_load_dwordx4 s[16:19], s[4:5], 0x60
	s_cmp_lg_u32 s7, 0
	s_cselect_b64 s[10:11], -1, 0
	s_cmp_eq_u32 s7, 0
	s_cselect_b64 vcc, -1, 0
	s_and_b64 s[0:1], vcc, exec
	s_waitcnt lgkmcnt(0)
	s_cselect_b32 s7, s15, s16
	s_add_i32 s0, s7, 1
	s_lshr_b32 s1, s0, 31
	s_add_i32 s0, s0, s1
	s_lshl_b32 s0, s0, 1
	v_lshlrev_b32_e32 v1, 4, v0
	s_and_b32 s22, s0, -4
	v_cmp_gt_i32_e64 s[2:3], s7, v1
	v_mov_b32_e32 v18, 0
	v_mov_b32_e32 v6, 0
	;; [unrolled: 1-line block ×17, first 2 shown]
	s_and_saveexec_b64 s[0:1], s[2:3]
	s_cbranch_execz .LBB947_3
; %bb.2:
	s_load_dwordx2 s[14:15], s[4:5], 0x28
	s_load_dwordx2 s[20:21], s[4:5], 0x40
	s_and_b64 s[26:27], vcc, exec
	s_cselect_b32 s17, s17, s18
	s_mov_b32 s30, s22
	s_waitcnt lgkmcnt(0)
	s_cselect_b32 s19, s15, s25
	s_cselect_b32 s23, s14, s24
	s_mul_hi_i32 s15, s17, s6
	s_mul_i32 s14, s17, s6
	s_lshl_b64 s[14:15], s[14:15], 1
	s_add_u32 s28, s23, s14
	s_addc_u32 s17, s19, s15
	s_and_b64 s[14:15], vcc, exec
	s_mov_b32 s23, 0x20000
	s_cselect_b32 s20, s20, s8
	s_cselect_b32 s14, s21, s9
	s_and_b32 s29, s17, 0xffff
	s_mov_b32 s31, s23
	v_lshlrev_b32_e32 v19, 5, v0
	s_and_b32 s21, s14, 0xffff
	buffer_load_dwordx4 v[14:17], v19, s[28:31], 0 offen
	buffer_load_dwordx4 v[10:13], v19, s[28:31], 16 offen
	;; [unrolled: 1-line block ×4, first 2 shown]
.LBB947_3:
	s_or_b64 exec, exec, s[0:1]
	v_mov_b32_e32 v19, 0
	v_mov_b32_e32 v22, 0
	;; [unrolled: 1-line block ×15, first 2 shown]
	s_and_saveexec_b64 s[0:1], s[2:3]
	s_cbranch_execz .LBB947_5
; %bb.4:
	s_waitcnt vmcnt(3)
	v_cvt_f32_f16_sdwa v19, v14 dst_sel:DWORD dst_unused:UNUSED_PAD src0_sel:WORD_1
	v_cvt_f32_f16_e32 v18, v14
	v_cvt_f32_f16_sdwa v23, v15 dst_sel:DWORD dst_unused:UNUSED_PAD src0_sel:WORD_1
	v_cvt_f32_f16_e32 v22, v15
	;; [unrolled: 2-line block ×4, first 2 shown]
	s_waitcnt vmcnt(2)
	v_cvt_f32_f16_sdwa v21, v10 dst_sel:DWORD dst_unused:UNUSED_PAD src0_sel:WORD_1
	v_cvt_f32_f16_e32 v20, v10
	v_cvt_f32_f16_sdwa v29, v11 dst_sel:DWORD dst_unused:UNUSED_PAD src0_sel:WORD_1
	v_cvt_f32_f16_e32 v28, v11
	;; [unrolled: 2-line block ×4, first 2 shown]
.LBB947_5:
	s_or_b64 exec, exec, s[0:1]
	s_waitcnt vmcnt(2)
	v_mul_f32_e32 v10, v19, v19
	v_fmac_f32_e32 v10, v18, v18
	v_fmac_f32_e32 v10, v22, v22
	;; [unrolled: 1-line block ×15, first 2 shown]
	v_and_b32_e32 v12, 63, v0
	v_cmp_eq_u32_e64 s[0:1], 63, v12
	v_mov_b32_dpp v11, v10 quad_perm:[1,0,3,2] row_mask:0xf bank_mask:0xf
	v_add_f32_e32 v10, v10, v11
	s_nop 1
	v_mov_b32_dpp v11, v10 quad_perm:[2,3,0,1] row_mask:0xf bank_mask:0xf
	v_add_f32_e32 v10, v10, v11
	s_nop 1
	v_mov_b32_dpp v11, v10 row_half_mirror row_mask:0xf bank_mask:0xf
	v_add_f32_e32 v10, v10, v11
	s_nop 1
	v_mov_b32_dpp v11, v10 row_mirror row_mask:0xf bank_mask:0xf
	v_add_f32_e32 v10, v10, v11
	s_nop 1
	v_mov_b32_dpp v11, v10 row_bcast:15 row_mask:0xf bank_mask:0xf
	v_add_f32_e32 v10, v10, v11
	s_nop 1
	v_mov_b32_dpp v11, v10 row_bcast:31 row_mask:0xf bank_mask:0xf
	s_and_saveexec_b64 s[14:15], s[0:1]
	s_cbranch_execz .LBB947_7
; %bb.6:
	v_add_f32_e32 v10, v10, v11
	v_lshrrev_b32_e32 v11, 4, v0
	v_and_b32_e32 v11, 60, v11
	ds_write_b32 v11, v10 offset:32
.LBB947_7:
	s_or_b64 exec, exec, s[14:15]
	v_and_b32_e32 v10, 7, v0
	v_lshlrev_b32_e32 v34, 2, v10
	s_waitcnt lgkmcnt(0)
	s_barrier
	ds_read_b32 v10, v34 offset:32
	s_load_dwordx2 s[14:15], s[4:5], 0x18
	s_waitcnt lgkmcnt(0)
	v_mov_b32_dpp v11, v10 quad_perm:[1,0,3,2] row_mask:0xf bank_mask:0xf
	v_add_f32_e32 v10, v10, v11
	s_nop 1
	v_mov_b32_dpp v11, v10 quad_perm:[2,3,0,1] row_mask:0xf bank_mask:0xf
	v_add_f32_e32 v10, v10, v11
	s_nop 1
	v_mov_b32_dpp v11, v10 row_half_mirror row_mask:0xf bank_mask:0xf
	s_and_saveexec_b64 s[20:21], s[2:3]
	s_cbranch_execz .LBB947_9
; %bb.8:
	v_cvt_f32_u32_e32 v12, s7
	v_add_f32_e32 v10, v10, v11
	v_mov_b32_e32 v14, s13
	v_mov_b32_e32 v15, s12
	v_div_scale_f32 v11, s[26:27], v12, v12, v10
	v_rcp_f32_e32 v13, v11
	v_cndmask_b32_e32 v14, v14, v15, vcc
	s_mov_b32 s7, 0x800000
	v_fma_f32 v15, -v11, v13, 1.0
	v_fmac_f32_e32 v13, v15, v13
	v_div_scale_f32 v15, vcc, v10, v12, v10
	v_mul_f32_e32 v16, v15, v13
	v_fma_f32 v17, -v11, v16, v15
	v_fmac_f32_e32 v16, v17, v13
	v_fma_f32 v11, -v11, v16, v15
	v_div_fmas_f32 v11, v11, v13, v16
	v_div_fixup_f32 v10, v11, v12, v10
	v_add_f32_e32 v10, v14, v10
	v_mul_f32_e32 v11, 0x4b800000, v10
	v_cmp_gt_f32_e32 vcc, s7, v10
	v_cndmask_b32_e32 v10, v10, v11, vcc
	v_rsq_f32_e32 v10, v10
	v_mul_f32_e32 v11, 0x45800000, v10
	v_cndmask_b32_e32 v10, v10, v11, vcc
	v_mov_b32_e32 v11, v10
	;;#ASMSTART
	v_pk_mul_f32 v[12:13], v[18:19], v[10:11]
	;;#ASMEND
	s_waitcnt vmcnt(1)
	v_cvt_f32_f16_sdwa v19, v6 dst_sel:DWORD dst_unused:UNUSED_PAD src0_sel:WORD_1
	v_cvt_f32_f16_e32 v18, v6
	;;#ASMSTART
	v_pk_mul_f32 v[14:15], v[22:23], v[10:11]
	;;#ASMEND
	v_cvt_f32_f16_sdwa v23, v7 dst_sel:DWORD dst_unused:UNUSED_PAD src0_sel:WORD_1
	v_cvt_f32_f16_e32 v22, v7
	;;#ASMSTART
	v_pk_mul_f32 v[16:17], v[24:25], v[10:11]
	;;#ASMEND
	;;#ASMSTART
	v_pk_mul_f32 v[32:33], v[32:33], v[10:11]
	;;#ASMEND
	;; [unrolled: 3-line block ×6, first 2 shown]
	v_pk_add_f32 v[10:11], v[18:19], 1.0 op_sel_hi:[1,0]
	;;#ASMSTART
	v_pk_mul_f32 v[18:19], v[12:13], v[10:11]
	;;#ASMEND
	v_cvt_f32_f16_sdwa v13, v8 dst_sel:DWORD dst_unused:UNUSED_PAD src0_sel:WORD_1
	v_cvt_f32_f16_e32 v12, v8
	v_cvt_f32_f16_sdwa v27, v9 dst_sel:DWORD dst_unused:UNUSED_PAD src0_sel:WORD_1
	v_cvt_f32_f16_e32 v26, v9
	v_pk_add_f32 v[10:11], v[22:23], 1.0 op_sel_hi:[1,0]
	;;#ASMSTART
	v_pk_mul_f32 v[22:23], v[14:15], v[10:11]
	;;#ASMEND
	s_waitcnt vmcnt(0)
	v_cvt_f32_f16_sdwa v11, v2 dst_sel:DWORD dst_unused:UNUSED_PAD src0_sel:WORD_1
	v_cvt_f32_f16_e32 v10, v2
	v_pk_add_f32 v[8:9], v[12:13], 1.0 op_sel_hi:[1,0]
	;;#ASMSTART
	v_pk_mul_f32 v[24:25], v[16:17], v[8:9]
	;;#ASMEND
	v_pk_add_f32 v[8:9], v[26:27], 1.0 op_sel_hi:[1,0]
	v_cvt_f32_f16_sdwa v13, v3 dst_sel:DWORD dst_unused:UNUSED_PAD src0_sel:WORD_1
	v_cvt_f32_f16_e32 v12, v3
	;;#ASMSTART
	v_pk_mul_f32 v[32:33], v[32:33], v[8:9]
	;;#ASMEND
	v_cvt_f32_f16_sdwa v9, v4 dst_sel:DWORD dst_unused:UNUSED_PAD src0_sel:WORD_1
	v_cvt_f32_f16_e32 v8, v4
	v_pk_add_f32 v[2:3], v[10:11], 1.0 op_sel_hi:[1,0]
	v_cvt_f32_f16_sdwa v11, v5 dst_sel:DWORD dst_unused:UNUSED_PAD src0_sel:WORD_1
	v_cvt_f32_f16_e32 v10, v5
	;;#ASMSTART
	v_pk_mul_f32 v[20:21], v[20:21], v[2:3]
	;;#ASMEND
	v_pk_add_f32 v[2:3], v[12:13], 1.0 op_sel_hi:[1,0]
	;;#ASMSTART
	v_pk_mul_f32 v[28:29], v[28:29], v[2:3]
	;;#ASMEND
	v_pk_add_f32 v[2:3], v[8:9], 1.0 op_sel_hi:[1,0]
	;; [unrolled: 4-line block ×3, first 2 shown]
	;;#ASMSTART
	v_pk_mul_f32 v[26:27], v[6:7], v[2:3]
	;;#ASMEND
.LBB947_9:
	s_or_b64 exec, exec, s[20:21]
	s_load_dwordx2 s[26:27], s[4:5], 0x7c
	s_mov_b64 s[20:21], -1
	s_and_b64 vcc, exec, s[10:11]
	s_cbranch_vccnz .LBB947_13
; %bb.10:
	s_andn2_b64 vcc, exec, s[20:21]
	s_cbranch_vccz .LBB947_16
.LBB947_11:
	s_cmp_lt_i32 s16, 1
	s_cbranch_scc0 .LBB947_19
.LBB947_12:
	s_endpgm
.LBB947_13:
	s_and_saveexec_b64 s[10:11], s[2:3]
	s_cbranch_execz .LBB947_15
; %bb.14:
	s_waitcnt lgkmcnt(0)
	s_mul_hi_i32 s21, s27, s6
	s_mul_i32 s20, s27, s6
	s_waitcnt vmcnt(0)
	v_cvt_f16_f32_e32 v2, v18
	v_cvt_f16_f32_e32 v3, v22
	;; [unrolled: 1-line block ×8, first 2 shown]
	s_lshl_b64 s[20:21], s[20:21], 1
	s_add_u32 s20, s14, s20
	s_addc_u32 s7, s15, s21
	s_and_b32 s21, s7, 0xffff
	s_mov_b32 s23, 0x20000
	v_pack_b32_f16 v5, v5, v6
	v_pack_b32_f16 v4, v4, v7
	;; [unrolled: 1-line block ×4, first 2 shown]
	v_lshlrev_b32_e32 v6, 5, v0
	buffer_store_dwordx4 v[2:5], v6, s[20:23], 0 offen
	v_cvt_f16_f32_e32 v7, v27
	v_cvt_f16_f32_e32 v2, v20
	;; [unrolled: 1-line block ×8, first 2 shown]
	v_pack_b32_f16 v5, v5, v7
	v_pack_b32_f16 v4, v4, v8
	;; [unrolled: 1-line block ×4, first 2 shown]
	;;#ASMSTART
	s_nop 0
	;;#ASMEND
	buffer_store_dwordx4 v[2:5], v6, s[20:23], 16 offen
	;;#ASMSTART
	s_nop 0
	;;#ASMEND
.LBB947_15:
	s_or_b64 exec, exec, s[10:11]
	s_cbranch_execnz .LBB947_11
.LBB947_16:
	s_and_saveexec_b64 s[10:11], s[2:3]
	s_cbranch_execz .LBB947_18
; %bb.17:
	s_load_dwordx2 s[2:3], s[4:5], 0x10
	s_waitcnt lgkmcnt(0)
	s_mul_hi_i32 s21, s26, s6
	s_mul_i32 s20, s26, s6
	s_waitcnt vmcnt(0)
	v_cvt_f16_f32_e32 v2, v18
	v_cvt_f16_f32_e32 v3, v22
	;; [unrolled: 1-line block ×8, first 2 shown]
	s_lshl_b64 s[20:21], s[20:21], 1
	s_add_u32 s20, s2, s20
	s_addc_u32 s2, s3, s21
	s_mov_b32 s23, 0x20000
	s_and_b32 s21, s2, 0xffff
	v_pack_b32_f16 v5, v5, v6
	v_pack_b32_f16 v4, v4, v7
	;; [unrolled: 1-line block ×4, first 2 shown]
	v_lshlrev_b32_e32 v6, 5, v0
	buffer_store_dwordx4 v[2:5], v6, s[20:23], 0 offen
	v_cvt_f16_f32_e32 v7, v27
	v_cvt_f16_f32_e32 v2, v20
	;; [unrolled: 1-line block ×8, first 2 shown]
	v_pack_b32_f16 v5, v5, v7
	v_pack_b32_f16 v4, v4, v8
	;; [unrolled: 1-line block ×4, first 2 shown]
	;;#ASMSTART
	s_nop 0
	;;#ASMEND
	buffer_store_dwordx4 v[2:5], v6, s[20:23], 16 offen
	;;#ASMSTART
	s_nop 0
	;;#ASMEND
.LBB947_18:
	s_or_b64 exec, exec, s[10:11]
	s_cmp_lt_i32 s16, 1
	s_cbranch_scc1 .LBB947_12
.LBB947_19:
	s_load_dword s2, s[4:5], 0x94
	s_waitcnt lgkmcnt(0)
	s_cmp_lg_u32 s2, 1
	s_cbranch_scc1 .LBB947_12
; %bb.20:
	s_lshl_b32 s2, s16, 1
	s_add_i32 s2, s2, 2
	v_cmp_gt_u32_e32 vcc, s16, v1
	s_and_b32 s10, s2, -4
	v_mov_b32_e32 v18, 0
	v_lshlrev_b32_e32 v1, 5, v0
	v_mov_b32_e32 v14, 0
	v_mov_b32_e32 v15, 0
	;; [unrolled: 1-line block ×8, first 2 shown]
	s_waitcnt vmcnt(1)
	v_mov_b32_e32 v6, 0
	v_mov_b32_e32 v7, 0
	;; [unrolled: 1-line block ×4, first 2 shown]
	s_waitcnt vmcnt(0)
	v_mov_b32_e32 v2, 0
	v_mov_b32_e32 v3, 0
	;; [unrolled: 1-line block ×4, first 2 shown]
	s_barrier
	s_and_saveexec_b64 s[2:3], vcc
	s_cbranch_execz .LBB947_22
; %bb.21:
	s_mul_hi_i32 s5, s18, s6
	s_mul_i32 s4, s18, s6
	s_and_b32 s9, s9, 0xffff
	s_lshl_b64 s[4:5], s[4:5], 1
	s_add_u32 s20, s24, s4
	s_mov_b32 s11, 0x20000
	s_addc_u32 s4, s25, s5
	s_and_b32 s21, s4, 0xffff
	s_mov_b32 s22, s10
	s_mov_b32 s23, s11
	buffer_load_dwordx4 v[14:17], v1, s[20:23], 0 offen
	buffer_load_dwordx4 v[10:13], v1, s[20:23], 16 offen
	;; [unrolled: 1-line block ×4, first 2 shown]
.LBB947_22:
	s_or_b64 exec, exec, s[2:3]
	v_mov_b32_e32 v19, 0
	v_mov_b32_e32 v32, 0
	;; [unrolled: 1-line block ×15, first 2 shown]
	s_and_saveexec_b64 s[2:3], vcc
	s_cbranch_execz .LBB947_24
; %bb.23:
	s_waitcnt vmcnt(3)
	v_cvt_f32_f16_sdwa v19, v14 dst_sel:DWORD dst_unused:UNUSED_PAD src0_sel:WORD_1
	v_cvt_f32_f16_e32 v18, v14
	v_cvt_f32_f16_sdwa v33, v15 dst_sel:DWORD dst_unused:UNUSED_PAD src0_sel:WORD_1
	v_cvt_f32_f16_e32 v32, v15
	;; [unrolled: 2-line block ×4, first 2 shown]
	s_waitcnt vmcnt(2)
	v_cvt_f32_f16_sdwa v27, v10 dst_sel:DWORD dst_unused:UNUSED_PAD src0_sel:WORD_1
	v_cvt_f32_f16_e32 v26, v10
	v_cvt_f32_f16_sdwa v25, v11 dst_sel:DWORD dst_unused:UNUSED_PAD src0_sel:WORD_1
	v_cvt_f32_f16_e32 v24, v11
	;; [unrolled: 2-line block ×4, first 2 shown]
.LBB947_24:
	s_or_b64 exec, exec, s[2:3]
	s_waitcnt vmcnt(2)
	v_mul_f32_e32 v10, v19, v19
	v_fmac_f32_e32 v10, v18, v18
	v_fmac_f32_e32 v10, v32, v32
	v_fmac_f32_e32 v10, v33, v33
	v_fmac_f32_e32 v10, v30, v30
	v_fmac_f32_e32 v10, v31, v31
	v_fmac_f32_e32 v10, v28, v28
	v_fmac_f32_e32 v10, v29, v29
	v_fmac_f32_e32 v10, v26, v26
	v_fmac_f32_e32 v10, v27, v27
	v_fmac_f32_e32 v10, v24, v24
	v_fmac_f32_e32 v10, v25, v25
	v_fmac_f32_e32 v10, v22, v22
	v_fmac_f32_e32 v10, v23, v23
	v_fmac_f32_e32 v10, v20, v20
	v_fmac_f32_e32 v10, v21, v21
	s_nop 1
	v_mov_b32_dpp v11, v10 quad_perm:[1,0,3,2] row_mask:0xf bank_mask:0xf
	v_add_f32_e32 v10, v10, v11
	s_nop 1
	v_mov_b32_dpp v11, v10 quad_perm:[2,3,0,1] row_mask:0xf bank_mask:0xf
	v_add_f32_e32 v10, v10, v11
	s_nop 1
	v_mov_b32_dpp v11, v10 row_half_mirror row_mask:0xf bank_mask:0xf
	v_add_f32_e32 v10, v10, v11
	s_nop 1
	v_mov_b32_dpp v11, v10 row_mirror row_mask:0xf bank_mask:0xf
	v_add_f32_e32 v10, v10, v11
	s_nop 1
	v_mov_b32_dpp v11, v10 row_bcast:15 row_mask:0xf bank_mask:0xf
	v_add_f32_e32 v10, v10, v11
	s_nop 1
	v_mov_b32_dpp v11, v10 row_bcast:31 row_mask:0xf bank_mask:0xf
	s_and_saveexec_b64 s[2:3], s[0:1]
	s_cbranch_execz .LBB947_26
; %bb.25:
	v_lshrrev_b32_e32 v0, 4, v0
	v_add_f32_e32 v10, v10, v11
	v_and_b32_e32 v0, 60, v0
	ds_write_b32 v0, v10
.LBB947_26:
	s_or_b64 exec, exec, s[2:3]
	s_waitcnt lgkmcnt(0)
	s_barrier
	ds_read_b32 v0, v34
	s_waitcnt lgkmcnt(0)
	s_nop 0
	v_mov_b32_dpp v10, v0 quad_perm:[1,0,3,2] row_mask:0xf bank_mask:0xf
	v_add_f32_e32 v0, v0, v10
	s_nop 1
	v_mov_b32_dpp v10, v0 quad_perm:[2,3,0,1] row_mask:0xf bank_mask:0xf
	v_add_f32_e32 v0, v0, v10
	s_nop 1
	v_mov_b32_dpp v10, v0 row_half_mirror row_mask:0xf bank_mask:0xf
	s_and_saveexec_b64 s[0:1], vcc
	s_cbranch_execz .LBB947_12
; %bb.27:
	v_cvt_f32_u32_e32 v11, s16
	v_add_f32_e32 v0, v0, v10
	s_mov_b32 s11, 0x20000
	v_div_scale_f32 v10, s[0:1], v11, v11, v0
	v_rcp_f32_e32 v12, v10
	v_div_scale_f32 v13, vcc, v0, v11, v0
	s_mov_b32 s0, 0x800000
	v_fma_f32 v14, -v10, v12, 1.0
	v_fmac_f32_e32 v12, v14, v12
	v_mul_f32_e32 v14, v13, v12
	v_fma_f32 v15, -v10, v14, v13
	v_fmac_f32_e32 v14, v15, v12
	v_fma_f32 v10, -v10, v14, v13
	v_div_fmas_f32 v10, v10, v12, v14
	v_div_fixup_f32 v0, v10, v11, v0
	v_add_f32_e32 v0, s13, v0
	v_mul_f32_e32 v10, 0x4b800000, v0
	v_cmp_gt_f32_e32 vcc, s0, v0
	v_cndmask_b32_e32 v0, v0, v10, vcc
	v_rsq_f32_e32 v0, v0
	s_mul_hi_i32 s1, s27, s6
	s_mul_i32 s0, s27, s6
	s_lshl_b64 s[0:1], s[0:1], 1
	v_mul_f32_e32 v10, 0x45800000, v0
	v_cndmask_b32_e32 v10, v0, v10, vcc
	v_mov_b32_e32 v11, v10
	;;#ASMSTART
	v_pk_mul_f32 v[12:13], v[18:19], v[10:11]
	;;#ASMEND
	;;#ASMSTART
	v_pk_mul_f32 v[14:15], v[32:33], v[10:11]
	;;#ASMEND
	;; [unrolled: 3-line block ×4, first 2 shown]
	s_waitcnt vmcnt(1)
	v_cvt_f32_f16_sdwa v29, v6 dst_sel:DWORD dst_unused:UNUSED_PAD src0_sel:WORD_1
	v_cvt_f32_f16_e32 v28, v6
	v_cvt_f32_f16_sdwa v31, v7 dst_sel:DWORD dst_unused:UNUSED_PAD src0_sel:WORD_1
	v_cvt_f32_f16_e32 v30, v7
	;;#ASMSTART
	v_pk_mul_f32 v[26:27], v[26:27], v[10:11]
	;;#ASMEND
	;;#ASMSTART
	v_pk_mul_f32 v[24:25], v[24:25], v[10:11]
	;;#ASMEND
	;; [unrolled: 3-line block ×4, first 2 shown]
	v_cvt_f32_f16_sdwa v21, v8 dst_sel:DWORD dst_unused:UNUSED_PAD src0_sel:WORD_1
	v_cvt_f32_f16_e32 v20, v8
	v_pk_add_f32 v[10:11], v[28:29], 1.0 op_sel_hi:[1,0]
	;;#ASMSTART
	v_pk_mul_f32 v[10:11], v[12:13], v[10:11]
	;;#ASMEND
	v_pk_add_f32 v[12:13], v[30:31], 1.0 op_sel_hi:[1,0]
	v_cvt_f32_f16_sdwa v29, v9 dst_sel:DWORD dst_unused:UNUSED_PAD src0_sel:WORD_1
	v_cvt_f32_f16_e32 v28, v9
	;;#ASMSTART
	v_pk_mul_f32 v[8:9], v[14:15], v[12:13]
	;;#ASMEND
	v_pk_add_f32 v[12:13], v[20:21], 1.0 op_sel_hi:[1,0]
	;;#ASMSTART
	v_pk_mul_f32 v[12:13], v[16:17], v[12:13]
	;;#ASMEND
	s_waitcnt vmcnt(0)
	v_cvt_f32_f16_sdwa v17, v2 dst_sel:DWORD dst_unused:UNUSED_PAD src0_sel:WORD_1
	v_cvt_f32_f16_e32 v16, v2
	v_cvt_f32_f16_sdwa v21, v3 dst_sel:DWORD dst_unused:UNUSED_PAD src0_sel:WORD_1
	v_cvt_f32_f16_e32 v20, v3
	v_pk_add_f32 v[14:15], v[28:29], 1.0 op_sel_hi:[1,0]
	;;#ASMSTART
	v_pk_mul_f32 v[2:3], v[18:19], v[14:15]
	;;#ASMEND
	v_cvt_f32_f16_sdwa v19, v4 dst_sel:DWORD dst_unused:UNUSED_PAD src0_sel:WORD_1
	v_cvt_f32_f16_e32 v18, v4
	v_pk_add_f32 v[14:15], v[16:17], 1.0 op_sel_hi:[1,0]
	v_pk_add_f32 v[16:17], v[20:21], 1.0 op_sel_hi:[1,0]
	v_cvt_f32_f16_sdwa v21, v5 dst_sel:DWORD dst_unused:UNUSED_PAD src0_sel:WORD_1
	v_cvt_f32_f16_e32 v20, v5
	v_pk_add_f32 v[4:5], v[18:19], 1.0 op_sel_hi:[1,0]
	;;#ASMSTART
	v_pk_mul_f32 v[14:15], v[26:27], v[14:15]
	;;#ASMEND
	;;#ASMSTART
	v_pk_mul_f32 v[16:17], v[24:25], v[16:17]
	;;#ASMEND
	;; [unrolled: 3-line block ×3, first 2 shown]
	v_pk_add_f32 v[4:5], v[20:21], 1.0 op_sel_hi:[1,0]
	;;#ASMSTART
	v_pk_mul_f32 v[6:7], v[6:7], v[4:5]
	;;#ASMEND
	v_cvt_f16_f32_e32 v0, v10
	v_cvt_f16_f32_e32 v4, v11
	;; [unrolled: 1-line block ×8, first 2 shown]
	s_add_u32 s8, s14, s0
	s_addc_u32 s0, s15, s1
	s_and_b32 s9, s0, 0xffff
	v_pack_b32_f16 v2, v0, v4
	v_pack_b32_f16 v3, v5, v8
	;; [unrolled: 1-line block ×4, first 2 shown]
	buffer_store_dwordx4 v[2:5], v1, s[8:11], 0 offen
	v_cvt_f16_f32_e32 v0, v14
	v_cvt_f16_f32_e32 v2, v15
	;; [unrolled: 1-line block ×8, first 2 shown]
	v_pack_b32_f16 v2, v0, v2
	v_pack_b32_f16 v3, v3, v4
	;; [unrolled: 1-line block ×4, first 2 shown]
	;;#ASMSTART
	s_nop 0
	;;#ASMEND
	buffer_store_dwordx4 v[2:5], v1, s[8:11], 16 offen
	;;#ASMSTART
	s_nop 0
	;;#ASMEND
	s_endpgm
	.section	.rodata,"a",@progbits
	.p2align	6, 0x0
	.amdhsa_kernel _ZN5aiter35fused_qk_rmsnorm_group_quant_kernelIDF16_N4opus5fp4_tELi512ELi16ELi4ELb0ELb1ELb1ELb1ELb0ELb0EEEvPT0_PvPT_S7_S7_PKS6_S9_S9_S9_S9_ffiiiiiiiiiiiii
		.amdhsa_group_segment_fixed_size 64
		.amdhsa_private_segment_fixed_size 0
		.amdhsa_kernarg_size 400
		.amdhsa_user_sgpr_count 6
		.amdhsa_user_sgpr_private_segment_buffer 1
		.amdhsa_user_sgpr_dispatch_ptr 0
		.amdhsa_user_sgpr_queue_ptr 0
		.amdhsa_user_sgpr_kernarg_segment_ptr 1
		.amdhsa_user_sgpr_dispatch_id 0
		.amdhsa_user_sgpr_flat_scratch_init 0
		.amdhsa_user_sgpr_kernarg_preload_length 0
		.amdhsa_user_sgpr_kernarg_preload_offset 0
		.amdhsa_user_sgpr_private_segment_size 0
		.amdhsa_uses_dynamic_stack 0
		.amdhsa_system_sgpr_private_segment_wavefront_offset 0
		.amdhsa_system_sgpr_workgroup_id_x 1
		.amdhsa_system_sgpr_workgroup_id_y 1
		.amdhsa_system_sgpr_workgroup_id_z 0
		.amdhsa_system_sgpr_workgroup_info 0
		.amdhsa_system_vgpr_workitem_id 0
		.amdhsa_next_free_vgpr 35
		.amdhsa_next_free_sgpr 32
		.amdhsa_accum_offset 36
		.amdhsa_reserve_vcc 1
		.amdhsa_reserve_flat_scratch 0
		.amdhsa_float_round_mode_32 0
		.amdhsa_float_round_mode_16_64 0
		.amdhsa_float_denorm_mode_32 3
		.amdhsa_float_denorm_mode_16_64 3
		.amdhsa_dx10_clamp 1
		.amdhsa_ieee_mode 1
		.amdhsa_fp16_overflow 0
		.amdhsa_tg_split 0
		.amdhsa_exception_fp_ieee_invalid_op 0
		.amdhsa_exception_fp_denorm_src 0
		.amdhsa_exception_fp_ieee_div_zero 0
		.amdhsa_exception_fp_ieee_overflow 0
		.amdhsa_exception_fp_ieee_underflow 0
		.amdhsa_exception_fp_ieee_inexact 0
		.amdhsa_exception_int_div_zero 0
	.end_amdhsa_kernel
	.section	.text._ZN5aiter35fused_qk_rmsnorm_group_quant_kernelIDF16_N4opus5fp4_tELi512ELi16ELi4ELb0ELb1ELb1ELb1ELb0ELb0EEEvPT0_PvPT_S7_S7_PKS6_S9_S9_S9_S9_ffiiiiiiiiiiiii,"axG",@progbits,_ZN5aiter35fused_qk_rmsnorm_group_quant_kernelIDF16_N4opus5fp4_tELi512ELi16ELi4ELb0ELb1ELb1ELb1ELb0ELb0EEEvPT0_PvPT_S7_S7_PKS6_S9_S9_S9_S9_ffiiiiiiiiiiiii,comdat
.Lfunc_end947:
	.size	_ZN5aiter35fused_qk_rmsnorm_group_quant_kernelIDF16_N4opus5fp4_tELi512ELi16ELi4ELb0ELb1ELb1ELb1ELb0ELb0EEEvPT0_PvPT_S7_S7_PKS6_S9_S9_S9_S9_ffiiiiiiiiiiiii, .Lfunc_end947-_ZN5aiter35fused_qk_rmsnorm_group_quant_kernelIDF16_N4opus5fp4_tELi512ELi16ELi4ELb0ELb1ELb1ELb1ELb0ELb0EEEvPT0_PvPT_S7_S7_PKS6_S9_S9_S9_S9_ffiiiiiiiiiiiii
                                        ; -- End function
	.section	.AMDGPU.csdata,"",@progbits
; Kernel info:
; codeLenInByte = 3000
; NumSgprs: 36
; NumVgprs: 35
; NumAgprs: 0
; TotalNumVgprs: 35
; ScratchSize: 0
; MemoryBound: 0
; FloatMode: 240
; IeeeMode: 1
; LDSByteSize: 64 bytes/workgroup (compile time only)
; SGPRBlocks: 4
; VGPRBlocks: 4
; NumSGPRsForWavesPerEU: 36
; NumVGPRsForWavesPerEU: 35
; AccumOffset: 36
; Occupancy: 8
; WaveLimiterHint : 0
; COMPUTE_PGM_RSRC2:SCRATCH_EN: 0
; COMPUTE_PGM_RSRC2:USER_SGPR: 6
; COMPUTE_PGM_RSRC2:TRAP_HANDLER: 0
; COMPUTE_PGM_RSRC2:TGID_X_EN: 1
; COMPUTE_PGM_RSRC2:TGID_Y_EN: 1
; COMPUTE_PGM_RSRC2:TGID_Z_EN: 0
; COMPUTE_PGM_RSRC2:TIDIG_COMP_CNT: 0
; COMPUTE_PGM_RSRC3_GFX90A:ACCUM_OFFSET: 8
; COMPUTE_PGM_RSRC3_GFX90A:TG_SPLIT: 0
	.section	.text._ZN5aiter35fused_qk_rmsnorm_group_quant_kernelItN4opus5fp4_tELi512ELi16ELi4ELb0ELb1ELb1ELb1ELb0ELb0EEEvPT0_PvPT_S7_S7_PKS6_S9_S9_S9_S9_ffiiiiiiiiiiiii,"axG",@progbits,_ZN5aiter35fused_qk_rmsnorm_group_quant_kernelItN4opus5fp4_tELi512ELi16ELi4ELb0ELb1ELb1ELb1ELb0ELb0EEEvPT0_PvPT_S7_S7_PKS6_S9_S9_S9_S9_ffiiiiiiiiiiiii,comdat
	.protected	_ZN5aiter35fused_qk_rmsnorm_group_quant_kernelItN4opus5fp4_tELi512ELi16ELi4ELb0ELb1ELb1ELb1ELb0ELb0EEEvPT0_PvPT_S7_S7_PKS6_S9_S9_S9_S9_ffiiiiiiiiiiiii ; -- Begin function _ZN5aiter35fused_qk_rmsnorm_group_quant_kernelItN4opus5fp4_tELi512ELi16ELi4ELb0ELb1ELb1ELb1ELb0ELb0EEEvPT0_PvPT_S7_S7_PKS6_S9_S9_S9_S9_ffiiiiiiiiiiiii
	.globl	_ZN5aiter35fused_qk_rmsnorm_group_quant_kernelItN4opus5fp4_tELi512ELi16ELi4ELb0ELb1ELb1ELb1ELb0ELb0EEEvPT0_PvPT_S7_S7_PKS6_S9_S9_S9_S9_ffiiiiiiiiiiiii
	.p2align	8
	.type	_ZN5aiter35fused_qk_rmsnorm_group_quant_kernelItN4opus5fp4_tELi512ELi16ELi4ELb0ELb1ELb1ELb1ELb0ELb0EEEvPT0_PvPT_S7_S7_PKS6_S9_S9_S9_S9_ffiiiiiiiiiiiii,@function
_ZN5aiter35fused_qk_rmsnorm_group_quant_kernelItN4opus5fp4_tELi512ELi16ELi4ELb0ELb1ELb1ELb1ELb0ELb0EEEvPT0_PvPT_S7_S7_PKS6_S9_S9_S9_S9_ffiiiiiiiiiiiii: ; @_ZN5aiter35fused_qk_rmsnorm_group_quant_kernelItN4opus5fp4_tELi512ELi16ELi4ELb0ELb1ELb1ELb1ELb0ELb0EEEvPT0_PvPT_S7_S7_PKS6_S9_S9_S9_S9_ffiiiiiiiiiiiii
; %bb.0:
	s_load_dwordx4 s[12:15], s[4:5], 0x50
	s_waitcnt lgkmcnt(0)
	s_cmp_ge_i32 s6, s14
	s_cbranch_scc1 .LBB948_12
; %bb.1:
	s_load_dwordx2 s[24:25], s[4:5], 0x30
	s_load_dwordx2 s[8:9], s[4:5], 0x48
	s_load_dwordx4 s[16:19], s[4:5], 0x60
	s_cmp_lg_u32 s7, 0
	s_cselect_b64 s[10:11], -1, 0
	s_cmp_eq_u32 s7, 0
	s_cselect_b64 vcc, -1, 0
	s_and_b64 s[0:1], vcc, exec
	s_waitcnt lgkmcnt(0)
	s_cselect_b32 s7, s15, s16
	s_add_i32 s0, s7, 1
	s_lshr_b32 s1, s0, 31
	s_add_i32 s0, s0, s1
	s_lshl_b32 s0, s0, 1
	v_lshlrev_b32_e32 v1, 4, v0
	s_and_b32 s22, s0, -4
	v_cmp_gt_i32_e64 s[2:3], s7, v1
	v_mov_b32_e32 v18, 0
	v_mov_b32_e32 v6, 0
	;; [unrolled: 1-line block ×17, first 2 shown]
	s_and_saveexec_b64 s[0:1], s[2:3]
	s_cbranch_execz .LBB948_3
; %bb.2:
	s_load_dwordx2 s[14:15], s[4:5], 0x28
	s_load_dwordx2 s[20:21], s[4:5], 0x40
	s_and_b64 s[26:27], vcc, exec
	s_cselect_b32 s17, s17, s18
	s_mov_b32 s30, s22
	s_waitcnt lgkmcnt(0)
	s_cselect_b32 s19, s15, s25
	s_cselect_b32 s23, s14, s24
	s_mul_hi_i32 s15, s17, s6
	s_mul_i32 s14, s17, s6
	s_lshl_b64 s[14:15], s[14:15], 1
	s_add_u32 s28, s23, s14
	s_addc_u32 s17, s19, s15
	s_and_b64 s[14:15], vcc, exec
	s_mov_b32 s23, 0x20000
	s_cselect_b32 s20, s20, s8
	s_cselect_b32 s14, s21, s9
	s_and_b32 s29, s17, 0xffff
	s_mov_b32 s31, s23
	v_lshlrev_b32_e32 v19, 5, v0
	s_and_b32 s21, s14, 0xffff
	buffer_load_dwordx4 v[14:17], v19, s[28:31], 0 offen
	buffer_load_dwordx4 v[10:13], v19, s[28:31], 16 offen
	;; [unrolled: 1-line block ×4, first 2 shown]
.LBB948_3:
	s_or_b64 exec, exec, s[0:1]
	v_mov_b32_e32 v19, 0
	v_mov_b32_e32 v20, 0
	;; [unrolled: 1-line block ×15, first 2 shown]
	s_and_saveexec_b64 s[0:1], s[2:3]
	s_cbranch_execz .LBB948_5
; %bb.4:
	s_waitcnt vmcnt(3)
	v_cvt_f32_u32_sdwa v18, v14 dst_sel:DWORD dst_unused:UNUSED_PAD src0_sel:WORD_0
	v_cvt_f32_u32_sdwa v19, v14 dst_sel:DWORD dst_unused:UNUSED_PAD src0_sel:WORD_1
	v_cvt_f32_u32_sdwa v20, v15 dst_sel:DWORD dst_unused:UNUSED_PAD src0_sel:WORD_0
	v_cvt_f32_u32_sdwa v21, v15 dst_sel:DWORD dst_unused:UNUSED_PAD src0_sel:WORD_1
	;; [unrolled: 2-line block ×4, first 2 shown]
	s_waitcnt vmcnt(2)
	v_cvt_f32_u32_sdwa v24, v10 dst_sel:DWORD dst_unused:UNUSED_PAD src0_sel:WORD_0
	v_cvt_f32_u32_sdwa v25, v10 dst_sel:DWORD dst_unused:UNUSED_PAD src0_sel:WORD_1
	v_cvt_f32_u32_sdwa v30, v11 dst_sel:DWORD dst_unused:UNUSED_PAD src0_sel:WORD_0
	v_cvt_f32_u32_sdwa v31, v11 dst_sel:DWORD dst_unused:UNUSED_PAD src0_sel:WORD_1
	;; [unrolled: 2-line block ×4, first 2 shown]
.LBB948_5:
	s_or_b64 exec, exec, s[0:1]
	s_waitcnt vmcnt(2)
	v_mul_f32_e32 v10, v19, v19
	v_fmac_f32_e32 v10, v18, v18
	v_fmac_f32_e32 v10, v20, v20
	;; [unrolled: 1-line block ×15, first 2 shown]
	v_and_b32_e32 v12, 63, v0
	v_cmp_eq_u32_e64 s[0:1], 63, v12
	v_mov_b32_dpp v11, v10 quad_perm:[1,0,3,2] row_mask:0xf bank_mask:0xf
	v_add_f32_e32 v10, v10, v11
	s_nop 1
	v_mov_b32_dpp v11, v10 quad_perm:[2,3,0,1] row_mask:0xf bank_mask:0xf
	v_add_f32_e32 v10, v10, v11
	s_nop 1
	v_mov_b32_dpp v11, v10 row_half_mirror row_mask:0xf bank_mask:0xf
	v_add_f32_e32 v10, v10, v11
	s_nop 1
	v_mov_b32_dpp v11, v10 row_mirror row_mask:0xf bank_mask:0xf
	v_add_f32_e32 v10, v10, v11
	s_nop 1
	v_mov_b32_dpp v11, v10 row_bcast:15 row_mask:0xf bank_mask:0xf
	v_add_f32_e32 v10, v10, v11
	s_nop 1
	v_mov_b32_dpp v11, v10 row_bcast:31 row_mask:0xf bank_mask:0xf
	s_and_saveexec_b64 s[14:15], s[0:1]
	s_cbranch_execz .LBB948_7
; %bb.6:
	v_add_f32_e32 v10, v10, v11
	v_lshrrev_b32_e32 v11, 4, v0
	v_and_b32_e32 v11, 60, v11
	ds_write_b32 v11, v10 offset:32
.LBB948_7:
	s_or_b64 exec, exec, s[14:15]
	v_and_b32_e32 v10, 7, v0
	v_lshlrev_b32_e32 v34, 2, v10
	s_waitcnt lgkmcnt(0)
	s_barrier
	ds_read_b32 v10, v34 offset:32
	s_load_dwordx2 s[14:15], s[4:5], 0x18
	s_waitcnt lgkmcnt(0)
	v_mov_b32_dpp v11, v10 quad_perm:[1,0,3,2] row_mask:0xf bank_mask:0xf
	v_add_f32_e32 v10, v10, v11
	s_nop 1
	v_mov_b32_dpp v11, v10 quad_perm:[2,3,0,1] row_mask:0xf bank_mask:0xf
	v_add_f32_e32 v10, v10, v11
	s_nop 1
	v_mov_b32_dpp v11, v10 row_half_mirror row_mask:0xf bank_mask:0xf
	s_and_saveexec_b64 s[20:21], s[2:3]
	s_cbranch_execz .LBB948_9
; %bb.8:
	v_cvt_f32_u32_e32 v12, s7
	v_add_f32_e32 v10, v10, v11
	v_mov_b32_e32 v14, s13
	v_mov_b32_e32 v15, s12
	v_div_scale_f32 v11, s[26:27], v12, v12, v10
	v_rcp_f32_e32 v13, v11
	v_cndmask_b32_e32 v14, v14, v15, vcc
	s_mov_b32 s7, 0x800000
	v_fma_f32 v15, -v11, v13, 1.0
	v_fmac_f32_e32 v13, v15, v13
	v_div_scale_f32 v15, vcc, v10, v12, v10
	v_mul_f32_e32 v16, v15, v13
	v_fma_f32 v17, -v11, v16, v15
	v_fmac_f32_e32 v16, v17, v13
	v_fma_f32 v11, -v11, v16, v15
	v_div_fmas_f32 v11, v11, v13, v16
	v_div_fixup_f32 v10, v11, v12, v10
	v_add_f32_e32 v10, v14, v10
	v_mul_f32_e32 v11, 0x4b800000, v10
	v_cmp_gt_f32_e32 vcc, s7, v10
	v_cndmask_b32_e32 v10, v10, v11, vcc
	v_rsq_f32_e32 v10, v10
	v_mul_f32_e32 v11, 0x45800000, v10
	v_cndmask_b32_e32 v10, v10, v11, vcc
	v_mov_b32_e32 v11, v10
	;;#ASMSTART
	v_pk_mul_f32 v[12:13], v[18:19], v[10:11]
	;;#ASMEND
	s_waitcnt vmcnt(1)
	v_cvt_f32_u32_sdwa v19, v6 dst_sel:DWORD dst_unused:UNUSED_PAD src0_sel:WORD_1
	v_cvt_f32_u32_sdwa v18, v6 dst_sel:DWORD dst_unused:UNUSED_PAD src0_sel:WORD_0
	;;#ASMSTART
	v_pk_mul_f32 v[14:15], v[20:21], v[10:11]
	;;#ASMEND
	v_cvt_f32_u32_sdwa v21, v7 dst_sel:DWORD dst_unused:UNUSED_PAD src0_sel:WORD_1
	v_cvt_f32_u32_sdwa v20, v7 dst_sel:DWORD dst_unused:UNUSED_PAD src0_sel:WORD_0
	;;#ASMSTART
	v_pk_mul_f32 v[16:17], v[22:23], v[10:11]
	;;#ASMEND
	;;#ASMSTART
	v_pk_mul_f32 v[26:27], v[26:27], v[10:11]
	;;#ASMEND
	;; [unrolled: 3-line block ×6, first 2 shown]
	v_pk_add_f32 v[10:11], v[18:19], 1.0 op_sel_hi:[1,0]
	;;#ASMSTART
	v_pk_mul_f32 v[18:19], v[12:13], v[10:11]
	;;#ASMEND
	v_cvt_f32_u32_sdwa v13, v8 dst_sel:DWORD dst_unused:UNUSED_PAD src0_sel:WORD_1
	v_cvt_f32_u32_sdwa v12, v8 dst_sel:DWORD dst_unused:UNUSED_PAD src0_sel:WORD_0
	v_cvt_f32_u32_sdwa v29, v9 dst_sel:DWORD dst_unused:UNUSED_PAD src0_sel:WORD_1
	v_cvt_f32_u32_sdwa v28, v9 dst_sel:DWORD dst_unused:UNUSED_PAD src0_sel:WORD_0
	v_pk_add_f32 v[10:11], v[20:21], 1.0 op_sel_hi:[1,0]
	;;#ASMSTART
	v_pk_mul_f32 v[20:21], v[14:15], v[10:11]
	;;#ASMEND
	s_waitcnt vmcnt(0)
	v_cvt_f32_u32_sdwa v11, v2 dst_sel:DWORD dst_unused:UNUSED_PAD src0_sel:WORD_1
	v_cvt_f32_u32_sdwa v10, v2 dst_sel:DWORD dst_unused:UNUSED_PAD src0_sel:WORD_0
	v_pk_add_f32 v[8:9], v[12:13], 1.0 op_sel_hi:[1,0]
	;;#ASMSTART
	v_pk_mul_f32 v[22:23], v[16:17], v[8:9]
	;;#ASMEND
	v_pk_add_f32 v[8:9], v[28:29], 1.0 op_sel_hi:[1,0]
	v_cvt_f32_u32_sdwa v13, v3 dst_sel:DWORD dst_unused:UNUSED_PAD src0_sel:WORD_1
	v_cvt_f32_u32_sdwa v12, v3 dst_sel:DWORD dst_unused:UNUSED_PAD src0_sel:WORD_0
	;;#ASMSTART
	v_pk_mul_f32 v[26:27], v[26:27], v[8:9]
	;;#ASMEND
	v_cvt_f32_u32_sdwa v9, v4 dst_sel:DWORD dst_unused:UNUSED_PAD src0_sel:WORD_1
	v_cvt_f32_u32_sdwa v8, v4 dst_sel:DWORD dst_unused:UNUSED_PAD src0_sel:WORD_0
	v_pk_add_f32 v[2:3], v[10:11], 1.0 op_sel_hi:[1,0]
	v_cvt_f32_u32_sdwa v11, v5 dst_sel:DWORD dst_unused:UNUSED_PAD src0_sel:WORD_1
	v_cvt_f32_u32_sdwa v10, v5 dst_sel:DWORD dst_unused:UNUSED_PAD src0_sel:WORD_0
	;;#ASMSTART
	v_pk_mul_f32 v[24:25], v[24:25], v[2:3]
	;;#ASMEND
	v_pk_add_f32 v[2:3], v[12:13], 1.0 op_sel_hi:[1,0]
	;;#ASMSTART
	v_pk_mul_f32 v[30:31], v[30:31], v[2:3]
	;;#ASMEND
	v_pk_add_f32 v[2:3], v[8:9], 1.0 op_sel_hi:[1,0]
	;; [unrolled: 4-line block ×3, first 2 shown]
	;;#ASMSTART
	v_pk_mul_f32 v[28:29], v[6:7], v[2:3]
	;;#ASMEND
.LBB948_9:
	s_or_b64 exec, exec, s[20:21]
	s_load_dwordx2 s[26:27], s[4:5], 0x7c
	s_mov_b64 s[20:21], -1
	s_and_b64 vcc, exec, s[10:11]
	s_cbranch_vccnz .LBB948_13
; %bb.10:
	s_andn2_b64 vcc, exec, s[20:21]
	s_cbranch_vccz .LBB948_16
.LBB948_11:
	s_cmp_lt_i32 s16, 1
	s_cbranch_scc0 .LBB948_19
.LBB948_12:
	s_endpgm
.LBB948_13:
	s_and_saveexec_b64 s[10:11], s[2:3]
	s_cbranch_execz .LBB948_15
; %bb.14:
	s_waitcnt lgkmcnt(0)
	s_mul_hi_i32 s21, s27, s6
	s_mul_i32 s20, s27, s6
	s_lshl_b64 s[20:21], s[20:21], 1
	s_add_u32 s20, s14, s20
	s_addc_u32 s7, s15, s21
	s_and_b32 s21, s7, 0xffff
	s_mov_b32 s7, 0x7060302
	s_mov_b32 s23, 0x20000
	s_waitcnt vmcnt(0)
	v_perm_b32 v5, v27, v26, s7
	v_perm_b32 v4, v23, v22, s7
	;; [unrolled: 1-line block ×4, first 2 shown]
	v_lshlrev_b32_e32 v6, 5, v0
	buffer_store_dwordx4 v[2:5], v6, s[20:23], 0 offen
	;;#ASMSTART
	s_nop 0
	;;#ASMEND
	s_nop 0
	v_perm_b32 v5, v29, v28, s7
	v_perm_b32 v4, v33, v32, s7
	;; [unrolled: 1-line block ×4, first 2 shown]
	buffer_store_dwordx4 v[2:5], v6, s[20:23], 16 offen
	;;#ASMSTART
	s_nop 0
	;;#ASMEND
.LBB948_15:
	s_or_b64 exec, exec, s[10:11]
	s_cbranch_execnz .LBB948_11
.LBB948_16:
	s_and_saveexec_b64 s[10:11], s[2:3]
	s_cbranch_execz .LBB948_18
; %bb.17:
	s_load_dwordx2 s[2:3], s[4:5], 0x10
	s_waitcnt lgkmcnt(0)
	s_mul_hi_i32 s21, s26, s6
	s_mul_i32 s20, s26, s6
	s_lshl_b64 s[20:21], s[20:21], 1
	s_mov_b32 s23, 0x20000
	s_add_u32 s20, s2, s20
	s_addc_u32 s2, s3, s21
	s_and_b32 s21, s2, 0xffff
	s_mov_b32 s2, 0x7060302
	s_waitcnt vmcnt(0)
	v_perm_b32 v5, v27, v26, s2
	v_perm_b32 v4, v23, v22, s2
	;; [unrolled: 1-line block ×4, first 2 shown]
	v_lshlrev_b32_e32 v6, 5, v0
	buffer_store_dwordx4 v[2:5], v6, s[20:23], 0 offen
	;;#ASMSTART
	s_nop 0
	;;#ASMEND
	s_nop 0
	v_perm_b32 v5, v29, v28, s2
	v_perm_b32 v4, v33, v32, s2
	;; [unrolled: 1-line block ×4, first 2 shown]
	buffer_store_dwordx4 v[2:5], v6, s[20:23], 16 offen
	;;#ASMSTART
	s_nop 0
	;;#ASMEND
.LBB948_18:
	s_or_b64 exec, exec, s[10:11]
	s_cmp_lt_i32 s16, 1
	s_cbranch_scc1 .LBB948_12
.LBB948_19:
	s_load_dword s2, s[4:5], 0x94
	s_waitcnt lgkmcnt(0)
	s_cmp_lg_u32 s2, 1
	s_cbranch_scc1 .LBB948_12
; %bb.20:
	s_lshl_b32 s2, s16, 1
	s_add_i32 s2, s2, 2
	v_cmp_gt_u32_e32 vcc, s16, v1
	s_and_b32 s10, s2, -4
	v_mov_b32_e32 v18, 0
	v_lshlrev_b32_e32 v1, 5, v0
	v_mov_b32_e32 v14, 0
	v_mov_b32_e32 v15, 0
	;; [unrolled: 1-line block ×8, first 2 shown]
	s_waitcnt vmcnt(1)
	v_mov_b32_e32 v6, 0
	v_mov_b32_e32 v7, 0
	;; [unrolled: 1-line block ×4, first 2 shown]
	s_waitcnt vmcnt(0)
	v_mov_b32_e32 v2, 0
	v_mov_b32_e32 v3, 0
	;; [unrolled: 1-line block ×4, first 2 shown]
	s_barrier
	s_and_saveexec_b64 s[2:3], vcc
	s_cbranch_execz .LBB948_22
; %bb.21:
	s_mul_hi_i32 s5, s18, s6
	s_mul_i32 s4, s18, s6
	s_and_b32 s9, s9, 0xffff
	s_lshl_b64 s[4:5], s[4:5], 1
	s_add_u32 s20, s24, s4
	s_mov_b32 s11, 0x20000
	s_addc_u32 s4, s25, s5
	s_and_b32 s21, s4, 0xffff
	s_mov_b32 s22, s10
	s_mov_b32 s23, s11
	buffer_load_dwordx4 v[14:17], v1, s[20:23], 0 offen
	buffer_load_dwordx4 v[10:13], v1, s[20:23], 16 offen
	;; [unrolled: 1-line block ×4, first 2 shown]
.LBB948_22:
	s_or_b64 exec, exec, s[2:3]
	v_mov_b32_e32 v19, 0
	v_mov_b32_e32 v32, 0
	;; [unrolled: 1-line block ×15, first 2 shown]
	s_and_saveexec_b64 s[2:3], vcc
	s_cbranch_execz .LBB948_24
; %bb.23:
	s_waitcnt vmcnt(3)
	v_cvt_f32_u32_sdwa v18, v14 dst_sel:DWORD dst_unused:UNUSED_PAD src0_sel:WORD_0
	v_cvt_f32_u32_sdwa v19, v14 dst_sel:DWORD dst_unused:UNUSED_PAD src0_sel:WORD_1
	v_cvt_f32_u32_sdwa v32, v15 dst_sel:DWORD dst_unused:UNUSED_PAD src0_sel:WORD_0
	v_cvt_f32_u32_sdwa v33, v15 dst_sel:DWORD dst_unused:UNUSED_PAD src0_sel:WORD_1
	;; [unrolled: 2-line block ×4, first 2 shown]
	s_waitcnt vmcnt(2)
	v_cvt_f32_u32_sdwa v26, v10 dst_sel:DWORD dst_unused:UNUSED_PAD src0_sel:WORD_0
	v_cvt_f32_u32_sdwa v27, v10 dst_sel:DWORD dst_unused:UNUSED_PAD src0_sel:WORD_1
	v_cvt_f32_u32_sdwa v24, v11 dst_sel:DWORD dst_unused:UNUSED_PAD src0_sel:WORD_0
	v_cvt_f32_u32_sdwa v25, v11 dst_sel:DWORD dst_unused:UNUSED_PAD src0_sel:WORD_1
	;; [unrolled: 2-line block ×4, first 2 shown]
.LBB948_24:
	s_or_b64 exec, exec, s[2:3]
	s_waitcnt vmcnt(2)
	v_mul_f32_e32 v10, v19, v19
	v_fmac_f32_e32 v10, v18, v18
	v_fmac_f32_e32 v10, v32, v32
	v_fmac_f32_e32 v10, v33, v33
	v_fmac_f32_e32 v10, v30, v30
	v_fmac_f32_e32 v10, v31, v31
	v_fmac_f32_e32 v10, v28, v28
	v_fmac_f32_e32 v10, v29, v29
	v_fmac_f32_e32 v10, v26, v26
	v_fmac_f32_e32 v10, v27, v27
	v_fmac_f32_e32 v10, v24, v24
	v_fmac_f32_e32 v10, v25, v25
	v_fmac_f32_e32 v10, v22, v22
	v_fmac_f32_e32 v10, v23, v23
	v_fmac_f32_e32 v10, v20, v20
	v_fmac_f32_e32 v10, v21, v21
	s_nop 1
	v_mov_b32_dpp v11, v10 quad_perm:[1,0,3,2] row_mask:0xf bank_mask:0xf
	v_add_f32_e32 v10, v10, v11
	s_nop 1
	v_mov_b32_dpp v11, v10 quad_perm:[2,3,0,1] row_mask:0xf bank_mask:0xf
	v_add_f32_e32 v10, v10, v11
	s_nop 1
	v_mov_b32_dpp v11, v10 row_half_mirror row_mask:0xf bank_mask:0xf
	v_add_f32_e32 v10, v10, v11
	s_nop 1
	v_mov_b32_dpp v11, v10 row_mirror row_mask:0xf bank_mask:0xf
	v_add_f32_e32 v10, v10, v11
	s_nop 1
	v_mov_b32_dpp v11, v10 row_bcast:15 row_mask:0xf bank_mask:0xf
	v_add_f32_e32 v10, v10, v11
	s_nop 1
	v_mov_b32_dpp v11, v10 row_bcast:31 row_mask:0xf bank_mask:0xf
	s_and_saveexec_b64 s[2:3], s[0:1]
	s_cbranch_execz .LBB948_26
; %bb.25:
	v_lshrrev_b32_e32 v0, 4, v0
	v_add_f32_e32 v10, v10, v11
	v_and_b32_e32 v0, 60, v0
	ds_write_b32 v0, v10
.LBB948_26:
	s_or_b64 exec, exec, s[2:3]
	s_waitcnt lgkmcnt(0)
	s_barrier
	ds_read_b32 v0, v34
	s_waitcnt lgkmcnt(0)
	s_nop 0
	v_mov_b32_dpp v10, v0 quad_perm:[1,0,3,2] row_mask:0xf bank_mask:0xf
	v_add_f32_e32 v0, v0, v10
	s_nop 1
	v_mov_b32_dpp v10, v0 quad_perm:[2,3,0,1] row_mask:0xf bank_mask:0xf
	v_add_f32_e32 v0, v0, v10
	s_nop 1
	v_mov_b32_dpp v10, v0 row_half_mirror row_mask:0xf bank_mask:0xf
	s_and_saveexec_b64 s[0:1], vcc
	s_cbranch_execz .LBB948_12
; %bb.27:
	v_cvt_f32_u32_e32 v11, s16
	v_add_f32_e32 v0, v0, v10
	s_mov_b32 s11, 0x20000
	v_div_scale_f32 v10, s[0:1], v11, v11, v0
	v_rcp_f32_e32 v12, v10
	v_div_scale_f32 v13, vcc, v0, v11, v0
	s_mov_b32 s0, 0x800000
	v_fma_f32 v14, -v10, v12, 1.0
	v_fmac_f32_e32 v12, v14, v12
	v_mul_f32_e32 v14, v13, v12
	v_fma_f32 v15, -v10, v14, v13
	v_fmac_f32_e32 v14, v15, v12
	v_fma_f32 v10, -v10, v14, v13
	v_div_fmas_f32 v10, v10, v12, v14
	v_div_fixup_f32 v0, v10, v11, v0
	v_add_f32_e32 v0, s13, v0
	v_mul_f32_e32 v10, 0x4b800000, v0
	v_cmp_gt_f32_e32 vcc, s0, v0
	v_cndmask_b32_e32 v0, v0, v10, vcc
	v_rsq_f32_e32 v0, v0
	s_mul_hi_i32 s1, s27, s6
	s_mul_i32 s0, s27, s6
	s_lshl_b64 s[0:1], s[0:1], 1
	v_mul_f32_e32 v10, 0x45800000, v0
	v_cndmask_b32_e32 v10, v0, v10, vcc
	v_mov_b32_e32 v11, v10
	;;#ASMSTART
	v_pk_mul_f32 v[12:13], v[18:19], v[10:11]
	;;#ASMEND
	;;#ASMSTART
	v_pk_mul_f32 v[14:15], v[32:33], v[10:11]
	;;#ASMEND
	;; [unrolled: 3-line block ×4, first 2 shown]
	s_waitcnt vmcnt(1)
	v_cvt_f32_u32_sdwa v29, v6 dst_sel:DWORD dst_unused:UNUSED_PAD src0_sel:WORD_1
	v_cvt_f32_u32_sdwa v28, v6 dst_sel:DWORD dst_unused:UNUSED_PAD src0_sel:WORD_0
	v_cvt_f32_u32_sdwa v31, v7 dst_sel:DWORD dst_unused:UNUSED_PAD src0_sel:WORD_1
	v_cvt_f32_u32_sdwa v30, v7 dst_sel:DWORD dst_unused:UNUSED_PAD src0_sel:WORD_0
	;;#ASMSTART
	v_pk_mul_f32 v[26:27], v[26:27], v[10:11]
	;;#ASMEND
	;;#ASMSTART
	v_pk_mul_f32 v[24:25], v[24:25], v[10:11]
	;;#ASMEND
	;;#ASMSTART
	v_pk_mul_f32 v[22:23], v[22:23], v[10:11]
	;;#ASMEND
	;;#ASMSTART
	v_pk_mul_f32 v[6:7], v[20:21], v[10:11]
	;;#ASMEND
	v_cvt_f32_u32_sdwa v21, v8 dst_sel:DWORD dst_unused:UNUSED_PAD src0_sel:WORD_1
	v_cvt_f32_u32_sdwa v20, v8 dst_sel:DWORD dst_unused:UNUSED_PAD src0_sel:WORD_0
	v_pk_add_f32 v[10:11], v[28:29], 1.0 op_sel_hi:[1,0]
	;;#ASMSTART
	v_pk_mul_f32 v[10:11], v[12:13], v[10:11]
	;;#ASMEND
	v_pk_add_f32 v[12:13], v[30:31], 1.0 op_sel_hi:[1,0]
	v_cvt_f32_u32_sdwa v29, v9 dst_sel:DWORD dst_unused:UNUSED_PAD src0_sel:WORD_1
	v_cvt_f32_u32_sdwa v28, v9 dst_sel:DWORD dst_unused:UNUSED_PAD src0_sel:WORD_0
	;;#ASMSTART
	v_pk_mul_f32 v[8:9], v[14:15], v[12:13]
	;;#ASMEND
	v_pk_add_f32 v[12:13], v[20:21], 1.0 op_sel_hi:[1,0]
	;;#ASMSTART
	v_pk_mul_f32 v[12:13], v[16:17], v[12:13]
	;;#ASMEND
	s_waitcnt vmcnt(0)
	v_cvt_f32_u32_sdwa v17, v2 dst_sel:DWORD dst_unused:UNUSED_PAD src0_sel:WORD_1
	v_cvt_f32_u32_sdwa v16, v2 dst_sel:DWORD dst_unused:UNUSED_PAD src0_sel:WORD_0
	v_cvt_f32_u32_sdwa v21, v3 dst_sel:DWORD dst_unused:UNUSED_PAD src0_sel:WORD_1
	v_cvt_f32_u32_sdwa v20, v3 dst_sel:DWORD dst_unused:UNUSED_PAD src0_sel:WORD_0
	v_pk_add_f32 v[14:15], v[28:29], 1.0 op_sel_hi:[1,0]
	;;#ASMSTART
	v_pk_mul_f32 v[14:15], v[18:19], v[14:15]
	;;#ASMEND
	v_pk_add_f32 v[2:3], v[16:17], 1.0 op_sel_hi:[1,0]
	v_cvt_f32_u32_sdwa v19, v4 dst_sel:DWORD dst_unused:UNUSED_PAD src0_sel:WORD_1
	v_cvt_f32_u32_sdwa v18, v4 dst_sel:DWORD dst_unused:UNUSED_PAD src0_sel:WORD_0
	;;#ASMSTART
	v_pk_mul_f32 v[16:17], v[26:27], v[2:3]
	;;#ASMEND
	v_pk_add_f32 v[2:3], v[20:21], 1.0 op_sel_hi:[1,0]
	v_cvt_f32_u32_sdwa v21, v5 dst_sel:DWORD dst_unused:UNUSED_PAD src0_sel:WORD_1
	v_cvt_f32_u32_sdwa v20, v5 dst_sel:DWORD dst_unused:UNUSED_PAD src0_sel:WORD_0
	s_add_u32 s8, s14, s0
	;;#ASMSTART
	v_pk_mul_f32 v[24:25], v[24:25], v[2:3]
	;;#ASMEND
	v_pk_add_f32 v[2:3], v[18:19], 1.0 op_sel_hi:[1,0]
	s_addc_u32 s0, s15, s1
	;;#ASMSTART
	v_pk_mul_f32 v[18:19], v[22:23], v[2:3]
	;;#ASMEND
	v_pk_add_f32 v[2:3], v[20:21], 1.0 op_sel_hi:[1,0]
	s_and_b32 s9, s0, 0xffff
	s_mov_b32 s0, 0x7060302
	;;#ASMSTART
	v_pk_mul_f32 v[6:7], v[6:7], v[2:3]
	;;#ASMEND
	v_perm_b32 v2, v11, v10, s0
	v_perm_b32 v3, v9, v8, s0
	;; [unrolled: 1-line block ×4, first 2 shown]
	buffer_store_dwordx4 v[2:5], v1, s[8:11], 0 offen
	;;#ASMSTART
	s_nop 0
	;;#ASMEND
	s_nop 0
	v_perm_b32 v2, v17, v16, s0
	v_perm_b32 v3, v25, v24, s0
	;; [unrolled: 1-line block ×4, first 2 shown]
	buffer_store_dwordx4 v[2:5], v1, s[8:11], 16 offen
	;;#ASMSTART
	s_nop 0
	;;#ASMEND
	s_endpgm
	.section	.rodata,"a",@progbits
	.p2align	6, 0x0
	.amdhsa_kernel _ZN5aiter35fused_qk_rmsnorm_group_quant_kernelItN4opus5fp4_tELi512ELi16ELi4ELb0ELb1ELb1ELb1ELb0ELb0EEEvPT0_PvPT_S7_S7_PKS6_S9_S9_S9_S9_ffiiiiiiiiiiiii
		.amdhsa_group_segment_fixed_size 64
		.amdhsa_private_segment_fixed_size 0
		.amdhsa_kernarg_size 400
		.amdhsa_user_sgpr_count 6
		.amdhsa_user_sgpr_private_segment_buffer 1
		.amdhsa_user_sgpr_dispatch_ptr 0
		.amdhsa_user_sgpr_queue_ptr 0
		.amdhsa_user_sgpr_kernarg_segment_ptr 1
		.amdhsa_user_sgpr_dispatch_id 0
		.amdhsa_user_sgpr_flat_scratch_init 0
		.amdhsa_user_sgpr_kernarg_preload_length 0
		.amdhsa_user_sgpr_kernarg_preload_offset 0
		.amdhsa_user_sgpr_private_segment_size 0
		.amdhsa_uses_dynamic_stack 0
		.amdhsa_system_sgpr_private_segment_wavefront_offset 0
		.amdhsa_system_sgpr_workgroup_id_x 1
		.amdhsa_system_sgpr_workgroup_id_y 1
		.amdhsa_system_sgpr_workgroup_id_z 0
		.amdhsa_system_sgpr_workgroup_info 0
		.amdhsa_system_vgpr_workitem_id 0
		.amdhsa_next_free_vgpr 35
		.amdhsa_next_free_sgpr 32
		.amdhsa_accum_offset 36
		.amdhsa_reserve_vcc 1
		.amdhsa_reserve_flat_scratch 0
		.amdhsa_float_round_mode_32 0
		.amdhsa_float_round_mode_16_64 0
		.amdhsa_float_denorm_mode_32 3
		.amdhsa_float_denorm_mode_16_64 3
		.amdhsa_dx10_clamp 1
		.amdhsa_ieee_mode 1
		.amdhsa_fp16_overflow 0
		.amdhsa_tg_split 0
		.amdhsa_exception_fp_ieee_invalid_op 0
		.amdhsa_exception_fp_denorm_src 0
		.amdhsa_exception_fp_ieee_div_zero 0
		.amdhsa_exception_fp_ieee_overflow 0
		.amdhsa_exception_fp_ieee_underflow 0
		.amdhsa_exception_fp_ieee_inexact 0
		.amdhsa_exception_int_div_zero 0
	.end_amdhsa_kernel
	.section	.text._ZN5aiter35fused_qk_rmsnorm_group_quant_kernelItN4opus5fp4_tELi512ELi16ELi4ELb0ELb1ELb1ELb1ELb0ELb0EEEvPT0_PvPT_S7_S7_PKS6_S9_S9_S9_S9_ffiiiiiiiiiiiii,"axG",@progbits,_ZN5aiter35fused_qk_rmsnorm_group_quant_kernelItN4opus5fp4_tELi512ELi16ELi4ELb0ELb1ELb1ELb1ELb0ELb0EEEvPT0_PvPT_S7_S7_PKS6_S9_S9_S9_S9_ffiiiiiiiiiiiii,comdat
.Lfunc_end948:
	.size	_ZN5aiter35fused_qk_rmsnorm_group_quant_kernelItN4opus5fp4_tELi512ELi16ELi4ELb0ELb1ELb1ELb1ELb0ELb0EEEvPT0_PvPT_S7_S7_PKS6_S9_S9_S9_S9_ffiiiiiiiiiiiii, .Lfunc_end948-_ZN5aiter35fused_qk_rmsnorm_group_quant_kernelItN4opus5fp4_tELi512ELi16ELi4ELb0ELb1ELb1ELb1ELb0ELb0EEEvPT0_PvPT_S7_S7_PKS6_S9_S9_S9_S9_ffiiiiiiiiiiiii
                                        ; -- End function
	.section	.AMDGPU.csdata,"",@progbits
; Kernel info:
; codeLenInByte = 2972
; NumSgprs: 36
; NumVgprs: 35
; NumAgprs: 0
; TotalNumVgprs: 35
; ScratchSize: 0
; MemoryBound: 0
; FloatMode: 240
; IeeeMode: 1
; LDSByteSize: 64 bytes/workgroup (compile time only)
; SGPRBlocks: 4
; VGPRBlocks: 4
; NumSGPRsForWavesPerEU: 36
; NumVGPRsForWavesPerEU: 35
; AccumOffset: 36
; Occupancy: 8
; WaveLimiterHint : 0
; COMPUTE_PGM_RSRC2:SCRATCH_EN: 0
; COMPUTE_PGM_RSRC2:USER_SGPR: 6
; COMPUTE_PGM_RSRC2:TRAP_HANDLER: 0
; COMPUTE_PGM_RSRC2:TGID_X_EN: 1
; COMPUTE_PGM_RSRC2:TGID_Y_EN: 1
; COMPUTE_PGM_RSRC2:TGID_Z_EN: 0
; COMPUTE_PGM_RSRC2:TIDIG_COMP_CNT: 0
; COMPUTE_PGM_RSRC3_GFX90A:ACCUM_OFFSET: 8
; COMPUTE_PGM_RSRC3_GFX90A:TG_SPLIT: 0
	.section	.text._ZN5aiter35fused_qk_rmsnorm_group_quant_kernelIDF16_DB8_Li512ELi16ELi4ELb0ELb1ELb0ELb1ELb0ELb0EEEvPT0_PvPT_S6_S6_PKS5_S8_S8_S8_S8_ffiiiiiiiiiiiii,"axG",@progbits,_ZN5aiter35fused_qk_rmsnorm_group_quant_kernelIDF16_DB8_Li512ELi16ELi4ELb0ELb1ELb0ELb1ELb0ELb0EEEvPT0_PvPT_S6_S6_PKS5_S8_S8_S8_S8_ffiiiiiiiiiiiii,comdat
	.protected	_ZN5aiter35fused_qk_rmsnorm_group_quant_kernelIDF16_DB8_Li512ELi16ELi4ELb0ELb1ELb0ELb1ELb0ELb0EEEvPT0_PvPT_S6_S6_PKS5_S8_S8_S8_S8_ffiiiiiiiiiiiii ; -- Begin function _ZN5aiter35fused_qk_rmsnorm_group_quant_kernelIDF16_DB8_Li512ELi16ELi4ELb0ELb1ELb0ELb1ELb0ELb0EEEvPT0_PvPT_S6_S6_PKS5_S8_S8_S8_S8_ffiiiiiiiiiiiii
	.globl	_ZN5aiter35fused_qk_rmsnorm_group_quant_kernelIDF16_DB8_Li512ELi16ELi4ELb0ELb1ELb0ELb1ELb0ELb0EEEvPT0_PvPT_S6_S6_PKS5_S8_S8_S8_S8_ffiiiiiiiiiiiii
	.p2align	8
	.type	_ZN5aiter35fused_qk_rmsnorm_group_quant_kernelIDF16_DB8_Li512ELi16ELi4ELb0ELb1ELb0ELb1ELb0ELb0EEEvPT0_PvPT_S6_S6_PKS5_S8_S8_S8_S8_ffiiiiiiiiiiiii,@function
_ZN5aiter35fused_qk_rmsnorm_group_quant_kernelIDF16_DB8_Li512ELi16ELi4ELb0ELb1ELb0ELb1ELb0ELb0EEEvPT0_PvPT_S6_S6_PKS5_S8_S8_S8_S8_ffiiiiiiiiiiiii: ; @_ZN5aiter35fused_qk_rmsnorm_group_quant_kernelIDF16_DB8_Li512ELi16ELi4ELb0ELb1ELb0ELb1ELb0ELb0EEEvPT0_PvPT_S6_S6_PKS5_S8_S8_S8_S8_ffiiiiiiiiiiiii
; %bb.0:
	s_load_dwordx4 s[12:15], s[4:5], 0x50
	s_waitcnt lgkmcnt(0)
	s_cmp_ge_i32 s6, s14
	s_cbranch_scc1 .LBB949_12
; %bb.1:
	s_load_dwordx2 s[24:25], s[4:5], 0x30
	s_load_dwordx2 s[8:9], s[4:5], 0x48
	s_load_dwordx4 s[16:19], s[4:5], 0x60
	s_cmp_lg_u32 s7, 0
	s_cselect_b64 s[10:11], -1, 0
	s_cmp_eq_u32 s7, 0
	s_cselect_b64 vcc, -1, 0
	s_and_b64 s[0:1], vcc, exec
	s_waitcnt lgkmcnt(0)
	s_cselect_b32 s7, s15, s16
	s_add_i32 s0, s7, 1
	s_lshr_b32 s1, s0, 31
	s_add_i32 s0, s0, s1
	s_lshl_b32 s0, s0, 1
	v_lshlrev_b32_e32 v1, 4, v0
	s_and_b32 s22, s0, -4
	v_cmp_gt_i32_e64 s[2:3], s7, v1
	v_mov_b32_e32 v18, 0
	v_mov_b32_e32 v6, 0
	;; [unrolled: 1-line block ×17, first 2 shown]
	s_and_saveexec_b64 s[0:1], s[2:3]
	s_cbranch_execz .LBB949_3
; %bb.2:
	s_load_dwordx2 s[14:15], s[4:5], 0x28
	s_load_dwordx2 s[20:21], s[4:5], 0x40
	s_and_b64 s[26:27], vcc, exec
	s_cselect_b32 s17, s17, s18
	s_mov_b32 s30, s22
	s_waitcnt lgkmcnt(0)
	s_cselect_b32 s19, s15, s25
	s_cselect_b32 s23, s14, s24
	s_mul_hi_i32 s15, s17, s6
	s_mul_i32 s14, s17, s6
	s_lshl_b64 s[14:15], s[14:15], 1
	s_add_u32 s28, s23, s14
	s_addc_u32 s17, s19, s15
	s_and_b64 s[14:15], vcc, exec
	s_mov_b32 s23, 0x20000
	s_cselect_b32 s20, s20, s8
	s_cselect_b32 s14, s21, s9
	s_and_b32 s29, s17, 0xffff
	s_mov_b32 s31, s23
	v_lshlrev_b32_e32 v19, 5, v0
	s_and_b32 s21, s14, 0xffff
	buffer_load_dwordx4 v[14:17], v19, s[28:31], 0 offen
	buffer_load_dwordx4 v[10:13], v19, s[28:31], 16 offen
	;; [unrolled: 1-line block ×4, first 2 shown]
.LBB949_3:
	s_or_b64 exec, exec, s[0:1]
	v_mov_b32_e32 v19, 0
	v_mov_b32_e32 v20, 0
	;; [unrolled: 1-line block ×15, first 2 shown]
	s_and_saveexec_b64 s[0:1], s[2:3]
	s_cbranch_execz .LBB949_5
; %bb.4:
	s_waitcnt vmcnt(3)
	v_cvt_f32_f16_sdwa v19, v14 dst_sel:DWORD dst_unused:UNUSED_PAD src0_sel:WORD_1
	v_cvt_f32_f16_e32 v18, v14
	v_cvt_f32_f16_sdwa v21, v15 dst_sel:DWORD dst_unused:UNUSED_PAD src0_sel:WORD_1
	v_cvt_f32_f16_e32 v20, v15
	;; [unrolled: 2-line block ×4, first 2 shown]
	s_waitcnt vmcnt(2)
	v_cvt_f32_f16_sdwa v25, v10 dst_sel:DWORD dst_unused:UNUSED_PAD src0_sel:WORD_1
	v_cvt_f32_f16_e32 v24, v10
	v_cvt_f32_f16_sdwa v29, v11 dst_sel:DWORD dst_unused:UNUSED_PAD src0_sel:WORD_1
	v_cvt_f32_f16_e32 v28, v11
	;; [unrolled: 2-line block ×4, first 2 shown]
.LBB949_5:
	s_or_b64 exec, exec, s[0:1]
	s_waitcnt vmcnt(2)
	v_mul_f32_e32 v10, v19, v19
	v_fmac_f32_e32 v10, v18, v18
	v_fmac_f32_e32 v10, v20, v20
	;; [unrolled: 1-line block ×15, first 2 shown]
	v_and_b32_e32 v12, 63, v0
	v_cmp_eq_u32_e64 s[0:1], 63, v12
	v_mov_b32_dpp v11, v10 quad_perm:[1,0,3,2] row_mask:0xf bank_mask:0xf
	v_add_f32_e32 v10, v10, v11
	s_nop 1
	v_mov_b32_dpp v11, v10 quad_perm:[2,3,0,1] row_mask:0xf bank_mask:0xf
	v_add_f32_e32 v10, v10, v11
	s_nop 1
	v_mov_b32_dpp v11, v10 row_half_mirror row_mask:0xf bank_mask:0xf
	v_add_f32_e32 v10, v10, v11
	s_nop 1
	v_mov_b32_dpp v11, v10 row_mirror row_mask:0xf bank_mask:0xf
	v_add_f32_e32 v10, v10, v11
	s_nop 1
	v_mov_b32_dpp v11, v10 row_bcast:15 row_mask:0xf bank_mask:0xf
	v_add_f32_e32 v10, v10, v11
	s_nop 1
	v_mov_b32_dpp v11, v10 row_bcast:31 row_mask:0xf bank_mask:0xf
	s_and_saveexec_b64 s[14:15], s[0:1]
	s_cbranch_execz .LBB949_7
; %bb.6:
	v_add_f32_e32 v10, v10, v11
	v_lshrrev_b32_e32 v11, 4, v0
	v_and_b32_e32 v11, 60, v11
	ds_write_b32 v11, v10 offset:32
.LBB949_7:
	s_or_b64 exec, exec, s[14:15]
	v_and_b32_e32 v10, 7, v0
	v_lshlrev_b32_e32 v34, 2, v10
	s_waitcnt lgkmcnt(0)
	s_barrier
	ds_read_b32 v10, v34 offset:32
	s_load_dwordx2 s[14:15], s[4:5], 0x18
	s_waitcnt lgkmcnt(0)
	v_mov_b32_dpp v11, v10 quad_perm:[1,0,3,2] row_mask:0xf bank_mask:0xf
	v_add_f32_e32 v10, v10, v11
	s_nop 1
	v_mov_b32_dpp v11, v10 quad_perm:[2,3,0,1] row_mask:0xf bank_mask:0xf
	v_add_f32_e32 v10, v10, v11
	s_nop 1
	v_mov_b32_dpp v11, v10 row_half_mirror row_mask:0xf bank_mask:0xf
	s_and_saveexec_b64 s[20:21], s[2:3]
	s_cbranch_execz .LBB949_9
; %bb.8:
	v_cvt_f32_u32_e32 v12, s7
	v_add_f32_e32 v10, v10, v11
	v_mov_b32_e32 v14, s13
	v_mov_b32_e32 v15, s12
	v_div_scale_f32 v11, s[26:27], v12, v12, v10
	v_rcp_f32_e32 v13, v11
	v_cndmask_b32_e32 v14, v14, v15, vcc
	s_mov_b32 s7, 0x800000
	v_fma_f32 v15, -v11, v13, 1.0
	v_fmac_f32_e32 v13, v15, v13
	v_div_scale_f32 v15, vcc, v10, v12, v10
	v_mul_f32_e32 v16, v15, v13
	v_fma_f32 v17, -v11, v16, v15
	v_fmac_f32_e32 v16, v17, v13
	v_fma_f32 v11, -v11, v16, v15
	v_div_fmas_f32 v11, v11, v13, v16
	v_div_fixup_f32 v10, v11, v12, v10
	v_add_f32_e32 v10, v14, v10
	v_mul_f32_e32 v11, 0x4b800000, v10
	v_cmp_gt_f32_e32 vcc, s7, v10
	v_cndmask_b32_e32 v10, v10, v11, vcc
	v_rsq_f32_e32 v10, v10
	v_mul_f32_e32 v11, 0x45800000, v10
	v_cndmask_b32_e32 v10, v10, v11, vcc
	v_mov_b32_e32 v11, v10
	;;#ASMSTART
	v_pk_mul_f32 v[12:13], v[18:19], v[10:11]
	;;#ASMEND
	;;#ASMSTART
	v_pk_mul_f32 v[14:15], v[20:21], v[10:11]
	;;#ASMEND
	;; [unrolled: 3-line block ×8, first 2 shown]
	s_waitcnt vmcnt(1)
	v_cvt_f32_f16_sdwa v19, v6 dst_sel:DWORD dst_unused:UNUSED_PAD src0_sel:WORD_1
	v_cvt_f32_f16_e32 v18, v6
	v_cvt_f32_f16_sdwa v21, v7 dst_sel:DWORD dst_unused:UNUSED_PAD src0_sel:WORD_1
	v_cvt_f32_f16_e32 v20, v7
	;; [unrolled: 2-line block ×4, first 2 shown]
	;;#ASMSTART
	v_pk_mul_f32 v[18:19], v[12:13], v[18:19]
	;;#ASMEND
	;;#ASMSTART
	v_pk_mul_f32 v[20:21], v[14:15], v[20:21]
	;;#ASMEND
	;; [unrolled: 3-line block ×4, first 2 shown]
	s_waitcnt vmcnt(0)
	v_cvt_f32_f16_sdwa v7, v2 dst_sel:DWORD dst_unused:UNUSED_PAD src0_sel:WORD_1
	v_cvt_f32_f16_e32 v6, v2
	v_cvt_f32_f16_sdwa v9, v3 dst_sel:DWORD dst_unused:UNUSED_PAD src0_sel:WORD_1
	v_cvt_f32_f16_e32 v8, v3
	;; [unrolled: 2-line block ×4, first 2 shown]
	;;#ASMSTART
	v_pk_mul_f32 v[24:25], v[24:25], v[6:7]
	;;#ASMEND
	;;#ASMSTART
	v_pk_mul_f32 v[28:29], v[28:29], v[8:9]
	;;#ASMEND
	;; [unrolled: 3-line block ×4, first 2 shown]
.LBB949_9:
	s_or_b64 exec, exec, s[20:21]
	s_load_dwordx2 s[26:27], s[4:5], 0x7c
	s_mov_b64 s[20:21], -1
	s_and_b64 vcc, exec, s[10:11]
	s_cbranch_vccnz .LBB949_13
; %bb.10:
	s_andn2_b64 vcc, exec, s[20:21]
	s_cbranch_vccz .LBB949_16
.LBB949_11:
	s_cmp_lt_i32 s16, 1
	s_cbranch_scc0 .LBB949_19
.LBB949_12:
	s_endpgm
.LBB949_13:
	s_and_saveexec_b64 s[10:11], s[2:3]
	s_cbranch_execz .LBB949_15
; %bb.14:
	s_waitcnt lgkmcnt(0)
	s_mul_hi_i32 s21, s27, s6
	s_mul_i32 s20, s27, s6
	s_waitcnt vmcnt(0)
	v_cvt_f16_f32_e32 v2, v18
	v_cvt_f16_f32_e32 v3, v20
	;; [unrolled: 1-line block ×8, first 2 shown]
	s_lshl_b64 s[20:21], s[20:21], 1
	s_add_u32 s20, s14, s20
	s_addc_u32 s7, s15, s21
	s_and_b32 s21, s7, 0xffff
	s_mov_b32 s23, 0x20000
	v_pack_b32_f16 v5, v5, v6
	v_pack_b32_f16 v4, v4, v7
	v_pack_b32_f16 v3, v3, v8
	v_pack_b32_f16 v2, v2, v9
	v_lshlrev_b32_e32 v6, 5, v0
	buffer_store_dwordx4 v[2:5], v6, s[20:23], 0 offen
	v_cvt_f16_f32_e32 v7, v33
	v_cvt_f16_f32_e32 v2, v24
	;; [unrolled: 1-line block ×8, first 2 shown]
	v_pack_b32_f16 v5, v5, v7
	v_pack_b32_f16 v4, v4, v8
	;; [unrolled: 1-line block ×4, first 2 shown]
	;;#ASMSTART
	s_nop 0
	;;#ASMEND
	buffer_store_dwordx4 v[2:5], v6, s[20:23], 16 offen
	;;#ASMSTART
	s_nop 0
	;;#ASMEND
.LBB949_15:
	s_or_b64 exec, exec, s[10:11]
	s_cbranch_execnz .LBB949_11
.LBB949_16:
	s_and_saveexec_b64 s[10:11], s[2:3]
	s_cbranch_execz .LBB949_18
; %bb.17:
	s_load_dwordx2 s[2:3], s[4:5], 0x10
	s_waitcnt lgkmcnt(0)
	s_mul_hi_i32 s21, s26, s6
	s_mul_i32 s20, s26, s6
	s_waitcnt vmcnt(0)
	v_cvt_f16_f32_e32 v2, v18
	v_cvt_f16_f32_e32 v3, v20
	v_cvt_f16_f32_e32 v4, v22
	v_cvt_f16_f32_e32 v5, v26
	v_cvt_f16_f32_e32 v6, v27
	v_cvt_f16_f32_e32 v7, v23
	v_cvt_f16_f32_e32 v8, v21
	v_cvt_f16_f32_e32 v9, v19
	s_lshl_b64 s[20:21], s[20:21], 1
	s_add_u32 s20, s2, s20
	s_addc_u32 s2, s3, s21
	s_mov_b32 s23, 0x20000
	s_and_b32 s21, s2, 0xffff
	v_pack_b32_f16 v5, v5, v6
	v_pack_b32_f16 v4, v4, v7
	;; [unrolled: 1-line block ×4, first 2 shown]
	v_lshlrev_b32_e32 v6, 5, v0
	buffer_store_dwordx4 v[2:5], v6, s[20:23], 0 offen
	v_cvt_f16_f32_e32 v7, v33
	v_cvt_f16_f32_e32 v2, v24
	;; [unrolled: 1-line block ×8, first 2 shown]
	v_pack_b32_f16 v5, v5, v7
	v_pack_b32_f16 v4, v4, v8
	;; [unrolled: 1-line block ×4, first 2 shown]
	;;#ASMSTART
	s_nop 0
	;;#ASMEND
	buffer_store_dwordx4 v[2:5], v6, s[20:23], 16 offen
	;;#ASMSTART
	s_nop 0
	;;#ASMEND
.LBB949_18:
	s_or_b64 exec, exec, s[10:11]
	s_cmp_lt_i32 s16, 1
	s_cbranch_scc1 .LBB949_12
.LBB949_19:
	s_load_dword s2, s[4:5], 0x94
	s_waitcnt lgkmcnt(0)
	s_cmp_lg_u32 s2, 1
	s_cbranch_scc1 .LBB949_12
; %bb.20:
	s_lshl_b32 s2, s16, 1
	s_add_i32 s2, s2, 2
	v_cmp_gt_u32_e32 vcc, s16, v1
	s_and_b32 s10, s2, -4
	v_mov_b32_e32 v18, 0
	v_lshlrev_b32_e32 v1, 5, v0
	v_mov_b32_e32 v14, 0
	v_mov_b32_e32 v15, 0
	;; [unrolled: 1-line block ×8, first 2 shown]
	s_waitcnt vmcnt(1)
	v_mov_b32_e32 v6, 0
	v_mov_b32_e32 v7, 0
	;; [unrolled: 1-line block ×4, first 2 shown]
	s_waitcnt vmcnt(0)
	v_mov_b32_e32 v2, 0
	v_mov_b32_e32 v3, 0
	;; [unrolled: 1-line block ×4, first 2 shown]
	s_barrier
	s_and_saveexec_b64 s[2:3], vcc
	s_cbranch_execz .LBB949_22
; %bb.21:
	s_mul_hi_i32 s5, s18, s6
	s_mul_i32 s4, s18, s6
	s_and_b32 s9, s9, 0xffff
	s_lshl_b64 s[4:5], s[4:5], 1
	s_add_u32 s20, s24, s4
	s_mov_b32 s11, 0x20000
	s_addc_u32 s4, s25, s5
	s_and_b32 s21, s4, 0xffff
	s_mov_b32 s22, s10
	s_mov_b32 s23, s11
	buffer_load_dwordx4 v[14:17], v1, s[20:23], 0 offen
	buffer_load_dwordx4 v[10:13], v1, s[20:23], 16 offen
	;; [unrolled: 1-line block ×4, first 2 shown]
.LBB949_22:
	s_or_b64 exec, exec, s[2:3]
	v_mov_b32_e32 v19, 0
	v_mov_b32_e32 v32, 0
	;; [unrolled: 1-line block ×15, first 2 shown]
	s_and_saveexec_b64 s[2:3], vcc
	s_cbranch_execz .LBB949_24
; %bb.23:
	s_waitcnt vmcnt(3)
	v_cvt_f32_f16_sdwa v19, v14 dst_sel:DWORD dst_unused:UNUSED_PAD src0_sel:WORD_1
	v_cvt_f32_f16_e32 v18, v14
	v_cvt_f32_f16_sdwa v33, v15 dst_sel:DWORD dst_unused:UNUSED_PAD src0_sel:WORD_1
	v_cvt_f32_f16_e32 v32, v15
	;; [unrolled: 2-line block ×4, first 2 shown]
	s_waitcnt vmcnt(2)
	v_cvt_f32_f16_sdwa v27, v10 dst_sel:DWORD dst_unused:UNUSED_PAD src0_sel:WORD_1
	v_cvt_f32_f16_e32 v26, v10
	v_cvt_f32_f16_sdwa v25, v11 dst_sel:DWORD dst_unused:UNUSED_PAD src0_sel:WORD_1
	v_cvt_f32_f16_e32 v24, v11
	v_cvt_f32_f16_sdwa v23, v12 dst_sel:DWORD dst_unused:UNUSED_PAD src0_sel:WORD_1
	v_cvt_f32_f16_e32 v22, v12
	v_cvt_f32_f16_sdwa v21, v13 dst_sel:DWORD dst_unused:UNUSED_PAD src0_sel:WORD_1
	v_cvt_f32_f16_e32 v20, v13
.LBB949_24:
	s_or_b64 exec, exec, s[2:3]
	s_waitcnt vmcnt(2)
	v_mul_f32_e32 v10, v19, v19
	v_fmac_f32_e32 v10, v18, v18
	v_fmac_f32_e32 v10, v32, v32
	;; [unrolled: 1-line block ×15, first 2 shown]
	s_nop 1
	v_mov_b32_dpp v11, v10 quad_perm:[1,0,3,2] row_mask:0xf bank_mask:0xf
	v_add_f32_e32 v10, v10, v11
	s_nop 1
	v_mov_b32_dpp v11, v10 quad_perm:[2,3,0,1] row_mask:0xf bank_mask:0xf
	v_add_f32_e32 v10, v10, v11
	s_nop 1
	v_mov_b32_dpp v11, v10 row_half_mirror row_mask:0xf bank_mask:0xf
	v_add_f32_e32 v10, v10, v11
	s_nop 1
	v_mov_b32_dpp v11, v10 row_mirror row_mask:0xf bank_mask:0xf
	v_add_f32_e32 v10, v10, v11
	s_nop 1
	v_mov_b32_dpp v11, v10 row_bcast:15 row_mask:0xf bank_mask:0xf
	v_add_f32_e32 v10, v10, v11
	s_nop 1
	v_mov_b32_dpp v11, v10 row_bcast:31 row_mask:0xf bank_mask:0xf
	s_and_saveexec_b64 s[2:3], s[0:1]
	s_cbranch_execz .LBB949_26
; %bb.25:
	v_lshrrev_b32_e32 v0, 4, v0
	v_add_f32_e32 v10, v10, v11
	v_and_b32_e32 v0, 60, v0
	ds_write_b32 v0, v10
.LBB949_26:
	s_or_b64 exec, exec, s[2:3]
	s_waitcnt lgkmcnt(0)
	s_barrier
	ds_read_b32 v0, v34
	s_waitcnt lgkmcnt(0)
	s_nop 0
	v_mov_b32_dpp v10, v0 quad_perm:[1,0,3,2] row_mask:0xf bank_mask:0xf
	v_add_f32_e32 v0, v0, v10
	s_nop 1
	v_mov_b32_dpp v10, v0 quad_perm:[2,3,0,1] row_mask:0xf bank_mask:0xf
	v_add_f32_e32 v0, v0, v10
	s_nop 1
	v_mov_b32_dpp v10, v0 row_half_mirror row_mask:0xf bank_mask:0xf
	s_and_saveexec_b64 s[0:1], vcc
	s_cbranch_execz .LBB949_12
; %bb.27:
	v_cvt_f32_u32_e32 v11, s16
	v_add_f32_e32 v0, v0, v10
	s_mov_b32 s11, 0x20000
	v_div_scale_f32 v10, s[0:1], v11, v11, v0
	v_rcp_f32_e32 v12, v10
	v_div_scale_f32 v13, vcc, v0, v11, v0
	s_mov_b32 s0, 0x800000
	v_fma_f32 v14, -v10, v12, 1.0
	v_fmac_f32_e32 v12, v14, v12
	v_mul_f32_e32 v14, v13, v12
	v_fma_f32 v15, -v10, v14, v13
	v_fmac_f32_e32 v14, v15, v12
	v_fma_f32 v10, -v10, v14, v13
	v_div_fmas_f32 v10, v10, v12, v14
	v_div_fixup_f32 v0, v10, v11, v0
	v_add_f32_e32 v0, s13, v0
	v_mul_f32_e32 v10, 0x4b800000, v0
	v_cmp_gt_f32_e32 vcc, s0, v0
	v_cndmask_b32_e32 v0, v0, v10, vcc
	v_rsq_f32_e32 v0, v0
	s_mul_hi_i32 s1, s27, s6
	s_mul_i32 s0, s27, s6
	s_lshl_b64 s[0:1], s[0:1], 1
	v_mul_f32_e32 v10, 0x45800000, v0
	v_cndmask_b32_e32 v10, v0, v10, vcc
	v_mov_b32_e32 v11, v10
	;;#ASMSTART
	v_pk_mul_f32 v[12:13], v[18:19], v[10:11]
	;;#ASMEND
	;;#ASMSTART
	v_pk_mul_f32 v[14:15], v[32:33], v[10:11]
	;;#ASMEND
	;; [unrolled: 3-line block ×8, first 2 shown]
	s_waitcnt vmcnt(1)
	v_cvt_f32_f16_sdwa v21, v6 dst_sel:DWORD dst_unused:UNUSED_PAD src0_sel:WORD_1
	v_cvt_f32_f16_e32 v20, v6
	v_cvt_f32_f16_sdwa v29, v7 dst_sel:DWORD dst_unused:UNUSED_PAD src0_sel:WORD_1
	v_cvt_f32_f16_e32 v28, v7
	;; [unrolled: 2-line block ×4, first 2 shown]
	;;#ASMSTART
	v_pk_mul_f32 v[8:9], v[12:13], v[20:21]
	;;#ASMEND
	;;#ASMSTART
	v_pk_mul_f32 v[12:13], v[14:15], v[28:29]
	;;#ASMEND
	;; [unrolled: 3-line block ×4, first 2 shown]
	s_waitcnt vmcnt(0)
	v_cvt_f32_f16_sdwa v17, v2 dst_sel:DWORD dst_unused:UNUSED_PAD src0_sel:WORD_1
	v_cvt_f32_f16_e32 v16, v2
	v_cvt_f32_f16_sdwa v19, v3 dst_sel:DWORD dst_unused:UNUSED_PAD src0_sel:WORD_1
	v_cvt_f32_f16_e32 v18, v3
	;; [unrolled: 2-line block ×4, first 2 shown]
	;;#ASMSTART
	v_pk_mul_f32 v[16:17], v[26:27], v[16:17]
	;;#ASMEND
	;;#ASMSTART
	v_pk_mul_f32 v[18:19], v[24:25], v[18:19]
	;;#ASMEND
	;; [unrolled: 3-line block ×3, first 2 shown]
	v_cvt_f16_f32_e32 v0, v8
	v_cvt_f16_f32_e32 v2, v9
	;; [unrolled: 1-line block ×8, first 2 shown]
	s_add_u32 s8, s14, s0
	s_addc_u32 s0, s15, s1
	s_and_b32 s9, s0, 0xffff
	v_pack_b32_f16 v2, v0, v2
	v_pack_b32_f16 v3, v3, v4
	;; [unrolled: 1-line block ×4, first 2 shown]
	;;#ASMSTART
	v_pk_mul_f32 v[10:11], v[10:11], v[20:21]
	;;#ASMEND
	buffer_store_dwordx4 v[2:5], v1, s[8:11], 0 offen
	v_cvt_f16_f32_e32 v0, v16
	v_cvt_f16_f32_e32 v2, v17
	;; [unrolled: 1-line block ×8, first 2 shown]
	v_pack_b32_f16 v2, v0, v2
	v_pack_b32_f16 v3, v3, v4
	;; [unrolled: 1-line block ×4, first 2 shown]
	;;#ASMSTART
	s_nop 0
	;;#ASMEND
	buffer_store_dwordx4 v[2:5], v1, s[8:11], 16 offen
	;;#ASMSTART
	s_nop 0
	;;#ASMEND
	s_endpgm
	.section	.rodata,"a",@progbits
	.p2align	6, 0x0
	.amdhsa_kernel _ZN5aiter35fused_qk_rmsnorm_group_quant_kernelIDF16_DB8_Li512ELi16ELi4ELb0ELb1ELb0ELb1ELb0ELb0EEEvPT0_PvPT_S6_S6_PKS5_S8_S8_S8_S8_ffiiiiiiiiiiiii
		.amdhsa_group_segment_fixed_size 64
		.amdhsa_private_segment_fixed_size 0
		.amdhsa_kernarg_size 400
		.amdhsa_user_sgpr_count 6
		.amdhsa_user_sgpr_private_segment_buffer 1
		.amdhsa_user_sgpr_dispatch_ptr 0
		.amdhsa_user_sgpr_queue_ptr 0
		.amdhsa_user_sgpr_kernarg_segment_ptr 1
		.amdhsa_user_sgpr_dispatch_id 0
		.amdhsa_user_sgpr_flat_scratch_init 0
		.amdhsa_user_sgpr_kernarg_preload_length 0
		.amdhsa_user_sgpr_kernarg_preload_offset 0
		.amdhsa_user_sgpr_private_segment_size 0
		.amdhsa_uses_dynamic_stack 0
		.amdhsa_system_sgpr_private_segment_wavefront_offset 0
		.amdhsa_system_sgpr_workgroup_id_x 1
		.amdhsa_system_sgpr_workgroup_id_y 1
		.amdhsa_system_sgpr_workgroup_id_z 0
		.amdhsa_system_sgpr_workgroup_info 0
		.amdhsa_system_vgpr_workitem_id 0
		.amdhsa_next_free_vgpr 35
		.amdhsa_next_free_sgpr 32
		.amdhsa_accum_offset 36
		.amdhsa_reserve_vcc 1
		.amdhsa_reserve_flat_scratch 0
		.amdhsa_float_round_mode_32 0
		.amdhsa_float_round_mode_16_64 0
		.amdhsa_float_denorm_mode_32 3
		.amdhsa_float_denorm_mode_16_64 3
		.amdhsa_dx10_clamp 1
		.amdhsa_ieee_mode 1
		.amdhsa_fp16_overflow 0
		.amdhsa_tg_split 0
		.amdhsa_exception_fp_ieee_invalid_op 0
		.amdhsa_exception_fp_denorm_src 0
		.amdhsa_exception_fp_ieee_div_zero 0
		.amdhsa_exception_fp_ieee_overflow 0
		.amdhsa_exception_fp_ieee_underflow 0
		.amdhsa_exception_fp_ieee_inexact 0
		.amdhsa_exception_int_div_zero 0
	.end_amdhsa_kernel
	.section	.text._ZN5aiter35fused_qk_rmsnorm_group_quant_kernelIDF16_DB8_Li512ELi16ELi4ELb0ELb1ELb0ELb1ELb0ELb0EEEvPT0_PvPT_S6_S6_PKS5_S8_S8_S8_S8_ffiiiiiiiiiiiii,"axG",@progbits,_ZN5aiter35fused_qk_rmsnorm_group_quant_kernelIDF16_DB8_Li512ELi16ELi4ELb0ELb1ELb0ELb1ELb0ELb0EEEvPT0_PvPT_S6_S6_PKS5_S8_S8_S8_S8_ffiiiiiiiiiiiii,comdat
.Lfunc_end949:
	.size	_ZN5aiter35fused_qk_rmsnorm_group_quant_kernelIDF16_DB8_Li512ELi16ELi4ELb0ELb1ELb0ELb1ELb0ELb0EEEvPT0_PvPT_S6_S6_PKS5_S8_S8_S8_S8_ffiiiiiiiiiiiii, .Lfunc_end949-_ZN5aiter35fused_qk_rmsnorm_group_quant_kernelIDF16_DB8_Li512ELi16ELi4ELb0ELb1ELb0ELb1ELb0ELb0EEEvPT0_PvPT_S6_S6_PKS5_S8_S8_S8_S8_ffiiiiiiiiiiiii
                                        ; -- End function
	.section	.AMDGPU.csdata,"",@progbits
; Kernel info:
; codeLenInByte = 2872
; NumSgprs: 36
; NumVgprs: 35
; NumAgprs: 0
; TotalNumVgprs: 35
; ScratchSize: 0
; MemoryBound: 0
; FloatMode: 240
; IeeeMode: 1
; LDSByteSize: 64 bytes/workgroup (compile time only)
; SGPRBlocks: 4
; VGPRBlocks: 4
; NumSGPRsForWavesPerEU: 36
; NumVGPRsForWavesPerEU: 35
; AccumOffset: 36
; Occupancy: 8
; WaveLimiterHint : 0
; COMPUTE_PGM_RSRC2:SCRATCH_EN: 0
; COMPUTE_PGM_RSRC2:USER_SGPR: 6
; COMPUTE_PGM_RSRC2:TRAP_HANDLER: 0
; COMPUTE_PGM_RSRC2:TGID_X_EN: 1
; COMPUTE_PGM_RSRC2:TGID_Y_EN: 1
; COMPUTE_PGM_RSRC2:TGID_Z_EN: 0
; COMPUTE_PGM_RSRC2:TIDIG_COMP_CNT: 0
; COMPUTE_PGM_RSRC3_GFX90A:ACCUM_OFFSET: 8
; COMPUTE_PGM_RSRC3_GFX90A:TG_SPLIT: 0
	.section	.text._ZN5aiter35fused_qk_rmsnorm_group_quant_kernelItDB8_Li512ELi16ELi4ELb0ELb1ELb0ELb1ELb0ELb0EEEvPT0_PvPT_S6_S6_PKS5_S8_S8_S8_S8_ffiiiiiiiiiiiii,"axG",@progbits,_ZN5aiter35fused_qk_rmsnorm_group_quant_kernelItDB8_Li512ELi16ELi4ELb0ELb1ELb0ELb1ELb0ELb0EEEvPT0_PvPT_S6_S6_PKS5_S8_S8_S8_S8_ffiiiiiiiiiiiii,comdat
	.protected	_ZN5aiter35fused_qk_rmsnorm_group_quant_kernelItDB8_Li512ELi16ELi4ELb0ELb1ELb0ELb1ELb0ELb0EEEvPT0_PvPT_S6_S6_PKS5_S8_S8_S8_S8_ffiiiiiiiiiiiii ; -- Begin function _ZN5aiter35fused_qk_rmsnorm_group_quant_kernelItDB8_Li512ELi16ELi4ELb0ELb1ELb0ELb1ELb0ELb0EEEvPT0_PvPT_S6_S6_PKS5_S8_S8_S8_S8_ffiiiiiiiiiiiii
	.globl	_ZN5aiter35fused_qk_rmsnorm_group_quant_kernelItDB8_Li512ELi16ELi4ELb0ELb1ELb0ELb1ELb0ELb0EEEvPT0_PvPT_S6_S6_PKS5_S8_S8_S8_S8_ffiiiiiiiiiiiii
	.p2align	8
	.type	_ZN5aiter35fused_qk_rmsnorm_group_quant_kernelItDB8_Li512ELi16ELi4ELb0ELb1ELb0ELb1ELb0ELb0EEEvPT0_PvPT_S6_S6_PKS5_S8_S8_S8_S8_ffiiiiiiiiiiiii,@function
_ZN5aiter35fused_qk_rmsnorm_group_quant_kernelItDB8_Li512ELi16ELi4ELb0ELb1ELb0ELb1ELb0ELb0EEEvPT0_PvPT_S6_S6_PKS5_S8_S8_S8_S8_ffiiiiiiiiiiiii: ; @_ZN5aiter35fused_qk_rmsnorm_group_quant_kernelItDB8_Li512ELi16ELi4ELb0ELb1ELb0ELb1ELb0ELb0EEEvPT0_PvPT_S6_S6_PKS5_S8_S8_S8_S8_ffiiiiiiiiiiiii
; %bb.0:
	s_load_dwordx4 s[12:15], s[4:5], 0x50
	s_waitcnt lgkmcnt(0)
	s_cmp_ge_i32 s6, s14
	s_cbranch_scc1 .LBB950_12
; %bb.1:
	s_load_dwordx2 s[24:25], s[4:5], 0x30
	s_load_dwordx2 s[8:9], s[4:5], 0x48
	s_load_dwordx4 s[16:19], s[4:5], 0x60
	s_cmp_lg_u32 s7, 0
	s_cselect_b64 s[10:11], -1, 0
	s_cmp_eq_u32 s7, 0
	s_cselect_b64 vcc, -1, 0
	s_and_b64 s[0:1], vcc, exec
	s_waitcnt lgkmcnt(0)
	s_cselect_b32 s7, s15, s16
	s_add_i32 s0, s7, 1
	s_lshr_b32 s1, s0, 31
	s_add_i32 s0, s0, s1
	s_lshl_b32 s0, s0, 1
	v_lshlrev_b32_e32 v1, 4, v0
	s_and_b32 s22, s0, -4
	v_cmp_gt_i32_e64 s[2:3], s7, v1
	v_mov_b32_e32 v18, 0
	v_mov_b32_e32 v6, 0
	;; [unrolled: 1-line block ×17, first 2 shown]
	s_and_saveexec_b64 s[0:1], s[2:3]
	s_cbranch_execz .LBB950_3
; %bb.2:
	s_load_dwordx2 s[14:15], s[4:5], 0x28
	s_load_dwordx2 s[20:21], s[4:5], 0x40
	s_and_b64 s[26:27], vcc, exec
	s_cselect_b32 s17, s17, s18
	s_mov_b32 s30, s22
	s_waitcnt lgkmcnt(0)
	s_cselect_b32 s19, s15, s25
	s_cselect_b32 s23, s14, s24
	s_mul_hi_i32 s15, s17, s6
	s_mul_i32 s14, s17, s6
	s_lshl_b64 s[14:15], s[14:15], 1
	s_add_u32 s28, s23, s14
	s_addc_u32 s17, s19, s15
	s_and_b64 s[14:15], vcc, exec
	s_mov_b32 s23, 0x20000
	s_cselect_b32 s20, s20, s8
	s_cselect_b32 s14, s21, s9
	s_and_b32 s29, s17, 0xffff
	s_mov_b32 s31, s23
	v_lshlrev_b32_e32 v19, 5, v0
	s_and_b32 s21, s14, 0xffff
	buffer_load_dwordx4 v[14:17], v19, s[28:31], 0 offen
	buffer_load_dwordx4 v[10:13], v19, s[28:31], 16 offen
	;; [unrolled: 1-line block ×4, first 2 shown]
.LBB950_3:
	s_or_b64 exec, exec, s[0:1]
	v_mov_b32_e32 v19, 0
	v_mov_b32_e32 v20, 0
	;; [unrolled: 1-line block ×15, first 2 shown]
	s_and_saveexec_b64 s[0:1], s[2:3]
	s_cbranch_execz .LBB950_5
; %bb.4:
	s_waitcnt vmcnt(3)
	v_cvt_f32_u32_sdwa v18, v14 dst_sel:DWORD dst_unused:UNUSED_PAD src0_sel:WORD_0
	v_cvt_f32_u32_sdwa v19, v14 dst_sel:DWORD dst_unused:UNUSED_PAD src0_sel:WORD_1
	v_cvt_f32_u32_sdwa v20, v15 dst_sel:DWORD dst_unused:UNUSED_PAD src0_sel:WORD_0
	v_cvt_f32_u32_sdwa v21, v15 dst_sel:DWORD dst_unused:UNUSED_PAD src0_sel:WORD_1
	;; [unrolled: 2-line block ×4, first 2 shown]
	s_waitcnt vmcnt(2)
	v_cvt_f32_u32_sdwa v26, v10 dst_sel:DWORD dst_unused:UNUSED_PAD src0_sel:WORD_0
	v_cvt_f32_u32_sdwa v27, v10 dst_sel:DWORD dst_unused:UNUSED_PAD src0_sel:WORD_1
	v_cvt_f32_u32_sdwa v28, v11 dst_sel:DWORD dst_unused:UNUSED_PAD src0_sel:WORD_0
	v_cvt_f32_u32_sdwa v29, v11 dst_sel:DWORD dst_unused:UNUSED_PAD src0_sel:WORD_1
	;; [unrolled: 2-line block ×4, first 2 shown]
.LBB950_5:
	s_or_b64 exec, exec, s[0:1]
	s_waitcnt vmcnt(2)
	v_mul_f32_e32 v10, v19, v19
	v_fmac_f32_e32 v10, v18, v18
	v_fmac_f32_e32 v10, v20, v20
	;; [unrolled: 1-line block ×15, first 2 shown]
	v_and_b32_e32 v12, 63, v0
	v_cmp_eq_u32_e64 s[0:1], 63, v12
	v_mov_b32_dpp v11, v10 quad_perm:[1,0,3,2] row_mask:0xf bank_mask:0xf
	v_add_f32_e32 v10, v10, v11
	s_nop 1
	v_mov_b32_dpp v11, v10 quad_perm:[2,3,0,1] row_mask:0xf bank_mask:0xf
	v_add_f32_e32 v10, v10, v11
	s_nop 1
	v_mov_b32_dpp v11, v10 row_half_mirror row_mask:0xf bank_mask:0xf
	v_add_f32_e32 v10, v10, v11
	s_nop 1
	v_mov_b32_dpp v11, v10 row_mirror row_mask:0xf bank_mask:0xf
	v_add_f32_e32 v10, v10, v11
	s_nop 1
	v_mov_b32_dpp v11, v10 row_bcast:15 row_mask:0xf bank_mask:0xf
	v_add_f32_e32 v10, v10, v11
	s_nop 1
	v_mov_b32_dpp v11, v10 row_bcast:31 row_mask:0xf bank_mask:0xf
	s_and_saveexec_b64 s[14:15], s[0:1]
	s_cbranch_execz .LBB950_7
; %bb.6:
	v_add_f32_e32 v10, v10, v11
	v_lshrrev_b32_e32 v11, 4, v0
	v_and_b32_e32 v11, 60, v11
	ds_write_b32 v11, v10 offset:32
.LBB950_7:
	s_or_b64 exec, exec, s[14:15]
	v_and_b32_e32 v10, 7, v0
	v_lshlrev_b32_e32 v34, 2, v10
	s_waitcnt lgkmcnt(0)
	s_barrier
	ds_read_b32 v10, v34 offset:32
	s_load_dwordx2 s[14:15], s[4:5], 0x18
	s_waitcnt lgkmcnt(0)
	v_mov_b32_dpp v11, v10 quad_perm:[1,0,3,2] row_mask:0xf bank_mask:0xf
	v_add_f32_e32 v10, v10, v11
	s_nop 1
	v_mov_b32_dpp v11, v10 quad_perm:[2,3,0,1] row_mask:0xf bank_mask:0xf
	v_add_f32_e32 v10, v10, v11
	s_nop 1
	v_mov_b32_dpp v11, v10 row_half_mirror row_mask:0xf bank_mask:0xf
	s_and_saveexec_b64 s[20:21], s[2:3]
	s_cbranch_execz .LBB950_9
; %bb.8:
	v_cvt_f32_u32_e32 v12, s7
	v_add_f32_e32 v10, v10, v11
	v_mov_b32_e32 v14, s13
	v_mov_b32_e32 v15, s12
	v_div_scale_f32 v11, s[26:27], v12, v12, v10
	v_rcp_f32_e32 v13, v11
	v_cndmask_b32_e32 v14, v14, v15, vcc
	s_mov_b32 s7, 0x800000
	v_fma_f32 v15, -v11, v13, 1.0
	v_fmac_f32_e32 v13, v15, v13
	v_div_scale_f32 v15, vcc, v10, v12, v10
	v_mul_f32_e32 v16, v15, v13
	v_fma_f32 v17, -v11, v16, v15
	v_fmac_f32_e32 v16, v17, v13
	v_fma_f32 v11, -v11, v16, v15
	v_div_fmas_f32 v11, v11, v13, v16
	v_div_fixup_f32 v10, v11, v12, v10
	v_add_f32_e32 v10, v14, v10
	v_mul_f32_e32 v11, 0x4b800000, v10
	v_cmp_gt_f32_e32 vcc, s7, v10
	v_cndmask_b32_e32 v10, v10, v11, vcc
	v_rsq_f32_e32 v10, v10
	v_mul_f32_e32 v11, 0x45800000, v10
	v_cndmask_b32_e32 v10, v10, v11, vcc
	v_mov_b32_e32 v11, v10
	;;#ASMSTART
	v_pk_mul_f32 v[12:13], v[18:19], v[10:11]
	;;#ASMEND
	;;#ASMSTART
	v_pk_mul_f32 v[14:15], v[20:21], v[10:11]
	;;#ASMEND
	;; [unrolled: 3-line block ×8, first 2 shown]
	s_waitcnt vmcnt(1)
	v_cvt_f32_u32_sdwa v19, v6 dst_sel:DWORD dst_unused:UNUSED_PAD src0_sel:WORD_1
	v_cvt_f32_u32_sdwa v18, v6 dst_sel:DWORD dst_unused:UNUSED_PAD src0_sel:WORD_0
	v_cvt_f32_u32_sdwa v21, v7 dst_sel:DWORD dst_unused:UNUSED_PAD src0_sel:WORD_1
	v_cvt_f32_u32_sdwa v20, v7 dst_sel:DWORD dst_unused:UNUSED_PAD src0_sel:WORD_0
	;; [unrolled: 2-line block ×4, first 2 shown]
	;;#ASMSTART
	v_pk_mul_f32 v[18:19], v[12:13], v[18:19]
	;;#ASMEND
	;;#ASMSTART
	v_pk_mul_f32 v[20:21], v[14:15], v[20:21]
	;;#ASMEND
	;; [unrolled: 3-line block ×4, first 2 shown]
	s_waitcnt vmcnt(0)
	v_cvt_f32_u32_sdwa v7, v2 dst_sel:DWORD dst_unused:UNUSED_PAD src0_sel:WORD_1
	v_cvt_f32_u32_sdwa v6, v2 dst_sel:DWORD dst_unused:UNUSED_PAD src0_sel:WORD_0
	v_cvt_f32_u32_sdwa v9, v3 dst_sel:DWORD dst_unused:UNUSED_PAD src0_sel:WORD_1
	v_cvt_f32_u32_sdwa v8, v3 dst_sel:DWORD dst_unused:UNUSED_PAD src0_sel:WORD_0
	;; [unrolled: 2-line block ×4, first 2 shown]
	;;#ASMSTART
	v_pk_mul_f32 v[26:27], v[26:27], v[6:7]
	;;#ASMEND
	;;#ASMSTART
	v_pk_mul_f32 v[28:29], v[28:29], v[8:9]
	;;#ASMEND
	;; [unrolled: 3-line block ×4, first 2 shown]
.LBB950_9:
	s_or_b64 exec, exec, s[20:21]
	s_load_dwordx2 s[26:27], s[4:5], 0x7c
	s_mov_b64 s[20:21], -1
	s_and_b64 vcc, exec, s[10:11]
	s_cbranch_vccnz .LBB950_13
; %bb.10:
	s_andn2_b64 vcc, exec, s[20:21]
	s_cbranch_vccz .LBB950_16
.LBB950_11:
	s_cmp_lt_i32 s16, 1
	s_cbranch_scc0 .LBB950_19
.LBB950_12:
	s_endpgm
.LBB950_13:
	s_and_saveexec_b64 s[10:11], s[2:3]
	s_cbranch_execz .LBB950_15
; %bb.14:
	s_waitcnt lgkmcnt(0)
	s_mul_hi_i32 s21, s27, s6
	s_mul_i32 s20, s27, s6
	s_lshl_b64 s[20:21], s[20:21], 1
	s_add_u32 s20, s14, s20
	s_addc_u32 s7, s15, s21
	s_and_b32 s21, s7, 0xffff
	s_mov_b32 s7, 0x7060302
	s_mov_b32 s23, 0x20000
	s_waitcnt vmcnt(0)
	v_perm_b32 v5, v25, v24, s7
	v_perm_b32 v4, v23, v22, s7
	;; [unrolled: 1-line block ×4, first 2 shown]
	v_lshlrev_b32_e32 v6, 5, v0
	buffer_store_dwordx4 v[2:5], v6, s[20:23], 0 offen
	;;#ASMSTART
	s_nop 0
	;;#ASMEND
	s_nop 0
	v_perm_b32 v5, v33, v32, s7
	v_perm_b32 v4, v31, v30, s7
	;; [unrolled: 1-line block ×4, first 2 shown]
	buffer_store_dwordx4 v[2:5], v6, s[20:23], 16 offen
	;;#ASMSTART
	s_nop 0
	;;#ASMEND
.LBB950_15:
	s_or_b64 exec, exec, s[10:11]
	s_cbranch_execnz .LBB950_11
.LBB950_16:
	s_and_saveexec_b64 s[10:11], s[2:3]
	s_cbranch_execz .LBB950_18
; %bb.17:
	s_load_dwordx2 s[2:3], s[4:5], 0x10
	s_waitcnt lgkmcnt(0)
	s_mul_hi_i32 s21, s26, s6
	s_mul_i32 s20, s26, s6
	s_lshl_b64 s[20:21], s[20:21], 1
	s_mov_b32 s23, 0x20000
	s_add_u32 s20, s2, s20
	s_addc_u32 s2, s3, s21
	s_and_b32 s21, s2, 0xffff
	s_mov_b32 s2, 0x7060302
	s_waitcnt vmcnt(0)
	v_perm_b32 v5, v25, v24, s2
	v_perm_b32 v4, v23, v22, s2
	v_perm_b32 v3, v21, v20, s2
	v_perm_b32 v2, v19, v18, s2
	v_lshlrev_b32_e32 v6, 5, v0
	buffer_store_dwordx4 v[2:5], v6, s[20:23], 0 offen
	;;#ASMSTART
	s_nop 0
	;;#ASMEND
	s_nop 0
	v_perm_b32 v5, v33, v32, s2
	v_perm_b32 v4, v31, v30, s2
	;; [unrolled: 1-line block ×4, first 2 shown]
	buffer_store_dwordx4 v[2:5], v6, s[20:23], 16 offen
	;;#ASMSTART
	s_nop 0
	;;#ASMEND
.LBB950_18:
	s_or_b64 exec, exec, s[10:11]
	s_cmp_lt_i32 s16, 1
	s_cbranch_scc1 .LBB950_12
.LBB950_19:
	s_load_dword s2, s[4:5], 0x94
	s_waitcnt lgkmcnt(0)
	s_cmp_lg_u32 s2, 1
	s_cbranch_scc1 .LBB950_12
; %bb.20:
	s_lshl_b32 s2, s16, 1
	s_add_i32 s2, s2, 2
	v_cmp_gt_u32_e32 vcc, s16, v1
	s_and_b32 s10, s2, -4
	v_mov_b32_e32 v18, 0
	v_lshlrev_b32_e32 v1, 5, v0
	v_mov_b32_e32 v14, 0
	v_mov_b32_e32 v15, 0
	;; [unrolled: 1-line block ×8, first 2 shown]
	s_waitcnt vmcnt(1)
	v_mov_b32_e32 v6, 0
	v_mov_b32_e32 v7, 0
	;; [unrolled: 1-line block ×4, first 2 shown]
	s_waitcnt vmcnt(0)
	v_mov_b32_e32 v2, 0
	v_mov_b32_e32 v3, 0
	;; [unrolled: 1-line block ×4, first 2 shown]
	s_barrier
	s_and_saveexec_b64 s[2:3], vcc
	s_cbranch_execz .LBB950_22
; %bb.21:
	s_mul_hi_i32 s5, s18, s6
	s_mul_i32 s4, s18, s6
	s_and_b32 s9, s9, 0xffff
	s_lshl_b64 s[4:5], s[4:5], 1
	s_add_u32 s20, s24, s4
	s_mov_b32 s11, 0x20000
	s_addc_u32 s4, s25, s5
	s_and_b32 s21, s4, 0xffff
	s_mov_b32 s22, s10
	s_mov_b32 s23, s11
	buffer_load_dwordx4 v[14:17], v1, s[20:23], 0 offen
	buffer_load_dwordx4 v[10:13], v1, s[20:23], 16 offen
	;; [unrolled: 1-line block ×4, first 2 shown]
.LBB950_22:
	s_or_b64 exec, exec, s[2:3]
	v_mov_b32_e32 v19, 0
	v_mov_b32_e32 v32, 0
	;; [unrolled: 1-line block ×15, first 2 shown]
	s_and_saveexec_b64 s[2:3], vcc
	s_cbranch_execz .LBB950_24
; %bb.23:
	s_waitcnt vmcnt(3)
	v_cvt_f32_u32_sdwa v18, v14 dst_sel:DWORD dst_unused:UNUSED_PAD src0_sel:WORD_0
	v_cvt_f32_u32_sdwa v19, v14 dst_sel:DWORD dst_unused:UNUSED_PAD src0_sel:WORD_1
	v_cvt_f32_u32_sdwa v32, v15 dst_sel:DWORD dst_unused:UNUSED_PAD src0_sel:WORD_0
	v_cvt_f32_u32_sdwa v33, v15 dst_sel:DWORD dst_unused:UNUSED_PAD src0_sel:WORD_1
	;; [unrolled: 2-line block ×4, first 2 shown]
	s_waitcnt vmcnt(2)
	v_cvt_f32_u32_sdwa v26, v10 dst_sel:DWORD dst_unused:UNUSED_PAD src0_sel:WORD_0
	v_cvt_f32_u32_sdwa v27, v10 dst_sel:DWORD dst_unused:UNUSED_PAD src0_sel:WORD_1
	v_cvt_f32_u32_sdwa v24, v11 dst_sel:DWORD dst_unused:UNUSED_PAD src0_sel:WORD_0
	v_cvt_f32_u32_sdwa v25, v11 dst_sel:DWORD dst_unused:UNUSED_PAD src0_sel:WORD_1
	;; [unrolled: 2-line block ×4, first 2 shown]
.LBB950_24:
	s_or_b64 exec, exec, s[2:3]
	s_waitcnt vmcnt(2)
	v_mul_f32_e32 v10, v19, v19
	v_fmac_f32_e32 v10, v18, v18
	v_fmac_f32_e32 v10, v32, v32
	;; [unrolled: 1-line block ×15, first 2 shown]
	s_nop 1
	v_mov_b32_dpp v11, v10 quad_perm:[1,0,3,2] row_mask:0xf bank_mask:0xf
	v_add_f32_e32 v10, v10, v11
	s_nop 1
	v_mov_b32_dpp v11, v10 quad_perm:[2,3,0,1] row_mask:0xf bank_mask:0xf
	v_add_f32_e32 v10, v10, v11
	s_nop 1
	v_mov_b32_dpp v11, v10 row_half_mirror row_mask:0xf bank_mask:0xf
	v_add_f32_e32 v10, v10, v11
	s_nop 1
	v_mov_b32_dpp v11, v10 row_mirror row_mask:0xf bank_mask:0xf
	v_add_f32_e32 v10, v10, v11
	s_nop 1
	v_mov_b32_dpp v11, v10 row_bcast:15 row_mask:0xf bank_mask:0xf
	v_add_f32_e32 v10, v10, v11
	s_nop 1
	v_mov_b32_dpp v11, v10 row_bcast:31 row_mask:0xf bank_mask:0xf
	s_and_saveexec_b64 s[2:3], s[0:1]
	s_cbranch_execz .LBB950_26
; %bb.25:
	v_lshrrev_b32_e32 v0, 4, v0
	v_add_f32_e32 v10, v10, v11
	v_and_b32_e32 v0, 60, v0
	ds_write_b32 v0, v10
.LBB950_26:
	s_or_b64 exec, exec, s[2:3]
	s_waitcnt lgkmcnt(0)
	s_barrier
	ds_read_b32 v0, v34
	s_waitcnt lgkmcnt(0)
	s_nop 0
	v_mov_b32_dpp v10, v0 quad_perm:[1,0,3,2] row_mask:0xf bank_mask:0xf
	v_add_f32_e32 v0, v0, v10
	s_nop 1
	v_mov_b32_dpp v10, v0 quad_perm:[2,3,0,1] row_mask:0xf bank_mask:0xf
	v_add_f32_e32 v0, v0, v10
	s_nop 1
	v_mov_b32_dpp v10, v0 row_half_mirror row_mask:0xf bank_mask:0xf
	s_and_saveexec_b64 s[0:1], vcc
	s_cbranch_execz .LBB950_12
; %bb.27:
	v_cvt_f32_u32_e32 v11, s16
	v_add_f32_e32 v0, v0, v10
	s_mov_b32 s11, 0x20000
	v_div_scale_f32 v10, s[0:1], v11, v11, v0
	v_rcp_f32_e32 v12, v10
	v_div_scale_f32 v13, vcc, v0, v11, v0
	s_mov_b32 s0, 0x800000
	v_fma_f32 v14, -v10, v12, 1.0
	v_fmac_f32_e32 v12, v14, v12
	v_mul_f32_e32 v14, v13, v12
	v_fma_f32 v15, -v10, v14, v13
	v_fmac_f32_e32 v14, v15, v12
	v_fma_f32 v10, -v10, v14, v13
	v_div_fmas_f32 v10, v10, v12, v14
	v_div_fixup_f32 v0, v10, v11, v0
	v_add_f32_e32 v0, s13, v0
	v_mul_f32_e32 v10, 0x4b800000, v0
	v_cmp_gt_f32_e32 vcc, s0, v0
	v_cndmask_b32_e32 v0, v0, v10, vcc
	v_rsq_f32_e32 v0, v0
	s_mul_hi_i32 s1, s27, s6
	s_mul_i32 s0, s27, s6
	s_lshl_b64 s[0:1], s[0:1], 1
	v_mul_f32_e32 v10, 0x45800000, v0
	v_cndmask_b32_e32 v10, v0, v10, vcc
	v_mov_b32_e32 v11, v10
	s_add_u32 s8, s14, s0
	;;#ASMSTART
	v_pk_mul_f32 v[12:13], v[18:19], v[10:11]
	;;#ASMEND
	;;#ASMSTART
	v_pk_mul_f32 v[14:15], v[32:33], v[10:11]
	;;#ASMEND
	;; [unrolled: 3-line block ×8, first 2 shown]
	s_waitcnt vmcnt(1)
	v_cvt_f32_u32_sdwa v21, v6 dst_sel:DWORD dst_unused:UNUSED_PAD src0_sel:WORD_1
	v_cvt_f32_u32_sdwa v20, v6 dst_sel:DWORD dst_unused:UNUSED_PAD src0_sel:WORD_0
	v_cvt_f32_u32_sdwa v29, v7 dst_sel:DWORD dst_unused:UNUSED_PAD src0_sel:WORD_1
	v_cvt_f32_u32_sdwa v28, v7 dst_sel:DWORD dst_unused:UNUSED_PAD src0_sel:WORD_0
	;; [unrolled: 2-line block ×3, first 2 shown]
	s_addc_u32 s0, s15, s1
	v_cvt_f32_u32_sdwa v31, v9 dst_sel:DWORD dst_unused:UNUSED_PAD src0_sel:WORD_1
	v_cvt_f32_u32_sdwa v30, v9 dst_sel:DWORD dst_unused:UNUSED_PAD src0_sel:WORD_0
	;;#ASMSTART
	v_pk_mul_f32 v[8:9], v[12:13], v[20:21]
	;;#ASMEND
	;;#ASMSTART
	v_pk_mul_f32 v[12:13], v[14:15], v[28:29]
	;;#ASMEND
	;; [unrolled: 3-line block ×4, first 2 shown]
	s_waitcnt vmcnt(0)
	v_cvt_f32_u32_sdwa v17, v2 dst_sel:DWORD dst_unused:UNUSED_PAD src0_sel:WORD_1
	v_cvt_f32_u32_sdwa v16, v2 dst_sel:DWORD dst_unused:UNUSED_PAD src0_sel:WORD_0
	v_cvt_f32_u32_sdwa v19, v3 dst_sel:DWORD dst_unused:UNUSED_PAD src0_sel:WORD_1
	v_cvt_f32_u32_sdwa v18, v3 dst_sel:DWORD dst_unused:UNUSED_PAD src0_sel:WORD_0
	;; [unrolled: 2-line block ×3, first 2 shown]
	s_and_b32 s9, s0, 0xffff
	s_mov_b32 s0, 0x7060302
	v_cvt_f32_u32_sdwa v21, v5 dst_sel:DWORD dst_unused:UNUSED_PAD src0_sel:WORD_1
	v_cvt_f32_u32_sdwa v20, v5 dst_sel:DWORD dst_unused:UNUSED_PAD src0_sel:WORD_0
	;;#ASMSTART
	v_pk_mul_f32 v[16:17], v[26:27], v[16:17]
	;;#ASMEND
	;;#ASMSTART
	v_pk_mul_f32 v[18:19], v[24:25], v[18:19]
	;;#ASMEND
	;; [unrolled: 3-line block ×3, first 2 shown]
	v_perm_b32 v2, v9, v8, s0
	v_perm_b32 v3, v13, v12, s0
	;; [unrolled: 1-line block ×4, first 2 shown]
	;;#ASMSTART
	v_pk_mul_f32 v[10:11], v[10:11], v[20:21]
	;;#ASMEND
	buffer_store_dwordx4 v[2:5], v1, s[8:11], 0 offen
	;;#ASMSTART
	s_nop 0
	;;#ASMEND
	s_nop 0
	v_perm_b32 v2, v17, v16, s0
	v_perm_b32 v3, v19, v18, s0
	;; [unrolled: 1-line block ×4, first 2 shown]
	buffer_store_dwordx4 v[2:5], v1, s[8:11], 16 offen
	;;#ASMSTART
	s_nop 0
	;;#ASMEND
	s_endpgm
	.section	.rodata,"a",@progbits
	.p2align	6, 0x0
	.amdhsa_kernel _ZN5aiter35fused_qk_rmsnorm_group_quant_kernelItDB8_Li512ELi16ELi4ELb0ELb1ELb0ELb1ELb0ELb0EEEvPT0_PvPT_S6_S6_PKS5_S8_S8_S8_S8_ffiiiiiiiiiiiii
		.amdhsa_group_segment_fixed_size 64
		.amdhsa_private_segment_fixed_size 0
		.amdhsa_kernarg_size 400
		.amdhsa_user_sgpr_count 6
		.amdhsa_user_sgpr_private_segment_buffer 1
		.amdhsa_user_sgpr_dispatch_ptr 0
		.amdhsa_user_sgpr_queue_ptr 0
		.amdhsa_user_sgpr_kernarg_segment_ptr 1
		.amdhsa_user_sgpr_dispatch_id 0
		.amdhsa_user_sgpr_flat_scratch_init 0
		.amdhsa_user_sgpr_kernarg_preload_length 0
		.amdhsa_user_sgpr_kernarg_preload_offset 0
		.amdhsa_user_sgpr_private_segment_size 0
		.amdhsa_uses_dynamic_stack 0
		.amdhsa_system_sgpr_private_segment_wavefront_offset 0
		.amdhsa_system_sgpr_workgroup_id_x 1
		.amdhsa_system_sgpr_workgroup_id_y 1
		.amdhsa_system_sgpr_workgroup_id_z 0
		.amdhsa_system_sgpr_workgroup_info 0
		.amdhsa_system_vgpr_workitem_id 0
		.amdhsa_next_free_vgpr 35
		.amdhsa_next_free_sgpr 32
		.amdhsa_accum_offset 36
		.amdhsa_reserve_vcc 1
		.amdhsa_reserve_flat_scratch 0
		.amdhsa_float_round_mode_32 0
		.amdhsa_float_round_mode_16_64 0
		.amdhsa_float_denorm_mode_32 3
		.amdhsa_float_denorm_mode_16_64 3
		.amdhsa_dx10_clamp 1
		.amdhsa_ieee_mode 1
		.amdhsa_fp16_overflow 0
		.amdhsa_tg_split 0
		.amdhsa_exception_fp_ieee_invalid_op 0
		.amdhsa_exception_fp_denorm_src 0
		.amdhsa_exception_fp_ieee_div_zero 0
		.amdhsa_exception_fp_ieee_overflow 0
		.amdhsa_exception_fp_ieee_underflow 0
		.amdhsa_exception_fp_ieee_inexact 0
		.amdhsa_exception_int_div_zero 0
	.end_amdhsa_kernel
	.section	.text._ZN5aiter35fused_qk_rmsnorm_group_quant_kernelItDB8_Li512ELi16ELi4ELb0ELb1ELb0ELb1ELb0ELb0EEEvPT0_PvPT_S6_S6_PKS5_S8_S8_S8_S8_ffiiiiiiiiiiiii,"axG",@progbits,_ZN5aiter35fused_qk_rmsnorm_group_quant_kernelItDB8_Li512ELi16ELi4ELb0ELb1ELb0ELb1ELb0ELb0EEEvPT0_PvPT_S6_S6_PKS5_S8_S8_S8_S8_ffiiiiiiiiiiiii,comdat
.Lfunc_end950:
	.size	_ZN5aiter35fused_qk_rmsnorm_group_quant_kernelItDB8_Li512ELi16ELi4ELb0ELb1ELb0ELb1ELb0ELb0EEEvPT0_PvPT_S6_S6_PKS5_S8_S8_S8_S8_ffiiiiiiiiiiiii, .Lfunc_end950-_ZN5aiter35fused_qk_rmsnorm_group_quant_kernelItDB8_Li512ELi16ELi4ELb0ELb1ELb0ELb1ELb0ELb0EEEvPT0_PvPT_S6_S6_PKS5_S8_S8_S8_S8_ffiiiiiiiiiiiii
                                        ; -- End function
	.section	.AMDGPU.csdata,"",@progbits
; Kernel info:
; codeLenInByte = 2844
; NumSgprs: 36
; NumVgprs: 35
; NumAgprs: 0
; TotalNumVgprs: 35
; ScratchSize: 0
; MemoryBound: 0
; FloatMode: 240
; IeeeMode: 1
; LDSByteSize: 64 bytes/workgroup (compile time only)
; SGPRBlocks: 4
; VGPRBlocks: 4
; NumSGPRsForWavesPerEU: 36
; NumVGPRsForWavesPerEU: 35
; AccumOffset: 36
; Occupancy: 8
; WaveLimiterHint : 0
; COMPUTE_PGM_RSRC2:SCRATCH_EN: 0
; COMPUTE_PGM_RSRC2:USER_SGPR: 6
; COMPUTE_PGM_RSRC2:TRAP_HANDLER: 0
; COMPUTE_PGM_RSRC2:TGID_X_EN: 1
; COMPUTE_PGM_RSRC2:TGID_Y_EN: 1
; COMPUTE_PGM_RSRC2:TGID_Z_EN: 0
; COMPUTE_PGM_RSRC2:TIDIG_COMP_CNT: 0
; COMPUTE_PGM_RSRC3_GFX90A:ACCUM_OFFSET: 8
; COMPUTE_PGM_RSRC3_GFX90A:TG_SPLIT: 0
	.section	.text._ZN5aiter35fused_qk_rmsnorm_group_quant_kernelIDF16_N4opus5fp4_tELi512ELi16ELi4ELb0ELb1ELb0ELb1ELb0ELb0EEEvPT0_PvPT_S7_S7_PKS6_S9_S9_S9_S9_ffiiiiiiiiiiiii,"axG",@progbits,_ZN5aiter35fused_qk_rmsnorm_group_quant_kernelIDF16_N4opus5fp4_tELi512ELi16ELi4ELb0ELb1ELb0ELb1ELb0ELb0EEEvPT0_PvPT_S7_S7_PKS6_S9_S9_S9_S9_ffiiiiiiiiiiiii,comdat
	.protected	_ZN5aiter35fused_qk_rmsnorm_group_quant_kernelIDF16_N4opus5fp4_tELi512ELi16ELi4ELb0ELb1ELb0ELb1ELb0ELb0EEEvPT0_PvPT_S7_S7_PKS6_S9_S9_S9_S9_ffiiiiiiiiiiiii ; -- Begin function _ZN5aiter35fused_qk_rmsnorm_group_quant_kernelIDF16_N4opus5fp4_tELi512ELi16ELi4ELb0ELb1ELb0ELb1ELb0ELb0EEEvPT0_PvPT_S7_S7_PKS6_S9_S9_S9_S9_ffiiiiiiiiiiiii
	.globl	_ZN5aiter35fused_qk_rmsnorm_group_quant_kernelIDF16_N4opus5fp4_tELi512ELi16ELi4ELb0ELb1ELb0ELb1ELb0ELb0EEEvPT0_PvPT_S7_S7_PKS6_S9_S9_S9_S9_ffiiiiiiiiiiiii
	.p2align	8
	.type	_ZN5aiter35fused_qk_rmsnorm_group_quant_kernelIDF16_N4opus5fp4_tELi512ELi16ELi4ELb0ELb1ELb0ELb1ELb0ELb0EEEvPT0_PvPT_S7_S7_PKS6_S9_S9_S9_S9_ffiiiiiiiiiiiii,@function
_ZN5aiter35fused_qk_rmsnorm_group_quant_kernelIDF16_N4opus5fp4_tELi512ELi16ELi4ELb0ELb1ELb0ELb1ELb0ELb0EEEvPT0_PvPT_S7_S7_PKS6_S9_S9_S9_S9_ffiiiiiiiiiiiii: ; @_ZN5aiter35fused_qk_rmsnorm_group_quant_kernelIDF16_N4opus5fp4_tELi512ELi16ELi4ELb0ELb1ELb0ELb1ELb0ELb0EEEvPT0_PvPT_S7_S7_PKS6_S9_S9_S9_S9_ffiiiiiiiiiiiii
; %bb.0:
	s_load_dwordx4 s[12:15], s[4:5], 0x50
	s_waitcnt lgkmcnt(0)
	s_cmp_ge_i32 s6, s14
	s_cbranch_scc1 .LBB951_12
; %bb.1:
	s_load_dwordx2 s[24:25], s[4:5], 0x30
	s_load_dwordx2 s[8:9], s[4:5], 0x48
	s_load_dwordx4 s[16:19], s[4:5], 0x60
	s_cmp_lg_u32 s7, 0
	s_cselect_b64 s[10:11], -1, 0
	s_cmp_eq_u32 s7, 0
	s_cselect_b64 vcc, -1, 0
	s_and_b64 s[0:1], vcc, exec
	s_waitcnt lgkmcnt(0)
	s_cselect_b32 s7, s15, s16
	s_add_i32 s0, s7, 1
	s_lshr_b32 s1, s0, 31
	s_add_i32 s0, s0, s1
	s_lshl_b32 s0, s0, 1
	v_lshlrev_b32_e32 v1, 4, v0
	s_and_b32 s22, s0, -4
	v_cmp_gt_i32_e64 s[2:3], s7, v1
	v_mov_b32_e32 v18, 0
	v_mov_b32_e32 v6, 0
	;; [unrolled: 1-line block ×17, first 2 shown]
	s_and_saveexec_b64 s[0:1], s[2:3]
	s_cbranch_execz .LBB951_3
; %bb.2:
	s_load_dwordx2 s[14:15], s[4:5], 0x28
	s_load_dwordx2 s[20:21], s[4:5], 0x40
	s_and_b64 s[26:27], vcc, exec
	s_cselect_b32 s17, s17, s18
	s_mov_b32 s30, s22
	s_waitcnt lgkmcnt(0)
	s_cselect_b32 s19, s15, s25
	s_cselect_b32 s23, s14, s24
	s_mul_hi_i32 s15, s17, s6
	s_mul_i32 s14, s17, s6
	s_lshl_b64 s[14:15], s[14:15], 1
	s_add_u32 s28, s23, s14
	s_addc_u32 s17, s19, s15
	s_and_b64 s[14:15], vcc, exec
	s_mov_b32 s23, 0x20000
	s_cselect_b32 s20, s20, s8
	s_cselect_b32 s14, s21, s9
	s_and_b32 s29, s17, 0xffff
	s_mov_b32 s31, s23
	v_lshlrev_b32_e32 v19, 5, v0
	s_and_b32 s21, s14, 0xffff
	buffer_load_dwordx4 v[14:17], v19, s[28:31], 0 offen
	buffer_load_dwordx4 v[10:13], v19, s[28:31], 16 offen
	;; [unrolled: 1-line block ×4, first 2 shown]
.LBB951_3:
	s_or_b64 exec, exec, s[0:1]
	v_mov_b32_e32 v19, 0
	v_mov_b32_e32 v20, 0
	;; [unrolled: 1-line block ×15, first 2 shown]
	s_and_saveexec_b64 s[0:1], s[2:3]
	s_cbranch_execz .LBB951_5
; %bb.4:
	s_waitcnt vmcnt(3)
	v_cvt_f32_f16_sdwa v19, v14 dst_sel:DWORD dst_unused:UNUSED_PAD src0_sel:WORD_1
	v_cvt_f32_f16_e32 v18, v14
	v_cvt_f32_f16_sdwa v21, v15 dst_sel:DWORD dst_unused:UNUSED_PAD src0_sel:WORD_1
	v_cvt_f32_f16_e32 v20, v15
	;; [unrolled: 2-line block ×4, first 2 shown]
	s_waitcnt vmcnt(2)
	v_cvt_f32_f16_sdwa v25, v10 dst_sel:DWORD dst_unused:UNUSED_PAD src0_sel:WORD_1
	v_cvt_f32_f16_e32 v24, v10
	v_cvt_f32_f16_sdwa v29, v11 dst_sel:DWORD dst_unused:UNUSED_PAD src0_sel:WORD_1
	v_cvt_f32_f16_e32 v28, v11
	;; [unrolled: 2-line block ×4, first 2 shown]
.LBB951_5:
	s_or_b64 exec, exec, s[0:1]
	s_waitcnt vmcnt(2)
	v_mul_f32_e32 v10, v19, v19
	v_fmac_f32_e32 v10, v18, v18
	v_fmac_f32_e32 v10, v20, v20
	;; [unrolled: 1-line block ×15, first 2 shown]
	v_and_b32_e32 v12, 63, v0
	v_cmp_eq_u32_e64 s[0:1], 63, v12
	v_mov_b32_dpp v11, v10 quad_perm:[1,0,3,2] row_mask:0xf bank_mask:0xf
	v_add_f32_e32 v10, v10, v11
	s_nop 1
	v_mov_b32_dpp v11, v10 quad_perm:[2,3,0,1] row_mask:0xf bank_mask:0xf
	v_add_f32_e32 v10, v10, v11
	s_nop 1
	v_mov_b32_dpp v11, v10 row_half_mirror row_mask:0xf bank_mask:0xf
	v_add_f32_e32 v10, v10, v11
	s_nop 1
	v_mov_b32_dpp v11, v10 row_mirror row_mask:0xf bank_mask:0xf
	v_add_f32_e32 v10, v10, v11
	s_nop 1
	v_mov_b32_dpp v11, v10 row_bcast:15 row_mask:0xf bank_mask:0xf
	v_add_f32_e32 v10, v10, v11
	s_nop 1
	v_mov_b32_dpp v11, v10 row_bcast:31 row_mask:0xf bank_mask:0xf
	s_and_saveexec_b64 s[14:15], s[0:1]
	s_cbranch_execz .LBB951_7
; %bb.6:
	v_add_f32_e32 v10, v10, v11
	v_lshrrev_b32_e32 v11, 4, v0
	v_and_b32_e32 v11, 60, v11
	ds_write_b32 v11, v10 offset:32
.LBB951_7:
	s_or_b64 exec, exec, s[14:15]
	v_and_b32_e32 v10, 7, v0
	v_lshlrev_b32_e32 v34, 2, v10
	s_waitcnt lgkmcnt(0)
	s_barrier
	ds_read_b32 v10, v34 offset:32
	s_load_dwordx2 s[14:15], s[4:5], 0x18
	s_waitcnt lgkmcnt(0)
	v_mov_b32_dpp v11, v10 quad_perm:[1,0,3,2] row_mask:0xf bank_mask:0xf
	v_add_f32_e32 v10, v10, v11
	s_nop 1
	v_mov_b32_dpp v11, v10 quad_perm:[2,3,0,1] row_mask:0xf bank_mask:0xf
	v_add_f32_e32 v10, v10, v11
	s_nop 1
	v_mov_b32_dpp v11, v10 row_half_mirror row_mask:0xf bank_mask:0xf
	s_and_saveexec_b64 s[20:21], s[2:3]
	s_cbranch_execz .LBB951_9
; %bb.8:
	v_cvt_f32_u32_e32 v12, s7
	v_add_f32_e32 v10, v10, v11
	v_mov_b32_e32 v14, s13
	v_mov_b32_e32 v15, s12
	v_div_scale_f32 v11, s[26:27], v12, v12, v10
	v_rcp_f32_e32 v13, v11
	v_cndmask_b32_e32 v14, v14, v15, vcc
	s_mov_b32 s7, 0x800000
	v_fma_f32 v15, -v11, v13, 1.0
	v_fmac_f32_e32 v13, v15, v13
	v_div_scale_f32 v15, vcc, v10, v12, v10
	v_mul_f32_e32 v16, v15, v13
	v_fma_f32 v17, -v11, v16, v15
	v_fmac_f32_e32 v16, v17, v13
	v_fma_f32 v11, -v11, v16, v15
	v_div_fmas_f32 v11, v11, v13, v16
	v_div_fixup_f32 v10, v11, v12, v10
	v_add_f32_e32 v10, v14, v10
	v_mul_f32_e32 v11, 0x4b800000, v10
	v_cmp_gt_f32_e32 vcc, s7, v10
	v_cndmask_b32_e32 v10, v10, v11, vcc
	v_rsq_f32_e32 v10, v10
	v_mul_f32_e32 v11, 0x45800000, v10
	v_cndmask_b32_e32 v10, v10, v11, vcc
	v_mov_b32_e32 v11, v10
	;;#ASMSTART
	v_pk_mul_f32 v[12:13], v[18:19], v[10:11]
	;;#ASMEND
	;;#ASMSTART
	v_pk_mul_f32 v[14:15], v[20:21], v[10:11]
	;;#ASMEND
	;; [unrolled: 3-line block ×8, first 2 shown]
	s_waitcnt vmcnt(1)
	v_cvt_f32_f16_sdwa v19, v6 dst_sel:DWORD dst_unused:UNUSED_PAD src0_sel:WORD_1
	v_cvt_f32_f16_e32 v18, v6
	v_cvt_f32_f16_sdwa v21, v7 dst_sel:DWORD dst_unused:UNUSED_PAD src0_sel:WORD_1
	v_cvt_f32_f16_e32 v20, v7
	;; [unrolled: 2-line block ×4, first 2 shown]
	;;#ASMSTART
	v_pk_mul_f32 v[18:19], v[12:13], v[18:19]
	;;#ASMEND
	;;#ASMSTART
	v_pk_mul_f32 v[20:21], v[14:15], v[20:21]
	;;#ASMEND
	;; [unrolled: 3-line block ×4, first 2 shown]
	s_waitcnt vmcnt(0)
	v_cvt_f32_f16_sdwa v7, v2 dst_sel:DWORD dst_unused:UNUSED_PAD src0_sel:WORD_1
	v_cvt_f32_f16_e32 v6, v2
	v_cvt_f32_f16_sdwa v9, v3 dst_sel:DWORD dst_unused:UNUSED_PAD src0_sel:WORD_1
	v_cvt_f32_f16_e32 v8, v3
	;; [unrolled: 2-line block ×4, first 2 shown]
	;;#ASMSTART
	v_pk_mul_f32 v[24:25], v[24:25], v[6:7]
	;;#ASMEND
	;;#ASMSTART
	v_pk_mul_f32 v[28:29], v[28:29], v[8:9]
	;;#ASMEND
	;; [unrolled: 3-line block ×4, first 2 shown]
.LBB951_9:
	s_or_b64 exec, exec, s[20:21]
	s_load_dwordx2 s[26:27], s[4:5], 0x7c
	s_mov_b64 s[20:21], -1
	s_and_b64 vcc, exec, s[10:11]
	s_cbranch_vccnz .LBB951_13
; %bb.10:
	s_andn2_b64 vcc, exec, s[20:21]
	s_cbranch_vccz .LBB951_16
.LBB951_11:
	s_cmp_lt_i32 s16, 1
	s_cbranch_scc0 .LBB951_19
.LBB951_12:
	s_endpgm
.LBB951_13:
	s_and_saveexec_b64 s[10:11], s[2:3]
	s_cbranch_execz .LBB951_15
; %bb.14:
	s_waitcnt lgkmcnt(0)
	s_mul_hi_i32 s21, s27, s6
	s_mul_i32 s20, s27, s6
	s_waitcnt vmcnt(0)
	v_cvt_f16_f32_e32 v2, v18
	v_cvt_f16_f32_e32 v3, v20
	;; [unrolled: 1-line block ×8, first 2 shown]
	s_lshl_b64 s[20:21], s[20:21], 1
	s_add_u32 s20, s14, s20
	s_addc_u32 s7, s15, s21
	s_and_b32 s21, s7, 0xffff
	s_mov_b32 s23, 0x20000
	v_pack_b32_f16 v5, v5, v6
	v_pack_b32_f16 v4, v4, v7
	;; [unrolled: 1-line block ×4, first 2 shown]
	v_lshlrev_b32_e32 v6, 5, v0
	buffer_store_dwordx4 v[2:5], v6, s[20:23], 0 offen
	v_cvt_f16_f32_e32 v7, v33
	v_cvt_f16_f32_e32 v2, v24
	;; [unrolled: 1-line block ×8, first 2 shown]
	v_pack_b32_f16 v5, v5, v7
	v_pack_b32_f16 v4, v4, v8
	;; [unrolled: 1-line block ×4, first 2 shown]
	;;#ASMSTART
	s_nop 0
	;;#ASMEND
	buffer_store_dwordx4 v[2:5], v6, s[20:23], 16 offen
	;;#ASMSTART
	s_nop 0
	;;#ASMEND
.LBB951_15:
	s_or_b64 exec, exec, s[10:11]
	s_cbranch_execnz .LBB951_11
.LBB951_16:
	s_and_saveexec_b64 s[10:11], s[2:3]
	s_cbranch_execz .LBB951_18
; %bb.17:
	s_load_dwordx2 s[2:3], s[4:5], 0x10
	s_waitcnt lgkmcnt(0)
	s_mul_hi_i32 s21, s26, s6
	s_mul_i32 s20, s26, s6
	s_waitcnt vmcnt(0)
	v_cvt_f16_f32_e32 v2, v18
	v_cvt_f16_f32_e32 v3, v20
	v_cvt_f16_f32_e32 v4, v22
	v_cvt_f16_f32_e32 v5, v26
	v_cvt_f16_f32_e32 v6, v27
	v_cvt_f16_f32_e32 v7, v23
	v_cvt_f16_f32_e32 v8, v21
	v_cvt_f16_f32_e32 v9, v19
	s_lshl_b64 s[20:21], s[20:21], 1
	s_add_u32 s20, s2, s20
	s_addc_u32 s2, s3, s21
	s_mov_b32 s23, 0x20000
	s_and_b32 s21, s2, 0xffff
	v_pack_b32_f16 v5, v5, v6
	v_pack_b32_f16 v4, v4, v7
	v_pack_b32_f16 v3, v3, v8
	v_pack_b32_f16 v2, v2, v9
	v_lshlrev_b32_e32 v6, 5, v0
	buffer_store_dwordx4 v[2:5], v6, s[20:23], 0 offen
	v_cvt_f16_f32_e32 v7, v33
	v_cvt_f16_f32_e32 v2, v24
	;; [unrolled: 1-line block ×8, first 2 shown]
	v_pack_b32_f16 v5, v5, v7
	v_pack_b32_f16 v4, v4, v8
	;; [unrolled: 1-line block ×4, first 2 shown]
	;;#ASMSTART
	s_nop 0
	;;#ASMEND
	buffer_store_dwordx4 v[2:5], v6, s[20:23], 16 offen
	;;#ASMSTART
	s_nop 0
	;;#ASMEND
.LBB951_18:
	s_or_b64 exec, exec, s[10:11]
	s_cmp_lt_i32 s16, 1
	s_cbranch_scc1 .LBB951_12
.LBB951_19:
	s_load_dword s2, s[4:5], 0x94
	s_waitcnt lgkmcnt(0)
	s_cmp_lg_u32 s2, 1
	s_cbranch_scc1 .LBB951_12
; %bb.20:
	s_lshl_b32 s2, s16, 1
	s_add_i32 s2, s2, 2
	v_cmp_gt_u32_e32 vcc, s16, v1
	s_and_b32 s10, s2, -4
	v_mov_b32_e32 v18, 0
	v_lshlrev_b32_e32 v1, 5, v0
	v_mov_b32_e32 v14, 0
	v_mov_b32_e32 v15, 0
	;; [unrolled: 1-line block ×8, first 2 shown]
	s_waitcnt vmcnt(1)
	v_mov_b32_e32 v6, 0
	v_mov_b32_e32 v7, 0
	v_mov_b32_e32 v8, 0
	v_mov_b32_e32 v9, 0
	s_waitcnt vmcnt(0)
	v_mov_b32_e32 v2, 0
	v_mov_b32_e32 v3, 0
	;; [unrolled: 1-line block ×4, first 2 shown]
	s_barrier
	s_and_saveexec_b64 s[2:3], vcc
	s_cbranch_execz .LBB951_22
; %bb.21:
	s_mul_hi_i32 s5, s18, s6
	s_mul_i32 s4, s18, s6
	s_and_b32 s9, s9, 0xffff
	s_lshl_b64 s[4:5], s[4:5], 1
	s_add_u32 s20, s24, s4
	s_mov_b32 s11, 0x20000
	s_addc_u32 s4, s25, s5
	s_and_b32 s21, s4, 0xffff
	s_mov_b32 s22, s10
	s_mov_b32 s23, s11
	buffer_load_dwordx4 v[14:17], v1, s[20:23], 0 offen
	buffer_load_dwordx4 v[10:13], v1, s[20:23], 16 offen
	;; [unrolled: 1-line block ×4, first 2 shown]
.LBB951_22:
	s_or_b64 exec, exec, s[2:3]
	v_mov_b32_e32 v19, 0
	v_mov_b32_e32 v32, 0
	;; [unrolled: 1-line block ×15, first 2 shown]
	s_and_saveexec_b64 s[2:3], vcc
	s_cbranch_execz .LBB951_24
; %bb.23:
	s_waitcnt vmcnt(3)
	v_cvt_f32_f16_sdwa v19, v14 dst_sel:DWORD dst_unused:UNUSED_PAD src0_sel:WORD_1
	v_cvt_f32_f16_e32 v18, v14
	v_cvt_f32_f16_sdwa v33, v15 dst_sel:DWORD dst_unused:UNUSED_PAD src0_sel:WORD_1
	v_cvt_f32_f16_e32 v32, v15
	;; [unrolled: 2-line block ×4, first 2 shown]
	s_waitcnt vmcnt(2)
	v_cvt_f32_f16_sdwa v27, v10 dst_sel:DWORD dst_unused:UNUSED_PAD src0_sel:WORD_1
	v_cvt_f32_f16_e32 v26, v10
	v_cvt_f32_f16_sdwa v25, v11 dst_sel:DWORD dst_unused:UNUSED_PAD src0_sel:WORD_1
	v_cvt_f32_f16_e32 v24, v11
	;; [unrolled: 2-line block ×4, first 2 shown]
.LBB951_24:
	s_or_b64 exec, exec, s[2:3]
	s_waitcnt vmcnt(2)
	v_mul_f32_e32 v10, v19, v19
	v_fmac_f32_e32 v10, v18, v18
	v_fmac_f32_e32 v10, v32, v32
	;; [unrolled: 1-line block ×15, first 2 shown]
	s_nop 1
	v_mov_b32_dpp v11, v10 quad_perm:[1,0,3,2] row_mask:0xf bank_mask:0xf
	v_add_f32_e32 v10, v10, v11
	s_nop 1
	v_mov_b32_dpp v11, v10 quad_perm:[2,3,0,1] row_mask:0xf bank_mask:0xf
	v_add_f32_e32 v10, v10, v11
	s_nop 1
	v_mov_b32_dpp v11, v10 row_half_mirror row_mask:0xf bank_mask:0xf
	v_add_f32_e32 v10, v10, v11
	s_nop 1
	v_mov_b32_dpp v11, v10 row_mirror row_mask:0xf bank_mask:0xf
	v_add_f32_e32 v10, v10, v11
	s_nop 1
	v_mov_b32_dpp v11, v10 row_bcast:15 row_mask:0xf bank_mask:0xf
	v_add_f32_e32 v10, v10, v11
	s_nop 1
	v_mov_b32_dpp v11, v10 row_bcast:31 row_mask:0xf bank_mask:0xf
	s_and_saveexec_b64 s[2:3], s[0:1]
	s_cbranch_execz .LBB951_26
; %bb.25:
	v_lshrrev_b32_e32 v0, 4, v0
	v_add_f32_e32 v10, v10, v11
	v_and_b32_e32 v0, 60, v0
	ds_write_b32 v0, v10
.LBB951_26:
	s_or_b64 exec, exec, s[2:3]
	s_waitcnt lgkmcnt(0)
	s_barrier
	ds_read_b32 v0, v34
	s_waitcnt lgkmcnt(0)
	s_nop 0
	v_mov_b32_dpp v10, v0 quad_perm:[1,0,3,2] row_mask:0xf bank_mask:0xf
	v_add_f32_e32 v0, v0, v10
	s_nop 1
	v_mov_b32_dpp v10, v0 quad_perm:[2,3,0,1] row_mask:0xf bank_mask:0xf
	v_add_f32_e32 v0, v0, v10
	s_nop 1
	v_mov_b32_dpp v10, v0 row_half_mirror row_mask:0xf bank_mask:0xf
	s_and_saveexec_b64 s[0:1], vcc
	s_cbranch_execz .LBB951_12
; %bb.27:
	v_cvt_f32_u32_e32 v11, s16
	v_add_f32_e32 v0, v0, v10
	s_mov_b32 s11, 0x20000
	v_div_scale_f32 v10, s[0:1], v11, v11, v0
	v_rcp_f32_e32 v12, v10
	v_div_scale_f32 v13, vcc, v0, v11, v0
	s_mov_b32 s0, 0x800000
	v_fma_f32 v14, -v10, v12, 1.0
	v_fmac_f32_e32 v12, v14, v12
	v_mul_f32_e32 v14, v13, v12
	v_fma_f32 v15, -v10, v14, v13
	v_fmac_f32_e32 v14, v15, v12
	v_fma_f32 v10, -v10, v14, v13
	v_div_fmas_f32 v10, v10, v12, v14
	v_div_fixup_f32 v0, v10, v11, v0
	v_add_f32_e32 v0, s13, v0
	v_mul_f32_e32 v10, 0x4b800000, v0
	v_cmp_gt_f32_e32 vcc, s0, v0
	v_cndmask_b32_e32 v0, v0, v10, vcc
	v_rsq_f32_e32 v0, v0
	s_mul_hi_i32 s1, s27, s6
	s_mul_i32 s0, s27, s6
	s_lshl_b64 s[0:1], s[0:1], 1
	v_mul_f32_e32 v10, 0x45800000, v0
	v_cndmask_b32_e32 v10, v0, v10, vcc
	v_mov_b32_e32 v11, v10
	;;#ASMSTART
	v_pk_mul_f32 v[12:13], v[18:19], v[10:11]
	;;#ASMEND
	;;#ASMSTART
	v_pk_mul_f32 v[14:15], v[32:33], v[10:11]
	;;#ASMEND
	;; [unrolled: 3-line block ×8, first 2 shown]
	s_waitcnt vmcnt(1)
	v_cvt_f32_f16_sdwa v21, v6 dst_sel:DWORD dst_unused:UNUSED_PAD src0_sel:WORD_1
	v_cvt_f32_f16_e32 v20, v6
	v_cvt_f32_f16_sdwa v29, v7 dst_sel:DWORD dst_unused:UNUSED_PAD src0_sel:WORD_1
	v_cvt_f32_f16_e32 v28, v7
	;; [unrolled: 2-line block ×4, first 2 shown]
	;;#ASMSTART
	v_pk_mul_f32 v[8:9], v[12:13], v[20:21]
	;;#ASMEND
	;;#ASMSTART
	v_pk_mul_f32 v[12:13], v[14:15], v[28:29]
	;;#ASMEND
	;; [unrolled: 3-line block ×4, first 2 shown]
	s_waitcnt vmcnt(0)
	v_cvt_f32_f16_sdwa v17, v2 dst_sel:DWORD dst_unused:UNUSED_PAD src0_sel:WORD_1
	v_cvt_f32_f16_e32 v16, v2
	v_cvt_f32_f16_sdwa v19, v3 dst_sel:DWORD dst_unused:UNUSED_PAD src0_sel:WORD_1
	v_cvt_f32_f16_e32 v18, v3
	;; [unrolled: 2-line block ×4, first 2 shown]
	;;#ASMSTART
	v_pk_mul_f32 v[16:17], v[26:27], v[16:17]
	;;#ASMEND
	;;#ASMSTART
	v_pk_mul_f32 v[18:19], v[24:25], v[18:19]
	;;#ASMEND
	;; [unrolled: 3-line block ×3, first 2 shown]
	v_cvt_f16_f32_e32 v0, v8
	v_cvt_f16_f32_e32 v2, v9
	v_cvt_f16_f32_e32 v3, v12
	v_cvt_f16_f32_e32 v4, v13
	v_cvt_f16_f32_e32 v5, v6
	v_cvt_f16_f32_e32 v6, v7
	v_cvt_f16_f32_e32 v7, v14
	v_cvt_f16_f32_e32 v8, v15
	s_add_u32 s8, s14, s0
	s_addc_u32 s0, s15, s1
	s_and_b32 s9, s0, 0xffff
	v_pack_b32_f16 v2, v0, v2
	v_pack_b32_f16 v3, v3, v4
	;; [unrolled: 1-line block ×4, first 2 shown]
	;;#ASMSTART
	v_pk_mul_f32 v[10:11], v[10:11], v[20:21]
	;;#ASMEND
	buffer_store_dwordx4 v[2:5], v1, s[8:11], 0 offen
	v_cvt_f16_f32_e32 v0, v16
	v_cvt_f16_f32_e32 v2, v17
	;; [unrolled: 1-line block ×8, first 2 shown]
	v_pack_b32_f16 v2, v0, v2
	v_pack_b32_f16 v3, v3, v4
	;; [unrolled: 1-line block ×4, first 2 shown]
	;;#ASMSTART
	s_nop 0
	;;#ASMEND
	buffer_store_dwordx4 v[2:5], v1, s[8:11], 16 offen
	;;#ASMSTART
	s_nop 0
	;;#ASMEND
	s_endpgm
	.section	.rodata,"a",@progbits
	.p2align	6, 0x0
	.amdhsa_kernel _ZN5aiter35fused_qk_rmsnorm_group_quant_kernelIDF16_N4opus5fp4_tELi512ELi16ELi4ELb0ELb1ELb0ELb1ELb0ELb0EEEvPT0_PvPT_S7_S7_PKS6_S9_S9_S9_S9_ffiiiiiiiiiiiii
		.amdhsa_group_segment_fixed_size 64
		.amdhsa_private_segment_fixed_size 0
		.amdhsa_kernarg_size 400
		.amdhsa_user_sgpr_count 6
		.amdhsa_user_sgpr_private_segment_buffer 1
		.amdhsa_user_sgpr_dispatch_ptr 0
		.amdhsa_user_sgpr_queue_ptr 0
		.amdhsa_user_sgpr_kernarg_segment_ptr 1
		.amdhsa_user_sgpr_dispatch_id 0
		.amdhsa_user_sgpr_flat_scratch_init 0
		.amdhsa_user_sgpr_kernarg_preload_length 0
		.amdhsa_user_sgpr_kernarg_preload_offset 0
		.amdhsa_user_sgpr_private_segment_size 0
		.amdhsa_uses_dynamic_stack 0
		.amdhsa_system_sgpr_private_segment_wavefront_offset 0
		.amdhsa_system_sgpr_workgroup_id_x 1
		.amdhsa_system_sgpr_workgroup_id_y 1
		.amdhsa_system_sgpr_workgroup_id_z 0
		.amdhsa_system_sgpr_workgroup_info 0
		.amdhsa_system_vgpr_workitem_id 0
		.amdhsa_next_free_vgpr 35
		.amdhsa_next_free_sgpr 32
		.amdhsa_accum_offset 36
		.amdhsa_reserve_vcc 1
		.amdhsa_reserve_flat_scratch 0
		.amdhsa_float_round_mode_32 0
		.amdhsa_float_round_mode_16_64 0
		.amdhsa_float_denorm_mode_32 3
		.amdhsa_float_denorm_mode_16_64 3
		.amdhsa_dx10_clamp 1
		.amdhsa_ieee_mode 1
		.amdhsa_fp16_overflow 0
		.amdhsa_tg_split 0
		.amdhsa_exception_fp_ieee_invalid_op 0
		.amdhsa_exception_fp_denorm_src 0
		.amdhsa_exception_fp_ieee_div_zero 0
		.amdhsa_exception_fp_ieee_overflow 0
		.amdhsa_exception_fp_ieee_underflow 0
		.amdhsa_exception_fp_ieee_inexact 0
		.amdhsa_exception_int_div_zero 0
	.end_amdhsa_kernel
	.section	.text._ZN5aiter35fused_qk_rmsnorm_group_quant_kernelIDF16_N4opus5fp4_tELi512ELi16ELi4ELb0ELb1ELb0ELb1ELb0ELb0EEEvPT0_PvPT_S7_S7_PKS6_S9_S9_S9_S9_ffiiiiiiiiiiiii,"axG",@progbits,_ZN5aiter35fused_qk_rmsnorm_group_quant_kernelIDF16_N4opus5fp4_tELi512ELi16ELi4ELb0ELb1ELb0ELb1ELb0ELb0EEEvPT0_PvPT_S7_S7_PKS6_S9_S9_S9_S9_ffiiiiiiiiiiiii,comdat
.Lfunc_end951:
	.size	_ZN5aiter35fused_qk_rmsnorm_group_quant_kernelIDF16_N4opus5fp4_tELi512ELi16ELi4ELb0ELb1ELb0ELb1ELb0ELb0EEEvPT0_PvPT_S7_S7_PKS6_S9_S9_S9_S9_ffiiiiiiiiiiiii, .Lfunc_end951-_ZN5aiter35fused_qk_rmsnorm_group_quant_kernelIDF16_N4opus5fp4_tELi512ELi16ELi4ELb0ELb1ELb0ELb1ELb0ELb0EEEvPT0_PvPT_S7_S7_PKS6_S9_S9_S9_S9_ffiiiiiiiiiiiii
                                        ; -- End function
	.section	.AMDGPU.csdata,"",@progbits
; Kernel info:
; codeLenInByte = 2872
; NumSgprs: 36
; NumVgprs: 35
; NumAgprs: 0
; TotalNumVgprs: 35
; ScratchSize: 0
; MemoryBound: 0
; FloatMode: 240
; IeeeMode: 1
; LDSByteSize: 64 bytes/workgroup (compile time only)
; SGPRBlocks: 4
; VGPRBlocks: 4
; NumSGPRsForWavesPerEU: 36
; NumVGPRsForWavesPerEU: 35
; AccumOffset: 36
; Occupancy: 8
; WaveLimiterHint : 0
; COMPUTE_PGM_RSRC2:SCRATCH_EN: 0
; COMPUTE_PGM_RSRC2:USER_SGPR: 6
; COMPUTE_PGM_RSRC2:TRAP_HANDLER: 0
; COMPUTE_PGM_RSRC2:TGID_X_EN: 1
; COMPUTE_PGM_RSRC2:TGID_Y_EN: 1
; COMPUTE_PGM_RSRC2:TGID_Z_EN: 0
; COMPUTE_PGM_RSRC2:TIDIG_COMP_CNT: 0
; COMPUTE_PGM_RSRC3_GFX90A:ACCUM_OFFSET: 8
; COMPUTE_PGM_RSRC3_GFX90A:TG_SPLIT: 0
	.section	.text._ZN5aiter35fused_qk_rmsnorm_group_quant_kernelItN4opus5fp4_tELi512ELi16ELi4ELb0ELb1ELb0ELb1ELb0ELb0EEEvPT0_PvPT_S7_S7_PKS6_S9_S9_S9_S9_ffiiiiiiiiiiiii,"axG",@progbits,_ZN5aiter35fused_qk_rmsnorm_group_quant_kernelItN4opus5fp4_tELi512ELi16ELi4ELb0ELb1ELb0ELb1ELb0ELb0EEEvPT0_PvPT_S7_S7_PKS6_S9_S9_S9_S9_ffiiiiiiiiiiiii,comdat
	.protected	_ZN5aiter35fused_qk_rmsnorm_group_quant_kernelItN4opus5fp4_tELi512ELi16ELi4ELb0ELb1ELb0ELb1ELb0ELb0EEEvPT0_PvPT_S7_S7_PKS6_S9_S9_S9_S9_ffiiiiiiiiiiiii ; -- Begin function _ZN5aiter35fused_qk_rmsnorm_group_quant_kernelItN4opus5fp4_tELi512ELi16ELi4ELb0ELb1ELb0ELb1ELb0ELb0EEEvPT0_PvPT_S7_S7_PKS6_S9_S9_S9_S9_ffiiiiiiiiiiiii
	.globl	_ZN5aiter35fused_qk_rmsnorm_group_quant_kernelItN4opus5fp4_tELi512ELi16ELi4ELb0ELb1ELb0ELb1ELb0ELb0EEEvPT0_PvPT_S7_S7_PKS6_S9_S9_S9_S9_ffiiiiiiiiiiiii
	.p2align	8
	.type	_ZN5aiter35fused_qk_rmsnorm_group_quant_kernelItN4opus5fp4_tELi512ELi16ELi4ELb0ELb1ELb0ELb1ELb0ELb0EEEvPT0_PvPT_S7_S7_PKS6_S9_S9_S9_S9_ffiiiiiiiiiiiii,@function
_ZN5aiter35fused_qk_rmsnorm_group_quant_kernelItN4opus5fp4_tELi512ELi16ELi4ELb0ELb1ELb0ELb1ELb0ELb0EEEvPT0_PvPT_S7_S7_PKS6_S9_S9_S9_S9_ffiiiiiiiiiiiii: ; @_ZN5aiter35fused_qk_rmsnorm_group_quant_kernelItN4opus5fp4_tELi512ELi16ELi4ELb0ELb1ELb0ELb1ELb0ELb0EEEvPT0_PvPT_S7_S7_PKS6_S9_S9_S9_S9_ffiiiiiiiiiiiii
; %bb.0:
	s_load_dwordx4 s[12:15], s[4:5], 0x50
	s_waitcnt lgkmcnt(0)
	s_cmp_ge_i32 s6, s14
	s_cbranch_scc1 .LBB952_12
; %bb.1:
	s_load_dwordx2 s[24:25], s[4:5], 0x30
	s_load_dwordx2 s[8:9], s[4:5], 0x48
	s_load_dwordx4 s[16:19], s[4:5], 0x60
	s_cmp_lg_u32 s7, 0
	s_cselect_b64 s[10:11], -1, 0
	s_cmp_eq_u32 s7, 0
	s_cselect_b64 vcc, -1, 0
	s_and_b64 s[0:1], vcc, exec
	s_waitcnt lgkmcnt(0)
	s_cselect_b32 s7, s15, s16
	s_add_i32 s0, s7, 1
	s_lshr_b32 s1, s0, 31
	s_add_i32 s0, s0, s1
	s_lshl_b32 s0, s0, 1
	v_lshlrev_b32_e32 v1, 4, v0
	s_and_b32 s22, s0, -4
	v_cmp_gt_i32_e64 s[2:3], s7, v1
	v_mov_b32_e32 v18, 0
	v_mov_b32_e32 v6, 0
	;; [unrolled: 1-line block ×17, first 2 shown]
	s_and_saveexec_b64 s[0:1], s[2:3]
	s_cbranch_execz .LBB952_3
; %bb.2:
	s_load_dwordx2 s[14:15], s[4:5], 0x28
	s_load_dwordx2 s[20:21], s[4:5], 0x40
	s_and_b64 s[26:27], vcc, exec
	s_cselect_b32 s17, s17, s18
	s_mov_b32 s30, s22
	s_waitcnt lgkmcnt(0)
	s_cselect_b32 s19, s15, s25
	s_cselect_b32 s23, s14, s24
	s_mul_hi_i32 s15, s17, s6
	s_mul_i32 s14, s17, s6
	s_lshl_b64 s[14:15], s[14:15], 1
	s_add_u32 s28, s23, s14
	s_addc_u32 s17, s19, s15
	s_and_b64 s[14:15], vcc, exec
	s_mov_b32 s23, 0x20000
	s_cselect_b32 s20, s20, s8
	s_cselect_b32 s14, s21, s9
	s_and_b32 s29, s17, 0xffff
	s_mov_b32 s31, s23
	v_lshlrev_b32_e32 v19, 5, v0
	s_and_b32 s21, s14, 0xffff
	buffer_load_dwordx4 v[14:17], v19, s[28:31], 0 offen
	buffer_load_dwordx4 v[10:13], v19, s[28:31], 16 offen
	;; [unrolled: 1-line block ×4, first 2 shown]
.LBB952_3:
	s_or_b64 exec, exec, s[0:1]
	v_mov_b32_e32 v19, 0
	v_mov_b32_e32 v20, 0
	;; [unrolled: 1-line block ×15, first 2 shown]
	s_and_saveexec_b64 s[0:1], s[2:3]
	s_cbranch_execz .LBB952_5
; %bb.4:
	s_waitcnt vmcnt(3)
	v_cvt_f32_u32_sdwa v18, v14 dst_sel:DWORD dst_unused:UNUSED_PAD src0_sel:WORD_0
	v_cvt_f32_u32_sdwa v19, v14 dst_sel:DWORD dst_unused:UNUSED_PAD src0_sel:WORD_1
	v_cvt_f32_u32_sdwa v20, v15 dst_sel:DWORD dst_unused:UNUSED_PAD src0_sel:WORD_0
	v_cvt_f32_u32_sdwa v21, v15 dst_sel:DWORD dst_unused:UNUSED_PAD src0_sel:WORD_1
	;; [unrolled: 2-line block ×4, first 2 shown]
	s_waitcnt vmcnt(2)
	v_cvt_f32_u32_sdwa v26, v10 dst_sel:DWORD dst_unused:UNUSED_PAD src0_sel:WORD_0
	v_cvt_f32_u32_sdwa v27, v10 dst_sel:DWORD dst_unused:UNUSED_PAD src0_sel:WORD_1
	v_cvt_f32_u32_sdwa v28, v11 dst_sel:DWORD dst_unused:UNUSED_PAD src0_sel:WORD_0
	v_cvt_f32_u32_sdwa v29, v11 dst_sel:DWORD dst_unused:UNUSED_PAD src0_sel:WORD_1
	;; [unrolled: 2-line block ×4, first 2 shown]
.LBB952_5:
	s_or_b64 exec, exec, s[0:1]
	s_waitcnt vmcnt(2)
	v_mul_f32_e32 v10, v19, v19
	v_fmac_f32_e32 v10, v18, v18
	v_fmac_f32_e32 v10, v20, v20
	;; [unrolled: 1-line block ×15, first 2 shown]
	v_and_b32_e32 v12, 63, v0
	v_cmp_eq_u32_e64 s[0:1], 63, v12
	v_mov_b32_dpp v11, v10 quad_perm:[1,0,3,2] row_mask:0xf bank_mask:0xf
	v_add_f32_e32 v10, v10, v11
	s_nop 1
	v_mov_b32_dpp v11, v10 quad_perm:[2,3,0,1] row_mask:0xf bank_mask:0xf
	v_add_f32_e32 v10, v10, v11
	s_nop 1
	v_mov_b32_dpp v11, v10 row_half_mirror row_mask:0xf bank_mask:0xf
	v_add_f32_e32 v10, v10, v11
	s_nop 1
	v_mov_b32_dpp v11, v10 row_mirror row_mask:0xf bank_mask:0xf
	v_add_f32_e32 v10, v10, v11
	s_nop 1
	v_mov_b32_dpp v11, v10 row_bcast:15 row_mask:0xf bank_mask:0xf
	v_add_f32_e32 v10, v10, v11
	s_nop 1
	v_mov_b32_dpp v11, v10 row_bcast:31 row_mask:0xf bank_mask:0xf
	s_and_saveexec_b64 s[14:15], s[0:1]
	s_cbranch_execz .LBB952_7
; %bb.6:
	v_add_f32_e32 v10, v10, v11
	v_lshrrev_b32_e32 v11, 4, v0
	v_and_b32_e32 v11, 60, v11
	ds_write_b32 v11, v10 offset:32
.LBB952_7:
	s_or_b64 exec, exec, s[14:15]
	v_and_b32_e32 v10, 7, v0
	v_lshlrev_b32_e32 v34, 2, v10
	s_waitcnt lgkmcnt(0)
	s_barrier
	ds_read_b32 v10, v34 offset:32
	s_load_dwordx2 s[14:15], s[4:5], 0x18
	s_waitcnt lgkmcnt(0)
	v_mov_b32_dpp v11, v10 quad_perm:[1,0,3,2] row_mask:0xf bank_mask:0xf
	v_add_f32_e32 v10, v10, v11
	s_nop 1
	v_mov_b32_dpp v11, v10 quad_perm:[2,3,0,1] row_mask:0xf bank_mask:0xf
	v_add_f32_e32 v10, v10, v11
	s_nop 1
	v_mov_b32_dpp v11, v10 row_half_mirror row_mask:0xf bank_mask:0xf
	s_and_saveexec_b64 s[20:21], s[2:3]
	s_cbranch_execz .LBB952_9
; %bb.8:
	v_cvt_f32_u32_e32 v12, s7
	v_add_f32_e32 v10, v10, v11
	v_mov_b32_e32 v14, s13
	v_mov_b32_e32 v15, s12
	v_div_scale_f32 v11, s[26:27], v12, v12, v10
	v_rcp_f32_e32 v13, v11
	v_cndmask_b32_e32 v14, v14, v15, vcc
	s_mov_b32 s7, 0x800000
	v_fma_f32 v15, -v11, v13, 1.0
	v_fmac_f32_e32 v13, v15, v13
	v_div_scale_f32 v15, vcc, v10, v12, v10
	v_mul_f32_e32 v16, v15, v13
	v_fma_f32 v17, -v11, v16, v15
	v_fmac_f32_e32 v16, v17, v13
	v_fma_f32 v11, -v11, v16, v15
	v_div_fmas_f32 v11, v11, v13, v16
	v_div_fixup_f32 v10, v11, v12, v10
	v_add_f32_e32 v10, v14, v10
	v_mul_f32_e32 v11, 0x4b800000, v10
	v_cmp_gt_f32_e32 vcc, s7, v10
	v_cndmask_b32_e32 v10, v10, v11, vcc
	v_rsq_f32_e32 v10, v10
	v_mul_f32_e32 v11, 0x45800000, v10
	v_cndmask_b32_e32 v10, v10, v11, vcc
	v_mov_b32_e32 v11, v10
	;;#ASMSTART
	v_pk_mul_f32 v[12:13], v[18:19], v[10:11]
	;;#ASMEND
	;;#ASMSTART
	v_pk_mul_f32 v[14:15], v[20:21], v[10:11]
	;;#ASMEND
	;; [unrolled: 3-line block ×8, first 2 shown]
	s_waitcnt vmcnt(1)
	v_cvt_f32_u32_sdwa v19, v6 dst_sel:DWORD dst_unused:UNUSED_PAD src0_sel:WORD_1
	v_cvt_f32_u32_sdwa v18, v6 dst_sel:DWORD dst_unused:UNUSED_PAD src0_sel:WORD_0
	v_cvt_f32_u32_sdwa v21, v7 dst_sel:DWORD dst_unused:UNUSED_PAD src0_sel:WORD_1
	v_cvt_f32_u32_sdwa v20, v7 dst_sel:DWORD dst_unused:UNUSED_PAD src0_sel:WORD_0
	v_cvt_f32_u32_sdwa v7, v8 dst_sel:DWORD dst_unused:UNUSED_PAD src0_sel:WORD_1
	v_cvt_f32_u32_sdwa v6, v8 dst_sel:DWORD dst_unused:UNUSED_PAD src0_sel:WORD_0
	v_cvt_f32_u32_sdwa v33, v9 dst_sel:DWORD dst_unused:UNUSED_PAD src0_sel:WORD_1
	v_cvt_f32_u32_sdwa v32, v9 dst_sel:DWORD dst_unused:UNUSED_PAD src0_sel:WORD_0
	;;#ASMSTART
	v_pk_mul_f32 v[18:19], v[12:13], v[18:19]
	;;#ASMEND
	;;#ASMSTART
	v_pk_mul_f32 v[20:21], v[14:15], v[20:21]
	;;#ASMEND
	;;#ASMSTART
	v_pk_mul_f32 v[22:23], v[16:17], v[6:7]
	;;#ASMEND
	;;#ASMSTART
	v_pk_mul_f32 v[24:25], v[24:25], v[32:33]
	;;#ASMEND
	s_waitcnt vmcnt(0)
	v_cvt_f32_u32_sdwa v7, v2 dst_sel:DWORD dst_unused:UNUSED_PAD src0_sel:WORD_1
	v_cvt_f32_u32_sdwa v6, v2 dst_sel:DWORD dst_unused:UNUSED_PAD src0_sel:WORD_0
	v_cvt_f32_u32_sdwa v9, v3 dst_sel:DWORD dst_unused:UNUSED_PAD src0_sel:WORD_1
	v_cvt_f32_u32_sdwa v8, v3 dst_sel:DWORD dst_unused:UNUSED_PAD src0_sel:WORD_0
	;; [unrolled: 2-line block ×4, first 2 shown]
	;;#ASMSTART
	v_pk_mul_f32 v[26:27], v[26:27], v[6:7]
	;;#ASMEND
	;;#ASMSTART
	v_pk_mul_f32 v[28:29], v[28:29], v[8:9]
	;;#ASMEND
	;; [unrolled: 3-line block ×4, first 2 shown]
.LBB952_9:
	s_or_b64 exec, exec, s[20:21]
	s_load_dwordx2 s[26:27], s[4:5], 0x7c
	s_mov_b64 s[20:21], -1
	s_and_b64 vcc, exec, s[10:11]
	s_cbranch_vccnz .LBB952_13
; %bb.10:
	s_andn2_b64 vcc, exec, s[20:21]
	s_cbranch_vccz .LBB952_16
.LBB952_11:
	s_cmp_lt_i32 s16, 1
	s_cbranch_scc0 .LBB952_19
.LBB952_12:
	s_endpgm
.LBB952_13:
	s_and_saveexec_b64 s[10:11], s[2:3]
	s_cbranch_execz .LBB952_15
; %bb.14:
	s_waitcnt lgkmcnt(0)
	s_mul_hi_i32 s21, s27, s6
	s_mul_i32 s20, s27, s6
	s_lshl_b64 s[20:21], s[20:21], 1
	s_add_u32 s20, s14, s20
	s_addc_u32 s7, s15, s21
	s_and_b32 s21, s7, 0xffff
	s_mov_b32 s7, 0x7060302
	s_mov_b32 s23, 0x20000
	s_waitcnt vmcnt(0)
	v_perm_b32 v5, v25, v24, s7
	v_perm_b32 v4, v23, v22, s7
	;; [unrolled: 1-line block ×4, first 2 shown]
	v_lshlrev_b32_e32 v6, 5, v0
	buffer_store_dwordx4 v[2:5], v6, s[20:23], 0 offen
	;;#ASMSTART
	s_nop 0
	;;#ASMEND
	s_nop 0
	v_perm_b32 v5, v33, v32, s7
	v_perm_b32 v4, v31, v30, s7
	;; [unrolled: 1-line block ×4, first 2 shown]
	buffer_store_dwordx4 v[2:5], v6, s[20:23], 16 offen
	;;#ASMSTART
	s_nop 0
	;;#ASMEND
.LBB952_15:
	s_or_b64 exec, exec, s[10:11]
	s_cbranch_execnz .LBB952_11
.LBB952_16:
	s_and_saveexec_b64 s[10:11], s[2:3]
	s_cbranch_execz .LBB952_18
; %bb.17:
	s_load_dwordx2 s[2:3], s[4:5], 0x10
	s_waitcnt lgkmcnt(0)
	s_mul_hi_i32 s21, s26, s6
	s_mul_i32 s20, s26, s6
	s_lshl_b64 s[20:21], s[20:21], 1
	s_mov_b32 s23, 0x20000
	s_add_u32 s20, s2, s20
	s_addc_u32 s2, s3, s21
	s_and_b32 s21, s2, 0xffff
	s_mov_b32 s2, 0x7060302
	s_waitcnt vmcnt(0)
	v_perm_b32 v5, v25, v24, s2
	v_perm_b32 v4, v23, v22, s2
	v_perm_b32 v3, v21, v20, s2
	v_perm_b32 v2, v19, v18, s2
	v_lshlrev_b32_e32 v6, 5, v0
	buffer_store_dwordx4 v[2:5], v6, s[20:23], 0 offen
	;;#ASMSTART
	s_nop 0
	;;#ASMEND
	s_nop 0
	v_perm_b32 v5, v33, v32, s2
	v_perm_b32 v4, v31, v30, s2
	;; [unrolled: 1-line block ×4, first 2 shown]
	buffer_store_dwordx4 v[2:5], v6, s[20:23], 16 offen
	;;#ASMSTART
	s_nop 0
	;;#ASMEND
.LBB952_18:
	s_or_b64 exec, exec, s[10:11]
	s_cmp_lt_i32 s16, 1
	s_cbranch_scc1 .LBB952_12
.LBB952_19:
	s_load_dword s2, s[4:5], 0x94
	s_waitcnt lgkmcnt(0)
	s_cmp_lg_u32 s2, 1
	s_cbranch_scc1 .LBB952_12
; %bb.20:
	s_lshl_b32 s2, s16, 1
	s_add_i32 s2, s2, 2
	v_cmp_gt_u32_e32 vcc, s16, v1
	s_and_b32 s10, s2, -4
	v_mov_b32_e32 v18, 0
	v_lshlrev_b32_e32 v1, 5, v0
	v_mov_b32_e32 v14, 0
	v_mov_b32_e32 v15, 0
	;; [unrolled: 1-line block ×8, first 2 shown]
	s_waitcnt vmcnt(1)
	v_mov_b32_e32 v6, 0
	v_mov_b32_e32 v7, 0
	;; [unrolled: 1-line block ×4, first 2 shown]
	s_waitcnt vmcnt(0)
	v_mov_b32_e32 v2, 0
	v_mov_b32_e32 v3, 0
	;; [unrolled: 1-line block ×4, first 2 shown]
	s_barrier
	s_and_saveexec_b64 s[2:3], vcc
	s_cbranch_execz .LBB952_22
; %bb.21:
	s_mul_hi_i32 s5, s18, s6
	s_mul_i32 s4, s18, s6
	s_and_b32 s9, s9, 0xffff
	s_lshl_b64 s[4:5], s[4:5], 1
	s_add_u32 s20, s24, s4
	s_mov_b32 s11, 0x20000
	s_addc_u32 s4, s25, s5
	s_and_b32 s21, s4, 0xffff
	s_mov_b32 s22, s10
	s_mov_b32 s23, s11
	buffer_load_dwordx4 v[14:17], v1, s[20:23], 0 offen
	buffer_load_dwordx4 v[10:13], v1, s[20:23], 16 offen
	;; [unrolled: 1-line block ×4, first 2 shown]
.LBB952_22:
	s_or_b64 exec, exec, s[2:3]
	v_mov_b32_e32 v19, 0
	v_mov_b32_e32 v32, 0
	v_mov_b32_e32 v33, 0
	v_mov_b32_e32 v30, 0
	v_mov_b32_e32 v31, 0
	v_mov_b32_e32 v28, 0
	v_mov_b32_e32 v29, 0
	v_mov_b32_e32 v26, 0
	v_mov_b32_e32 v27, 0
	v_mov_b32_e32 v24, 0
	v_mov_b32_e32 v25, 0
	v_mov_b32_e32 v22, 0
	v_mov_b32_e32 v23, 0
	v_mov_b32_e32 v20, 0
	v_mov_b32_e32 v21, 0
	s_and_saveexec_b64 s[2:3], vcc
	s_cbranch_execz .LBB952_24
; %bb.23:
	s_waitcnt vmcnt(3)
	v_cvt_f32_u32_sdwa v18, v14 dst_sel:DWORD dst_unused:UNUSED_PAD src0_sel:WORD_0
	v_cvt_f32_u32_sdwa v19, v14 dst_sel:DWORD dst_unused:UNUSED_PAD src0_sel:WORD_1
	v_cvt_f32_u32_sdwa v32, v15 dst_sel:DWORD dst_unused:UNUSED_PAD src0_sel:WORD_0
	v_cvt_f32_u32_sdwa v33, v15 dst_sel:DWORD dst_unused:UNUSED_PAD src0_sel:WORD_1
	;; [unrolled: 2-line block ×4, first 2 shown]
	s_waitcnt vmcnt(2)
	v_cvt_f32_u32_sdwa v26, v10 dst_sel:DWORD dst_unused:UNUSED_PAD src0_sel:WORD_0
	v_cvt_f32_u32_sdwa v27, v10 dst_sel:DWORD dst_unused:UNUSED_PAD src0_sel:WORD_1
	v_cvt_f32_u32_sdwa v24, v11 dst_sel:DWORD dst_unused:UNUSED_PAD src0_sel:WORD_0
	v_cvt_f32_u32_sdwa v25, v11 dst_sel:DWORD dst_unused:UNUSED_PAD src0_sel:WORD_1
	;; [unrolled: 2-line block ×4, first 2 shown]
.LBB952_24:
	s_or_b64 exec, exec, s[2:3]
	s_waitcnt vmcnt(2)
	v_mul_f32_e32 v10, v19, v19
	v_fmac_f32_e32 v10, v18, v18
	v_fmac_f32_e32 v10, v32, v32
	;; [unrolled: 1-line block ×15, first 2 shown]
	s_nop 1
	v_mov_b32_dpp v11, v10 quad_perm:[1,0,3,2] row_mask:0xf bank_mask:0xf
	v_add_f32_e32 v10, v10, v11
	s_nop 1
	v_mov_b32_dpp v11, v10 quad_perm:[2,3,0,1] row_mask:0xf bank_mask:0xf
	v_add_f32_e32 v10, v10, v11
	s_nop 1
	v_mov_b32_dpp v11, v10 row_half_mirror row_mask:0xf bank_mask:0xf
	v_add_f32_e32 v10, v10, v11
	s_nop 1
	v_mov_b32_dpp v11, v10 row_mirror row_mask:0xf bank_mask:0xf
	v_add_f32_e32 v10, v10, v11
	s_nop 1
	v_mov_b32_dpp v11, v10 row_bcast:15 row_mask:0xf bank_mask:0xf
	v_add_f32_e32 v10, v10, v11
	s_nop 1
	v_mov_b32_dpp v11, v10 row_bcast:31 row_mask:0xf bank_mask:0xf
	s_and_saveexec_b64 s[2:3], s[0:1]
	s_cbranch_execz .LBB952_26
; %bb.25:
	v_lshrrev_b32_e32 v0, 4, v0
	v_add_f32_e32 v10, v10, v11
	v_and_b32_e32 v0, 60, v0
	ds_write_b32 v0, v10
.LBB952_26:
	s_or_b64 exec, exec, s[2:3]
	s_waitcnt lgkmcnt(0)
	s_barrier
	ds_read_b32 v0, v34
	s_waitcnt lgkmcnt(0)
	s_nop 0
	v_mov_b32_dpp v10, v0 quad_perm:[1,0,3,2] row_mask:0xf bank_mask:0xf
	v_add_f32_e32 v0, v0, v10
	s_nop 1
	v_mov_b32_dpp v10, v0 quad_perm:[2,3,0,1] row_mask:0xf bank_mask:0xf
	v_add_f32_e32 v0, v0, v10
	s_nop 1
	v_mov_b32_dpp v10, v0 row_half_mirror row_mask:0xf bank_mask:0xf
	s_and_saveexec_b64 s[0:1], vcc
	s_cbranch_execz .LBB952_12
; %bb.27:
	v_cvt_f32_u32_e32 v11, s16
	v_add_f32_e32 v0, v0, v10
	s_mov_b32 s11, 0x20000
	v_div_scale_f32 v10, s[0:1], v11, v11, v0
	v_rcp_f32_e32 v12, v10
	v_div_scale_f32 v13, vcc, v0, v11, v0
	s_mov_b32 s0, 0x800000
	v_fma_f32 v14, -v10, v12, 1.0
	v_fmac_f32_e32 v12, v14, v12
	v_mul_f32_e32 v14, v13, v12
	v_fma_f32 v15, -v10, v14, v13
	v_fmac_f32_e32 v14, v15, v12
	v_fma_f32 v10, -v10, v14, v13
	v_div_fmas_f32 v10, v10, v12, v14
	v_div_fixup_f32 v0, v10, v11, v0
	v_add_f32_e32 v0, s13, v0
	v_mul_f32_e32 v10, 0x4b800000, v0
	v_cmp_gt_f32_e32 vcc, s0, v0
	v_cndmask_b32_e32 v0, v0, v10, vcc
	v_rsq_f32_e32 v0, v0
	s_mul_hi_i32 s1, s27, s6
	s_mul_i32 s0, s27, s6
	s_lshl_b64 s[0:1], s[0:1], 1
	v_mul_f32_e32 v10, 0x45800000, v0
	v_cndmask_b32_e32 v10, v0, v10, vcc
	v_mov_b32_e32 v11, v10
	s_add_u32 s8, s14, s0
	;;#ASMSTART
	v_pk_mul_f32 v[12:13], v[18:19], v[10:11]
	;;#ASMEND
	;;#ASMSTART
	v_pk_mul_f32 v[14:15], v[32:33], v[10:11]
	;;#ASMEND
	;; [unrolled: 3-line block ×8, first 2 shown]
	s_waitcnt vmcnt(1)
	v_cvt_f32_u32_sdwa v21, v6 dst_sel:DWORD dst_unused:UNUSED_PAD src0_sel:WORD_1
	v_cvt_f32_u32_sdwa v20, v6 dst_sel:DWORD dst_unused:UNUSED_PAD src0_sel:WORD_0
	v_cvt_f32_u32_sdwa v29, v7 dst_sel:DWORD dst_unused:UNUSED_PAD src0_sel:WORD_1
	v_cvt_f32_u32_sdwa v28, v7 dst_sel:DWORD dst_unused:UNUSED_PAD src0_sel:WORD_0
	;; [unrolled: 2-line block ×3, first 2 shown]
	s_addc_u32 s0, s15, s1
	v_cvt_f32_u32_sdwa v31, v9 dst_sel:DWORD dst_unused:UNUSED_PAD src0_sel:WORD_1
	v_cvt_f32_u32_sdwa v30, v9 dst_sel:DWORD dst_unused:UNUSED_PAD src0_sel:WORD_0
	;;#ASMSTART
	v_pk_mul_f32 v[8:9], v[12:13], v[20:21]
	;;#ASMEND
	;;#ASMSTART
	v_pk_mul_f32 v[12:13], v[14:15], v[28:29]
	;;#ASMEND
	;; [unrolled: 3-line block ×4, first 2 shown]
	s_waitcnt vmcnt(0)
	v_cvt_f32_u32_sdwa v17, v2 dst_sel:DWORD dst_unused:UNUSED_PAD src0_sel:WORD_1
	v_cvt_f32_u32_sdwa v16, v2 dst_sel:DWORD dst_unused:UNUSED_PAD src0_sel:WORD_0
	v_cvt_f32_u32_sdwa v19, v3 dst_sel:DWORD dst_unused:UNUSED_PAD src0_sel:WORD_1
	v_cvt_f32_u32_sdwa v18, v3 dst_sel:DWORD dst_unused:UNUSED_PAD src0_sel:WORD_0
	;; [unrolled: 2-line block ×3, first 2 shown]
	s_and_b32 s9, s0, 0xffff
	s_mov_b32 s0, 0x7060302
	v_cvt_f32_u32_sdwa v21, v5 dst_sel:DWORD dst_unused:UNUSED_PAD src0_sel:WORD_1
	v_cvt_f32_u32_sdwa v20, v5 dst_sel:DWORD dst_unused:UNUSED_PAD src0_sel:WORD_0
	;;#ASMSTART
	v_pk_mul_f32 v[16:17], v[26:27], v[16:17]
	;;#ASMEND
	;;#ASMSTART
	v_pk_mul_f32 v[18:19], v[24:25], v[18:19]
	;;#ASMEND
	;; [unrolled: 3-line block ×3, first 2 shown]
	v_perm_b32 v2, v9, v8, s0
	v_perm_b32 v3, v13, v12, s0
	;; [unrolled: 1-line block ×4, first 2 shown]
	;;#ASMSTART
	v_pk_mul_f32 v[10:11], v[10:11], v[20:21]
	;;#ASMEND
	buffer_store_dwordx4 v[2:5], v1, s[8:11], 0 offen
	;;#ASMSTART
	s_nop 0
	;;#ASMEND
	s_nop 0
	v_perm_b32 v2, v17, v16, s0
	v_perm_b32 v3, v19, v18, s0
	;; [unrolled: 1-line block ×4, first 2 shown]
	buffer_store_dwordx4 v[2:5], v1, s[8:11], 16 offen
	;;#ASMSTART
	s_nop 0
	;;#ASMEND
	s_endpgm
	.section	.rodata,"a",@progbits
	.p2align	6, 0x0
	.amdhsa_kernel _ZN5aiter35fused_qk_rmsnorm_group_quant_kernelItN4opus5fp4_tELi512ELi16ELi4ELb0ELb1ELb0ELb1ELb0ELb0EEEvPT0_PvPT_S7_S7_PKS6_S9_S9_S9_S9_ffiiiiiiiiiiiii
		.amdhsa_group_segment_fixed_size 64
		.amdhsa_private_segment_fixed_size 0
		.amdhsa_kernarg_size 400
		.amdhsa_user_sgpr_count 6
		.amdhsa_user_sgpr_private_segment_buffer 1
		.amdhsa_user_sgpr_dispatch_ptr 0
		.amdhsa_user_sgpr_queue_ptr 0
		.amdhsa_user_sgpr_kernarg_segment_ptr 1
		.amdhsa_user_sgpr_dispatch_id 0
		.amdhsa_user_sgpr_flat_scratch_init 0
		.amdhsa_user_sgpr_kernarg_preload_length 0
		.amdhsa_user_sgpr_kernarg_preload_offset 0
		.amdhsa_user_sgpr_private_segment_size 0
		.amdhsa_uses_dynamic_stack 0
		.amdhsa_system_sgpr_private_segment_wavefront_offset 0
		.amdhsa_system_sgpr_workgroup_id_x 1
		.amdhsa_system_sgpr_workgroup_id_y 1
		.amdhsa_system_sgpr_workgroup_id_z 0
		.amdhsa_system_sgpr_workgroup_info 0
		.amdhsa_system_vgpr_workitem_id 0
		.amdhsa_next_free_vgpr 35
		.amdhsa_next_free_sgpr 32
		.amdhsa_accum_offset 36
		.amdhsa_reserve_vcc 1
		.amdhsa_reserve_flat_scratch 0
		.amdhsa_float_round_mode_32 0
		.amdhsa_float_round_mode_16_64 0
		.amdhsa_float_denorm_mode_32 3
		.amdhsa_float_denorm_mode_16_64 3
		.amdhsa_dx10_clamp 1
		.amdhsa_ieee_mode 1
		.amdhsa_fp16_overflow 0
		.amdhsa_tg_split 0
		.amdhsa_exception_fp_ieee_invalid_op 0
		.amdhsa_exception_fp_denorm_src 0
		.amdhsa_exception_fp_ieee_div_zero 0
		.amdhsa_exception_fp_ieee_overflow 0
		.amdhsa_exception_fp_ieee_underflow 0
		.amdhsa_exception_fp_ieee_inexact 0
		.amdhsa_exception_int_div_zero 0
	.end_amdhsa_kernel
	.section	.text._ZN5aiter35fused_qk_rmsnorm_group_quant_kernelItN4opus5fp4_tELi512ELi16ELi4ELb0ELb1ELb0ELb1ELb0ELb0EEEvPT0_PvPT_S7_S7_PKS6_S9_S9_S9_S9_ffiiiiiiiiiiiii,"axG",@progbits,_ZN5aiter35fused_qk_rmsnorm_group_quant_kernelItN4opus5fp4_tELi512ELi16ELi4ELb0ELb1ELb0ELb1ELb0ELb0EEEvPT0_PvPT_S7_S7_PKS6_S9_S9_S9_S9_ffiiiiiiiiiiiii,comdat
.Lfunc_end952:
	.size	_ZN5aiter35fused_qk_rmsnorm_group_quant_kernelItN4opus5fp4_tELi512ELi16ELi4ELb0ELb1ELb0ELb1ELb0ELb0EEEvPT0_PvPT_S7_S7_PKS6_S9_S9_S9_S9_ffiiiiiiiiiiiii, .Lfunc_end952-_ZN5aiter35fused_qk_rmsnorm_group_quant_kernelItN4opus5fp4_tELi512ELi16ELi4ELb0ELb1ELb0ELb1ELb0ELb0EEEvPT0_PvPT_S7_S7_PKS6_S9_S9_S9_S9_ffiiiiiiiiiiiii
                                        ; -- End function
	.section	.AMDGPU.csdata,"",@progbits
; Kernel info:
; codeLenInByte = 2844
; NumSgprs: 36
; NumVgprs: 35
; NumAgprs: 0
; TotalNumVgprs: 35
; ScratchSize: 0
; MemoryBound: 0
; FloatMode: 240
; IeeeMode: 1
; LDSByteSize: 64 bytes/workgroup (compile time only)
; SGPRBlocks: 4
; VGPRBlocks: 4
; NumSGPRsForWavesPerEU: 36
; NumVGPRsForWavesPerEU: 35
; AccumOffset: 36
; Occupancy: 8
; WaveLimiterHint : 0
; COMPUTE_PGM_RSRC2:SCRATCH_EN: 0
; COMPUTE_PGM_RSRC2:USER_SGPR: 6
; COMPUTE_PGM_RSRC2:TRAP_HANDLER: 0
; COMPUTE_PGM_RSRC2:TGID_X_EN: 1
; COMPUTE_PGM_RSRC2:TGID_Y_EN: 1
; COMPUTE_PGM_RSRC2:TGID_Z_EN: 0
; COMPUTE_PGM_RSRC2:TIDIG_COMP_CNT: 0
; COMPUTE_PGM_RSRC3_GFX90A:ACCUM_OFFSET: 8
; COMPUTE_PGM_RSRC3_GFX90A:TG_SPLIT: 0
	.section	.text._ZN5aiter35fused_qk_rmsnorm_group_quant_kernelIDF16_DB8_Li512ELi16ELi4ELb1ELb1ELb1ELb0ELb0ELb0EEEvPT0_PvPT_S6_S6_PKS5_S8_S8_S8_S8_ffiiiiiiiiiiiii,"axG",@progbits,_ZN5aiter35fused_qk_rmsnorm_group_quant_kernelIDF16_DB8_Li512ELi16ELi4ELb1ELb1ELb1ELb0ELb0ELb0EEEvPT0_PvPT_S6_S6_PKS5_S8_S8_S8_S8_ffiiiiiiiiiiiii,comdat
	.protected	_ZN5aiter35fused_qk_rmsnorm_group_quant_kernelIDF16_DB8_Li512ELi16ELi4ELb1ELb1ELb1ELb0ELb0ELb0EEEvPT0_PvPT_S6_S6_PKS5_S8_S8_S8_S8_ffiiiiiiiiiiiii ; -- Begin function _ZN5aiter35fused_qk_rmsnorm_group_quant_kernelIDF16_DB8_Li512ELi16ELi4ELb1ELb1ELb1ELb0ELb0ELb0EEEvPT0_PvPT_S6_S6_PKS5_S8_S8_S8_S8_ffiiiiiiiiiiiii
	.globl	_ZN5aiter35fused_qk_rmsnorm_group_quant_kernelIDF16_DB8_Li512ELi16ELi4ELb1ELb1ELb1ELb0ELb0ELb0EEEvPT0_PvPT_S6_S6_PKS5_S8_S8_S8_S8_ffiiiiiiiiiiiii
	.p2align	8
	.type	_ZN5aiter35fused_qk_rmsnorm_group_quant_kernelIDF16_DB8_Li512ELi16ELi4ELb1ELb1ELb1ELb0ELb0ELb0EEEvPT0_PvPT_S6_S6_PKS5_S8_S8_S8_S8_ffiiiiiiiiiiiii,@function
_ZN5aiter35fused_qk_rmsnorm_group_quant_kernelIDF16_DB8_Li512ELi16ELi4ELb1ELb1ELb1ELb0ELb0ELb0EEEvPT0_PvPT_S6_S6_PKS5_S8_S8_S8_S8_ffiiiiiiiiiiiii: ; @_ZN5aiter35fused_qk_rmsnorm_group_quant_kernelIDF16_DB8_Li512ELi16ELi4ELb1ELb1ELb1ELb0ELb0ELb0EEEvPT0_PvPT_S6_S6_PKS5_S8_S8_S8_S8_ffiiiiiiiiiiiii
; %bb.0:
	s_load_dwordx8 s[20:27], s[4:5], 0x50
	s_waitcnt lgkmcnt(0)
	s_cmp_ge_i32 s6, s22
	s_cbranch_scc1 .LBB953_17
; %bb.1:
	s_cmp_lg_u32 s7, 0
	s_cselect_b64 s[10:11], -1, 0
	s_cmp_eq_u32 s7, 0
	s_cselect_b64 s[8:9], -1, 0
	s_and_b64 s[0:1], s[8:9], exec
	s_load_dwordx2 s[28:29], s[4:5], 0x48
	s_load_dwordx2 s[34:35], s[4:5], 0x30
	s_load_dwordx8 s[12:19], s[4:5], 0x70
	s_cselect_b32 s7, s23, s24
	s_add_i32 s0, s7, 1
	s_lshr_b32 s1, s0, 31
	s_add_i32 s0, s0, s1
	s_lshl_b32 s0, s0, 1
	v_lshlrev_b32_e32 v1, 4, v0
	s_and_b32 s38, s0, -4
	v_cmp_gt_i32_e64 s[0:1], s7, v1
	v_mov_b32_e32 v76, 0
	v_mov_b32_e32 v77, 0
	;; [unrolled: 1-line block ×16, first 2 shown]
	s_and_saveexec_b64 s[2:3], s[0:1]
	s_cbranch_execz .LBB953_3
; %bb.2:
	s_waitcnt lgkmcnt(0)
	s_load_dwordx2 s[18:19], s[4:5], 0x28
	s_load_dwordx2 s[30:31], s[4:5], 0x40
	s_and_b64 s[36:37], s[8:9], exec
	s_cselect_b32 s22, s25, s26
	s_mov_b32 s39, 0x20000
	s_waitcnt lgkmcnt(0)
	s_cselect_b32 s25, s19, s35
	s_cselect_b32 s33, s18, s34
	s_mul_hi_i32 s19, s22, s6
	s_mul_i32 s18, s22, s6
	s_lshl_b64 s[18:19], s[18:19], 1
	s_add_u32 s40, s33, s18
	s_addc_u32 s22, s25, s19
	s_and_b64 s[18:19], s[8:9], exec
	s_cselect_b32 s36, s30, s28
	s_cselect_b32 s18, s31, s29
	s_and_b32 s41, s22, 0xffff
	s_mov_b32 s42, s38
	s_mov_b32 s43, s39
	v_lshlrev_b32_e32 v2, 5, v0
	s_and_b32 s37, s18, 0xffff
	buffer_load_dwordx4 v[80:83], v2, s[40:43], 0 offen
	buffer_load_dwordx4 v[84:87], v2, s[40:43], 16 offen
	;; [unrolled: 1-line block ×4, first 2 shown]
.LBB953_3:
	s_or_b64 exec, exec, s[2:3]
	s_and_b64 vcc, exec, s[10:11]
	s_cbranch_vccz .LBB953_7
; %bb.4:
	v_mov_b32_e32 v89, 0
	v_mov_b32_e32 v88, 0
	;; [unrolled: 1-line block ×16, first 2 shown]
	s_and_saveexec_b64 s[2:3], s[0:1]
	s_cbranch_execz .LBB953_6
; %bb.5:
	s_waitcnt vmcnt(3)
	v_cvt_f32_f16_sdwa v49, v80 dst_sel:DWORD dst_unused:UNUSED_PAD src0_sel:WORD_1
	v_cvt_f32_f16_e32 v48, v80
	v_cvt_f32_f16_sdwa v35, v81 dst_sel:DWORD dst_unused:UNUSED_PAD src0_sel:WORD_1
	v_cvt_f32_f16_e32 v34, v81
	;; [unrolled: 2-line block ×4, first 2 shown]
	s_waitcnt vmcnt(2)
	v_cvt_f32_f16_sdwa v65, v84 dst_sel:DWORD dst_unused:UNUSED_PAD src0_sel:WORD_1
	v_cvt_f32_f16_e32 v64, v84
	v_cvt_f32_f16_sdwa v19, v85 dst_sel:DWORD dst_unused:UNUSED_PAD src0_sel:WORD_1
	v_cvt_f32_f16_e32 v18, v85
	;; [unrolled: 2-line block ×4, first 2 shown]
.LBB953_6:
	s_or_b64 exec, exec, s[2:3]
	s_cbranch_execz .LBB953_8
	s_branch .LBB953_11
.LBB953_7:
                                        ; implicit-def: $vgpr32_vgpr33_vgpr34_vgpr35_vgpr36_vgpr37_vgpr38_vgpr39_vgpr40_vgpr41_vgpr42_vgpr43_vgpr44_vgpr45_vgpr46_vgpr47
                                        ; implicit-def: $vgpr48_vgpr49_vgpr50_vgpr51_vgpr52_vgpr53_vgpr54_vgpr55_vgpr56_vgpr57_vgpr58_vgpr59_vgpr60_vgpr61_vgpr62_vgpr63
                                        ; implicit-def: $vgpr18_vgpr19_vgpr20_vgpr21_vgpr22_vgpr23_vgpr24_vgpr25_vgpr26_vgpr27_vgpr28_vgpr29_vgpr30_vgpr31_vgpr32_vgpr33
                                        ; implicit-def: $vgpr50_vgpr51_vgpr52_vgpr53_vgpr54_vgpr55_vgpr56_vgpr57_vgpr58_vgpr59_vgpr60_vgpr61_vgpr62_vgpr63_vgpr64_vgpr65
                                        ; implicit-def: $vgpr89
                                        ; implicit-def: $vgpr8_vgpr9_vgpr10_vgpr11_vgpr12_vgpr13_vgpr14_vgpr15_vgpr16_vgpr17_vgpr18_vgpr19_vgpr20_vgpr21_vgpr22_vgpr23
                                        ; implicit-def: $vgpr56_vgpr57_vgpr58_vgpr59_vgpr60_vgpr61_vgpr62_vgpr63_vgpr64_vgpr65_vgpr66_vgpr67_vgpr68_vgpr69_vgpr70_vgpr71
                                        ; implicit-def: $vgpr2_vgpr3_vgpr4_vgpr5_vgpr6_vgpr7_vgpr8_vgpr9_vgpr10_vgpr11_vgpr12_vgpr13_vgpr14_vgpr15_vgpr16_vgpr17
.LBB953_8:
	v_mov_b32_e32 v89, 0
	v_mov_b32_e32 v88, 0
	;; [unrolled: 1-line block ×16, first 2 shown]
	s_and_saveexec_b64 s[2:3], s[0:1]
	s_cbranch_execz .LBB953_10
; %bb.9:
	s_waitcnt lgkmcnt(0)
	s_load_dwordx2 s[18:19], s[4:5], 0x38
	s_mul_hi_i32 s31, s27, s6
	s_mul_i32 s30, s27, s6
	s_lshl_b64 s[30:31], s[30:31], 1
	s_mov_b32 s39, 0x20000
	s_waitcnt lgkmcnt(0)
	s_add_u32 s36, s18, s30
	s_addc_u32 s18, s19, s31
	s_and_b32 s37, s18, 0xffff
	v_lshlrev_b32_e32 v38, 5, v0
	buffer_load_dwordx4 v[6:9], v38, s[36:39], 16 offen
	buffer_load_dwordx4 v[10:13], v38, s[36:39], 0 offen
	s_waitcnt vmcnt(5)
	v_cvt_f32_f16_sdwa v23, v82 dst_sel:DWORD dst_unused:UNUSED_PAD src0_sel:WORD_1
	v_cvt_f32_f16_e32 v22, v82
	v_cvt_f32_f16_sdwa v25, v83 dst_sel:DWORD dst_unused:UNUSED_PAD src0_sel:WORD_1
	v_cvt_f32_f16_e32 v24, v83
	v_cvt_f32_f16_sdwa v21, v81 dst_sel:DWORD dst_unused:UNUSED_PAD src0_sel:WORD_1
	v_cvt_f32_f16_e32 v20, v81
	v_cvt_f32_f16_sdwa v19, v80 dst_sel:DWORD dst_unused:UNUSED_PAD src0_sel:WORD_1
	v_cvt_f32_f16_e32 v18, v80
	s_load_dwordx2 s[18:19], s[4:5], 0x20
	s_waitcnt vmcnt(4)
	v_cvt_f32_f16_sdwa v3, v84 dst_sel:DWORD dst_unused:UNUSED_PAD src0_sel:WORD_1
	v_cvt_f32_f16_e32 v2, v84
	v_cvt_f32_f16_sdwa v5, v85 dst_sel:DWORD dst_unused:UNUSED_PAD src0_sel:WORD_1
	v_cvt_f32_f16_e32 v4, v85
	;; [unrolled: 2-line block ×4, first 2 shown]
	s_mul_hi_i32 s31, s17, s6
	s_mul_i32 s30, s17, s6
	s_lshl_b64 s[30:31], s[30:31], 1
	s_waitcnt lgkmcnt(0)
	s_add_u32 s36, s18, s30
	s_addc_u32 s17, s19, s31
	s_and_b32 s37, s17, 0xffff
	s_waitcnt vmcnt(1)
	v_cvt_f32_f16_e32 v26, v6
	v_cvt_f32_f16_sdwa v27, v6 dst_sel:DWORD dst_unused:UNUSED_PAD src0_sel:WORD_1
	v_cvt_f32_f16_e32 v28, v7
	v_cvt_f32_f16_sdwa v29, v7 dst_sel:DWORD dst_unused:UNUSED_PAD src0_sel:WORD_1
	;; [unrolled: 2-line block ×4, first 2 shown]
	s_waitcnt vmcnt(0)
	v_cvt_f32_f16_e32 v6, v12
	v_cvt_f32_f16_sdwa v7, v12 dst_sel:DWORD dst_unused:UNUSED_PAD src0_sel:WORD_1
	v_cvt_f32_f16_e32 v8, v13
	v_cvt_f32_f16_sdwa v9, v13 dst_sel:DWORD dst_unused:UNUSED_PAD src0_sel:WORD_1
	;; [unrolled: 2-line block ×4, first 2 shown]
	v_pk_add_f32 v[54:55], v[22:23], v[6:7]
	v_pk_add_f32 v[24:25], v[24:25], v[8:9]
	v_cvt_f16_f32_e32 v6, v55
	v_cvt_f16_f32_e32 v7, v25
	;; [unrolled: 1-line block ×4, first 2 shown]
	v_pk_add_f32 v[34:35], v[20:21], v[10:11]
	v_pk_add_f32 v[48:49], v[18:19], v[36:37]
	v_pack_b32_f16 v9, v8, v7
	v_pack_b32_f16 v8, v12, v6
	v_cvt_f16_f32_e32 v6, v35
	v_cvt_f16_f32_e32 v7, v34
	;; [unrolled: 1-line block ×3, first 2 shown]
	v_pk_add_f32 v[88:89], v[16:17], v[32:33]
	v_pk_add_f32 v[14:15], v[14:15], v[30:31]
	v_pack_b32_f16 v7, v7, v6
	v_cvt_f16_f32_e32 v6, v49
	v_pk_add_f32 v[18:19], v[4:5], v[28:29]
	v_pk_add_f32 v[64:65], v[2:3], v[26:27]
	v_cvt_f16_f32_e32 v4, v18
	v_pack_b32_f16 v6, v10, v6
	buffer_store_dwordx4 v[6:9], v38, s[36:39], 0 offen
	v_cvt_f16_f32_e32 v5, v19
	v_cvt_f16_f32_e32 v6, v14
	;; [unrolled: 1-line block ×7, first 2 shown]
	v_pack_b32_f16 v7, v7, v8
	v_pack_b32_f16 v6, v6, v9
	;; [unrolled: 1-line block ×4, first 2 shown]
	;;#ASMSTART
	s_nop 0
	;;#ASMEND
	buffer_store_dwordx4 v[4:7], v38, s[36:39], 16 offen
	;;#ASMSTART
	s_nop 0
	;;#ASMEND
.LBB953_10:
	s_or_b64 exec, exec, s[2:3]
.LBB953_11:
	v_mul_f32_e32 v2, v49, v49
	v_fmac_f32_e32 v2, v48, v48
	v_fmac_f32_e32 v2, v34, v34
	;; [unrolled: 1-line block ×15, first 2 shown]
	s_nop 1
	v_mov_b32_dpp v3, v2 quad_perm:[1,0,3,2] row_mask:0xf bank_mask:0xf
	v_add_f32_e32 v2, v2, v3
	s_nop 1
	v_mov_b32_dpp v3, v2 quad_perm:[2,3,0,1] row_mask:0xf bank_mask:0xf
	v_add_f32_e32 v2, v2, v3
	s_nop 1
	v_mov_b32_dpp v3, v2 row_half_mirror row_mask:0xf bank_mask:0xf
	v_add_f32_e32 v2, v2, v3
	s_nop 1
	v_mov_b32_dpp v3, v2 row_mirror row_mask:0xf bank_mask:0xf
	v_add_f32_e32 v2, v2, v3
	s_nop 1
	v_mov_b32_dpp v3, v2 row_bcast:15 row_mask:0xf bank_mask:0xf
	v_add_f32_e32 v2, v2, v3
	v_and_b32_e32 v3, 63, v0
	v_cmp_eq_u32_e64 s[2:3], 63, v3
	s_nop 0
	v_mov_b32_dpp v3, v2 row_bcast:31 row_mask:0xf bank_mask:0xf
	s_waitcnt lgkmcnt(0)
	s_and_saveexec_b64 s[18:19], s[2:3]
	s_cbranch_execz .LBB953_13
; %bb.12:
	v_add_f32_e32 v2, v2, v3
	v_lshrrev_b32_e32 v3, 4, v0
	v_and_b32_e32 v3, 60, v3
	ds_write_b32 v3, v2 offset:32
.LBB953_13:
	s_or_b64 exec, exec, s[18:19]
	v_and_b32_e32 v2, 7, v0
	v_lshlrev_b32_e32 v36, 2, v2
	s_waitcnt lgkmcnt(0)
	s_barrier
	ds_read_b32 v2, v36 offset:32
	s_load_dwordx2 s[18:19], s[4:5], 0x18
	s_waitcnt lgkmcnt(0)
	v_mov_b32_dpp v3, v2 quad_perm:[1,0,3,2] row_mask:0xf bank_mask:0xf
	v_add_f32_e32 v2, v2, v3
	s_nop 1
	v_mov_b32_dpp v3, v2 quad_perm:[2,3,0,1] row_mask:0xf bank_mask:0xf
	v_add_f32_e32 v2, v2, v3
	s_nop 1
	v_mov_b32_dpp v3, v2 row_half_mirror row_mask:0xf bank_mask:0xf
	s_and_saveexec_b64 s[30:31], s[0:1]
	s_cbranch_execnz .LBB953_18
; %bb.14:
	s_or_b64 exec, exec, s[30:31]
	s_mov_b64 s[8:9], -1
	s_and_b64 vcc, exec, s[10:11]
	s_cbranch_vccnz .LBB953_19
.LBB953_15:
	s_andn2_b64 vcc, exec, s[8:9]
	s_cbranch_vccz .LBB953_22
.LBB953_16:
	s_cmp_lt_i32 s24, 1
	s_cbranch_scc0 .LBB953_31
.LBB953_17:
	s_endpgm
.LBB953_18:
	v_add_f32_e32 v2, v2, v3
	v_cvt_f32_u32_e32 v3, s7
	s_mov_b32 s7, 0x800000
	s_waitcnt vmcnt(1)
	v_cvt_f32_f16_sdwa v17, v76 dst_sel:DWORD dst_unused:UNUSED_PAD src0_sel:WORD_1
	v_cvt_f32_f16_e32 v16, v76
	v_div_scale_f32 v4, s[36:37], v3, v3, v2
	v_rcp_f32_e32 v5, v4
	v_pk_add_f32 v[16:17], v[16:17], 1.0 op_sel_hi:[1,0]
	v_cvt_f32_f16_sdwa v21, v79 dst_sel:DWORD dst_unused:UNUSED_PAD src0_sel:WORD_1
	v_cvt_f32_f16_e32 v20, v79
	v_fma_f32 v6, -v4, v5, 1.0
	v_fmac_f32_e32 v5, v6, v5
	v_div_scale_f32 v6, vcc, v2, v3, v2
	v_mul_f32_e32 v7, v6, v5
	v_fma_f32 v8, -v4, v7, v6
	v_fmac_f32_e32 v7, v8, v5
	v_fma_f32 v4, -v4, v7, v6
	v_div_fmas_f32 v4, v4, v5, v7
	v_div_fixup_f32 v2, v4, v3, v2
	v_mov_b32_e32 v3, s21
	v_mov_b32_e32 v4, s20
	v_cndmask_b32_e64 v3, v3, v4, s[8:9]
	v_add_f32_e32 v2, v3, v2
	v_mul_f32_e32 v3, 0x4b800000, v2
	v_cmp_gt_f32_e32 vcc, s7, v2
	v_cndmask_b32_e32 v2, v2, v3, vcc
	v_rsq_f32_e32 v2, v2
	s_waitcnt vmcnt(0)
	v_cvt_f32_f16_sdwa v23, v74 dst_sel:DWORD dst_unused:UNUSED_PAD src0_sel:WORD_1
	v_cvt_f32_f16_e32 v22, v74
	v_mul_f32_e32 v3, 0x45800000, v2
	v_cndmask_b32_e32 v2, v2, v3, vcc
	v_mov_b32_e32 v3, v2
	;;#ASMSTART
	v_pk_mul_f32 v[4:5], v[48:49], v[2:3]
	;;#ASMEND
	;;#ASMSTART
	v_pk_mul_f32 v[6:7], v[34:35], v[2:3]
	;;#ASMEND
	;; [unrolled: 3-line block ×9, first 2 shown]
	v_cvt_f32_f16_sdwa v5, v77 dst_sel:DWORD dst_unused:UNUSED_PAD src0_sel:WORD_1
	v_cvt_f32_f16_e32 v4, v77
	v_cvt_f32_f16_sdwa v17, v78 dst_sel:DWORD dst_unused:UNUSED_PAD src0_sel:WORD_1
	v_cvt_f32_f16_e32 v16, v78
	v_cvt_f32_f16_sdwa v25, v75 dst_sel:DWORD dst_unused:UNUSED_PAD src0_sel:WORD_1
	v_pk_add_f32 v[4:5], v[4:5], 1.0 op_sel_hi:[1,0]
	;;#ASMSTART
	v_pk_mul_f32 v[34:35], v[6:7], v[4:5]
	;;#ASMEND
	v_pk_add_f32 v[4:5], v[16:17], 1.0 op_sel_hi:[1,0]
	v_pk_add_f32 v[6:7], v[20:21], 1.0 op_sel_hi:[1,0]
	v_cvt_f32_f16_sdwa v17, v72 dst_sel:DWORD dst_unused:UNUSED_PAD src0_sel:WORD_1
	v_cvt_f32_f16_e32 v16, v72
	v_cvt_f32_f16_sdwa v21, v73 dst_sel:DWORD dst_unused:UNUSED_PAD src0_sel:WORD_1
	v_cvt_f32_f16_e32 v20, v73
	v_cvt_f32_f16_e32 v24, v75
	v_pk_add_f32 v[16:17], v[16:17], 1.0 op_sel_hi:[1,0]
	v_pk_add_f32 v[22:23], v[22:23], 1.0 op_sel_hi:[1,0]
	;; [unrolled: 1-line block ×4, first 2 shown]
	;;#ASMSTART
	v_pk_mul_f32 v[54:55], v[8:9], v[4:5]
	;;#ASMEND
	;;#ASMSTART
	v_pk_mul_f32 v[24:25], v[10:11], v[6:7]
	;;#ASMEND
	;; [unrolled: 3-line block ×6, first 2 shown]
	s_or_b64 exec, exec, s[30:31]
	s_mov_b64 s[8:9], -1
	s_and_b64 vcc, exec, s[10:11]
	s_cbranch_vccz .LBB953_15
.LBB953_19:
	s_and_saveexec_b64 s[8:9], s[0:1]
	s_cbranch_execz .LBB953_21
; %bb.20:
	v_cvt_f16_f32_e32 v2, v54
	v_cvt_f16_f32_e32 v3, v24
	;; [unrolled: 1-line block ×4, first 2 shown]
	s_mul_hi_i32 s11, s16, s6
	s_mul_i32 s10, s16, s6
	v_pack_b32_f16 v5, v3, v4
	v_pack_b32_f16 v4, v2, v6
	v_cvt_f16_f32_e32 v2, v34
	v_cvt_f16_f32_e32 v3, v35
	;; [unrolled: 1-line block ×3, first 2 shown]
	s_lshl_b64 s[10:11], s[10:11], 1
	s_add_u32 s36, s18, s10
	v_pack_b32_f16 v3, v2, v3
	v_cvt_f16_f32_e32 v2, v48
	s_addc_u32 s7, s19, s11
	s_and_b32 s37, s7, 0xffff
	s_mov_b32 s39, 0x20000
	v_pack_b32_f16 v2, v2, v6
	v_lshlrev_b32_e32 v6, 5, v0
	buffer_store_dwordx4 v[2:5], v6, s[36:39], 0 offen
	v_cvt_f16_f32_e32 v7, v15
	v_cvt_f16_f32_e32 v2, v14
	;; [unrolled: 1-line block ×4, first 2 shown]
	;;#ASMSTART
	s_nop 0
	;;#ASMEND
	v_pack_b32_f16 v5, v3, v4
	v_pack_b32_f16 v4, v2, v7
	v_cvt_f16_f32_e32 v2, v18
	v_cvt_f16_f32_e32 v3, v19
	v_cvt_f16_f32_e32 v7, v65
	v_pack_b32_f16 v3, v2, v3
	v_cvt_f16_f32_e32 v2, v64
	v_pack_b32_f16 v2, v2, v7
	buffer_store_dwordx4 v[2:5], v6, s[36:39], 16 offen
	;;#ASMSTART
	s_nop 0
	;;#ASMEND
.LBB953_21:
	s_or_b64 exec, exec, s[8:9]
	s_cbranch_execnz .LBB953_16
.LBB953_22:
	v_mov_b32_e32 v2, 0
	s_and_saveexec_b64 s[8:9], s[0:1]
	s_cbranch_execz .LBB953_24
; %bb.23:
	v_cvt_f16_f32_e32 v2, v54
	v_cvt_f16_f32_e32 v3, v24
	;; [unrolled: 1-line block ×4, first 2 shown]
	s_load_dwordx2 s[10:11], s[4:5], 0x10
	s_mul_hi_i32 s31, s15, s6
	v_pack_b32_f16 v5, v3, v4
	v_pack_b32_f16 v4, v2, v6
	v_cvt_f16_f32_e32 v2, v34
	v_cvt_f16_f32_e32 v3, v35
	;; [unrolled: 1-line block ×3, first 2 shown]
	s_mul_i32 s30, s15, s6
	s_lshl_b64 s[30:31], s[30:31], 1
	v_pack_b32_f16 v3, v2, v3
	v_cvt_f16_f32_e32 v2, v48
	s_waitcnt lgkmcnt(0)
	s_add_u32 s36, s10, s30
	s_addc_u32 s7, s11, s31
	s_and_b32 s37, s7, 0xffff
	v_pack_b32_f16 v2, v2, v6
	s_mov_b32 s39, 0x20000
	v_lshlrev_b32_e32 v6, 5, v0
	buffer_store_dwordx4 v[2:5], v6, s[36:39], 0 offen
	v_cvt_f16_f32_e32 v7, v15
	v_cvt_f16_f32_e32 v2, v14
	;; [unrolled: 1-line block ×4, first 2 shown]
	;;#ASMSTART
	s_nop 0
	;;#ASMEND
	v_pack_b32_f16 v5, v3, v4
	v_pack_b32_f16 v4, v2, v7
	v_cvt_f16_f32_e32 v2, v18
	v_cvt_f16_f32_e32 v3, v19
	;; [unrolled: 1-line block ×3, first 2 shown]
	v_pack_b32_f16 v3, v2, v3
	v_cvt_f16_f32_e32 v2, v64
	v_pack_b32_f16 v2, v2, v7
	buffer_store_dwordx4 v[2:5], v6, s[36:39], 16 offen
	;;#ASMSTART
	s_nop 0
	;;#ASMEND
	s_nop 0
	v_mov_b32_e32 v2, 0x2edbe6ff
.LBB953_24:
	s_or_b64 exec, exec, s[8:9]
	s_and_saveexec_b64 s[8:9], s[0:1]
	s_cbranch_execz .LBB953_26
; %bb.25:
	v_and_b32_e32 v3, 0x7fffffff, v48
	v_and_b32_e32 v4, 0x7fffffff, v49
	;;#ASMSTART
	v_max3_f32 v2, v2, v3, v4

	;;#ASMEND
	v_and_b32_e32 v3, 0x7fffffff, v34
	v_and_b32_e32 v4, 0x7fffffff, v35
	;;#ASMSTART
	v_max3_f32 v2, v2, v3, v4

	;;#ASMEND
	;; [unrolled: 6-line block ×8, first 2 shown]
.LBB953_26:
	s_or_b64 exec, exec, s[8:9]
	;;#ASMSTART
	v_max_f32 v3, v2, v2 quad_perm:[1,0,3,2] row_mask:0xf bank_mask:0xf bound_ctrl:1
	;;#ASMEND
	;;#ASMSTART
	v_max_f32 v2, v3, v3 quad_perm:[2,3,0,1] row_mask:0xf bank_mask:0xf bound_ctrl:1
	;;#ASMEND
	v_and_b32_e32 v3, 3, v0
	v_cmp_eq_u32_e32 vcc, 0, v3
	v_cmp_gt_i32_e64 s[8:9], s23, v1
	v_mul_f32_e32 v2, 0x3b124925, v2
	s_and_b64 s[10:11], vcc, s[8:9]
	s_and_saveexec_b64 s[8:9], s[10:11]
	s_cbranch_execz .LBB953_28
; %bb.27:
	s_load_dwordx2 s[10:11], s[4:5], 0x8
	v_lshrrev_b32_e32 v3, 2, v0
	s_mul_hi_i32 s31, s13, s6
	s_mul_i32 s30, s13, s6
	v_mad_i64_i32 v[4:5], s[14:15], s14, v3, 0
	s_lshl_b64 s[14:15], s[30:31], 2
	s_waitcnt lgkmcnt(0)
	s_add_u32 s7, s10, s14
	s_addc_u32 s10, s11, s15
	v_lshlrev_b64 v[4:5], 2, v[4:5]
	v_mov_b32_e32 v3, s10
	v_add_co_u32_e32 v4, vcc, s7, v4
	v_addc_co_u32_e32 v5, vcc, v3, v5, vcc
	global_store_dword v[4:5], v2, off
.LBB953_28:
	s_or_b64 exec, exec, s[8:9]
	;;#ASMSTART
	v_rcp_f32 v2, v2
	;;#ASMEND
	s_and_saveexec_b64 s[14:15], s[0:1]
	s_cbranch_execz .LBB953_30
; %bb.29:
	v_mov_b32_e32 v3, v2
	;;#ASMSTART
	v_pk_mul_f32 v[4:5], v[48:49], v[2:3]
	;;#ASMEND
	v_mov_b32_e32 v10, 0xc3e00000
	v_mov_b32_e32 v11, 0x43e00000
	;;#ASMSTART
	v_med3_f32 v4, v4, v10, v11
v_med3_f32 v5, v5, v10, v11
v_cvt_pk_fp8_f32 v6, v4, v5
	;;#ASMEND
	;;#ASMSTART
	v_pk_mul_f32 v[4:5], v[34:35], v[2:3]
	;;#ASMEND
	;;#ASMSTART
	v_med3_f32 v4, v4, v10, v11
v_med3_f32 v5, v5, v10, v11
v_cvt_pk_fp8_f32 v7, v4, v5
	;;#ASMEND
	;;#ASMSTART
	v_pk_mul_f32 v[4:5], v[54:55], v[2:3]
	;;#ASMEND
	;;#ASMSTART
	v_med3_f32 v4, v4, v10, v11
v_med3_f32 v5, v5, v10, v11
v_cvt_pk_fp8_f32 v8, v4, v5
	;;#ASMEND
	;;#ASMSTART
	v_pk_mul_f32 v[4:5], v[24:25], v[2:3]
	;;#ASMEND
	;;#ASMSTART
	v_med3_f32 v4, v4, v10, v11
v_med3_f32 v5, v5, v10, v11
v_cvt_pk_fp8_f32 v9, v4, v5
	;;#ASMEND
	s_mov_b32 s0, 0x5040100
	v_perm_b32 v4, v7, v6, s0
	s_mov_b32 s0, 0x1060504
	v_perm_b32 v4, v4, v7, s0
	s_load_dwordx2 s[0:1], s[4:5], 0x0
	s_mov_b32 s7, 0x1000504
	;;#ASMSTART
	v_pk_mul_f32 v[6:7], v[64:65], v[2:3]
	;;#ASMEND
	v_perm_b32 v5, v8, v9, s7
	s_mul_i32 s8, s12, s6
	;;#ASMSTART
	v_med3_f32 v6, v6, v10, v11
v_med3_f32 v7, v7, v10, v11
v_cvt_pk_fp8_f32 v8, v6, v7
	;;#ASMEND
	s_mul_hi_i32 s9, s12, s6
	s_waitcnt lgkmcnt(0)
	s_add_u32 s8, s0, s8
	;;#ASMSTART
	v_pk_mul_f32 v[6:7], v[18:19], v[2:3]
	;;#ASMEND
	s_addc_u32 s0, s1, s9
	s_add_i32 s1, s23, 3
	;;#ASMSTART
	v_med3_f32 v6, v6, v10, v11
v_med3_f32 v7, v7, v10, v11
v_cvt_pk_fp8_f32 v9, v6, v7
	;;#ASMEND
	s_ashr_i32 s9, s1, 31
	v_perm_b32 v6, v8, v9, s7
	;;#ASMSTART
	v_pk_mul_f32 v[8:9], v[14:15], v[2:3]
	;;#ASMEND
	v_mov_b32_e32 v7, v9
	s_lshr_b32 s9, s9, 30
	;;#ASMSTART
	v_med3_f32 v8, v8, v10, v11
v_med3_f32 v7, v7, v10, v11
v_cvt_pk_fp8_f32 v9, v8, v7
	;;#ASMEND
	;;#ASMSTART
	v_pk_mul_f32 v[2:3], v[88:89], v[2:3]
	;;#ASMEND
	s_add_i32 s1, s1, s9
	;;#ASMSTART
	v_med3_f32 v2, v2, v10, v11
v_med3_f32 v3, v3, v10, v11
v_cvt_pk_fp8_f32 v7, v2, v3
	;;#ASMEND
	s_and_b32 s10, s1, -4
	s_and_b32 s9, s0, 0xffff
	s_mov_b32 s11, 0x20000
	v_perm_b32 v7, v9, v7, s7
	buffer_store_dwordx4 v[4:7], v1, s[8:11], 0 offen
	;;#ASMSTART
	s_nop 0
	;;#ASMEND
.LBB953_30:
	s_or_b64 exec, exec, s[14:15]
	s_cmp_lt_i32 s24, 1
	s_cbranch_scc1 .LBB953_17
.LBB953_31:
	s_load_dword s0, s[4:5], 0x94
	s_waitcnt lgkmcnt(0)
	s_cmp_lg_u32 s0, 1
	s_cbranch_scc1 .LBB953_17
; %bb.32:
	s_lshl_b32 s0, s24, 1
	s_add_i32 s0, s0, 2
	v_cmp_gt_u32_e32 vcc, s24, v1
	s_and_b32 s30, s0, -4
	v_mov_b32_e32 v18, 0
	v_lshlrev_b32_e32 v1, 5, v0
	v_mov_b32_e32 v14, 0
	v_mov_b32_e32 v15, 0
	;; [unrolled: 1-line block ×16, first 2 shown]
	s_barrier
	s_and_saveexec_b64 s[0:1], vcc
	s_cbranch_execz .LBB953_34
; %bb.33:
	s_mul_hi_i32 s5, s26, s6
	s_mul_i32 s4, s26, s6
	s_and_b32 s29, s29, 0xffff
	s_lshl_b64 s[4:5], s[4:5], 1
	s_add_u32 s8, s34, s4
	s_mov_b32 s31, 0x20000
	s_addc_u32 s4, s35, s5
	s_and_b32 s9, s4, 0xffff
	s_mov_b32 s10, s30
	s_mov_b32 s11, s31
	buffer_load_dwordx4 v[14:17], v1, s[8:11], 0 offen
	buffer_load_dwordx4 v[10:13], v1, s[8:11], 16 offen
	;; [unrolled: 1-line block ×4, first 2 shown]
.LBB953_34:
	s_or_b64 exec, exec, s[0:1]
	v_mov_b32_e32 v19, 0
	v_mov_b32_e32 v32, 0
	;; [unrolled: 1-line block ×15, first 2 shown]
	s_and_saveexec_b64 s[0:1], vcc
	s_cbranch_execz .LBB953_36
; %bb.35:
	s_waitcnt vmcnt(3)
	v_cvt_f32_f16_sdwa v19, v14 dst_sel:DWORD dst_unused:UNUSED_PAD src0_sel:WORD_1
	v_cvt_f32_f16_e32 v18, v14
	v_cvt_f32_f16_sdwa v33, v15 dst_sel:DWORD dst_unused:UNUSED_PAD src0_sel:WORD_1
	v_cvt_f32_f16_e32 v32, v15
	;; [unrolled: 2-line block ×4, first 2 shown]
	s_waitcnt vmcnt(2)
	v_cvt_f32_f16_sdwa v27, v10 dst_sel:DWORD dst_unused:UNUSED_PAD src0_sel:WORD_1
	v_cvt_f32_f16_e32 v26, v10
	v_cvt_f32_f16_sdwa v25, v11 dst_sel:DWORD dst_unused:UNUSED_PAD src0_sel:WORD_1
	v_cvt_f32_f16_e32 v24, v11
	v_cvt_f32_f16_sdwa v23, v12 dst_sel:DWORD dst_unused:UNUSED_PAD src0_sel:WORD_1
	v_cvt_f32_f16_e32 v22, v12
	v_cvt_f32_f16_sdwa v21, v13 dst_sel:DWORD dst_unused:UNUSED_PAD src0_sel:WORD_1
	v_cvt_f32_f16_e32 v20, v13
.LBB953_36:
	s_or_b64 exec, exec, s[0:1]
	s_waitcnt vmcnt(2)
	v_mul_f32_e32 v10, v19, v19
	v_fmac_f32_e32 v10, v18, v18
	v_fmac_f32_e32 v10, v32, v32
	;; [unrolled: 1-line block ×15, first 2 shown]
	s_nop 1
	v_mov_b32_dpp v11, v10 quad_perm:[1,0,3,2] row_mask:0xf bank_mask:0xf
	v_add_f32_e32 v10, v10, v11
	s_nop 1
	v_mov_b32_dpp v11, v10 quad_perm:[2,3,0,1] row_mask:0xf bank_mask:0xf
	v_add_f32_e32 v10, v10, v11
	s_nop 1
	v_mov_b32_dpp v11, v10 row_half_mirror row_mask:0xf bank_mask:0xf
	v_add_f32_e32 v10, v10, v11
	s_nop 1
	v_mov_b32_dpp v11, v10 row_mirror row_mask:0xf bank_mask:0xf
	v_add_f32_e32 v10, v10, v11
	s_nop 1
	v_mov_b32_dpp v11, v10 row_bcast:15 row_mask:0xf bank_mask:0xf
	v_add_f32_e32 v10, v10, v11
	s_nop 1
	v_mov_b32_dpp v11, v10 row_bcast:31 row_mask:0xf bank_mask:0xf
	s_and_saveexec_b64 s[0:1], s[2:3]
	s_cbranch_execz .LBB953_38
; %bb.37:
	v_lshrrev_b32_e32 v0, 4, v0
	v_add_f32_e32 v10, v10, v11
	v_and_b32_e32 v0, 60, v0
	ds_write_b32 v0, v10
.LBB953_38:
	s_or_b64 exec, exec, s[0:1]
	s_waitcnt lgkmcnt(0)
	s_barrier
	ds_read_b32 v0, v36
	s_waitcnt lgkmcnt(0)
	s_nop 0
	v_mov_b32_dpp v10, v0 quad_perm:[1,0,3,2] row_mask:0xf bank_mask:0xf
	v_add_f32_e32 v0, v0, v10
	s_nop 1
	v_mov_b32_dpp v10, v0 quad_perm:[2,3,0,1] row_mask:0xf bank_mask:0xf
	v_add_f32_e32 v0, v0, v10
	s_nop 1
	v_mov_b32_dpp v10, v0 row_half_mirror row_mask:0xf bank_mask:0xf
	s_and_saveexec_b64 s[0:1], vcc
	s_cbranch_execz .LBB953_17
; %bb.39:
	v_cvt_f32_u32_e32 v11, s24
	v_add_f32_e32 v0, v0, v10
	s_mov_b32 s31, 0x20000
	v_div_scale_f32 v10, s[0:1], v11, v11, v0
	v_rcp_f32_e32 v12, v10
	v_div_scale_f32 v13, vcc, v0, v11, v0
	s_mov_b32 s0, 0x800000
	v_fma_f32 v14, -v10, v12, 1.0
	v_fmac_f32_e32 v12, v14, v12
	v_mul_f32_e32 v14, v13, v12
	v_fma_f32 v15, -v10, v14, v13
	v_fmac_f32_e32 v14, v15, v12
	v_fma_f32 v10, -v10, v14, v13
	v_div_fmas_f32 v10, v10, v12, v14
	v_div_fixup_f32 v0, v10, v11, v0
	v_add_f32_e32 v0, s21, v0
	v_mul_f32_e32 v10, 0x4b800000, v0
	v_cmp_gt_f32_e32 vcc, s0, v0
	v_cndmask_b32_e32 v0, v0, v10, vcc
	v_rsq_f32_e32 v0, v0
	s_mul_hi_i32 s1, s16, s6
	s_mul_i32 s0, s16, s6
	s_lshl_b64 s[0:1], s[0:1], 1
	v_mul_f32_e32 v10, 0x45800000, v0
	v_cndmask_b32_e32 v10, v0, v10, vcc
	v_mov_b32_e32 v11, v10
	;;#ASMSTART
	v_pk_mul_f32 v[12:13], v[18:19], v[10:11]
	;;#ASMEND
	;;#ASMSTART
	v_pk_mul_f32 v[14:15], v[32:33], v[10:11]
	;;#ASMEND
	;; [unrolled: 3-line block ×4, first 2 shown]
	s_waitcnt vmcnt(1)
	v_cvt_f32_f16_sdwa v29, v6 dst_sel:DWORD dst_unused:UNUSED_PAD src0_sel:WORD_1
	v_cvt_f32_f16_e32 v28, v6
	v_cvt_f32_f16_sdwa v31, v7 dst_sel:DWORD dst_unused:UNUSED_PAD src0_sel:WORD_1
	v_cvt_f32_f16_e32 v30, v7
	;;#ASMSTART
	v_pk_mul_f32 v[26:27], v[26:27], v[10:11]
	;;#ASMEND
	;;#ASMSTART
	v_pk_mul_f32 v[24:25], v[24:25], v[10:11]
	;;#ASMEND
	;; [unrolled: 3-line block ×4, first 2 shown]
	v_cvt_f32_f16_sdwa v21, v8 dst_sel:DWORD dst_unused:UNUSED_PAD src0_sel:WORD_1
	v_cvt_f32_f16_e32 v20, v8
	v_pk_add_f32 v[10:11], v[28:29], 1.0 op_sel_hi:[1,0]
	;;#ASMSTART
	v_pk_mul_f32 v[10:11], v[12:13], v[10:11]
	;;#ASMEND
	v_pk_add_f32 v[12:13], v[30:31], 1.0 op_sel_hi:[1,0]
	v_cvt_f32_f16_sdwa v29, v9 dst_sel:DWORD dst_unused:UNUSED_PAD src0_sel:WORD_1
	v_cvt_f32_f16_e32 v28, v9
	;;#ASMSTART
	v_pk_mul_f32 v[8:9], v[14:15], v[12:13]
	;;#ASMEND
	v_pk_add_f32 v[12:13], v[20:21], 1.0 op_sel_hi:[1,0]
	;;#ASMSTART
	v_pk_mul_f32 v[12:13], v[16:17], v[12:13]
	;;#ASMEND
	s_waitcnt vmcnt(0)
	v_cvt_f32_f16_sdwa v17, v2 dst_sel:DWORD dst_unused:UNUSED_PAD src0_sel:WORD_1
	v_cvt_f32_f16_e32 v16, v2
	v_cvt_f32_f16_sdwa v21, v3 dst_sel:DWORD dst_unused:UNUSED_PAD src0_sel:WORD_1
	v_cvt_f32_f16_e32 v20, v3
	v_pk_add_f32 v[14:15], v[28:29], 1.0 op_sel_hi:[1,0]
	;;#ASMSTART
	v_pk_mul_f32 v[2:3], v[18:19], v[14:15]
	;;#ASMEND
	v_cvt_f32_f16_sdwa v19, v4 dst_sel:DWORD dst_unused:UNUSED_PAD src0_sel:WORD_1
	v_cvt_f32_f16_e32 v18, v4
	v_pk_add_f32 v[14:15], v[16:17], 1.0 op_sel_hi:[1,0]
	v_pk_add_f32 v[16:17], v[20:21], 1.0 op_sel_hi:[1,0]
	v_cvt_f32_f16_sdwa v21, v5 dst_sel:DWORD dst_unused:UNUSED_PAD src0_sel:WORD_1
	v_cvt_f32_f16_e32 v20, v5
	v_pk_add_f32 v[4:5], v[18:19], 1.0 op_sel_hi:[1,0]
	;;#ASMSTART
	v_pk_mul_f32 v[14:15], v[26:27], v[14:15]
	;;#ASMEND
	;;#ASMSTART
	v_pk_mul_f32 v[16:17], v[24:25], v[16:17]
	;;#ASMEND
	;; [unrolled: 3-line block ×3, first 2 shown]
	v_pk_add_f32 v[4:5], v[20:21], 1.0 op_sel_hi:[1,0]
	;;#ASMSTART
	v_pk_mul_f32 v[6:7], v[6:7], v[4:5]
	;;#ASMEND
	v_cvt_f16_f32_e32 v0, v10
	v_cvt_f16_f32_e32 v4, v11
	;; [unrolled: 1-line block ×8, first 2 shown]
	s_add_u32 s28, s18, s0
	s_addc_u32 s0, s19, s1
	s_and_b32 s29, s0, 0xffff
	v_pack_b32_f16 v2, v0, v4
	v_pack_b32_f16 v3, v5, v8
	;; [unrolled: 1-line block ×4, first 2 shown]
	buffer_store_dwordx4 v[2:5], v1, s[28:31], 0 offen
	v_cvt_f16_f32_e32 v0, v14
	v_cvt_f16_f32_e32 v2, v15
	;; [unrolled: 1-line block ×8, first 2 shown]
	v_pack_b32_f16 v2, v0, v2
	v_pack_b32_f16 v3, v3, v4
	;; [unrolled: 1-line block ×4, first 2 shown]
	;;#ASMSTART
	s_nop 0
	;;#ASMEND
	buffer_store_dwordx4 v[2:5], v1, s[28:31], 16 offen
	;;#ASMSTART
	s_nop 0
	;;#ASMEND
	s_endpgm
	.section	.rodata,"a",@progbits
	.p2align	6, 0x0
	.amdhsa_kernel _ZN5aiter35fused_qk_rmsnorm_group_quant_kernelIDF16_DB8_Li512ELi16ELi4ELb1ELb1ELb1ELb0ELb0ELb0EEEvPT0_PvPT_S6_S6_PKS5_S8_S8_S8_S8_ffiiiiiiiiiiiii
		.amdhsa_group_segment_fixed_size 64
		.amdhsa_private_segment_fixed_size 0
		.amdhsa_kernarg_size 400
		.amdhsa_user_sgpr_count 6
		.amdhsa_user_sgpr_private_segment_buffer 1
		.amdhsa_user_sgpr_dispatch_ptr 0
		.amdhsa_user_sgpr_queue_ptr 0
		.amdhsa_user_sgpr_kernarg_segment_ptr 1
		.amdhsa_user_sgpr_dispatch_id 0
		.amdhsa_user_sgpr_flat_scratch_init 0
		.amdhsa_user_sgpr_kernarg_preload_length 0
		.amdhsa_user_sgpr_kernarg_preload_offset 0
		.amdhsa_user_sgpr_private_segment_size 0
		.amdhsa_uses_dynamic_stack 0
		.amdhsa_system_sgpr_private_segment_wavefront_offset 0
		.amdhsa_system_sgpr_workgroup_id_x 1
		.amdhsa_system_sgpr_workgroup_id_y 1
		.amdhsa_system_sgpr_workgroup_id_z 0
		.amdhsa_system_sgpr_workgroup_info 0
		.amdhsa_system_vgpr_workitem_id 0
		.amdhsa_next_free_vgpr 90
		.amdhsa_next_free_sgpr 44
		.amdhsa_accum_offset 92
		.amdhsa_reserve_vcc 1
		.amdhsa_reserve_flat_scratch 0
		.amdhsa_float_round_mode_32 0
		.amdhsa_float_round_mode_16_64 0
		.amdhsa_float_denorm_mode_32 3
		.amdhsa_float_denorm_mode_16_64 3
		.amdhsa_dx10_clamp 1
		.amdhsa_ieee_mode 1
		.amdhsa_fp16_overflow 0
		.amdhsa_tg_split 0
		.amdhsa_exception_fp_ieee_invalid_op 0
		.amdhsa_exception_fp_denorm_src 0
		.amdhsa_exception_fp_ieee_div_zero 0
		.amdhsa_exception_fp_ieee_overflow 0
		.amdhsa_exception_fp_ieee_underflow 0
		.amdhsa_exception_fp_ieee_inexact 0
		.amdhsa_exception_int_div_zero 0
	.end_amdhsa_kernel
	.section	.text._ZN5aiter35fused_qk_rmsnorm_group_quant_kernelIDF16_DB8_Li512ELi16ELi4ELb1ELb1ELb1ELb0ELb0ELb0EEEvPT0_PvPT_S6_S6_PKS5_S8_S8_S8_S8_ffiiiiiiiiiiiii,"axG",@progbits,_ZN5aiter35fused_qk_rmsnorm_group_quant_kernelIDF16_DB8_Li512ELi16ELi4ELb1ELb1ELb1ELb0ELb0ELb0EEEvPT0_PvPT_S6_S6_PKS5_S8_S8_S8_S8_ffiiiiiiiiiiiii,comdat
.Lfunc_end953:
	.size	_ZN5aiter35fused_qk_rmsnorm_group_quant_kernelIDF16_DB8_Li512ELi16ELi4ELb1ELb1ELb1ELb0ELb0ELb0EEEvPT0_PvPT_S6_S6_PKS5_S8_S8_S8_S8_ffiiiiiiiiiiiii, .Lfunc_end953-_ZN5aiter35fused_qk_rmsnorm_group_quant_kernelIDF16_DB8_Li512ELi16ELi4ELb1ELb1ELb1ELb0ELb0ELb0EEEvPT0_PvPT_S6_S6_PKS5_S8_S8_S8_S8_ffiiiiiiiiiiiii
                                        ; -- End function
	.section	.AMDGPU.csdata,"",@progbits
; Kernel info:
; codeLenInByte = 4424
; NumSgprs: 48
; NumVgprs: 90
; NumAgprs: 0
; TotalNumVgprs: 90
; ScratchSize: 0
; MemoryBound: 0
; FloatMode: 240
; IeeeMode: 1
; LDSByteSize: 64 bytes/workgroup (compile time only)
; SGPRBlocks: 5
; VGPRBlocks: 11
; NumSGPRsForWavesPerEU: 48
; NumVGPRsForWavesPerEU: 90
; AccumOffset: 92
; Occupancy: 5
; WaveLimiterHint : 0
; COMPUTE_PGM_RSRC2:SCRATCH_EN: 0
; COMPUTE_PGM_RSRC2:USER_SGPR: 6
; COMPUTE_PGM_RSRC2:TRAP_HANDLER: 0
; COMPUTE_PGM_RSRC2:TGID_X_EN: 1
; COMPUTE_PGM_RSRC2:TGID_Y_EN: 1
; COMPUTE_PGM_RSRC2:TGID_Z_EN: 0
; COMPUTE_PGM_RSRC2:TIDIG_COMP_CNT: 0
; COMPUTE_PGM_RSRC3_GFX90A:ACCUM_OFFSET: 22
; COMPUTE_PGM_RSRC3_GFX90A:TG_SPLIT: 0
	.section	.text._ZN5aiter35fused_qk_rmsnorm_group_quant_kernelItDB8_Li512ELi16ELi4ELb1ELb1ELb1ELb0ELb0ELb0EEEvPT0_PvPT_S6_S6_PKS5_S8_S8_S8_S8_ffiiiiiiiiiiiii,"axG",@progbits,_ZN5aiter35fused_qk_rmsnorm_group_quant_kernelItDB8_Li512ELi16ELi4ELb1ELb1ELb1ELb0ELb0ELb0EEEvPT0_PvPT_S6_S6_PKS5_S8_S8_S8_S8_ffiiiiiiiiiiiii,comdat
	.protected	_ZN5aiter35fused_qk_rmsnorm_group_quant_kernelItDB8_Li512ELi16ELi4ELb1ELb1ELb1ELb0ELb0ELb0EEEvPT0_PvPT_S6_S6_PKS5_S8_S8_S8_S8_ffiiiiiiiiiiiii ; -- Begin function _ZN5aiter35fused_qk_rmsnorm_group_quant_kernelItDB8_Li512ELi16ELi4ELb1ELb1ELb1ELb0ELb0ELb0EEEvPT0_PvPT_S6_S6_PKS5_S8_S8_S8_S8_ffiiiiiiiiiiiii
	.globl	_ZN5aiter35fused_qk_rmsnorm_group_quant_kernelItDB8_Li512ELi16ELi4ELb1ELb1ELb1ELb0ELb0ELb0EEEvPT0_PvPT_S6_S6_PKS5_S8_S8_S8_S8_ffiiiiiiiiiiiii
	.p2align	8
	.type	_ZN5aiter35fused_qk_rmsnorm_group_quant_kernelItDB8_Li512ELi16ELi4ELb1ELb1ELb1ELb0ELb0ELb0EEEvPT0_PvPT_S6_S6_PKS5_S8_S8_S8_S8_ffiiiiiiiiiiiii,@function
_ZN5aiter35fused_qk_rmsnorm_group_quant_kernelItDB8_Li512ELi16ELi4ELb1ELb1ELb1ELb0ELb0ELb0EEEvPT0_PvPT_S6_S6_PKS5_S8_S8_S8_S8_ffiiiiiiiiiiiii: ; @_ZN5aiter35fused_qk_rmsnorm_group_quant_kernelItDB8_Li512ELi16ELi4ELb1ELb1ELb1ELb0ELb0ELb0EEEvPT0_PvPT_S6_S6_PKS5_S8_S8_S8_S8_ffiiiiiiiiiiiii
; %bb.0:
	s_load_dwordx8 s[20:27], s[4:5], 0x50
	s_waitcnt lgkmcnt(0)
	s_cmp_ge_i32 s6, s22
	s_cbranch_scc1 .LBB954_17
; %bb.1:
	s_cmp_lg_u32 s7, 0
	s_cselect_b64 s[10:11], -1, 0
	s_cmp_eq_u32 s7, 0
	s_cselect_b64 s[8:9], -1, 0
	s_and_b64 s[0:1], s[8:9], exec
	s_load_dwordx2 s[28:29], s[4:5], 0x48
	s_load_dwordx2 s[34:35], s[4:5], 0x30
	s_load_dwordx8 s[12:19], s[4:5], 0x70
	s_cselect_b32 s7, s23, s24
	s_add_i32 s0, s7, 1
	s_lshr_b32 s1, s0, 31
	s_add_i32 s0, s0, s1
	s_lshl_b32 s0, s0, 1
	v_lshlrev_b32_e32 v1, 4, v0
	s_and_b32 s38, s0, -4
	v_cmp_gt_i32_e64 s[0:1], s7, v1
	v_mov_b32_e32 v74, 0
	v_mov_b32_e32 v75, 0
	;; [unrolled: 1-line block ×16, first 2 shown]
	s_and_saveexec_b64 s[2:3], s[0:1]
	s_cbranch_execz .LBB954_3
; %bb.2:
	s_waitcnt lgkmcnt(0)
	s_load_dwordx2 s[18:19], s[4:5], 0x28
	s_load_dwordx2 s[30:31], s[4:5], 0x40
	s_and_b64 s[36:37], s[8:9], exec
	s_cselect_b32 s22, s25, s26
	s_mov_b32 s39, 0x20000
	s_waitcnt lgkmcnt(0)
	s_cselect_b32 s25, s19, s35
	s_cselect_b32 s33, s18, s34
	s_mul_hi_i32 s19, s22, s6
	s_mul_i32 s18, s22, s6
	s_lshl_b64 s[18:19], s[18:19], 1
	s_add_u32 s40, s33, s18
	s_addc_u32 s22, s25, s19
	s_and_b64 s[18:19], s[8:9], exec
	s_cselect_b32 s36, s30, s28
	s_cselect_b32 s18, s31, s29
	s_and_b32 s41, s22, 0xffff
	s_mov_b32 s42, s38
	s_mov_b32 s43, s39
	v_lshlrev_b32_e32 v2, 5, v0
	s_and_b32 s37, s18, 0xffff
	buffer_load_dwordx4 v[78:81], v2, s[40:43], 0 offen
	buffer_load_dwordx4 v[82:85], v2, s[40:43], 16 offen
	;; [unrolled: 1-line block ×4, first 2 shown]
.LBB954_3:
	s_or_b64 exec, exec, s[2:3]
	s_and_b64 vcc, exec, s[10:11]
	s_cbranch_vccz .LBB954_7
; %bb.4:
	v_mov_b32_e32 v87, 0
	v_mov_b32_e32 v86, 0
	;; [unrolled: 1-line block ×16, first 2 shown]
	s_and_saveexec_b64 s[2:3], s[0:1]
	s_cbranch_execz .LBB954_6
; %bb.5:
	s_waitcnt vmcnt(3)
	v_cvt_f32_u32_sdwa v52, v78 dst_sel:DWORD dst_unused:UNUSED_PAD src0_sel:WORD_0
	v_cvt_f32_u32_sdwa v53, v78 dst_sel:DWORD dst_unused:UNUSED_PAD src0_sel:WORD_1
	v_cvt_f32_u32_sdwa v34, v79 dst_sel:DWORD dst_unused:UNUSED_PAD src0_sel:WORD_0
	v_cvt_f32_u32_sdwa v35, v79 dst_sel:DWORD dst_unused:UNUSED_PAD src0_sel:WORD_1
	;; [unrolled: 2-line block ×4, first 2 shown]
	s_waitcnt vmcnt(2)
	v_cvt_f32_u32_sdwa v44, v82 dst_sel:DWORD dst_unused:UNUSED_PAD src0_sel:WORD_0
	v_cvt_f32_u32_sdwa v45, v82 dst_sel:DWORD dst_unused:UNUSED_PAD src0_sel:WORD_1
	v_cvt_f32_u32_sdwa v18, v83 dst_sel:DWORD dst_unused:UNUSED_PAD src0_sel:WORD_0
	v_cvt_f32_u32_sdwa v19, v83 dst_sel:DWORD dst_unused:UNUSED_PAD src0_sel:WORD_1
	;; [unrolled: 2-line block ×4, first 2 shown]
.LBB954_6:
	s_or_b64 exec, exec, s[2:3]
	s_cbranch_execz .LBB954_8
	s_branch .LBB954_11
.LBB954_7:
                                        ; implicit-def: $vgpr32_vgpr33_vgpr34_vgpr35_vgpr36_vgpr37_vgpr38_vgpr39_vgpr40_vgpr41_vgpr42_vgpr43_vgpr44_vgpr45_vgpr46_vgpr47
                                        ; implicit-def: $vgpr18_vgpr19_vgpr20_vgpr21_vgpr22_vgpr23_vgpr24_vgpr25_vgpr26_vgpr27_vgpr28_vgpr29_vgpr30_vgpr31_vgpr32_vgpr33
                                        ; implicit-def: $vgpr52_vgpr53_vgpr54_vgpr55_vgpr56_vgpr57_vgpr58_vgpr59_vgpr60_vgpr61_vgpr62_vgpr63_vgpr64_vgpr65_vgpr66_vgpr67
                                        ; implicit-def: $vgpr87
                                        ; implicit-def: $vgpr54_vgpr55_vgpr56_vgpr57_vgpr58_vgpr59_vgpr60_vgpr61_vgpr62_vgpr63_vgpr64_vgpr65_vgpr66_vgpr67_vgpr68_vgpr69
                                        ; implicit-def: $vgpr8_vgpr9_vgpr10_vgpr11_vgpr12_vgpr13_vgpr14_vgpr15_vgpr16_vgpr17_vgpr18_vgpr19_vgpr20_vgpr21_vgpr22_vgpr23
                                        ; implicit-def: $vgpr36_vgpr37_vgpr38_vgpr39_vgpr40_vgpr41_vgpr42_vgpr43_vgpr44_vgpr45_vgpr46_vgpr47_vgpr48_vgpr49_vgpr50_vgpr51
                                        ; implicit-def: $vgpr2_vgpr3_vgpr4_vgpr5_vgpr6_vgpr7_vgpr8_vgpr9_vgpr10_vgpr11_vgpr12_vgpr13_vgpr14_vgpr15_vgpr16_vgpr17
.LBB954_8:
	v_mov_b32_e32 v87, 0
	v_mov_b32_e32 v86, 0
	;; [unrolled: 1-line block ×16, first 2 shown]
	s_and_saveexec_b64 s[2:3], s[0:1]
	s_cbranch_execz .LBB954_10
; %bb.9:
	s_waitcnt lgkmcnt(0)
	s_load_dwordx2 s[18:19], s[4:5], 0x38
	s_mul_hi_i32 s31, s27, s6
	s_mul_i32 s30, s27, s6
	s_lshl_b64 s[30:31], s[30:31], 1
	s_mov_b32 s39, 0x20000
	s_waitcnt lgkmcnt(0)
	s_add_u32 s36, s18, s30
	s_addc_u32 s18, s19, s31
	s_and_b32 s37, s18, 0xffff
	v_lshlrev_b32_e32 v38, 5, v0
	buffer_load_dwordx4 v[4:7], v38, s[36:39], 16 offen
	buffer_load_dwordx4 v[8:11], v38, s[36:39], 0 offen
	s_load_dwordx2 s[18:19], s[4:5], 0x20
	s_waitcnt vmcnt(5)
	v_cvt_f32_u32_sdwa v19, v78 dst_sel:DWORD dst_unused:UNUSED_PAD src0_sel:WORD_1
	v_cvt_f32_u32_sdwa v18, v78 dst_sel:DWORD dst_unused:UNUSED_PAD src0_sel:WORD_0
	v_cvt_f32_u32_sdwa v21, v79 dst_sel:DWORD dst_unused:UNUSED_PAD src0_sel:WORD_1
	v_cvt_f32_u32_sdwa v20, v79 dst_sel:DWORD dst_unused:UNUSED_PAD src0_sel:WORD_0
	;; [unrolled: 2-line block ×4, first 2 shown]
	s_waitcnt vmcnt(4)
	v_cvt_f32_u32_sdwa v3, v82 dst_sel:DWORD dst_unused:UNUSED_PAD src0_sel:WORD_1
	v_cvt_f32_u32_sdwa v2, v82 dst_sel:DWORD dst_unused:UNUSED_PAD src0_sel:WORD_0
	v_cvt_f32_u32_sdwa v13, v83 dst_sel:DWORD dst_unused:UNUSED_PAD src0_sel:WORD_1
	v_cvt_f32_u32_sdwa v12, v83 dst_sel:DWORD dst_unused:UNUSED_PAD src0_sel:WORD_0
	;; [unrolled: 2-line block ×3, first 2 shown]
	v_cvt_f32_u32_sdwa v16, v85 dst_sel:DWORD dst_unused:UNUSED_PAD src0_sel:WORD_0
	v_cvt_f32_u32_sdwa v17, v85 dst_sel:DWORD dst_unused:UNUSED_PAD src0_sel:WORD_1
	s_mul_hi_i32 s31, s17, s6
	s_mul_i32 s30, s17, s6
	s_lshl_b64 s[30:31], s[30:31], 1
	s_waitcnt lgkmcnt(0)
	s_add_u32 s36, s18, s30
	s_mov_b32 s17, 0x7060302
	s_addc_u32 s18, s19, s31
	s_and_b32 s37, s18, 0xffff
	s_waitcnt vmcnt(1)
	v_cvt_f32_u32_sdwa v27, v4 dst_sel:DWORD dst_unused:UNUSED_PAD src0_sel:WORD_1
	v_cvt_f32_u32_sdwa v26, v4 dst_sel:DWORD dst_unused:UNUSED_PAD src0_sel:WORD_0
	v_cvt_f32_u32_sdwa v29, v5 dst_sel:DWORD dst_unused:UNUSED_PAD src0_sel:WORD_1
	v_cvt_f32_u32_sdwa v28, v5 dst_sel:DWORD dst_unused:UNUSED_PAD src0_sel:WORD_0
	;; [unrolled: 2-line block ×3, first 2 shown]
	v_cvt_f32_u32_sdwa v32, v7 dst_sel:DWORD dst_unused:UNUSED_PAD src0_sel:WORD_0
	v_cvt_f32_u32_sdwa v33, v7 dst_sel:DWORD dst_unused:UNUSED_PAD src0_sel:WORD_1
	s_waitcnt vmcnt(0)
	v_cvt_f32_u32_sdwa v37, v8 dst_sel:DWORD dst_unused:UNUSED_PAD src0_sel:WORD_1
	v_cvt_f32_u32_sdwa v36, v8 dst_sel:DWORD dst_unused:UNUSED_PAD src0_sel:WORD_0
	v_cvt_f32_u32_sdwa v5, v10 dst_sel:DWORD dst_unused:UNUSED_PAD src0_sel:WORD_1
	v_cvt_f32_u32_sdwa v4, v10 dst_sel:DWORD dst_unused:UNUSED_PAD src0_sel:WORD_0
	;; [unrolled: 2-line block ×4, first 2 shown]
	v_pk_add_f32 v[58:59], v[22:23], v[4:5]
	v_pk_add_f32 v[24:25], v[24:25], v[6:7]
	;; [unrolled: 1-line block ×4, first 2 shown]
	v_perm_b32 v7, v25, v24, s17
	v_perm_b32 v6, v59, v58, s17
	;; [unrolled: 1-line block ×4, first 2 shown]
	v_pk_add_f32 v[86:87], v[16:17], v[32:33]
	v_pk_add_f32 v[14:15], v[14:15], v[30:31]
	;; [unrolled: 1-line block ×4, first 2 shown]
	buffer_store_dwordx4 v[4:7], v38, s[36:39], 0 offen
	;;#ASMSTART
	s_nop 0
	;;#ASMEND
	s_nop 0
	v_perm_b32 v7, v87, v86, s17
	v_perm_b32 v6, v15, v14, s17
	v_perm_b32 v5, v19, v18, s17
	v_perm_b32 v4, v45, v44, s17
	buffer_store_dwordx4 v[4:7], v38, s[36:39], 16 offen
	;;#ASMSTART
	s_nop 0
	;;#ASMEND
.LBB954_10:
	s_or_b64 exec, exec, s[2:3]
.LBB954_11:
	v_mul_f32_e32 v2, v53, v53
	v_fmac_f32_e32 v2, v52, v52
	v_fmac_f32_e32 v2, v34, v34
	;; [unrolled: 1-line block ×15, first 2 shown]
	s_nop 1
	v_mov_b32_dpp v3, v2 quad_perm:[1,0,3,2] row_mask:0xf bank_mask:0xf
	v_add_f32_e32 v2, v2, v3
	s_nop 1
	v_mov_b32_dpp v3, v2 quad_perm:[2,3,0,1] row_mask:0xf bank_mask:0xf
	v_add_f32_e32 v2, v2, v3
	s_nop 1
	v_mov_b32_dpp v3, v2 row_half_mirror row_mask:0xf bank_mask:0xf
	v_add_f32_e32 v2, v2, v3
	s_nop 1
	v_mov_b32_dpp v3, v2 row_mirror row_mask:0xf bank_mask:0xf
	v_add_f32_e32 v2, v2, v3
	s_nop 1
	v_mov_b32_dpp v3, v2 row_bcast:15 row_mask:0xf bank_mask:0xf
	v_add_f32_e32 v2, v2, v3
	v_and_b32_e32 v3, 63, v0
	v_cmp_eq_u32_e64 s[2:3], 63, v3
	s_nop 0
	v_mov_b32_dpp v3, v2 row_bcast:31 row_mask:0xf bank_mask:0xf
	s_waitcnt lgkmcnt(0)
	s_and_saveexec_b64 s[18:19], s[2:3]
	s_cbranch_execz .LBB954_13
; %bb.12:
	v_add_f32_e32 v2, v2, v3
	v_lshrrev_b32_e32 v3, 4, v0
	v_and_b32_e32 v3, 60, v3
	ds_write_b32 v3, v2 offset:32
.LBB954_13:
	s_or_b64 exec, exec, s[18:19]
	v_and_b32_e32 v2, 7, v0
	v_lshlrev_b32_e32 v36, 2, v2
	s_waitcnt lgkmcnt(0)
	s_barrier
	ds_read_b32 v2, v36 offset:32
	s_load_dwordx2 s[18:19], s[4:5], 0x18
	s_waitcnt lgkmcnt(0)
	v_mov_b32_dpp v3, v2 quad_perm:[1,0,3,2] row_mask:0xf bank_mask:0xf
	v_add_f32_e32 v2, v2, v3
	s_nop 1
	v_mov_b32_dpp v3, v2 quad_perm:[2,3,0,1] row_mask:0xf bank_mask:0xf
	v_add_f32_e32 v2, v2, v3
	s_nop 1
	v_mov_b32_dpp v3, v2 row_half_mirror row_mask:0xf bank_mask:0xf
	s_and_saveexec_b64 s[30:31], s[0:1]
	s_cbranch_execnz .LBB954_18
; %bb.14:
	s_or_b64 exec, exec, s[30:31]
	s_mov_b64 s[8:9], -1
	s_and_b64 vcc, exec, s[10:11]
	s_cbranch_vccnz .LBB954_19
.LBB954_15:
	s_andn2_b64 vcc, exec, s[8:9]
	s_cbranch_vccz .LBB954_22
.LBB954_16:
	s_cmp_lt_i32 s24, 1
	s_cbranch_scc0 .LBB954_31
.LBB954_17:
	s_endpgm
.LBB954_18:
	v_add_f32_e32 v2, v2, v3
	v_cvt_f32_u32_e32 v3, s7
	s_mov_b32 s7, 0x800000
	s_waitcnt vmcnt(1)
	v_cvt_f32_u32_sdwa v17, v74 dst_sel:DWORD dst_unused:UNUSED_PAD src0_sel:WORD_1
	v_cvt_f32_u32_sdwa v16, v74 dst_sel:DWORD dst_unused:UNUSED_PAD src0_sel:WORD_0
	v_div_scale_f32 v4, s[36:37], v3, v3, v2
	v_rcp_f32_e32 v5, v4
	v_pk_add_f32 v[16:17], v[16:17], 1.0 op_sel_hi:[1,0]
	v_cvt_f32_u32_sdwa v21, v77 dst_sel:DWORD dst_unused:UNUSED_PAD src0_sel:WORD_1
	v_cvt_f32_u32_sdwa v20, v77 dst_sel:DWORD dst_unused:UNUSED_PAD src0_sel:WORD_0
	v_fma_f32 v6, -v4, v5, 1.0
	v_fmac_f32_e32 v5, v6, v5
	v_div_scale_f32 v6, vcc, v2, v3, v2
	v_mul_f32_e32 v7, v6, v5
	v_fma_f32 v8, -v4, v7, v6
	v_fmac_f32_e32 v7, v8, v5
	v_fma_f32 v4, -v4, v7, v6
	v_div_fmas_f32 v4, v4, v5, v7
	v_div_fixup_f32 v2, v4, v3, v2
	v_mov_b32_e32 v3, s21
	v_mov_b32_e32 v4, s20
	v_cndmask_b32_e64 v3, v3, v4, s[8:9]
	v_add_f32_e32 v2, v3, v2
	v_mul_f32_e32 v3, 0x4b800000, v2
	v_cmp_gt_f32_e32 vcc, s7, v2
	v_cndmask_b32_e32 v2, v2, v3, vcc
	v_rsq_f32_e32 v2, v2
	s_waitcnt vmcnt(0)
	v_cvt_f32_u32_sdwa v23, v72 dst_sel:DWORD dst_unused:UNUSED_PAD src0_sel:WORD_1
	v_cvt_f32_u32_sdwa v22, v72 dst_sel:DWORD dst_unused:UNUSED_PAD src0_sel:WORD_0
	v_mul_f32_e32 v3, 0x45800000, v2
	v_cndmask_b32_e32 v2, v2, v3, vcc
	v_mov_b32_e32 v3, v2
	;;#ASMSTART
	v_pk_mul_f32 v[4:5], v[52:53], v[2:3]
	;;#ASMEND
	;;#ASMSTART
	v_pk_mul_f32 v[6:7], v[34:35], v[2:3]
	;;#ASMEND
	;;#ASMSTART
	v_pk_mul_f32 v[8:9], v[58:59], v[2:3]
	;;#ASMEND
	;;#ASMSTART
	v_pk_mul_f32 v[10:11], v[24:25], v[2:3]
	;;#ASMEND
	;;#ASMSTART
	v_pk_mul_f32 v[12:13], v[44:45], v[2:3]
	;;#ASMEND
	;;#ASMSTART
	v_pk_mul_f32 v[18:19], v[18:19], v[2:3]
	;;#ASMEND
	;;#ASMSTART
	v_pk_mul_f32 v[14:15], v[14:15], v[2:3]
	;;#ASMEND
	;;#ASMSTART
	v_pk_mul_f32 v[2:3], v[86:87], v[2:3]
	;;#ASMEND
	;;#ASMSTART
	v_pk_mul_f32 v[52:53], v[4:5], v[16:17]
	;;#ASMEND
	v_cvt_f32_u32_sdwa v5, v75 dst_sel:DWORD dst_unused:UNUSED_PAD src0_sel:WORD_1
	v_cvt_f32_u32_sdwa v4, v75 dst_sel:DWORD dst_unused:UNUSED_PAD src0_sel:WORD_0
	v_cvt_f32_u32_sdwa v17, v76 dst_sel:DWORD dst_unused:UNUSED_PAD src0_sel:WORD_1
	v_cvt_f32_u32_sdwa v16, v76 dst_sel:DWORD dst_unused:UNUSED_PAD src0_sel:WORD_0
	v_cvt_f32_u32_sdwa v25, v73 dst_sel:DWORD dst_unused:UNUSED_PAD src0_sel:WORD_1
	v_pk_add_f32 v[4:5], v[4:5], 1.0 op_sel_hi:[1,0]
	;;#ASMSTART
	v_pk_mul_f32 v[34:35], v[6:7], v[4:5]
	;;#ASMEND
	v_pk_add_f32 v[4:5], v[16:17], 1.0 op_sel_hi:[1,0]
	v_pk_add_f32 v[6:7], v[20:21], 1.0 op_sel_hi:[1,0]
	v_cvt_f32_u32_sdwa v17, v70 dst_sel:DWORD dst_unused:UNUSED_PAD src0_sel:WORD_1
	v_cvt_f32_u32_sdwa v16, v70 dst_sel:DWORD dst_unused:UNUSED_PAD src0_sel:WORD_0
	v_cvt_f32_u32_sdwa v21, v71 dst_sel:DWORD dst_unused:UNUSED_PAD src0_sel:WORD_1
	v_cvt_f32_u32_sdwa v20, v71 dst_sel:DWORD dst_unused:UNUSED_PAD src0_sel:WORD_0
	v_cvt_f32_u32_sdwa v24, v73 dst_sel:DWORD dst_unused:UNUSED_PAD src0_sel:WORD_0
	v_pk_add_f32 v[16:17], v[16:17], 1.0 op_sel_hi:[1,0]
	v_pk_add_f32 v[22:23], v[22:23], 1.0 op_sel_hi:[1,0]
	;; [unrolled: 1-line block ×4, first 2 shown]
	;;#ASMSTART
	v_pk_mul_f32 v[58:59], v[8:9], v[4:5]
	;;#ASMEND
	;;#ASMSTART
	v_pk_mul_f32 v[24:25], v[10:11], v[6:7]
	;;#ASMEND
	;; [unrolled: 3-line block ×6, first 2 shown]
	s_or_b64 exec, exec, s[30:31]
	s_mov_b64 s[8:9], -1
	s_and_b64 vcc, exec, s[10:11]
	s_cbranch_vccz .LBB954_15
.LBB954_19:
	s_and_saveexec_b64 s[8:9], s[0:1]
	s_cbranch_execz .LBB954_21
; %bb.20:
	s_mul_hi_i32 s11, s16, s6
	s_mul_i32 s10, s16, s6
	s_lshl_b64 s[10:11], s[10:11], 1
	s_add_u32 s36, s18, s10
	s_addc_u32 s7, s19, s11
	s_and_b32 s37, s7, 0xffff
	s_mov_b32 s7, 0x7060302
	s_mov_b32 s39, 0x20000
	v_perm_b32 v5, v25, v24, s7
	v_perm_b32 v4, v59, v58, s7
	;; [unrolled: 1-line block ×4, first 2 shown]
	v_lshlrev_b32_e32 v6, 5, v0
	buffer_store_dwordx4 v[2:5], v6, s[36:39], 0 offen
	;;#ASMSTART
	s_nop 0
	;;#ASMEND
	s_nop 0
	v_perm_b32 v5, v87, v86, s7
	v_perm_b32 v4, v15, v14, s7
	;; [unrolled: 1-line block ×4, first 2 shown]
	buffer_store_dwordx4 v[2:5], v6, s[36:39], 16 offen
	;;#ASMSTART
	s_nop 0
	;;#ASMEND
.LBB954_21:
	s_or_b64 exec, exec, s[8:9]
	s_cbranch_execnz .LBB954_16
.LBB954_22:
	v_mov_b32_e32 v2, 0
	s_and_saveexec_b64 s[8:9], s[0:1]
	s_cbranch_execz .LBB954_24
; %bb.23:
	s_load_dwordx2 s[10:11], s[4:5], 0x10
	s_mul_hi_i32 s31, s15, s6
	s_mul_i32 s30, s15, s6
	s_lshl_b64 s[30:31], s[30:31], 1
	s_mov_b32 s39, 0x20000
	s_waitcnt lgkmcnt(0)
	s_add_u32 s36, s10, s30
	s_addc_u32 s7, s11, s31
	s_and_b32 s37, s7, 0xffff
	s_mov_b32 s7, 0x7060302
	v_perm_b32 v5, v25, v24, s7
	v_perm_b32 v4, v59, v58, s7
	;; [unrolled: 1-line block ×4, first 2 shown]
	v_lshlrev_b32_e32 v6, 5, v0
	buffer_store_dwordx4 v[2:5], v6, s[36:39], 0 offen
	;;#ASMSTART
	s_nop 0
	;;#ASMEND
	s_nop 0
	v_perm_b32 v5, v87, v86, s7
	v_perm_b32 v4, v15, v14, s7
	;; [unrolled: 1-line block ×4, first 2 shown]
	buffer_store_dwordx4 v[2:5], v6, s[36:39], 16 offen
	;;#ASMSTART
	s_nop 0
	;;#ASMEND
	s_nop 0
	v_mov_b32_e32 v2, 0x2edbe6ff
.LBB954_24:
	s_or_b64 exec, exec, s[8:9]
	s_and_saveexec_b64 s[8:9], s[0:1]
	s_cbranch_execz .LBB954_26
; %bb.25:
	v_and_b32_e32 v3, 0x7fffffff, v52
	v_and_b32_e32 v4, 0x7fffffff, v53
	;;#ASMSTART
	v_max3_f32 v2, v2, v3, v4

	;;#ASMEND
	v_and_b32_e32 v3, 0x7fffffff, v34
	v_and_b32_e32 v4, 0x7fffffff, v35
	;;#ASMSTART
	v_max3_f32 v2, v2, v3, v4

	;;#ASMEND
	;; [unrolled: 6-line block ×8, first 2 shown]
.LBB954_26:
	s_or_b64 exec, exec, s[8:9]
	;;#ASMSTART
	v_max_f32 v3, v2, v2 quad_perm:[1,0,3,2] row_mask:0xf bank_mask:0xf bound_ctrl:1
	;;#ASMEND
	;;#ASMSTART
	v_max_f32 v2, v3, v3 quad_perm:[2,3,0,1] row_mask:0xf bank_mask:0xf bound_ctrl:1
	;;#ASMEND
	v_and_b32_e32 v3, 3, v0
	v_cmp_eq_u32_e32 vcc, 0, v3
	v_cmp_gt_i32_e64 s[8:9], s23, v1
	v_mul_f32_e32 v2, 0x3b124925, v2
	s_and_b64 s[10:11], vcc, s[8:9]
	s_and_saveexec_b64 s[8:9], s[10:11]
	s_cbranch_execz .LBB954_28
; %bb.27:
	s_load_dwordx2 s[10:11], s[4:5], 0x8
	v_lshrrev_b32_e32 v3, 2, v0
	s_mul_hi_i32 s31, s13, s6
	s_mul_i32 s30, s13, s6
	v_mad_i64_i32 v[4:5], s[14:15], s14, v3, 0
	s_lshl_b64 s[14:15], s[30:31], 2
	s_waitcnt lgkmcnt(0)
	s_add_u32 s7, s10, s14
	s_addc_u32 s10, s11, s15
	v_lshlrev_b64 v[4:5], 2, v[4:5]
	v_mov_b32_e32 v3, s10
	v_add_co_u32_e32 v4, vcc, s7, v4
	v_addc_co_u32_e32 v5, vcc, v3, v5, vcc
	global_store_dword v[4:5], v2, off
.LBB954_28:
	s_or_b64 exec, exec, s[8:9]
	;;#ASMSTART
	v_rcp_f32 v2, v2
	;;#ASMEND
	s_and_saveexec_b64 s[14:15], s[0:1]
	s_cbranch_execz .LBB954_30
; %bb.29:
	v_mov_b32_e32 v3, v2
	;;#ASMSTART
	v_pk_mul_f32 v[4:5], v[52:53], v[2:3]
	;;#ASMEND
	v_mov_b32_e32 v10, 0xc3e00000
	v_mov_b32_e32 v11, 0x43e00000
	;;#ASMSTART
	v_med3_f32 v4, v4, v10, v11
v_med3_f32 v5, v5, v10, v11
v_cvt_pk_fp8_f32 v6, v4, v5
	;;#ASMEND
	;;#ASMSTART
	v_pk_mul_f32 v[4:5], v[34:35], v[2:3]
	;;#ASMEND
	;;#ASMSTART
	v_med3_f32 v4, v4, v10, v11
v_med3_f32 v5, v5, v10, v11
v_cvt_pk_fp8_f32 v7, v4, v5
	;;#ASMEND
	;;#ASMSTART
	v_pk_mul_f32 v[4:5], v[58:59], v[2:3]
	;;#ASMEND
	;; [unrolled: 8-line block ×3, first 2 shown]
	;;#ASMSTART
	v_med3_f32 v4, v4, v10, v11
v_med3_f32 v5, v5, v10, v11
v_cvt_pk_fp8_f32 v9, v4, v5
	;;#ASMEND
	s_mov_b32 s0, 0x5040100
	v_perm_b32 v4, v7, v6, s0
	s_mov_b32 s0, 0x1060504
	v_perm_b32 v4, v4, v7, s0
	s_load_dwordx2 s[0:1], s[4:5], 0x0
	s_mov_b32 s7, 0x1000504
	;;#ASMSTART
	v_pk_mul_f32 v[6:7], v[44:45], v[2:3]
	;;#ASMEND
	v_perm_b32 v5, v8, v9, s7
	s_mul_i32 s8, s12, s6
	;;#ASMSTART
	v_med3_f32 v6, v6, v10, v11
v_med3_f32 v7, v7, v10, v11
v_cvt_pk_fp8_f32 v8, v6, v7
	;;#ASMEND
	s_mul_hi_i32 s9, s12, s6
	s_waitcnt lgkmcnt(0)
	s_add_u32 s8, s0, s8
	;;#ASMSTART
	v_pk_mul_f32 v[6:7], v[18:19], v[2:3]
	;;#ASMEND
	s_addc_u32 s0, s1, s9
	s_add_i32 s1, s23, 3
	;;#ASMSTART
	v_med3_f32 v6, v6, v10, v11
v_med3_f32 v7, v7, v10, v11
v_cvt_pk_fp8_f32 v9, v6, v7
	;;#ASMEND
	s_ashr_i32 s9, s1, 31
	v_perm_b32 v6, v8, v9, s7
	;;#ASMSTART
	v_pk_mul_f32 v[8:9], v[14:15], v[2:3]
	;;#ASMEND
	v_mov_b32_e32 v7, v9
	s_lshr_b32 s9, s9, 30
	;;#ASMSTART
	v_med3_f32 v8, v8, v10, v11
v_med3_f32 v7, v7, v10, v11
v_cvt_pk_fp8_f32 v9, v8, v7
	;;#ASMEND
	;;#ASMSTART
	v_pk_mul_f32 v[2:3], v[86:87], v[2:3]
	;;#ASMEND
	s_add_i32 s1, s1, s9
	;;#ASMSTART
	v_med3_f32 v2, v2, v10, v11
v_med3_f32 v3, v3, v10, v11
v_cvt_pk_fp8_f32 v7, v2, v3
	;;#ASMEND
	s_and_b32 s10, s1, -4
	s_and_b32 s9, s0, 0xffff
	s_mov_b32 s11, 0x20000
	v_perm_b32 v7, v9, v7, s7
	buffer_store_dwordx4 v[4:7], v1, s[8:11], 0 offen
	;;#ASMSTART
	s_nop 0
	;;#ASMEND
.LBB954_30:
	s_or_b64 exec, exec, s[14:15]
	s_cmp_lt_i32 s24, 1
	s_cbranch_scc1 .LBB954_17
.LBB954_31:
	s_load_dword s0, s[4:5], 0x94
	s_waitcnt lgkmcnt(0)
	s_cmp_lg_u32 s0, 1
	s_cbranch_scc1 .LBB954_17
; %bb.32:
	s_lshl_b32 s0, s24, 1
	s_add_i32 s0, s0, 2
	v_cmp_gt_u32_e32 vcc, s24, v1
	s_and_b32 s30, s0, -4
	v_mov_b32_e32 v18, 0
	v_lshlrev_b32_e32 v1, 5, v0
	v_mov_b32_e32 v14, 0
	v_mov_b32_e32 v15, 0
	;; [unrolled: 1-line block ×16, first 2 shown]
	s_barrier
	s_and_saveexec_b64 s[0:1], vcc
	s_cbranch_execz .LBB954_34
; %bb.33:
	s_mul_hi_i32 s5, s26, s6
	s_mul_i32 s4, s26, s6
	s_and_b32 s29, s29, 0xffff
	s_lshl_b64 s[4:5], s[4:5], 1
	s_add_u32 s8, s34, s4
	s_mov_b32 s31, 0x20000
	s_addc_u32 s4, s35, s5
	s_and_b32 s9, s4, 0xffff
	s_mov_b32 s10, s30
	s_mov_b32 s11, s31
	buffer_load_dwordx4 v[14:17], v1, s[8:11], 0 offen
	buffer_load_dwordx4 v[10:13], v1, s[8:11], 16 offen
	;; [unrolled: 1-line block ×4, first 2 shown]
.LBB954_34:
	s_or_b64 exec, exec, s[0:1]
	v_mov_b32_e32 v19, 0
	v_mov_b32_e32 v32, 0
	;; [unrolled: 1-line block ×15, first 2 shown]
	s_and_saveexec_b64 s[0:1], vcc
	s_cbranch_execz .LBB954_36
; %bb.35:
	s_waitcnt vmcnt(3)
	v_cvt_f32_u32_sdwa v18, v14 dst_sel:DWORD dst_unused:UNUSED_PAD src0_sel:WORD_0
	v_cvt_f32_u32_sdwa v19, v14 dst_sel:DWORD dst_unused:UNUSED_PAD src0_sel:WORD_1
	v_cvt_f32_u32_sdwa v32, v15 dst_sel:DWORD dst_unused:UNUSED_PAD src0_sel:WORD_0
	v_cvt_f32_u32_sdwa v33, v15 dst_sel:DWORD dst_unused:UNUSED_PAD src0_sel:WORD_1
	;; [unrolled: 2-line block ×4, first 2 shown]
	s_waitcnt vmcnt(2)
	v_cvt_f32_u32_sdwa v26, v10 dst_sel:DWORD dst_unused:UNUSED_PAD src0_sel:WORD_0
	v_cvt_f32_u32_sdwa v27, v10 dst_sel:DWORD dst_unused:UNUSED_PAD src0_sel:WORD_1
	v_cvt_f32_u32_sdwa v24, v11 dst_sel:DWORD dst_unused:UNUSED_PAD src0_sel:WORD_0
	v_cvt_f32_u32_sdwa v25, v11 dst_sel:DWORD dst_unused:UNUSED_PAD src0_sel:WORD_1
	;; [unrolled: 2-line block ×4, first 2 shown]
.LBB954_36:
	s_or_b64 exec, exec, s[0:1]
	s_waitcnt vmcnt(2)
	v_mul_f32_e32 v10, v19, v19
	v_fmac_f32_e32 v10, v18, v18
	v_fmac_f32_e32 v10, v32, v32
	;; [unrolled: 1-line block ×15, first 2 shown]
	s_nop 1
	v_mov_b32_dpp v11, v10 quad_perm:[1,0,3,2] row_mask:0xf bank_mask:0xf
	v_add_f32_e32 v10, v10, v11
	s_nop 1
	v_mov_b32_dpp v11, v10 quad_perm:[2,3,0,1] row_mask:0xf bank_mask:0xf
	v_add_f32_e32 v10, v10, v11
	s_nop 1
	v_mov_b32_dpp v11, v10 row_half_mirror row_mask:0xf bank_mask:0xf
	v_add_f32_e32 v10, v10, v11
	s_nop 1
	v_mov_b32_dpp v11, v10 row_mirror row_mask:0xf bank_mask:0xf
	v_add_f32_e32 v10, v10, v11
	s_nop 1
	v_mov_b32_dpp v11, v10 row_bcast:15 row_mask:0xf bank_mask:0xf
	v_add_f32_e32 v10, v10, v11
	s_nop 1
	v_mov_b32_dpp v11, v10 row_bcast:31 row_mask:0xf bank_mask:0xf
	s_and_saveexec_b64 s[0:1], s[2:3]
	s_cbranch_execz .LBB954_38
; %bb.37:
	v_lshrrev_b32_e32 v0, 4, v0
	v_add_f32_e32 v10, v10, v11
	v_and_b32_e32 v0, 60, v0
	ds_write_b32 v0, v10
.LBB954_38:
	s_or_b64 exec, exec, s[0:1]
	s_waitcnt lgkmcnt(0)
	s_barrier
	ds_read_b32 v0, v36
	s_waitcnt lgkmcnt(0)
	s_nop 0
	v_mov_b32_dpp v10, v0 quad_perm:[1,0,3,2] row_mask:0xf bank_mask:0xf
	v_add_f32_e32 v0, v0, v10
	s_nop 1
	v_mov_b32_dpp v10, v0 quad_perm:[2,3,0,1] row_mask:0xf bank_mask:0xf
	v_add_f32_e32 v0, v0, v10
	s_nop 1
	v_mov_b32_dpp v10, v0 row_half_mirror row_mask:0xf bank_mask:0xf
	s_and_saveexec_b64 s[0:1], vcc
	s_cbranch_execz .LBB954_17
; %bb.39:
	v_cvt_f32_u32_e32 v11, s24
	v_add_f32_e32 v0, v0, v10
	s_mov_b32 s31, 0x20000
	v_div_scale_f32 v10, s[0:1], v11, v11, v0
	v_rcp_f32_e32 v12, v10
	v_div_scale_f32 v13, vcc, v0, v11, v0
	s_mov_b32 s0, 0x800000
	v_fma_f32 v14, -v10, v12, 1.0
	v_fmac_f32_e32 v12, v14, v12
	v_mul_f32_e32 v14, v13, v12
	v_fma_f32 v15, -v10, v14, v13
	v_fmac_f32_e32 v14, v15, v12
	v_fma_f32 v10, -v10, v14, v13
	v_div_fmas_f32 v10, v10, v12, v14
	v_div_fixup_f32 v0, v10, v11, v0
	v_add_f32_e32 v0, s21, v0
	v_mul_f32_e32 v10, 0x4b800000, v0
	v_cmp_gt_f32_e32 vcc, s0, v0
	v_cndmask_b32_e32 v0, v0, v10, vcc
	v_rsq_f32_e32 v0, v0
	s_mul_hi_i32 s1, s16, s6
	s_mul_i32 s0, s16, s6
	s_lshl_b64 s[0:1], s[0:1], 1
	v_mul_f32_e32 v10, 0x45800000, v0
	v_cndmask_b32_e32 v10, v0, v10, vcc
	v_mov_b32_e32 v11, v10
	;;#ASMSTART
	v_pk_mul_f32 v[12:13], v[18:19], v[10:11]
	;;#ASMEND
	;;#ASMSTART
	v_pk_mul_f32 v[14:15], v[32:33], v[10:11]
	;;#ASMEND
	;; [unrolled: 3-line block ×4, first 2 shown]
	s_waitcnt vmcnt(1)
	v_cvt_f32_u32_sdwa v29, v6 dst_sel:DWORD dst_unused:UNUSED_PAD src0_sel:WORD_1
	v_cvt_f32_u32_sdwa v28, v6 dst_sel:DWORD dst_unused:UNUSED_PAD src0_sel:WORD_0
	v_cvt_f32_u32_sdwa v31, v7 dst_sel:DWORD dst_unused:UNUSED_PAD src0_sel:WORD_1
	v_cvt_f32_u32_sdwa v30, v7 dst_sel:DWORD dst_unused:UNUSED_PAD src0_sel:WORD_0
	;;#ASMSTART
	v_pk_mul_f32 v[26:27], v[26:27], v[10:11]
	;;#ASMEND
	;;#ASMSTART
	v_pk_mul_f32 v[24:25], v[24:25], v[10:11]
	;;#ASMEND
	;; [unrolled: 3-line block ×4, first 2 shown]
	v_cvt_f32_u32_sdwa v21, v8 dst_sel:DWORD dst_unused:UNUSED_PAD src0_sel:WORD_1
	v_cvt_f32_u32_sdwa v20, v8 dst_sel:DWORD dst_unused:UNUSED_PAD src0_sel:WORD_0
	v_pk_add_f32 v[10:11], v[28:29], 1.0 op_sel_hi:[1,0]
	;;#ASMSTART
	v_pk_mul_f32 v[10:11], v[12:13], v[10:11]
	;;#ASMEND
	v_pk_add_f32 v[12:13], v[30:31], 1.0 op_sel_hi:[1,0]
	v_cvt_f32_u32_sdwa v29, v9 dst_sel:DWORD dst_unused:UNUSED_PAD src0_sel:WORD_1
	v_cvt_f32_u32_sdwa v28, v9 dst_sel:DWORD dst_unused:UNUSED_PAD src0_sel:WORD_0
	;;#ASMSTART
	v_pk_mul_f32 v[8:9], v[14:15], v[12:13]
	;;#ASMEND
	v_pk_add_f32 v[12:13], v[20:21], 1.0 op_sel_hi:[1,0]
	;;#ASMSTART
	v_pk_mul_f32 v[12:13], v[16:17], v[12:13]
	;;#ASMEND
	s_waitcnt vmcnt(0)
	v_cvt_f32_u32_sdwa v17, v2 dst_sel:DWORD dst_unused:UNUSED_PAD src0_sel:WORD_1
	v_cvt_f32_u32_sdwa v16, v2 dst_sel:DWORD dst_unused:UNUSED_PAD src0_sel:WORD_0
	v_cvt_f32_u32_sdwa v21, v3 dst_sel:DWORD dst_unused:UNUSED_PAD src0_sel:WORD_1
	v_cvt_f32_u32_sdwa v20, v3 dst_sel:DWORD dst_unused:UNUSED_PAD src0_sel:WORD_0
	v_pk_add_f32 v[14:15], v[28:29], 1.0 op_sel_hi:[1,0]
	;;#ASMSTART
	v_pk_mul_f32 v[14:15], v[18:19], v[14:15]
	;;#ASMEND
	v_pk_add_f32 v[2:3], v[16:17], 1.0 op_sel_hi:[1,0]
	v_cvt_f32_u32_sdwa v19, v4 dst_sel:DWORD dst_unused:UNUSED_PAD src0_sel:WORD_1
	v_cvt_f32_u32_sdwa v18, v4 dst_sel:DWORD dst_unused:UNUSED_PAD src0_sel:WORD_0
	;;#ASMSTART
	v_pk_mul_f32 v[16:17], v[26:27], v[2:3]
	;;#ASMEND
	v_pk_add_f32 v[2:3], v[20:21], 1.0 op_sel_hi:[1,0]
	v_cvt_f32_u32_sdwa v21, v5 dst_sel:DWORD dst_unused:UNUSED_PAD src0_sel:WORD_1
	v_cvt_f32_u32_sdwa v20, v5 dst_sel:DWORD dst_unused:UNUSED_PAD src0_sel:WORD_0
	s_add_u32 s28, s18, s0
	;;#ASMSTART
	v_pk_mul_f32 v[24:25], v[24:25], v[2:3]
	;;#ASMEND
	v_pk_add_f32 v[2:3], v[18:19], 1.0 op_sel_hi:[1,0]
	s_addc_u32 s0, s19, s1
	;;#ASMSTART
	v_pk_mul_f32 v[18:19], v[22:23], v[2:3]
	;;#ASMEND
	v_pk_add_f32 v[2:3], v[20:21], 1.0 op_sel_hi:[1,0]
	s_and_b32 s29, s0, 0xffff
	s_mov_b32 s0, 0x7060302
	;;#ASMSTART
	v_pk_mul_f32 v[6:7], v[6:7], v[2:3]
	;;#ASMEND
	v_perm_b32 v2, v11, v10, s0
	v_perm_b32 v3, v9, v8, s0
	;; [unrolled: 1-line block ×4, first 2 shown]
	buffer_store_dwordx4 v[2:5], v1, s[28:31], 0 offen
	;;#ASMSTART
	s_nop 0
	;;#ASMEND
	s_nop 0
	v_perm_b32 v2, v17, v16, s0
	v_perm_b32 v3, v25, v24, s0
	;; [unrolled: 1-line block ×4, first 2 shown]
	buffer_store_dwordx4 v[2:5], v1, s[28:31], 16 offen
	;;#ASMSTART
	s_nop 0
	;;#ASMEND
	s_endpgm
	.section	.rodata,"a",@progbits
	.p2align	6, 0x0
	.amdhsa_kernel _ZN5aiter35fused_qk_rmsnorm_group_quant_kernelItDB8_Li512ELi16ELi4ELb1ELb1ELb1ELb0ELb0ELb0EEEvPT0_PvPT_S6_S6_PKS5_S8_S8_S8_S8_ffiiiiiiiiiiiii
		.amdhsa_group_segment_fixed_size 64
		.amdhsa_private_segment_fixed_size 0
		.amdhsa_kernarg_size 400
		.amdhsa_user_sgpr_count 6
		.amdhsa_user_sgpr_private_segment_buffer 1
		.amdhsa_user_sgpr_dispatch_ptr 0
		.amdhsa_user_sgpr_queue_ptr 0
		.amdhsa_user_sgpr_kernarg_segment_ptr 1
		.amdhsa_user_sgpr_dispatch_id 0
		.amdhsa_user_sgpr_flat_scratch_init 0
		.amdhsa_user_sgpr_kernarg_preload_length 0
		.amdhsa_user_sgpr_kernarg_preload_offset 0
		.amdhsa_user_sgpr_private_segment_size 0
		.amdhsa_uses_dynamic_stack 0
		.amdhsa_system_sgpr_private_segment_wavefront_offset 0
		.amdhsa_system_sgpr_workgroup_id_x 1
		.amdhsa_system_sgpr_workgroup_id_y 1
		.amdhsa_system_sgpr_workgroup_id_z 0
		.amdhsa_system_sgpr_workgroup_info 0
		.amdhsa_system_vgpr_workitem_id 0
		.amdhsa_next_free_vgpr 88
		.amdhsa_next_free_sgpr 44
		.amdhsa_accum_offset 88
		.amdhsa_reserve_vcc 1
		.amdhsa_reserve_flat_scratch 0
		.amdhsa_float_round_mode_32 0
		.amdhsa_float_round_mode_16_64 0
		.amdhsa_float_denorm_mode_32 3
		.amdhsa_float_denorm_mode_16_64 3
		.amdhsa_dx10_clamp 1
		.amdhsa_ieee_mode 1
		.amdhsa_fp16_overflow 0
		.amdhsa_tg_split 0
		.amdhsa_exception_fp_ieee_invalid_op 0
		.amdhsa_exception_fp_denorm_src 0
		.amdhsa_exception_fp_ieee_div_zero 0
		.amdhsa_exception_fp_ieee_overflow 0
		.amdhsa_exception_fp_ieee_underflow 0
		.amdhsa_exception_fp_ieee_inexact 0
		.amdhsa_exception_int_div_zero 0
	.end_amdhsa_kernel
	.section	.text._ZN5aiter35fused_qk_rmsnorm_group_quant_kernelItDB8_Li512ELi16ELi4ELb1ELb1ELb1ELb0ELb0ELb0EEEvPT0_PvPT_S6_S6_PKS5_S8_S8_S8_S8_ffiiiiiiiiiiiii,"axG",@progbits,_ZN5aiter35fused_qk_rmsnorm_group_quant_kernelItDB8_Li512ELi16ELi4ELb1ELb1ELb1ELb0ELb0ELb0EEEvPT0_PvPT_S6_S6_PKS5_S8_S8_S8_S8_ffiiiiiiiiiiiii,comdat
.Lfunc_end954:
	.size	_ZN5aiter35fused_qk_rmsnorm_group_quant_kernelItDB8_Li512ELi16ELi4ELb1ELb1ELb1ELb0ELb0ELb0EEEvPT0_PvPT_S6_S6_PKS5_S8_S8_S8_S8_ffiiiiiiiiiiiii, .Lfunc_end954-_ZN5aiter35fused_qk_rmsnorm_group_quant_kernelItDB8_Li512ELi16ELi4ELb1ELb1ELb1ELb0ELb0ELb0EEEvPT0_PvPT_S6_S6_PKS5_S8_S8_S8_S8_ffiiiiiiiiiiiii
                                        ; -- End function
	.section	.AMDGPU.csdata,"",@progbits
; Kernel info:
; codeLenInByte = 4408
; NumSgprs: 48
; NumVgprs: 88
; NumAgprs: 0
; TotalNumVgprs: 88
; ScratchSize: 0
; MemoryBound: 0
; FloatMode: 240
; IeeeMode: 1
; LDSByteSize: 64 bytes/workgroup (compile time only)
; SGPRBlocks: 5
; VGPRBlocks: 10
; NumSGPRsForWavesPerEU: 48
; NumVGPRsForWavesPerEU: 88
; AccumOffset: 88
; Occupancy: 5
; WaveLimiterHint : 0
; COMPUTE_PGM_RSRC2:SCRATCH_EN: 0
; COMPUTE_PGM_RSRC2:USER_SGPR: 6
; COMPUTE_PGM_RSRC2:TRAP_HANDLER: 0
; COMPUTE_PGM_RSRC2:TGID_X_EN: 1
; COMPUTE_PGM_RSRC2:TGID_Y_EN: 1
; COMPUTE_PGM_RSRC2:TGID_Z_EN: 0
; COMPUTE_PGM_RSRC2:TIDIG_COMP_CNT: 0
; COMPUTE_PGM_RSRC3_GFX90A:ACCUM_OFFSET: 21
; COMPUTE_PGM_RSRC3_GFX90A:TG_SPLIT: 0
	.section	.text._ZN5aiter35fused_qk_rmsnorm_group_quant_kernelIDF16_N4opus5fp4_tELi512ELi16ELi4ELb1ELb1ELb1ELb0ELb0ELb0EEEvPT0_PvPT_S7_S7_PKS6_S9_S9_S9_S9_ffiiiiiiiiiiiii,"axG",@progbits,_ZN5aiter35fused_qk_rmsnorm_group_quant_kernelIDF16_N4opus5fp4_tELi512ELi16ELi4ELb1ELb1ELb1ELb0ELb0ELb0EEEvPT0_PvPT_S7_S7_PKS6_S9_S9_S9_S9_ffiiiiiiiiiiiii,comdat
	.protected	_ZN5aiter35fused_qk_rmsnorm_group_quant_kernelIDF16_N4opus5fp4_tELi512ELi16ELi4ELb1ELb1ELb1ELb0ELb0ELb0EEEvPT0_PvPT_S7_S7_PKS6_S9_S9_S9_S9_ffiiiiiiiiiiiii ; -- Begin function _ZN5aiter35fused_qk_rmsnorm_group_quant_kernelIDF16_N4opus5fp4_tELi512ELi16ELi4ELb1ELb1ELb1ELb0ELb0ELb0EEEvPT0_PvPT_S7_S7_PKS6_S9_S9_S9_S9_ffiiiiiiiiiiiii
	.globl	_ZN5aiter35fused_qk_rmsnorm_group_quant_kernelIDF16_N4opus5fp4_tELi512ELi16ELi4ELb1ELb1ELb1ELb0ELb0ELb0EEEvPT0_PvPT_S7_S7_PKS6_S9_S9_S9_S9_ffiiiiiiiiiiiii
	.p2align	8
	.type	_ZN5aiter35fused_qk_rmsnorm_group_quant_kernelIDF16_N4opus5fp4_tELi512ELi16ELi4ELb1ELb1ELb1ELb0ELb0ELb0EEEvPT0_PvPT_S7_S7_PKS6_S9_S9_S9_S9_ffiiiiiiiiiiiii,@function
_ZN5aiter35fused_qk_rmsnorm_group_quant_kernelIDF16_N4opus5fp4_tELi512ELi16ELi4ELb1ELb1ELb1ELb0ELb0ELb0EEEvPT0_PvPT_S7_S7_PKS6_S9_S9_S9_S9_ffiiiiiiiiiiiii: ; @_ZN5aiter35fused_qk_rmsnorm_group_quant_kernelIDF16_N4opus5fp4_tELi512ELi16ELi4ELb1ELb1ELb1ELb0ELb0ELb0EEEvPT0_PvPT_S7_S7_PKS6_S9_S9_S9_S9_ffiiiiiiiiiiiii
; %bb.0:
	s_load_dwordx8 s[20:27], s[4:5], 0x50
	s_waitcnt lgkmcnt(0)
	s_cmp_ge_i32 s6, s22
	s_cbranch_scc1 .LBB955_17
; %bb.1:
	s_cmp_lg_u32 s7, 0
	s_cselect_b64 s[30:31], -1, 0
	s_cmp_eq_u32 s7, 0
	s_cselect_b64 s[8:9], -1, 0
	s_and_b64 s[0:1], s[8:9], exec
	s_load_dwordx2 s[28:29], s[4:5], 0x48
	s_load_dwordx2 s[10:11], s[4:5], 0x30
	s_load_dwordx8 s[12:19], s[4:5], 0x70
	s_cselect_b32 s7, s23, s24
	s_add_i32 s0, s7, 1
	s_lshr_b32 s1, s0, 31
	s_add_i32 s0, s0, s1
	s_lshl_b32 s0, s0, 1
	v_lshlrev_b32_e32 v1, 4, v0
	s_and_b32 s38, s0, -4
	v_cmp_gt_i32_e64 s[0:1], s7, v1
	v_mov_b32_e32 v6, 0
	v_mov_b32_e32 v7, 0
	;; [unrolled: 1-line block ×16, first 2 shown]
	s_and_saveexec_b64 s[2:3], s[0:1]
	s_cbranch_execz .LBB955_3
; %bb.2:
	s_waitcnt lgkmcnt(0)
	s_load_dwordx2 s[18:19], s[4:5], 0x28
	s_load_dwordx2 s[34:35], s[4:5], 0x40
	s_and_b64 s[36:37], s[8:9], exec
	s_cselect_b32 s22, s25, s26
	s_mov_b32 s39, 0x20000
	s_waitcnt lgkmcnt(0)
	s_cselect_b32 s25, s19, s11
	s_cselect_b32 s33, s18, s10
	s_mul_hi_i32 s19, s22, s6
	s_mul_i32 s18, s22, s6
	s_lshl_b64 s[18:19], s[18:19], 1
	s_add_u32 s40, s33, s18
	s_addc_u32 s22, s25, s19
	s_and_b64 s[18:19], s[8:9], exec
	s_cselect_b32 s36, s34, s28
	s_cselect_b32 s18, s35, s29
	s_and_b32 s41, s22, 0xffff
	s_mov_b32 s42, s38
	s_mov_b32 s43, s39
	v_lshlrev_b32_e32 v18, 5, v0
	s_and_b32 s37, s18, 0xffff
	buffer_load_dwordx4 v[10:13], v18, s[40:43], 0 offen
	buffer_load_dwordx4 v[14:17], v18, s[40:43], 16 offen
	;; [unrolled: 1-line block ×4, first 2 shown]
.LBB955_3:
	s_or_b64 exec, exec, s[2:3]
	s_and_b64 vcc, exec, s[30:31]
	s_cbranch_vccz .LBB955_7
; %bb.4:
	v_mov_b32_e32 v19, 0
	v_mov_b32_e32 v18, 0
	;; [unrolled: 1-line block ×16, first 2 shown]
	s_and_saveexec_b64 s[2:3], s[0:1]
	s_cbranch_execz .LBB955_6
; %bb.5:
	s_waitcnt vmcnt(3)
	v_cvt_f32_f16_sdwa v29, v10 dst_sel:DWORD dst_unused:UNUSED_PAD src0_sel:WORD_1
	v_cvt_f32_f16_e32 v28, v10
	v_cvt_f32_f16_sdwa v33, v11 dst_sel:DWORD dst_unused:UNUSED_PAD src0_sel:WORD_1
	v_cvt_f32_f16_e32 v32, v11
	;; [unrolled: 2-line block ×4, first 2 shown]
	s_waitcnt vmcnt(2)
	v_cvt_f32_f16_sdwa v23, v14 dst_sel:DWORD dst_unused:UNUSED_PAD src0_sel:WORD_1
	v_cvt_f32_f16_e32 v22, v14
	v_cvt_f32_f16_sdwa v25, v15 dst_sel:DWORD dst_unused:UNUSED_PAD src0_sel:WORD_1
	v_cvt_f32_f16_e32 v24, v15
	;; [unrolled: 2-line block ×4, first 2 shown]
.LBB955_6:
	s_or_b64 exec, exec, s[2:3]
	s_cbranch_execz .LBB955_8
	s_branch .LBB955_11
.LBB955_7:
                                        ; implicit-def: $vgpr19
                                        ; implicit-def: $vgpr21
                                        ; implicit-def: $vgpr25
                                        ; implicit-def: $vgpr23
                                        ; implicit-def: $vgpr31
                                        ; implicit-def: $vgpr27
                                        ; implicit-def: $vgpr33
                                        ; implicit-def: $vgpr29
.LBB955_8:
	v_mov_b32_e32 v19, 0
	v_mov_b32_e32 v18, 0
	;; [unrolled: 1-line block ×16, first 2 shown]
	s_and_saveexec_b64 s[2:3], s[0:1]
	s_cbranch_execz .LBB955_10
; %bb.9:
	s_waitcnt lgkmcnt(0)
	s_load_dwordx2 s[18:19], s[4:5], 0x38
	s_mul_hi_i32 s35, s27, s6
	s_mul_i32 s34, s27, s6
	s_lshl_b64 s[34:35], s[34:35], 1
	s_mov_b32 s39, 0x20000
	s_waitcnt lgkmcnt(0)
	s_add_u32 s36, s18, s34
	s_addc_u32 s18, s19, s35
	s_and_b32 s37, s18, 0xffff
	v_lshlrev_b32_e32 v48, 5, v0
	buffer_load_dwordx4 v[18:21], v48, s[36:39], 16 offen
	buffer_load_dwordx4 v[22:25], v48, s[36:39], 0 offen
	s_waitcnt vmcnt(4)
	v_cvt_f32_f16_sdwa v27, v14 dst_sel:DWORD dst_unused:UNUSED_PAD src0_sel:WORD_1
	v_cvt_f32_f16_e32 v26, v14
	v_cvt_f32_f16_sdwa v29, v15 dst_sel:DWORD dst_unused:UNUSED_PAD src0_sel:WORD_1
	v_cvt_f32_f16_e32 v28, v15
	;; [unrolled: 2-line block ×8, first 2 shown]
	s_load_dwordx2 s[18:19], s[4:5], 0x20
	s_mul_hi_i32 s35, s17, s6
	s_mul_i32 s34, s17, s6
	s_lshl_b64 s[34:35], s[34:35], 1
	s_waitcnt lgkmcnt(0)
	s_add_u32 s36, s18, s34
	s_addc_u32 s17, s19, s35
	s_and_b32 s37, s17, 0xffff
	s_waitcnt vmcnt(1)
	v_cvt_f32_f16_e32 v12, v18
	v_cvt_f32_f16_sdwa v13, v18 dst_sel:DWORD dst_unused:UNUSED_PAD src0_sel:WORD_1
	v_cvt_f32_f16_e32 v18, v19
	v_cvt_f32_f16_sdwa v19, v19 dst_sel:DWORD dst_unused:UNUSED_PAD src0_sel:WORD_1
	;; [unrolled: 2-line block ×4, first 2 shown]
	s_waitcnt vmcnt(0)
	v_cvt_f32_f16_e32 v40, v22
	v_cvt_f32_f16_sdwa v41, v22 dst_sel:DWORD dst_unused:UNUSED_PAD src0_sel:WORD_1
	v_cvt_f32_f16_e32 v42, v23
	v_cvt_f32_f16_sdwa v43, v23 dst_sel:DWORD dst_unused:UNUSED_PAD src0_sel:WORD_1
	;; [unrolled: 2-line block ×4, first 2 shown]
	v_pk_add_f32 v[22:23], v[26:27], v[12:13]
	v_pk_add_f32 v[24:25], v[28:29], v[18:19]
	;; [unrolled: 1-line block ×8, first 2 shown]
	v_cvt_f16_f32_e32 v10, v29
	v_cvt_f16_f32_e32 v14, v28
	;; [unrolled: 1-line block ×16, first 2 shown]
	v_pack_b32_f16 v13, v17, v13
	v_pack_b32_f16 v12, v16, v12
	;; [unrolled: 1-line block ×8, first 2 shown]
	buffer_store_dwordx4 v[10:13], v48, s[36:39], 0 offen
	;;#ASMSTART
	s_nop 0
	;;#ASMEND
	buffer_store_dwordx4 v[14:17], v48, s[36:39], 16 offen
	;;#ASMSTART
	s_nop 0
	;;#ASMEND
.LBB955_10:
	s_or_b64 exec, exec, s[2:3]
.LBB955_11:
	s_waitcnt vmcnt(3)
	v_mul_f32_e32 v10, v29, v29
	v_fmac_f32_e32 v10, v28, v28
	v_fmac_f32_e32 v10, v32, v32
	;; [unrolled: 1-line block ×15, first 2 shown]
	v_and_b32_e32 v12, 63, v0
	v_cmp_eq_u32_e64 s[2:3], 63, v12
	v_mov_b32_dpp v11, v10 quad_perm:[1,0,3,2] row_mask:0xf bank_mask:0xf
	v_add_f32_e32 v10, v10, v11
	s_nop 1
	v_mov_b32_dpp v11, v10 quad_perm:[2,3,0,1] row_mask:0xf bank_mask:0xf
	v_add_f32_e32 v10, v10, v11
	s_nop 1
	v_mov_b32_dpp v11, v10 row_half_mirror row_mask:0xf bank_mask:0xf
	v_add_f32_e32 v10, v10, v11
	s_nop 1
	v_mov_b32_dpp v11, v10 row_mirror row_mask:0xf bank_mask:0xf
	v_add_f32_e32 v10, v10, v11
	s_nop 1
	v_mov_b32_dpp v11, v10 row_bcast:15 row_mask:0xf bank_mask:0xf
	v_add_f32_e32 v10, v10, v11
	s_nop 1
	v_mov_b32_dpp v11, v10 row_bcast:31 row_mask:0xf bank_mask:0xf
	s_waitcnt lgkmcnt(0)
	s_and_saveexec_b64 s[18:19], s[2:3]
	s_cbranch_execz .LBB955_13
; %bb.12:
	v_add_f32_e32 v10, v10, v11
	v_lshrrev_b32_e32 v11, 4, v0
	v_and_b32_e32 v11, 60, v11
	ds_write_b32 v11, v10 offset:32
.LBB955_13:
	s_or_b64 exec, exec, s[18:19]
	v_and_b32_e32 v10, 7, v0
	v_lshlrev_b32_e32 v34, 2, v10
	s_waitcnt lgkmcnt(0)
	s_barrier
	ds_read_b32 v10, v34 offset:32
	s_load_dwordx2 s[18:19], s[4:5], 0x18
	s_waitcnt lgkmcnt(0)
	v_mov_b32_dpp v11, v10 quad_perm:[1,0,3,2] row_mask:0xf bank_mask:0xf
	v_add_f32_e32 v10, v10, v11
	s_nop 1
	v_mov_b32_dpp v11, v10 quad_perm:[2,3,0,1] row_mask:0xf bank_mask:0xf
	v_add_f32_e32 v10, v10, v11
	s_nop 1
	v_mov_b32_dpp v11, v10 row_half_mirror row_mask:0xf bank_mask:0xf
	s_and_saveexec_b64 s[34:35], s[0:1]
	s_cbranch_execnz .LBB955_18
; %bb.14:
	s_or_b64 exec, exec, s[34:35]
	s_mov_b64 s[8:9], -1
	s_and_b64 vcc, exec, s[30:31]
	s_cbranch_vccnz .LBB955_19
.LBB955_15:
	s_andn2_b64 vcc, exec, s[8:9]
	s_cbranch_vccz .LBB955_22
.LBB955_16:
	s_cmp_lt_i32 s24, 1
	s_cbranch_scc0 .LBB955_31
.LBB955_17:
	s_endpgm
.LBB955_18:
	v_cvt_f32_u32_e32 v12, s7
	v_add_f32_e32 v10, v10, v11
	s_waitcnt vmcnt(2)
	v_mov_b32_e32 v14, s21
	v_mov_b32_e32 v15, s20
	v_div_scale_f32 v11, s[36:37], v12, v12, v10
	v_rcp_f32_e32 v13, v11
	v_cndmask_b32_e64 v14, v14, v15, s[8:9]
	s_mov_b32 s7, 0x800000
	v_fma_f32 v15, -v11, v13, 1.0
	v_fmac_f32_e32 v13, v15, v13
	v_div_scale_f32 v15, vcc, v10, v12, v10
	v_mul_f32_e32 v16, v15, v13
	v_fma_f32 v17, -v11, v16, v15
	v_fmac_f32_e32 v16, v17, v13
	v_fma_f32 v11, -v11, v16, v15
	v_div_fmas_f32 v11, v11, v13, v16
	v_div_fixup_f32 v10, v11, v12, v10
	v_add_f32_e32 v10, v14, v10
	v_mul_f32_e32 v11, 0x4b800000, v10
	v_cmp_gt_f32_e32 vcc, s7, v10
	v_cndmask_b32_e32 v10, v10, v11, vcc
	v_rsq_f32_e32 v10, v10
	v_mul_f32_e32 v11, 0x45800000, v10
	v_cndmask_b32_e32 v10, v10, v11, vcc
	v_mov_b32_e32 v11, v10
	;;#ASMSTART
	v_pk_mul_f32 v[12:13], v[28:29], v[10:11]
	;;#ASMEND
	;;#ASMSTART
	v_pk_mul_f32 v[14:15], v[32:33], v[10:11]
	;;#ASMEND
	;; [unrolled: 3-line block ×3, first 2 shown]
	s_waitcnt vmcnt(1)
	v_cvt_f32_f16_sdwa v27, v6 dst_sel:DWORD dst_unused:UNUSED_PAD src0_sel:WORD_1
	v_cvt_f32_f16_e32 v26, v6
	v_cvt_f32_f16_sdwa v33, v7 dst_sel:DWORD dst_unused:UNUSED_PAD src0_sel:WORD_1
	v_cvt_f32_f16_e32 v32, v7
	;;#ASMSTART
	v_pk_mul_f32 v[30:31], v[30:31], v[10:11]
	;;#ASMEND
	;;#ASMSTART
	v_pk_mul_f32 v[22:23], v[22:23], v[10:11]
	;;#ASMEND
	;;#ASMSTART
	v_pk_mul_f32 v[24:25], v[24:25], v[10:11]
	;;#ASMEND
	;;#ASMSTART
	v_pk_mul_f32 v[20:21], v[20:21], v[10:11]
	;;#ASMEND
	;;#ASMSTART
	v_pk_mul_f32 v[6:7], v[18:19], v[10:11]
	;;#ASMEND
	v_pk_add_f32 v[10:11], v[26:27], 1.0 op_sel_hi:[1,0]
	;;#ASMSTART
	v_pk_mul_f32 v[28:29], v[12:13], v[10:11]
	;;#ASMEND
	v_cvt_f32_f16_sdwa v13, v8 dst_sel:DWORD dst_unused:UNUSED_PAD src0_sel:WORD_1
	v_cvt_f32_f16_e32 v12, v8
	v_cvt_f32_f16_sdwa v19, v9 dst_sel:DWORD dst_unused:UNUSED_PAD src0_sel:WORD_1
	v_cvt_f32_f16_e32 v18, v9
	v_pk_add_f32 v[10:11], v[32:33], 1.0 op_sel_hi:[1,0]
	;;#ASMSTART
	v_pk_mul_f32 v[32:33], v[14:15], v[10:11]
	;;#ASMEND
	s_waitcnt vmcnt(0)
	v_cvt_f32_f16_sdwa v11, v2 dst_sel:DWORD dst_unused:UNUSED_PAD src0_sel:WORD_1
	v_cvt_f32_f16_e32 v10, v2
	v_pk_add_f32 v[8:9], v[12:13], 1.0 op_sel_hi:[1,0]
	;;#ASMSTART
	v_pk_mul_f32 v[26:27], v[16:17], v[8:9]
	;;#ASMEND
	v_pk_add_f32 v[8:9], v[18:19], 1.0 op_sel_hi:[1,0]
	v_cvt_f32_f16_sdwa v13, v3 dst_sel:DWORD dst_unused:UNUSED_PAD src0_sel:WORD_1
	v_cvt_f32_f16_e32 v12, v3
	;;#ASMSTART
	v_pk_mul_f32 v[30:31], v[30:31], v[8:9]
	;;#ASMEND
	v_cvt_f32_f16_sdwa v9, v4 dst_sel:DWORD dst_unused:UNUSED_PAD src0_sel:WORD_1
	v_cvt_f32_f16_e32 v8, v4
	v_pk_add_f32 v[2:3], v[10:11], 1.0 op_sel_hi:[1,0]
	v_cvt_f32_f16_sdwa v11, v5 dst_sel:DWORD dst_unused:UNUSED_PAD src0_sel:WORD_1
	v_cvt_f32_f16_e32 v10, v5
	;;#ASMSTART
	v_pk_mul_f32 v[22:23], v[22:23], v[2:3]
	;;#ASMEND
	v_pk_add_f32 v[2:3], v[12:13], 1.0 op_sel_hi:[1,0]
	;;#ASMSTART
	v_pk_mul_f32 v[24:25], v[24:25], v[2:3]
	;;#ASMEND
	v_pk_add_f32 v[2:3], v[8:9], 1.0 op_sel_hi:[1,0]
	;; [unrolled: 4-line block ×3, first 2 shown]
	;;#ASMSTART
	v_pk_mul_f32 v[18:19], v[6:7], v[2:3]
	;;#ASMEND
	s_or_b64 exec, exec, s[34:35]
	s_mov_b64 s[8:9], -1
	s_and_b64 vcc, exec, s[30:31]
	s_cbranch_vccz .LBB955_15
.LBB955_19:
	s_and_saveexec_b64 s[8:9], s[0:1]
	s_cbranch_execz .LBB955_21
; %bb.20:
	s_mul_hi_i32 s31, s16, s6
	s_mul_i32 s30, s16, s6
	s_waitcnt vmcnt(0)
	v_cvt_f16_f32_e32 v2, v28
	v_cvt_f16_f32_e32 v3, v32
	;; [unrolled: 1-line block ×8, first 2 shown]
	s_lshl_b64 s[30:31], s[30:31], 1
	s_add_u32 s36, s18, s30
	s_addc_u32 s7, s19, s31
	s_and_b32 s37, s7, 0xffff
	s_mov_b32 s39, 0x20000
	v_pack_b32_f16 v5, v5, v6
	v_pack_b32_f16 v4, v4, v7
	;; [unrolled: 1-line block ×4, first 2 shown]
	v_lshlrev_b32_e32 v6, 5, v0
	buffer_store_dwordx4 v[2:5], v6, s[36:39], 0 offen
	v_cvt_f16_f32_e32 v7, v19
	v_cvt_f16_f32_e32 v2, v22
	;; [unrolled: 1-line block ×8, first 2 shown]
	v_pack_b32_f16 v5, v5, v7
	v_pack_b32_f16 v4, v4, v8
	;; [unrolled: 1-line block ×4, first 2 shown]
	;;#ASMSTART
	s_nop 0
	;;#ASMEND
	buffer_store_dwordx4 v[2:5], v6, s[36:39], 16 offen
	;;#ASMSTART
	s_nop 0
	;;#ASMEND
.LBB955_21:
	s_or_b64 exec, exec, s[8:9]
	s_cbranch_execnz .LBB955_16
.LBB955_22:
	s_waitcnt vmcnt(0)
	v_mov_b32_e32 v2, 0
	s_and_saveexec_b64 s[8:9], s[0:1]
	s_cbranch_execz .LBB955_24
; %bb.23:
	s_load_dwordx2 s[30:31], s[4:5], 0x10
	s_mul_hi_i32 s35, s15, s6
	s_mul_i32 s34, s15, s6
	v_cvt_f16_f32_e32 v2, v28
	v_cvt_f16_f32_e32 v3, v32
	v_cvt_f16_f32_e32 v4, v26
	v_cvt_f16_f32_e32 v5, v30
	v_cvt_f16_f32_e32 v6, v31
	v_cvt_f16_f32_e32 v7, v27
	v_cvt_f16_f32_e32 v8, v33
	v_cvt_f16_f32_e32 v9, v29
	s_lshl_b64 s[34:35], s[34:35], 1
	s_waitcnt lgkmcnt(0)
	s_add_u32 s36, s30, s34
	s_addc_u32 s7, s31, s35
	s_mov_b32 s39, 0x20000
	s_and_b32 s37, s7, 0xffff
	v_pack_b32_f16 v5, v5, v6
	v_pack_b32_f16 v4, v4, v7
	;; [unrolled: 1-line block ×4, first 2 shown]
	v_lshlrev_b32_e32 v6, 5, v0
	buffer_store_dwordx4 v[2:5], v6, s[36:39], 0 offen
	v_cvt_f16_f32_e32 v7, v19
	v_cvt_f16_f32_e32 v2, v22
	;; [unrolled: 1-line block ×8, first 2 shown]
	v_pack_b32_f16 v5, v5, v7
	v_pack_b32_f16 v4, v4, v8
	;; [unrolled: 1-line block ×4, first 2 shown]
	;;#ASMSTART
	s_nop 0
	;;#ASMEND
	buffer_store_dwordx4 v[2:5], v6, s[36:39], 16 offen
	;;#ASMSTART
	s_nop 0
	;;#ASMEND
	s_nop 0
	v_mov_b32_e32 v2, 0x2edbe6ff
.LBB955_24:
	s_or_b64 exec, exec, s[8:9]
	s_and_saveexec_b64 s[8:9], s[0:1]
	s_cbranch_execz .LBB955_26
; %bb.25:
	v_and_b32_e32 v3, 0x7fffffff, v28
	v_and_b32_e32 v4, 0x7fffffff, v29
	;;#ASMSTART
	v_max3_f32 v2, v2, v3, v4

	;;#ASMEND
	v_and_b32_e32 v3, 0x7fffffff, v32
	v_and_b32_e32 v4, 0x7fffffff, v33
	;;#ASMSTART
	v_max3_f32 v2, v2, v3, v4

	;;#ASMEND
	;; [unrolled: 6-line block ×8, first 2 shown]
.LBB955_26:
	s_or_b64 exec, exec, s[8:9]
	;;#ASMSTART
	v_max_f32 v3, v2, v2 quad_perm:[1,0,3,2] row_mask:0xf bank_mask:0xf bound_ctrl:1
	;;#ASMEND
	;;#ASMSTART
	v_max_f32 v2, v3, v3 quad_perm:[2,3,0,1] row_mask:0xf bank_mask:0xf bound_ctrl:1
	;;#ASMEND
	v_and_b32_e32 v3, 3, v0
	v_cmp_eq_u32_e32 vcc, 0, v3
	v_cmp_gt_i32_e64 s[8:9], s23, v1
	s_and_b64 s[30:31], vcc, s[8:9]
	s_and_saveexec_b64 s[8:9], s[30:31]
	s_cbranch_execz .LBB955_28
; %bb.27:
	s_load_dwordx2 s[30:31], s[4:5], 0x8
	v_mul_f32_e32 v2, 0x3e2aaaab, v2
	v_lshrrev_b32_e32 v3, 23, v2
	v_and_b32_e32 v4, 0x7f800000, v2
	v_and_b32_e32 v2, 0x7fffff, v2
	v_cmp_ne_u32_e32 vcc, 0, v2
	s_mul_hi_i32 s15, s13, s6
	s_mul_i32 s13, s13, s6
	s_mov_b32 s7, 0x7f800000
	v_addc_co_u32_e32 v2, vcc, 0, v3, vcc
	s_waitcnt lgkmcnt(0)
	s_add_u32 s30, s30, s13
	v_cmp_ne_u32_e32 vcc, s7, v4
	s_addc_u32 s31, s31, s15
	v_lshrrev_b32_e32 v5, 2, v0
	v_cndmask_b32_e32 v4, -1, v2, vcc
	v_pk_mov_b32 v[2:3], s[30:31], s[30:31] op_sel:[0,1]
	v_mad_i64_i32 v[2:3], s[14:15], s14, v5, v[2:3]
	global_store_byte v[2:3], v4, off
.LBB955_28:
	s_or_b64 exec, exec, s[8:9]
	s_and_saveexec_b64 s[8:9], s[0:1]
	s_cbranch_execz .LBB955_30
; %bb.29:
	s_load_dwordx2 s[0:1], s[4:5], 0x0
	s_mul_hi_i32 s7, s12, s6
	s_mul_i32 s12, s12, s6
	v_mov_b32_e32 v2, 0
	v_lshlrev_b32_e32 v4, 3, v0
	s_waitcnt lgkmcnt(0)
	s_add_u32 s12, s0, s12
	s_addc_u32 s0, s1, s7
	s_lshr_b32 s1, s23, 31
	s_add_i32 s1, s23, s1
	s_ashr_i32 s1, s1, 1
	s_add_i32 s1, s1, 3
	s_ashr_i32 s7, s1, 31
	s_lshr_b32 s7, s7, 30
	s_add_i32 s1, s1, s7
	s_and_b32 s14, s1, -4
	s_and_b32 s13, s0, 0xffff
	s_mov_b32 s15, 0x20000
	v_mov_b32_e32 v3, v2
	buffer_store_dwordx2 v[2:3], v4, s[12:15], 0 offen
	;;#ASMSTART
	s_nop 0
	;;#ASMEND
.LBB955_30:
	s_or_b64 exec, exec, s[8:9]
	s_cmp_lt_i32 s24, 1
	s_cbranch_scc1 .LBB955_17
.LBB955_31:
	s_load_dword s0, s[4:5], 0x94
	s_waitcnt lgkmcnt(0)
	s_cmp_lg_u32 s0, 1
	s_cbranch_scc1 .LBB955_17
; %bb.32:
	s_lshl_b32 s0, s24, 1
	s_add_i32 s0, s0, 2
	v_cmp_gt_u32_e32 vcc, s24, v1
	s_and_b32 s30, s0, -4
	v_mov_b32_e32 v18, 0
	v_lshlrev_b32_e32 v1, 5, v0
	s_waitcnt vmcnt(2)
	v_mov_b32_e32 v14, 0
	v_mov_b32_e32 v15, 0
	;; [unrolled: 1-line block ×8, first 2 shown]
	s_waitcnt vmcnt(1)
	v_mov_b32_e32 v6, 0
	v_mov_b32_e32 v7, 0
	;; [unrolled: 1-line block ×4, first 2 shown]
	s_waitcnt vmcnt(0)
	v_mov_b32_e32 v2, 0
	v_mov_b32_e32 v3, 0
	;; [unrolled: 1-line block ×4, first 2 shown]
	s_barrier
	s_and_saveexec_b64 s[0:1], vcc
	s_cbranch_execz .LBB955_34
; %bb.33:
	s_mul_hi_i32 s5, s26, s6
	s_mul_i32 s4, s26, s6
	s_and_b32 s29, s29, 0xffff
	s_lshl_b64 s[4:5], s[4:5], 1
	s_add_u32 s8, s10, s4
	s_mov_b32 s31, 0x20000
	s_addc_u32 s4, s11, s5
	s_and_b32 s9, s4, 0xffff
	s_mov_b32 s10, s30
	s_mov_b32 s11, s31
	buffer_load_dwordx4 v[14:17], v1, s[8:11], 0 offen
	buffer_load_dwordx4 v[10:13], v1, s[8:11], 16 offen
	;; [unrolled: 1-line block ×4, first 2 shown]
.LBB955_34:
	s_or_b64 exec, exec, s[0:1]
	v_mov_b32_e32 v19, 0
	v_mov_b32_e32 v32, 0
	;; [unrolled: 1-line block ×15, first 2 shown]
	s_and_saveexec_b64 s[0:1], vcc
	s_cbranch_execz .LBB955_36
; %bb.35:
	s_waitcnt vmcnt(3)
	v_cvt_f32_f16_sdwa v19, v14 dst_sel:DWORD dst_unused:UNUSED_PAD src0_sel:WORD_1
	v_cvt_f32_f16_e32 v18, v14
	v_cvt_f32_f16_sdwa v33, v15 dst_sel:DWORD dst_unused:UNUSED_PAD src0_sel:WORD_1
	v_cvt_f32_f16_e32 v32, v15
	;; [unrolled: 2-line block ×4, first 2 shown]
	s_waitcnt vmcnt(2)
	v_cvt_f32_f16_sdwa v27, v10 dst_sel:DWORD dst_unused:UNUSED_PAD src0_sel:WORD_1
	v_cvt_f32_f16_e32 v26, v10
	v_cvt_f32_f16_sdwa v25, v11 dst_sel:DWORD dst_unused:UNUSED_PAD src0_sel:WORD_1
	v_cvt_f32_f16_e32 v24, v11
	;; [unrolled: 2-line block ×4, first 2 shown]
.LBB955_36:
	s_or_b64 exec, exec, s[0:1]
	s_waitcnt vmcnt(2)
	v_mul_f32_e32 v10, v19, v19
	v_fmac_f32_e32 v10, v18, v18
	v_fmac_f32_e32 v10, v32, v32
	;; [unrolled: 1-line block ×15, first 2 shown]
	s_nop 1
	v_mov_b32_dpp v11, v10 quad_perm:[1,0,3,2] row_mask:0xf bank_mask:0xf
	v_add_f32_e32 v10, v10, v11
	s_nop 1
	v_mov_b32_dpp v11, v10 quad_perm:[2,3,0,1] row_mask:0xf bank_mask:0xf
	v_add_f32_e32 v10, v10, v11
	s_nop 1
	v_mov_b32_dpp v11, v10 row_half_mirror row_mask:0xf bank_mask:0xf
	v_add_f32_e32 v10, v10, v11
	s_nop 1
	v_mov_b32_dpp v11, v10 row_mirror row_mask:0xf bank_mask:0xf
	v_add_f32_e32 v10, v10, v11
	s_nop 1
	v_mov_b32_dpp v11, v10 row_bcast:15 row_mask:0xf bank_mask:0xf
	v_add_f32_e32 v10, v10, v11
	s_nop 1
	v_mov_b32_dpp v11, v10 row_bcast:31 row_mask:0xf bank_mask:0xf
	s_and_saveexec_b64 s[0:1], s[2:3]
	s_cbranch_execz .LBB955_38
; %bb.37:
	v_lshrrev_b32_e32 v0, 4, v0
	v_add_f32_e32 v10, v10, v11
	v_and_b32_e32 v0, 60, v0
	ds_write_b32 v0, v10
.LBB955_38:
	s_or_b64 exec, exec, s[0:1]
	s_waitcnt lgkmcnt(0)
	s_barrier
	ds_read_b32 v0, v34
	s_waitcnt lgkmcnt(0)
	s_nop 0
	v_mov_b32_dpp v10, v0 quad_perm:[1,0,3,2] row_mask:0xf bank_mask:0xf
	v_add_f32_e32 v0, v0, v10
	s_nop 1
	v_mov_b32_dpp v10, v0 quad_perm:[2,3,0,1] row_mask:0xf bank_mask:0xf
	v_add_f32_e32 v0, v0, v10
	s_nop 1
	v_mov_b32_dpp v10, v0 row_half_mirror row_mask:0xf bank_mask:0xf
	s_and_saveexec_b64 s[0:1], vcc
	s_cbranch_execz .LBB955_17
; %bb.39:
	v_cvt_f32_u32_e32 v11, s24
	v_add_f32_e32 v0, v0, v10
	s_mov_b32 s31, 0x20000
	v_div_scale_f32 v10, s[0:1], v11, v11, v0
	v_rcp_f32_e32 v12, v10
	v_div_scale_f32 v13, vcc, v0, v11, v0
	s_mov_b32 s0, 0x800000
	v_fma_f32 v14, -v10, v12, 1.0
	v_fmac_f32_e32 v12, v14, v12
	v_mul_f32_e32 v14, v13, v12
	v_fma_f32 v15, -v10, v14, v13
	v_fmac_f32_e32 v14, v15, v12
	v_fma_f32 v10, -v10, v14, v13
	v_div_fmas_f32 v10, v10, v12, v14
	v_div_fixup_f32 v0, v10, v11, v0
	v_add_f32_e32 v0, s21, v0
	v_mul_f32_e32 v10, 0x4b800000, v0
	v_cmp_gt_f32_e32 vcc, s0, v0
	v_cndmask_b32_e32 v0, v0, v10, vcc
	v_rsq_f32_e32 v0, v0
	s_mul_hi_i32 s1, s16, s6
	s_mul_i32 s0, s16, s6
	s_lshl_b64 s[0:1], s[0:1], 1
	v_mul_f32_e32 v10, 0x45800000, v0
	v_cndmask_b32_e32 v10, v0, v10, vcc
	v_mov_b32_e32 v11, v10
	;;#ASMSTART
	v_pk_mul_f32 v[12:13], v[18:19], v[10:11]
	;;#ASMEND
	;;#ASMSTART
	v_pk_mul_f32 v[14:15], v[32:33], v[10:11]
	;;#ASMEND
	;;#ASMSTART
	v_pk_mul_f32 v[16:17], v[30:31], v[10:11]
	;;#ASMEND
	;;#ASMSTART
	v_pk_mul_f32 v[18:19], v[28:29], v[10:11]
	;;#ASMEND
	s_waitcnt vmcnt(1)
	v_cvt_f32_f16_sdwa v29, v6 dst_sel:DWORD dst_unused:UNUSED_PAD src0_sel:WORD_1
	v_cvt_f32_f16_e32 v28, v6
	v_cvt_f32_f16_sdwa v31, v7 dst_sel:DWORD dst_unused:UNUSED_PAD src0_sel:WORD_1
	v_cvt_f32_f16_e32 v30, v7
	;;#ASMSTART
	v_pk_mul_f32 v[26:27], v[26:27], v[10:11]
	;;#ASMEND
	;;#ASMSTART
	v_pk_mul_f32 v[24:25], v[24:25], v[10:11]
	;;#ASMEND
	;; [unrolled: 3-line block ×4, first 2 shown]
	v_cvt_f32_f16_sdwa v21, v8 dst_sel:DWORD dst_unused:UNUSED_PAD src0_sel:WORD_1
	v_cvt_f32_f16_e32 v20, v8
	v_pk_add_f32 v[10:11], v[28:29], 1.0 op_sel_hi:[1,0]
	;;#ASMSTART
	v_pk_mul_f32 v[10:11], v[12:13], v[10:11]
	;;#ASMEND
	v_pk_add_f32 v[12:13], v[30:31], 1.0 op_sel_hi:[1,0]
	v_cvt_f32_f16_sdwa v29, v9 dst_sel:DWORD dst_unused:UNUSED_PAD src0_sel:WORD_1
	v_cvt_f32_f16_e32 v28, v9
	;;#ASMSTART
	v_pk_mul_f32 v[8:9], v[14:15], v[12:13]
	;;#ASMEND
	v_pk_add_f32 v[12:13], v[20:21], 1.0 op_sel_hi:[1,0]
	;;#ASMSTART
	v_pk_mul_f32 v[12:13], v[16:17], v[12:13]
	;;#ASMEND
	s_waitcnt vmcnt(0)
	v_cvt_f32_f16_sdwa v17, v2 dst_sel:DWORD dst_unused:UNUSED_PAD src0_sel:WORD_1
	v_cvt_f32_f16_e32 v16, v2
	v_cvt_f32_f16_sdwa v21, v3 dst_sel:DWORD dst_unused:UNUSED_PAD src0_sel:WORD_1
	v_cvt_f32_f16_e32 v20, v3
	v_pk_add_f32 v[14:15], v[28:29], 1.0 op_sel_hi:[1,0]
	;;#ASMSTART
	v_pk_mul_f32 v[2:3], v[18:19], v[14:15]
	;;#ASMEND
	v_cvt_f32_f16_sdwa v19, v4 dst_sel:DWORD dst_unused:UNUSED_PAD src0_sel:WORD_1
	v_cvt_f32_f16_e32 v18, v4
	v_pk_add_f32 v[14:15], v[16:17], 1.0 op_sel_hi:[1,0]
	v_pk_add_f32 v[16:17], v[20:21], 1.0 op_sel_hi:[1,0]
	v_cvt_f32_f16_sdwa v21, v5 dst_sel:DWORD dst_unused:UNUSED_PAD src0_sel:WORD_1
	v_cvt_f32_f16_e32 v20, v5
	v_pk_add_f32 v[4:5], v[18:19], 1.0 op_sel_hi:[1,0]
	;;#ASMSTART
	v_pk_mul_f32 v[14:15], v[26:27], v[14:15]
	;;#ASMEND
	;;#ASMSTART
	v_pk_mul_f32 v[16:17], v[24:25], v[16:17]
	;;#ASMEND
	;;#ASMSTART
	v_pk_mul_f32 v[18:19], v[22:23], v[4:5]
	;;#ASMEND
	v_pk_add_f32 v[4:5], v[20:21], 1.0 op_sel_hi:[1,0]
	;;#ASMSTART
	v_pk_mul_f32 v[6:7], v[6:7], v[4:5]
	;;#ASMEND
	v_cvt_f16_f32_e32 v0, v10
	v_cvt_f16_f32_e32 v4, v11
	v_cvt_f16_f32_e32 v5, v8
	v_cvt_f16_f32_e32 v8, v9
	v_cvt_f16_f32_e32 v9, v12
	v_cvt_f16_f32_e32 v10, v13
	v_cvt_f16_f32_e32 v11, v2
	v_cvt_f16_f32_e32 v12, v3
	s_add_u32 s28, s18, s0
	s_addc_u32 s0, s19, s1
	s_and_b32 s29, s0, 0xffff
	v_pack_b32_f16 v2, v0, v4
	v_pack_b32_f16 v3, v5, v8
	;; [unrolled: 1-line block ×4, first 2 shown]
	buffer_store_dwordx4 v[2:5], v1, s[28:31], 0 offen
	v_cvt_f16_f32_e32 v0, v14
	v_cvt_f16_f32_e32 v2, v15
	;; [unrolled: 1-line block ×8, first 2 shown]
	v_pack_b32_f16 v2, v0, v2
	v_pack_b32_f16 v3, v3, v4
	;; [unrolled: 1-line block ×4, first 2 shown]
	;;#ASMSTART
	s_nop 0
	;;#ASMEND
	buffer_store_dwordx4 v[2:5], v1, s[28:31], 16 offen
	;;#ASMSTART
	s_nop 0
	;;#ASMEND
	s_endpgm
	.section	.rodata,"a",@progbits
	.p2align	6, 0x0
	.amdhsa_kernel _ZN5aiter35fused_qk_rmsnorm_group_quant_kernelIDF16_N4opus5fp4_tELi512ELi16ELi4ELb1ELb1ELb1ELb0ELb0ELb0EEEvPT0_PvPT_S7_S7_PKS6_S9_S9_S9_S9_ffiiiiiiiiiiiii
		.amdhsa_group_segment_fixed_size 64
		.amdhsa_private_segment_fixed_size 0
		.amdhsa_kernarg_size 400
		.amdhsa_user_sgpr_count 6
		.amdhsa_user_sgpr_private_segment_buffer 1
		.amdhsa_user_sgpr_dispatch_ptr 0
		.amdhsa_user_sgpr_queue_ptr 0
		.amdhsa_user_sgpr_kernarg_segment_ptr 1
		.amdhsa_user_sgpr_dispatch_id 0
		.amdhsa_user_sgpr_flat_scratch_init 0
		.amdhsa_user_sgpr_kernarg_preload_length 0
		.amdhsa_user_sgpr_kernarg_preload_offset 0
		.amdhsa_user_sgpr_private_segment_size 0
		.amdhsa_uses_dynamic_stack 0
		.amdhsa_system_sgpr_private_segment_wavefront_offset 0
		.amdhsa_system_sgpr_workgroup_id_x 1
		.amdhsa_system_sgpr_workgroup_id_y 1
		.amdhsa_system_sgpr_workgroup_id_z 0
		.amdhsa_system_sgpr_workgroup_info 0
		.amdhsa_system_vgpr_workitem_id 0
		.amdhsa_next_free_vgpr 49
		.amdhsa_next_free_sgpr 44
		.amdhsa_accum_offset 52
		.amdhsa_reserve_vcc 1
		.amdhsa_reserve_flat_scratch 0
		.amdhsa_float_round_mode_32 0
		.amdhsa_float_round_mode_16_64 0
		.amdhsa_float_denorm_mode_32 3
		.amdhsa_float_denorm_mode_16_64 3
		.amdhsa_dx10_clamp 1
		.amdhsa_ieee_mode 1
		.amdhsa_fp16_overflow 0
		.amdhsa_tg_split 0
		.amdhsa_exception_fp_ieee_invalid_op 0
		.amdhsa_exception_fp_denorm_src 0
		.amdhsa_exception_fp_ieee_div_zero 0
		.amdhsa_exception_fp_ieee_overflow 0
		.amdhsa_exception_fp_ieee_underflow 0
		.amdhsa_exception_fp_ieee_inexact 0
		.amdhsa_exception_int_div_zero 0
	.end_amdhsa_kernel
	.section	.text._ZN5aiter35fused_qk_rmsnorm_group_quant_kernelIDF16_N4opus5fp4_tELi512ELi16ELi4ELb1ELb1ELb1ELb0ELb0ELb0EEEvPT0_PvPT_S7_S7_PKS6_S9_S9_S9_S9_ffiiiiiiiiiiiii,"axG",@progbits,_ZN5aiter35fused_qk_rmsnorm_group_quant_kernelIDF16_N4opus5fp4_tELi512ELi16ELi4ELb1ELb1ELb1ELb0ELb0ELb0EEEvPT0_PvPT_S7_S7_PKS6_S9_S9_S9_S9_ffiiiiiiiiiiiii,comdat
.Lfunc_end955:
	.size	_ZN5aiter35fused_qk_rmsnorm_group_quant_kernelIDF16_N4opus5fp4_tELi512ELi16ELi4ELb1ELb1ELb1ELb0ELb0ELb0EEEvPT0_PvPT_S7_S7_PKS6_S9_S9_S9_S9_ffiiiiiiiiiiiii, .Lfunc_end955-_ZN5aiter35fused_qk_rmsnorm_group_quant_kernelIDF16_N4opus5fp4_tELi512ELi16ELi4ELb1ELb1ELb1ELb0ELb0ELb0EEEvPT0_PvPT_S7_S7_PKS6_S9_S9_S9_S9_ffiiiiiiiiiiiii
                                        ; -- End function
	.section	.AMDGPU.csdata,"",@progbits
; Kernel info:
; codeLenInByte = 4144
; NumSgprs: 48
; NumVgprs: 49
; NumAgprs: 0
; TotalNumVgprs: 49
; ScratchSize: 0
; MemoryBound: 0
; FloatMode: 240
; IeeeMode: 1
; LDSByteSize: 64 bytes/workgroup (compile time only)
; SGPRBlocks: 5
; VGPRBlocks: 6
; NumSGPRsForWavesPerEU: 48
; NumVGPRsForWavesPerEU: 49
; AccumOffset: 52
; Occupancy: 8
; WaveLimiterHint : 0
; COMPUTE_PGM_RSRC2:SCRATCH_EN: 0
; COMPUTE_PGM_RSRC2:USER_SGPR: 6
; COMPUTE_PGM_RSRC2:TRAP_HANDLER: 0
; COMPUTE_PGM_RSRC2:TGID_X_EN: 1
; COMPUTE_PGM_RSRC2:TGID_Y_EN: 1
; COMPUTE_PGM_RSRC2:TGID_Z_EN: 0
; COMPUTE_PGM_RSRC2:TIDIG_COMP_CNT: 0
; COMPUTE_PGM_RSRC3_GFX90A:ACCUM_OFFSET: 12
; COMPUTE_PGM_RSRC3_GFX90A:TG_SPLIT: 0
	.section	.text._ZN5aiter35fused_qk_rmsnorm_group_quant_kernelItN4opus5fp4_tELi512ELi16ELi4ELb1ELb1ELb1ELb0ELb0ELb0EEEvPT0_PvPT_S7_S7_PKS6_S9_S9_S9_S9_ffiiiiiiiiiiiii,"axG",@progbits,_ZN5aiter35fused_qk_rmsnorm_group_quant_kernelItN4opus5fp4_tELi512ELi16ELi4ELb1ELb1ELb1ELb0ELb0ELb0EEEvPT0_PvPT_S7_S7_PKS6_S9_S9_S9_S9_ffiiiiiiiiiiiii,comdat
	.protected	_ZN5aiter35fused_qk_rmsnorm_group_quant_kernelItN4opus5fp4_tELi512ELi16ELi4ELb1ELb1ELb1ELb0ELb0ELb0EEEvPT0_PvPT_S7_S7_PKS6_S9_S9_S9_S9_ffiiiiiiiiiiiii ; -- Begin function _ZN5aiter35fused_qk_rmsnorm_group_quant_kernelItN4opus5fp4_tELi512ELi16ELi4ELb1ELb1ELb1ELb0ELb0ELb0EEEvPT0_PvPT_S7_S7_PKS6_S9_S9_S9_S9_ffiiiiiiiiiiiii
	.globl	_ZN5aiter35fused_qk_rmsnorm_group_quant_kernelItN4opus5fp4_tELi512ELi16ELi4ELb1ELb1ELb1ELb0ELb0ELb0EEEvPT0_PvPT_S7_S7_PKS6_S9_S9_S9_S9_ffiiiiiiiiiiiii
	.p2align	8
	.type	_ZN5aiter35fused_qk_rmsnorm_group_quant_kernelItN4opus5fp4_tELi512ELi16ELi4ELb1ELb1ELb1ELb0ELb0ELb0EEEvPT0_PvPT_S7_S7_PKS6_S9_S9_S9_S9_ffiiiiiiiiiiiii,@function
_ZN5aiter35fused_qk_rmsnorm_group_quant_kernelItN4opus5fp4_tELi512ELi16ELi4ELb1ELb1ELb1ELb0ELb0ELb0EEEvPT0_PvPT_S7_S7_PKS6_S9_S9_S9_S9_ffiiiiiiiiiiiii: ; @_ZN5aiter35fused_qk_rmsnorm_group_quant_kernelItN4opus5fp4_tELi512ELi16ELi4ELb1ELb1ELb1ELb0ELb0ELb0EEEvPT0_PvPT_S7_S7_PKS6_S9_S9_S9_S9_ffiiiiiiiiiiiii
; %bb.0:
	s_load_dwordx8 s[20:27], s[4:5], 0x50
	s_waitcnt lgkmcnt(0)
	s_cmp_ge_i32 s6, s22
	s_cbranch_scc1 .LBB956_17
; %bb.1:
	s_load_dwordx2 s[28:29], s[4:5], 0x48
	s_load_dwordx2 s[10:11], s[4:5], 0x30
	s_load_dwordx8 s[12:19], s[4:5], 0x70
	s_cmp_lg_u32 s7, 0
	s_waitcnt lgkmcnt(0)
	s_cselect_b64 s[18:19], -1, 0
	s_cmp_eq_u32 s7, 0
	s_cselect_b64 s[8:9], -1, 0
	s_and_b64 s[0:1], s[8:9], exec
	s_cselect_b32 s7, s23, s24
	s_add_i32 s0, s7, 1
	s_lshr_b32 s1, s0, 31
	s_add_i32 s0, s0, s1
	s_lshl_b32 s0, s0, 1
	v_lshlrev_b32_e32 v1, 4, v0
	s_and_b32 s38, s0, -4
	v_cmp_gt_i32_e64 s[0:1], s7, v1
	v_mov_b32_e32 v62, 0
	v_mov_b32_e32 v63, 0
	;; [unrolled: 1-line block ×16, first 2 shown]
	s_and_saveexec_b64 s[2:3], s[0:1]
	s_cbranch_execz .LBB956_3
; %bb.2:
	s_load_dwordx2 s[30:31], s[4:5], 0x28
	s_load_dwordx2 s[34:35], s[4:5], 0x40
	s_and_b64 s[36:37], s[8:9], exec
	s_cselect_b32 s22, s25, s26
	s_mov_b32 s39, 0x20000
	s_waitcnt lgkmcnt(0)
	s_cselect_b32 s25, s31, s11
	s_cselect_b32 s33, s30, s10
	s_mul_hi_i32 s31, s22, s6
	s_mul_i32 s30, s22, s6
	s_lshl_b64 s[30:31], s[30:31], 1
	s_add_u32 s40, s33, s30
	s_addc_u32 s22, s25, s31
	s_and_b64 s[30:31], s[8:9], exec
	s_cselect_b32 s36, s34, s28
	s_cselect_b32 s25, s35, s29
	s_and_b32 s41, s22, 0xffff
	s_mov_b32 s42, s38
	s_mov_b32 s43, s39
	v_lshlrev_b32_e32 v2, 5, v0
	s_and_b32 s37, s25, 0xffff
	buffer_load_dwordx4 v[66:69], v2, s[40:43], 0 offen
	buffer_load_dwordx4 v[70:73], v2, s[40:43], 16 offen
	;; [unrolled: 1-line block ×4, first 2 shown]
.LBB956_3:
	s_or_b64 exec, exec, s[2:3]
	s_and_b64 vcc, exec, s[18:19]
	s_cbranch_vccz .LBB956_7
; %bb.4:
	v_mov_b32_e32 v75, 0
	v_mov_b32_e32 v74, 0
	v_mov_b32_e32 v21, 0
	v_mov_b32_e32 v20, 0
	v_mov_b32_e32 v25, 0
	v_mov_b32_e32 v24, 0
	v_mov_b32_e32 v51, 0
	v_mov_b32_e32 v50, 0
	v_mov_b32_e32 v31, 0
	v_mov_b32_e32 v30, 0
	v_mov_b32_e32 v41, 0
	v_mov_b32_e32 v40, 0
	v_mov_b32_e32 v7, 0
	v_mov_b32_e32 v6, 0
	v_mov_b32_e32 v3, 0
	v_mov_b32_e32 v2, 0
	s_and_saveexec_b64 s[2:3], s[0:1]
	s_cbranch_execz .LBB956_6
; %bb.5:
	s_waitcnt vmcnt(3)
	v_cvt_f32_u32_sdwa v2, v66 dst_sel:DWORD dst_unused:UNUSED_PAD src0_sel:WORD_0
	v_cvt_f32_u32_sdwa v3, v66 dst_sel:DWORD dst_unused:UNUSED_PAD src0_sel:WORD_1
	v_cvt_f32_u32_sdwa v6, v67 dst_sel:DWORD dst_unused:UNUSED_PAD src0_sel:WORD_0
	v_cvt_f32_u32_sdwa v7, v67 dst_sel:DWORD dst_unused:UNUSED_PAD src0_sel:WORD_1
	;; [unrolled: 2-line block ×4, first 2 shown]
	s_waitcnt vmcnt(2)
	v_cvt_f32_u32_sdwa v50, v70 dst_sel:DWORD dst_unused:UNUSED_PAD src0_sel:WORD_0
	v_cvt_f32_u32_sdwa v51, v70 dst_sel:DWORD dst_unused:UNUSED_PAD src0_sel:WORD_1
	v_cvt_f32_u32_sdwa v24, v71 dst_sel:DWORD dst_unused:UNUSED_PAD src0_sel:WORD_0
	v_cvt_f32_u32_sdwa v25, v71 dst_sel:DWORD dst_unused:UNUSED_PAD src0_sel:WORD_1
	;; [unrolled: 2-line block ×4, first 2 shown]
.LBB956_6:
	s_or_b64 exec, exec, s[2:3]
	s_cbranch_execz .LBB956_8
	s_branch .LBB956_11
.LBB956_7:
                                        ; implicit-def: $vgpr2_vgpr3_vgpr4_vgpr5_vgpr6_vgpr7_vgpr8_vgpr9_vgpr10_vgpr11_vgpr12_vgpr13_vgpr14_vgpr15_vgpr16_vgpr17
                                        ; implicit-def: $vgpr36_vgpr37_vgpr38_vgpr39_vgpr40_vgpr41_vgpr42_vgpr43_vgpr44_vgpr45_vgpr46_vgpr47_vgpr48_vgpr49_vgpr50_vgpr51
                                        ; implicit-def: $vgpr4_vgpr5_vgpr6_vgpr7_vgpr8_vgpr9_vgpr10_vgpr11_vgpr12_vgpr13_vgpr14_vgpr15_vgpr16_vgpr17_vgpr18_vgpr19
                                        ; implicit-def: $vgpr24_vgpr25_vgpr26_vgpr27_vgpr28_vgpr29_vgpr30_vgpr31_vgpr32_vgpr33_vgpr34_vgpr35_vgpr36_vgpr37_vgpr38_vgpr39
                                        ; implicit-def: $vgpr75
                                        ; implicit-def: $vgpr42_vgpr43_vgpr44_vgpr45_vgpr46_vgpr47_vgpr48_vgpr49_vgpr50_vgpr51_vgpr52_vgpr53_vgpr54_vgpr55_vgpr56_vgpr57
                                        ; implicit-def: $vgpr14_vgpr15_vgpr16_vgpr17_vgpr18_vgpr19_vgpr20_vgpr21_vgpr22_vgpr23_vgpr24_vgpr25_vgpr26_vgpr27_vgpr28_vgpr29
                                        ; implicit-def: $vgpr8_vgpr9_vgpr10_vgpr11_vgpr12_vgpr13_vgpr14_vgpr15_vgpr16_vgpr17_vgpr18_vgpr19_vgpr20_vgpr21_vgpr22_vgpr23
.LBB956_8:
	v_mov_b32_e32 v75, 0
	v_mov_b32_e32 v74, 0
	;; [unrolled: 1-line block ×16, first 2 shown]
	s_and_saveexec_b64 s[2:3], s[0:1]
	s_cbranch_execz .LBB956_10
; %bb.9:
	s_load_dwordx2 s[30:31], s[4:5], 0x38
	s_mul_hi_i32 s35, s27, s6
	s_mul_i32 s34, s27, s6
	s_lshl_b64 s[34:35], s[34:35], 1
	s_mov_b32 s39, 0x20000
	s_waitcnt lgkmcnt(0)
	s_add_u32 s36, s30, s34
	s_addc_u32 s22, s31, s35
	s_and_b32 s37, s22, 0xffff
	v_lshlrev_b32_e32 v38, 5, v0
	buffer_load_dwordx4 v[6:9], v38, s[36:39], 16 offen
	buffer_load_dwordx4 v[10:13], v38, s[36:39], 0 offen
	s_load_dwordx2 s[30:31], s[4:5], 0x20
	s_waitcnt vmcnt(5)
	v_cvt_f32_u32_sdwa v3, v66 dst_sel:DWORD dst_unused:UNUSED_PAD src0_sel:WORD_1
	v_cvt_f32_u32_sdwa v2, v66 dst_sel:DWORD dst_unused:UNUSED_PAD src0_sel:WORD_0
	v_cvt_f32_u32_sdwa v21, v67 dst_sel:DWORD dst_unused:UNUSED_PAD src0_sel:WORD_1
	v_cvt_f32_u32_sdwa v20, v67 dst_sel:DWORD dst_unused:UNUSED_PAD src0_sel:WORD_0
	;; [unrolled: 2-line block ×4, first 2 shown]
	s_waitcnt vmcnt(4)
	v_cvt_f32_u32_sdwa v5, v70 dst_sel:DWORD dst_unused:UNUSED_PAD src0_sel:WORD_1
	v_cvt_f32_u32_sdwa v4, v70 dst_sel:DWORD dst_unused:UNUSED_PAD src0_sel:WORD_0
	v_cvt_f32_u32_sdwa v15, v71 dst_sel:DWORD dst_unused:UNUSED_PAD src0_sel:WORD_1
	v_cvt_f32_u32_sdwa v14, v71 dst_sel:DWORD dst_unused:UNUSED_PAD src0_sel:WORD_0
	;; [unrolled: 2-line block ×3, first 2 shown]
	v_cvt_f32_u32_sdwa v18, v73 dst_sel:DWORD dst_unused:UNUSED_PAD src0_sel:WORD_0
	v_cvt_f32_u32_sdwa v19, v73 dst_sel:DWORD dst_unused:UNUSED_PAD src0_sel:WORD_1
	s_mul_hi_i32 s35, s17, s6
	s_mul_i32 s34, s17, s6
	s_lshl_b64 s[34:35], s[34:35], 1
	s_waitcnt lgkmcnt(0)
	s_add_u32 s36, s30, s34
	s_mov_b32 s17, 0x7060302
	s_addc_u32 s22, s31, s35
	s_and_b32 s37, s22, 0xffff
	s_waitcnt vmcnt(1)
	v_cvt_f32_u32_sdwa v27, v6 dst_sel:DWORD dst_unused:UNUSED_PAD src0_sel:WORD_1
	v_cvt_f32_u32_sdwa v26, v6 dst_sel:DWORD dst_unused:UNUSED_PAD src0_sel:WORD_0
	v_cvt_f32_u32_sdwa v29, v7 dst_sel:DWORD dst_unused:UNUSED_PAD src0_sel:WORD_1
	v_cvt_f32_u32_sdwa v28, v7 dst_sel:DWORD dst_unused:UNUSED_PAD src0_sel:WORD_0
	;; [unrolled: 2-line block ×3, first 2 shown]
	v_cvt_f32_u32_sdwa v34, v9 dst_sel:DWORD dst_unused:UNUSED_PAD src0_sel:WORD_0
	v_cvt_f32_u32_sdwa v35, v9 dst_sel:DWORD dst_unused:UNUSED_PAD src0_sel:WORD_1
	s_waitcnt vmcnt(0)
	v_cvt_f32_u32_sdwa v37, v10 dst_sel:DWORD dst_unused:UNUSED_PAD src0_sel:WORD_1
	v_cvt_f32_u32_sdwa v36, v10 dst_sel:DWORD dst_unused:UNUSED_PAD src0_sel:WORD_0
	v_cvt_f32_u32_sdwa v7, v12 dst_sel:DWORD dst_unused:UNUSED_PAD src0_sel:WORD_1
	v_cvt_f32_u32_sdwa v6, v12 dst_sel:DWORD dst_unused:UNUSED_PAD src0_sel:WORD_0
	;; [unrolled: 2-line block ×4, first 2 shown]
	v_pk_add_f32 v[40:41], v[22:23], v[6:7]
	v_pk_add_f32 v[30:31], v[24:25], v[8:9]
	;; [unrolled: 1-line block ×4, first 2 shown]
	v_perm_b32 v11, v31, v30, s17
	v_perm_b32 v10, v41, v40, s17
	;; [unrolled: 1-line block ×4, first 2 shown]
	v_pk_add_f32 v[74:75], v[18:19], v[34:35]
	v_pk_add_f32 v[20:21], v[16:17], v[32:33]
	v_pk_add_f32 v[24:25], v[14:15], v[28:29]
	v_pk_add_f32 v[50:51], v[4:5], v[26:27]
	buffer_store_dwordx4 v[8:11], v38, s[36:39], 0 offen
	;;#ASMSTART
	s_nop 0
	;;#ASMEND
	s_nop 0
	v_perm_b32 v11, v75, v74, s17
	v_perm_b32 v10, v21, v20, s17
	;; [unrolled: 1-line block ×4, first 2 shown]
	buffer_store_dwordx4 v[8:11], v38, s[36:39], 16 offen
	;;#ASMSTART
	s_nop 0
	;;#ASMEND
.LBB956_10:
	s_or_b64 exec, exec, s[2:3]
.LBB956_11:
	v_mul_f32_e32 v4, v3, v3
	v_fmac_f32_e32 v4, v2, v2
	v_fmac_f32_e32 v4, v6, v6
	;; [unrolled: 1-line block ×15, first 2 shown]
	s_nop 1
	v_mov_b32_dpp v5, v4 quad_perm:[1,0,3,2] row_mask:0xf bank_mask:0xf
	v_add_f32_e32 v4, v4, v5
	s_nop 1
	v_mov_b32_dpp v5, v4 quad_perm:[2,3,0,1] row_mask:0xf bank_mask:0xf
	v_add_f32_e32 v4, v4, v5
	s_nop 1
	v_mov_b32_dpp v5, v4 row_half_mirror row_mask:0xf bank_mask:0xf
	v_add_f32_e32 v4, v4, v5
	s_nop 1
	v_mov_b32_dpp v5, v4 row_mirror row_mask:0xf bank_mask:0xf
	v_add_f32_e32 v4, v4, v5
	s_nop 1
	v_mov_b32_dpp v5, v4 row_bcast:15 row_mask:0xf bank_mask:0xf
	v_add_f32_e32 v4, v4, v5
	v_and_b32_e32 v5, 63, v0
	v_cmp_eq_u32_e64 s[2:3], 63, v5
	s_nop 0
	v_mov_b32_dpp v5, v4 row_bcast:31 row_mask:0xf bank_mask:0xf
	s_and_saveexec_b64 s[30:31], s[2:3]
	s_cbranch_execz .LBB956_13
; %bb.12:
	v_add_f32_e32 v4, v4, v5
	v_lshrrev_b32_e32 v5, 4, v0
	v_and_b32_e32 v5, 60, v5
	ds_write_b32 v5, v4 offset:32
.LBB956_13:
	s_or_b64 exec, exec, s[30:31]
	v_and_b32_e32 v4, 7, v0
	v_lshlrev_b32_e32 v34, 2, v4
	s_waitcnt lgkmcnt(0)
	s_barrier
	ds_read_b32 v4, v34 offset:32
	s_load_dwordx2 s[34:35], s[4:5], 0x18
	s_waitcnt lgkmcnt(0)
	v_mov_b32_dpp v5, v4 quad_perm:[1,0,3,2] row_mask:0xf bank_mask:0xf
	v_add_f32_e32 v4, v4, v5
	s_nop 1
	v_mov_b32_dpp v5, v4 quad_perm:[2,3,0,1] row_mask:0xf bank_mask:0xf
	v_add_f32_e32 v4, v4, v5
	s_nop 1
	v_mov_b32_dpp v5, v4 row_half_mirror row_mask:0xf bank_mask:0xf
	s_and_saveexec_b64 s[30:31], s[0:1]
	s_cbranch_execnz .LBB956_18
; %bb.14:
	s_or_b64 exec, exec, s[30:31]
	s_mov_b64 s[8:9], -1
	s_and_b64 vcc, exec, s[18:19]
	s_cbranch_vccnz .LBB956_19
.LBB956_15:
	s_andn2_b64 vcc, exec, s[8:9]
	s_cbranch_vccz .LBB956_22
.LBB956_16:
	s_cmp_lt_i32 s24, 1
	s_cbranch_scc0 .LBB956_31
.LBB956_17:
	s_endpgm
.LBB956_18:
	v_add_f32_e32 v4, v4, v5
	v_cvt_f32_u32_e32 v5, s7
	s_mov_b32 s7, 0x800000
	s_waitcnt vmcnt(1)
	v_cvt_f32_u32_sdwa v15, v62 dst_sel:DWORD dst_unused:UNUSED_PAD src0_sel:WORD_1
	v_cvt_f32_u32_sdwa v14, v62 dst_sel:DWORD dst_unused:UNUSED_PAD src0_sel:WORD_0
	v_div_scale_f32 v8, s[36:37], v5, v5, v4
	v_rcp_f32_e32 v9, v8
	v_pk_add_f32 v[14:15], v[14:15], 1.0 op_sel_hi:[1,0]
	v_cvt_f32_u32_sdwa v23, v65 dst_sel:DWORD dst_unused:UNUSED_PAD src0_sel:WORD_1
	v_cvt_f32_u32_sdwa v22, v65 dst_sel:DWORD dst_unused:UNUSED_PAD src0_sel:WORD_0
	v_fma_f32 v10, -v8, v9, 1.0
	v_fmac_f32_e32 v9, v10, v9
	v_div_scale_f32 v10, vcc, v4, v5, v4
	v_mul_f32_e32 v11, v10, v9
	v_fma_f32 v12, -v8, v11, v10
	v_fmac_f32_e32 v11, v12, v9
	v_fma_f32 v8, -v8, v11, v10
	v_div_fmas_f32 v8, v8, v9, v11
	v_div_fixup_f32 v4, v8, v5, v4
	v_mov_b32_e32 v5, s21
	v_mov_b32_e32 v8, s20
	v_cndmask_b32_e64 v5, v5, v8, s[8:9]
	v_add_f32_e32 v4, v5, v4
	v_mul_f32_e32 v5, 0x4b800000, v4
	v_cmp_gt_f32_e32 vcc, s7, v4
	v_cndmask_b32_e32 v4, v4, v5, vcc
	v_rsq_f32_e32 v4, v4
	s_waitcnt vmcnt(0)
	v_cvt_f32_u32_sdwa v27, v60 dst_sel:DWORD dst_unused:UNUSED_PAD src0_sel:WORD_1
	v_cvt_f32_u32_sdwa v26, v60 dst_sel:DWORD dst_unused:UNUSED_PAD src0_sel:WORD_0
	v_cvt_f32_u32_sdwa v29, v61 dst_sel:DWORD dst_unused:UNUSED_PAD src0_sel:WORD_1
	v_mul_f32_e32 v5, 0x45800000, v4
	v_cndmask_b32_e32 v4, v4, v5, vcc
	v_mov_b32_e32 v5, v4
	;;#ASMSTART
	v_pk_mul_f32 v[2:3], v[2:3], v[4:5]
	;;#ASMEND
	;;#ASMSTART
	v_pk_mul_f32 v[6:7], v[6:7], v[4:5]
	;;#ASMEND
	;; [unrolled: 3-line block ×9, first 2 shown]
	v_cvt_f32_u32_sdwa v15, v63 dst_sel:DWORD dst_unused:UNUSED_PAD src0_sel:WORD_1
	v_cvt_f32_u32_sdwa v14, v63 dst_sel:DWORD dst_unused:UNUSED_PAD src0_sel:WORD_0
	v_cvt_f32_u32_sdwa v21, v64 dst_sel:DWORD dst_unused:UNUSED_PAD src0_sel:WORD_1
	v_cvt_f32_u32_sdwa v20, v64 dst_sel:DWORD dst_unused:UNUSED_PAD src0_sel:WORD_0
	v_cvt_f32_u32_sdwa v25, v59 dst_sel:DWORD dst_unused:UNUSED_PAD src0_sel:WORD_1
	v_pk_add_f32 v[14:15], v[14:15], 1.0 op_sel_hi:[1,0]
	v_cvt_f32_u32_sdwa v24, v59 dst_sel:DWORD dst_unused:UNUSED_PAD src0_sel:WORD_0
	;;#ASMSTART
	v_pk_mul_f32 v[6:7], v[6:7], v[14:15]
	;;#ASMEND
	v_pk_add_f32 v[14:15], v[20:21], 1.0 op_sel_hi:[1,0]
	v_pk_add_f32 v[20:21], v[22:23], 1.0 op_sel_hi:[1,0]
	v_cvt_f32_u32_sdwa v23, v58 dst_sel:DWORD dst_unused:UNUSED_PAD src0_sel:WORD_1
	v_cvt_f32_u32_sdwa v22, v58 dst_sel:DWORD dst_unused:UNUSED_PAD src0_sel:WORD_0
	v_cvt_f32_u32_sdwa v28, v61 dst_sel:DWORD dst_unused:UNUSED_PAD src0_sel:WORD_0
	v_pk_add_f32 v[24:25], v[24:25], 1.0 op_sel_hi:[1,0]
	v_pk_add_f32 v[26:27], v[26:27], 1.0 op_sel_hi:[1,0]
	;; [unrolled: 1-line block ×4, first 2 shown]
	;;#ASMSTART
	v_pk_mul_f32 v[40:41], v[8:9], v[14:15]
	;;#ASMEND
	;;#ASMSTART
	v_pk_mul_f32 v[30:31], v[10:11], v[20:21]
	;;#ASMEND
	;; [unrolled: 3-line block ×6, first 2 shown]
	s_or_b64 exec, exec, s[30:31]
	s_mov_b64 s[8:9], -1
	s_and_b64 vcc, exec, s[18:19]
	s_cbranch_vccz .LBB956_15
.LBB956_19:
	s_and_saveexec_b64 s[8:9], s[0:1]
	s_cbranch_execz .LBB956_21
; %bb.20:
	s_mul_hi_i32 s19, s16, s6
	s_mul_i32 s18, s16, s6
	s_lshl_b64 s[18:19], s[18:19], 1
	s_add_u32 s36, s34, s18
	s_addc_u32 s7, s35, s19
	s_and_b32 s37, s7, 0xffff
	s_mov_b32 s7, 0x7060302
	s_mov_b32 s39, 0x20000
	v_perm_b32 v11, v31, v30, s7
	v_perm_b32 v10, v41, v40, s7
	;; [unrolled: 1-line block ×4, first 2 shown]
	v_lshlrev_b32_e32 v4, 5, v0
	buffer_store_dwordx4 v[8:11], v4, s[36:39], 0 offen
	;;#ASMSTART
	s_nop 0
	;;#ASMEND
	s_nop 0
	v_perm_b32 v11, v75, v74, s7
	v_perm_b32 v10, v21, v20, s7
	;; [unrolled: 1-line block ×4, first 2 shown]
	buffer_store_dwordx4 v[8:11], v4, s[36:39], 16 offen
	;;#ASMSTART
	s_nop 0
	;;#ASMEND
.LBB956_21:
	s_or_b64 exec, exec, s[8:9]
	s_cbranch_execnz .LBB956_16
.LBB956_22:
	v_mov_b32_e32 v4, 0
	s_and_saveexec_b64 s[8:9], s[0:1]
	s_cbranch_execz .LBB956_24
; %bb.23:
	s_load_dwordx2 s[18:19], s[4:5], 0x10
	s_mul_hi_i32 s31, s15, s6
	s_mul_i32 s30, s15, s6
	s_lshl_b64 s[30:31], s[30:31], 1
	s_mov_b32 s39, 0x20000
	s_waitcnt lgkmcnt(0)
	s_add_u32 s36, s18, s30
	s_addc_u32 s7, s19, s31
	s_and_b32 s37, s7, 0xffff
	s_mov_b32 s7, 0x7060302
	v_perm_b32 v11, v31, v30, s7
	v_perm_b32 v10, v41, v40, s7
	;; [unrolled: 1-line block ×4, first 2 shown]
	v_lshlrev_b32_e32 v4, 5, v0
	buffer_store_dwordx4 v[8:11], v4, s[36:39], 0 offen
	;;#ASMSTART
	s_nop 0
	;;#ASMEND
	s_nop 0
	v_perm_b32 v11, v75, v74, s7
	v_perm_b32 v10, v21, v20, s7
	;; [unrolled: 1-line block ×4, first 2 shown]
	buffer_store_dwordx4 v[8:11], v4, s[36:39], 16 offen
	v_mov_b32_e32 v4, 0x2edbe6ff
	;;#ASMSTART
	s_nop 0
	;;#ASMEND
.LBB956_24:
	s_or_b64 exec, exec, s[8:9]
	s_and_saveexec_b64 s[8:9], s[0:1]
	s_cbranch_execz .LBB956_26
; %bb.25:
	v_and_b32_e32 v2, 0x7fffffff, v2
	v_and_b32_e32 v3, 0x7fffffff, v3
	;;#ASMSTART
	v_max3_f32 v2, v4, v2, v3

	;;#ASMEND
	v_and_b32_e32 v5, 0x7fffffff, v6
	v_and_b32_e32 v6, 0x7fffffff, v7
	;;#ASMSTART
	v_max3_f32 v2, v2, v5, v6

	;;#ASMEND
	;; [unrolled: 6-line block ×8, first 2 shown]
.LBB956_26:
	s_or_b64 exec, exec, s[8:9]
	;;#ASMSTART
	v_max_f32 v3, v4, v4 quad_perm:[1,0,3,2] row_mask:0xf bank_mask:0xf bound_ctrl:1
	;;#ASMEND
	;;#ASMSTART
	v_max_f32 v2, v3, v3 quad_perm:[2,3,0,1] row_mask:0xf bank_mask:0xf bound_ctrl:1
	;;#ASMEND
	v_and_b32_e32 v3, 3, v0
	v_cmp_eq_u32_e32 vcc, 0, v3
	v_cmp_gt_i32_e64 s[8:9], s23, v1
	s_and_b64 s[18:19], vcc, s[8:9]
	s_and_saveexec_b64 s[8:9], s[18:19]
	s_cbranch_execz .LBB956_28
; %bb.27:
	s_load_dwordx2 s[18:19], s[4:5], 0x8
	v_mul_f32_e32 v2, 0x3e2aaaab, v2
	v_lshrrev_b32_e32 v3, 23, v2
	v_and_b32_e32 v4, 0x7f800000, v2
	v_and_b32_e32 v2, 0x7fffff, v2
	v_cmp_ne_u32_e32 vcc, 0, v2
	s_mul_hi_i32 s15, s13, s6
	s_mul_i32 s13, s13, s6
	s_mov_b32 s7, 0x7f800000
	v_addc_co_u32_e32 v2, vcc, 0, v3, vcc
	s_waitcnt lgkmcnt(0)
	s_add_u32 s18, s18, s13
	v_cmp_ne_u32_e32 vcc, s7, v4
	s_addc_u32 s19, s19, s15
	v_lshrrev_b32_e32 v5, 2, v0
	v_cndmask_b32_e32 v4, -1, v2, vcc
	v_pk_mov_b32 v[2:3], s[18:19], s[18:19] op_sel:[0,1]
	v_mad_i64_i32 v[2:3], s[14:15], s14, v5, v[2:3]
	global_store_byte v[2:3], v4, off
.LBB956_28:
	s_or_b64 exec, exec, s[8:9]
	s_and_saveexec_b64 s[8:9], s[0:1]
	s_cbranch_execz .LBB956_30
; %bb.29:
	s_load_dwordx2 s[0:1], s[4:5], 0x0
	s_mul_hi_i32 s7, s12, s6
	s_mul_i32 s12, s12, s6
	v_mov_b32_e32 v2, 0
	v_lshlrev_b32_e32 v4, 3, v0
	s_waitcnt lgkmcnt(0)
	s_add_u32 s12, s0, s12
	s_addc_u32 s0, s1, s7
	s_lshr_b32 s1, s23, 31
	s_add_i32 s1, s23, s1
	s_ashr_i32 s1, s1, 1
	s_add_i32 s1, s1, 3
	s_ashr_i32 s7, s1, 31
	s_lshr_b32 s7, s7, 30
	s_add_i32 s1, s1, s7
	s_and_b32 s14, s1, -4
	s_and_b32 s13, s0, 0xffff
	s_mov_b32 s15, 0x20000
	v_mov_b32_e32 v3, v2
	buffer_store_dwordx2 v[2:3], v4, s[12:15], 0 offen
	;;#ASMSTART
	s_nop 0
	;;#ASMEND
.LBB956_30:
	s_or_b64 exec, exec, s[8:9]
	s_cmp_lt_i32 s24, 1
	s_cbranch_scc1 .LBB956_17
.LBB956_31:
	s_load_dword s0, s[4:5], 0x94
	s_waitcnt lgkmcnt(0)
	s_cmp_lg_u32 s0, 1
	s_cbranch_scc1 .LBB956_17
; %bb.32:
	s_lshl_b32 s0, s24, 1
	s_add_i32 s0, s0, 2
	v_cmp_gt_u32_e32 vcc, s24, v1
	s_and_b32 s30, s0, -4
	v_mov_b32_e32 v18, 0
	v_lshlrev_b32_e32 v1, 5, v0
	v_mov_b32_e32 v14, 0
	v_mov_b32_e32 v15, 0
	;; [unrolled: 1-line block ×16, first 2 shown]
	s_barrier
	s_and_saveexec_b64 s[0:1], vcc
	s_cbranch_execz .LBB956_34
; %bb.33:
	s_mul_hi_i32 s5, s26, s6
	s_mul_i32 s4, s26, s6
	s_and_b32 s29, s29, 0xffff
	s_lshl_b64 s[4:5], s[4:5], 1
	s_add_u32 s8, s10, s4
	s_mov_b32 s31, 0x20000
	s_addc_u32 s4, s11, s5
	s_and_b32 s9, s4, 0xffff
	s_mov_b32 s10, s30
	s_mov_b32 s11, s31
	buffer_load_dwordx4 v[14:17], v1, s[8:11], 0 offen
	buffer_load_dwordx4 v[10:13], v1, s[8:11], 16 offen
	;; [unrolled: 1-line block ×4, first 2 shown]
.LBB956_34:
	s_or_b64 exec, exec, s[0:1]
	v_mov_b32_e32 v19, 0
	v_mov_b32_e32 v32, 0
	;; [unrolled: 1-line block ×15, first 2 shown]
	s_and_saveexec_b64 s[0:1], vcc
	s_cbranch_execz .LBB956_36
; %bb.35:
	s_waitcnt vmcnt(3)
	v_cvt_f32_u32_sdwa v18, v14 dst_sel:DWORD dst_unused:UNUSED_PAD src0_sel:WORD_0
	v_cvt_f32_u32_sdwa v19, v14 dst_sel:DWORD dst_unused:UNUSED_PAD src0_sel:WORD_1
	v_cvt_f32_u32_sdwa v32, v15 dst_sel:DWORD dst_unused:UNUSED_PAD src0_sel:WORD_0
	v_cvt_f32_u32_sdwa v33, v15 dst_sel:DWORD dst_unused:UNUSED_PAD src0_sel:WORD_1
	;; [unrolled: 2-line block ×4, first 2 shown]
	s_waitcnt vmcnt(2)
	v_cvt_f32_u32_sdwa v26, v10 dst_sel:DWORD dst_unused:UNUSED_PAD src0_sel:WORD_0
	v_cvt_f32_u32_sdwa v27, v10 dst_sel:DWORD dst_unused:UNUSED_PAD src0_sel:WORD_1
	v_cvt_f32_u32_sdwa v24, v11 dst_sel:DWORD dst_unused:UNUSED_PAD src0_sel:WORD_0
	v_cvt_f32_u32_sdwa v25, v11 dst_sel:DWORD dst_unused:UNUSED_PAD src0_sel:WORD_1
	v_cvt_f32_u32_sdwa v22, v12 dst_sel:DWORD dst_unused:UNUSED_PAD src0_sel:WORD_0
	v_cvt_f32_u32_sdwa v23, v12 dst_sel:DWORD dst_unused:UNUSED_PAD src0_sel:WORD_1
	v_cvt_f32_u32_sdwa v20, v13 dst_sel:DWORD dst_unused:UNUSED_PAD src0_sel:WORD_0
	v_cvt_f32_u32_sdwa v21, v13 dst_sel:DWORD dst_unused:UNUSED_PAD src0_sel:WORD_1
.LBB956_36:
	s_or_b64 exec, exec, s[0:1]
	s_waitcnt vmcnt(2)
	v_mul_f32_e32 v10, v19, v19
	v_fmac_f32_e32 v10, v18, v18
	v_fmac_f32_e32 v10, v32, v32
	;; [unrolled: 1-line block ×15, first 2 shown]
	s_nop 1
	v_mov_b32_dpp v11, v10 quad_perm:[1,0,3,2] row_mask:0xf bank_mask:0xf
	v_add_f32_e32 v10, v10, v11
	s_nop 1
	v_mov_b32_dpp v11, v10 quad_perm:[2,3,0,1] row_mask:0xf bank_mask:0xf
	v_add_f32_e32 v10, v10, v11
	s_nop 1
	v_mov_b32_dpp v11, v10 row_half_mirror row_mask:0xf bank_mask:0xf
	v_add_f32_e32 v10, v10, v11
	s_nop 1
	v_mov_b32_dpp v11, v10 row_mirror row_mask:0xf bank_mask:0xf
	v_add_f32_e32 v10, v10, v11
	s_nop 1
	v_mov_b32_dpp v11, v10 row_bcast:15 row_mask:0xf bank_mask:0xf
	v_add_f32_e32 v10, v10, v11
	s_nop 1
	v_mov_b32_dpp v11, v10 row_bcast:31 row_mask:0xf bank_mask:0xf
	s_and_saveexec_b64 s[0:1], s[2:3]
	s_cbranch_execz .LBB956_38
; %bb.37:
	v_lshrrev_b32_e32 v0, 4, v0
	v_add_f32_e32 v10, v10, v11
	v_and_b32_e32 v0, 60, v0
	ds_write_b32 v0, v10
.LBB956_38:
	s_or_b64 exec, exec, s[0:1]
	s_waitcnt lgkmcnt(0)
	s_barrier
	ds_read_b32 v0, v34
	s_waitcnt lgkmcnt(0)
	s_nop 0
	v_mov_b32_dpp v10, v0 quad_perm:[1,0,3,2] row_mask:0xf bank_mask:0xf
	v_add_f32_e32 v0, v0, v10
	s_nop 1
	v_mov_b32_dpp v10, v0 quad_perm:[2,3,0,1] row_mask:0xf bank_mask:0xf
	v_add_f32_e32 v0, v0, v10
	s_nop 1
	v_mov_b32_dpp v10, v0 row_half_mirror row_mask:0xf bank_mask:0xf
	s_and_saveexec_b64 s[0:1], vcc
	s_cbranch_execz .LBB956_17
; %bb.39:
	v_cvt_f32_u32_e32 v11, s24
	v_add_f32_e32 v0, v0, v10
	s_mov_b32 s31, 0x20000
	v_div_scale_f32 v10, s[0:1], v11, v11, v0
	v_rcp_f32_e32 v12, v10
	v_div_scale_f32 v13, vcc, v0, v11, v0
	s_mov_b32 s0, 0x800000
	v_fma_f32 v14, -v10, v12, 1.0
	v_fmac_f32_e32 v12, v14, v12
	v_mul_f32_e32 v14, v13, v12
	v_fma_f32 v15, -v10, v14, v13
	v_fmac_f32_e32 v14, v15, v12
	v_fma_f32 v10, -v10, v14, v13
	v_div_fmas_f32 v10, v10, v12, v14
	v_div_fixup_f32 v0, v10, v11, v0
	v_add_f32_e32 v0, s21, v0
	v_mul_f32_e32 v10, 0x4b800000, v0
	v_cmp_gt_f32_e32 vcc, s0, v0
	v_cndmask_b32_e32 v0, v0, v10, vcc
	v_rsq_f32_e32 v0, v0
	s_mul_hi_i32 s1, s16, s6
	s_mul_i32 s0, s16, s6
	s_lshl_b64 s[0:1], s[0:1], 1
	v_mul_f32_e32 v10, 0x45800000, v0
	v_cndmask_b32_e32 v10, v0, v10, vcc
	v_mov_b32_e32 v11, v10
	;;#ASMSTART
	v_pk_mul_f32 v[12:13], v[18:19], v[10:11]
	;;#ASMEND
	;;#ASMSTART
	v_pk_mul_f32 v[14:15], v[32:33], v[10:11]
	;;#ASMEND
	;; [unrolled: 3-line block ×4, first 2 shown]
	s_waitcnt vmcnt(1)
	v_cvt_f32_u32_sdwa v29, v6 dst_sel:DWORD dst_unused:UNUSED_PAD src0_sel:WORD_1
	v_cvt_f32_u32_sdwa v28, v6 dst_sel:DWORD dst_unused:UNUSED_PAD src0_sel:WORD_0
	v_cvt_f32_u32_sdwa v31, v7 dst_sel:DWORD dst_unused:UNUSED_PAD src0_sel:WORD_1
	v_cvt_f32_u32_sdwa v30, v7 dst_sel:DWORD dst_unused:UNUSED_PAD src0_sel:WORD_0
	;;#ASMSTART
	v_pk_mul_f32 v[26:27], v[26:27], v[10:11]
	;;#ASMEND
	;;#ASMSTART
	v_pk_mul_f32 v[24:25], v[24:25], v[10:11]
	;;#ASMEND
	;; [unrolled: 3-line block ×4, first 2 shown]
	v_cvt_f32_u32_sdwa v21, v8 dst_sel:DWORD dst_unused:UNUSED_PAD src0_sel:WORD_1
	v_cvt_f32_u32_sdwa v20, v8 dst_sel:DWORD dst_unused:UNUSED_PAD src0_sel:WORD_0
	v_pk_add_f32 v[10:11], v[28:29], 1.0 op_sel_hi:[1,0]
	;;#ASMSTART
	v_pk_mul_f32 v[10:11], v[12:13], v[10:11]
	;;#ASMEND
	v_pk_add_f32 v[12:13], v[30:31], 1.0 op_sel_hi:[1,0]
	v_cvt_f32_u32_sdwa v29, v9 dst_sel:DWORD dst_unused:UNUSED_PAD src0_sel:WORD_1
	v_cvt_f32_u32_sdwa v28, v9 dst_sel:DWORD dst_unused:UNUSED_PAD src0_sel:WORD_0
	;;#ASMSTART
	v_pk_mul_f32 v[8:9], v[14:15], v[12:13]
	;;#ASMEND
	v_pk_add_f32 v[12:13], v[20:21], 1.0 op_sel_hi:[1,0]
	;;#ASMSTART
	v_pk_mul_f32 v[12:13], v[16:17], v[12:13]
	;;#ASMEND
	s_waitcnt vmcnt(0)
	v_cvt_f32_u32_sdwa v17, v2 dst_sel:DWORD dst_unused:UNUSED_PAD src0_sel:WORD_1
	v_cvt_f32_u32_sdwa v16, v2 dst_sel:DWORD dst_unused:UNUSED_PAD src0_sel:WORD_0
	v_cvt_f32_u32_sdwa v21, v3 dst_sel:DWORD dst_unused:UNUSED_PAD src0_sel:WORD_1
	v_cvt_f32_u32_sdwa v20, v3 dst_sel:DWORD dst_unused:UNUSED_PAD src0_sel:WORD_0
	v_pk_add_f32 v[14:15], v[28:29], 1.0 op_sel_hi:[1,0]
	;;#ASMSTART
	v_pk_mul_f32 v[14:15], v[18:19], v[14:15]
	;;#ASMEND
	v_pk_add_f32 v[2:3], v[16:17], 1.0 op_sel_hi:[1,0]
	v_cvt_f32_u32_sdwa v19, v4 dst_sel:DWORD dst_unused:UNUSED_PAD src0_sel:WORD_1
	v_cvt_f32_u32_sdwa v18, v4 dst_sel:DWORD dst_unused:UNUSED_PAD src0_sel:WORD_0
	;;#ASMSTART
	v_pk_mul_f32 v[16:17], v[26:27], v[2:3]
	;;#ASMEND
	v_pk_add_f32 v[2:3], v[20:21], 1.0 op_sel_hi:[1,0]
	v_cvt_f32_u32_sdwa v21, v5 dst_sel:DWORD dst_unused:UNUSED_PAD src0_sel:WORD_1
	v_cvt_f32_u32_sdwa v20, v5 dst_sel:DWORD dst_unused:UNUSED_PAD src0_sel:WORD_0
	s_add_u32 s28, s34, s0
	;;#ASMSTART
	v_pk_mul_f32 v[24:25], v[24:25], v[2:3]
	;;#ASMEND
	v_pk_add_f32 v[2:3], v[18:19], 1.0 op_sel_hi:[1,0]
	s_addc_u32 s0, s35, s1
	;;#ASMSTART
	v_pk_mul_f32 v[18:19], v[22:23], v[2:3]
	;;#ASMEND
	v_pk_add_f32 v[2:3], v[20:21], 1.0 op_sel_hi:[1,0]
	s_and_b32 s29, s0, 0xffff
	s_mov_b32 s0, 0x7060302
	;;#ASMSTART
	v_pk_mul_f32 v[6:7], v[6:7], v[2:3]
	;;#ASMEND
	v_perm_b32 v2, v11, v10, s0
	v_perm_b32 v3, v9, v8, s0
	;; [unrolled: 1-line block ×4, first 2 shown]
	buffer_store_dwordx4 v[2:5], v1, s[28:31], 0 offen
	;;#ASMSTART
	s_nop 0
	;;#ASMEND
	s_nop 0
	v_perm_b32 v2, v17, v16, s0
	v_perm_b32 v3, v25, v24, s0
	;; [unrolled: 1-line block ×4, first 2 shown]
	buffer_store_dwordx4 v[2:5], v1, s[28:31], 16 offen
	;;#ASMSTART
	s_nop 0
	;;#ASMEND
	s_endpgm
	.section	.rodata,"a",@progbits
	.p2align	6, 0x0
	.amdhsa_kernel _ZN5aiter35fused_qk_rmsnorm_group_quant_kernelItN4opus5fp4_tELi512ELi16ELi4ELb1ELb1ELb1ELb0ELb0ELb0EEEvPT0_PvPT_S7_S7_PKS6_S9_S9_S9_S9_ffiiiiiiiiiiiii
		.amdhsa_group_segment_fixed_size 64
		.amdhsa_private_segment_fixed_size 0
		.amdhsa_kernarg_size 400
		.amdhsa_user_sgpr_count 6
		.amdhsa_user_sgpr_private_segment_buffer 1
		.amdhsa_user_sgpr_dispatch_ptr 0
		.amdhsa_user_sgpr_queue_ptr 0
		.amdhsa_user_sgpr_kernarg_segment_ptr 1
		.amdhsa_user_sgpr_dispatch_id 0
		.amdhsa_user_sgpr_flat_scratch_init 0
		.amdhsa_user_sgpr_kernarg_preload_length 0
		.amdhsa_user_sgpr_kernarg_preload_offset 0
		.amdhsa_user_sgpr_private_segment_size 0
		.amdhsa_uses_dynamic_stack 0
		.amdhsa_system_sgpr_private_segment_wavefront_offset 0
		.amdhsa_system_sgpr_workgroup_id_x 1
		.amdhsa_system_sgpr_workgroup_id_y 1
		.amdhsa_system_sgpr_workgroup_id_z 0
		.amdhsa_system_sgpr_workgroup_info 0
		.amdhsa_system_vgpr_workitem_id 0
		.amdhsa_next_free_vgpr 76
		.amdhsa_next_free_sgpr 44
		.amdhsa_accum_offset 76
		.amdhsa_reserve_vcc 1
		.amdhsa_reserve_flat_scratch 0
		.amdhsa_float_round_mode_32 0
		.amdhsa_float_round_mode_16_64 0
		.amdhsa_float_denorm_mode_32 3
		.amdhsa_float_denorm_mode_16_64 3
		.amdhsa_dx10_clamp 1
		.amdhsa_ieee_mode 1
		.amdhsa_fp16_overflow 0
		.amdhsa_tg_split 0
		.amdhsa_exception_fp_ieee_invalid_op 0
		.amdhsa_exception_fp_denorm_src 0
		.amdhsa_exception_fp_ieee_div_zero 0
		.amdhsa_exception_fp_ieee_overflow 0
		.amdhsa_exception_fp_ieee_underflow 0
		.amdhsa_exception_fp_ieee_inexact 0
		.amdhsa_exception_int_div_zero 0
	.end_amdhsa_kernel
	.section	.text._ZN5aiter35fused_qk_rmsnorm_group_quant_kernelItN4opus5fp4_tELi512ELi16ELi4ELb1ELb1ELb1ELb0ELb0ELb0EEEvPT0_PvPT_S7_S7_PKS6_S9_S9_S9_S9_ffiiiiiiiiiiiii,"axG",@progbits,_ZN5aiter35fused_qk_rmsnorm_group_quant_kernelItN4opus5fp4_tELi512ELi16ELi4ELb1ELb1ELb1ELb0ELb0ELb0EEEvPT0_PvPT_S7_S7_PKS6_S9_S9_S9_S9_ffiiiiiiiiiiiii,comdat
.Lfunc_end956:
	.size	_ZN5aiter35fused_qk_rmsnorm_group_quant_kernelItN4opus5fp4_tELi512ELi16ELi4ELb1ELb1ELb1ELb0ELb0ELb0EEEvPT0_PvPT_S7_S7_PKS6_S9_S9_S9_S9_ffiiiiiiiiiiiii, .Lfunc_end956-_ZN5aiter35fused_qk_rmsnorm_group_quant_kernelItN4opus5fp4_tELi512ELi16ELi4ELb1ELb1ELb1ELb0ELb0ELb0EEEvPT0_PvPT_S7_S7_PKS6_S9_S9_S9_S9_ffiiiiiiiiiiiii
                                        ; -- End function
	.section	.AMDGPU.csdata,"",@progbits
; Kernel info:
; codeLenInByte = 4096
; NumSgprs: 48
; NumVgprs: 76
; NumAgprs: 0
; TotalNumVgprs: 76
; ScratchSize: 0
; MemoryBound: 0
; FloatMode: 240
; IeeeMode: 1
; LDSByteSize: 64 bytes/workgroup (compile time only)
; SGPRBlocks: 5
; VGPRBlocks: 9
; NumSGPRsForWavesPerEU: 48
; NumVGPRsForWavesPerEU: 76
; AccumOffset: 76
; Occupancy: 6
; WaveLimiterHint : 0
; COMPUTE_PGM_RSRC2:SCRATCH_EN: 0
; COMPUTE_PGM_RSRC2:USER_SGPR: 6
; COMPUTE_PGM_RSRC2:TRAP_HANDLER: 0
; COMPUTE_PGM_RSRC2:TGID_X_EN: 1
; COMPUTE_PGM_RSRC2:TGID_Y_EN: 1
; COMPUTE_PGM_RSRC2:TGID_Z_EN: 0
; COMPUTE_PGM_RSRC2:TIDIG_COMP_CNT: 0
; COMPUTE_PGM_RSRC3_GFX90A:ACCUM_OFFSET: 18
; COMPUTE_PGM_RSRC3_GFX90A:TG_SPLIT: 0
	.section	.text._ZN5aiter35fused_qk_rmsnorm_group_quant_kernelIDF16_DB8_Li512ELi16ELi4ELb1ELb1ELb0ELb0ELb0ELb0EEEvPT0_PvPT_S6_S6_PKS5_S8_S8_S8_S8_ffiiiiiiiiiiiii,"axG",@progbits,_ZN5aiter35fused_qk_rmsnorm_group_quant_kernelIDF16_DB8_Li512ELi16ELi4ELb1ELb1ELb0ELb0ELb0ELb0EEEvPT0_PvPT_S6_S6_PKS5_S8_S8_S8_S8_ffiiiiiiiiiiiii,comdat
	.protected	_ZN5aiter35fused_qk_rmsnorm_group_quant_kernelIDF16_DB8_Li512ELi16ELi4ELb1ELb1ELb0ELb0ELb0ELb0EEEvPT0_PvPT_S6_S6_PKS5_S8_S8_S8_S8_ffiiiiiiiiiiiii ; -- Begin function _ZN5aiter35fused_qk_rmsnorm_group_quant_kernelIDF16_DB8_Li512ELi16ELi4ELb1ELb1ELb0ELb0ELb0ELb0EEEvPT0_PvPT_S6_S6_PKS5_S8_S8_S8_S8_ffiiiiiiiiiiiii
	.globl	_ZN5aiter35fused_qk_rmsnorm_group_quant_kernelIDF16_DB8_Li512ELi16ELi4ELb1ELb1ELb0ELb0ELb0ELb0EEEvPT0_PvPT_S6_S6_PKS5_S8_S8_S8_S8_ffiiiiiiiiiiiii
	.p2align	8
	.type	_ZN5aiter35fused_qk_rmsnorm_group_quant_kernelIDF16_DB8_Li512ELi16ELi4ELb1ELb1ELb0ELb0ELb0ELb0EEEvPT0_PvPT_S6_S6_PKS5_S8_S8_S8_S8_ffiiiiiiiiiiiii,@function
_ZN5aiter35fused_qk_rmsnorm_group_quant_kernelIDF16_DB8_Li512ELi16ELi4ELb1ELb1ELb0ELb0ELb0ELb0EEEvPT0_PvPT_S6_S6_PKS5_S8_S8_S8_S8_ffiiiiiiiiiiiii: ; @_ZN5aiter35fused_qk_rmsnorm_group_quant_kernelIDF16_DB8_Li512ELi16ELi4ELb1ELb1ELb0ELb0ELb0ELb0EEEvPT0_PvPT_S6_S6_PKS5_S8_S8_S8_S8_ffiiiiiiiiiiiii
; %bb.0:
	s_load_dwordx8 s[20:27], s[4:5], 0x50
	s_waitcnt lgkmcnt(0)
	s_cmp_ge_i32 s6, s22
	s_cbranch_scc1 .LBB957_17
; %bb.1:
	s_cmp_lg_u32 s7, 0
	s_cselect_b64 s[10:11], -1, 0
	s_cmp_eq_u32 s7, 0
	s_cselect_b64 s[8:9], -1, 0
	s_and_b64 s[0:1], s[8:9], exec
	s_load_dwordx2 s[28:29], s[4:5], 0x48
	s_load_dwordx2 s[34:35], s[4:5], 0x30
	s_load_dwordx8 s[12:19], s[4:5], 0x70
	s_cselect_b32 s7, s23, s24
	s_add_i32 s0, s7, 1
	s_lshr_b32 s1, s0, 31
	s_add_i32 s0, s0, s1
	s_lshl_b32 s0, s0, 1
	v_lshlrev_b32_e32 v1, 4, v0
	s_and_b32 s38, s0, -4
	v_cmp_gt_i32_e64 s[0:1], s7, v1
	v_mov_b32_e32 v80, 0
	v_mov_b32_e32 v81, 0
	;; [unrolled: 1-line block ×16, first 2 shown]
	s_and_saveexec_b64 s[2:3], s[0:1]
	s_cbranch_execz .LBB957_3
; %bb.2:
	s_waitcnt lgkmcnt(0)
	s_load_dwordx2 s[18:19], s[4:5], 0x28
	s_load_dwordx2 s[30:31], s[4:5], 0x40
	s_and_b64 s[36:37], s[8:9], exec
	s_cselect_b32 s22, s25, s26
	s_mov_b32 s39, 0x20000
	s_waitcnt lgkmcnt(0)
	s_cselect_b32 s25, s19, s35
	s_cselect_b32 s33, s18, s34
	s_mul_hi_i32 s19, s22, s6
	s_mul_i32 s18, s22, s6
	s_lshl_b64 s[18:19], s[18:19], 1
	s_add_u32 s40, s33, s18
	s_addc_u32 s22, s25, s19
	s_and_b64 s[18:19], s[8:9], exec
	s_cselect_b32 s36, s30, s28
	s_cselect_b32 s18, s31, s29
	s_and_b32 s41, s22, 0xffff
	s_mov_b32 s42, s38
	s_mov_b32 s43, s39
	v_lshlrev_b32_e32 v2, 5, v0
	s_and_b32 s37, s18, 0xffff
	buffer_load_dwordx4 v[84:87], v2, s[40:43], 0 offen
	buffer_load_dwordx4 v[88:91], v2, s[40:43], 16 offen
	;; [unrolled: 1-line block ×4, first 2 shown]
.LBB957_3:
	s_or_b64 exec, exec, s[2:3]
	s_and_b64 vcc, exec, s[10:11]
	s_cbranch_vccz .LBB957_7
; %bb.4:
	v_mov_b32_e32 v93, 0
	v_mov_b32_e32 v92, 0
	;; [unrolled: 1-line block ×16, first 2 shown]
	s_and_saveexec_b64 s[2:3], s[0:1]
	s_cbranch_execz .LBB957_6
; %bb.5:
	s_waitcnt vmcnt(3)
	v_cvt_f32_f16_sdwa v59, v84 dst_sel:DWORD dst_unused:UNUSED_PAD src0_sel:WORD_1
	v_cvt_f32_f16_e32 v58, v84
	v_cvt_f32_f16_sdwa v29, v85 dst_sel:DWORD dst_unused:UNUSED_PAD src0_sel:WORD_1
	v_cvt_f32_f16_e32 v28, v85
	v_cvt_f32_f16_sdwa v47, v86 dst_sel:DWORD dst_unused:UNUSED_PAD src0_sel:WORD_1
	v_cvt_f32_f16_e32 v46, v86
	v_cvt_f32_f16_sdwa v19, v87 dst_sel:DWORD dst_unused:UNUSED_PAD src0_sel:WORD_1
	v_cvt_f32_f16_e32 v18, v87
	s_waitcnt vmcnt(2)
	v_cvt_f32_f16_sdwa v69, v88 dst_sel:DWORD dst_unused:UNUSED_PAD src0_sel:WORD_1
	v_cvt_f32_f16_e32 v68, v88
	v_cvt_f32_f16_sdwa v41, v89 dst_sel:DWORD dst_unused:UNUSED_PAD src0_sel:WORD_1
	v_cvt_f32_f16_e32 v40, v89
	;; [unrolled: 2-line block ×4, first 2 shown]
.LBB957_6:
	s_or_b64 exec, exec, s[2:3]
	s_cbranch_execz .LBB957_8
	s_branch .LBB957_11
.LBB957_7:
                                        ; implicit-def: $vgpr26_vgpr27_vgpr28_vgpr29_vgpr30_vgpr31_vgpr32_vgpr33_vgpr34_vgpr35_vgpr36_vgpr37_vgpr38_vgpr39_vgpr40_vgpr41
                                        ; implicit-def: $vgpr58_vgpr59_vgpr60_vgpr61_vgpr62_vgpr63_vgpr64_vgpr65_vgpr66_vgpr67_vgpr68_vgpr69_vgpr70_vgpr71_vgpr72_vgpr73
                                        ; implicit-def: $vgpr42_vgpr43_vgpr44_vgpr45_vgpr46_vgpr47_vgpr48_vgpr49_vgpr50_vgpr51_vgpr52_vgpr53_vgpr54_vgpr55_vgpr56_vgpr57
                                        ; implicit-def: $vgpr12_vgpr13_vgpr14_vgpr15_vgpr16_vgpr17_vgpr18_vgpr19_vgpr20_vgpr21_vgpr22_vgpr23_vgpr24_vgpr25_vgpr26_vgpr27
                                        ; implicit-def: $vgpr93
                                        ; implicit-def: $vgpr60_vgpr61_vgpr62_vgpr63_vgpr64_vgpr65_vgpr66_vgpr67_vgpr68_vgpr69_vgpr70_vgpr71_vgpr72_vgpr73_vgpr74_vgpr75
                                        ; implicit-def: $vgpr30_vgpr31_vgpr32_vgpr33_vgpr34_vgpr35_vgpr36_vgpr37_vgpr38_vgpr39_vgpr40_vgpr41_vgpr42_vgpr43_vgpr44_vgpr45
                                        ; implicit-def: $vgpr2_vgpr3_vgpr4_vgpr5_vgpr6_vgpr7_vgpr8_vgpr9_vgpr10_vgpr11_vgpr12_vgpr13_vgpr14_vgpr15_vgpr16_vgpr17
.LBB957_8:
	v_mov_b32_e32 v93, 0
	v_mov_b32_e32 v92, 0
	;; [unrolled: 1-line block ×16, first 2 shown]
	s_and_saveexec_b64 s[2:3], s[0:1]
	s_cbranch_execz .LBB957_10
; %bb.9:
	s_waitcnt lgkmcnt(0)
	s_load_dwordx2 s[18:19], s[4:5], 0x38
	s_mul_hi_i32 s31, s27, s6
	s_mul_i32 s30, s27, s6
	s_lshl_b64 s[30:31], s[30:31], 1
	s_mov_b32 s39, 0x20000
	s_waitcnt lgkmcnt(0)
	s_add_u32 s36, s18, s30
	s_addc_u32 s18, s19, s31
	s_and_b32 s37, s18, 0xffff
	v_lshlrev_b32_e32 v38, 5, v0
	buffer_load_dwordx4 v[6:9], v38, s[36:39], 16 offen
	buffer_load_dwordx4 v[10:13], v38, s[36:39], 0 offen
	s_waitcnt vmcnt(5)
	v_cvt_f32_f16_sdwa v19, v86 dst_sel:DWORD dst_unused:UNUSED_PAD src0_sel:WORD_1
	v_cvt_f32_f16_e32 v18, v86
	v_cvt_f32_f16_sdwa v25, v87 dst_sel:DWORD dst_unused:UNUSED_PAD src0_sel:WORD_1
	v_cvt_f32_f16_e32 v24, v87
	;; [unrolled: 2-line block ×4, first 2 shown]
	s_load_dwordx2 s[18:19], s[4:5], 0x20
	s_waitcnt vmcnt(4)
	v_cvt_f32_f16_sdwa v3, v88 dst_sel:DWORD dst_unused:UNUSED_PAD src0_sel:WORD_1
	v_cvt_f32_f16_e32 v2, v88
	v_cvt_f32_f16_sdwa v5, v89 dst_sel:DWORD dst_unused:UNUSED_PAD src0_sel:WORD_1
	v_cvt_f32_f16_e32 v4, v89
	;; [unrolled: 2-line block ×4, first 2 shown]
	s_mul_hi_i32 s31, s17, s6
	s_mul_i32 s30, s17, s6
	s_lshl_b64 s[30:31], s[30:31], 1
	s_waitcnt lgkmcnt(0)
	s_add_u32 s36, s18, s30
	s_addc_u32 s17, s19, s31
	s_and_b32 s37, s17, 0xffff
	s_waitcnt vmcnt(1)
	v_cvt_f32_f16_e32 v26, v6
	v_cvt_f32_f16_sdwa v27, v6 dst_sel:DWORD dst_unused:UNUSED_PAD src0_sel:WORD_1
	v_cvt_f32_f16_e32 v30, v7
	v_cvt_f32_f16_sdwa v31, v7 dst_sel:DWORD dst_unused:UNUSED_PAD src0_sel:WORD_1
	;; [unrolled: 2-line block ×4, first 2 shown]
	s_waitcnt vmcnt(0)
	v_cvt_f32_f16_e32 v6, v12
	v_cvt_f32_f16_sdwa v7, v12 dst_sel:DWORD dst_unused:UNUSED_PAD src0_sel:WORD_1
	v_cvt_f32_f16_e32 v8, v13
	v_cvt_f32_f16_sdwa v9, v13 dst_sel:DWORD dst_unused:UNUSED_PAD src0_sel:WORD_1
	;; [unrolled: 2-line block ×4, first 2 shown]
	v_pk_add_f32 v[46:47], v[18:19], v[6:7]
	v_pk_add_f32 v[18:19], v[24:25], v[8:9]
	v_cvt_f16_f32_e32 v6, v47
	v_cvt_f16_f32_e32 v7, v19
	;; [unrolled: 1-line block ×4, first 2 shown]
	v_pk_add_f32 v[28:29], v[22:23], v[10:11]
	v_pk_add_f32 v[58:59], v[20:21], v[36:37]
	v_pack_b32_f16 v9, v8, v7
	v_pack_b32_f16 v8, v12, v6
	v_cvt_f16_f32_e32 v6, v29
	v_cvt_f16_f32_e32 v7, v28
	;; [unrolled: 1-line block ×3, first 2 shown]
	v_pk_add_f32 v[92:93], v[16:17], v[34:35]
	v_pk_add_f32 v[14:15], v[14:15], v[32:33]
	v_pack_b32_f16 v7, v7, v6
	v_cvt_f16_f32_e32 v6, v59
	v_pk_add_f32 v[40:41], v[4:5], v[30:31]
	v_pk_add_f32 v[68:69], v[2:3], v[26:27]
	v_cvt_f16_f32_e32 v4, v40
	v_pack_b32_f16 v6, v10, v6
	buffer_store_dwordx4 v[6:9], v38, s[36:39], 0 offen
	v_cvt_f16_f32_e32 v5, v41
	v_cvt_f16_f32_e32 v6, v14
	;; [unrolled: 1-line block ×7, first 2 shown]
	v_pack_b32_f16 v7, v7, v8
	v_pack_b32_f16 v6, v6, v9
	;; [unrolled: 1-line block ×4, first 2 shown]
	;;#ASMSTART
	s_nop 0
	;;#ASMEND
	buffer_store_dwordx4 v[4:7], v38, s[36:39], 16 offen
	;;#ASMSTART
	s_nop 0
	;;#ASMEND
.LBB957_10:
	s_or_b64 exec, exec, s[2:3]
.LBB957_11:
	v_mul_f32_e32 v2, v59, v59
	v_fmac_f32_e32 v2, v58, v58
	v_fmac_f32_e32 v2, v28, v28
	;; [unrolled: 1-line block ×15, first 2 shown]
	s_nop 1
	v_mov_b32_dpp v3, v2 quad_perm:[1,0,3,2] row_mask:0xf bank_mask:0xf
	v_add_f32_e32 v2, v2, v3
	s_nop 1
	v_mov_b32_dpp v3, v2 quad_perm:[2,3,0,1] row_mask:0xf bank_mask:0xf
	v_add_f32_e32 v2, v2, v3
	s_nop 1
	v_mov_b32_dpp v3, v2 row_half_mirror row_mask:0xf bank_mask:0xf
	v_add_f32_e32 v2, v2, v3
	s_nop 1
	v_mov_b32_dpp v3, v2 row_mirror row_mask:0xf bank_mask:0xf
	v_add_f32_e32 v2, v2, v3
	s_nop 1
	v_mov_b32_dpp v3, v2 row_bcast:15 row_mask:0xf bank_mask:0xf
	v_add_f32_e32 v2, v2, v3
	v_and_b32_e32 v3, 63, v0
	v_cmp_eq_u32_e64 s[2:3], 63, v3
	s_nop 0
	v_mov_b32_dpp v3, v2 row_bcast:31 row_mask:0xf bank_mask:0xf
	s_waitcnt lgkmcnt(0)
	s_and_saveexec_b64 s[18:19], s[2:3]
	s_cbranch_execz .LBB957_13
; %bb.12:
	v_add_f32_e32 v2, v2, v3
	v_lshrrev_b32_e32 v3, 4, v0
	v_and_b32_e32 v3, 60, v3
	ds_write_b32 v3, v2 offset:32
.LBB957_13:
	s_or_b64 exec, exec, s[18:19]
	v_and_b32_e32 v2, 7, v0
	v_lshlrev_b32_e32 v34, 2, v2
	s_waitcnt lgkmcnt(0)
	s_barrier
	ds_read_b32 v2, v34 offset:32
	s_load_dwordx2 s[18:19], s[4:5], 0x18
	s_waitcnt lgkmcnt(0)
	v_mov_b32_dpp v3, v2 quad_perm:[1,0,3,2] row_mask:0xf bank_mask:0xf
	v_add_f32_e32 v2, v2, v3
	s_nop 1
	v_mov_b32_dpp v3, v2 quad_perm:[2,3,0,1] row_mask:0xf bank_mask:0xf
	v_add_f32_e32 v2, v2, v3
	s_nop 1
	v_mov_b32_dpp v3, v2 row_half_mirror row_mask:0xf bank_mask:0xf
	s_and_saveexec_b64 s[30:31], s[0:1]
	s_cbranch_execnz .LBB957_18
; %bb.14:
	s_or_b64 exec, exec, s[30:31]
	s_mov_b64 s[8:9], -1
	s_and_b64 vcc, exec, s[10:11]
	s_cbranch_vccnz .LBB957_19
.LBB957_15:
	s_andn2_b64 vcc, exec, s[8:9]
	s_cbranch_vccz .LBB957_22
.LBB957_16:
	s_cmp_lt_i32 s24, 1
	s_cbranch_scc0 .LBB957_31
.LBB957_17:
	s_endpgm
.LBB957_18:
	v_add_f32_e32 v2, v2, v3
	v_cvt_f32_u32_e32 v3, s7
	s_mov_b32 s7, 0x800000
	s_waitcnt vmcnt(1)
	v_cvt_f32_f16_sdwa v21, v81 dst_sel:DWORD dst_unused:UNUSED_PAD src0_sel:WORD_1
	v_cvt_f32_f16_e32 v20, v81
	v_div_scale_f32 v4, s[36:37], v3, v3, v2
	v_rcp_f32_e32 v5, v4
	s_waitcnt vmcnt(0)
	v_cvt_f32_f16_sdwa v23, v77 dst_sel:DWORD dst_unused:UNUSED_PAD src0_sel:WORD_1
	v_cvt_f32_f16_e32 v22, v77
	v_cvt_f32_f16_sdwa v25, v78 dst_sel:DWORD dst_unused:UNUSED_PAD src0_sel:WORD_1
	v_fma_f32 v6, -v4, v5, 1.0
	v_fmac_f32_e32 v5, v6, v5
	v_div_scale_f32 v6, vcc, v2, v3, v2
	v_mul_f32_e32 v7, v6, v5
	v_fma_f32 v8, -v4, v7, v6
	v_fmac_f32_e32 v7, v8, v5
	v_fma_f32 v4, -v4, v7, v6
	v_div_fmas_f32 v4, v4, v5, v7
	v_div_fixup_f32 v2, v4, v3, v2
	v_mov_b32_e32 v3, s21
	v_mov_b32_e32 v4, s20
	v_cndmask_b32_e64 v3, v3, v4, s[8:9]
	v_add_f32_e32 v2, v3, v2
	v_mul_f32_e32 v3, 0x4b800000, v2
	v_cmp_gt_f32_e32 vcc, s7, v2
	v_cndmask_b32_e32 v2, v2, v3, vcc
	v_rsq_f32_e32 v2, v2
	v_cvt_f32_f16_e32 v24, v78
	v_cvt_f32_f16_sdwa v27, v79 dst_sel:DWORD dst_unused:UNUSED_PAD src0_sel:WORD_1
	v_cvt_f32_f16_e32 v26, v79
	v_mul_f32_e32 v3, 0x45800000, v2
	v_cndmask_b32_e32 v2, v2, v3, vcc
	v_mov_b32_e32 v3, v2
	;;#ASMSTART
	v_pk_mul_f32 v[4:5], v[58:59], v[2:3]
	;;#ASMEND
	;;#ASMSTART
	v_pk_mul_f32 v[6:7], v[28:29], v[2:3]
	;;#ASMEND
	;; [unrolled: 3-line block ×6, first 2 shown]
	v_cvt_f32_f16_sdwa v19, v80 dst_sel:DWORD dst_unused:UNUSED_PAD src0_sel:WORD_1
	v_cvt_f32_f16_e32 v18, v80
	;;#ASMSTART
	v_pk_mul_f32 v[14:15], v[14:15], v[2:3]
	;;#ASMEND
	;;#ASMSTART
	v_pk_mul_f32 v[2:3], v[92:93], v[2:3]
	;;#ASMEND
	;; [unrolled: 3-line block ×4, first 2 shown]
	v_cvt_f32_f16_sdwa v5, v82 dst_sel:DWORD dst_unused:UNUSED_PAD src0_sel:WORD_1
	v_cvt_f32_f16_e32 v4, v82
	v_cvt_f32_f16_sdwa v7, v83 dst_sel:DWORD dst_unused:UNUSED_PAD src0_sel:WORD_1
	v_cvt_f32_f16_e32 v6, v83
	;; [unrolled: 2-line block ×3, first 2 shown]
	;;#ASMSTART
	v_pk_mul_f32 v[46:47], v[8:9], v[4:5]
	;;#ASMEND
	;;#ASMSTART
	v_pk_mul_f32 v[18:19], v[10:11], v[6:7]
	;;#ASMEND
	;; [unrolled: 3-line block ×6, first 2 shown]
	s_or_b64 exec, exec, s[30:31]
	s_mov_b64 s[8:9], -1
	s_and_b64 vcc, exec, s[10:11]
	s_cbranch_vccz .LBB957_15
.LBB957_19:
	s_and_saveexec_b64 s[8:9], s[0:1]
	s_cbranch_execz .LBB957_21
; %bb.20:
	v_cvt_f16_f32_e32 v2, v46
	v_cvt_f16_f32_e32 v3, v18
	;; [unrolled: 1-line block ×4, first 2 shown]
	s_mul_hi_i32 s11, s16, s6
	s_mul_i32 s10, s16, s6
	v_pack_b32_f16 v5, v3, v4
	v_pack_b32_f16 v4, v2, v6
	v_cvt_f16_f32_e32 v2, v28
	v_cvt_f16_f32_e32 v3, v29
	;; [unrolled: 1-line block ×3, first 2 shown]
	s_lshl_b64 s[10:11], s[10:11], 1
	s_add_u32 s36, s18, s10
	v_pack_b32_f16 v3, v2, v3
	v_cvt_f16_f32_e32 v2, v58
	s_addc_u32 s7, s19, s11
	s_and_b32 s37, s7, 0xffff
	s_mov_b32 s39, 0x20000
	v_pack_b32_f16 v2, v2, v6
	v_lshlrev_b32_e32 v6, 5, v0
	buffer_store_dwordx4 v[2:5], v6, s[36:39], 0 offen
	v_cvt_f16_f32_e32 v7, v15
	v_cvt_f16_f32_e32 v2, v14
	;; [unrolled: 1-line block ×4, first 2 shown]
	;;#ASMSTART
	s_nop 0
	;;#ASMEND
	v_pack_b32_f16 v5, v3, v4
	v_pack_b32_f16 v4, v2, v7
	v_cvt_f16_f32_e32 v2, v40
	v_cvt_f16_f32_e32 v3, v41
	;; [unrolled: 1-line block ×3, first 2 shown]
	v_pack_b32_f16 v3, v2, v3
	v_cvt_f16_f32_e32 v2, v68
	v_pack_b32_f16 v2, v2, v7
	buffer_store_dwordx4 v[2:5], v6, s[36:39], 16 offen
	;;#ASMSTART
	s_nop 0
	;;#ASMEND
.LBB957_21:
	s_or_b64 exec, exec, s[8:9]
	s_cbranch_execnz .LBB957_16
.LBB957_22:
	v_mov_b32_e32 v2, 0
	s_and_saveexec_b64 s[8:9], s[0:1]
	s_cbranch_execz .LBB957_24
; %bb.23:
	v_cvt_f16_f32_e32 v2, v46
	v_cvt_f16_f32_e32 v3, v18
	;; [unrolled: 1-line block ×4, first 2 shown]
	s_load_dwordx2 s[10:11], s[4:5], 0x10
	s_mul_hi_i32 s31, s15, s6
	v_pack_b32_f16 v5, v3, v4
	v_pack_b32_f16 v4, v2, v6
	v_cvt_f16_f32_e32 v2, v28
	v_cvt_f16_f32_e32 v3, v29
	;; [unrolled: 1-line block ×3, first 2 shown]
	s_mul_i32 s30, s15, s6
	s_lshl_b64 s[30:31], s[30:31], 1
	v_pack_b32_f16 v3, v2, v3
	v_cvt_f16_f32_e32 v2, v58
	s_waitcnt lgkmcnt(0)
	s_add_u32 s36, s10, s30
	s_addc_u32 s7, s11, s31
	s_and_b32 s37, s7, 0xffff
	v_pack_b32_f16 v2, v2, v6
	s_mov_b32 s39, 0x20000
	v_lshlrev_b32_e32 v6, 5, v0
	buffer_store_dwordx4 v[2:5], v6, s[36:39], 0 offen
	v_cvt_f16_f32_e32 v7, v15
	v_cvt_f16_f32_e32 v2, v14
	v_cvt_f16_f32_e32 v3, v92
	v_cvt_f16_f32_e32 v4, v93
	;;#ASMSTART
	s_nop 0
	;;#ASMEND
	v_pack_b32_f16 v5, v3, v4
	v_pack_b32_f16 v4, v2, v7
	v_cvt_f16_f32_e32 v2, v40
	v_cvt_f16_f32_e32 v3, v41
	;; [unrolled: 1-line block ×3, first 2 shown]
	v_pack_b32_f16 v3, v2, v3
	v_cvt_f16_f32_e32 v2, v68
	v_pack_b32_f16 v2, v2, v7
	buffer_store_dwordx4 v[2:5], v6, s[36:39], 16 offen
	;;#ASMSTART
	s_nop 0
	;;#ASMEND
	s_nop 0
	v_mov_b32_e32 v2, 0x2edbe6ff
.LBB957_24:
	s_or_b64 exec, exec, s[8:9]
	s_and_saveexec_b64 s[8:9], s[0:1]
	s_cbranch_execz .LBB957_26
; %bb.25:
	v_and_b32_e32 v3, 0x7fffffff, v58
	v_and_b32_e32 v4, 0x7fffffff, v59
	;;#ASMSTART
	v_max3_f32 v2, v2, v3, v4

	;;#ASMEND
	v_and_b32_e32 v3, 0x7fffffff, v28
	v_and_b32_e32 v4, 0x7fffffff, v29
	;;#ASMSTART
	v_max3_f32 v2, v2, v3, v4

	;;#ASMEND
	;; [unrolled: 6-line block ×8, first 2 shown]
.LBB957_26:
	s_or_b64 exec, exec, s[8:9]
	;;#ASMSTART
	v_max_f32 v3, v2, v2 quad_perm:[1,0,3,2] row_mask:0xf bank_mask:0xf bound_ctrl:1
	;;#ASMEND
	;;#ASMSTART
	v_max_f32 v2, v3, v3 quad_perm:[2,3,0,1] row_mask:0xf bank_mask:0xf bound_ctrl:1
	;;#ASMEND
	v_and_b32_e32 v3, 3, v0
	v_cmp_eq_u32_e32 vcc, 0, v3
	v_cmp_gt_i32_e64 s[8:9], s23, v1
	v_mul_f32_e32 v2, 0x3b124925, v2
	s_and_b64 s[10:11], vcc, s[8:9]
	s_and_saveexec_b64 s[8:9], s[10:11]
	s_cbranch_execz .LBB957_28
; %bb.27:
	s_load_dwordx2 s[10:11], s[4:5], 0x8
	v_lshrrev_b32_e32 v3, 2, v0
	s_mul_hi_i32 s31, s13, s6
	s_mul_i32 s30, s13, s6
	v_mad_i64_i32 v[4:5], s[14:15], s14, v3, 0
	s_lshl_b64 s[14:15], s[30:31], 2
	s_waitcnt lgkmcnt(0)
	s_add_u32 s7, s10, s14
	s_addc_u32 s10, s11, s15
	v_lshlrev_b64 v[4:5], 2, v[4:5]
	v_mov_b32_e32 v3, s10
	v_add_co_u32_e32 v4, vcc, s7, v4
	v_addc_co_u32_e32 v5, vcc, v3, v5, vcc
	global_store_dword v[4:5], v2, off
.LBB957_28:
	s_or_b64 exec, exec, s[8:9]
	;;#ASMSTART
	v_rcp_f32 v2, v2
	;;#ASMEND
	s_and_saveexec_b64 s[14:15], s[0:1]
	s_cbranch_execz .LBB957_30
; %bb.29:
	v_mov_b32_e32 v3, v2
	;;#ASMSTART
	v_pk_mul_f32 v[4:5], v[58:59], v[2:3]
	;;#ASMEND
	v_mov_b32_e32 v10, 0xc3e00000
	v_mov_b32_e32 v11, 0x43e00000
	;;#ASMSTART
	v_med3_f32 v4, v4, v10, v11
v_med3_f32 v5, v5, v10, v11
v_cvt_pk_fp8_f32 v6, v4, v5
	;;#ASMEND
	;;#ASMSTART
	v_pk_mul_f32 v[4:5], v[28:29], v[2:3]
	;;#ASMEND
	;;#ASMSTART
	v_med3_f32 v4, v4, v10, v11
v_med3_f32 v5, v5, v10, v11
v_cvt_pk_fp8_f32 v7, v4, v5
	;;#ASMEND
	;;#ASMSTART
	v_pk_mul_f32 v[4:5], v[46:47], v[2:3]
	;;#ASMEND
	;; [unrolled: 8-line block ×3, first 2 shown]
	;;#ASMSTART
	v_med3_f32 v4, v4, v10, v11
v_med3_f32 v5, v5, v10, v11
v_cvt_pk_fp8_f32 v9, v4, v5
	;;#ASMEND
	s_mov_b32 s0, 0x5040100
	v_perm_b32 v4, v7, v6, s0
	s_mov_b32 s0, 0x1060504
	v_perm_b32 v4, v4, v7, s0
	s_load_dwordx2 s[0:1], s[4:5], 0x0
	s_mov_b32 s7, 0x1000504
	;;#ASMSTART
	v_pk_mul_f32 v[6:7], v[68:69], v[2:3]
	;;#ASMEND
	v_perm_b32 v5, v8, v9, s7
	s_mul_i32 s8, s12, s6
	;;#ASMSTART
	v_med3_f32 v6, v6, v10, v11
v_med3_f32 v7, v7, v10, v11
v_cvt_pk_fp8_f32 v8, v6, v7
	;;#ASMEND
	s_mul_hi_i32 s9, s12, s6
	s_waitcnt lgkmcnt(0)
	s_add_u32 s8, s0, s8
	;;#ASMSTART
	v_pk_mul_f32 v[6:7], v[40:41], v[2:3]
	;;#ASMEND
	s_addc_u32 s0, s1, s9
	s_add_i32 s1, s23, 3
	;;#ASMSTART
	v_med3_f32 v6, v6, v10, v11
v_med3_f32 v7, v7, v10, v11
v_cvt_pk_fp8_f32 v9, v6, v7
	;;#ASMEND
	s_ashr_i32 s9, s1, 31
	v_perm_b32 v6, v8, v9, s7
	;;#ASMSTART
	v_pk_mul_f32 v[8:9], v[14:15], v[2:3]
	;;#ASMEND
	v_mov_b32_e32 v7, v9
	s_lshr_b32 s9, s9, 30
	;;#ASMSTART
	v_med3_f32 v8, v8, v10, v11
v_med3_f32 v7, v7, v10, v11
v_cvt_pk_fp8_f32 v9, v8, v7
	;;#ASMEND
	;;#ASMSTART
	v_pk_mul_f32 v[2:3], v[92:93], v[2:3]
	;;#ASMEND
	s_add_i32 s1, s1, s9
	;;#ASMSTART
	v_med3_f32 v2, v2, v10, v11
v_med3_f32 v3, v3, v10, v11
v_cvt_pk_fp8_f32 v7, v2, v3
	;;#ASMEND
	s_and_b32 s10, s1, -4
	s_and_b32 s9, s0, 0xffff
	s_mov_b32 s11, 0x20000
	v_perm_b32 v7, v9, v7, s7
	buffer_store_dwordx4 v[4:7], v1, s[8:11], 0 offen
	;;#ASMSTART
	s_nop 0
	;;#ASMEND
.LBB957_30:
	s_or_b64 exec, exec, s[14:15]
	s_cmp_lt_i32 s24, 1
	s_cbranch_scc1 .LBB957_17
.LBB957_31:
	s_load_dword s0, s[4:5], 0x94
	s_waitcnt lgkmcnt(0)
	s_cmp_lg_u32 s0, 1
	s_cbranch_scc1 .LBB957_17
; %bb.32:
	s_lshl_b32 s0, s24, 1
	s_add_i32 s0, s0, 2
	v_cmp_gt_u32_e32 vcc, s24, v1
	s_and_b32 s30, s0, -4
	v_mov_b32_e32 v18, 0
	v_lshlrev_b32_e32 v1, 5, v0
	v_mov_b32_e32 v14, 0
	v_mov_b32_e32 v15, 0
	;; [unrolled: 1-line block ×16, first 2 shown]
	s_barrier
	s_and_saveexec_b64 s[0:1], vcc
	s_cbranch_execz .LBB957_34
; %bb.33:
	s_mul_hi_i32 s5, s26, s6
	s_mul_i32 s4, s26, s6
	s_and_b32 s29, s29, 0xffff
	s_lshl_b64 s[4:5], s[4:5], 1
	s_add_u32 s8, s34, s4
	s_mov_b32 s31, 0x20000
	s_addc_u32 s4, s35, s5
	s_and_b32 s9, s4, 0xffff
	s_mov_b32 s10, s30
	s_mov_b32 s11, s31
	buffer_load_dwordx4 v[14:17], v1, s[8:11], 0 offen
	buffer_load_dwordx4 v[10:13], v1, s[8:11], 16 offen
	;; [unrolled: 1-line block ×4, first 2 shown]
.LBB957_34:
	s_or_b64 exec, exec, s[0:1]
	v_mov_b32_e32 v19, 0
	v_mov_b32_e32 v32, 0
	v_mov_b32_e32 v33, 0
	v_mov_b32_e32 v30, 0
	v_mov_b32_e32 v31, 0
	v_mov_b32_e32 v28, 0
	v_mov_b32_e32 v29, 0
	v_mov_b32_e32 v26, 0
	v_mov_b32_e32 v27, 0
	v_mov_b32_e32 v24, 0
	v_mov_b32_e32 v25, 0
	v_mov_b32_e32 v22, 0
	v_mov_b32_e32 v23, 0
	v_mov_b32_e32 v20, 0
	v_mov_b32_e32 v21, 0
	s_and_saveexec_b64 s[0:1], vcc
	s_cbranch_execz .LBB957_36
; %bb.35:
	s_waitcnt vmcnt(3)
	v_cvt_f32_f16_sdwa v19, v14 dst_sel:DWORD dst_unused:UNUSED_PAD src0_sel:WORD_1
	v_cvt_f32_f16_e32 v18, v14
	v_cvt_f32_f16_sdwa v33, v15 dst_sel:DWORD dst_unused:UNUSED_PAD src0_sel:WORD_1
	v_cvt_f32_f16_e32 v32, v15
	v_cvt_f32_f16_sdwa v31, v16 dst_sel:DWORD dst_unused:UNUSED_PAD src0_sel:WORD_1
	v_cvt_f32_f16_e32 v30, v16
	v_cvt_f32_f16_sdwa v29, v17 dst_sel:DWORD dst_unused:UNUSED_PAD src0_sel:WORD_1
	v_cvt_f32_f16_e32 v28, v17
	s_waitcnt vmcnt(2)
	v_cvt_f32_f16_sdwa v27, v10 dst_sel:DWORD dst_unused:UNUSED_PAD src0_sel:WORD_1
	v_cvt_f32_f16_e32 v26, v10
	v_cvt_f32_f16_sdwa v25, v11 dst_sel:DWORD dst_unused:UNUSED_PAD src0_sel:WORD_1
	v_cvt_f32_f16_e32 v24, v11
	;; [unrolled: 2-line block ×4, first 2 shown]
.LBB957_36:
	s_or_b64 exec, exec, s[0:1]
	s_waitcnt vmcnt(2)
	v_mul_f32_e32 v10, v19, v19
	v_fmac_f32_e32 v10, v18, v18
	v_fmac_f32_e32 v10, v32, v32
	;; [unrolled: 1-line block ×15, first 2 shown]
	s_nop 1
	v_mov_b32_dpp v11, v10 quad_perm:[1,0,3,2] row_mask:0xf bank_mask:0xf
	v_add_f32_e32 v10, v10, v11
	s_nop 1
	v_mov_b32_dpp v11, v10 quad_perm:[2,3,0,1] row_mask:0xf bank_mask:0xf
	v_add_f32_e32 v10, v10, v11
	s_nop 1
	v_mov_b32_dpp v11, v10 row_half_mirror row_mask:0xf bank_mask:0xf
	v_add_f32_e32 v10, v10, v11
	s_nop 1
	v_mov_b32_dpp v11, v10 row_mirror row_mask:0xf bank_mask:0xf
	v_add_f32_e32 v10, v10, v11
	s_nop 1
	v_mov_b32_dpp v11, v10 row_bcast:15 row_mask:0xf bank_mask:0xf
	v_add_f32_e32 v10, v10, v11
	s_nop 1
	v_mov_b32_dpp v11, v10 row_bcast:31 row_mask:0xf bank_mask:0xf
	s_and_saveexec_b64 s[0:1], s[2:3]
	s_cbranch_execz .LBB957_38
; %bb.37:
	v_lshrrev_b32_e32 v0, 4, v0
	v_add_f32_e32 v10, v10, v11
	v_and_b32_e32 v0, 60, v0
	ds_write_b32 v0, v10
.LBB957_38:
	s_or_b64 exec, exec, s[0:1]
	s_waitcnt lgkmcnt(0)
	s_barrier
	ds_read_b32 v0, v34
	s_waitcnt lgkmcnt(0)
	s_nop 0
	v_mov_b32_dpp v10, v0 quad_perm:[1,0,3,2] row_mask:0xf bank_mask:0xf
	v_add_f32_e32 v0, v0, v10
	s_nop 1
	v_mov_b32_dpp v10, v0 quad_perm:[2,3,0,1] row_mask:0xf bank_mask:0xf
	v_add_f32_e32 v0, v0, v10
	s_nop 1
	v_mov_b32_dpp v10, v0 row_half_mirror row_mask:0xf bank_mask:0xf
	s_and_saveexec_b64 s[0:1], vcc
	s_cbranch_execz .LBB957_17
; %bb.39:
	v_cvt_f32_u32_e32 v11, s24
	v_add_f32_e32 v0, v0, v10
	s_mov_b32 s31, 0x20000
	v_div_scale_f32 v10, s[0:1], v11, v11, v0
	v_rcp_f32_e32 v12, v10
	v_div_scale_f32 v13, vcc, v0, v11, v0
	s_mov_b32 s0, 0x800000
	v_fma_f32 v14, -v10, v12, 1.0
	v_fmac_f32_e32 v12, v14, v12
	v_mul_f32_e32 v14, v13, v12
	v_fma_f32 v15, -v10, v14, v13
	v_fmac_f32_e32 v14, v15, v12
	v_fma_f32 v10, -v10, v14, v13
	v_div_fmas_f32 v10, v10, v12, v14
	v_div_fixup_f32 v0, v10, v11, v0
	v_add_f32_e32 v0, s21, v0
	v_mul_f32_e32 v10, 0x4b800000, v0
	v_cmp_gt_f32_e32 vcc, s0, v0
	v_cndmask_b32_e32 v0, v0, v10, vcc
	v_rsq_f32_e32 v0, v0
	s_mul_hi_i32 s1, s16, s6
	s_mul_i32 s0, s16, s6
	s_lshl_b64 s[0:1], s[0:1], 1
	v_mul_f32_e32 v10, 0x45800000, v0
	v_cndmask_b32_e32 v10, v0, v10, vcc
	v_mov_b32_e32 v11, v10
	;;#ASMSTART
	v_pk_mul_f32 v[12:13], v[18:19], v[10:11]
	;;#ASMEND
	;;#ASMSTART
	v_pk_mul_f32 v[14:15], v[32:33], v[10:11]
	;;#ASMEND
	;; [unrolled: 3-line block ×8, first 2 shown]
	s_waitcnt vmcnt(1)
	v_cvt_f32_f16_sdwa v21, v6 dst_sel:DWORD dst_unused:UNUSED_PAD src0_sel:WORD_1
	v_cvt_f32_f16_e32 v20, v6
	v_cvt_f32_f16_sdwa v29, v7 dst_sel:DWORD dst_unused:UNUSED_PAD src0_sel:WORD_1
	v_cvt_f32_f16_e32 v28, v7
	;; [unrolled: 2-line block ×4, first 2 shown]
	;;#ASMSTART
	v_pk_mul_f32 v[8:9], v[12:13], v[20:21]
	;;#ASMEND
	;;#ASMSTART
	v_pk_mul_f32 v[12:13], v[14:15], v[28:29]
	;;#ASMEND
	;; [unrolled: 3-line block ×4, first 2 shown]
	s_waitcnt vmcnt(0)
	v_cvt_f32_f16_sdwa v17, v2 dst_sel:DWORD dst_unused:UNUSED_PAD src0_sel:WORD_1
	v_cvt_f32_f16_e32 v16, v2
	v_cvt_f32_f16_sdwa v19, v3 dst_sel:DWORD dst_unused:UNUSED_PAD src0_sel:WORD_1
	v_cvt_f32_f16_e32 v18, v3
	v_cvt_f32_f16_sdwa v3, v4 dst_sel:DWORD dst_unused:UNUSED_PAD src0_sel:WORD_1
	v_cvt_f32_f16_e32 v2, v4
	v_cvt_f32_f16_sdwa v21, v5 dst_sel:DWORD dst_unused:UNUSED_PAD src0_sel:WORD_1
	v_cvt_f32_f16_e32 v20, v5
	;;#ASMSTART
	v_pk_mul_f32 v[16:17], v[26:27], v[16:17]
	;;#ASMEND
	;;#ASMSTART
	v_pk_mul_f32 v[18:19], v[24:25], v[18:19]
	;;#ASMEND
	;;#ASMSTART
	v_pk_mul_f32 v[22:23], v[22:23], v[2:3]
	;;#ASMEND
	v_cvt_f16_f32_e32 v0, v8
	v_cvt_f16_f32_e32 v2, v9
	;; [unrolled: 1-line block ×8, first 2 shown]
	s_add_u32 s28, s18, s0
	s_addc_u32 s0, s19, s1
	s_and_b32 s29, s0, 0xffff
	v_pack_b32_f16 v2, v0, v2
	v_pack_b32_f16 v3, v3, v4
	;; [unrolled: 1-line block ×4, first 2 shown]
	;;#ASMSTART
	v_pk_mul_f32 v[10:11], v[10:11], v[20:21]
	;;#ASMEND
	buffer_store_dwordx4 v[2:5], v1, s[28:31], 0 offen
	v_cvt_f16_f32_e32 v0, v16
	v_cvt_f16_f32_e32 v2, v17
	;; [unrolled: 1-line block ×8, first 2 shown]
	v_pack_b32_f16 v2, v0, v2
	v_pack_b32_f16 v3, v3, v4
	;; [unrolled: 1-line block ×4, first 2 shown]
	;;#ASMSTART
	s_nop 0
	;;#ASMEND
	buffer_store_dwordx4 v[2:5], v1, s[28:31], 16 offen
	;;#ASMSTART
	s_nop 0
	;;#ASMEND
	s_endpgm
	.section	.rodata,"a",@progbits
	.p2align	6, 0x0
	.amdhsa_kernel _ZN5aiter35fused_qk_rmsnorm_group_quant_kernelIDF16_DB8_Li512ELi16ELi4ELb1ELb1ELb0ELb0ELb0ELb0EEEvPT0_PvPT_S6_S6_PKS5_S8_S8_S8_S8_ffiiiiiiiiiiiii
		.amdhsa_group_segment_fixed_size 64
		.amdhsa_private_segment_fixed_size 0
		.amdhsa_kernarg_size 400
		.amdhsa_user_sgpr_count 6
		.amdhsa_user_sgpr_private_segment_buffer 1
		.amdhsa_user_sgpr_dispatch_ptr 0
		.amdhsa_user_sgpr_queue_ptr 0
		.amdhsa_user_sgpr_kernarg_segment_ptr 1
		.amdhsa_user_sgpr_dispatch_id 0
		.amdhsa_user_sgpr_flat_scratch_init 0
		.amdhsa_user_sgpr_kernarg_preload_length 0
		.amdhsa_user_sgpr_kernarg_preload_offset 0
		.amdhsa_user_sgpr_private_segment_size 0
		.amdhsa_uses_dynamic_stack 0
		.amdhsa_system_sgpr_private_segment_wavefront_offset 0
		.amdhsa_system_sgpr_workgroup_id_x 1
		.amdhsa_system_sgpr_workgroup_id_y 1
		.amdhsa_system_sgpr_workgroup_id_z 0
		.amdhsa_system_sgpr_workgroup_info 0
		.amdhsa_system_vgpr_workitem_id 0
		.amdhsa_next_free_vgpr 94
		.amdhsa_next_free_sgpr 44
		.amdhsa_accum_offset 96
		.amdhsa_reserve_vcc 1
		.amdhsa_reserve_flat_scratch 0
		.amdhsa_float_round_mode_32 0
		.amdhsa_float_round_mode_16_64 0
		.amdhsa_float_denorm_mode_32 3
		.amdhsa_float_denorm_mode_16_64 3
		.amdhsa_dx10_clamp 1
		.amdhsa_ieee_mode 1
		.amdhsa_fp16_overflow 0
		.amdhsa_tg_split 0
		.amdhsa_exception_fp_ieee_invalid_op 0
		.amdhsa_exception_fp_denorm_src 0
		.amdhsa_exception_fp_ieee_div_zero 0
		.amdhsa_exception_fp_ieee_overflow 0
		.amdhsa_exception_fp_ieee_underflow 0
		.amdhsa_exception_fp_ieee_inexact 0
		.amdhsa_exception_int_div_zero 0
	.end_amdhsa_kernel
	.section	.text._ZN5aiter35fused_qk_rmsnorm_group_quant_kernelIDF16_DB8_Li512ELi16ELi4ELb1ELb1ELb0ELb0ELb0ELb0EEEvPT0_PvPT_S6_S6_PKS5_S8_S8_S8_S8_ffiiiiiiiiiiiii,"axG",@progbits,_ZN5aiter35fused_qk_rmsnorm_group_quant_kernelIDF16_DB8_Li512ELi16ELi4ELb1ELb1ELb0ELb0ELb0ELb0EEEvPT0_PvPT_S6_S6_PKS5_S8_S8_S8_S8_ffiiiiiiiiiiiii,comdat
.Lfunc_end957:
	.size	_ZN5aiter35fused_qk_rmsnorm_group_quant_kernelIDF16_DB8_Li512ELi16ELi4ELb1ELb1ELb0ELb0ELb0ELb0EEEvPT0_PvPT_S6_S6_PKS5_S8_S8_S8_S8_ffiiiiiiiiiiiii, .Lfunc_end957-_ZN5aiter35fused_qk_rmsnorm_group_quant_kernelIDF16_DB8_Li512ELi16ELi4ELb1ELb1ELb0ELb0ELb0ELb0EEEvPT0_PvPT_S6_S6_PKS5_S8_S8_S8_S8_ffiiiiiiiiiiiii
                                        ; -- End function
	.section	.AMDGPU.csdata,"",@progbits
; Kernel info:
; codeLenInByte = 4296
; NumSgprs: 48
; NumVgprs: 94
; NumAgprs: 0
; TotalNumVgprs: 94
; ScratchSize: 0
; MemoryBound: 0
; FloatMode: 240
; IeeeMode: 1
; LDSByteSize: 64 bytes/workgroup (compile time only)
; SGPRBlocks: 5
; VGPRBlocks: 11
; NumSGPRsForWavesPerEU: 48
; NumVGPRsForWavesPerEU: 94
; AccumOffset: 96
; Occupancy: 5
; WaveLimiterHint : 0
; COMPUTE_PGM_RSRC2:SCRATCH_EN: 0
; COMPUTE_PGM_RSRC2:USER_SGPR: 6
; COMPUTE_PGM_RSRC2:TRAP_HANDLER: 0
; COMPUTE_PGM_RSRC2:TGID_X_EN: 1
; COMPUTE_PGM_RSRC2:TGID_Y_EN: 1
; COMPUTE_PGM_RSRC2:TGID_Z_EN: 0
; COMPUTE_PGM_RSRC2:TIDIG_COMP_CNT: 0
; COMPUTE_PGM_RSRC3_GFX90A:ACCUM_OFFSET: 23
; COMPUTE_PGM_RSRC3_GFX90A:TG_SPLIT: 0
	.section	.text._ZN5aiter35fused_qk_rmsnorm_group_quant_kernelItDB8_Li512ELi16ELi4ELb1ELb1ELb0ELb0ELb0ELb0EEEvPT0_PvPT_S6_S6_PKS5_S8_S8_S8_S8_ffiiiiiiiiiiiii,"axG",@progbits,_ZN5aiter35fused_qk_rmsnorm_group_quant_kernelItDB8_Li512ELi16ELi4ELb1ELb1ELb0ELb0ELb0ELb0EEEvPT0_PvPT_S6_S6_PKS5_S8_S8_S8_S8_ffiiiiiiiiiiiii,comdat
	.protected	_ZN5aiter35fused_qk_rmsnorm_group_quant_kernelItDB8_Li512ELi16ELi4ELb1ELb1ELb0ELb0ELb0ELb0EEEvPT0_PvPT_S6_S6_PKS5_S8_S8_S8_S8_ffiiiiiiiiiiiii ; -- Begin function _ZN5aiter35fused_qk_rmsnorm_group_quant_kernelItDB8_Li512ELi16ELi4ELb1ELb1ELb0ELb0ELb0ELb0EEEvPT0_PvPT_S6_S6_PKS5_S8_S8_S8_S8_ffiiiiiiiiiiiii
	.globl	_ZN5aiter35fused_qk_rmsnorm_group_quant_kernelItDB8_Li512ELi16ELi4ELb1ELb1ELb0ELb0ELb0ELb0EEEvPT0_PvPT_S6_S6_PKS5_S8_S8_S8_S8_ffiiiiiiiiiiiii
	.p2align	8
	.type	_ZN5aiter35fused_qk_rmsnorm_group_quant_kernelItDB8_Li512ELi16ELi4ELb1ELb1ELb0ELb0ELb0ELb0EEEvPT0_PvPT_S6_S6_PKS5_S8_S8_S8_S8_ffiiiiiiiiiiiii,@function
_ZN5aiter35fused_qk_rmsnorm_group_quant_kernelItDB8_Li512ELi16ELi4ELb1ELb1ELb0ELb0ELb0ELb0EEEvPT0_PvPT_S6_S6_PKS5_S8_S8_S8_S8_ffiiiiiiiiiiiii: ; @_ZN5aiter35fused_qk_rmsnorm_group_quant_kernelItDB8_Li512ELi16ELi4ELb1ELb1ELb0ELb0ELb0ELb0EEEvPT0_PvPT_S6_S6_PKS5_S8_S8_S8_S8_ffiiiiiiiiiiiii
; %bb.0:
	s_load_dwordx8 s[20:27], s[4:5], 0x50
	s_waitcnt lgkmcnt(0)
	s_cmp_ge_i32 s6, s22
	s_cbranch_scc1 .LBB958_17
; %bb.1:
	s_cmp_lg_u32 s7, 0
	s_cselect_b64 s[10:11], -1, 0
	s_cmp_eq_u32 s7, 0
	s_cselect_b64 s[8:9], -1, 0
	s_and_b64 s[0:1], s[8:9], exec
	s_load_dwordx2 s[28:29], s[4:5], 0x48
	s_load_dwordx2 s[34:35], s[4:5], 0x30
	s_load_dwordx8 s[12:19], s[4:5], 0x70
	s_cselect_b32 s7, s23, s24
	s_add_i32 s0, s7, 1
	s_lshr_b32 s1, s0, 31
	s_add_i32 s0, s0, s1
	s_lshl_b32 s0, s0, 1
	v_lshlrev_b32_e32 v1, 4, v0
	s_and_b32 s38, s0, -4
	v_cmp_gt_i32_e64 s[0:1], s7, v1
	v_mov_b32_e32 v82, 0
	v_mov_b32_e32 v83, 0
	;; [unrolled: 1-line block ×16, first 2 shown]
	s_and_saveexec_b64 s[2:3], s[0:1]
	s_cbranch_execz .LBB958_3
; %bb.2:
	s_waitcnt lgkmcnt(0)
	s_load_dwordx2 s[18:19], s[4:5], 0x28
	s_load_dwordx2 s[30:31], s[4:5], 0x40
	s_and_b64 s[36:37], s[8:9], exec
	s_cselect_b32 s22, s25, s26
	s_mov_b32 s39, 0x20000
	s_waitcnt lgkmcnt(0)
	s_cselect_b32 s25, s19, s35
	s_cselect_b32 s33, s18, s34
	s_mul_hi_i32 s19, s22, s6
	s_mul_i32 s18, s22, s6
	s_lshl_b64 s[18:19], s[18:19], 1
	s_add_u32 s40, s33, s18
	s_addc_u32 s22, s25, s19
	s_and_b64 s[18:19], s[8:9], exec
	s_cselect_b32 s36, s30, s28
	s_cselect_b32 s18, s31, s29
	s_and_b32 s41, s22, 0xffff
	s_mov_b32 s42, s38
	s_mov_b32 s43, s39
	v_lshlrev_b32_e32 v2, 5, v0
	s_and_b32 s37, s18, 0xffff
	buffer_load_dwordx4 v[86:89], v2, s[40:43], 0 offen
	buffer_load_dwordx4 v[90:93], v2, s[40:43], 16 offen
	;; [unrolled: 1-line block ×4, first 2 shown]
.LBB958_3:
	s_or_b64 exec, exec, s[2:3]
	s_and_b64 vcc, exec, s[10:11]
	s_cbranch_vccz .LBB958_7
; %bb.4:
	v_mov_b32_e32 v95, 0
	v_mov_b32_e32 v94, 0
	;; [unrolled: 1-line block ×16, first 2 shown]
	s_and_saveexec_b64 s[2:3], s[0:1]
	s_cbranch_execz .LBB958_6
; %bb.5:
	s_waitcnt vmcnt(3)
	v_cvt_f32_u32_sdwa v62, v86 dst_sel:DWORD dst_unused:UNUSED_PAD src0_sel:WORD_0
	v_cvt_f32_u32_sdwa v63, v86 dst_sel:DWORD dst_unused:UNUSED_PAD src0_sel:WORD_1
	v_cvt_f32_u32_sdwa v24, v87 dst_sel:DWORD dst_unused:UNUSED_PAD src0_sel:WORD_0
	v_cvt_f32_u32_sdwa v25, v87 dst_sel:DWORD dst_unused:UNUSED_PAD src0_sel:WORD_1
	;; [unrolled: 2-line block ×4, first 2 shown]
	s_waitcnt vmcnt(2)
	v_cvt_f32_u32_sdwa v42, v90 dst_sel:DWORD dst_unused:UNUSED_PAD src0_sel:WORD_0
	v_cvt_f32_u32_sdwa v43, v90 dst_sel:DWORD dst_unused:UNUSED_PAD src0_sel:WORD_1
	v_cvt_f32_u32_sdwa v18, v91 dst_sel:DWORD dst_unused:UNUSED_PAD src0_sel:WORD_0
	v_cvt_f32_u32_sdwa v19, v91 dst_sel:DWORD dst_unused:UNUSED_PAD src0_sel:WORD_1
	v_cvt_f32_u32_sdwa v14, v92 dst_sel:DWORD dst_unused:UNUSED_PAD src0_sel:WORD_0
	v_cvt_f32_u32_sdwa v15, v92 dst_sel:DWORD dst_unused:UNUSED_PAD src0_sel:WORD_1
	v_cvt_f32_u32_sdwa v94, v93 dst_sel:DWORD dst_unused:UNUSED_PAD src0_sel:WORD_0
	v_cvt_f32_u32_sdwa v95, v93 dst_sel:DWORD dst_unused:UNUSED_PAD src0_sel:WORD_1
.LBB958_6:
	s_or_b64 exec, exec, s[2:3]
	s_cbranch_execz .LBB958_8
	s_branch .LBB958_11
.LBB958_7:
                                        ; implicit-def: $vgpr22_vgpr23_vgpr24_vgpr25_vgpr26_vgpr27_vgpr28_vgpr29_vgpr30_vgpr31_vgpr32_vgpr33_vgpr34_vgpr35_vgpr36_vgpr37
                                        ; implicit-def: $vgpr46_vgpr47_vgpr48_vgpr49_vgpr50_vgpr51_vgpr52_vgpr53_vgpr54_vgpr55_vgpr56_vgpr57_vgpr58_vgpr59_vgpr60_vgpr61
                                        ; implicit-def: $vgpr26_vgpr27_vgpr28_vgpr29_vgpr30_vgpr31_vgpr32_vgpr33_vgpr34_vgpr35_vgpr36_vgpr37_vgpr38_vgpr39_vgpr40_vgpr41
                                        ; implicit-def: $vgpr8_vgpr9_vgpr10_vgpr11_vgpr12_vgpr13_vgpr14_vgpr15_vgpr16_vgpr17_vgpr18_vgpr19_vgpr20_vgpr21_vgpr22_vgpr23
                                        ; implicit-def: $vgpr95
                                        ; implicit-def: $vgpr62_vgpr63_vgpr64_vgpr65_vgpr66_vgpr67_vgpr68_vgpr69_vgpr70_vgpr71_vgpr72_vgpr73_vgpr74_vgpr75_vgpr76_vgpr77
                                        ; implicit-def: $vgpr34_vgpr35_vgpr36_vgpr37_vgpr38_vgpr39_vgpr40_vgpr41_vgpr42_vgpr43_vgpr44_vgpr45_vgpr46_vgpr47_vgpr48_vgpr49
                                        ; implicit-def: $vgpr2_vgpr3_vgpr4_vgpr5_vgpr6_vgpr7_vgpr8_vgpr9_vgpr10_vgpr11_vgpr12_vgpr13_vgpr14_vgpr15_vgpr16_vgpr17
.LBB958_8:
	v_mov_b32_e32 v95, 0
	v_mov_b32_e32 v94, 0
	;; [unrolled: 1-line block ×16, first 2 shown]
	s_and_saveexec_b64 s[2:3], s[0:1]
	s_cbranch_execz .LBB958_10
; %bb.9:
	s_waitcnt lgkmcnt(0)
	s_load_dwordx2 s[18:19], s[4:5], 0x38
	s_mul_hi_i32 s31, s27, s6
	s_mul_i32 s30, s27, s6
	s_lshl_b64 s[30:31], s[30:31], 1
	s_mov_b32 s39, 0x20000
	s_waitcnt lgkmcnt(0)
	s_add_u32 s36, s18, s30
	s_addc_u32 s18, s19, s31
	s_and_b32 s37, s18, 0xffff
	v_lshlrev_b32_e32 v38, 5, v0
	buffer_load_dwordx4 v[4:7], v38, s[36:39], 16 offen
	buffer_load_dwordx4 v[8:11], v38, s[36:39], 0 offen
	s_load_dwordx2 s[18:19], s[4:5], 0x20
	s_waitcnt vmcnt(5)
	v_cvt_f32_u32_sdwa v19, v86 dst_sel:DWORD dst_unused:UNUSED_PAD src0_sel:WORD_1
	v_cvt_f32_u32_sdwa v18, v86 dst_sel:DWORD dst_unused:UNUSED_PAD src0_sel:WORD_0
	v_cvt_f32_u32_sdwa v21, v87 dst_sel:DWORD dst_unused:UNUSED_PAD src0_sel:WORD_1
	v_cvt_f32_u32_sdwa v20, v87 dst_sel:DWORD dst_unused:UNUSED_PAD src0_sel:WORD_0
	;; [unrolled: 2-line block ×4, first 2 shown]
	s_waitcnt vmcnt(4)
	v_cvt_f32_u32_sdwa v3, v90 dst_sel:DWORD dst_unused:UNUSED_PAD src0_sel:WORD_1
	v_cvt_f32_u32_sdwa v2, v90 dst_sel:DWORD dst_unused:UNUSED_PAD src0_sel:WORD_0
	v_cvt_f32_u32_sdwa v13, v91 dst_sel:DWORD dst_unused:UNUSED_PAD src0_sel:WORD_1
	v_cvt_f32_u32_sdwa v12, v91 dst_sel:DWORD dst_unused:UNUSED_PAD src0_sel:WORD_0
	;; [unrolled: 2-line block ×3, first 2 shown]
	v_cvt_f32_u32_sdwa v16, v93 dst_sel:DWORD dst_unused:UNUSED_PAD src0_sel:WORD_0
	v_cvt_f32_u32_sdwa v17, v93 dst_sel:DWORD dst_unused:UNUSED_PAD src0_sel:WORD_1
	s_mul_hi_i32 s31, s17, s6
	s_mul_i32 s30, s17, s6
	s_lshl_b64 s[30:31], s[30:31], 1
	s_waitcnt lgkmcnt(0)
	s_add_u32 s36, s18, s30
	s_mov_b32 s17, 0x7060302
	s_addc_u32 s18, s19, s31
	s_and_b32 s37, s18, 0xffff
	s_waitcnt vmcnt(1)
	v_cvt_f32_u32_sdwa v27, v4 dst_sel:DWORD dst_unused:UNUSED_PAD src0_sel:WORD_1
	v_cvt_f32_u32_sdwa v26, v4 dst_sel:DWORD dst_unused:UNUSED_PAD src0_sel:WORD_0
	v_cvt_f32_u32_sdwa v29, v5 dst_sel:DWORD dst_unused:UNUSED_PAD src0_sel:WORD_1
	v_cvt_f32_u32_sdwa v28, v5 dst_sel:DWORD dst_unused:UNUSED_PAD src0_sel:WORD_0
	;; [unrolled: 2-line block ×3, first 2 shown]
	v_cvt_f32_u32_sdwa v34, v7 dst_sel:DWORD dst_unused:UNUSED_PAD src0_sel:WORD_0
	v_cvt_f32_u32_sdwa v35, v7 dst_sel:DWORD dst_unused:UNUSED_PAD src0_sel:WORD_1
	s_waitcnt vmcnt(0)
	v_cvt_f32_u32_sdwa v37, v8 dst_sel:DWORD dst_unused:UNUSED_PAD src0_sel:WORD_1
	v_cvt_f32_u32_sdwa v36, v8 dst_sel:DWORD dst_unused:UNUSED_PAD src0_sel:WORD_0
	v_cvt_f32_u32_sdwa v5, v10 dst_sel:DWORD dst_unused:UNUSED_PAD src0_sel:WORD_1
	v_cvt_f32_u32_sdwa v4, v10 dst_sel:DWORD dst_unused:UNUSED_PAD src0_sel:WORD_0
	;; [unrolled: 2-line block ×4, first 2 shown]
	v_pk_add_f32 v[50:51], v[22:23], v[4:5]
	v_pk_add_f32 v[32:33], v[24:25], v[6:7]
	;; [unrolled: 1-line block ×4, first 2 shown]
	v_perm_b32 v7, v33, v32, s17
	v_perm_b32 v6, v51, v50, s17
	;; [unrolled: 1-line block ×4, first 2 shown]
	v_pk_add_f32 v[94:95], v[16:17], v[34:35]
	v_pk_add_f32 v[14:15], v[14:15], v[30:31]
	;; [unrolled: 1-line block ×4, first 2 shown]
	buffer_store_dwordx4 v[4:7], v38, s[36:39], 0 offen
	;;#ASMSTART
	s_nop 0
	;;#ASMEND
	s_nop 0
	v_perm_b32 v7, v95, v94, s17
	v_perm_b32 v6, v15, v14, s17
	;; [unrolled: 1-line block ×4, first 2 shown]
	buffer_store_dwordx4 v[4:7], v38, s[36:39], 16 offen
	;;#ASMSTART
	s_nop 0
	;;#ASMEND
.LBB958_10:
	s_or_b64 exec, exec, s[2:3]
.LBB958_11:
	v_mul_f32_e32 v2, v63, v63
	v_fmac_f32_e32 v2, v62, v62
	v_fmac_f32_e32 v2, v24, v24
	;; [unrolled: 1-line block ×15, first 2 shown]
	s_nop 1
	v_mov_b32_dpp v3, v2 quad_perm:[1,0,3,2] row_mask:0xf bank_mask:0xf
	v_add_f32_e32 v2, v2, v3
	s_nop 1
	v_mov_b32_dpp v3, v2 quad_perm:[2,3,0,1] row_mask:0xf bank_mask:0xf
	v_add_f32_e32 v2, v2, v3
	s_nop 1
	v_mov_b32_dpp v3, v2 row_half_mirror row_mask:0xf bank_mask:0xf
	v_add_f32_e32 v2, v2, v3
	s_nop 1
	v_mov_b32_dpp v3, v2 row_mirror row_mask:0xf bank_mask:0xf
	v_add_f32_e32 v2, v2, v3
	s_nop 1
	v_mov_b32_dpp v3, v2 row_bcast:15 row_mask:0xf bank_mask:0xf
	v_add_f32_e32 v2, v2, v3
	v_and_b32_e32 v3, 63, v0
	v_cmp_eq_u32_e64 s[2:3], 63, v3
	s_nop 0
	v_mov_b32_dpp v3, v2 row_bcast:31 row_mask:0xf bank_mask:0xf
	s_waitcnt lgkmcnt(0)
	s_and_saveexec_b64 s[18:19], s[2:3]
	s_cbranch_execz .LBB958_13
; %bb.12:
	v_add_f32_e32 v2, v2, v3
	v_lshrrev_b32_e32 v3, 4, v0
	v_and_b32_e32 v3, 60, v3
	ds_write_b32 v3, v2 offset:32
.LBB958_13:
	s_or_b64 exec, exec, s[18:19]
	v_and_b32_e32 v2, 7, v0
	v_lshlrev_b32_e32 v34, 2, v2
	s_waitcnt lgkmcnt(0)
	s_barrier
	ds_read_b32 v2, v34 offset:32
	s_load_dwordx2 s[18:19], s[4:5], 0x18
	s_waitcnt lgkmcnt(0)
	v_mov_b32_dpp v3, v2 quad_perm:[1,0,3,2] row_mask:0xf bank_mask:0xf
	v_add_f32_e32 v2, v2, v3
	s_nop 1
	v_mov_b32_dpp v3, v2 quad_perm:[2,3,0,1] row_mask:0xf bank_mask:0xf
	v_add_f32_e32 v2, v2, v3
	s_nop 1
	v_mov_b32_dpp v3, v2 row_half_mirror row_mask:0xf bank_mask:0xf
	s_and_saveexec_b64 s[30:31], s[0:1]
	s_cbranch_execnz .LBB958_18
; %bb.14:
	s_or_b64 exec, exec, s[30:31]
	s_mov_b64 s[8:9], -1
	s_and_b64 vcc, exec, s[10:11]
	s_cbranch_vccnz .LBB958_19
.LBB958_15:
	s_andn2_b64 vcc, exec, s[8:9]
	s_cbranch_vccz .LBB958_22
.LBB958_16:
	s_cmp_lt_i32 s24, 1
	s_cbranch_scc0 .LBB958_31
.LBB958_17:
	s_endpgm
.LBB958_18:
	v_add_f32_e32 v2, v2, v3
	v_cvt_f32_u32_e32 v3, s7
	s_mov_b32 s7, 0x800000
	s_waitcnt vmcnt(1)
	v_cvt_f32_u32_sdwa v21, v83 dst_sel:DWORD dst_unused:UNUSED_PAD src0_sel:WORD_1
	v_cvt_f32_u32_sdwa v20, v83 dst_sel:DWORD dst_unused:UNUSED_PAD src0_sel:WORD_0
	v_div_scale_f32 v4, s[36:37], v3, v3, v2
	v_rcp_f32_e32 v5, v4
	s_waitcnt vmcnt(0)
	v_cvt_f32_u32_sdwa v23, v80 dst_sel:DWORD dst_unused:UNUSED_PAD src0_sel:WORD_1
	v_cvt_f32_u32_sdwa v22, v80 dst_sel:DWORD dst_unused:UNUSED_PAD src0_sel:WORD_0
	v_cvt_f32_u32_sdwa v27, v81 dst_sel:DWORD dst_unused:UNUSED_PAD src0_sel:WORD_1
	v_fma_f32 v6, -v4, v5, 1.0
	v_fmac_f32_e32 v5, v6, v5
	v_div_scale_f32 v6, vcc, v2, v3, v2
	v_mul_f32_e32 v7, v6, v5
	v_fma_f32 v8, -v4, v7, v6
	v_fmac_f32_e32 v7, v8, v5
	v_fma_f32 v4, -v4, v7, v6
	v_div_fmas_f32 v4, v4, v5, v7
	v_div_fixup_f32 v2, v4, v3, v2
	v_mov_b32_e32 v3, s21
	v_mov_b32_e32 v4, s20
	v_cndmask_b32_e64 v3, v3, v4, s[8:9]
	v_add_f32_e32 v2, v3, v2
	v_mul_f32_e32 v3, 0x4b800000, v2
	v_cmp_gt_f32_e32 vcc, s7, v2
	v_cndmask_b32_e32 v2, v2, v3, vcc
	v_rsq_f32_e32 v2, v2
	v_cvt_f32_u32_sdwa v26, v81 dst_sel:DWORD dst_unused:UNUSED_PAD src0_sel:WORD_0
	v_mul_f32_e32 v3, 0x45800000, v2
	v_cndmask_b32_e32 v2, v2, v3, vcc
	v_mov_b32_e32 v3, v2
	;;#ASMSTART
	v_pk_mul_f32 v[4:5], v[62:63], v[2:3]
	;;#ASMEND
	;;#ASMSTART
	v_pk_mul_f32 v[6:7], v[24:25], v[2:3]
	;;#ASMEND
	;; [unrolled: 3-line block ×6, first 2 shown]
	v_cvt_f32_u32_sdwa v19, v82 dst_sel:DWORD dst_unused:UNUSED_PAD src0_sel:WORD_1
	v_cvt_f32_u32_sdwa v18, v82 dst_sel:DWORD dst_unused:UNUSED_PAD src0_sel:WORD_0
	;;#ASMSTART
	v_pk_mul_f32 v[14:15], v[14:15], v[2:3]
	;;#ASMEND
	;;#ASMSTART
	v_pk_mul_f32 v[2:3], v[94:95], v[2:3]
	;;#ASMEND
	;; [unrolled: 3-line block ×3, first 2 shown]
	v_cvt_f32_u32_sdwa v19, v78 dst_sel:DWORD dst_unused:UNUSED_PAD src0_sel:WORD_1
	v_cvt_f32_u32_sdwa v18, v78 dst_sel:DWORD dst_unused:UNUSED_PAD src0_sel:WORD_0
	;;#ASMSTART
	v_pk_mul_f32 v[24:25], v[6:7], v[20:21]
	;;#ASMEND
	v_cvt_f32_u32_sdwa v5, v84 dst_sel:DWORD dst_unused:UNUSED_PAD src0_sel:WORD_1
	v_cvt_f32_u32_sdwa v4, v84 dst_sel:DWORD dst_unused:UNUSED_PAD src0_sel:WORD_0
	v_cvt_f32_u32_sdwa v7, v85 dst_sel:DWORD dst_unused:UNUSED_PAD src0_sel:WORD_1
	v_cvt_f32_u32_sdwa v6, v85 dst_sel:DWORD dst_unused:UNUSED_PAD src0_sel:WORD_0
	;; [unrolled: 2-line block ×3, first 2 shown]
	;;#ASMSTART
	v_pk_mul_f32 v[50:51], v[8:9], v[4:5]
	;;#ASMEND
	;;#ASMSTART
	v_pk_mul_f32 v[32:33], v[10:11], v[6:7]
	;;#ASMEND
	;; [unrolled: 3-line block ×6, first 2 shown]
	s_or_b64 exec, exec, s[30:31]
	s_mov_b64 s[8:9], -1
	s_and_b64 vcc, exec, s[10:11]
	s_cbranch_vccz .LBB958_15
.LBB958_19:
	s_and_saveexec_b64 s[8:9], s[0:1]
	s_cbranch_execz .LBB958_21
; %bb.20:
	s_mul_hi_i32 s11, s16, s6
	s_mul_i32 s10, s16, s6
	s_lshl_b64 s[10:11], s[10:11], 1
	s_add_u32 s36, s18, s10
	s_addc_u32 s7, s19, s11
	s_and_b32 s37, s7, 0xffff
	s_mov_b32 s7, 0x7060302
	s_mov_b32 s39, 0x20000
	v_perm_b32 v5, v33, v32, s7
	v_perm_b32 v4, v51, v50, s7
	;; [unrolled: 1-line block ×4, first 2 shown]
	v_lshlrev_b32_e32 v6, 5, v0
	buffer_store_dwordx4 v[2:5], v6, s[36:39], 0 offen
	;;#ASMSTART
	s_nop 0
	;;#ASMEND
	s_nop 0
	v_perm_b32 v5, v95, v94, s7
	v_perm_b32 v4, v15, v14, s7
	;; [unrolled: 1-line block ×4, first 2 shown]
	buffer_store_dwordx4 v[2:5], v6, s[36:39], 16 offen
	;;#ASMSTART
	s_nop 0
	;;#ASMEND
.LBB958_21:
	s_or_b64 exec, exec, s[8:9]
	s_cbranch_execnz .LBB958_16
.LBB958_22:
	v_mov_b32_e32 v2, 0
	s_and_saveexec_b64 s[8:9], s[0:1]
	s_cbranch_execz .LBB958_24
; %bb.23:
	s_load_dwordx2 s[10:11], s[4:5], 0x10
	s_mul_hi_i32 s31, s15, s6
	s_mul_i32 s30, s15, s6
	s_lshl_b64 s[30:31], s[30:31], 1
	s_mov_b32 s39, 0x20000
	s_waitcnt lgkmcnt(0)
	s_add_u32 s36, s10, s30
	s_addc_u32 s7, s11, s31
	s_and_b32 s37, s7, 0xffff
	s_mov_b32 s7, 0x7060302
	v_perm_b32 v5, v33, v32, s7
	v_perm_b32 v4, v51, v50, s7
	;; [unrolled: 1-line block ×4, first 2 shown]
	v_lshlrev_b32_e32 v6, 5, v0
	buffer_store_dwordx4 v[2:5], v6, s[36:39], 0 offen
	;;#ASMSTART
	s_nop 0
	;;#ASMEND
	s_nop 0
	v_perm_b32 v5, v95, v94, s7
	v_perm_b32 v4, v15, v14, s7
	;; [unrolled: 1-line block ×4, first 2 shown]
	buffer_store_dwordx4 v[2:5], v6, s[36:39], 16 offen
	;;#ASMSTART
	s_nop 0
	;;#ASMEND
	s_nop 0
	v_mov_b32_e32 v2, 0x2edbe6ff
.LBB958_24:
	s_or_b64 exec, exec, s[8:9]
	s_and_saveexec_b64 s[8:9], s[0:1]
	s_cbranch_execz .LBB958_26
; %bb.25:
	v_and_b32_e32 v3, 0x7fffffff, v62
	v_and_b32_e32 v4, 0x7fffffff, v63
	;;#ASMSTART
	v_max3_f32 v2, v2, v3, v4

	;;#ASMEND
	v_and_b32_e32 v3, 0x7fffffff, v24
	v_and_b32_e32 v4, 0x7fffffff, v25
	;;#ASMSTART
	v_max3_f32 v2, v2, v3, v4

	;;#ASMEND
	;; [unrolled: 6-line block ×8, first 2 shown]
.LBB958_26:
	s_or_b64 exec, exec, s[8:9]
	;;#ASMSTART
	v_max_f32 v3, v2, v2 quad_perm:[1,0,3,2] row_mask:0xf bank_mask:0xf bound_ctrl:1
	;;#ASMEND
	;;#ASMSTART
	v_max_f32 v2, v3, v3 quad_perm:[2,3,0,1] row_mask:0xf bank_mask:0xf bound_ctrl:1
	;;#ASMEND
	v_and_b32_e32 v3, 3, v0
	v_cmp_eq_u32_e32 vcc, 0, v3
	v_cmp_gt_i32_e64 s[8:9], s23, v1
	v_mul_f32_e32 v2, 0x3b124925, v2
	s_and_b64 s[10:11], vcc, s[8:9]
	s_and_saveexec_b64 s[8:9], s[10:11]
	s_cbranch_execz .LBB958_28
; %bb.27:
	s_load_dwordx2 s[10:11], s[4:5], 0x8
	v_lshrrev_b32_e32 v3, 2, v0
	s_mul_hi_i32 s31, s13, s6
	s_mul_i32 s30, s13, s6
	v_mad_i64_i32 v[4:5], s[14:15], s14, v3, 0
	s_lshl_b64 s[14:15], s[30:31], 2
	s_waitcnt lgkmcnt(0)
	s_add_u32 s7, s10, s14
	s_addc_u32 s10, s11, s15
	v_lshlrev_b64 v[4:5], 2, v[4:5]
	v_mov_b32_e32 v3, s10
	v_add_co_u32_e32 v4, vcc, s7, v4
	v_addc_co_u32_e32 v5, vcc, v3, v5, vcc
	global_store_dword v[4:5], v2, off
.LBB958_28:
	s_or_b64 exec, exec, s[8:9]
	;;#ASMSTART
	v_rcp_f32 v2, v2
	;;#ASMEND
	s_and_saveexec_b64 s[14:15], s[0:1]
	s_cbranch_execz .LBB958_30
; %bb.29:
	v_mov_b32_e32 v3, v2
	;;#ASMSTART
	v_pk_mul_f32 v[4:5], v[62:63], v[2:3]
	;;#ASMEND
	v_mov_b32_e32 v10, 0xc3e00000
	v_mov_b32_e32 v11, 0x43e00000
	;;#ASMSTART
	v_med3_f32 v4, v4, v10, v11
v_med3_f32 v5, v5, v10, v11
v_cvt_pk_fp8_f32 v6, v4, v5
	;;#ASMEND
	;;#ASMSTART
	v_pk_mul_f32 v[4:5], v[24:25], v[2:3]
	;;#ASMEND
	;;#ASMSTART
	v_med3_f32 v4, v4, v10, v11
v_med3_f32 v5, v5, v10, v11
v_cvt_pk_fp8_f32 v7, v4, v5
	;;#ASMEND
	;;#ASMSTART
	v_pk_mul_f32 v[4:5], v[50:51], v[2:3]
	;;#ASMEND
	;; [unrolled: 8-line block ×3, first 2 shown]
	;;#ASMSTART
	v_med3_f32 v4, v4, v10, v11
v_med3_f32 v5, v5, v10, v11
v_cvt_pk_fp8_f32 v9, v4, v5
	;;#ASMEND
	s_mov_b32 s0, 0x5040100
	v_perm_b32 v4, v7, v6, s0
	s_mov_b32 s0, 0x1060504
	v_perm_b32 v4, v4, v7, s0
	s_load_dwordx2 s[0:1], s[4:5], 0x0
	s_mov_b32 s7, 0x1000504
	;;#ASMSTART
	v_pk_mul_f32 v[6:7], v[42:43], v[2:3]
	;;#ASMEND
	v_perm_b32 v5, v8, v9, s7
	s_mul_i32 s8, s12, s6
	;;#ASMSTART
	v_med3_f32 v6, v6, v10, v11
v_med3_f32 v7, v7, v10, v11
v_cvt_pk_fp8_f32 v8, v6, v7
	;;#ASMEND
	s_mul_hi_i32 s9, s12, s6
	s_waitcnt lgkmcnt(0)
	s_add_u32 s8, s0, s8
	;;#ASMSTART
	v_pk_mul_f32 v[6:7], v[18:19], v[2:3]
	;;#ASMEND
	s_addc_u32 s0, s1, s9
	s_add_i32 s1, s23, 3
	;;#ASMSTART
	v_med3_f32 v6, v6, v10, v11
v_med3_f32 v7, v7, v10, v11
v_cvt_pk_fp8_f32 v9, v6, v7
	;;#ASMEND
	s_ashr_i32 s9, s1, 31
	v_perm_b32 v6, v8, v9, s7
	;;#ASMSTART
	v_pk_mul_f32 v[8:9], v[14:15], v[2:3]
	;;#ASMEND
	v_mov_b32_e32 v7, v9
	s_lshr_b32 s9, s9, 30
	;;#ASMSTART
	v_med3_f32 v8, v8, v10, v11
v_med3_f32 v7, v7, v10, v11
v_cvt_pk_fp8_f32 v9, v8, v7
	;;#ASMEND
	;;#ASMSTART
	v_pk_mul_f32 v[2:3], v[94:95], v[2:3]
	;;#ASMEND
	s_add_i32 s1, s1, s9
	;;#ASMSTART
	v_med3_f32 v2, v2, v10, v11
v_med3_f32 v3, v3, v10, v11
v_cvt_pk_fp8_f32 v7, v2, v3
	;;#ASMEND
	s_and_b32 s10, s1, -4
	s_and_b32 s9, s0, 0xffff
	s_mov_b32 s11, 0x20000
	v_perm_b32 v7, v9, v7, s7
	buffer_store_dwordx4 v[4:7], v1, s[8:11], 0 offen
	;;#ASMSTART
	s_nop 0
	;;#ASMEND
.LBB958_30:
	s_or_b64 exec, exec, s[14:15]
	s_cmp_lt_i32 s24, 1
	s_cbranch_scc1 .LBB958_17
.LBB958_31:
	s_load_dword s0, s[4:5], 0x94
	s_waitcnt lgkmcnt(0)
	s_cmp_lg_u32 s0, 1
	s_cbranch_scc1 .LBB958_17
; %bb.32:
	s_lshl_b32 s0, s24, 1
	s_add_i32 s0, s0, 2
	v_cmp_gt_u32_e32 vcc, s24, v1
	s_and_b32 s30, s0, -4
	v_mov_b32_e32 v18, 0
	v_lshlrev_b32_e32 v1, 5, v0
	v_mov_b32_e32 v14, 0
	v_mov_b32_e32 v15, 0
	;; [unrolled: 1-line block ×16, first 2 shown]
	s_barrier
	s_and_saveexec_b64 s[0:1], vcc
	s_cbranch_execz .LBB958_34
; %bb.33:
	s_mul_hi_i32 s5, s26, s6
	s_mul_i32 s4, s26, s6
	s_and_b32 s29, s29, 0xffff
	s_lshl_b64 s[4:5], s[4:5], 1
	s_add_u32 s8, s34, s4
	s_mov_b32 s31, 0x20000
	s_addc_u32 s4, s35, s5
	s_and_b32 s9, s4, 0xffff
	s_mov_b32 s10, s30
	s_mov_b32 s11, s31
	buffer_load_dwordx4 v[14:17], v1, s[8:11], 0 offen
	buffer_load_dwordx4 v[10:13], v1, s[8:11], 16 offen
	;; [unrolled: 1-line block ×4, first 2 shown]
.LBB958_34:
	s_or_b64 exec, exec, s[0:1]
	v_mov_b32_e32 v19, 0
	v_mov_b32_e32 v32, 0
	v_mov_b32_e32 v33, 0
	v_mov_b32_e32 v30, 0
	v_mov_b32_e32 v31, 0
	v_mov_b32_e32 v28, 0
	v_mov_b32_e32 v29, 0
	v_mov_b32_e32 v26, 0
	v_mov_b32_e32 v27, 0
	v_mov_b32_e32 v24, 0
	v_mov_b32_e32 v25, 0
	v_mov_b32_e32 v22, 0
	v_mov_b32_e32 v23, 0
	v_mov_b32_e32 v20, 0
	v_mov_b32_e32 v21, 0
	s_and_saveexec_b64 s[0:1], vcc
	s_cbranch_execz .LBB958_36
; %bb.35:
	s_waitcnt vmcnt(3)
	v_cvt_f32_u32_sdwa v18, v14 dst_sel:DWORD dst_unused:UNUSED_PAD src0_sel:WORD_0
	v_cvt_f32_u32_sdwa v19, v14 dst_sel:DWORD dst_unused:UNUSED_PAD src0_sel:WORD_1
	v_cvt_f32_u32_sdwa v32, v15 dst_sel:DWORD dst_unused:UNUSED_PAD src0_sel:WORD_0
	v_cvt_f32_u32_sdwa v33, v15 dst_sel:DWORD dst_unused:UNUSED_PAD src0_sel:WORD_1
	;; [unrolled: 2-line block ×4, first 2 shown]
	s_waitcnt vmcnt(2)
	v_cvt_f32_u32_sdwa v26, v10 dst_sel:DWORD dst_unused:UNUSED_PAD src0_sel:WORD_0
	v_cvt_f32_u32_sdwa v27, v10 dst_sel:DWORD dst_unused:UNUSED_PAD src0_sel:WORD_1
	v_cvt_f32_u32_sdwa v24, v11 dst_sel:DWORD dst_unused:UNUSED_PAD src0_sel:WORD_0
	v_cvt_f32_u32_sdwa v25, v11 dst_sel:DWORD dst_unused:UNUSED_PAD src0_sel:WORD_1
	;; [unrolled: 2-line block ×4, first 2 shown]
.LBB958_36:
	s_or_b64 exec, exec, s[0:1]
	s_waitcnt vmcnt(2)
	v_mul_f32_e32 v10, v19, v19
	v_fmac_f32_e32 v10, v18, v18
	v_fmac_f32_e32 v10, v32, v32
	;; [unrolled: 1-line block ×15, first 2 shown]
	s_nop 1
	v_mov_b32_dpp v11, v10 quad_perm:[1,0,3,2] row_mask:0xf bank_mask:0xf
	v_add_f32_e32 v10, v10, v11
	s_nop 1
	v_mov_b32_dpp v11, v10 quad_perm:[2,3,0,1] row_mask:0xf bank_mask:0xf
	v_add_f32_e32 v10, v10, v11
	s_nop 1
	v_mov_b32_dpp v11, v10 row_half_mirror row_mask:0xf bank_mask:0xf
	v_add_f32_e32 v10, v10, v11
	s_nop 1
	v_mov_b32_dpp v11, v10 row_mirror row_mask:0xf bank_mask:0xf
	v_add_f32_e32 v10, v10, v11
	s_nop 1
	v_mov_b32_dpp v11, v10 row_bcast:15 row_mask:0xf bank_mask:0xf
	v_add_f32_e32 v10, v10, v11
	s_nop 1
	v_mov_b32_dpp v11, v10 row_bcast:31 row_mask:0xf bank_mask:0xf
	s_and_saveexec_b64 s[0:1], s[2:3]
	s_cbranch_execz .LBB958_38
; %bb.37:
	v_lshrrev_b32_e32 v0, 4, v0
	v_add_f32_e32 v10, v10, v11
	v_and_b32_e32 v0, 60, v0
	ds_write_b32 v0, v10
.LBB958_38:
	s_or_b64 exec, exec, s[0:1]
	s_waitcnt lgkmcnt(0)
	s_barrier
	ds_read_b32 v0, v34
	s_waitcnt lgkmcnt(0)
	s_nop 0
	v_mov_b32_dpp v10, v0 quad_perm:[1,0,3,2] row_mask:0xf bank_mask:0xf
	v_add_f32_e32 v0, v0, v10
	s_nop 1
	v_mov_b32_dpp v10, v0 quad_perm:[2,3,0,1] row_mask:0xf bank_mask:0xf
	v_add_f32_e32 v0, v0, v10
	s_nop 1
	v_mov_b32_dpp v10, v0 row_half_mirror row_mask:0xf bank_mask:0xf
	s_and_saveexec_b64 s[0:1], vcc
	s_cbranch_execz .LBB958_17
; %bb.39:
	v_cvt_f32_u32_e32 v11, s24
	v_add_f32_e32 v0, v0, v10
	s_mov_b32 s31, 0x20000
	v_div_scale_f32 v10, s[0:1], v11, v11, v0
	v_rcp_f32_e32 v12, v10
	v_div_scale_f32 v13, vcc, v0, v11, v0
	s_mov_b32 s0, 0x800000
	v_fma_f32 v14, -v10, v12, 1.0
	v_fmac_f32_e32 v12, v14, v12
	v_mul_f32_e32 v14, v13, v12
	v_fma_f32 v15, -v10, v14, v13
	v_fmac_f32_e32 v14, v15, v12
	v_fma_f32 v10, -v10, v14, v13
	v_div_fmas_f32 v10, v10, v12, v14
	v_div_fixup_f32 v0, v10, v11, v0
	v_add_f32_e32 v0, s21, v0
	v_mul_f32_e32 v10, 0x4b800000, v0
	v_cmp_gt_f32_e32 vcc, s0, v0
	v_cndmask_b32_e32 v0, v0, v10, vcc
	v_rsq_f32_e32 v0, v0
	s_mul_hi_i32 s1, s16, s6
	s_mul_i32 s0, s16, s6
	s_lshl_b64 s[0:1], s[0:1], 1
	v_mul_f32_e32 v10, 0x45800000, v0
	v_cndmask_b32_e32 v10, v0, v10, vcc
	v_mov_b32_e32 v11, v10
	s_add_u32 s28, s18, s0
	;;#ASMSTART
	v_pk_mul_f32 v[12:13], v[18:19], v[10:11]
	;;#ASMEND
	;;#ASMSTART
	v_pk_mul_f32 v[14:15], v[32:33], v[10:11]
	;;#ASMEND
	;;#ASMSTART
	v_pk_mul_f32 v[16:17], v[30:31], v[10:11]
	;;#ASMEND
	;;#ASMSTART
	v_pk_mul_f32 v[18:19], v[28:29], v[10:11]
	;;#ASMEND
	;;#ASMSTART
	v_pk_mul_f32 v[26:27], v[26:27], v[10:11]
	;;#ASMEND
	;;#ASMSTART
	v_pk_mul_f32 v[24:25], v[24:25], v[10:11]
	;;#ASMEND
	;;#ASMSTART
	v_pk_mul_f32 v[22:23], v[22:23], v[10:11]
	;;#ASMEND
	;;#ASMSTART
	v_pk_mul_f32 v[10:11], v[20:21], v[10:11]
	;;#ASMEND
	s_waitcnt vmcnt(1)
	v_cvt_f32_u32_sdwa v21, v6 dst_sel:DWORD dst_unused:UNUSED_PAD src0_sel:WORD_1
	v_cvt_f32_u32_sdwa v20, v6 dst_sel:DWORD dst_unused:UNUSED_PAD src0_sel:WORD_0
	v_cvt_f32_u32_sdwa v29, v7 dst_sel:DWORD dst_unused:UNUSED_PAD src0_sel:WORD_1
	v_cvt_f32_u32_sdwa v28, v7 dst_sel:DWORD dst_unused:UNUSED_PAD src0_sel:WORD_0
	;; [unrolled: 2-line block ×3, first 2 shown]
	s_addc_u32 s0, s19, s1
	v_cvt_f32_u32_sdwa v31, v9 dst_sel:DWORD dst_unused:UNUSED_PAD src0_sel:WORD_1
	v_cvt_f32_u32_sdwa v30, v9 dst_sel:DWORD dst_unused:UNUSED_PAD src0_sel:WORD_0
	;;#ASMSTART
	v_pk_mul_f32 v[8:9], v[12:13], v[20:21]
	;;#ASMEND
	;;#ASMSTART
	v_pk_mul_f32 v[12:13], v[14:15], v[28:29]
	;;#ASMEND
	;; [unrolled: 3-line block ×4, first 2 shown]
	s_waitcnt vmcnt(0)
	v_cvt_f32_u32_sdwa v17, v2 dst_sel:DWORD dst_unused:UNUSED_PAD src0_sel:WORD_1
	v_cvt_f32_u32_sdwa v16, v2 dst_sel:DWORD dst_unused:UNUSED_PAD src0_sel:WORD_0
	v_cvt_f32_u32_sdwa v19, v3 dst_sel:DWORD dst_unused:UNUSED_PAD src0_sel:WORD_1
	v_cvt_f32_u32_sdwa v18, v3 dst_sel:DWORD dst_unused:UNUSED_PAD src0_sel:WORD_0
	;; [unrolled: 2-line block ×3, first 2 shown]
	s_and_b32 s29, s0, 0xffff
	s_mov_b32 s0, 0x7060302
	v_cvt_f32_u32_sdwa v21, v5 dst_sel:DWORD dst_unused:UNUSED_PAD src0_sel:WORD_1
	v_cvt_f32_u32_sdwa v20, v5 dst_sel:DWORD dst_unused:UNUSED_PAD src0_sel:WORD_0
	;;#ASMSTART
	v_pk_mul_f32 v[16:17], v[26:27], v[16:17]
	;;#ASMEND
	;;#ASMSTART
	v_pk_mul_f32 v[18:19], v[24:25], v[18:19]
	;;#ASMEND
	;;#ASMSTART
	v_pk_mul_f32 v[22:23], v[22:23], v[2:3]
	;;#ASMEND
	v_perm_b32 v2, v9, v8, s0
	v_perm_b32 v3, v13, v12, s0
	;; [unrolled: 1-line block ×4, first 2 shown]
	;;#ASMSTART
	v_pk_mul_f32 v[10:11], v[10:11], v[20:21]
	;;#ASMEND
	buffer_store_dwordx4 v[2:5], v1, s[28:31], 0 offen
	;;#ASMSTART
	s_nop 0
	;;#ASMEND
	s_nop 0
	v_perm_b32 v2, v17, v16, s0
	v_perm_b32 v3, v19, v18, s0
	;; [unrolled: 1-line block ×4, first 2 shown]
	buffer_store_dwordx4 v[2:5], v1, s[28:31], 16 offen
	;;#ASMSTART
	s_nop 0
	;;#ASMEND
	s_endpgm
	.section	.rodata,"a",@progbits
	.p2align	6, 0x0
	.amdhsa_kernel _ZN5aiter35fused_qk_rmsnorm_group_quant_kernelItDB8_Li512ELi16ELi4ELb1ELb1ELb0ELb0ELb0ELb0EEEvPT0_PvPT_S6_S6_PKS5_S8_S8_S8_S8_ffiiiiiiiiiiiii
		.amdhsa_group_segment_fixed_size 64
		.amdhsa_private_segment_fixed_size 0
		.amdhsa_kernarg_size 400
		.amdhsa_user_sgpr_count 6
		.amdhsa_user_sgpr_private_segment_buffer 1
		.amdhsa_user_sgpr_dispatch_ptr 0
		.amdhsa_user_sgpr_queue_ptr 0
		.amdhsa_user_sgpr_kernarg_segment_ptr 1
		.amdhsa_user_sgpr_dispatch_id 0
		.amdhsa_user_sgpr_flat_scratch_init 0
		.amdhsa_user_sgpr_kernarg_preload_length 0
		.amdhsa_user_sgpr_kernarg_preload_offset 0
		.amdhsa_user_sgpr_private_segment_size 0
		.amdhsa_uses_dynamic_stack 0
		.amdhsa_system_sgpr_private_segment_wavefront_offset 0
		.amdhsa_system_sgpr_workgroup_id_x 1
		.amdhsa_system_sgpr_workgroup_id_y 1
		.amdhsa_system_sgpr_workgroup_id_z 0
		.amdhsa_system_sgpr_workgroup_info 0
		.amdhsa_system_vgpr_workitem_id 0
		.amdhsa_next_free_vgpr 96
		.amdhsa_next_free_sgpr 44
		.amdhsa_accum_offset 96
		.amdhsa_reserve_vcc 1
		.amdhsa_reserve_flat_scratch 0
		.amdhsa_float_round_mode_32 0
		.amdhsa_float_round_mode_16_64 0
		.amdhsa_float_denorm_mode_32 3
		.amdhsa_float_denorm_mode_16_64 3
		.amdhsa_dx10_clamp 1
		.amdhsa_ieee_mode 1
		.amdhsa_fp16_overflow 0
		.amdhsa_tg_split 0
		.amdhsa_exception_fp_ieee_invalid_op 0
		.amdhsa_exception_fp_denorm_src 0
		.amdhsa_exception_fp_ieee_div_zero 0
		.amdhsa_exception_fp_ieee_overflow 0
		.amdhsa_exception_fp_ieee_underflow 0
		.amdhsa_exception_fp_ieee_inexact 0
		.amdhsa_exception_int_div_zero 0
	.end_amdhsa_kernel
	.section	.text._ZN5aiter35fused_qk_rmsnorm_group_quant_kernelItDB8_Li512ELi16ELi4ELb1ELb1ELb0ELb0ELb0ELb0EEEvPT0_PvPT_S6_S6_PKS5_S8_S8_S8_S8_ffiiiiiiiiiiiii,"axG",@progbits,_ZN5aiter35fused_qk_rmsnorm_group_quant_kernelItDB8_Li512ELi16ELi4ELb1ELb1ELb0ELb0ELb0ELb0EEEvPT0_PvPT_S6_S6_PKS5_S8_S8_S8_S8_ffiiiiiiiiiiiii,comdat
.Lfunc_end958:
	.size	_ZN5aiter35fused_qk_rmsnorm_group_quant_kernelItDB8_Li512ELi16ELi4ELb1ELb1ELb0ELb0ELb0ELb0EEEvPT0_PvPT_S6_S6_PKS5_S8_S8_S8_S8_ffiiiiiiiiiiiii, .Lfunc_end958-_ZN5aiter35fused_qk_rmsnorm_group_quant_kernelItDB8_Li512ELi16ELi4ELb1ELb1ELb0ELb0ELb0ELb0EEEvPT0_PvPT_S6_S6_PKS5_S8_S8_S8_S8_ffiiiiiiiiiiiii
                                        ; -- End function
	.section	.AMDGPU.csdata,"",@progbits
; Kernel info:
; codeLenInByte = 4280
; NumSgprs: 48
; NumVgprs: 96
; NumAgprs: 0
; TotalNumVgprs: 96
; ScratchSize: 0
; MemoryBound: 0
; FloatMode: 240
; IeeeMode: 1
; LDSByteSize: 64 bytes/workgroup (compile time only)
; SGPRBlocks: 5
; VGPRBlocks: 11
; NumSGPRsForWavesPerEU: 48
; NumVGPRsForWavesPerEU: 96
; AccumOffset: 96
; Occupancy: 5
; WaveLimiterHint : 0
; COMPUTE_PGM_RSRC2:SCRATCH_EN: 0
; COMPUTE_PGM_RSRC2:USER_SGPR: 6
; COMPUTE_PGM_RSRC2:TRAP_HANDLER: 0
; COMPUTE_PGM_RSRC2:TGID_X_EN: 1
; COMPUTE_PGM_RSRC2:TGID_Y_EN: 1
; COMPUTE_PGM_RSRC2:TGID_Z_EN: 0
; COMPUTE_PGM_RSRC2:TIDIG_COMP_CNT: 0
; COMPUTE_PGM_RSRC3_GFX90A:ACCUM_OFFSET: 23
; COMPUTE_PGM_RSRC3_GFX90A:TG_SPLIT: 0
	.section	.text._ZN5aiter35fused_qk_rmsnorm_group_quant_kernelIDF16_N4opus5fp4_tELi512ELi16ELi4ELb1ELb1ELb0ELb0ELb0ELb0EEEvPT0_PvPT_S7_S7_PKS6_S9_S9_S9_S9_ffiiiiiiiiiiiii,"axG",@progbits,_ZN5aiter35fused_qk_rmsnorm_group_quant_kernelIDF16_N4opus5fp4_tELi512ELi16ELi4ELb1ELb1ELb0ELb0ELb0ELb0EEEvPT0_PvPT_S7_S7_PKS6_S9_S9_S9_S9_ffiiiiiiiiiiiii,comdat
	.protected	_ZN5aiter35fused_qk_rmsnorm_group_quant_kernelIDF16_N4opus5fp4_tELi512ELi16ELi4ELb1ELb1ELb0ELb0ELb0ELb0EEEvPT0_PvPT_S7_S7_PKS6_S9_S9_S9_S9_ffiiiiiiiiiiiii ; -- Begin function _ZN5aiter35fused_qk_rmsnorm_group_quant_kernelIDF16_N4opus5fp4_tELi512ELi16ELi4ELb1ELb1ELb0ELb0ELb0ELb0EEEvPT0_PvPT_S7_S7_PKS6_S9_S9_S9_S9_ffiiiiiiiiiiiii
	.globl	_ZN5aiter35fused_qk_rmsnorm_group_quant_kernelIDF16_N4opus5fp4_tELi512ELi16ELi4ELb1ELb1ELb0ELb0ELb0ELb0EEEvPT0_PvPT_S7_S7_PKS6_S9_S9_S9_S9_ffiiiiiiiiiiiii
	.p2align	8
	.type	_ZN5aiter35fused_qk_rmsnorm_group_quant_kernelIDF16_N4opus5fp4_tELi512ELi16ELi4ELb1ELb1ELb0ELb0ELb0ELb0EEEvPT0_PvPT_S7_S7_PKS6_S9_S9_S9_S9_ffiiiiiiiiiiiii,@function
_ZN5aiter35fused_qk_rmsnorm_group_quant_kernelIDF16_N4opus5fp4_tELi512ELi16ELi4ELb1ELb1ELb0ELb0ELb0ELb0EEEvPT0_PvPT_S7_S7_PKS6_S9_S9_S9_S9_ffiiiiiiiiiiiii: ; @_ZN5aiter35fused_qk_rmsnorm_group_quant_kernelIDF16_N4opus5fp4_tELi512ELi16ELi4ELb1ELb1ELb0ELb0ELb0ELb0EEEvPT0_PvPT_S7_S7_PKS6_S9_S9_S9_S9_ffiiiiiiiiiiiii
; %bb.0:
	s_load_dwordx8 s[20:27], s[4:5], 0x50
	s_waitcnt lgkmcnt(0)
	s_cmp_ge_i32 s6, s22
	s_cbranch_scc1 .LBB959_17
; %bb.1:
	s_cmp_lg_u32 s7, 0
	s_cselect_b64 s[30:31], -1, 0
	s_cmp_eq_u32 s7, 0
	s_cselect_b64 s[8:9], -1, 0
	s_and_b64 s[0:1], s[8:9], exec
	s_load_dwordx2 s[28:29], s[4:5], 0x48
	s_load_dwordx2 s[10:11], s[4:5], 0x30
	s_load_dwordx8 s[12:19], s[4:5], 0x70
	s_cselect_b32 s7, s23, s24
	s_add_i32 s0, s7, 1
	s_lshr_b32 s1, s0, 31
	s_add_i32 s0, s0, s1
	s_lshl_b32 s0, s0, 1
	v_lshlrev_b32_e32 v1, 4, v0
	s_and_b32 s38, s0, -4
	v_cmp_gt_i32_e64 s[0:1], s7, v1
	v_mov_b32_e32 v6, 0
	v_mov_b32_e32 v7, 0
	;; [unrolled: 1-line block ×16, first 2 shown]
	s_and_saveexec_b64 s[2:3], s[0:1]
	s_cbranch_execz .LBB959_3
; %bb.2:
	s_waitcnt lgkmcnt(0)
	s_load_dwordx2 s[18:19], s[4:5], 0x28
	s_load_dwordx2 s[34:35], s[4:5], 0x40
	s_and_b64 s[36:37], s[8:9], exec
	s_cselect_b32 s22, s25, s26
	s_mov_b32 s39, 0x20000
	s_waitcnt lgkmcnt(0)
	s_cselect_b32 s25, s19, s11
	s_cselect_b32 s33, s18, s10
	s_mul_hi_i32 s19, s22, s6
	s_mul_i32 s18, s22, s6
	s_lshl_b64 s[18:19], s[18:19], 1
	s_add_u32 s40, s33, s18
	s_addc_u32 s22, s25, s19
	s_and_b64 s[18:19], s[8:9], exec
	s_cselect_b32 s36, s34, s28
	s_cselect_b32 s18, s35, s29
	s_and_b32 s41, s22, 0xffff
	s_mov_b32 s42, s38
	s_mov_b32 s43, s39
	v_lshlrev_b32_e32 v18, 5, v0
	s_and_b32 s37, s18, 0xffff
	buffer_load_dwordx4 v[10:13], v18, s[40:43], 0 offen
	buffer_load_dwordx4 v[14:17], v18, s[40:43], 16 offen
	;; [unrolled: 1-line block ×4, first 2 shown]
.LBB959_3:
	s_or_b64 exec, exec, s[2:3]
	s_and_b64 vcc, exec, s[30:31]
	s_cbranch_vccz .LBB959_7
; %bb.4:
	v_mov_b32_e32 v19, 0
	v_mov_b32_e32 v18, 0
	;; [unrolled: 1-line block ×16, first 2 shown]
	s_and_saveexec_b64 s[2:3], s[0:1]
	s_cbranch_execz .LBB959_6
; %bb.5:
	s_waitcnt vmcnt(3)
	v_cvt_f32_f16_sdwa v33, v10 dst_sel:DWORD dst_unused:UNUSED_PAD src0_sel:WORD_1
	v_cvt_f32_f16_e32 v32, v10
	v_cvt_f32_f16_sdwa v31, v11 dst_sel:DWORD dst_unused:UNUSED_PAD src0_sel:WORD_1
	v_cvt_f32_f16_e32 v30, v11
	;; [unrolled: 2-line block ×4, first 2 shown]
	s_waitcnt vmcnt(2)
	v_cvt_f32_f16_sdwa v27, v14 dst_sel:DWORD dst_unused:UNUSED_PAD src0_sel:WORD_1
	v_cvt_f32_f16_e32 v26, v14
	v_cvt_f32_f16_sdwa v23, v15 dst_sel:DWORD dst_unused:UNUSED_PAD src0_sel:WORD_1
	v_cvt_f32_f16_e32 v22, v15
	;; [unrolled: 2-line block ×4, first 2 shown]
.LBB959_6:
	s_or_b64 exec, exec, s[2:3]
	s_cbranch_execz .LBB959_8
	s_branch .LBB959_11
.LBB959_7:
                                        ; implicit-def: $vgpr19
                                        ; implicit-def: $vgpr21
                                        ; implicit-def: $vgpr23
                                        ; implicit-def: $vgpr27
                                        ; implicit-def: $vgpr25
                                        ; implicit-def: $vgpr29
                                        ; implicit-def: $vgpr31
                                        ; implicit-def: $vgpr33
.LBB959_8:
	v_mov_b32_e32 v19, 0
	v_mov_b32_e32 v18, 0
	;; [unrolled: 1-line block ×16, first 2 shown]
	s_and_saveexec_b64 s[2:3], s[0:1]
	s_cbranch_execz .LBB959_10
; %bb.9:
	s_waitcnt lgkmcnt(0)
	s_load_dwordx2 s[18:19], s[4:5], 0x38
	s_mul_hi_i32 s35, s27, s6
	s_mul_i32 s34, s27, s6
	s_lshl_b64 s[34:35], s[34:35], 1
	s_mov_b32 s39, 0x20000
	s_waitcnt lgkmcnt(0)
	s_add_u32 s36, s18, s34
	s_addc_u32 s18, s19, s35
	s_and_b32 s37, s18, 0xffff
	v_lshlrev_b32_e32 v46, 5, v0
	buffer_load_dwordx4 v[18:21], v46, s[36:39], 16 offen
	buffer_load_dwordx4 v[22:25], v46, s[36:39], 0 offen
	s_waitcnt vmcnt(4)
	v_cvt_f32_f16_sdwa v27, v14 dst_sel:DWORD dst_unused:UNUSED_PAD src0_sel:WORD_1
	v_cvt_f32_f16_e32 v26, v14
	v_cvt_f32_f16_sdwa v29, v15 dst_sel:DWORD dst_unused:UNUSED_PAD src0_sel:WORD_1
	v_cvt_f32_f16_e32 v28, v15
	;; [unrolled: 2-line block ×8, first 2 shown]
	s_load_dwordx2 s[18:19], s[4:5], 0x20
	s_mul_hi_i32 s35, s17, s6
	s_mul_i32 s34, s17, s6
	s_lshl_b64 s[34:35], s[34:35], 1
	s_waitcnt lgkmcnt(0)
	s_add_u32 s36, s18, s34
	s_addc_u32 s17, s19, s35
	s_and_b32 s37, s17, 0xffff
	s_waitcnt vmcnt(1)
	v_cvt_f32_f16_e32 v12, v18
	v_cvt_f32_f16_sdwa v13, v18 dst_sel:DWORD dst_unused:UNUSED_PAD src0_sel:WORD_1
	v_cvt_f32_f16_e32 v18, v19
	v_cvt_f32_f16_sdwa v19, v19 dst_sel:DWORD dst_unused:UNUSED_PAD src0_sel:WORD_1
	;; [unrolled: 2-line block ×4, first 2 shown]
	s_waitcnt vmcnt(0)
	v_cvt_f32_f16_e32 v40, v22
	v_cvt_f32_f16_sdwa v41, v22 dst_sel:DWORD dst_unused:UNUSED_PAD src0_sel:WORD_1
	v_cvt_f32_f16_e32 v42, v23
	v_cvt_f32_f16_sdwa v43, v23 dst_sel:DWORD dst_unused:UNUSED_PAD src0_sel:WORD_1
	;; [unrolled: 2-line block ×4, first 2 shown]
	v_pk_add_f32 v[26:27], v[26:27], v[12:13]
	v_pk_add_f32 v[22:23], v[28:29], v[18:19]
	;; [unrolled: 1-line block ×8, first 2 shown]
	v_cvt_f16_f32_e32 v10, v33
	v_cvt_f16_f32_e32 v14, v32
	;; [unrolled: 1-line block ×16, first 2 shown]
	v_pack_b32_f16 v13, v17, v13
	v_pack_b32_f16 v12, v16, v12
	;; [unrolled: 1-line block ×8, first 2 shown]
	buffer_store_dwordx4 v[10:13], v46, s[36:39], 0 offen
	;;#ASMSTART
	s_nop 0
	;;#ASMEND
	buffer_store_dwordx4 v[14:17], v46, s[36:39], 16 offen
	;;#ASMSTART
	s_nop 0
	;;#ASMEND
.LBB959_10:
	s_or_b64 exec, exec, s[2:3]
.LBB959_11:
	s_waitcnt vmcnt(3)
	v_mul_f32_e32 v10, v33, v33
	v_fmac_f32_e32 v10, v32, v32
	v_fmac_f32_e32 v10, v30, v30
	;; [unrolled: 1-line block ×15, first 2 shown]
	v_and_b32_e32 v12, 63, v0
	v_cmp_eq_u32_e64 s[2:3], 63, v12
	v_mov_b32_dpp v11, v10 quad_perm:[1,0,3,2] row_mask:0xf bank_mask:0xf
	v_add_f32_e32 v10, v10, v11
	s_nop 1
	v_mov_b32_dpp v11, v10 quad_perm:[2,3,0,1] row_mask:0xf bank_mask:0xf
	v_add_f32_e32 v10, v10, v11
	s_nop 1
	v_mov_b32_dpp v11, v10 row_half_mirror row_mask:0xf bank_mask:0xf
	v_add_f32_e32 v10, v10, v11
	s_nop 1
	v_mov_b32_dpp v11, v10 row_mirror row_mask:0xf bank_mask:0xf
	v_add_f32_e32 v10, v10, v11
	s_nop 1
	v_mov_b32_dpp v11, v10 row_bcast:15 row_mask:0xf bank_mask:0xf
	v_add_f32_e32 v10, v10, v11
	s_nop 1
	v_mov_b32_dpp v11, v10 row_bcast:31 row_mask:0xf bank_mask:0xf
	s_waitcnt lgkmcnt(0)
	s_and_saveexec_b64 s[18:19], s[2:3]
	s_cbranch_execz .LBB959_13
; %bb.12:
	v_add_f32_e32 v10, v10, v11
	v_lshrrev_b32_e32 v11, 4, v0
	v_and_b32_e32 v11, 60, v11
	ds_write_b32 v11, v10 offset:32
.LBB959_13:
	s_or_b64 exec, exec, s[18:19]
	v_and_b32_e32 v10, 7, v0
	v_lshlrev_b32_e32 v34, 2, v10
	s_waitcnt lgkmcnt(0)
	s_barrier
	ds_read_b32 v10, v34 offset:32
	s_load_dwordx2 s[18:19], s[4:5], 0x18
	s_waitcnt lgkmcnt(0)
	v_mov_b32_dpp v11, v10 quad_perm:[1,0,3,2] row_mask:0xf bank_mask:0xf
	v_add_f32_e32 v10, v10, v11
	s_nop 1
	v_mov_b32_dpp v11, v10 quad_perm:[2,3,0,1] row_mask:0xf bank_mask:0xf
	v_add_f32_e32 v10, v10, v11
	s_nop 1
	v_mov_b32_dpp v11, v10 row_half_mirror row_mask:0xf bank_mask:0xf
	s_and_saveexec_b64 s[34:35], s[0:1]
	s_cbranch_execnz .LBB959_18
; %bb.14:
	s_or_b64 exec, exec, s[34:35]
	s_mov_b64 s[8:9], -1
	s_and_b64 vcc, exec, s[30:31]
	s_cbranch_vccnz .LBB959_19
.LBB959_15:
	s_andn2_b64 vcc, exec, s[8:9]
	s_cbranch_vccz .LBB959_22
.LBB959_16:
	s_cmp_lt_i32 s24, 1
	s_cbranch_scc0 .LBB959_31
.LBB959_17:
	s_endpgm
.LBB959_18:
	v_cvt_f32_u32_e32 v12, s7
	v_add_f32_e32 v10, v10, v11
	s_waitcnt vmcnt(2)
	v_mov_b32_e32 v14, s21
	v_mov_b32_e32 v15, s20
	v_div_scale_f32 v11, s[36:37], v12, v12, v10
	v_rcp_f32_e32 v13, v11
	v_cndmask_b32_e64 v14, v14, v15, s[8:9]
	s_mov_b32 s7, 0x800000
	s_waitcnt vmcnt(1)
	v_cvt_f32_f16_sdwa v37, v9 dst_sel:DWORD dst_unused:UNUSED_PAD src0_sel:WORD_1
	v_fma_f32 v15, -v11, v13, 1.0
	v_fmac_f32_e32 v13, v15, v13
	v_div_scale_f32 v15, vcc, v10, v12, v10
	v_mul_f32_e32 v16, v15, v13
	v_fma_f32 v17, -v11, v16, v15
	v_fmac_f32_e32 v16, v17, v13
	v_fma_f32 v11, -v11, v16, v15
	v_div_fmas_f32 v11, v11, v13, v16
	v_div_fixup_f32 v10, v11, v12, v10
	v_add_f32_e32 v10, v14, v10
	v_mul_f32_e32 v11, 0x4b800000, v10
	v_cmp_gt_f32_e32 vcc, s7, v10
	v_cndmask_b32_e32 v10, v10, v11, vcc
	v_rsq_f32_e32 v10, v10
	v_cvt_f32_f16_e32 v36, v9
	s_waitcnt vmcnt(0)
	v_cvt_f32_f16_sdwa v9, v3 dst_sel:DWORD dst_unused:UNUSED_PAD src0_sel:WORD_1
	v_mul_f32_e32 v11, 0x45800000, v10
	v_cndmask_b32_e32 v10, v10, v11, vcc
	v_mov_b32_e32 v11, v10
	;;#ASMSTART
	v_pk_mul_f32 v[12:13], v[32:33], v[10:11]
	;;#ASMEND
	;;#ASMSTART
	v_pk_mul_f32 v[14:15], v[30:31], v[10:11]
	;;#ASMEND
	;; [unrolled: 3-line block ×8, first 2 shown]
	v_cvt_f32_f16_sdwa v19, v6 dst_sel:DWORD dst_unused:UNUSED_PAD src0_sel:WORD_1
	v_cvt_f32_f16_e32 v18, v6
	v_cvt_f32_f16_sdwa v29, v7 dst_sel:DWORD dst_unused:UNUSED_PAD src0_sel:WORD_1
	v_cvt_f32_f16_e32 v28, v7
	v_cvt_f32_f16_sdwa v7, v8 dst_sel:DWORD dst_unused:UNUSED_PAD src0_sel:WORD_1
	v_cvt_f32_f16_e32 v6, v8
	;;#ASMSTART
	v_pk_mul_f32 v[32:33], v[12:13], v[18:19]
	;;#ASMEND
	;;#ASMSTART
	v_pk_mul_f32 v[30:31], v[14:15], v[28:29]
	;;#ASMEND
	;; [unrolled: 3-line block ×4, first 2 shown]
	v_cvt_f32_f16_sdwa v7, v2 dst_sel:DWORD dst_unused:UNUSED_PAD src0_sel:WORD_1
	v_cvt_f32_f16_e32 v6, v2
	v_cvt_f32_f16_e32 v8, v3
	v_cvt_f32_f16_sdwa v3, v4 dst_sel:DWORD dst_unused:UNUSED_PAD src0_sel:WORD_1
	v_cvt_f32_f16_e32 v2, v4
	v_cvt_f32_f16_sdwa v13, v5 dst_sel:DWORD dst_unused:UNUSED_PAD src0_sel:WORD_1
	v_cvt_f32_f16_e32 v12, v5
	;;#ASMSTART
	v_pk_mul_f32 v[26:27], v[26:27], v[6:7]
	;;#ASMEND
	;;#ASMSTART
	v_pk_mul_f32 v[22:23], v[22:23], v[8:9]
	;;#ASMEND
	;; [unrolled: 3-line block ×4, first 2 shown]
	s_or_b64 exec, exec, s[34:35]
	s_mov_b64 s[8:9], -1
	s_and_b64 vcc, exec, s[30:31]
	s_cbranch_vccz .LBB959_15
.LBB959_19:
	s_and_saveexec_b64 s[8:9], s[0:1]
	s_cbranch_execz .LBB959_21
; %bb.20:
	s_mul_hi_i32 s31, s16, s6
	s_mul_i32 s30, s16, s6
	s_waitcnt vmcnt(0)
	v_cvt_f16_f32_e32 v2, v32
	v_cvt_f16_f32_e32 v3, v30
	;; [unrolled: 1-line block ×8, first 2 shown]
	s_lshl_b64 s[30:31], s[30:31], 1
	s_add_u32 s36, s18, s30
	s_addc_u32 s7, s19, s31
	s_and_b32 s37, s7, 0xffff
	s_mov_b32 s39, 0x20000
	v_pack_b32_f16 v5, v5, v6
	v_pack_b32_f16 v4, v4, v7
	;; [unrolled: 1-line block ×4, first 2 shown]
	v_lshlrev_b32_e32 v6, 5, v0
	buffer_store_dwordx4 v[2:5], v6, s[36:39], 0 offen
	v_cvt_f16_f32_e32 v7, v19
	v_cvt_f16_f32_e32 v2, v26
	;; [unrolled: 1-line block ×8, first 2 shown]
	v_pack_b32_f16 v5, v5, v7
	v_pack_b32_f16 v4, v4, v8
	;; [unrolled: 1-line block ×4, first 2 shown]
	;;#ASMSTART
	s_nop 0
	;;#ASMEND
	buffer_store_dwordx4 v[2:5], v6, s[36:39], 16 offen
	;;#ASMSTART
	s_nop 0
	;;#ASMEND
.LBB959_21:
	s_or_b64 exec, exec, s[8:9]
	s_cbranch_execnz .LBB959_16
.LBB959_22:
	s_waitcnt vmcnt(0)
	v_mov_b32_e32 v2, 0
	s_and_saveexec_b64 s[8:9], s[0:1]
	s_cbranch_execz .LBB959_24
; %bb.23:
	s_load_dwordx2 s[30:31], s[4:5], 0x10
	s_mul_hi_i32 s35, s15, s6
	s_mul_i32 s34, s15, s6
	v_cvt_f16_f32_e32 v2, v32
	v_cvt_f16_f32_e32 v3, v30
	;; [unrolled: 1-line block ×8, first 2 shown]
	s_lshl_b64 s[34:35], s[34:35], 1
	s_waitcnt lgkmcnt(0)
	s_add_u32 s36, s30, s34
	s_addc_u32 s7, s31, s35
	s_mov_b32 s39, 0x20000
	s_and_b32 s37, s7, 0xffff
	v_pack_b32_f16 v5, v5, v6
	v_pack_b32_f16 v4, v4, v7
	;; [unrolled: 1-line block ×4, first 2 shown]
	v_lshlrev_b32_e32 v6, 5, v0
	buffer_store_dwordx4 v[2:5], v6, s[36:39], 0 offen
	v_cvt_f16_f32_e32 v7, v19
	v_cvt_f16_f32_e32 v2, v26
	;; [unrolled: 1-line block ×8, first 2 shown]
	v_pack_b32_f16 v5, v5, v7
	v_pack_b32_f16 v4, v4, v8
	;; [unrolled: 1-line block ×4, first 2 shown]
	;;#ASMSTART
	s_nop 0
	;;#ASMEND
	buffer_store_dwordx4 v[2:5], v6, s[36:39], 16 offen
	;;#ASMSTART
	s_nop 0
	;;#ASMEND
	s_nop 0
	v_mov_b32_e32 v2, 0x2edbe6ff
.LBB959_24:
	s_or_b64 exec, exec, s[8:9]
	s_and_saveexec_b64 s[8:9], s[0:1]
	s_cbranch_execz .LBB959_26
; %bb.25:
	v_and_b32_e32 v3, 0x7fffffff, v32
	v_and_b32_e32 v4, 0x7fffffff, v33
	;;#ASMSTART
	v_max3_f32 v2, v2, v3, v4

	;;#ASMEND
	v_and_b32_e32 v3, 0x7fffffff, v30
	v_and_b32_e32 v4, 0x7fffffff, v31
	;;#ASMSTART
	v_max3_f32 v2, v2, v3, v4

	;;#ASMEND
	;; [unrolled: 6-line block ×8, first 2 shown]
.LBB959_26:
	s_or_b64 exec, exec, s[8:9]
	;;#ASMSTART
	v_max_f32 v3, v2, v2 quad_perm:[1,0,3,2] row_mask:0xf bank_mask:0xf bound_ctrl:1
	;;#ASMEND
	;;#ASMSTART
	v_max_f32 v2, v3, v3 quad_perm:[2,3,0,1] row_mask:0xf bank_mask:0xf bound_ctrl:1
	;;#ASMEND
	v_and_b32_e32 v3, 3, v0
	v_cmp_eq_u32_e32 vcc, 0, v3
	v_cmp_gt_i32_e64 s[8:9], s23, v1
	s_and_b64 s[30:31], vcc, s[8:9]
	s_and_saveexec_b64 s[8:9], s[30:31]
	s_cbranch_execz .LBB959_28
; %bb.27:
	s_load_dwordx2 s[30:31], s[4:5], 0x8
	v_mul_f32_e32 v2, 0x3e2aaaab, v2
	v_lshrrev_b32_e32 v3, 23, v2
	v_and_b32_e32 v4, 0x7f800000, v2
	v_and_b32_e32 v2, 0x7fffff, v2
	v_cmp_ne_u32_e32 vcc, 0, v2
	s_mul_hi_i32 s15, s13, s6
	s_mul_i32 s13, s13, s6
	s_mov_b32 s7, 0x7f800000
	v_addc_co_u32_e32 v2, vcc, 0, v3, vcc
	s_waitcnt lgkmcnt(0)
	s_add_u32 s30, s30, s13
	v_cmp_ne_u32_e32 vcc, s7, v4
	s_addc_u32 s31, s31, s15
	v_lshrrev_b32_e32 v5, 2, v0
	v_cndmask_b32_e32 v4, -1, v2, vcc
	v_pk_mov_b32 v[2:3], s[30:31], s[30:31] op_sel:[0,1]
	v_mad_i64_i32 v[2:3], s[14:15], s14, v5, v[2:3]
	global_store_byte v[2:3], v4, off
.LBB959_28:
	s_or_b64 exec, exec, s[8:9]
	s_and_saveexec_b64 s[8:9], s[0:1]
	s_cbranch_execz .LBB959_30
; %bb.29:
	s_load_dwordx2 s[0:1], s[4:5], 0x0
	s_mul_hi_i32 s7, s12, s6
	s_mul_i32 s12, s12, s6
	v_mov_b32_e32 v2, 0
	v_lshlrev_b32_e32 v4, 3, v0
	s_waitcnt lgkmcnt(0)
	s_add_u32 s12, s0, s12
	s_addc_u32 s0, s1, s7
	s_lshr_b32 s1, s23, 31
	s_add_i32 s1, s23, s1
	s_ashr_i32 s1, s1, 1
	s_add_i32 s1, s1, 3
	s_ashr_i32 s7, s1, 31
	s_lshr_b32 s7, s7, 30
	s_add_i32 s1, s1, s7
	s_and_b32 s14, s1, -4
	s_and_b32 s13, s0, 0xffff
	s_mov_b32 s15, 0x20000
	v_mov_b32_e32 v3, v2
	buffer_store_dwordx2 v[2:3], v4, s[12:15], 0 offen
	;;#ASMSTART
	s_nop 0
	;;#ASMEND
.LBB959_30:
	s_or_b64 exec, exec, s[8:9]
	s_cmp_lt_i32 s24, 1
	s_cbranch_scc1 .LBB959_17
.LBB959_31:
	s_load_dword s0, s[4:5], 0x94
	s_waitcnt lgkmcnt(0)
	s_cmp_lg_u32 s0, 1
	s_cbranch_scc1 .LBB959_17
; %bb.32:
	s_lshl_b32 s0, s24, 1
	s_add_i32 s0, s0, 2
	v_cmp_gt_u32_e32 vcc, s24, v1
	s_and_b32 s30, s0, -4
	v_mov_b32_e32 v18, 0
	v_lshlrev_b32_e32 v1, 5, v0
	s_waitcnt vmcnt(2)
	v_mov_b32_e32 v14, 0
	v_mov_b32_e32 v15, 0
	;; [unrolled: 1-line block ×8, first 2 shown]
	s_waitcnt vmcnt(1)
	v_mov_b32_e32 v6, 0
	v_mov_b32_e32 v7, 0
	;; [unrolled: 1-line block ×4, first 2 shown]
	s_waitcnt vmcnt(0)
	v_mov_b32_e32 v2, 0
	v_mov_b32_e32 v3, 0
	;; [unrolled: 1-line block ×4, first 2 shown]
	s_barrier
	s_and_saveexec_b64 s[0:1], vcc
	s_cbranch_execz .LBB959_34
; %bb.33:
	s_mul_hi_i32 s5, s26, s6
	s_mul_i32 s4, s26, s6
	s_and_b32 s29, s29, 0xffff
	s_lshl_b64 s[4:5], s[4:5], 1
	s_add_u32 s8, s10, s4
	s_mov_b32 s31, 0x20000
	s_addc_u32 s4, s11, s5
	s_and_b32 s9, s4, 0xffff
	s_mov_b32 s10, s30
	s_mov_b32 s11, s31
	buffer_load_dwordx4 v[14:17], v1, s[8:11], 0 offen
	buffer_load_dwordx4 v[10:13], v1, s[8:11], 16 offen
	;; [unrolled: 1-line block ×4, first 2 shown]
.LBB959_34:
	s_or_b64 exec, exec, s[0:1]
	v_mov_b32_e32 v19, 0
	v_mov_b32_e32 v32, 0
	;; [unrolled: 1-line block ×15, first 2 shown]
	s_and_saveexec_b64 s[0:1], vcc
	s_cbranch_execz .LBB959_36
; %bb.35:
	s_waitcnt vmcnt(3)
	v_cvt_f32_f16_sdwa v19, v14 dst_sel:DWORD dst_unused:UNUSED_PAD src0_sel:WORD_1
	v_cvt_f32_f16_e32 v18, v14
	v_cvt_f32_f16_sdwa v33, v15 dst_sel:DWORD dst_unused:UNUSED_PAD src0_sel:WORD_1
	v_cvt_f32_f16_e32 v32, v15
	;; [unrolled: 2-line block ×4, first 2 shown]
	s_waitcnt vmcnt(2)
	v_cvt_f32_f16_sdwa v27, v10 dst_sel:DWORD dst_unused:UNUSED_PAD src0_sel:WORD_1
	v_cvt_f32_f16_e32 v26, v10
	v_cvt_f32_f16_sdwa v25, v11 dst_sel:DWORD dst_unused:UNUSED_PAD src0_sel:WORD_1
	v_cvt_f32_f16_e32 v24, v11
	;; [unrolled: 2-line block ×4, first 2 shown]
.LBB959_36:
	s_or_b64 exec, exec, s[0:1]
	s_waitcnt vmcnt(2)
	v_mul_f32_e32 v10, v19, v19
	v_fmac_f32_e32 v10, v18, v18
	v_fmac_f32_e32 v10, v32, v32
	;; [unrolled: 1-line block ×15, first 2 shown]
	s_nop 1
	v_mov_b32_dpp v11, v10 quad_perm:[1,0,3,2] row_mask:0xf bank_mask:0xf
	v_add_f32_e32 v10, v10, v11
	s_nop 1
	v_mov_b32_dpp v11, v10 quad_perm:[2,3,0,1] row_mask:0xf bank_mask:0xf
	v_add_f32_e32 v10, v10, v11
	s_nop 1
	v_mov_b32_dpp v11, v10 row_half_mirror row_mask:0xf bank_mask:0xf
	v_add_f32_e32 v10, v10, v11
	s_nop 1
	v_mov_b32_dpp v11, v10 row_mirror row_mask:0xf bank_mask:0xf
	v_add_f32_e32 v10, v10, v11
	s_nop 1
	v_mov_b32_dpp v11, v10 row_bcast:15 row_mask:0xf bank_mask:0xf
	v_add_f32_e32 v10, v10, v11
	s_nop 1
	v_mov_b32_dpp v11, v10 row_bcast:31 row_mask:0xf bank_mask:0xf
	s_and_saveexec_b64 s[0:1], s[2:3]
	s_cbranch_execz .LBB959_38
; %bb.37:
	v_lshrrev_b32_e32 v0, 4, v0
	v_add_f32_e32 v10, v10, v11
	v_and_b32_e32 v0, 60, v0
	ds_write_b32 v0, v10
.LBB959_38:
	s_or_b64 exec, exec, s[0:1]
	s_waitcnt lgkmcnt(0)
	s_barrier
	ds_read_b32 v0, v34
	s_waitcnt lgkmcnt(0)
	s_nop 0
	v_mov_b32_dpp v10, v0 quad_perm:[1,0,3,2] row_mask:0xf bank_mask:0xf
	v_add_f32_e32 v0, v0, v10
	s_nop 1
	v_mov_b32_dpp v10, v0 quad_perm:[2,3,0,1] row_mask:0xf bank_mask:0xf
	v_add_f32_e32 v0, v0, v10
	s_nop 1
	v_mov_b32_dpp v10, v0 row_half_mirror row_mask:0xf bank_mask:0xf
	s_and_saveexec_b64 s[0:1], vcc
	s_cbranch_execz .LBB959_17
; %bb.39:
	v_cvt_f32_u32_e32 v11, s24
	v_add_f32_e32 v0, v0, v10
	s_mov_b32 s31, 0x20000
	v_div_scale_f32 v10, s[0:1], v11, v11, v0
	v_rcp_f32_e32 v12, v10
	v_div_scale_f32 v13, vcc, v0, v11, v0
	s_mov_b32 s0, 0x800000
	v_fma_f32 v14, -v10, v12, 1.0
	v_fmac_f32_e32 v12, v14, v12
	v_mul_f32_e32 v14, v13, v12
	v_fma_f32 v15, -v10, v14, v13
	v_fmac_f32_e32 v14, v15, v12
	v_fma_f32 v10, -v10, v14, v13
	v_div_fmas_f32 v10, v10, v12, v14
	v_div_fixup_f32 v0, v10, v11, v0
	v_add_f32_e32 v0, s21, v0
	v_mul_f32_e32 v10, 0x4b800000, v0
	v_cmp_gt_f32_e32 vcc, s0, v0
	v_cndmask_b32_e32 v0, v0, v10, vcc
	v_rsq_f32_e32 v0, v0
	s_mul_hi_i32 s1, s16, s6
	s_mul_i32 s0, s16, s6
	s_lshl_b64 s[0:1], s[0:1], 1
	v_mul_f32_e32 v10, 0x45800000, v0
	v_cndmask_b32_e32 v10, v0, v10, vcc
	v_mov_b32_e32 v11, v10
	;;#ASMSTART
	v_pk_mul_f32 v[12:13], v[18:19], v[10:11]
	;;#ASMEND
	;;#ASMSTART
	v_pk_mul_f32 v[14:15], v[32:33], v[10:11]
	;;#ASMEND
	;; [unrolled: 3-line block ×8, first 2 shown]
	s_waitcnt vmcnt(1)
	v_cvt_f32_f16_sdwa v21, v6 dst_sel:DWORD dst_unused:UNUSED_PAD src0_sel:WORD_1
	v_cvt_f32_f16_e32 v20, v6
	v_cvt_f32_f16_sdwa v29, v7 dst_sel:DWORD dst_unused:UNUSED_PAD src0_sel:WORD_1
	v_cvt_f32_f16_e32 v28, v7
	;; [unrolled: 2-line block ×4, first 2 shown]
	;;#ASMSTART
	v_pk_mul_f32 v[8:9], v[12:13], v[20:21]
	;;#ASMEND
	;;#ASMSTART
	v_pk_mul_f32 v[12:13], v[14:15], v[28:29]
	;;#ASMEND
	;; [unrolled: 3-line block ×4, first 2 shown]
	s_waitcnt vmcnt(0)
	v_cvt_f32_f16_sdwa v17, v2 dst_sel:DWORD dst_unused:UNUSED_PAD src0_sel:WORD_1
	v_cvt_f32_f16_e32 v16, v2
	v_cvt_f32_f16_sdwa v19, v3 dst_sel:DWORD dst_unused:UNUSED_PAD src0_sel:WORD_1
	v_cvt_f32_f16_e32 v18, v3
	;; [unrolled: 2-line block ×4, first 2 shown]
	;;#ASMSTART
	v_pk_mul_f32 v[16:17], v[26:27], v[16:17]
	;;#ASMEND
	;;#ASMSTART
	v_pk_mul_f32 v[18:19], v[24:25], v[18:19]
	;;#ASMEND
	;; [unrolled: 3-line block ×3, first 2 shown]
	v_cvt_f16_f32_e32 v0, v8
	v_cvt_f16_f32_e32 v2, v9
	;; [unrolled: 1-line block ×8, first 2 shown]
	s_add_u32 s28, s18, s0
	s_addc_u32 s0, s19, s1
	s_and_b32 s29, s0, 0xffff
	v_pack_b32_f16 v2, v0, v2
	v_pack_b32_f16 v3, v3, v4
	;; [unrolled: 1-line block ×4, first 2 shown]
	;;#ASMSTART
	v_pk_mul_f32 v[10:11], v[10:11], v[20:21]
	;;#ASMEND
	buffer_store_dwordx4 v[2:5], v1, s[28:31], 0 offen
	v_cvt_f16_f32_e32 v0, v16
	v_cvt_f16_f32_e32 v2, v17
	;; [unrolled: 1-line block ×8, first 2 shown]
	v_pack_b32_f16 v2, v0, v2
	v_pack_b32_f16 v3, v3, v4
	;; [unrolled: 1-line block ×4, first 2 shown]
	;;#ASMSTART
	s_nop 0
	;;#ASMEND
	buffer_store_dwordx4 v[2:5], v1, s[28:31], 16 offen
	;;#ASMSTART
	s_nop 0
	;;#ASMEND
	s_endpgm
	.section	.rodata,"a",@progbits
	.p2align	6, 0x0
	.amdhsa_kernel _ZN5aiter35fused_qk_rmsnorm_group_quant_kernelIDF16_N4opus5fp4_tELi512ELi16ELi4ELb1ELb1ELb0ELb0ELb0ELb0EEEvPT0_PvPT_S7_S7_PKS6_S9_S9_S9_S9_ffiiiiiiiiiiiii
		.amdhsa_group_segment_fixed_size 64
		.amdhsa_private_segment_fixed_size 0
		.amdhsa_kernarg_size 400
		.amdhsa_user_sgpr_count 6
		.amdhsa_user_sgpr_private_segment_buffer 1
		.amdhsa_user_sgpr_dispatch_ptr 0
		.amdhsa_user_sgpr_queue_ptr 0
		.amdhsa_user_sgpr_kernarg_segment_ptr 1
		.amdhsa_user_sgpr_dispatch_id 0
		.amdhsa_user_sgpr_flat_scratch_init 0
		.amdhsa_user_sgpr_kernarg_preload_length 0
		.amdhsa_user_sgpr_kernarg_preload_offset 0
		.amdhsa_user_sgpr_private_segment_size 0
		.amdhsa_uses_dynamic_stack 0
		.amdhsa_system_sgpr_private_segment_wavefront_offset 0
		.amdhsa_system_sgpr_workgroup_id_x 1
		.amdhsa_system_sgpr_workgroup_id_y 1
		.amdhsa_system_sgpr_workgroup_id_z 0
		.amdhsa_system_sgpr_workgroup_info 0
		.amdhsa_system_vgpr_workitem_id 0
		.amdhsa_next_free_vgpr 47
		.amdhsa_next_free_sgpr 44
		.amdhsa_accum_offset 48
		.amdhsa_reserve_vcc 1
		.amdhsa_reserve_flat_scratch 0
		.amdhsa_float_round_mode_32 0
		.amdhsa_float_round_mode_16_64 0
		.amdhsa_float_denorm_mode_32 3
		.amdhsa_float_denorm_mode_16_64 3
		.amdhsa_dx10_clamp 1
		.amdhsa_ieee_mode 1
		.amdhsa_fp16_overflow 0
		.amdhsa_tg_split 0
		.amdhsa_exception_fp_ieee_invalid_op 0
		.amdhsa_exception_fp_denorm_src 0
		.amdhsa_exception_fp_ieee_div_zero 0
		.amdhsa_exception_fp_ieee_overflow 0
		.amdhsa_exception_fp_ieee_underflow 0
		.amdhsa_exception_fp_ieee_inexact 0
		.amdhsa_exception_int_div_zero 0
	.end_amdhsa_kernel
	.section	.text._ZN5aiter35fused_qk_rmsnorm_group_quant_kernelIDF16_N4opus5fp4_tELi512ELi16ELi4ELb1ELb1ELb0ELb0ELb0ELb0EEEvPT0_PvPT_S7_S7_PKS6_S9_S9_S9_S9_ffiiiiiiiiiiiii,"axG",@progbits,_ZN5aiter35fused_qk_rmsnorm_group_quant_kernelIDF16_N4opus5fp4_tELi512ELi16ELi4ELb1ELb1ELb0ELb0ELb0ELb0EEEvPT0_PvPT_S7_S7_PKS6_S9_S9_S9_S9_ffiiiiiiiiiiiii,comdat
.Lfunc_end959:
	.size	_ZN5aiter35fused_qk_rmsnorm_group_quant_kernelIDF16_N4opus5fp4_tELi512ELi16ELi4ELb1ELb1ELb0ELb0ELb0ELb0EEEvPT0_PvPT_S7_S7_PKS6_S9_S9_S9_S9_ffiiiiiiiiiiiii, .Lfunc_end959-_ZN5aiter35fused_qk_rmsnorm_group_quant_kernelIDF16_N4opus5fp4_tELi512ELi16ELi4ELb1ELb1ELb0ELb0ELb0ELb0EEEvPT0_PvPT_S7_S7_PKS6_S9_S9_S9_S9_ffiiiiiiiiiiiii
                                        ; -- End function
	.section	.AMDGPU.csdata,"",@progbits
; Kernel info:
; codeLenInByte = 4016
; NumSgprs: 48
; NumVgprs: 47
; NumAgprs: 0
; TotalNumVgprs: 47
; ScratchSize: 0
; MemoryBound: 0
; FloatMode: 240
; IeeeMode: 1
; LDSByteSize: 64 bytes/workgroup (compile time only)
; SGPRBlocks: 5
; VGPRBlocks: 5
; NumSGPRsForWavesPerEU: 48
; NumVGPRsForWavesPerEU: 47
; AccumOffset: 48
; Occupancy: 8
; WaveLimiterHint : 0
; COMPUTE_PGM_RSRC2:SCRATCH_EN: 0
; COMPUTE_PGM_RSRC2:USER_SGPR: 6
; COMPUTE_PGM_RSRC2:TRAP_HANDLER: 0
; COMPUTE_PGM_RSRC2:TGID_X_EN: 1
; COMPUTE_PGM_RSRC2:TGID_Y_EN: 1
; COMPUTE_PGM_RSRC2:TGID_Z_EN: 0
; COMPUTE_PGM_RSRC2:TIDIG_COMP_CNT: 0
; COMPUTE_PGM_RSRC3_GFX90A:ACCUM_OFFSET: 11
; COMPUTE_PGM_RSRC3_GFX90A:TG_SPLIT: 0
	.section	.text._ZN5aiter35fused_qk_rmsnorm_group_quant_kernelItN4opus5fp4_tELi512ELi16ELi4ELb1ELb1ELb0ELb0ELb0ELb0EEEvPT0_PvPT_S7_S7_PKS6_S9_S9_S9_S9_ffiiiiiiiiiiiii,"axG",@progbits,_ZN5aiter35fused_qk_rmsnorm_group_quant_kernelItN4opus5fp4_tELi512ELi16ELi4ELb1ELb1ELb0ELb0ELb0ELb0EEEvPT0_PvPT_S7_S7_PKS6_S9_S9_S9_S9_ffiiiiiiiiiiiii,comdat
	.protected	_ZN5aiter35fused_qk_rmsnorm_group_quant_kernelItN4opus5fp4_tELi512ELi16ELi4ELb1ELb1ELb0ELb0ELb0ELb0EEEvPT0_PvPT_S7_S7_PKS6_S9_S9_S9_S9_ffiiiiiiiiiiiii ; -- Begin function _ZN5aiter35fused_qk_rmsnorm_group_quant_kernelItN4opus5fp4_tELi512ELi16ELi4ELb1ELb1ELb0ELb0ELb0ELb0EEEvPT0_PvPT_S7_S7_PKS6_S9_S9_S9_S9_ffiiiiiiiiiiiii
	.globl	_ZN5aiter35fused_qk_rmsnorm_group_quant_kernelItN4opus5fp4_tELi512ELi16ELi4ELb1ELb1ELb0ELb0ELb0ELb0EEEvPT0_PvPT_S7_S7_PKS6_S9_S9_S9_S9_ffiiiiiiiiiiiii
	.p2align	8
	.type	_ZN5aiter35fused_qk_rmsnorm_group_quant_kernelItN4opus5fp4_tELi512ELi16ELi4ELb1ELb1ELb0ELb0ELb0ELb0EEEvPT0_PvPT_S7_S7_PKS6_S9_S9_S9_S9_ffiiiiiiiiiiiii,@function
_ZN5aiter35fused_qk_rmsnorm_group_quant_kernelItN4opus5fp4_tELi512ELi16ELi4ELb1ELb1ELb0ELb0ELb0ELb0EEEvPT0_PvPT_S7_S7_PKS6_S9_S9_S9_S9_ffiiiiiiiiiiiii: ; @_ZN5aiter35fused_qk_rmsnorm_group_quant_kernelItN4opus5fp4_tELi512ELi16ELi4ELb1ELb1ELb0ELb0ELb0ELb0EEEvPT0_PvPT_S7_S7_PKS6_S9_S9_S9_S9_ffiiiiiiiiiiiii
; %bb.0:
	s_load_dwordx8 s[20:27], s[4:5], 0x50
	s_waitcnt lgkmcnt(0)
	s_cmp_ge_i32 s6, s22
	s_cbranch_scc1 .LBB960_17
; %bb.1:
	s_load_dwordx2 s[28:29], s[4:5], 0x48
	s_load_dwordx2 s[10:11], s[4:5], 0x30
	s_load_dwordx8 s[12:19], s[4:5], 0x70
	s_cmp_lg_u32 s7, 0
	s_waitcnt lgkmcnt(0)
	s_cselect_b64 s[18:19], -1, 0
	s_cmp_eq_u32 s7, 0
	s_cselect_b64 s[8:9], -1, 0
	s_and_b64 s[0:1], s[8:9], exec
	s_cselect_b32 s7, s23, s24
	s_add_i32 s0, s7, 1
	s_lshr_b32 s1, s0, 31
	s_add_i32 s0, s0, s1
	s_lshl_b32 s0, s0, 1
	v_lshlrev_b32_e32 v1, 4, v0
	s_and_b32 s38, s0, -4
	v_cmp_gt_i32_e64 s[0:1], s7, v1
	v_mov_b32_e32 v80, 0
	v_mov_b32_e32 v81, 0
	;; [unrolled: 1-line block ×16, first 2 shown]
	s_and_saveexec_b64 s[2:3], s[0:1]
	s_cbranch_execz .LBB960_3
; %bb.2:
	s_load_dwordx2 s[30:31], s[4:5], 0x28
	s_load_dwordx2 s[34:35], s[4:5], 0x40
	s_and_b64 s[36:37], s[8:9], exec
	s_cselect_b32 s22, s25, s26
	s_mov_b32 s39, 0x20000
	s_waitcnt lgkmcnt(0)
	s_cselect_b32 s25, s31, s11
	s_cselect_b32 s33, s30, s10
	s_mul_hi_i32 s31, s22, s6
	s_mul_i32 s30, s22, s6
	s_lshl_b64 s[30:31], s[30:31], 1
	s_add_u32 s40, s33, s30
	s_addc_u32 s22, s25, s31
	s_and_b64 s[30:31], s[8:9], exec
	s_cselect_b32 s36, s34, s28
	s_cselect_b32 s25, s35, s29
	s_and_b32 s41, s22, 0xffff
	s_mov_b32 s42, s38
	s_mov_b32 s43, s39
	v_lshlrev_b32_e32 v2, 5, v0
	s_and_b32 s37, s25, 0xffff
	buffer_load_dwordx4 v[84:87], v2, s[40:43], 0 offen
	buffer_load_dwordx4 v[88:91], v2, s[40:43], 16 offen
	;; [unrolled: 1-line block ×4, first 2 shown]
.LBB960_3:
	s_or_b64 exec, exec, s[2:3]
	s_and_b64 vcc, exec, s[18:19]
	s_cbranch_vccz .LBB960_7
; %bb.4:
	v_mov_b32_e32 v93, 0
	v_mov_b32_e32 v92, 0
	;; [unrolled: 1-line block ×16, first 2 shown]
	s_and_saveexec_b64 s[2:3], s[0:1]
	s_cbranch_execz .LBB960_6
; %bb.5:
	s_waitcnt vmcnt(3)
	v_cvt_f32_u32_sdwa v32, v84 dst_sel:DWORD dst_unused:UNUSED_PAD src0_sel:WORD_0
	v_cvt_f32_u32_sdwa v33, v84 dst_sel:DWORD dst_unused:UNUSED_PAD src0_sel:WORD_1
	v_cvt_f32_u32_sdwa v18, v85 dst_sel:DWORD dst_unused:UNUSED_PAD src0_sel:WORD_0
	v_cvt_f32_u32_sdwa v19, v85 dst_sel:DWORD dst_unused:UNUSED_PAD src0_sel:WORD_1
	;; [unrolled: 2-line block ×4, first 2 shown]
	s_waitcnt vmcnt(2)
	v_cvt_f32_u32_sdwa v68, v88 dst_sel:DWORD dst_unused:UNUSED_PAD src0_sel:WORD_0
	v_cvt_f32_u32_sdwa v69, v88 dst_sel:DWORD dst_unused:UNUSED_PAD src0_sel:WORD_1
	v_cvt_f32_u32_sdwa v62, v89 dst_sel:DWORD dst_unused:UNUSED_PAD src0_sel:WORD_0
	v_cvt_f32_u32_sdwa v63, v89 dst_sel:DWORD dst_unused:UNUSED_PAD src0_sel:WORD_1
	;; [unrolled: 2-line block ×4, first 2 shown]
.LBB960_6:
	s_or_b64 exec, exec, s[2:3]
	s_cbranch_execz .LBB960_8
	s_branch .LBB960_11
.LBB960_7:
                                        ; implicit-def: $vgpr32_vgpr33_vgpr34_vgpr35_vgpr36_vgpr37_vgpr38_vgpr39_vgpr40_vgpr41_vgpr42_vgpr43_vgpr44_vgpr45_vgpr46_vgpr47
                                        ; implicit-def: $vgpr46_vgpr47_vgpr48_vgpr49_vgpr50_vgpr51_vgpr52_vgpr53_vgpr54_vgpr55_vgpr56_vgpr57_vgpr58_vgpr59_vgpr60_vgpr61
                                        ; implicit-def: $vgpr16_vgpr17_vgpr18_vgpr19_vgpr20_vgpr21_vgpr22_vgpr23_vgpr24_vgpr25_vgpr26_vgpr27_vgpr28_vgpr29_vgpr30_vgpr31
                                        ; implicit-def: $vgpr93
                                        ; implicit-def: $vgpr2_vgpr3_vgpr4_vgpr5_vgpr6_vgpr7_vgpr8_vgpr9_vgpr10_vgpr11_vgpr12_vgpr13_vgpr14_vgpr15_vgpr16_vgpr17
                                        ; implicit-def: $vgpr60_vgpr61_vgpr62_vgpr63_vgpr64_vgpr65_vgpr66_vgpr67_vgpr68_vgpr69_vgpr70_vgpr71_vgpr72_vgpr73_vgpr74_vgpr75
                                        ; implicit-def: $vgpr34_vgpr35_vgpr36_vgpr37_vgpr38_vgpr39_vgpr40_vgpr41_vgpr42_vgpr43_vgpr44_vgpr45_vgpr46_vgpr47_vgpr48_vgpr49
                                        ; implicit-def: $vgpr52_vgpr53_vgpr54_vgpr55_vgpr56_vgpr57_vgpr58_vgpr59_vgpr60_vgpr61_vgpr62_vgpr63_vgpr64_vgpr65_vgpr66_vgpr67
.LBB960_8:
	v_mov_b32_e32 v93, 0
	v_mov_b32_e32 v92, 0
	;; [unrolled: 1-line block ×16, first 2 shown]
	s_and_saveexec_b64 s[2:3], s[0:1]
	s_cbranch_execz .LBB960_10
; %bb.9:
	s_load_dwordx2 s[30:31], s[4:5], 0x38
	s_mul_hi_i32 s35, s27, s6
	s_mul_i32 s34, s27, s6
	s_lshl_b64 s[34:35], s[34:35], 1
	s_mov_b32 s39, 0x20000
	s_waitcnt lgkmcnt(0)
	s_add_u32 s36, s30, s34
	s_addc_u32 s22, s31, s35
	s_and_b32 s37, s22, 0xffff
	v_lshlrev_b32_e32 v36, 5, v0
	buffer_load_dwordx4 v[4:7], v36, s[36:39], 16 offen
	buffer_load_dwordx4 v[8:11], v36, s[36:39], 0 offen
	s_load_dwordx2 s[30:31], s[4:5], 0x20
	s_waitcnt vmcnt(5)
	v_cvt_f32_u32_sdwa v21, v84 dst_sel:DWORD dst_unused:UNUSED_PAD src0_sel:WORD_1
	v_cvt_f32_u32_sdwa v20, v84 dst_sel:DWORD dst_unused:UNUSED_PAD src0_sel:WORD_0
	v_cvt_f32_u32_sdwa v19, v85 dst_sel:DWORD dst_unused:UNUSED_PAD src0_sel:WORD_1
	v_cvt_f32_u32_sdwa v18, v85 dst_sel:DWORD dst_unused:UNUSED_PAD src0_sel:WORD_0
	;; [unrolled: 2-line block ×4, first 2 shown]
	s_waitcnt vmcnt(4)
	v_cvt_f32_u32_sdwa v3, v88 dst_sel:DWORD dst_unused:UNUSED_PAD src0_sel:WORD_1
	v_cvt_f32_u32_sdwa v2, v88 dst_sel:DWORD dst_unused:UNUSED_PAD src0_sel:WORD_0
	v_cvt_f32_u32_sdwa v13, v89 dst_sel:DWORD dst_unused:UNUSED_PAD src0_sel:WORD_1
	v_cvt_f32_u32_sdwa v12, v89 dst_sel:DWORD dst_unused:UNUSED_PAD src0_sel:WORD_0
	;; [unrolled: 2-line block ×3, first 2 shown]
	v_cvt_f32_u32_sdwa v16, v91 dst_sel:DWORD dst_unused:UNUSED_PAD src0_sel:WORD_0
	v_cvt_f32_u32_sdwa v17, v91 dst_sel:DWORD dst_unused:UNUSED_PAD src0_sel:WORD_1
	s_mul_hi_i32 s35, s17, s6
	s_mul_i32 s34, s17, s6
	s_lshl_b64 s[34:35], s[34:35], 1
	s_waitcnt lgkmcnt(0)
	s_add_u32 s36, s30, s34
	s_mov_b32 s17, 0x7060302
	s_addc_u32 s22, s31, s35
	s_and_b32 s37, s22, 0xffff
	s_waitcnt vmcnt(1)
	v_cvt_f32_u32_sdwa v27, v4 dst_sel:DWORD dst_unused:UNUSED_PAD src0_sel:WORD_1
	v_cvt_f32_u32_sdwa v26, v4 dst_sel:DWORD dst_unused:UNUSED_PAD src0_sel:WORD_0
	v_cvt_f32_u32_sdwa v29, v5 dst_sel:DWORD dst_unused:UNUSED_PAD src0_sel:WORD_1
	v_cvt_f32_u32_sdwa v28, v5 dst_sel:DWORD dst_unused:UNUSED_PAD src0_sel:WORD_0
	;; [unrolled: 2-line block ×3, first 2 shown]
	v_cvt_f32_u32_sdwa v34, v7 dst_sel:DWORD dst_unused:UNUSED_PAD src0_sel:WORD_0
	v_cvt_f32_u32_sdwa v35, v7 dst_sel:DWORD dst_unused:UNUSED_PAD src0_sel:WORD_1
	s_waitcnt vmcnt(0)
	v_cvt_f32_u32_sdwa v33, v8 dst_sel:DWORD dst_unused:UNUSED_PAD src0_sel:WORD_1
	v_cvt_f32_u32_sdwa v32, v8 dst_sel:DWORD dst_unused:UNUSED_PAD src0_sel:WORD_0
	v_cvt_f32_u32_sdwa v5, v10 dst_sel:DWORD dst_unused:UNUSED_PAD src0_sel:WORD_1
	v_cvt_f32_u32_sdwa v4, v10 dst_sel:DWORD dst_unused:UNUSED_PAD src0_sel:WORD_0
	;; [unrolled: 2-line block ×4, first 2 shown]
	v_pk_add_f32 v[50:51], v[22:23], v[4:5]
	v_pk_add_f32 v[40:41], v[24:25], v[6:7]
	;; [unrolled: 1-line block ×4, first 2 shown]
	v_perm_b32 v7, v41, v40, s17
	v_perm_b32 v6, v51, v50, s17
	;; [unrolled: 1-line block ×4, first 2 shown]
	v_pk_add_f32 v[92:93], v[16:17], v[34:35]
	v_pk_add_f32 v[14:15], v[14:15], v[30:31]
	;; [unrolled: 1-line block ×4, first 2 shown]
	buffer_store_dwordx4 v[4:7], v36, s[36:39], 0 offen
	;;#ASMSTART
	s_nop 0
	;;#ASMEND
	s_nop 0
	v_perm_b32 v7, v93, v92, s17
	v_perm_b32 v6, v15, v14, s17
	;; [unrolled: 1-line block ×4, first 2 shown]
	buffer_store_dwordx4 v[4:7], v36, s[36:39], 16 offen
	;;#ASMSTART
	s_nop 0
	;;#ASMEND
.LBB960_10:
	s_or_b64 exec, exec, s[2:3]
.LBB960_11:
	v_mul_f32_e32 v2, v33, v33
	v_fmac_f32_e32 v2, v32, v32
	v_fmac_f32_e32 v2, v18, v18
	;; [unrolled: 1-line block ×15, first 2 shown]
	s_nop 1
	v_mov_b32_dpp v3, v2 quad_perm:[1,0,3,2] row_mask:0xf bank_mask:0xf
	v_add_f32_e32 v2, v2, v3
	s_nop 1
	v_mov_b32_dpp v3, v2 quad_perm:[2,3,0,1] row_mask:0xf bank_mask:0xf
	v_add_f32_e32 v2, v2, v3
	s_nop 1
	v_mov_b32_dpp v3, v2 row_half_mirror row_mask:0xf bank_mask:0xf
	v_add_f32_e32 v2, v2, v3
	s_nop 1
	v_mov_b32_dpp v3, v2 row_mirror row_mask:0xf bank_mask:0xf
	v_add_f32_e32 v2, v2, v3
	s_nop 1
	v_mov_b32_dpp v3, v2 row_bcast:15 row_mask:0xf bank_mask:0xf
	v_add_f32_e32 v2, v2, v3
	v_and_b32_e32 v3, 63, v0
	v_cmp_eq_u32_e64 s[2:3], 63, v3
	s_nop 0
	v_mov_b32_dpp v3, v2 row_bcast:31 row_mask:0xf bank_mask:0xf
	s_and_saveexec_b64 s[30:31], s[2:3]
	s_cbranch_execz .LBB960_13
; %bb.12:
	v_add_f32_e32 v2, v2, v3
	v_lshrrev_b32_e32 v3, 4, v0
	v_and_b32_e32 v3, 60, v3
	ds_write_b32 v3, v2 offset:32
.LBB960_13:
	s_or_b64 exec, exec, s[30:31]
	v_and_b32_e32 v2, 7, v0
	v_lshlrev_b32_e32 v34, 2, v2
	s_waitcnt lgkmcnt(0)
	s_barrier
	ds_read_b32 v2, v34 offset:32
	s_load_dwordx2 s[34:35], s[4:5], 0x18
	s_waitcnt lgkmcnt(0)
	v_mov_b32_dpp v3, v2 quad_perm:[1,0,3,2] row_mask:0xf bank_mask:0xf
	v_add_f32_e32 v2, v2, v3
	s_nop 1
	v_mov_b32_dpp v3, v2 quad_perm:[2,3,0,1] row_mask:0xf bank_mask:0xf
	v_add_f32_e32 v2, v2, v3
	s_nop 1
	v_mov_b32_dpp v3, v2 row_half_mirror row_mask:0xf bank_mask:0xf
	s_and_saveexec_b64 s[30:31], s[0:1]
	s_cbranch_execnz .LBB960_18
; %bb.14:
	s_or_b64 exec, exec, s[30:31]
	s_mov_b64 s[8:9], -1
	s_and_b64 vcc, exec, s[18:19]
	s_cbranch_vccnz .LBB960_19
.LBB960_15:
	s_andn2_b64 vcc, exec, s[8:9]
	s_cbranch_vccz .LBB960_22
.LBB960_16:
	s_cmp_lt_i32 s24, 1
	s_cbranch_scc0 .LBB960_31
.LBB960_17:
	s_endpgm
.LBB960_18:
	v_add_f32_e32 v2, v2, v3
	v_cvt_f32_u32_e32 v3, s7
	s_mov_b32 s7, 0x800000
	s_waitcnt vmcnt(1)
	v_cvt_f32_u32_sdwa v21, v81 dst_sel:DWORD dst_unused:UNUSED_PAD src0_sel:WORD_1
	v_cvt_f32_u32_sdwa v20, v81 dst_sel:DWORD dst_unused:UNUSED_PAD src0_sel:WORD_0
	v_div_scale_f32 v4, s[36:37], v3, v3, v2
	v_rcp_f32_e32 v5, v4
	s_waitcnt vmcnt(0)
	v_cvt_f32_u32_sdwa v23, v77 dst_sel:DWORD dst_unused:UNUSED_PAD src0_sel:WORD_1
	v_cvt_f32_u32_sdwa v22, v77 dst_sel:DWORD dst_unused:UNUSED_PAD src0_sel:WORD_0
	v_cvt_f32_u32_sdwa v25, v78 dst_sel:DWORD dst_unused:UNUSED_PAD src0_sel:WORD_1
	v_fma_f32 v6, -v4, v5, 1.0
	v_fmac_f32_e32 v5, v6, v5
	v_div_scale_f32 v6, vcc, v2, v3, v2
	v_mul_f32_e32 v7, v6, v5
	v_fma_f32 v8, -v4, v7, v6
	v_fmac_f32_e32 v7, v8, v5
	v_fma_f32 v4, -v4, v7, v6
	v_div_fmas_f32 v4, v4, v5, v7
	v_div_fixup_f32 v2, v4, v3, v2
	v_mov_b32_e32 v3, s21
	v_mov_b32_e32 v4, s20
	v_cndmask_b32_e64 v3, v3, v4, s[8:9]
	v_add_f32_e32 v2, v3, v2
	v_mul_f32_e32 v3, 0x4b800000, v2
	v_cmp_gt_f32_e32 vcc, s7, v2
	v_cndmask_b32_e32 v2, v2, v3, vcc
	v_rsq_f32_e32 v2, v2
	v_cvt_f32_u32_sdwa v24, v78 dst_sel:DWORD dst_unused:UNUSED_PAD src0_sel:WORD_0
	v_cvt_f32_u32_sdwa v27, v79 dst_sel:DWORD dst_unused:UNUSED_PAD src0_sel:WORD_1
	v_cvt_f32_u32_sdwa v26, v79 dst_sel:DWORD dst_unused:UNUSED_PAD src0_sel:WORD_0
	v_mul_f32_e32 v3, 0x45800000, v2
	v_cndmask_b32_e32 v2, v2, v3, vcc
	v_mov_b32_e32 v3, v2
	;;#ASMSTART
	v_pk_mul_f32 v[4:5], v[32:33], v[2:3]
	;;#ASMEND
	;;#ASMSTART
	v_pk_mul_f32 v[6:7], v[18:19], v[2:3]
	;;#ASMEND
	;; [unrolled: 3-line block ×6, first 2 shown]
	v_cvt_f32_u32_sdwa v19, v80 dst_sel:DWORD dst_unused:UNUSED_PAD src0_sel:WORD_1
	v_cvt_f32_u32_sdwa v18, v80 dst_sel:DWORD dst_unused:UNUSED_PAD src0_sel:WORD_0
	;;#ASMSTART
	v_pk_mul_f32 v[14:15], v[14:15], v[2:3]
	;;#ASMEND
	;;#ASMSTART
	v_pk_mul_f32 v[2:3], v[92:93], v[2:3]
	;;#ASMEND
	;; [unrolled: 3-line block ×4, first 2 shown]
	v_cvt_f32_u32_sdwa v5, v82 dst_sel:DWORD dst_unused:UNUSED_PAD src0_sel:WORD_1
	v_cvt_f32_u32_sdwa v4, v82 dst_sel:DWORD dst_unused:UNUSED_PAD src0_sel:WORD_0
	v_cvt_f32_u32_sdwa v7, v83 dst_sel:DWORD dst_unused:UNUSED_PAD src0_sel:WORD_1
	v_cvt_f32_u32_sdwa v6, v83 dst_sel:DWORD dst_unused:UNUSED_PAD src0_sel:WORD_0
	v_cvt_f32_u32_sdwa v21, v76 dst_sel:DWORD dst_unused:UNUSED_PAD src0_sel:WORD_1
	v_cvt_f32_u32_sdwa v20, v76 dst_sel:DWORD dst_unused:UNUSED_PAD src0_sel:WORD_0
	;;#ASMSTART
	v_pk_mul_f32 v[50:51], v[8:9], v[4:5]
	;;#ASMEND
	;;#ASMSTART
	v_pk_mul_f32 v[40:41], v[10:11], v[6:7]
	;;#ASMEND
	;; [unrolled: 3-line block ×6, first 2 shown]
	s_or_b64 exec, exec, s[30:31]
	s_mov_b64 s[8:9], -1
	s_and_b64 vcc, exec, s[18:19]
	s_cbranch_vccz .LBB960_15
.LBB960_19:
	s_and_saveexec_b64 s[8:9], s[0:1]
	s_cbranch_execz .LBB960_21
; %bb.20:
	s_mul_hi_i32 s19, s16, s6
	s_mul_i32 s18, s16, s6
	s_lshl_b64 s[18:19], s[18:19], 1
	s_add_u32 s36, s34, s18
	s_addc_u32 s7, s35, s19
	s_and_b32 s37, s7, 0xffff
	s_mov_b32 s7, 0x7060302
	s_mov_b32 s39, 0x20000
	v_perm_b32 v5, v41, v40, s7
	v_perm_b32 v4, v51, v50, s7
	;; [unrolled: 1-line block ×4, first 2 shown]
	v_lshlrev_b32_e32 v6, 5, v0
	buffer_store_dwordx4 v[2:5], v6, s[36:39], 0 offen
	;;#ASMSTART
	s_nop 0
	;;#ASMEND
	s_nop 0
	v_perm_b32 v5, v93, v92, s7
	v_perm_b32 v4, v15, v14, s7
	v_perm_b32 v3, v63, v62, s7
	v_perm_b32 v2, v69, v68, s7
	buffer_store_dwordx4 v[2:5], v6, s[36:39], 16 offen
	;;#ASMSTART
	s_nop 0
	;;#ASMEND
.LBB960_21:
	s_or_b64 exec, exec, s[8:9]
	s_cbranch_execnz .LBB960_16
.LBB960_22:
	v_mov_b32_e32 v2, 0
	s_and_saveexec_b64 s[8:9], s[0:1]
	s_cbranch_execz .LBB960_24
; %bb.23:
	s_load_dwordx2 s[18:19], s[4:5], 0x10
	s_mul_hi_i32 s31, s15, s6
	s_mul_i32 s30, s15, s6
	s_lshl_b64 s[30:31], s[30:31], 1
	s_mov_b32 s39, 0x20000
	s_waitcnt lgkmcnt(0)
	s_add_u32 s36, s18, s30
	s_addc_u32 s7, s19, s31
	s_and_b32 s37, s7, 0xffff
	s_mov_b32 s7, 0x7060302
	v_perm_b32 v5, v41, v40, s7
	v_perm_b32 v4, v51, v50, s7
	;; [unrolled: 1-line block ×4, first 2 shown]
	v_lshlrev_b32_e32 v6, 5, v0
	buffer_store_dwordx4 v[2:5], v6, s[36:39], 0 offen
	;;#ASMSTART
	s_nop 0
	;;#ASMEND
	s_nop 0
	v_perm_b32 v5, v93, v92, s7
	v_perm_b32 v4, v15, v14, s7
	v_perm_b32 v3, v63, v62, s7
	v_perm_b32 v2, v69, v68, s7
	buffer_store_dwordx4 v[2:5], v6, s[36:39], 16 offen
	;;#ASMSTART
	s_nop 0
	;;#ASMEND
	s_nop 0
	v_mov_b32_e32 v2, 0x2edbe6ff
.LBB960_24:
	s_or_b64 exec, exec, s[8:9]
	s_and_saveexec_b64 s[8:9], s[0:1]
	s_cbranch_execz .LBB960_26
; %bb.25:
	v_and_b32_e32 v3, 0x7fffffff, v32
	v_and_b32_e32 v4, 0x7fffffff, v33
	;;#ASMSTART
	v_max3_f32 v2, v2, v3, v4

	;;#ASMEND
	v_and_b32_e32 v5, 0x7fffffff, v18
	v_and_b32_e32 v6, 0x7fffffff, v19
	;;#ASMSTART
	v_max3_f32 v2, v2, v5, v6

	;;#ASMEND
	;; [unrolled: 6-line block ×8, first 2 shown]
.LBB960_26:
	s_or_b64 exec, exec, s[8:9]
	;;#ASMSTART
	v_max_f32 v3, v2, v2 quad_perm:[1,0,3,2] row_mask:0xf bank_mask:0xf bound_ctrl:1
	;;#ASMEND
	;;#ASMSTART
	v_max_f32 v2, v3, v3 quad_perm:[2,3,0,1] row_mask:0xf bank_mask:0xf bound_ctrl:1
	;;#ASMEND
	v_and_b32_e32 v3, 3, v0
	v_cmp_eq_u32_e32 vcc, 0, v3
	v_cmp_gt_i32_e64 s[8:9], s23, v1
	s_and_b64 s[18:19], vcc, s[8:9]
	s_and_saveexec_b64 s[8:9], s[18:19]
	s_cbranch_execz .LBB960_28
; %bb.27:
	s_load_dwordx2 s[18:19], s[4:5], 0x8
	v_mul_f32_e32 v2, 0x3e2aaaab, v2
	v_lshrrev_b32_e32 v3, 23, v2
	v_and_b32_e32 v4, 0x7f800000, v2
	v_and_b32_e32 v2, 0x7fffff, v2
	v_cmp_ne_u32_e32 vcc, 0, v2
	s_mul_hi_i32 s15, s13, s6
	s_mul_i32 s13, s13, s6
	s_mov_b32 s7, 0x7f800000
	v_addc_co_u32_e32 v2, vcc, 0, v3, vcc
	s_waitcnt lgkmcnt(0)
	s_add_u32 s18, s18, s13
	v_cmp_ne_u32_e32 vcc, s7, v4
	s_addc_u32 s19, s19, s15
	v_lshrrev_b32_e32 v5, 2, v0
	v_cndmask_b32_e32 v4, -1, v2, vcc
	v_pk_mov_b32 v[2:3], s[18:19], s[18:19] op_sel:[0,1]
	v_mad_i64_i32 v[2:3], s[14:15], s14, v5, v[2:3]
	global_store_byte v[2:3], v4, off
.LBB960_28:
	s_or_b64 exec, exec, s[8:9]
	s_and_saveexec_b64 s[8:9], s[0:1]
	s_cbranch_execz .LBB960_30
; %bb.29:
	s_load_dwordx2 s[0:1], s[4:5], 0x0
	s_mul_hi_i32 s7, s12, s6
	s_mul_i32 s12, s12, s6
	v_mov_b32_e32 v2, 0
	v_lshlrev_b32_e32 v4, 3, v0
	s_waitcnt lgkmcnt(0)
	s_add_u32 s12, s0, s12
	s_addc_u32 s0, s1, s7
	s_lshr_b32 s1, s23, 31
	s_add_i32 s1, s23, s1
	s_ashr_i32 s1, s1, 1
	s_add_i32 s1, s1, 3
	s_ashr_i32 s7, s1, 31
	s_lshr_b32 s7, s7, 30
	s_add_i32 s1, s1, s7
	s_and_b32 s14, s1, -4
	s_and_b32 s13, s0, 0xffff
	s_mov_b32 s15, 0x20000
	v_mov_b32_e32 v3, v2
	buffer_store_dwordx2 v[2:3], v4, s[12:15], 0 offen
	;;#ASMSTART
	s_nop 0
	;;#ASMEND
.LBB960_30:
	s_or_b64 exec, exec, s[8:9]
	s_cmp_lt_i32 s24, 1
	s_cbranch_scc1 .LBB960_17
.LBB960_31:
	s_load_dword s0, s[4:5], 0x94
	s_waitcnt lgkmcnt(0)
	s_cmp_lg_u32 s0, 1
	s_cbranch_scc1 .LBB960_17
; %bb.32:
	s_lshl_b32 s0, s24, 1
	s_add_i32 s0, s0, 2
	v_cmp_gt_u32_e32 vcc, s24, v1
	s_and_b32 s30, s0, -4
	v_mov_b32_e32 v18, 0
	v_lshlrev_b32_e32 v1, 5, v0
	v_mov_b32_e32 v14, 0
	v_mov_b32_e32 v15, 0
	;; [unrolled: 1-line block ×16, first 2 shown]
	s_barrier
	s_and_saveexec_b64 s[0:1], vcc
	s_cbranch_execz .LBB960_34
; %bb.33:
	s_mul_hi_i32 s5, s26, s6
	s_mul_i32 s4, s26, s6
	s_and_b32 s29, s29, 0xffff
	s_lshl_b64 s[4:5], s[4:5], 1
	s_add_u32 s8, s10, s4
	s_mov_b32 s31, 0x20000
	s_addc_u32 s4, s11, s5
	s_and_b32 s9, s4, 0xffff
	s_mov_b32 s10, s30
	s_mov_b32 s11, s31
	buffer_load_dwordx4 v[14:17], v1, s[8:11], 0 offen
	buffer_load_dwordx4 v[10:13], v1, s[8:11], 16 offen
	;; [unrolled: 1-line block ×4, first 2 shown]
.LBB960_34:
	s_or_b64 exec, exec, s[0:1]
	v_mov_b32_e32 v19, 0
	v_mov_b32_e32 v32, 0
	;; [unrolled: 1-line block ×15, first 2 shown]
	s_and_saveexec_b64 s[0:1], vcc
	s_cbranch_execz .LBB960_36
; %bb.35:
	s_waitcnt vmcnt(3)
	v_cvt_f32_u32_sdwa v18, v14 dst_sel:DWORD dst_unused:UNUSED_PAD src0_sel:WORD_0
	v_cvt_f32_u32_sdwa v19, v14 dst_sel:DWORD dst_unused:UNUSED_PAD src0_sel:WORD_1
	v_cvt_f32_u32_sdwa v32, v15 dst_sel:DWORD dst_unused:UNUSED_PAD src0_sel:WORD_0
	v_cvt_f32_u32_sdwa v33, v15 dst_sel:DWORD dst_unused:UNUSED_PAD src0_sel:WORD_1
	;; [unrolled: 2-line block ×4, first 2 shown]
	s_waitcnt vmcnt(2)
	v_cvt_f32_u32_sdwa v26, v10 dst_sel:DWORD dst_unused:UNUSED_PAD src0_sel:WORD_0
	v_cvt_f32_u32_sdwa v27, v10 dst_sel:DWORD dst_unused:UNUSED_PAD src0_sel:WORD_1
	v_cvt_f32_u32_sdwa v24, v11 dst_sel:DWORD dst_unused:UNUSED_PAD src0_sel:WORD_0
	v_cvt_f32_u32_sdwa v25, v11 dst_sel:DWORD dst_unused:UNUSED_PAD src0_sel:WORD_1
	;; [unrolled: 2-line block ×4, first 2 shown]
.LBB960_36:
	s_or_b64 exec, exec, s[0:1]
	s_waitcnt vmcnt(2)
	v_mul_f32_e32 v10, v19, v19
	v_fmac_f32_e32 v10, v18, v18
	v_fmac_f32_e32 v10, v32, v32
	;; [unrolled: 1-line block ×15, first 2 shown]
	s_nop 1
	v_mov_b32_dpp v11, v10 quad_perm:[1,0,3,2] row_mask:0xf bank_mask:0xf
	v_add_f32_e32 v10, v10, v11
	s_nop 1
	v_mov_b32_dpp v11, v10 quad_perm:[2,3,0,1] row_mask:0xf bank_mask:0xf
	v_add_f32_e32 v10, v10, v11
	s_nop 1
	v_mov_b32_dpp v11, v10 row_half_mirror row_mask:0xf bank_mask:0xf
	v_add_f32_e32 v10, v10, v11
	s_nop 1
	v_mov_b32_dpp v11, v10 row_mirror row_mask:0xf bank_mask:0xf
	v_add_f32_e32 v10, v10, v11
	s_nop 1
	v_mov_b32_dpp v11, v10 row_bcast:15 row_mask:0xf bank_mask:0xf
	v_add_f32_e32 v10, v10, v11
	s_nop 1
	v_mov_b32_dpp v11, v10 row_bcast:31 row_mask:0xf bank_mask:0xf
	s_and_saveexec_b64 s[0:1], s[2:3]
	s_cbranch_execz .LBB960_38
; %bb.37:
	v_lshrrev_b32_e32 v0, 4, v0
	v_add_f32_e32 v10, v10, v11
	v_and_b32_e32 v0, 60, v0
	ds_write_b32 v0, v10
.LBB960_38:
	s_or_b64 exec, exec, s[0:1]
	s_waitcnt lgkmcnt(0)
	s_barrier
	ds_read_b32 v0, v34
	s_waitcnt lgkmcnt(0)
	s_nop 0
	v_mov_b32_dpp v10, v0 quad_perm:[1,0,3,2] row_mask:0xf bank_mask:0xf
	v_add_f32_e32 v0, v0, v10
	s_nop 1
	v_mov_b32_dpp v10, v0 quad_perm:[2,3,0,1] row_mask:0xf bank_mask:0xf
	v_add_f32_e32 v0, v0, v10
	s_nop 1
	v_mov_b32_dpp v10, v0 row_half_mirror row_mask:0xf bank_mask:0xf
	s_and_saveexec_b64 s[0:1], vcc
	s_cbranch_execz .LBB960_17
; %bb.39:
	v_cvt_f32_u32_e32 v11, s24
	v_add_f32_e32 v0, v0, v10
	s_mov_b32 s31, 0x20000
	v_div_scale_f32 v10, s[0:1], v11, v11, v0
	v_rcp_f32_e32 v12, v10
	v_div_scale_f32 v13, vcc, v0, v11, v0
	s_mov_b32 s0, 0x800000
	v_fma_f32 v14, -v10, v12, 1.0
	v_fmac_f32_e32 v12, v14, v12
	v_mul_f32_e32 v14, v13, v12
	v_fma_f32 v15, -v10, v14, v13
	v_fmac_f32_e32 v14, v15, v12
	v_fma_f32 v10, -v10, v14, v13
	v_div_fmas_f32 v10, v10, v12, v14
	v_div_fixup_f32 v0, v10, v11, v0
	v_add_f32_e32 v0, s21, v0
	v_mul_f32_e32 v10, 0x4b800000, v0
	v_cmp_gt_f32_e32 vcc, s0, v0
	v_cndmask_b32_e32 v0, v0, v10, vcc
	v_rsq_f32_e32 v0, v0
	s_mul_hi_i32 s1, s16, s6
	s_mul_i32 s0, s16, s6
	s_lshl_b64 s[0:1], s[0:1], 1
	v_mul_f32_e32 v10, 0x45800000, v0
	v_cndmask_b32_e32 v10, v0, v10, vcc
	v_mov_b32_e32 v11, v10
	s_add_u32 s28, s34, s0
	;;#ASMSTART
	v_pk_mul_f32 v[12:13], v[18:19], v[10:11]
	;;#ASMEND
	;;#ASMSTART
	v_pk_mul_f32 v[14:15], v[32:33], v[10:11]
	;;#ASMEND
	;; [unrolled: 3-line block ×8, first 2 shown]
	s_waitcnt vmcnt(1)
	v_cvt_f32_u32_sdwa v21, v6 dst_sel:DWORD dst_unused:UNUSED_PAD src0_sel:WORD_1
	v_cvt_f32_u32_sdwa v20, v6 dst_sel:DWORD dst_unused:UNUSED_PAD src0_sel:WORD_0
	v_cvt_f32_u32_sdwa v29, v7 dst_sel:DWORD dst_unused:UNUSED_PAD src0_sel:WORD_1
	v_cvt_f32_u32_sdwa v28, v7 dst_sel:DWORD dst_unused:UNUSED_PAD src0_sel:WORD_0
	;; [unrolled: 2-line block ×3, first 2 shown]
	s_addc_u32 s0, s35, s1
	v_cvt_f32_u32_sdwa v31, v9 dst_sel:DWORD dst_unused:UNUSED_PAD src0_sel:WORD_1
	v_cvt_f32_u32_sdwa v30, v9 dst_sel:DWORD dst_unused:UNUSED_PAD src0_sel:WORD_0
	;;#ASMSTART
	v_pk_mul_f32 v[8:9], v[12:13], v[20:21]
	;;#ASMEND
	;;#ASMSTART
	v_pk_mul_f32 v[12:13], v[14:15], v[28:29]
	;;#ASMEND
	;; [unrolled: 3-line block ×4, first 2 shown]
	s_waitcnt vmcnt(0)
	v_cvt_f32_u32_sdwa v17, v2 dst_sel:DWORD dst_unused:UNUSED_PAD src0_sel:WORD_1
	v_cvt_f32_u32_sdwa v16, v2 dst_sel:DWORD dst_unused:UNUSED_PAD src0_sel:WORD_0
	v_cvt_f32_u32_sdwa v19, v3 dst_sel:DWORD dst_unused:UNUSED_PAD src0_sel:WORD_1
	v_cvt_f32_u32_sdwa v18, v3 dst_sel:DWORD dst_unused:UNUSED_PAD src0_sel:WORD_0
	;; [unrolled: 2-line block ×3, first 2 shown]
	s_and_b32 s29, s0, 0xffff
	s_mov_b32 s0, 0x7060302
	v_cvt_f32_u32_sdwa v21, v5 dst_sel:DWORD dst_unused:UNUSED_PAD src0_sel:WORD_1
	v_cvt_f32_u32_sdwa v20, v5 dst_sel:DWORD dst_unused:UNUSED_PAD src0_sel:WORD_0
	;;#ASMSTART
	v_pk_mul_f32 v[16:17], v[26:27], v[16:17]
	;;#ASMEND
	;;#ASMSTART
	v_pk_mul_f32 v[18:19], v[24:25], v[18:19]
	;;#ASMEND
	;; [unrolled: 3-line block ×3, first 2 shown]
	v_perm_b32 v2, v9, v8, s0
	v_perm_b32 v3, v13, v12, s0
	;; [unrolled: 1-line block ×4, first 2 shown]
	;;#ASMSTART
	v_pk_mul_f32 v[10:11], v[10:11], v[20:21]
	;;#ASMEND
	buffer_store_dwordx4 v[2:5], v1, s[28:31], 0 offen
	;;#ASMSTART
	s_nop 0
	;;#ASMEND
	s_nop 0
	v_perm_b32 v2, v17, v16, s0
	v_perm_b32 v3, v19, v18, s0
	;; [unrolled: 1-line block ×4, first 2 shown]
	buffer_store_dwordx4 v[2:5], v1, s[28:31], 16 offen
	;;#ASMSTART
	s_nop 0
	;;#ASMEND
	s_endpgm
	.section	.rodata,"a",@progbits
	.p2align	6, 0x0
	.amdhsa_kernel _ZN5aiter35fused_qk_rmsnorm_group_quant_kernelItN4opus5fp4_tELi512ELi16ELi4ELb1ELb1ELb0ELb0ELb0ELb0EEEvPT0_PvPT_S7_S7_PKS6_S9_S9_S9_S9_ffiiiiiiiiiiiii
		.amdhsa_group_segment_fixed_size 64
		.amdhsa_private_segment_fixed_size 0
		.amdhsa_kernarg_size 400
		.amdhsa_user_sgpr_count 6
		.amdhsa_user_sgpr_private_segment_buffer 1
		.amdhsa_user_sgpr_dispatch_ptr 0
		.amdhsa_user_sgpr_queue_ptr 0
		.amdhsa_user_sgpr_kernarg_segment_ptr 1
		.amdhsa_user_sgpr_dispatch_id 0
		.amdhsa_user_sgpr_flat_scratch_init 0
		.amdhsa_user_sgpr_kernarg_preload_length 0
		.amdhsa_user_sgpr_kernarg_preload_offset 0
		.amdhsa_user_sgpr_private_segment_size 0
		.amdhsa_uses_dynamic_stack 0
		.amdhsa_system_sgpr_private_segment_wavefront_offset 0
		.amdhsa_system_sgpr_workgroup_id_x 1
		.amdhsa_system_sgpr_workgroup_id_y 1
		.amdhsa_system_sgpr_workgroup_id_z 0
		.amdhsa_system_sgpr_workgroup_info 0
		.amdhsa_system_vgpr_workitem_id 0
		.amdhsa_next_free_vgpr 94
		.amdhsa_next_free_sgpr 44
		.amdhsa_accum_offset 96
		.amdhsa_reserve_vcc 1
		.amdhsa_reserve_flat_scratch 0
		.amdhsa_float_round_mode_32 0
		.amdhsa_float_round_mode_16_64 0
		.amdhsa_float_denorm_mode_32 3
		.amdhsa_float_denorm_mode_16_64 3
		.amdhsa_dx10_clamp 1
		.amdhsa_ieee_mode 1
		.amdhsa_fp16_overflow 0
		.amdhsa_tg_split 0
		.amdhsa_exception_fp_ieee_invalid_op 0
		.amdhsa_exception_fp_denorm_src 0
		.amdhsa_exception_fp_ieee_div_zero 0
		.amdhsa_exception_fp_ieee_overflow 0
		.amdhsa_exception_fp_ieee_underflow 0
		.amdhsa_exception_fp_ieee_inexact 0
		.amdhsa_exception_int_div_zero 0
	.end_amdhsa_kernel
	.section	.text._ZN5aiter35fused_qk_rmsnorm_group_quant_kernelItN4opus5fp4_tELi512ELi16ELi4ELb1ELb1ELb0ELb0ELb0ELb0EEEvPT0_PvPT_S7_S7_PKS6_S9_S9_S9_S9_ffiiiiiiiiiiiii,"axG",@progbits,_ZN5aiter35fused_qk_rmsnorm_group_quant_kernelItN4opus5fp4_tELi512ELi16ELi4ELb1ELb1ELb0ELb0ELb0ELb0EEEvPT0_PvPT_S7_S7_PKS6_S9_S9_S9_S9_ffiiiiiiiiiiiii,comdat
.Lfunc_end960:
	.size	_ZN5aiter35fused_qk_rmsnorm_group_quant_kernelItN4opus5fp4_tELi512ELi16ELi4ELb1ELb1ELb0ELb0ELb0ELb0EEEvPT0_PvPT_S7_S7_PKS6_S9_S9_S9_S9_ffiiiiiiiiiiiii, .Lfunc_end960-_ZN5aiter35fused_qk_rmsnorm_group_quant_kernelItN4opus5fp4_tELi512ELi16ELi4ELb1ELb1ELb0ELb0ELb0ELb0EEEvPT0_PvPT_S7_S7_PKS6_S9_S9_S9_S9_ffiiiiiiiiiiiii
                                        ; -- End function
	.section	.AMDGPU.csdata,"",@progbits
; Kernel info:
; codeLenInByte = 3972
; NumSgprs: 48
; NumVgprs: 94
; NumAgprs: 0
; TotalNumVgprs: 94
; ScratchSize: 0
; MemoryBound: 0
; FloatMode: 240
; IeeeMode: 1
; LDSByteSize: 64 bytes/workgroup (compile time only)
; SGPRBlocks: 5
; VGPRBlocks: 11
; NumSGPRsForWavesPerEU: 48
; NumVGPRsForWavesPerEU: 94
; AccumOffset: 96
; Occupancy: 5
; WaveLimiterHint : 0
; COMPUTE_PGM_RSRC2:SCRATCH_EN: 0
; COMPUTE_PGM_RSRC2:USER_SGPR: 6
; COMPUTE_PGM_RSRC2:TRAP_HANDLER: 0
; COMPUTE_PGM_RSRC2:TGID_X_EN: 1
; COMPUTE_PGM_RSRC2:TGID_Y_EN: 1
; COMPUTE_PGM_RSRC2:TGID_Z_EN: 0
; COMPUTE_PGM_RSRC2:TIDIG_COMP_CNT: 0
; COMPUTE_PGM_RSRC3_GFX90A:ACCUM_OFFSET: 23
; COMPUTE_PGM_RSRC3_GFX90A:TG_SPLIT: 0
	.section	.text._ZN5aiter35fused_qk_rmsnorm_group_quant_kernelIDF16_DB8_Li512ELi16ELi4ELb1ELb0ELb1ELb0ELb0ELb0EEEvPT0_PvPT_S6_S6_PKS5_S8_S8_S8_S8_ffiiiiiiiiiiiii,"axG",@progbits,_ZN5aiter35fused_qk_rmsnorm_group_quant_kernelIDF16_DB8_Li512ELi16ELi4ELb1ELb0ELb1ELb0ELb0ELb0EEEvPT0_PvPT_S6_S6_PKS5_S8_S8_S8_S8_ffiiiiiiiiiiiii,comdat
	.protected	_ZN5aiter35fused_qk_rmsnorm_group_quant_kernelIDF16_DB8_Li512ELi16ELi4ELb1ELb0ELb1ELb0ELb0ELb0EEEvPT0_PvPT_S6_S6_PKS5_S8_S8_S8_S8_ffiiiiiiiiiiiii ; -- Begin function _ZN5aiter35fused_qk_rmsnorm_group_quant_kernelIDF16_DB8_Li512ELi16ELi4ELb1ELb0ELb1ELb0ELb0ELb0EEEvPT0_PvPT_S6_S6_PKS5_S8_S8_S8_S8_ffiiiiiiiiiiiii
	.globl	_ZN5aiter35fused_qk_rmsnorm_group_quant_kernelIDF16_DB8_Li512ELi16ELi4ELb1ELb0ELb1ELb0ELb0ELb0EEEvPT0_PvPT_S6_S6_PKS5_S8_S8_S8_S8_ffiiiiiiiiiiiii
	.p2align	8
	.type	_ZN5aiter35fused_qk_rmsnorm_group_quant_kernelIDF16_DB8_Li512ELi16ELi4ELb1ELb0ELb1ELb0ELb0ELb0EEEvPT0_PvPT_S6_S6_PKS5_S8_S8_S8_S8_ffiiiiiiiiiiiii,@function
_ZN5aiter35fused_qk_rmsnorm_group_quant_kernelIDF16_DB8_Li512ELi16ELi4ELb1ELb0ELb1ELb0ELb0ELb0EEEvPT0_PvPT_S6_S6_PKS5_S8_S8_S8_S8_ffiiiiiiiiiiiii: ; @_ZN5aiter35fused_qk_rmsnorm_group_quant_kernelIDF16_DB8_Li512ELi16ELi4ELb1ELb0ELb1ELb0ELb0ELb0EEEvPT0_PvPT_S6_S6_PKS5_S8_S8_S8_S8_ffiiiiiiiiiiiii
; %bb.0:
	s_load_dwordx8 s[12:19], s[4:5], 0x50
	s_waitcnt lgkmcnt(0)
	s_cmp_ge_i32 s6, s14
	s_cbranch_scc1 .LBB961_17
; %bb.1:
	s_cmp_lg_u32 s7, 0
	s_cselect_b64 s[10:11], -1, 0
	s_cmp_eq_u32 s7, 0
	s_cselect_b64 s[8:9], -1, 0
	s_and_b64 s[0:1], s[8:9], exec
	s_load_dwordx2 s[20:21], s[4:5], 0x48
	s_load_dwordx2 s[36:37], s[4:5], 0x30
	s_load_dwordx4 s[24:27], s[4:5], 0x70
	s_cselect_b32 s7, s15, s16
	s_add_i32 s0, s7, 1
	s_lshr_b32 s1, s0, 31
	s_add_i32 s0, s0, s1
	s_lshl_b32 s0, s0, 1
	v_lshlrev_b32_e32 v1, 4, v0
	s_and_b32 s30, s0, -4
	v_cmp_gt_i32_e64 s[0:1], s7, v1
	v_mov_b32_e32 v76, 0
	v_mov_b32_e32 v77, 0
	;; [unrolled: 1-line block ×16, first 2 shown]
	s_and_saveexec_b64 s[2:3], s[0:1]
	s_cbranch_execz .LBB961_3
; %bb.2:
	s_load_dwordx2 s[22:23], s[4:5], 0x28
	s_load_dwordx2 s[28:29], s[4:5], 0x40
	s_and_b64 s[34:35], s[8:9], exec
	s_cselect_b32 s14, s17, s18
	s_mov_b32 s31, 0x20000
	s_waitcnt lgkmcnt(0)
	s_cselect_b32 s17, s23, s37
	s_cselect_b32 s27, s22, s36
	s_mul_hi_i32 s23, s14, s6
	s_mul_i32 s22, s14, s6
	s_lshl_b64 s[22:23], s[22:23], 1
	s_add_u32 s40, s27, s22
	s_addc_u32 s14, s17, s23
	s_and_b64 s[22:23], s[8:9], exec
	s_cselect_b32 s28, s28, s20
	s_cselect_b32 s17, s29, s21
	s_and_b32 s41, s14, 0xffff
	s_mov_b32 s42, s30
	s_mov_b32 s43, s31
	v_lshlrev_b32_e32 v2, 5, v0
	s_and_b32 s29, s17, 0xffff
	buffer_load_dwordx4 v[80:83], v2, s[40:43], 0 offen
	buffer_load_dwordx4 v[84:87], v2, s[40:43], 16 offen
	;; [unrolled: 1-line block ×4, first 2 shown]
.LBB961_3:
	s_or_b64 exec, exec, s[2:3]
	s_load_dwordx2 s[34:35], s[4:5], 0x80
	s_and_b64 vcc, exec, s[10:11]
	s_cbranch_vccz .LBB961_7
; %bb.4:
	v_mov_b32_e32 v89, 0
	v_mov_b32_e32 v88, 0
	;; [unrolled: 1-line block ×16, first 2 shown]
	s_and_saveexec_b64 s[2:3], s[0:1]
	s_cbranch_execz .LBB961_6
; %bb.5:
	s_waitcnt vmcnt(3)
	v_cvt_f32_f16_sdwa v49, v80 dst_sel:DWORD dst_unused:UNUSED_PAD src0_sel:WORD_1
	v_cvt_f32_f16_e32 v48, v80
	v_cvt_f32_f16_sdwa v35, v81 dst_sel:DWORD dst_unused:UNUSED_PAD src0_sel:WORD_1
	v_cvt_f32_f16_e32 v34, v81
	;; [unrolled: 2-line block ×4, first 2 shown]
	s_waitcnt vmcnt(2)
	v_cvt_f32_f16_sdwa v65, v84 dst_sel:DWORD dst_unused:UNUSED_PAD src0_sel:WORD_1
	v_cvt_f32_f16_e32 v64, v84
	v_cvt_f32_f16_sdwa v19, v85 dst_sel:DWORD dst_unused:UNUSED_PAD src0_sel:WORD_1
	v_cvt_f32_f16_e32 v18, v85
	;; [unrolled: 2-line block ×4, first 2 shown]
.LBB961_6:
	s_or_b64 exec, exec, s[2:3]
	s_cbranch_execz .LBB961_8
	s_branch .LBB961_11
.LBB961_7:
                                        ; implicit-def: $vgpr32_vgpr33_vgpr34_vgpr35_vgpr36_vgpr37_vgpr38_vgpr39_vgpr40_vgpr41_vgpr42_vgpr43_vgpr44_vgpr45_vgpr46_vgpr47
                                        ; implicit-def: $vgpr48_vgpr49_vgpr50_vgpr51_vgpr52_vgpr53_vgpr54_vgpr55_vgpr56_vgpr57_vgpr58_vgpr59_vgpr60_vgpr61_vgpr62_vgpr63
                                        ; implicit-def: $vgpr18_vgpr19_vgpr20_vgpr21_vgpr22_vgpr23_vgpr24_vgpr25_vgpr26_vgpr27_vgpr28_vgpr29_vgpr30_vgpr31_vgpr32_vgpr33
                                        ; implicit-def: $vgpr50_vgpr51_vgpr52_vgpr53_vgpr54_vgpr55_vgpr56_vgpr57_vgpr58_vgpr59_vgpr60_vgpr61_vgpr62_vgpr63_vgpr64_vgpr65
                                        ; implicit-def: $vgpr89
                                        ; implicit-def: $vgpr8_vgpr9_vgpr10_vgpr11_vgpr12_vgpr13_vgpr14_vgpr15_vgpr16_vgpr17_vgpr18_vgpr19_vgpr20_vgpr21_vgpr22_vgpr23
                                        ; implicit-def: $vgpr56_vgpr57_vgpr58_vgpr59_vgpr60_vgpr61_vgpr62_vgpr63_vgpr64_vgpr65_vgpr66_vgpr67_vgpr68_vgpr69_vgpr70_vgpr71
                                        ; implicit-def: $vgpr2_vgpr3_vgpr4_vgpr5_vgpr6_vgpr7_vgpr8_vgpr9_vgpr10_vgpr11_vgpr12_vgpr13_vgpr14_vgpr15_vgpr16_vgpr17
.LBB961_8:
	v_mov_b32_e32 v89, 0
	v_mov_b32_e32 v88, 0
	;; [unrolled: 1-line block ×16, first 2 shown]
	s_and_saveexec_b64 s[2:3], s[0:1]
	s_cbranch_execz .LBB961_10
; %bb.9:
	s_load_dwordx2 s[22:23], s[4:5], 0x38
	s_mul_hi_i32 s29, s19, s6
	s_mul_i32 s28, s19, s6
	s_lshl_b64 s[28:29], s[28:29], 1
	s_mov_b32 s31, 0x20000
	s_waitcnt lgkmcnt(0)
	s_add_u32 s28, s22, s28
	s_addc_u32 s14, s23, s29
	s_and_b32 s29, s14, 0xffff
	v_lshlrev_b32_e32 v38, 5, v0
	buffer_load_dwordx4 v[6:9], v38, s[28:31], 16 offen
	buffer_load_dwordx4 v[10:13], v38, s[28:31], 0 offen
	s_waitcnt vmcnt(5)
	v_cvt_f32_f16_sdwa v23, v82 dst_sel:DWORD dst_unused:UNUSED_PAD src0_sel:WORD_1
	v_cvt_f32_f16_e32 v22, v82
	v_cvt_f32_f16_sdwa v25, v83 dst_sel:DWORD dst_unused:UNUSED_PAD src0_sel:WORD_1
	v_cvt_f32_f16_e32 v24, v83
	;; [unrolled: 2-line block ×4, first 2 shown]
	s_load_dwordx2 s[22:23], s[4:5], 0x20
	s_waitcnt vmcnt(4)
	v_cvt_f32_f16_sdwa v3, v84 dst_sel:DWORD dst_unused:UNUSED_PAD src0_sel:WORD_1
	v_cvt_f32_f16_e32 v2, v84
	v_cvt_f32_f16_sdwa v5, v85 dst_sel:DWORD dst_unused:UNUSED_PAD src0_sel:WORD_1
	v_cvt_f32_f16_e32 v4, v85
	;; [unrolled: 2-line block ×4, first 2 shown]
	s_mul_hi_i32 s29, s35, s6
	s_mul_i32 s28, s35, s6
	s_lshl_b64 s[28:29], s[28:29], 1
	s_waitcnt lgkmcnt(0)
	s_add_u32 s28, s22, s28
	s_addc_u32 s14, s23, s29
	s_and_b32 s29, s14, 0xffff
	s_waitcnt vmcnt(1)
	v_cvt_f32_f16_e32 v26, v6
	v_cvt_f32_f16_sdwa v27, v6 dst_sel:DWORD dst_unused:UNUSED_PAD src0_sel:WORD_1
	v_cvt_f32_f16_e32 v28, v7
	v_cvt_f32_f16_sdwa v29, v7 dst_sel:DWORD dst_unused:UNUSED_PAD src0_sel:WORD_1
	;; [unrolled: 2-line block ×4, first 2 shown]
	s_waitcnt vmcnt(0)
	v_cvt_f32_f16_e32 v6, v12
	v_cvt_f32_f16_sdwa v7, v12 dst_sel:DWORD dst_unused:UNUSED_PAD src0_sel:WORD_1
	v_cvt_f32_f16_e32 v8, v13
	v_cvt_f32_f16_sdwa v9, v13 dst_sel:DWORD dst_unused:UNUSED_PAD src0_sel:WORD_1
	;; [unrolled: 2-line block ×4, first 2 shown]
	v_pk_add_f32 v[54:55], v[22:23], v[6:7]
	v_pk_add_f32 v[24:25], v[24:25], v[8:9]
	v_cvt_f16_f32_e32 v6, v55
	v_cvt_f16_f32_e32 v7, v25
	;; [unrolled: 1-line block ×4, first 2 shown]
	v_pk_add_f32 v[34:35], v[20:21], v[10:11]
	v_pk_add_f32 v[48:49], v[18:19], v[36:37]
	v_pack_b32_f16 v9, v8, v7
	v_pack_b32_f16 v8, v12, v6
	v_cvt_f16_f32_e32 v6, v35
	v_cvt_f16_f32_e32 v7, v34
	;; [unrolled: 1-line block ×3, first 2 shown]
	v_pk_add_f32 v[88:89], v[16:17], v[32:33]
	v_pk_add_f32 v[14:15], v[14:15], v[30:31]
	v_pack_b32_f16 v7, v7, v6
	v_cvt_f16_f32_e32 v6, v49
	v_pk_add_f32 v[18:19], v[4:5], v[28:29]
	v_pk_add_f32 v[64:65], v[2:3], v[26:27]
	v_cvt_f16_f32_e32 v4, v18
	v_pack_b32_f16 v6, v10, v6
	buffer_store_dwordx4 v[6:9], v38, s[28:31], 0 offen
	v_cvt_f16_f32_e32 v5, v19
	v_cvt_f16_f32_e32 v6, v14
	;; [unrolled: 1-line block ×7, first 2 shown]
	v_pack_b32_f16 v7, v7, v8
	v_pack_b32_f16 v6, v6, v9
	;; [unrolled: 1-line block ×4, first 2 shown]
	;;#ASMSTART
	s_nop 0
	;;#ASMEND
	buffer_store_dwordx4 v[4:7], v38, s[28:31], 16 offen
	;;#ASMSTART
	s_nop 0
	;;#ASMEND
.LBB961_10:
	s_or_b64 exec, exec, s[2:3]
.LBB961_11:
	v_mul_f32_e32 v2, v49, v49
	v_fmac_f32_e32 v2, v48, v48
	v_fmac_f32_e32 v2, v34, v34
	;; [unrolled: 1-line block ×15, first 2 shown]
	s_nop 1
	v_mov_b32_dpp v3, v2 quad_perm:[1,0,3,2] row_mask:0xf bank_mask:0xf
	v_add_f32_e32 v2, v2, v3
	s_nop 1
	v_mov_b32_dpp v3, v2 quad_perm:[2,3,0,1] row_mask:0xf bank_mask:0xf
	v_add_f32_e32 v2, v2, v3
	s_nop 1
	v_mov_b32_dpp v3, v2 row_half_mirror row_mask:0xf bank_mask:0xf
	v_add_f32_e32 v2, v2, v3
	s_nop 1
	v_mov_b32_dpp v3, v2 row_mirror row_mask:0xf bank_mask:0xf
	v_add_f32_e32 v2, v2, v3
	s_nop 1
	v_mov_b32_dpp v3, v2 row_bcast:15 row_mask:0xf bank_mask:0xf
	v_add_f32_e32 v2, v2, v3
	v_and_b32_e32 v3, 63, v0
	v_cmp_eq_u32_e64 s[2:3], 63, v3
	s_nop 0
	v_mov_b32_dpp v3, v2 row_bcast:31 row_mask:0xf bank_mask:0xf
	s_and_saveexec_b64 s[22:23], s[2:3]
	s_cbranch_execz .LBB961_13
; %bb.12:
	v_add_f32_e32 v2, v2, v3
	v_lshrrev_b32_e32 v3, 4, v0
	v_and_b32_e32 v3, 60, v3
	ds_write_b32 v3, v2 offset:32
.LBB961_13:
	s_or_b64 exec, exec, s[22:23]
	v_and_b32_e32 v2, 7, v0
	v_lshlrev_b32_e32 v36, 2, v2
	s_waitcnt lgkmcnt(0)
	s_barrier
	ds_read_b32 v2, v36 offset:32
	s_load_dwordx2 s[38:39], s[4:5], 0x18
	s_waitcnt lgkmcnt(0)
	v_mov_b32_dpp v3, v2 quad_perm:[1,0,3,2] row_mask:0xf bank_mask:0xf
	v_add_f32_e32 v2, v2, v3
	s_nop 1
	v_mov_b32_dpp v3, v2 quad_perm:[2,3,0,1] row_mask:0xf bank_mask:0xf
	v_add_f32_e32 v2, v2, v3
	s_nop 1
	v_mov_b32_dpp v3, v2 row_half_mirror row_mask:0xf bank_mask:0xf
	s_and_saveexec_b64 s[22:23], s[0:1]
	s_cbranch_execnz .LBB961_18
; %bb.14:
	s_or_b64 exec, exec, s[22:23]
	s_mov_b64 s[8:9], -1
	s_and_b64 vcc, exec, s[10:11]
	s_cbranch_vccnz .LBB961_19
.LBB961_15:
	s_andn2_b64 vcc, exec, s[8:9]
	s_cbranch_vccz .LBB961_22
.LBB961_16:
	s_cmp_lt_i32 s16, 1
	s_cbranch_scc0 .LBB961_29
.LBB961_17:
	s_endpgm
.LBB961_18:
	v_add_f32_e32 v2, v2, v3
	v_cvt_f32_u32_e32 v3, s7
	s_mov_b32 s7, 0x800000
	s_waitcnt vmcnt(1)
	v_cvt_f32_f16_sdwa v17, v76 dst_sel:DWORD dst_unused:UNUSED_PAD src0_sel:WORD_1
	v_cvt_f32_f16_e32 v16, v76
	v_div_scale_f32 v4, s[28:29], v3, v3, v2
	v_rcp_f32_e32 v5, v4
	v_pk_add_f32 v[16:17], v[16:17], 1.0 op_sel_hi:[1,0]
	v_cvt_f32_f16_sdwa v21, v79 dst_sel:DWORD dst_unused:UNUSED_PAD src0_sel:WORD_1
	v_cvt_f32_f16_e32 v20, v79
	v_fma_f32 v6, -v4, v5, 1.0
	v_fmac_f32_e32 v5, v6, v5
	v_div_scale_f32 v6, vcc, v2, v3, v2
	v_mul_f32_e32 v7, v6, v5
	v_fma_f32 v8, -v4, v7, v6
	v_fmac_f32_e32 v7, v8, v5
	v_fma_f32 v4, -v4, v7, v6
	v_div_fmas_f32 v4, v4, v5, v7
	v_div_fixup_f32 v2, v4, v3, v2
	v_mov_b32_e32 v3, s13
	v_mov_b32_e32 v4, s12
	v_cndmask_b32_e64 v3, v3, v4, s[8:9]
	v_add_f32_e32 v2, v3, v2
	v_mul_f32_e32 v3, 0x4b800000, v2
	v_cmp_gt_f32_e32 vcc, s7, v2
	v_cndmask_b32_e32 v2, v2, v3, vcc
	v_rsq_f32_e32 v2, v2
	s_waitcnt vmcnt(0)
	v_cvt_f32_f16_sdwa v23, v74 dst_sel:DWORD dst_unused:UNUSED_PAD src0_sel:WORD_1
	v_cvt_f32_f16_e32 v22, v74
	v_mul_f32_e32 v3, 0x45800000, v2
	v_cndmask_b32_e32 v2, v2, v3, vcc
	v_mov_b32_e32 v3, v2
	;;#ASMSTART
	v_pk_mul_f32 v[4:5], v[48:49], v[2:3]
	;;#ASMEND
	;;#ASMSTART
	v_pk_mul_f32 v[6:7], v[34:35], v[2:3]
	;;#ASMEND
	;; [unrolled: 3-line block ×9, first 2 shown]
	v_cvt_f32_f16_sdwa v5, v77 dst_sel:DWORD dst_unused:UNUSED_PAD src0_sel:WORD_1
	v_cvt_f32_f16_e32 v4, v77
	v_cvt_f32_f16_sdwa v17, v78 dst_sel:DWORD dst_unused:UNUSED_PAD src0_sel:WORD_1
	v_cvt_f32_f16_e32 v16, v78
	v_cvt_f32_f16_sdwa v25, v75 dst_sel:DWORD dst_unused:UNUSED_PAD src0_sel:WORD_1
	v_pk_add_f32 v[4:5], v[4:5], 1.0 op_sel_hi:[1,0]
	;;#ASMSTART
	v_pk_mul_f32 v[34:35], v[6:7], v[4:5]
	;;#ASMEND
	v_pk_add_f32 v[4:5], v[16:17], 1.0 op_sel_hi:[1,0]
	v_pk_add_f32 v[6:7], v[20:21], 1.0 op_sel_hi:[1,0]
	v_cvt_f32_f16_sdwa v17, v72 dst_sel:DWORD dst_unused:UNUSED_PAD src0_sel:WORD_1
	v_cvt_f32_f16_e32 v16, v72
	v_cvt_f32_f16_sdwa v21, v73 dst_sel:DWORD dst_unused:UNUSED_PAD src0_sel:WORD_1
	v_cvt_f32_f16_e32 v20, v73
	v_cvt_f32_f16_e32 v24, v75
	v_pk_add_f32 v[16:17], v[16:17], 1.0 op_sel_hi:[1,0]
	v_pk_add_f32 v[22:23], v[22:23], 1.0 op_sel_hi:[1,0]
	;; [unrolled: 1-line block ×4, first 2 shown]
	;;#ASMSTART
	v_pk_mul_f32 v[54:55], v[8:9], v[4:5]
	;;#ASMEND
	;;#ASMSTART
	v_pk_mul_f32 v[24:25], v[10:11], v[6:7]
	;;#ASMEND
	;;#ASMSTART
	v_pk_mul_f32 v[64:65], v[12:13], v[16:17]
	;;#ASMEND
	;;#ASMSTART
	v_pk_mul_f32 v[18:19], v[18:19], v[20:21]
	;;#ASMEND
	;;#ASMSTART
	v_pk_mul_f32 v[14:15], v[14:15], v[22:23]
	;;#ASMEND
	;;#ASMSTART
	v_pk_mul_f32 v[88:89], v[2:3], v[26:27]
	;;#ASMEND
	s_or_b64 exec, exec, s[22:23]
	s_mov_b64 s[8:9], -1
	s_and_b64 vcc, exec, s[10:11]
	s_cbranch_vccz .LBB961_15
.LBB961_19:
	s_and_saveexec_b64 s[8:9], s[0:1]
	s_cbranch_execz .LBB961_21
; %bb.20:
	v_cvt_f16_f32_e32 v2, v54
	v_cvt_f16_f32_e32 v3, v24
	;; [unrolled: 1-line block ×4, first 2 shown]
	s_mul_hi_i32 s11, s34, s6
	s_mul_i32 s10, s34, s6
	v_pack_b32_f16 v5, v3, v4
	v_pack_b32_f16 v4, v2, v6
	v_cvt_f16_f32_e32 v2, v34
	v_cvt_f16_f32_e32 v3, v35
	;; [unrolled: 1-line block ×3, first 2 shown]
	s_lshl_b64 s[10:11], s[10:11], 1
	s_add_u32 s28, s38, s10
	v_pack_b32_f16 v3, v2, v3
	v_cvt_f16_f32_e32 v2, v48
	s_addc_u32 s7, s39, s11
	s_and_b32 s29, s7, 0xffff
	s_mov_b32 s31, 0x20000
	v_pack_b32_f16 v2, v2, v6
	v_lshlrev_b32_e32 v6, 5, v0
	buffer_store_dwordx4 v[2:5], v6, s[28:31], 0 offen
	v_cvt_f16_f32_e32 v7, v15
	v_cvt_f16_f32_e32 v2, v14
	;; [unrolled: 1-line block ×4, first 2 shown]
	;;#ASMSTART
	s_nop 0
	;;#ASMEND
	v_pack_b32_f16 v5, v3, v4
	v_pack_b32_f16 v4, v2, v7
	v_cvt_f16_f32_e32 v2, v18
	v_cvt_f16_f32_e32 v3, v19
	;; [unrolled: 1-line block ×3, first 2 shown]
	v_pack_b32_f16 v3, v2, v3
	v_cvt_f16_f32_e32 v2, v64
	v_pack_b32_f16 v2, v2, v7
	buffer_store_dwordx4 v[2:5], v6, s[28:31], 16 offen
	;;#ASMSTART
	s_nop 0
	;;#ASMEND
.LBB961_21:
	s_or_b64 exec, exec, s[8:9]
	s_cbranch_execnz .LBB961_16
.LBB961_22:
	v_mov_b32_e32 v2, 0
	s_and_saveexec_b64 s[8:9], s[0:1]
	s_cbranch_execz .LBB961_24
; %bb.23:
	v_and_b32_e32 v2, 0x7fffffff, v48
	v_and_b32_e32 v3, 0x7fffffff, v49
	v_mov_b32_e32 v4, 0x2edbe6ff
	;;#ASMSTART
	v_max3_f32 v2, v4, v2, v3

	;;#ASMEND
	v_and_b32_e32 v3, 0x7fffffff, v34
	v_and_b32_e32 v4, 0x7fffffff, v35
	;;#ASMSTART
	v_max3_f32 v2, v2, v3, v4

	;;#ASMEND
	v_and_b32_e32 v3, 0x7fffffff, v54
	v_and_b32_e32 v4, 0x7fffffff, v55
	;; [unrolled: 6-line block ×7, first 2 shown]
	;;#ASMSTART
	v_max3_f32 v2, v2, v3, v4

	;;#ASMEND
.LBB961_24:
	s_or_b64 exec, exec, s[8:9]
	;;#ASMSTART
	v_max_f32 v3, v2, v2 quad_perm:[1,0,3,2] row_mask:0xf bank_mask:0xf bound_ctrl:1
	;;#ASMEND
	;;#ASMSTART
	v_max_f32 v2, v3, v3 quad_perm:[2,3,0,1] row_mask:0xf bank_mask:0xf bound_ctrl:1
	;;#ASMEND
	v_and_b32_e32 v3, 3, v0
	v_cmp_eq_u32_e32 vcc, 0, v3
	v_cmp_gt_i32_e64 s[8:9], s15, v1
	v_mul_f32_e32 v2, 0x3b124925, v2
	s_and_b64 s[10:11], vcc, s[8:9]
	s_and_saveexec_b64 s[8:9], s[10:11]
	s_cbranch_execz .LBB961_26
; %bb.25:
	s_load_dwordx2 s[10:11], s[4:5], 0x8
	s_mul_hi_i32 s23, s25, s6
	s_mul_i32 s22, s25, s6
	v_lshrrev_b32_e32 v3, 2, v0
	s_lshl_b64 s[22:23], s[22:23], 2
	v_mad_i64_i32 v[4:5], s[26:27], s26, v3, 0
	s_waitcnt lgkmcnt(0)
	s_add_u32 s7, s10, s22
	s_addc_u32 s10, s11, s23
	v_lshlrev_b64 v[4:5], 2, v[4:5]
	v_mov_b32_e32 v3, s10
	v_add_co_u32_e32 v4, vcc, s7, v4
	v_addc_co_u32_e32 v5, vcc, v3, v5, vcc
	global_store_dword v[4:5], v2, off
.LBB961_26:
	s_or_b64 exec, exec, s[8:9]
	;;#ASMSTART
	v_rcp_f32 v2, v2
	;;#ASMEND
	s_and_saveexec_b64 s[22:23], s[0:1]
	s_cbranch_execz .LBB961_28
; %bb.27:
	v_mov_b32_e32 v3, v2
	;;#ASMSTART
	v_pk_mul_f32 v[4:5], v[48:49], v[2:3]
	;;#ASMEND
	v_mov_b32_e32 v10, 0xc3e00000
	v_mov_b32_e32 v11, 0x43e00000
	;;#ASMSTART
	v_med3_f32 v4, v4, v10, v11
v_med3_f32 v5, v5, v10, v11
v_cvt_pk_fp8_f32 v6, v4, v5
	;;#ASMEND
	;;#ASMSTART
	v_pk_mul_f32 v[4:5], v[34:35], v[2:3]
	;;#ASMEND
	;;#ASMSTART
	v_med3_f32 v4, v4, v10, v11
v_med3_f32 v5, v5, v10, v11
v_cvt_pk_fp8_f32 v7, v4, v5
	;;#ASMEND
	;;#ASMSTART
	v_pk_mul_f32 v[4:5], v[54:55], v[2:3]
	;;#ASMEND
	;;#ASMSTART
	v_med3_f32 v4, v4, v10, v11
v_med3_f32 v5, v5, v10, v11
v_cvt_pk_fp8_f32 v8, v4, v5
	;;#ASMEND
	;;#ASMSTART
	v_pk_mul_f32 v[4:5], v[24:25], v[2:3]
	;;#ASMEND
	;;#ASMSTART
	v_med3_f32 v4, v4, v10, v11
v_med3_f32 v5, v5, v10, v11
v_cvt_pk_fp8_f32 v9, v4, v5
	;;#ASMEND
	s_mov_b32 s0, 0x5040100
	v_perm_b32 v4, v7, v6, s0
	s_mov_b32 s0, 0x1060504
	v_perm_b32 v4, v4, v7, s0
	s_load_dwordx2 s[0:1], s[4:5], 0x0
	s_mov_b32 s7, 0x1000504
	;;#ASMSTART
	v_pk_mul_f32 v[6:7], v[64:65], v[2:3]
	;;#ASMEND
	v_perm_b32 v5, v8, v9, s7
	s_mul_i32 s8, s24, s6
	;;#ASMSTART
	v_med3_f32 v6, v6, v10, v11
v_med3_f32 v7, v7, v10, v11
v_cvt_pk_fp8_f32 v8, v6, v7
	;;#ASMEND
	s_mul_hi_i32 s9, s24, s6
	s_waitcnt lgkmcnt(0)
	s_add_u32 s8, s0, s8
	;;#ASMSTART
	v_pk_mul_f32 v[6:7], v[18:19], v[2:3]
	;;#ASMEND
	s_addc_u32 s0, s1, s9
	s_add_i32 s1, s15, 3
	;;#ASMSTART
	v_med3_f32 v6, v6, v10, v11
v_med3_f32 v7, v7, v10, v11
v_cvt_pk_fp8_f32 v9, v6, v7
	;;#ASMEND
	s_ashr_i32 s9, s1, 31
	v_perm_b32 v6, v8, v9, s7
	;;#ASMSTART
	v_pk_mul_f32 v[8:9], v[14:15], v[2:3]
	;;#ASMEND
	v_mov_b32_e32 v7, v9
	s_lshr_b32 s9, s9, 30
	;;#ASMSTART
	v_med3_f32 v8, v8, v10, v11
v_med3_f32 v7, v7, v10, v11
v_cvt_pk_fp8_f32 v9, v8, v7
	;;#ASMEND
	;;#ASMSTART
	v_pk_mul_f32 v[2:3], v[88:89], v[2:3]
	;;#ASMEND
	s_add_i32 s1, s1, s9
	;;#ASMSTART
	v_med3_f32 v2, v2, v10, v11
v_med3_f32 v3, v3, v10, v11
v_cvt_pk_fp8_f32 v7, v2, v3
	;;#ASMEND
	s_and_b32 s10, s1, -4
	s_and_b32 s9, s0, 0xffff
	s_mov_b32 s11, 0x20000
	v_perm_b32 v7, v9, v7, s7
	buffer_store_dwordx4 v[4:7], v1, s[8:11], 0 offen
	;;#ASMSTART
	s_nop 0
	;;#ASMEND
.LBB961_28:
	s_or_b64 exec, exec, s[22:23]
	s_cmp_lt_i32 s16, 1
	s_cbranch_scc1 .LBB961_17
.LBB961_29:
	s_load_dword s0, s[4:5], 0x94
	s_waitcnt lgkmcnt(0)
	s_cmp_lg_u32 s0, 1
	s_cbranch_scc1 .LBB961_17
; %bb.30:
	s_lshl_b32 s0, s16, 1
	s_add_i32 s0, s0, 2
	v_cmp_gt_u32_e32 vcc, s16, v1
	s_and_b32 s22, s0, -4
	v_mov_b32_e32 v18, 0
	v_lshlrev_b32_e32 v1, 5, v0
	v_mov_b32_e32 v14, 0
	v_mov_b32_e32 v15, 0
	;; [unrolled: 1-line block ×16, first 2 shown]
	s_barrier
	s_and_saveexec_b64 s[0:1], vcc
	s_cbranch_execz .LBB961_32
; %bb.31:
	s_mul_hi_i32 s5, s18, s6
	s_mul_i32 s4, s18, s6
	s_and_b32 s21, s21, 0xffff
	s_lshl_b64 s[4:5], s[4:5], 1
	s_add_u32 s8, s36, s4
	s_mov_b32 s23, 0x20000
	s_addc_u32 s4, s37, s5
	s_and_b32 s9, s4, 0xffff
	s_mov_b32 s10, s22
	s_mov_b32 s11, s23
	buffer_load_dwordx4 v[14:17], v1, s[8:11], 0 offen
	buffer_load_dwordx4 v[10:13], v1, s[8:11], 16 offen
	;; [unrolled: 1-line block ×4, first 2 shown]
.LBB961_32:
	s_or_b64 exec, exec, s[0:1]
	v_mov_b32_e32 v19, 0
	v_mov_b32_e32 v32, 0
	v_mov_b32_e32 v33, 0
	v_mov_b32_e32 v30, 0
	v_mov_b32_e32 v31, 0
	v_mov_b32_e32 v28, 0
	v_mov_b32_e32 v29, 0
	v_mov_b32_e32 v26, 0
	v_mov_b32_e32 v27, 0
	v_mov_b32_e32 v24, 0
	v_mov_b32_e32 v25, 0
	v_mov_b32_e32 v22, 0
	v_mov_b32_e32 v23, 0
	v_mov_b32_e32 v20, 0
	v_mov_b32_e32 v21, 0
	s_and_saveexec_b64 s[0:1], vcc
	s_cbranch_execz .LBB961_34
; %bb.33:
	s_waitcnt vmcnt(3)
	v_cvt_f32_f16_sdwa v19, v14 dst_sel:DWORD dst_unused:UNUSED_PAD src0_sel:WORD_1
	v_cvt_f32_f16_e32 v18, v14
	v_cvt_f32_f16_sdwa v33, v15 dst_sel:DWORD dst_unused:UNUSED_PAD src0_sel:WORD_1
	v_cvt_f32_f16_e32 v32, v15
	;; [unrolled: 2-line block ×4, first 2 shown]
	s_waitcnt vmcnt(2)
	v_cvt_f32_f16_sdwa v27, v10 dst_sel:DWORD dst_unused:UNUSED_PAD src0_sel:WORD_1
	v_cvt_f32_f16_e32 v26, v10
	v_cvt_f32_f16_sdwa v25, v11 dst_sel:DWORD dst_unused:UNUSED_PAD src0_sel:WORD_1
	v_cvt_f32_f16_e32 v24, v11
	;; [unrolled: 2-line block ×4, first 2 shown]
.LBB961_34:
	s_or_b64 exec, exec, s[0:1]
	s_waitcnt vmcnt(2)
	v_mul_f32_e32 v10, v19, v19
	v_fmac_f32_e32 v10, v18, v18
	v_fmac_f32_e32 v10, v32, v32
	;; [unrolled: 1-line block ×15, first 2 shown]
	s_nop 1
	v_mov_b32_dpp v11, v10 quad_perm:[1,0,3,2] row_mask:0xf bank_mask:0xf
	v_add_f32_e32 v10, v10, v11
	s_nop 1
	v_mov_b32_dpp v11, v10 quad_perm:[2,3,0,1] row_mask:0xf bank_mask:0xf
	v_add_f32_e32 v10, v10, v11
	s_nop 1
	v_mov_b32_dpp v11, v10 row_half_mirror row_mask:0xf bank_mask:0xf
	v_add_f32_e32 v10, v10, v11
	s_nop 1
	v_mov_b32_dpp v11, v10 row_mirror row_mask:0xf bank_mask:0xf
	v_add_f32_e32 v10, v10, v11
	s_nop 1
	v_mov_b32_dpp v11, v10 row_bcast:15 row_mask:0xf bank_mask:0xf
	v_add_f32_e32 v10, v10, v11
	s_nop 1
	v_mov_b32_dpp v11, v10 row_bcast:31 row_mask:0xf bank_mask:0xf
	s_and_saveexec_b64 s[0:1], s[2:3]
	s_cbranch_execz .LBB961_36
; %bb.35:
	v_lshrrev_b32_e32 v0, 4, v0
	v_add_f32_e32 v10, v10, v11
	v_and_b32_e32 v0, 60, v0
	ds_write_b32 v0, v10
.LBB961_36:
	s_or_b64 exec, exec, s[0:1]
	s_waitcnt lgkmcnt(0)
	s_barrier
	ds_read_b32 v0, v36
	s_waitcnt lgkmcnt(0)
	s_nop 0
	v_mov_b32_dpp v10, v0 quad_perm:[1,0,3,2] row_mask:0xf bank_mask:0xf
	v_add_f32_e32 v0, v0, v10
	s_nop 1
	v_mov_b32_dpp v10, v0 quad_perm:[2,3,0,1] row_mask:0xf bank_mask:0xf
	v_add_f32_e32 v0, v0, v10
	s_nop 1
	v_mov_b32_dpp v10, v0 row_half_mirror row_mask:0xf bank_mask:0xf
	s_and_saveexec_b64 s[0:1], vcc
	s_cbranch_execz .LBB961_17
; %bb.37:
	v_cvt_f32_u32_e32 v11, s16
	v_add_f32_e32 v0, v0, v10
	s_mov_b32 s23, 0x20000
	v_div_scale_f32 v10, s[0:1], v11, v11, v0
	v_rcp_f32_e32 v12, v10
	v_div_scale_f32 v13, vcc, v0, v11, v0
	s_mov_b32 s0, 0x800000
	v_fma_f32 v14, -v10, v12, 1.0
	v_fmac_f32_e32 v12, v14, v12
	v_mul_f32_e32 v14, v13, v12
	v_fma_f32 v15, -v10, v14, v13
	v_fmac_f32_e32 v14, v15, v12
	v_fma_f32 v10, -v10, v14, v13
	v_div_fmas_f32 v10, v10, v12, v14
	v_div_fixup_f32 v0, v10, v11, v0
	v_add_f32_e32 v0, s13, v0
	v_mul_f32_e32 v10, 0x4b800000, v0
	v_cmp_gt_f32_e32 vcc, s0, v0
	v_cndmask_b32_e32 v0, v0, v10, vcc
	v_rsq_f32_e32 v0, v0
	s_mul_hi_i32 s1, s34, s6
	s_mul_i32 s0, s34, s6
	s_lshl_b64 s[0:1], s[0:1], 1
	v_mul_f32_e32 v10, 0x45800000, v0
	v_cndmask_b32_e32 v10, v0, v10, vcc
	v_mov_b32_e32 v11, v10
	;;#ASMSTART
	v_pk_mul_f32 v[12:13], v[18:19], v[10:11]
	;;#ASMEND
	;;#ASMSTART
	v_pk_mul_f32 v[14:15], v[32:33], v[10:11]
	;;#ASMEND
	;;#ASMSTART
	v_pk_mul_f32 v[16:17], v[30:31], v[10:11]
	;;#ASMEND
	;;#ASMSTART
	v_pk_mul_f32 v[18:19], v[28:29], v[10:11]
	;;#ASMEND
	s_waitcnt vmcnt(1)
	v_cvt_f32_f16_sdwa v29, v6 dst_sel:DWORD dst_unused:UNUSED_PAD src0_sel:WORD_1
	v_cvt_f32_f16_e32 v28, v6
	v_cvt_f32_f16_sdwa v31, v7 dst_sel:DWORD dst_unused:UNUSED_PAD src0_sel:WORD_1
	v_cvt_f32_f16_e32 v30, v7
	;;#ASMSTART
	v_pk_mul_f32 v[26:27], v[26:27], v[10:11]
	;;#ASMEND
	;;#ASMSTART
	v_pk_mul_f32 v[24:25], v[24:25], v[10:11]
	;;#ASMEND
	;; [unrolled: 3-line block ×4, first 2 shown]
	v_cvt_f32_f16_sdwa v21, v8 dst_sel:DWORD dst_unused:UNUSED_PAD src0_sel:WORD_1
	v_cvt_f32_f16_e32 v20, v8
	v_pk_add_f32 v[10:11], v[28:29], 1.0 op_sel_hi:[1,0]
	;;#ASMSTART
	v_pk_mul_f32 v[10:11], v[12:13], v[10:11]
	;;#ASMEND
	v_pk_add_f32 v[12:13], v[30:31], 1.0 op_sel_hi:[1,0]
	v_cvt_f32_f16_sdwa v29, v9 dst_sel:DWORD dst_unused:UNUSED_PAD src0_sel:WORD_1
	v_cvt_f32_f16_e32 v28, v9
	;;#ASMSTART
	v_pk_mul_f32 v[8:9], v[14:15], v[12:13]
	;;#ASMEND
	v_pk_add_f32 v[12:13], v[20:21], 1.0 op_sel_hi:[1,0]
	;;#ASMSTART
	v_pk_mul_f32 v[12:13], v[16:17], v[12:13]
	;;#ASMEND
	s_waitcnt vmcnt(0)
	v_cvt_f32_f16_sdwa v17, v2 dst_sel:DWORD dst_unused:UNUSED_PAD src0_sel:WORD_1
	v_cvt_f32_f16_e32 v16, v2
	v_cvt_f32_f16_sdwa v21, v3 dst_sel:DWORD dst_unused:UNUSED_PAD src0_sel:WORD_1
	v_cvt_f32_f16_e32 v20, v3
	v_pk_add_f32 v[14:15], v[28:29], 1.0 op_sel_hi:[1,0]
	;;#ASMSTART
	v_pk_mul_f32 v[2:3], v[18:19], v[14:15]
	;;#ASMEND
	v_cvt_f32_f16_sdwa v19, v4 dst_sel:DWORD dst_unused:UNUSED_PAD src0_sel:WORD_1
	v_cvt_f32_f16_e32 v18, v4
	v_pk_add_f32 v[14:15], v[16:17], 1.0 op_sel_hi:[1,0]
	v_pk_add_f32 v[16:17], v[20:21], 1.0 op_sel_hi:[1,0]
	v_cvt_f32_f16_sdwa v21, v5 dst_sel:DWORD dst_unused:UNUSED_PAD src0_sel:WORD_1
	v_cvt_f32_f16_e32 v20, v5
	v_pk_add_f32 v[4:5], v[18:19], 1.0 op_sel_hi:[1,0]
	;;#ASMSTART
	v_pk_mul_f32 v[14:15], v[26:27], v[14:15]
	;;#ASMEND
	;;#ASMSTART
	v_pk_mul_f32 v[16:17], v[24:25], v[16:17]
	;;#ASMEND
	;;#ASMSTART
	v_pk_mul_f32 v[18:19], v[22:23], v[4:5]
	;;#ASMEND
	v_pk_add_f32 v[4:5], v[20:21], 1.0 op_sel_hi:[1,0]
	;;#ASMSTART
	v_pk_mul_f32 v[6:7], v[6:7], v[4:5]
	;;#ASMEND
	v_cvt_f16_f32_e32 v0, v10
	v_cvt_f16_f32_e32 v4, v11
	;; [unrolled: 1-line block ×8, first 2 shown]
	s_add_u32 s20, s38, s0
	s_addc_u32 s0, s39, s1
	s_and_b32 s21, s0, 0xffff
	v_pack_b32_f16 v2, v0, v4
	v_pack_b32_f16 v3, v5, v8
	;; [unrolled: 1-line block ×4, first 2 shown]
	buffer_store_dwordx4 v[2:5], v1, s[20:23], 0 offen
	v_cvt_f16_f32_e32 v0, v14
	v_cvt_f16_f32_e32 v2, v15
	;; [unrolled: 1-line block ×8, first 2 shown]
	v_pack_b32_f16 v2, v0, v2
	v_pack_b32_f16 v3, v3, v4
	;; [unrolled: 1-line block ×4, first 2 shown]
	;;#ASMSTART
	s_nop 0
	;;#ASMEND
	buffer_store_dwordx4 v[2:5], v1, s[20:23], 16 offen
	;;#ASMSTART
	s_nop 0
	;;#ASMEND
	s_endpgm
	.section	.rodata,"a",@progbits
	.p2align	6, 0x0
	.amdhsa_kernel _ZN5aiter35fused_qk_rmsnorm_group_quant_kernelIDF16_DB8_Li512ELi16ELi4ELb1ELb0ELb1ELb0ELb0ELb0EEEvPT0_PvPT_S6_S6_PKS5_S8_S8_S8_S8_ffiiiiiiiiiiiii
		.amdhsa_group_segment_fixed_size 64
		.amdhsa_private_segment_fixed_size 0
		.amdhsa_kernarg_size 400
		.amdhsa_user_sgpr_count 6
		.amdhsa_user_sgpr_private_segment_buffer 1
		.amdhsa_user_sgpr_dispatch_ptr 0
		.amdhsa_user_sgpr_queue_ptr 0
		.amdhsa_user_sgpr_kernarg_segment_ptr 1
		.amdhsa_user_sgpr_dispatch_id 0
		.amdhsa_user_sgpr_flat_scratch_init 0
		.amdhsa_user_sgpr_kernarg_preload_length 0
		.amdhsa_user_sgpr_kernarg_preload_offset 0
		.amdhsa_user_sgpr_private_segment_size 0
		.amdhsa_uses_dynamic_stack 0
		.amdhsa_system_sgpr_private_segment_wavefront_offset 0
		.amdhsa_system_sgpr_workgroup_id_x 1
		.amdhsa_system_sgpr_workgroup_id_y 1
		.amdhsa_system_sgpr_workgroup_id_z 0
		.amdhsa_system_sgpr_workgroup_info 0
		.amdhsa_system_vgpr_workitem_id 0
		.amdhsa_next_free_vgpr 90
		.amdhsa_next_free_sgpr 44
		.amdhsa_accum_offset 92
		.amdhsa_reserve_vcc 1
		.amdhsa_reserve_flat_scratch 0
		.amdhsa_float_round_mode_32 0
		.amdhsa_float_round_mode_16_64 0
		.amdhsa_float_denorm_mode_32 3
		.amdhsa_float_denorm_mode_16_64 3
		.amdhsa_dx10_clamp 1
		.amdhsa_ieee_mode 1
		.amdhsa_fp16_overflow 0
		.amdhsa_tg_split 0
		.amdhsa_exception_fp_ieee_invalid_op 0
		.amdhsa_exception_fp_denorm_src 0
		.amdhsa_exception_fp_ieee_div_zero 0
		.amdhsa_exception_fp_ieee_overflow 0
		.amdhsa_exception_fp_ieee_underflow 0
		.amdhsa_exception_fp_ieee_inexact 0
		.amdhsa_exception_int_div_zero 0
	.end_amdhsa_kernel
	.section	.text._ZN5aiter35fused_qk_rmsnorm_group_quant_kernelIDF16_DB8_Li512ELi16ELi4ELb1ELb0ELb1ELb0ELb0ELb0EEEvPT0_PvPT_S6_S6_PKS5_S8_S8_S8_S8_ffiiiiiiiiiiiii,"axG",@progbits,_ZN5aiter35fused_qk_rmsnorm_group_quant_kernelIDF16_DB8_Li512ELi16ELi4ELb1ELb0ELb1ELb0ELb0ELb0EEEvPT0_PvPT_S6_S6_PKS5_S8_S8_S8_S8_ffiiiiiiiiiiiii,comdat
.Lfunc_end961:
	.size	_ZN5aiter35fused_qk_rmsnorm_group_quant_kernelIDF16_DB8_Li512ELi16ELi4ELb1ELb0ELb1ELb0ELb0ELb0EEEvPT0_PvPT_S6_S6_PKS5_S8_S8_S8_S8_ffiiiiiiiiiiiii, .Lfunc_end961-_ZN5aiter35fused_qk_rmsnorm_group_quant_kernelIDF16_DB8_Li512ELi16ELi4ELb1ELb0ELb1ELb0ELb0ELb0EEEvPT0_PvPT_S6_S6_PKS5_S8_S8_S8_S8_ffiiiiiiiiiiiii
                                        ; -- End function
	.section	.AMDGPU.csdata,"",@progbits
; Kernel info:
; codeLenInByte = 4192
; NumSgprs: 48
; NumVgprs: 90
; NumAgprs: 0
; TotalNumVgprs: 90
; ScratchSize: 0
; MemoryBound: 0
; FloatMode: 240
; IeeeMode: 1
; LDSByteSize: 64 bytes/workgroup (compile time only)
; SGPRBlocks: 5
; VGPRBlocks: 11
; NumSGPRsForWavesPerEU: 48
; NumVGPRsForWavesPerEU: 90
; AccumOffset: 92
; Occupancy: 5
; WaveLimiterHint : 0
; COMPUTE_PGM_RSRC2:SCRATCH_EN: 0
; COMPUTE_PGM_RSRC2:USER_SGPR: 6
; COMPUTE_PGM_RSRC2:TRAP_HANDLER: 0
; COMPUTE_PGM_RSRC2:TGID_X_EN: 1
; COMPUTE_PGM_RSRC2:TGID_Y_EN: 1
; COMPUTE_PGM_RSRC2:TGID_Z_EN: 0
; COMPUTE_PGM_RSRC2:TIDIG_COMP_CNT: 0
; COMPUTE_PGM_RSRC3_GFX90A:ACCUM_OFFSET: 22
; COMPUTE_PGM_RSRC3_GFX90A:TG_SPLIT: 0
	.section	.text._ZN5aiter35fused_qk_rmsnorm_group_quant_kernelItDB8_Li512ELi16ELi4ELb1ELb0ELb1ELb0ELb0ELb0EEEvPT0_PvPT_S6_S6_PKS5_S8_S8_S8_S8_ffiiiiiiiiiiiii,"axG",@progbits,_ZN5aiter35fused_qk_rmsnorm_group_quant_kernelItDB8_Li512ELi16ELi4ELb1ELb0ELb1ELb0ELb0ELb0EEEvPT0_PvPT_S6_S6_PKS5_S8_S8_S8_S8_ffiiiiiiiiiiiii,comdat
	.protected	_ZN5aiter35fused_qk_rmsnorm_group_quant_kernelItDB8_Li512ELi16ELi4ELb1ELb0ELb1ELb0ELb0ELb0EEEvPT0_PvPT_S6_S6_PKS5_S8_S8_S8_S8_ffiiiiiiiiiiiii ; -- Begin function _ZN5aiter35fused_qk_rmsnorm_group_quant_kernelItDB8_Li512ELi16ELi4ELb1ELb0ELb1ELb0ELb0ELb0EEEvPT0_PvPT_S6_S6_PKS5_S8_S8_S8_S8_ffiiiiiiiiiiiii
	.globl	_ZN5aiter35fused_qk_rmsnorm_group_quant_kernelItDB8_Li512ELi16ELi4ELb1ELb0ELb1ELb0ELb0ELb0EEEvPT0_PvPT_S6_S6_PKS5_S8_S8_S8_S8_ffiiiiiiiiiiiii
	.p2align	8
	.type	_ZN5aiter35fused_qk_rmsnorm_group_quant_kernelItDB8_Li512ELi16ELi4ELb1ELb0ELb1ELb0ELb0ELb0EEEvPT0_PvPT_S6_S6_PKS5_S8_S8_S8_S8_ffiiiiiiiiiiiii,@function
_ZN5aiter35fused_qk_rmsnorm_group_quant_kernelItDB8_Li512ELi16ELi4ELb1ELb0ELb1ELb0ELb0ELb0EEEvPT0_PvPT_S6_S6_PKS5_S8_S8_S8_S8_ffiiiiiiiiiiiii: ; @_ZN5aiter35fused_qk_rmsnorm_group_quant_kernelItDB8_Li512ELi16ELi4ELb1ELb0ELb1ELb0ELb0ELb0EEEvPT0_PvPT_S6_S6_PKS5_S8_S8_S8_S8_ffiiiiiiiiiiiii
; %bb.0:
	s_load_dwordx8 s[12:19], s[4:5], 0x50
	s_waitcnt lgkmcnt(0)
	s_cmp_ge_i32 s6, s14
	s_cbranch_scc1 .LBB962_17
; %bb.1:
	s_cmp_lg_u32 s7, 0
	s_cselect_b64 s[10:11], -1, 0
	s_cmp_eq_u32 s7, 0
	s_cselect_b64 s[8:9], -1, 0
	s_and_b64 s[0:1], s[8:9], exec
	s_load_dwordx2 s[20:21], s[4:5], 0x48
	s_load_dwordx2 s[36:37], s[4:5], 0x30
	s_load_dwordx4 s[24:27], s[4:5], 0x70
	s_cselect_b32 s7, s15, s16
	s_add_i32 s0, s7, 1
	s_lshr_b32 s1, s0, 31
	s_add_i32 s0, s0, s1
	s_lshl_b32 s0, s0, 1
	v_lshlrev_b32_e32 v1, 4, v0
	s_and_b32 s30, s0, -4
	v_cmp_gt_i32_e64 s[0:1], s7, v1
	v_mov_b32_e32 v74, 0
	v_mov_b32_e32 v75, 0
	;; [unrolled: 1-line block ×16, first 2 shown]
	s_and_saveexec_b64 s[2:3], s[0:1]
	s_cbranch_execz .LBB962_3
; %bb.2:
	s_load_dwordx2 s[22:23], s[4:5], 0x28
	s_load_dwordx2 s[28:29], s[4:5], 0x40
	s_and_b64 s[34:35], s[8:9], exec
	s_cselect_b32 s14, s17, s18
	s_mov_b32 s31, 0x20000
	s_waitcnt lgkmcnt(0)
	s_cselect_b32 s17, s23, s37
	s_cselect_b32 s27, s22, s36
	s_mul_hi_i32 s23, s14, s6
	s_mul_i32 s22, s14, s6
	s_lshl_b64 s[22:23], s[22:23], 1
	s_add_u32 s40, s27, s22
	s_addc_u32 s14, s17, s23
	s_and_b64 s[22:23], s[8:9], exec
	s_cselect_b32 s28, s28, s20
	s_cselect_b32 s17, s29, s21
	s_and_b32 s41, s14, 0xffff
	s_mov_b32 s42, s30
	s_mov_b32 s43, s31
	v_lshlrev_b32_e32 v2, 5, v0
	s_and_b32 s29, s17, 0xffff
	buffer_load_dwordx4 v[78:81], v2, s[40:43], 0 offen
	buffer_load_dwordx4 v[82:85], v2, s[40:43], 16 offen
	;; [unrolled: 1-line block ×4, first 2 shown]
.LBB962_3:
	s_or_b64 exec, exec, s[2:3]
	s_load_dwordx2 s[34:35], s[4:5], 0x80
	s_and_b64 vcc, exec, s[10:11]
	s_cbranch_vccz .LBB962_7
; %bb.4:
	v_mov_b32_e32 v87, 0
	v_mov_b32_e32 v86, 0
	;; [unrolled: 1-line block ×16, first 2 shown]
	s_and_saveexec_b64 s[2:3], s[0:1]
	s_cbranch_execz .LBB962_6
; %bb.5:
	s_waitcnt vmcnt(3)
	v_cvt_f32_u32_sdwa v52, v78 dst_sel:DWORD dst_unused:UNUSED_PAD src0_sel:WORD_0
	v_cvt_f32_u32_sdwa v53, v78 dst_sel:DWORD dst_unused:UNUSED_PAD src0_sel:WORD_1
	v_cvt_f32_u32_sdwa v34, v79 dst_sel:DWORD dst_unused:UNUSED_PAD src0_sel:WORD_0
	v_cvt_f32_u32_sdwa v35, v79 dst_sel:DWORD dst_unused:UNUSED_PAD src0_sel:WORD_1
	v_cvt_f32_u32_sdwa v58, v80 dst_sel:DWORD dst_unused:UNUSED_PAD src0_sel:WORD_0
	v_cvt_f32_u32_sdwa v59, v80 dst_sel:DWORD dst_unused:UNUSED_PAD src0_sel:WORD_1
	v_cvt_f32_u32_sdwa v24, v81 dst_sel:DWORD dst_unused:UNUSED_PAD src0_sel:WORD_0
	v_cvt_f32_u32_sdwa v25, v81 dst_sel:DWORD dst_unused:UNUSED_PAD src0_sel:WORD_1
	s_waitcnt vmcnt(2)
	v_cvt_f32_u32_sdwa v44, v82 dst_sel:DWORD dst_unused:UNUSED_PAD src0_sel:WORD_0
	v_cvt_f32_u32_sdwa v45, v82 dst_sel:DWORD dst_unused:UNUSED_PAD src0_sel:WORD_1
	v_cvt_f32_u32_sdwa v18, v83 dst_sel:DWORD dst_unused:UNUSED_PAD src0_sel:WORD_0
	v_cvt_f32_u32_sdwa v19, v83 dst_sel:DWORD dst_unused:UNUSED_PAD src0_sel:WORD_1
	;; [unrolled: 2-line block ×4, first 2 shown]
.LBB962_6:
	s_or_b64 exec, exec, s[2:3]
	s_cbranch_execz .LBB962_8
	s_branch .LBB962_11
.LBB962_7:
                                        ; implicit-def: $vgpr32_vgpr33_vgpr34_vgpr35_vgpr36_vgpr37_vgpr38_vgpr39_vgpr40_vgpr41_vgpr42_vgpr43_vgpr44_vgpr45_vgpr46_vgpr47
                                        ; implicit-def: $vgpr18_vgpr19_vgpr20_vgpr21_vgpr22_vgpr23_vgpr24_vgpr25_vgpr26_vgpr27_vgpr28_vgpr29_vgpr30_vgpr31_vgpr32_vgpr33
                                        ; implicit-def: $vgpr52_vgpr53_vgpr54_vgpr55_vgpr56_vgpr57_vgpr58_vgpr59_vgpr60_vgpr61_vgpr62_vgpr63_vgpr64_vgpr65_vgpr66_vgpr67
                                        ; implicit-def: $vgpr87
                                        ; implicit-def: $vgpr54_vgpr55_vgpr56_vgpr57_vgpr58_vgpr59_vgpr60_vgpr61_vgpr62_vgpr63_vgpr64_vgpr65_vgpr66_vgpr67_vgpr68_vgpr69
                                        ; implicit-def: $vgpr8_vgpr9_vgpr10_vgpr11_vgpr12_vgpr13_vgpr14_vgpr15_vgpr16_vgpr17_vgpr18_vgpr19_vgpr20_vgpr21_vgpr22_vgpr23
                                        ; implicit-def: $vgpr36_vgpr37_vgpr38_vgpr39_vgpr40_vgpr41_vgpr42_vgpr43_vgpr44_vgpr45_vgpr46_vgpr47_vgpr48_vgpr49_vgpr50_vgpr51
                                        ; implicit-def: $vgpr2_vgpr3_vgpr4_vgpr5_vgpr6_vgpr7_vgpr8_vgpr9_vgpr10_vgpr11_vgpr12_vgpr13_vgpr14_vgpr15_vgpr16_vgpr17
.LBB962_8:
	v_mov_b32_e32 v87, 0
	v_mov_b32_e32 v86, 0
	;; [unrolled: 1-line block ×16, first 2 shown]
	s_and_saveexec_b64 s[2:3], s[0:1]
	s_cbranch_execz .LBB962_10
; %bb.9:
	s_load_dwordx2 s[22:23], s[4:5], 0x38
	s_mul_hi_i32 s29, s19, s6
	s_mul_i32 s28, s19, s6
	s_lshl_b64 s[28:29], s[28:29], 1
	s_mov_b32 s31, 0x20000
	s_waitcnt lgkmcnt(0)
	s_add_u32 s28, s22, s28
	s_addc_u32 s14, s23, s29
	s_and_b32 s29, s14, 0xffff
	v_lshlrev_b32_e32 v38, 5, v0
	buffer_load_dwordx4 v[4:7], v38, s[28:31], 16 offen
	buffer_load_dwordx4 v[8:11], v38, s[28:31], 0 offen
	s_load_dwordx2 s[22:23], s[4:5], 0x20
	s_waitcnt vmcnt(5)
	v_cvt_f32_u32_sdwa v19, v78 dst_sel:DWORD dst_unused:UNUSED_PAD src0_sel:WORD_1
	v_cvt_f32_u32_sdwa v18, v78 dst_sel:DWORD dst_unused:UNUSED_PAD src0_sel:WORD_0
	v_cvt_f32_u32_sdwa v21, v79 dst_sel:DWORD dst_unused:UNUSED_PAD src0_sel:WORD_1
	v_cvt_f32_u32_sdwa v20, v79 dst_sel:DWORD dst_unused:UNUSED_PAD src0_sel:WORD_0
	;; [unrolled: 2-line block ×4, first 2 shown]
	s_waitcnt vmcnt(4)
	v_cvt_f32_u32_sdwa v3, v82 dst_sel:DWORD dst_unused:UNUSED_PAD src0_sel:WORD_1
	v_cvt_f32_u32_sdwa v2, v82 dst_sel:DWORD dst_unused:UNUSED_PAD src0_sel:WORD_0
	v_cvt_f32_u32_sdwa v13, v83 dst_sel:DWORD dst_unused:UNUSED_PAD src0_sel:WORD_1
	v_cvt_f32_u32_sdwa v12, v83 dst_sel:DWORD dst_unused:UNUSED_PAD src0_sel:WORD_0
	;; [unrolled: 2-line block ×3, first 2 shown]
	v_cvt_f32_u32_sdwa v16, v85 dst_sel:DWORD dst_unused:UNUSED_PAD src0_sel:WORD_0
	v_cvt_f32_u32_sdwa v17, v85 dst_sel:DWORD dst_unused:UNUSED_PAD src0_sel:WORD_1
	s_mul_hi_i32 s29, s35, s6
	s_mul_i32 s28, s35, s6
	s_lshl_b64 s[28:29], s[28:29], 1
	s_waitcnt lgkmcnt(0)
	s_add_u32 s28, s22, s28
	s_mov_b32 s14, 0x7060302
	s_addc_u32 s17, s23, s29
	s_and_b32 s29, s17, 0xffff
	s_waitcnt vmcnt(1)
	v_cvt_f32_u32_sdwa v27, v4 dst_sel:DWORD dst_unused:UNUSED_PAD src0_sel:WORD_1
	v_cvt_f32_u32_sdwa v26, v4 dst_sel:DWORD dst_unused:UNUSED_PAD src0_sel:WORD_0
	v_cvt_f32_u32_sdwa v29, v5 dst_sel:DWORD dst_unused:UNUSED_PAD src0_sel:WORD_1
	v_cvt_f32_u32_sdwa v28, v5 dst_sel:DWORD dst_unused:UNUSED_PAD src0_sel:WORD_0
	v_cvt_f32_u32_sdwa v31, v6 dst_sel:DWORD dst_unused:UNUSED_PAD src0_sel:WORD_1
	v_cvt_f32_u32_sdwa v30, v6 dst_sel:DWORD dst_unused:UNUSED_PAD src0_sel:WORD_0
	v_cvt_f32_u32_sdwa v32, v7 dst_sel:DWORD dst_unused:UNUSED_PAD src0_sel:WORD_0
	v_cvt_f32_u32_sdwa v33, v7 dst_sel:DWORD dst_unused:UNUSED_PAD src0_sel:WORD_1
	s_waitcnt vmcnt(0)
	v_cvt_f32_u32_sdwa v37, v8 dst_sel:DWORD dst_unused:UNUSED_PAD src0_sel:WORD_1
	v_cvt_f32_u32_sdwa v36, v8 dst_sel:DWORD dst_unused:UNUSED_PAD src0_sel:WORD_0
	v_cvt_f32_u32_sdwa v5, v10 dst_sel:DWORD dst_unused:UNUSED_PAD src0_sel:WORD_1
	v_cvt_f32_u32_sdwa v4, v10 dst_sel:DWORD dst_unused:UNUSED_PAD src0_sel:WORD_0
	;; [unrolled: 2-line block ×4, first 2 shown]
	v_pk_add_f32 v[58:59], v[22:23], v[4:5]
	v_pk_add_f32 v[24:25], v[24:25], v[6:7]
	;; [unrolled: 1-line block ×4, first 2 shown]
	v_perm_b32 v7, v25, v24, s14
	v_perm_b32 v6, v59, v58, s14
	;; [unrolled: 1-line block ×4, first 2 shown]
	v_pk_add_f32 v[86:87], v[16:17], v[32:33]
	v_pk_add_f32 v[14:15], v[14:15], v[30:31]
	;; [unrolled: 1-line block ×4, first 2 shown]
	buffer_store_dwordx4 v[4:7], v38, s[28:31], 0 offen
	;;#ASMSTART
	s_nop 0
	;;#ASMEND
	s_nop 0
	v_perm_b32 v7, v87, v86, s14
	v_perm_b32 v6, v15, v14, s14
	;; [unrolled: 1-line block ×4, first 2 shown]
	buffer_store_dwordx4 v[4:7], v38, s[28:31], 16 offen
	;;#ASMSTART
	s_nop 0
	;;#ASMEND
.LBB962_10:
	s_or_b64 exec, exec, s[2:3]
.LBB962_11:
	v_mul_f32_e32 v2, v53, v53
	v_fmac_f32_e32 v2, v52, v52
	v_fmac_f32_e32 v2, v34, v34
	;; [unrolled: 1-line block ×15, first 2 shown]
	s_nop 1
	v_mov_b32_dpp v3, v2 quad_perm:[1,0,3,2] row_mask:0xf bank_mask:0xf
	v_add_f32_e32 v2, v2, v3
	s_nop 1
	v_mov_b32_dpp v3, v2 quad_perm:[2,3,0,1] row_mask:0xf bank_mask:0xf
	v_add_f32_e32 v2, v2, v3
	s_nop 1
	v_mov_b32_dpp v3, v2 row_half_mirror row_mask:0xf bank_mask:0xf
	v_add_f32_e32 v2, v2, v3
	s_nop 1
	v_mov_b32_dpp v3, v2 row_mirror row_mask:0xf bank_mask:0xf
	v_add_f32_e32 v2, v2, v3
	s_nop 1
	v_mov_b32_dpp v3, v2 row_bcast:15 row_mask:0xf bank_mask:0xf
	v_add_f32_e32 v2, v2, v3
	v_and_b32_e32 v3, 63, v0
	v_cmp_eq_u32_e64 s[2:3], 63, v3
	s_nop 0
	v_mov_b32_dpp v3, v2 row_bcast:31 row_mask:0xf bank_mask:0xf
	s_and_saveexec_b64 s[22:23], s[2:3]
	s_cbranch_execz .LBB962_13
; %bb.12:
	v_add_f32_e32 v2, v2, v3
	v_lshrrev_b32_e32 v3, 4, v0
	v_and_b32_e32 v3, 60, v3
	ds_write_b32 v3, v2 offset:32
.LBB962_13:
	s_or_b64 exec, exec, s[22:23]
	v_and_b32_e32 v2, 7, v0
	v_lshlrev_b32_e32 v36, 2, v2
	s_waitcnt lgkmcnt(0)
	s_barrier
	ds_read_b32 v2, v36 offset:32
	s_load_dwordx2 s[38:39], s[4:5], 0x18
	s_waitcnt lgkmcnt(0)
	v_mov_b32_dpp v3, v2 quad_perm:[1,0,3,2] row_mask:0xf bank_mask:0xf
	v_add_f32_e32 v2, v2, v3
	s_nop 1
	v_mov_b32_dpp v3, v2 quad_perm:[2,3,0,1] row_mask:0xf bank_mask:0xf
	v_add_f32_e32 v2, v2, v3
	s_nop 1
	v_mov_b32_dpp v3, v2 row_half_mirror row_mask:0xf bank_mask:0xf
	s_and_saveexec_b64 s[22:23], s[0:1]
	s_cbranch_execnz .LBB962_18
; %bb.14:
	s_or_b64 exec, exec, s[22:23]
	s_mov_b64 s[8:9], -1
	s_and_b64 vcc, exec, s[10:11]
	s_cbranch_vccnz .LBB962_19
.LBB962_15:
	s_andn2_b64 vcc, exec, s[8:9]
	s_cbranch_vccz .LBB962_22
.LBB962_16:
	s_cmp_lt_i32 s16, 1
	s_cbranch_scc0 .LBB962_29
.LBB962_17:
	s_endpgm
.LBB962_18:
	v_add_f32_e32 v2, v2, v3
	v_cvt_f32_u32_e32 v3, s7
	s_mov_b32 s7, 0x800000
	s_waitcnt vmcnt(1)
	v_cvt_f32_u32_sdwa v17, v74 dst_sel:DWORD dst_unused:UNUSED_PAD src0_sel:WORD_1
	v_cvt_f32_u32_sdwa v16, v74 dst_sel:DWORD dst_unused:UNUSED_PAD src0_sel:WORD_0
	v_div_scale_f32 v4, s[28:29], v3, v3, v2
	v_rcp_f32_e32 v5, v4
	v_pk_add_f32 v[16:17], v[16:17], 1.0 op_sel_hi:[1,0]
	v_cvt_f32_u32_sdwa v21, v77 dst_sel:DWORD dst_unused:UNUSED_PAD src0_sel:WORD_1
	v_cvt_f32_u32_sdwa v20, v77 dst_sel:DWORD dst_unused:UNUSED_PAD src0_sel:WORD_0
	v_fma_f32 v6, -v4, v5, 1.0
	v_fmac_f32_e32 v5, v6, v5
	v_div_scale_f32 v6, vcc, v2, v3, v2
	v_mul_f32_e32 v7, v6, v5
	v_fma_f32 v8, -v4, v7, v6
	v_fmac_f32_e32 v7, v8, v5
	v_fma_f32 v4, -v4, v7, v6
	v_div_fmas_f32 v4, v4, v5, v7
	v_div_fixup_f32 v2, v4, v3, v2
	v_mov_b32_e32 v3, s13
	v_mov_b32_e32 v4, s12
	v_cndmask_b32_e64 v3, v3, v4, s[8:9]
	v_add_f32_e32 v2, v3, v2
	v_mul_f32_e32 v3, 0x4b800000, v2
	v_cmp_gt_f32_e32 vcc, s7, v2
	v_cndmask_b32_e32 v2, v2, v3, vcc
	v_rsq_f32_e32 v2, v2
	s_waitcnt vmcnt(0)
	v_cvt_f32_u32_sdwa v23, v72 dst_sel:DWORD dst_unused:UNUSED_PAD src0_sel:WORD_1
	v_cvt_f32_u32_sdwa v22, v72 dst_sel:DWORD dst_unused:UNUSED_PAD src0_sel:WORD_0
	v_mul_f32_e32 v3, 0x45800000, v2
	v_cndmask_b32_e32 v2, v2, v3, vcc
	v_mov_b32_e32 v3, v2
	;;#ASMSTART
	v_pk_mul_f32 v[4:5], v[52:53], v[2:3]
	;;#ASMEND
	;;#ASMSTART
	v_pk_mul_f32 v[6:7], v[34:35], v[2:3]
	;;#ASMEND
	;; [unrolled: 3-line block ×9, first 2 shown]
	v_cvt_f32_u32_sdwa v5, v75 dst_sel:DWORD dst_unused:UNUSED_PAD src0_sel:WORD_1
	v_cvt_f32_u32_sdwa v4, v75 dst_sel:DWORD dst_unused:UNUSED_PAD src0_sel:WORD_0
	v_cvt_f32_u32_sdwa v17, v76 dst_sel:DWORD dst_unused:UNUSED_PAD src0_sel:WORD_1
	v_cvt_f32_u32_sdwa v16, v76 dst_sel:DWORD dst_unused:UNUSED_PAD src0_sel:WORD_0
	v_cvt_f32_u32_sdwa v25, v73 dst_sel:DWORD dst_unused:UNUSED_PAD src0_sel:WORD_1
	v_pk_add_f32 v[4:5], v[4:5], 1.0 op_sel_hi:[1,0]
	;;#ASMSTART
	v_pk_mul_f32 v[34:35], v[6:7], v[4:5]
	;;#ASMEND
	v_pk_add_f32 v[4:5], v[16:17], 1.0 op_sel_hi:[1,0]
	v_pk_add_f32 v[6:7], v[20:21], 1.0 op_sel_hi:[1,0]
	v_cvt_f32_u32_sdwa v17, v70 dst_sel:DWORD dst_unused:UNUSED_PAD src0_sel:WORD_1
	v_cvt_f32_u32_sdwa v16, v70 dst_sel:DWORD dst_unused:UNUSED_PAD src0_sel:WORD_0
	v_cvt_f32_u32_sdwa v21, v71 dst_sel:DWORD dst_unused:UNUSED_PAD src0_sel:WORD_1
	v_cvt_f32_u32_sdwa v20, v71 dst_sel:DWORD dst_unused:UNUSED_PAD src0_sel:WORD_0
	v_cvt_f32_u32_sdwa v24, v73 dst_sel:DWORD dst_unused:UNUSED_PAD src0_sel:WORD_0
	v_pk_add_f32 v[16:17], v[16:17], 1.0 op_sel_hi:[1,0]
	v_pk_add_f32 v[22:23], v[22:23], 1.0 op_sel_hi:[1,0]
	;; [unrolled: 1-line block ×4, first 2 shown]
	;;#ASMSTART
	v_pk_mul_f32 v[58:59], v[8:9], v[4:5]
	;;#ASMEND
	;;#ASMSTART
	v_pk_mul_f32 v[24:25], v[10:11], v[6:7]
	;;#ASMEND
	;;#ASMSTART
	v_pk_mul_f32 v[44:45], v[12:13], v[16:17]
	;;#ASMEND
	;;#ASMSTART
	v_pk_mul_f32 v[18:19], v[18:19], v[20:21]
	;;#ASMEND
	;;#ASMSTART
	v_pk_mul_f32 v[14:15], v[14:15], v[22:23]
	;;#ASMEND
	;;#ASMSTART
	v_pk_mul_f32 v[86:87], v[2:3], v[26:27]
	;;#ASMEND
	s_or_b64 exec, exec, s[22:23]
	s_mov_b64 s[8:9], -1
	s_and_b64 vcc, exec, s[10:11]
	s_cbranch_vccz .LBB962_15
.LBB962_19:
	s_and_saveexec_b64 s[8:9], s[0:1]
	s_cbranch_execz .LBB962_21
; %bb.20:
	s_mul_hi_i32 s11, s34, s6
	s_mul_i32 s10, s34, s6
	s_lshl_b64 s[10:11], s[10:11], 1
	s_add_u32 s28, s38, s10
	s_addc_u32 s7, s39, s11
	s_and_b32 s29, s7, 0xffff
	s_mov_b32 s7, 0x7060302
	s_mov_b32 s31, 0x20000
	v_perm_b32 v5, v25, v24, s7
	v_perm_b32 v4, v59, v58, s7
	v_perm_b32 v3, v35, v34, s7
	v_perm_b32 v2, v53, v52, s7
	v_lshlrev_b32_e32 v6, 5, v0
	buffer_store_dwordx4 v[2:5], v6, s[28:31], 0 offen
	;;#ASMSTART
	s_nop 0
	;;#ASMEND
	s_nop 0
	v_perm_b32 v5, v87, v86, s7
	v_perm_b32 v4, v15, v14, s7
	;; [unrolled: 1-line block ×4, first 2 shown]
	buffer_store_dwordx4 v[2:5], v6, s[28:31], 16 offen
	;;#ASMSTART
	s_nop 0
	;;#ASMEND
.LBB962_21:
	s_or_b64 exec, exec, s[8:9]
	s_cbranch_execnz .LBB962_16
.LBB962_22:
	v_mov_b32_e32 v2, 0
	s_and_saveexec_b64 s[8:9], s[0:1]
	s_cbranch_execz .LBB962_24
; %bb.23:
	v_and_b32_e32 v2, 0x7fffffff, v52
	v_and_b32_e32 v3, 0x7fffffff, v53
	v_mov_b32_e32 v4, 0x2edbe6ff
	;;#ASMSTART
	v_max3_f32 v2, v4, v2, v3

	;;#ASMEND
	v_and_b32_e32 v3, 0x7fffffff, v34
	v_and_b32_e32 v4, 0x7fffffff, v35
	;;#ASMSTART
	v_max3_f32 v2, v2, v3, v4

	;;#ASMEND
	v_and_b32_e32 v3, 0x7fffffff, v58
	v_and_b32_e32 v4, 0x7fffffff, v59
	;; [unrolled: 6-line block ×7, first 2 shown]
	;;#ASMSTART
	v_max3_f32 v2, v2, v3, v4

	;;#ASMEND
.LBB962_24:
	s_or_b64 exec, exec, s[8:9]
	;;#ASMSTART
	v_max_f32 v3, v2, v2 quad_perm:[1,0,3,2] row_mask:0xf bank_mask:0xf bound_ctrl:1
	;;#ASMEND
	;;#ASMSTART
	v_max_f32 v2, v3, v3 quad_perm:[2,3,0,1] row_mask:0xf bank_mask:0xf bound_ctrl:1
	;;#ASMEND
	v_and_b32_e32 v3, 3, v0
	v_cmp_eq_u32_e32 vcc, 0, v3
	v_cmp_gt_i32_e64 s[8:9], s15, v1
	v_mul_f32_e32 v2, 0x3b124925, v2
	s_and_b64 s[10:11], vcc, s[8:9]
	s_and_saveexec_b64 s[8:9], s[10:11]
	s_cbranch_execz .LBB962_26
; %bb.25:
	s_load_dwordx2 s[10:11], s[4:5], 0x8
	s_mul_hi_i32 s23, s25, s6
	s_mul_i32 s22, s25, s6
	v_lshrrev_b32_e32 v3, 2, v0
	s_lshl_b64 s[22:23], s[22:23], 2
	v_mad_i64_i32 v[4:5], s[26:27], s26, v3, 0
	s_waitcnt lgkmcnt(0)
	s_add_u32 s7, s10, s22
	s_addc_u32 s10, s11, s23
	v_lshlrev_b64 v[4:5], 2, v[4:5]
	v_mov_b32_e32 v3, s10
	v_add_co_u32_e32 v4, vcc, s7, v4
	v_addc_co_u32_e32 v5, vcc, v3, v5, vcc
	global_store_dword v[4:5], v2, off
.LBB962_26:
	s_or_b64 exec, exec, s[8:9]
	;;#ASMSTART
	v_rcp_f32 v2, v2
	;;#ASMEND
	s_and_saveexec_b64 s[22:23], s[0:1]
	s_cbranch_execz .LBB962_28
; %bb.27:
	v_mov_b32_e32 v3, v2
	;;#ASMSTART
	v_pk_mul_f32 v[4:5], v[52:53], v[2:3]
	;;#ASMEND
	v_mov_b32_e32 v10, 0xc3e00000
	v_mov_b32_e32 v11, 0x43e00000
	;;#ASMSTART
	v_med3_f32 v4, v4, v10, v11
v_med3_f32 v5, v5, v10, v11
v_cvt_pk_fp8_f32 v6, v4, v5
	;;#ASMEND
	;;#ASMSTART
	v_pk_mul_f32 v[4:5], v[34:35], v[2:3]
	;;#ASMEND
	;;#ASMSTART
	v_med3_f32 v4, v4, v10, v11
v_med3_f32 v5, v5, v10, v11
v_cvt_pk_fp8_f32 v7, v4, v5
	;;#ASMEND
	;;#ASMSTART
	v_pk_mul_f32 v[4:5], v[58:59], v[2:3]
	;;#ASMEND
	;; [unrolled: 8-line block ×3, first 2 shown]
	;;#ASMSTART
	v_med3_f32 v4, v4, v10, v11
v_med3_f32 v5, v5, v10, v11
v_cvt_pk_fp8_f32 v9, v4, v5
	;;#ASMEND
	s_mov_b32 s0, 0x5040100
	v_perm_b32 v4, v7, v6, s0
	s_mov_b32 s0, 0x1060504
	v_perm_b32 v4, v4, v7, s0
	s_load_dwordx2 s[0:1], s[4:5], 0x0
	s_mov_b32 s7, 0x1000504
	;;#ASMSTART
	v_pk_mul_f32 v[6:7], v[44:45], v[2:3]
	;;#ASMEND
	v_perm_b32 v5, v8, v9, s7
	s_mul_i32 s8, s24, s6
	;;#ASMSTART
	v_med3_f32 v6, v6, v10, v11
v_med3_f32 v7, v7, v10, v11
v_cvt_pk_fp8_f32 v8, v6, v7
	;;#ASMEND
	s_mul_hi_i32 s9, s24, s6
	s_waitcnt lgkmcnt(0)
	s_add_u32 s8, s0, s8
	;;#ASMSTART
	v_pk_mul_f32 v[6:7], v[18:19], v[2:3]
	;;#ASMEND
	s_addc_u32 s0, s1, s9
	s_add_i32 s1, s15, 3
	;;#ASMSTART
	v_med3_f32 v6, v6, v10, v11
v_med3_f32 v7, v7, v10, v11
v_cvt_pk_fp8_f32 v9, v6, v7
	;;#ASMEND
	s_ashr_i32 s9, s1, 31
	v_perm_b32 v6, v8, v9, s7
	;;#ASMSTART
	v_pk_mul_f32 v[8:9], v[14:15], v[2:3]
	;;#ASMEND
	v_mov_b32_e32 v7, v9
	s_lshr_b32 s9, s9, 30
	;;#ASMSTART
	v_med3_f32 v8, v8, v10, v11
v_med3_f32 v7, v7, v10, v11
v_cvt_pk_fp8_f32 v9, v8, v7
	;;#ASMEND
	;;#ASMSTART
	v_pk_mul_f32 v[2:3], v[86:87], v[2:3]
	;;#ASMEND
	s_add_i32 s1, s1, s9
	;;#ASMSTART
	v_med3_f32 v2, v2, v10, v11
v_med3_f32 v3, v3, v10, v11
v_cvt_pk_fp8_f32 v7, v2, v3
	;;#ASMEND
	s_and_b32 s10, s1, -4
	s_and_b32 s9, s0, 0xffff
	s_mov_b32 s11, 0x20000
	v_perm_b32 v7, v9, v7, s7
	buffer_store_dwordx4 v[4:7], v1, s[8:11], 0 offen
	;;#ASMSTART
	s_nop 0
	;;#ASMEND
.LBB962_28:
	s_or_b64 exec, exec, s[22:23]
	s_cmp_lt_i32 s16, 1
	s_cbranch_scc1 .LBB962_17
.LBB962_29:
	s_load_dword s0, s[4:5], 0x94
	s_waitcnt lgkmcnt(0)
	s_cmp_lg_u32 s0, 1
	s_cbranch_scc1 .LBB962_17
; %bb.30:
	s_lshl_b32 s0, s16, 1
	s_add_i32 s0, s0, 2
	v_cmp_gt_u32_e32 vcc, s16, v1
	s_and_b32 s22, s0, -4
	v_mov_b32_e32 v18, 0
	v_lshlrev_b32_e32 v1, 5, v0
	v_mov_b32_e32 v14, 0
	v_mov_b32_e32 v15, 0
	;; [unrolled: 1-line block ×16, first 2 shown]
	s_barrier
	s_and_saveexec_b64 s[0:1], vcc
	s_cbranch_execz .LBB962_32
; %bb.31:
	s_mul_hi_i32 s5, s18, s6
	s_mul_i32 s4, s18, s6
	s_and_b32 s21, s21, 0xffff
	s_lshl_b64 s[4:5], s[4:5], 1
	s_add_u32 s8, s36, s4
	s_mov_b32 s23, 0x20000
	s_addc_u32 s4, s37, s5
	s_and_b32 s9, s4, 0xffff
	s_mov_b32 s10, s22
	s_mov_b32 s11, s23
	buffer_load_dwordx4 v[14:17], v1, s[8:11], 0 offen
	buffer_load_dwordx4 v[10:13], v1, s[8:11], 16 offen
	buffer_load_dwordx4 v[6:9], v1, s[20:23], 0 offen
	buffer_load_dwordx4 v[2:5], v1, s[20:23], 16 offen
.LBB962_32:
	s_or_b64 exec, exec, s[0:1]
	v_mov_b32_e32 v19, 0
	v_mov_b32_e32 v32, 0
	;; [unrolled: 1-line block ×15, first 2 shown]
	s_and_saveexec_b64 s[0:1], vcc
	s_cbranch_execz .LBB962_34
; %bb.33:
	s_waitcnt vmcnt(3)
	v_cvt_f32_u32_sdwa v18, v14 dst_sel:DWORD dst_unused:UNUSED_PAD src0_sel:WORD_0
	v_cvt_f32_u32_sdwa v19, v14 dst_sel:DWORD dst_unused:UNUSED_PAD src0_sel:WORD_1
	v_cvt_f32_u32_sdwa v32, v15 dst_sel:DWORD dst_unused:UNUSED_PAD src0_sel:WORD_0
	v_cvt_f32_u32_sdwa v33, v15 dst_sel:DWORD dst_unused:UNUSED_PAD src0_sel:WORD_1
	;; [unrolled: 2-line block ×4, first 2 shown]
	s_waitcnt vmcnt(2)
	v_cvt_f32_u32_sdwa v26, v10 dst_sel:DWORD dst_unused:UNUSED_PAD src0_sel:WORD_0
	v_cvt_f32_u32_sdwa v27, v10 dst_sel:DWORD dst_unused:UNUSED_PAD src0_sel:WORD_1
	v_cvt_f32_u32_sdwa v24, v11 dst_sel:DWORD dst_unused:UNUSED_PAD src0_sel:WORD_0
	v_cvt_f32_u32_sdwa v25, v11 dst_sel:DWORD dst_unused:UNUSED_PAD src0_sel:WORD_1
	;; [unrolled: 2-line block ×4, first 2 shown]
.LBB962_34:
	s_or_b64 exec, exec, s[0:1]
	s_waitcnt vmcnt(2)
	v_mul_f32_e32 v10, v19, v19
	v_fmac_f32_e32 v10, v18, v18
	v_fmac_f32_e32 v10, v32, v32
	v_fmac_f32_e32 v10, v33, v33
	v_fmac_f32_e32 v10, v30, v30
	v_fmac_f32_e32 v10, v31, v31
	v_fmac_f32_e32 v10, v28, v28
	v_fmac_f32_e32 v10, v29, v29
	v_fmac_f32_e32 v10, v26, v26
	v_fmac_f32_e32 v10, v27, v27
	v_fmac_f32_e32 v10, v24, v24
	v_fmac_f32_e32 v10, v25, v25
	v_fmac_f32_e32 v10, v22, v22
	v_fmac_f32_e32 v10, v23, v23
	v_fmac_f32_e32 v10, v20, v20
	v_fmac_f32_e32 v10, v21, v21
	s_nop 1
	v_mov_b32_dpp v11, v10 quad_perm:[1,0,3,2] row_mask:0xf bank_mask:0xf
	v_add_f32_e32 v10, v10, v11
	s_nop 1
	v_mov_b32_dpp v11, v10 quad_perm:[2,3,0,1] row_mask:0xf bank_mask:0xf
	v_add_f32_e32 v10, v10, v11
	s_nop 1
	v_mov_b32_dpp v11, v10 row_half_mirror row_mask:0xf bank_mask:0xf
	v_add_f32_e32 v10, v10, v11
	s_nop 1
	v_mov_b32_dpp v11, v10 row_mirror row_mask:0xf bank_mask:0xf
	v_add_f32_e32 v10, v10, v11
	s_nop 1
	v_mov_b32_dpp v11, v10 row_bcast:15 row_mask:0xf bank_mask:0xf
	v_add_f32_e32 v10, v10, v11
	s_nop 1
	v_mov_b32_dpp v11, v10 row_bcast:31 row_mask:0xf bank_mask:0xf
	s_and_saveexec_b64 s[0:1], s[2:3]
	s_cbranch_execz .LBB962_36
; %bb.35:
	v_lshrrev_b32_e32 v0, 4, v0
	v_add_f32_e32 v10, v10, v11
	v_and_b32_e32 v0, 60, v0
	ds_write_b32 v0, v10
.LBB962_36:
	s_or_b64 exec, exec, s[0:1]
	s_waitcnt lgkmcnt(0)
	s_barrier
	ds_read_b32 v0, v36
	s_waitcnt lgkmcnt(0)
	s_nop 0
	v_mov_b32_dpp v10, v0 quad_perm:[1,0,3,2] row_mask:0xf bank_mask:0xf
	v_add_f32_e32 v0, v0, v10
	s_nop 1
	v_mov_b32_dpp v10, v0 quad_perm:[2,3,0,1] row_mask:0xf bank_mask:0xf
	v_add_f32_e32 v0, v0, v10
	s_nop 1
	v_mov_b32_dpp v10, v0 row_half_mirror row_mask:0xf bank_mask:0xf
	s_and_saveexec_b64 s[0:1], vcc
	s_cbranch_execz .LBB962_17
; %bb.37:
	v_cvt_f32_u32_e32 v11, s16
	v_add_f32_e32 v0, v0, v10
	s_mov_b32 s23, 0x20000
	v_div_scale_f32 v10, s[0:1], v11, v11, v0
	v_rcp_f32_e32 v12, v10
	v_div_scale_f32 v13, vcc, v0, v11, v0
	s_mov_b32 s0, 0x800000
	v_fma_f32 v14, -v10, v12, 1.0
	v_fmac_f32_e32 v12, v14, v12
	v_mul_f32_e32 v14, v13, v12
	v_fma_f32 v15, -v10, v14, v13
	v_fmac_f32_e32 v14, v15, v12
	v_fma_f32 v10, -v10, v14, v13
	v_div_fmas_f32 v10, v10, v12, v14
	v_div_fixup_f32 v0, v10, v11, v0
	v_add_f32_e32 v0, s13, v0
	v_mul_f32_e32 v10, 0x4b800000, v0
	v_cmp_gt_f32_e32 vcc, s0, v0
	v_cndmask_b32_e32 v0, v0, v10, vcc
	v_rsq_f32_e32 v0, v0
	s_mul_hi_i32 s1, s34, s6
	s_mul_i32 s0, s34, s6
	s_lshl_b64 s[0:1], s[0:1], 1
	v_mul_f32_e32 v10, 0x45800000, v0
	v_cndmask_b32_e32 v10, v0, v10, vcc
	v_mov_b32_e32 v11, v10
	;;#ASMSTART
	v_pk_mul_f32 v[12:13], v[18:19], v[10:11]
	;;#ASMEND
	;;#ASMSTART
	v_pk_mul_f32 v[14:15], v[32:33], v[10:11]
	;;#ASMEND
	;; [unrolled: 3-line block ×4, first 2 shown]
	s_waitcnt vmcnt(1)
	v_cvt_f32_u32_sdwa v29, v6 dst_sel:DWORD dst_unused:UNUSED_PAD src0_sel:WORD_1
	v_cvt_f32_u32_sdwa v28, v6 dst_sel:DWORD dst_unused:UNUSED_PAD src0_sel:WORD_0
	v_cvt_f32_u32_sdwa v31, v7 dst_sel:DWORD dst_unused:UNUSED_PAD src0_sel:WORD_1
	v_cvt_f32_u32_sdwa v30, v7 dst_sel:DWORD dst_unused:UNUSED_PAD src0_sel:WORD_0
	;;#ASMSTART
	v_pk_mul_f32 v[26:27], v[26:27], v[10:11]
	;;#ASMEND
	;;#ASMSTART
	v_pk_mul_f32 v[24:25], v[24:25], v[10:11]
	;;#ASMEND
	;;#ASMSTART
	v_pk_mul_f32 v[22:23], v[22:23], v[10:11]
	;;#ASMEND
	;;#ASMSTART
	v_pk_mul_f32 v[6:7], v[20:21], v[10:11]
	;;#ASMEND
	v_cvt_f32_u32_sdwa v21, v8 dst_sel:DWORD dst_unused:UNUSED_PAD src0_sel:WORD_1
	v_cvt_f32_u32_sdwa v20, v8 dst_sel:DWORD dst_unused:UNUSED_PAD src0_sel:WORD_0
	v_pk_add_f32 v[10:11], v[28:29], 1.0 op_sel_hi:[1,0]
	;;#ASMSTART
	v_pk_mul_f32 v[10:11], v[12:13], v[10:11]
	;;#ASMEND
	v_pk_add_f32 v[12:13], v[30:31], 1.0 op_sel_hi:[1,0]
	v_cvt_f32_u32_sdwa v29, v9 dst_sel:DWORD dst_unused:UNUSED_PAD src0_sel:WORD_1
	v_cvt_f32_u32_sdwa v28, v9 dst_sel:DWORD dst_unused:UNUSED_PAD src0_sel:WORD_0
	;;#ASMSTART
	v_pk_mul_f32 v[8:9], v[14:15], v[12:13]
	;;#ASMEND
	v_pk_add_f32 v[12:13], v[20:21], 1.0 op_sel_hi:[1,0]
	;;#ASMSTART
	v_pk_mul_f32 v[12:13], v[16:17], v[12:13]
	;;#ASMEND
	s_waitcnt vmcnt(0)
	v_cvt_f32_u32_sdwa v17, v2 dst_sel:DWORD dst_unused:UNUSED_PAD src0_sel:WORD_1
	v_cvt_f32_u32_sdwa v16, v2 dst_sel:DWORD dst_unused:UNUSED_PAD src0_sel:WORD_0
	v_cvt_f32_u32_sdwa v21, v3 dst_sel:DWORD dst_unused:UNUSED_PAD src0_sel:WORD_1
	v_cvt_f32_u32_sdwa v20, v3 dst_sel:DWORD dst_unused:UNUSED_PAD src0_sel:WORD_0
	v_pk_add_f32 v[14:15], v[28:29], 1.0 op_sel_hi:[1,0]
	;;#ASMSTART
	v_pk_mul_f32 v[14:15], v[18:19], v[14:15]
	;;#ASMEND
	v_pk_add_f32 v[2:3], v[16:17], 1.0 op_sel_hi:[1,0]
	v_cvt_f32_u32_sdwa v19, v4 dst_sel:DWORD dst_unused:UNUSED_PAD src0_sel:WORD_1
	v_cvt_f32_u32_sdwa v18, v4 dst_sel:DWORD dst_unused:UNUSED_PAD src0_sel:WORD_0
	;;#ASMSTART
	v_pk_mul_f32 v[16:17], v[26:27], v[2:3]
	;;#ASMEND
	v_pk_add_f32 v[2:3], v[20:21], 1.0 op_sel_hi:[1,0]
	v_cvt_f32_u32_sdwa v21, v5 dst_sel:DWORD dst_unused:UNUSED_PAD src0_sel:WORD_1
	v_cvt_f32_u32_sdwa v20, v5 dst_sel:DWORD dst_unused:UNUSED_PAD src0_sel:WORD_0
	s_add_u32 s20, s38, s0
	;;#ASMSTART
	v_pk_mul_f32 v[24:25], v[24:25], v[2:3]
	;;#ASMEND
	v_pk_add_f32 v[2:3], v[18:19], 1.0 op_sel_hi:[1,0]
	s_addc_u32 s0, s39, s1
	;;#ASMSTART
	v_pk_mul_f32 v[18:19], v[22:23], v[2:3]
	;;#ASMEND
	v_pk_add_f32 v[2:3], v[20:21], 1.0 op_sel_hi:[1,0]
	s_and_b32 s21, s0, 0xffff
	s_mov_b32 s0, 0x7060302
	;;#ASMSTART
	v_pk_mul_f32 v[6:7], v[6:7], v[2:3]
	;;#ASMEND
	v_perm_b32 v2, v11, v10, s0
	v_perm_b32 v3, v9, v8, s0
	;; [unrolled: 1-line block ×4, first 2 shown]
	buffer_store_dwordx4 v[2:5], v1, s[20:23], 0 offen
	;;#ASMSTART
	s_nop 0
	;;#ASMEND
	s_nop 0
	v_perm_b32 v2, v17, v16, s0
	v_perm_b32 v3, v25, v24, s0
	;; [unrolled: 1-line block ×4, first 2 shown]
	buffer_store_dwordx4 v[2:5], v1, s[20:23], 16 offen
	;;#ASMSTART
	s_nop 0
	;;#ASMEND
	s_endpgm
	.section	.rodata,"a",@progbits
	.p2align	6, 0x0
	.amdhsa_kernel _ZN5aiter35fused_qk_rmsnorm_group_quant_kernelItDB8_Li512ELi16ELi4ELb1ELb0ELb1ELb0ELb0ELb0EEEvPT0_PvPT_S6_S6_PKS5_S8_S8_S8_S8_ffiiiiiiiiiiiii
		.amdhsa_group_segment_fixed_size 64
		.amdhsa_private_segment_fixed_size 0
		.amdhsa_kernarg_size 400
		.amdhsa_user_sgpr_count 6
		.amdhsa_user_sgpr_private_segment_buffer 1
		.amdhsa_user_sgpr_dispatch_ptr 0
		.amdhsa_user_sgpr_queue_ptr 0
		.amdhsa_user_sgpr_kernarg_segment_ptr 1
		.amdhsa_user_sgpr_dispatch_id 0
		.amdhsa_user_sgpr_flat_scratch_init 0
		.amdhsa_user_sgpr_kernarg_preload_length 0
		.amdhsa_user_sgpr_kernarg_preload_offset 0
		.amdhsa_user_sgpr_private_segment_size 0
		.amdhsa_uses_dynamic_stack 0
		.amdhsa_system_sgpr_private_segment_wavefront_offset 0
		.amdhsa_system_sgpr_workgroup_id_x 1
		.amdhsa_system_sgpr_workgroup_id_y 1
		.amdhsa_system_sgpr_workgroup_id_z 0
		.amdhsa_system_sgpr_workgroup_info 0
		.amdhsa_system_vgpr_workitem_id 0
		.amdhsa_next_free_vgpr 88
		.amdhsa_next_free_sgpr 44
		.amdhsa_accum_offset 88
		.amdhsa_reserve_vcc 1
		.amdhsa_reserve_flat_scratch 0
		.amdhsa_float_round_mode_32 0
		.amdhsa_float_round_mode_16_64 0
		.amdhsa_float_denorm_mode_32 3
		.amdhsa_float_denorm_mode_16_64 3
		.amdhsa_dx10_clamp 1
		.amdhsa_ieee_mode 1
		.amdhsa_fp16_overflow 0
		.amdhsa_tg_split 0
		.amdhsa_exception_fp_ieee_invalid_op 0
		.amdhsa_exception_fp_denorm_src 0
		.amdhsa_exception_fp_ieee_div_zero 0
		.amdhsa_exception_fp_ieee_overflow 0
		.amdhsa_exception_fp_ieee_underflow 0
		.amdhsa_exception_fp_ieee_inexact 0
		.amdhsa_exception_int_div_zero 0
	.end_amdhsa_kernel
	.section	.text._ZN5aiter35fused_qk_rmsnorm_group_quant_kernelItDB8_Li512ELi16ELi4ELb1ELb0ELb1ELb0ELb0ELb0EEEvPT0_PvPT_S6_S6_PKS5_S8_S8_S8_S8_ffiiiiiiiiiiiii,"axG",@progbits,_ZN5aiter35fused_qk_rmsnorm_group_quant_kernelItDB8_Li512ELi16ELi4ELb1ELb0ELb1ELb0ELb0ELb0EEEvPT0_PvPT_S6_S6_PKS5_S8_S8_S8_S8_ffiiiiiiiiiiiii,comdat
.Lfunc_end962:
	.size	_ZN5aiter35fused_qk_rmsnorm_group_quant_kernelItDB8_Li512ELi16ELi4ELb1ELb0ELb1ELb0ELb0ELb0EEEvPT0_PvPT_S6_S6_PKS5_S8_S8_S8_S8_ffiiiiiiiiiiiii, .Lfunc_end962-_ZN5aiter35fused_qk_rmsnorm_group_quant_kernelItDB8_Li512ELi16ELi4ELb1ELb0ELb1ELb0ELb0ELb0EEEvPT0_PvPT_S6_S6_PKS5_S8_S8_S8_S8_ffiiiiiiiiiiiii
                                        ; -- End function
	.section	.AMDGPU.csdata,"",@progbits
; Kernel info:
; codeLenInByte = 4228
; NumSgprs: 48
; NumVgprs: 88
; NumAgprs: 0
; TotalNumVgprs: 88
; ScratchSize: 0
; MemoryBound: 0
; FloatMode: 240
; IeeeMode: 1
; LDSByteSize: 64 bytes/workgroup (compile time only)
; SGPRBlocks: 5
; VGPRBlocks: 10
; NumSGPRsForWavesPerEU: 48
; NumVGPRsForWavesPerEU: 88
; AccumOffset: 88
; Occupancy: 5
; WaveLimiterHint : 0
; COMPUTE_PGM_RSRC2:SCRATCH_EN: 0
; COMPUTE_PGM_RSRC2:USER_SGPR: 6
; COMPUTE_PGM_RSRC2:TRAP_HANDLER: 0
; COMPUTE_PGM_RSRC2:TGID_X_EN: 1
; COMPUTE_PGM_RSRC2:TGID_Y_EN: 1
; COMPUTE_PGM_RSRC2:TGID_Z_EN: 0
; COMPUTE_PGM_RSRC2:TIDIG_COMP_CNT: 0
; COMPUTE_PGM_RSRC3_GFX90A:ACCUM_OFFSET: 21
; COMPUTE_PGM_RSRC3_GFX90A:TG_SPLIT: 0
	.section	.text._ZN5aiter35fused_qk_rmsnorm_group_quant_kernelIDF16_N4opus5fp4_tELi512ELi16ELi4ELb1ELb0ELb1ELb0ELb0ELb0EEEvPT0_PvPT_S7_S7_PKS6_S9_S9_S9_S9_ffiiiiiiiiiiiii,"axG",@progbits,_ZN5aiter35fused_qk_rmsnorm_group_quant_kernelIDF16_N4opus5fp4_tELi512ELi16ELi4ELb1ELb0ELb1ELb0ELb0ELb0EEEvPT0_PvPT_S7_S7_PKS6_S9_S9_S9_S9_ffiiiiiiiiiiiii,comdat
	.protected	_ZN5aiter35fused_qk_rmsnorm_group_quant_kernelIDF16_N4opus5fp4_tELi512ELi16ELi4ELb1ELb0ELb1ELb0ELb0ELb0EEEvPT0_PvPT_S7_S7_PKS6_S9_S9_S9_S9_ffiiiiiiiiiiiii ; -- Begin function _ZN5aiter35fused_qk_rmsnorm_group_quant_kernelIDF16_N4opus5fp4_tELi512ELi16ELi4ELb1ELb0ELb1ELb0ELb0ELb0EEEvPT0_PvPT_S7_S7_PKS6_S9_S9_S9_S9_ffiiiiiiiiiiiii
	.globl	_ZN5aiter35fused_qk_rmsnorm_group_quant_kernelIDF16_N4opus5fp4_tELi512ELi16ELi4ELb1ELb0ELb1ELb0ELb0ELb0EEEvPT0_PvPT_S7_S7_PKS6_S9_S9_S9_S9_ffiiiiiiiiiiiii
	.p2align	8
	.type	_ZN5aiter35fused_qk_rmsnorm_group_quant_kernelIDF16_N4opus5fp4_tELi512ELi16ELi4ELb1ELb0ELb1ELb0ELb0ELb0EEEvPT0_PvPT_S7_S7_PKS6_S9_S9_S9_S9_ffiiiiiiiiiiiii,@function
_ZN5aiter35fused_qk_rmsnorm_group_quant_kernelIDF16_N4opus5fp4_tELi512ELi16ELi4ELb1ELb0ELb1ELb0ELb0ELb0EEEvPT0_PvPT_S7_S7_PKS6_S9_S9_S9_S9_ffiiiiiiiiiiiii: ; @_ZN5aiter35fused_qk_rmsnorm_group_quant_kernelIDF16_N4opus5fp4_tELi512ELi16ELi4ELb1ELb0ELb1ELb0ELb0ELb0EEEvPT0_PvPT_S7_S7_PKS6_S9_S9_S9_S9_ffiiiiiiiiiiiii
; %bb.0:
	s_load_dwordx8 s[12:19], s[4:5], 0x50
	s_waitcnt lgkmcnt(0)
	s_cmp_ge_i32 s6, s14
	s_cbranch_scc1 .LBB963_17
; %bb.1:
	s_cmp_lg_u32 s7, 0
	s_cselect_b64 s[22:23], -1, 0
	s_cmp_eq_u32 s7, 0
	s_cselect_b64 s[2:3], -1, 0
	s_and_b64 s[0:1], s[2:3], exec
	s_load_dwordx2 s[20:21], s[4:5], 0x48
	s_load_dwordx2 s[34:35], s[4:5], 0x30
	s_load_dwordx4 s[24:27], s[4:5], 0x70
	s_cselect_b32 s7, s15, s16
	s_add_i32 s0, s7, 1
	s_lshr_b32 s1, s0, 31
	s_add_i32 s0, s0, s1
	s_lshl_b32 s0, s0, 1
	v_lshlrev_b32_e32 v1, 4, v0
	s_and_b32 s30, s0, -4
	v_cmp_gt_i32_e64 s[0:1], s7, v1
	v_mov_b32_e32 v6, 0
	v_mov_b32_e32 v7, 0
	;; [unrolled: 1-line block ×16, first 2 shown]
	s_and_saveexec_b64 s[8:9], s[0:1]
	s_cbranch_execz .LBB963_3
; %bb.2:
	s_load_dwordx2 s[10:11], s[4:5], 0x28
	s_load_dwordx2 s[28:29], s[4:5], 0x40
	s_and_b64 s[36:37], s[2:3], exec
	s_cselect_b32 s14, s17, s18
	s_mov_b32 s31, 0x20000
	s_waitcnt lgkmcnt(0)
	s_cselect_b32 s17, s11, s35
	s_cselect_b32 s27, s10, s34
	s_mul_hi_i32 s11, s14, s6
	s_mul_i32 s10, s14, s6
	s_lshl_b64 s[10:11], s[10:11], 1
	s_add_u32 s36, s27, s10
	s_addc_u32 s14, s17, s11
	s_and_b64 s[10:11], s[2:3], exec
	s_cselect_b32 s28, s28, s20
	s_cselect_b32 s10, s29, s21
	s_and_b32 s37, s14, 0xffff
	s_mov_b32 s38, s30
	s_mov_b32 s39, s31
	v_lshlrev_b32_e32 v18, 5, v0
	s_and_b32 s29, s10, 0xffff
	buffer_load_dwordx4 v[10:13], v18, s[36:39], 0 offen
	buffer_load_dwordx4 v[14:17], v18, s[36:39], 16 offen
	;; [unrolled: 1-line block ×4, first 2 shown]
.LBB963_3:
	s_or_b64 exec, exec, s[8:9]
	s_load_dwordx2 s[10:11], s[4:5], 0x80
	s_and_b64 vcc, exec, s[22:23]
	s_cbranch_vccz .LBB963_7
; %bb.4:
	v_mov_b32_e32 v19, 0
	v_mov_b32_e32 v18, 0
	;; [unrolled: 1-line block ×16, first 2 shown]
	s_and_saveexec_b64 s[8:9], s[0:1]
	s_cbranch_execz .LBB963_6
; %bb.5:
	s_waitcnt vmcnt(3)
	v_cvt_f32_f16_sdwa v29, v10 dst_sel:DWORD dst_unused:UNUSED_PAD src0_sel:WORD_1
	v_cvt_f32_f16_e32 v28, v10
	v_cvt_f32_f16_sdwa v33, v11 dst_sel:DWORD dst_unused:UNUSED_PAD src0_sel:WORD_1
	v_cvt_f32_f16_e32 v32, v11
	;; [unrolled: 2-line block ×4, first 2 shown]
	s_waitcnt vmcnt(2)
	v_cvt_f32_f16_sdwa v23, v14 dst_sel:DWORD dst_unused:UNUSED_PAD src0_sel:WORD_1
	v_cvt_f32_f16_e32 v22, v14
	v_cvt_f32_f16_sdwa v25, v15 dst_sel:DWORD dst_unused:UNUSED_PAD src0_sel:WORD_1
	v_cvt_f32_f16_e32 v24, v15
	;; [unrolled: 2-line block ×4, first 2 shown]
.LBB963_6:
	s_or_b64 exec, exec, s[8:9]
	s_cbranch_execz .LBB963_8
	s_branch .LBB963_11
.LBB963_7:
                                        ; implicit-def: $vgpr19
                                        ; implicit-def: $vgpr21
                                        ; implicit-def: $vgpr25
                                        ; implicit-def: $vgpr23
                                        ; implicit-def: $vgpr31
                                        ; implicit-def: $vgpr27
                                        ; implicit-def: $vgpr33
                                        ; implicit-def: $vgpr29
.LBB963_8:
	v_mov_b32_e32 v19, 0
	v_mov_b32_e32 v18, 0
	;; [unrolled: 1-line block ×16, first 2 shown]
	s_and_saveexec_b64 s[8:9], s[0:1]
	s_cbranch_execz .LBB963_10
; %bb.9:
	s_load_dwordx2 s[28:29], s[4:5], 0x38
	s_mul_hi_i32 s37, s19, s6
	s_mul_i32 s36, s19, s6
	s_lshl_b64 s[36:37], s[36:37], 1
	s_mov_b32 s31, 0x20000
	s_waitcnt lgkmcnt(0)
	s_add_u32 s28, s28, s36
	s_addc_u32 s14, s29, s37
	s_and_b32 s29, s14, 0xffff
	v_lshlrev_b32_e32 v48, 5, v0
	buffer_load_dwordx4 v[18:21], v48, s[28:31], 16 offen
	buffer_load_dwordx4 v[22:25], v48, s[28:31], 0 offen
	s_waitcnt vmcnt(4)
	v_cvt_f32_f16_sdwa v27, v14 dst_sel:DWORD dst_unused:UNUSED_PAD src0_sel:WORD_1
	v_cvt_f32_f16_e32 v26, v14
	v_cvt_f32_f16_sdwa v29, v15 dst_sel:DWORD dst_unused:UNUSED_PAD src0_sel:WORD_1
	v_cvt_f32_f16_e32 v28, v15
	;; [unrolled: 2-line block ×8, first 2 shown]
	s_load_dwordx2 s[28:29], s[4:5], 0x20
	s_mul_hi_i32 s37, s11, s6
	s_mul_i32 s36, s11, s6
	s_lshl_b64 s[36:37], s[36:37], 1
	s_waitcnt lgkmcnt(0)
	s_add_u32 s28, s28, s36
	s_addc_u32 s11, s29, s37
	s_and_b32 s29, s11, 0xffff
	s_waitcnt vmcnt(1)
	v_cvt_f32_f16_e32 v12, v18
	v_cvt_f32_f16_sdwa v13, v18 dst_sel:DWORD dst_unused:UNUSED_PAD src0_sel:WORD_1
	v_cvt_f32_f16_e32 v18, v19
	v_cvt_f32_f16_sdwa v19, v19 dst_sel:DWORD dst_unused:UNUSED_PAD src0_sel:WORD_1
	;; [unrolled: 2-line block ×4, first 2 shown]
	s_waitcnt vmcnt(0)
	v_cvt_f32_f16_e32 v40, v22
	v_cvt_f32_f16_sdwa v41, v22 dst_sel:DWORD dst_unused:UNUSED_PAD src0_sel:WORD_1
	v_cvt_f32_f16_e32 v42, v23
	v_cvt_f32_f16_sdwa v43, v23 dst_sel:DWORD dst_unused:UNUSED_PAD src0_sel:WORD_1
	;; [unrolled: 2-line block ×4, first 2 shown]
	v_pk_add_f32 v[22:23], v[26:27], v[12:13]
	v_pk_add_f32 v[24:25], v[28:29], v[18:19]
	;; [unrolled: 1-line block ×8, first 2 shown]
	v_cvt_f16_f32_e32 v10, v29
	v_cvt_f16_f32_e32 v14, v28
	;; [unrolled: 1-line block ×16, first 2 shown]
	v_pack_b32_f16 v13, v17, v13
	v_pack_b32_f16 v12, v16, v12
	;; [unrolled: 1-line block ×8, first 2 shown]
	buffer_store_dwordx4 v[10:13], v48, s[28:31], 0 offen
	;;#ASMSTART
	s_nop 0
	;;#ASMEND
	buffer_store_dwordx4 v[14:17], v48, s[28:31], 16 offen
	;;#ASMSTART
	s_nop 0
	;;#ASMEND
.LBB963_10:
	s_or_b64 exec, exec, s[8:9]
.LBB963_11:
	s_waitcnt vmcnt(3)
	v_mul_f32_e32 v10, v29, v29
	v_fmac_f32_e32 v10, v28, v28
	v_fmac_f32_e32 v10, v32, v32
	;; [unrolled: 1-line block ×15, first 2 shown]
	v_and_b32_e32 v12, 63, v0
	v_cmp_eq_u32_e64 s[8:9], 63, v12
	v_mov_b32_dpp v11, v10 quad_perm:[1,0,3,2] row_mask:0xf bank_mask:0xf
	v_add_f32_e32 v10, v10, v11
	s_nop 1
	v_mov_b32_dpp v11, v10 quad_perm:[2,3,0,1] row_mask:0xf bank_mask:0xf
	v_add_f32_e32 v10, v10, v11
	s_nop 1
	v_mov_b32_dpp v11, v10 row_half_mirror row_mask:0xf bank_mask:0xf
	v_add_f32_e32 v10, v10, v11
	s_nop 1
	v_mov_b32_dpp v11, v10 row_mirror row_mask:0xf bank_mask:0xf
	v_add_f32_e32 v10, v10, v11
	s_nop 1
	v_mov_b32_dpp v11, v10 row_bcast:15 row_mask:0xf bank_mask:0xf
	v_add_f32_e32 v10, v10, v11
	s_nop 1
	v_mov_b32_dpp v11, v10 row_bcast:31 row_mask:0xf bank_mask:0xf
	s_and_saveexec_b64 s[28:29], s[8:9]
	s_cbranch_execz .LBB963_13
; %bb.12:
	v_add_f32_e32 v10, v10, v11
	v_lshrrev_b32_e32 v11, 4, v0
	v_and_b32_e32 v11, 60, v11
	ds_write_b32 v11, v10 offset:32
.LBB963_13:
	s_or_b64 exec, exec, s[28:29]
	v_and_b32_e32 v10, 7, v0
	v_lshlrev_b32_e32 v34, 2, v10
	s_waitcnt lgkmcnt(0)
	s_barrier
	ds_read_b32 v10, v34 offset:32
	s_load_dwordx2 s[36:37], s[4:5], 0x18
	s_waitcnt lgkmcnt(0)
	v_mov_b32_dpp v11, v10 quad_perm:[1,0,3,2] row_mask:0xf bank_mask:0xf
	v_add_f32_e32 v10, v10, v11
	s_nop 1
	v_mov_b32_dpp v11, v10 quad_perm:[2,3,0,1] row_mask:0xf bank_mask:0xf
	v_add_f32_e32 v10, v10, v11
	s_nop 1
	v_mov_b32_dpp v11, v10 row_half_mirror row_mask:0xf bank_mask:0xf
	s_and_saveexec_b64 s[28:29], s[0:1]
	s_cbranch_execnz .LBB963_18
; %bb.14:
	s_or_b64 exec, exec, s[28:29]
	s_mov_b64 s[2:3], -1
	s_and_b64 vcc, exec, s[22:23]
	s_cbranch_vccnz .LBB963_19
.LBB963_15:
	s_andn2_b64 vcc, exec, s[2:3]
	s_cbranch_vccz .LBB963_22
.LBB963_16:
	s_cmp_lt_i32 s16, 1
	s_cbranch_scc0 .LBB963_29
.LBB963_17:
	s_endpgm
.LBB963_18:
	v_cvt_f32_u32_e32 v12, s7
	v_add_f32_e32 v10, v10, v11
	s_waitcnt vmcnt(2)
	v_mov_b32_e32 v14, s13
	v_mov_b32_e32 v15, s12
	v_div_scale_f32 v11, s[38:39], v12, v12, v10
	v_rcp_f32_e32 v13, v11
	v_cndmask_b32_e64 v14, v14, v15, s[2:3]
	s_mov_b32 s2, 0x800000
	v_fma_f32 v15, -v11, v13, 1.0
	v_fmac_f32_e32 v13, v15, v13
	v_div_scale_f32 v15, vcc, v10, v12, v10
	v_mul_f32_e32 v16, v15, v13
	v_fma_f32 v17, -v11, v16, v15
	v_fmac_f32_e32 v16, v17, v13
	v_fma_f32 v11, -v11, v16, v15
	v_div_fmas_f32 v11, v11, v13, v16
	v_div_fixup_f32 v10, v11, v12, v10
	v_add_f32_e32 v10, v14, v10
	v_mul_f32_e32 v11, 0x4b800000, v10
	v_cmp_gt_f32_e32 vcc, s2, v10
	v_cndmask_b32_e32 v10, v10, v11, vcc
	v_rsq_f32_e32 v10, v10
	v_mul_f32_e32 v11, 0x45800000, v10
	v_cndmask_b32_e32 v10, v10, v11, vcc
	v_mov_b32_e32 v11, v10
	;;#ASMSTART
	v_pk_mul_f32 v[12:13], v[28:29], v[10:11]
	;;#ASMEND
	;;#ASMSTART
	v_pk_mul_f32 v[14:15], v[32:33], v[10:11]
	;;#ASMEND
	;; [unrolled: 3-line block ×3, first 2 shown]
	s_waitcnt vmcnt(1)
	v_cvt_f32_f16_sdwa v27, v6 dst_sel:DWORD dst_unused:UNUSED_PAD src0_sel:WORD_1
	v_cvt_f32_f16_e32 v26, v6
	v_cvt_f32_f16_sdwa v33, v7 dst_sel:DWORD dst_unused:UNUSED_PAD src0_sel:WORD_1
	v_cvt_f32_f16_e32 v32, v7
	;;#ASMSTART
	v_pk_mul_f32 v[30:31], v[30:31], v[10:11]
	;;#ASMEND
	;;#ASMSTART
	v_pk_mul_f32 v[22:23], v[22:23], v[10:11]
	;;#ASMEND
	;; [unrolled: 3-line block ×5, first 2 shown]
	v_pk_add_f32 v[10:11], v[26:27], 1.0 op_sel_hi:[1,0]
	;;#ASMSTART
	v_pk_mul_f32 v[28:29], v[12:13], v[10:11]
	;;#ASMEND
	v_cvt_f32_f16_sdwa v13, v8 dst_sel:DWORD dst_unused:UNUSED_PAD src0_sel:WORD_1
	v_cvt_f32_f16_e32 v12, v8
	v_cvt_f32_f16_sdwa v19, v9 dst_sel:DWORD dst_unused:UNUSED_PAD src0_sel:WORD_1
	v_cvt_f32_f16_e32 v18, v9
	v_pk_add_f32 v[10:11], v[32:33], 1.0 op_sel_hi:[1,0]
	;;#ASMSTART
	v_pk_mul_f32 v[32:33], v[14:15], v[10:11]
	;;#ASMEND
	s_waitcnt vmcnt(0)
	v_cvt_f32_f16_sdwa v11, v2 dst_sel:DWORD dst_unused:UNUSED_PAD src0_sel:WORD_1
	v_cvt_f32_f16_e32 v10, v2
	v_pk_add_f32 v[8:9], v[12:13], 1.0 op_sel_hi:[1,0]
	;;#ASMSTART
	v_pk_mul_f32 v[26:27], v[16:17], v[8:9]
	;;#ASMEND
	v_pk_add_f32 v[8:9], v[18:19], 1.0 op_sel_hi:[1,0]
	v_cvt_f32_f16_sdwa v13, v3 dst_sel:DWORD dst_unused:UNUSED_PAD src0_sel:WORD_1
	v_cvt_f32_f16_e32 v12, v3
	;;#ASMSTART
	v_pk_mul_f32 v[30:31], v[30:31], v[8:9]
	;;#ASMEND
	v_cvt_f32_f16_sdwa v9, v4 dst_sel:DWORD dst_unused:UNUSED_PAD src0_sel:WORD_1
	v_cvt_f32_f16_e32 v8, v4
	v_pk_add_f32 v[2:3], v[10:11], 1.0 op_sel_hi:[1,0]
	v_cvt_f32_f16_sdwa v11, v5 dst_sel:DWORD dst_unused:UNUSED_PAD src0_sel:WORD_1
	v_cvt_f32_f16_e32 v10, v5
	;;#ASMSTART
	v_pk_mul_f32 v[22:23], v[22:23], v[2:3]
	;;#ASMEND
	v_pk_add_f32 v[2:3], v[12:13], 1.0 op_sel_hi:[1,0]
	;;#ASMSTART
	v_pk_mul_f32 v[24:25], v[24:25], v[2:3]
	;;#ASMEND
	v_pk_add_f32 v[2:3], v[8:9], 1.0 op_sel_hi:[1,0]
	;; [unrolled: 4-line block ×3, first 2 shown]
	;;#ASMSTART
	v_pk_mul_f32 v[18:19], v[6:7], v[2:3]
	;;#ASMEND
	s_or_b64 exec, exec, s[28:29]
	s_mov_b64 s[2:3], -1
	s_and_b64 vcc, exec, s[22:23]
	s_cbranch_vccz .LBB963_15
.LBB963_19:
	s_and_saveexec_b64 s[2:3], s[0:1]
	s_cbranch_execz .LBB963_21
; %bb.20:
	s_mul_hi_i32 s23, s10, s6
	s_mul_i32 s22, s10, s6
	s_waitcnt vmcnt(0)
	v_cvt_f16_f32_e32 v2, v28
	v_cvt_f16_f32_e32 v3, v32
	;; [unrolled: 1-line block ×8, first 2 shown]
	s_lshl_b64 s[22:23], s[22:23], 1
	s_add_u32 s28, s36, s22
	s_addc_u32 s7, s37, s23
	s_and_b32 s29, s7, 0xffff
	s_mov_b32 s31, 0x20000
	v_pack_b32_f16 v5, v5, v6
	v_pack_b32_f16 v4, v4, v7
	;; [unrolled: 1-line block ×4, first 2 shown]
	v_lshlrev_b32_e32 v6, 5, v0
	buffer_store_dwordx4 v[2:5], v6, s[28:31], 0 offen
	v_cvt_f16_f32_e32 v7, v19
	v_cvt_f16_f32_e32 v2, v22
	;; [unrolled: 1-line block ×8, first 2 shown]
	v_pack_b32_f16 v5, v5, v7
	v_pack_b32_f16 v4, v4, v8
	;; [unrolled: 1-line block ×4, first 2 shown]
	;;#ASMSTART
	s_nop 0
	;;#ASMEND
	buffer_store_dwordx4 v[2:5], v6, s[28:31], 16 offen
	;;#ASMSTART
	s_nop 0
	;;#ASMEND
.LBB963_21:
	s_or_b64 exec, exec, s[2:3]
	s_cbranch_execnz .LBB963_16
.LBB963_22:
	s_waitcnt vmcnt(0)
	v_mov_b32_e32 v2, 0
	s_and_saveexec_b64 s[2:3], s[0:1]
	s_cbranch_execz .LBB963_24
; %bb.23:
	v_and_b32_e32 v2, 0x7fffffff, v28
	v_and_b32_e32 v3, 0x7fffffff, v29
	v_mov_b32_e32 v4, 0x2edbe6ff
	;;#ASMSTART
	v_max3_f32 v2, v4, v2, v3

	;;#ASMEND
	v_and_b32_e32 v3, 0x7fffffff, v32
	v_and_b32_e32 v4, 0x7fffffff, v33
	;;#ASMSTART
	v_max3_f32 v2, v2, v3, v4

	;;#ASMEND
	v_and_b32_e32 v3, 0x7fffffff, v26
	v_and_b32_e32 v4, 0x7fffffff, v27
	;; [unrolled: 6-line block ×7, first 2 shown]
	;;#ASMSTART
	v_max3_f32 v2, v2, v3, v4

	;;#ASMEND
.LBB963_24:
	s_or_b64 exec, exec, s[2:3]
	;;#ASMSTART
	v_max_f32 v3, v2, v2 quad_perm:[1,0,3,2] row_mask:0xf bank_mask:0xf bound_ctrl:1
	;;#ASMEND
	;;#ASMSTART
	v_max_f32 v2, v3, v3 quad_perm:[2,3,0,1] row_mask:0xf bank_mask:0xf bound_ctrl:1
	;;#ASMEND
	v_and_b32_e32 v3, 3, v0
	v_cmp_eq_u32_e32 vcc, 0, v3
	v_cmp_gt_i32_e64 s[2:3], s15, v1
	s_and_b64 s[22:23], vcc, s[2:3]
	s_and_saveexec_b64 s[2:3], s[22:23]
	s_cbranch_execz .LBB963_26
; %bb.25:
	s_load_dwordx2 s[22:23], s[4:5], 0x8
	v_mul_f32_e32 v2, 0x3e2aaaab, v2
	v_lshrrev_b32_e32 v3, 23, v2
	v_and_b32_e32 v4, 0x7f800000, v2
	v_and_b32_e32 v2, 0x7fffff, v2
	v_cmp_ne_u32_e32 vcc, 0, v2
	s_mul_i32 s12, s25, s6
	s_mov_b32 s7, 0x7f800000
	v_addc_co_u32_e32 v2, vcc, 0, v3, vcc
	s_mul_hi_i32 s11, s25, s6
	s_waitcnt lgkmcnt(0)
	s_add_u32 s22, s22, s12
	v_cmp_ne_u32_e32 vcc, s7, v4
	s_addc_u32 s23, s23, s11
	v_lshrrev_b32_e32 v5, 2, v0
	v_cndmask_b32_e32 v4, -1, v2, vcc
	v_pk_mov_b32 v[2:3], s[22:23], s[22:23] op_sel:[0,1]
	v_mad_i64_i32 v[2:3], s[22:23], s26, v5, v[2:3]
	global_store_byte v[2:3], v4, off
.LBB963_26:
	s_or_b64 exec, exec, s[2:3]
	s_and_saveexec_b64 s[2:3], s[0:1]
	s_cbranch_execz .LBB963_28
; %bb.27:
	s_load_dwordx2 s[0:1], s[4:5], 0x0
	s_mul_i32 s11, s24, s6
	s_mul_hi_i32 s7, s24, s6
	v_mov_b32_e32 v2, 0
	v_lshlrev_b32_e32 v4, 3, v0
	s_waitcnt lgkmcnt(0)
	s_add_u32 s24, s0, s11
	s_addc_u32 s0, s1, s7
	s_lshr_b32 s1, s15, 31
	s_add_i32 s1, s15, s1
	s_ashr_i32 s1, s1, 1
	s_add_i32 s1, s1, 3
	s_ashr_i32 s7, s1, 31
	s_lshr_b32 s7, s7, 30
	s_add_i32 s1, s1, s7
	s_and_b32 s26, s1, -4
	s_and_b32 s25, s0, 0xffff
	s_mov_b32 s27, 0x20000
	v_mov_b32_e32 v3, v2
	buffer_store_dwordx2 v[2:3], v4, s[24:27], 0 offen
	;;#ASMSTART
	s_nop 0
	;;#ASMEND
.LBB963_28:
	s_or_b64 exec, exec, s[2:3]
	s_cmp_lt_i32 s16, 1
	s_cbranch_scc1 .LBB963_17
.LBB963_29:
	s_load_dword s0, s[4:5], 0x94
	s_waitcnt lgkmcnt(0)
	s_cmp_lg_u32 s0, 1
	s_cbranch_scc1 .LBB963_17
; %bb.30:
	s_lshl_b32 s0, s16, 1
	s_add_i32 s0, s0, 2
	v_cmp_gt_u32_e32 vcc, s16, v1
	s_and_b32 s22, s0, -4
	v_mov_b32_e32 v18, 0
	v_lshlrev_b32_e32 v1, 5, v0
	s_waitcnt vmcnt(2)
	v_mov_b32_e32 v14, 0
	v_mov_b32_e32 v15, 0
	;; [unrolled: 1-line block ×8, first 2 shown]
	s_waitcnt vmcnt(1)
	v_mov_b32_e32 v6, 0
	v_mov_b32_e32 v7, 0
	v_mov_b32_e32 v8, 0
	v_mov_b32_e32 v9, 0
	s_waitcnt vmcnt(0)
	v_mov_b32_e32 v2, 0
	v_mov_b32_e32 v3, 0
	;; [unrolled: 1-line block ×4, first 2 shown]
	s_barrier
	s_and_saveexec_b64 s[0:1], vcc
	s_cbranch_execz .LBB963_32
; %bb.31:
	s_mul_hi_i32 s3, s18, s6
	s_mul_i32 s2, s18, s6
	s_and_b32 s21, s21, 0xffff
	s_lshl_b64 s[2:3], s[2:3], 1
	s_add_u32 s24, s34, s2
	s_mov_b32 s23, 0x20000
	s_addc_u32 s2, s35, s3
	s_and_b32 s25, s2, 0xffff
	s_mov_b32 s26, s22
	s_mov_b32 s27, s23
	buffer_load_dwordx4 v[14:17], v1, s[24:27], 0 offen
	buffer_load_dwordx4 v[10:13], v1, s[24:27], 16 offen
	;; [unrolled: 1-line block ×4, first 2 shown]
.LBB963_32:
	s_or_b64 exec, exec, s[0:1]
	v_mov_b32_e32 v19, 0
	v_mov_b32_e32 v32, 0
	;; [unrolled: 1-line block ×15, first 2 shown]
	s_and_saveexec_b64 s[0:1], vcc
	s_cbranch_execz .LBB963_34
; %bb.33:
	s_waitcnt vmcnt(3)
	v_cvt_f32_f16_sdwa v19, v14 dst_sel:DWORD dst_unused:UNUSED_PAD src0_sel:WORD_1
	v_cvt_f32_f16_e32 v18, v14
	v_cvt_f32_f16_sdwa v33, v15 dst_sel:DWORD dst_unused:UNUSED_PAD src0_sel:WORD_1
	v_cvt_f32_f16_e32 v32, v15
	;; [unrolled: 2-line block ×4, first 2 shown]
	s_waitcnt vmcnt(2)
	v_cvt_f32_f16_sdwa v27, v10 dst_sel:DWORD dst_unused:UNUSED_PAD src0_sel:WORD_1
	v_cvt_f32_f16_e32 v26, v10
	v_cvt_f32_f16_sdwa v25, v11 dst_sel:DWORD dst_unused:UNUSED_PAD src0_sel:WORD_1
	v_cvt_f32_f16_e32 v24, v11
	;; [unrolled: 2-line block ×4, first 2 shown]
.LBB963_34:
	s_or_b64 exec, exec, s[0:1]
	s_waitcnt vmcnt(2)
	v_mul_f32_e32 v10, v19, v19
	v_fmac_f32_e32 v10, v18, v18
	v_fmac_f32_e32 v10, v32, v32
	;; [unrolled: 1-line block ×15, first 2 shown]
	s_nop 1
	v_mov_b32_dpp v11, v10 quad_perm:[1,0,3,2] row_mask:0xf bank_mask:0xf
	v_add_f32_e32 v10, v10, v11
	s_nop 1
	v_mov_b32_dpp v11, v10 quad_perm:[2,3,0,1] row_mask:0xf bank_mask:0xf
	v_add_f32_e32 v10, v10, v11
	s_nop 1
	v_mov_b32_dpp v11, v10 row_half_mirror row_mask:0xf bank_mask:0xf
	v_add_f32_e32 v10, v10, v11
	s_nop 1
	v_mov_b32_dpp v11, v10 row_mirror row_mask:0xf bank_mask:0xf
	v_add_f32_e32 v10, v10, v11
	s_nop 1
	v_mov_b32_dpp v11, v10 row_bcast:15 row_mask:0xf bank_mask:0xf
	v_add_f32_e32 v10, v10, v11
	s_nop 1
	v_mov_b32_dpp v11, v10 row_bcast:31 row_mask:0xf bank_mask:0xf
	s_and_saveexec_b64 s[0:1], s[8:9]
	s_cbranch_execz .LBB963_36
; %bb.35:
	v_lshrrev_b32_e32 v0, 4, v0
	v_add_f32_e32 v10, v10, v11
	v_and_b32_e32 v0, 60, v0
	ds_write_b32 v0, v10
.LBB963_36:
	s_or_b64 exec, exec, s[0:1]
	s_waitcnt lgkmcnt(0)
	s_barrier
	ds_read_b32 v0, v34
	s_waitcnt lgkmcnt(0)
	s_nop 0
	v_mov_b32_dpp v10, v0 quad_perm:[1,0,3,2] row_mask:0xf bank_mask:0xf
	v_add_f32_e32 v0, v0, v10
	s_nop 1
	v_mov_b32_dpp v10, v0 quad_perm:[2,3,0,1] row_mask:0xf bank_mask:0xf
	v_add_f32_e32 v0, v0, v10
	s_nop 1
	v_mov_b32_dpp v10, v0 row_half_mirror row_mask:0xf bank_mask:0xf
	s_and_saveexec_b64 s[0:1], vcc
	s_cbranch_execz .LBB963_17
; %bb.37:
	v_cvt_f32_u32_e32 v11, s16
	v_add_f32_e32 v0, v0, v10
	s_mov_b32 s23, 0x20000
	v_div_scale_f32 v10, s[0:1], v11, v11, v0
	v_rcp_f32_e32 v12, v10
	v_div_scale_f32 v13, vcc, v0, v11, v0
	s_mov_b32 s0, 0x800000
	v_fma_f32 v14, -v10, v12, 1.0
	v_fmac_f32_e32 v12, v14, v12
	v_mul_f32_e32 v14, v13, v12
	v_fma_f32 v15, -v10, v14, v13
	v_fmac_f32_e32 v14, v15, v12
	v_fma_f32 v10, -v10, v14, v13
	v_div_fmas_f32 v10, v10, v12, v14
	v_div_fixup_f32 v0, v10, v11, v0
	v_add_f32_e32 v0, s13, v0
	v_mul_f32_e32 v10, 0x4b800000, v0
	v_cmp_gt_f32_e32 vcc, s0, v0
	v_cndmask_b32_e32 v0, v0, v10, vcc
	v_rsq_f32_e32 v0, v0
	s_mul_hi_i32 s1, s10, s6
	s_mul_i32 s0, s10, s6
	s_lshl_b64 s[0:1], s[0:1], 1
	v_mul_f32_e32 v10, 0x45800000, v0
	v_cndmask_b32_e32 v10, v0, v10, vcc
	v_mov_b32_e32 v11, v10
	;;#ASMSTART
	v_pk_mul_f32 v[12:13], v[18:19], v[10:11]
	;;#ASMEND
	;;#ASMSTART
	v_pk_mul_f32 v[14:15], v[32:33], v[10:11]
	;;#ASMEND
	;; [unrolled: 3-line block ×4, first 2 shown]
	s_waitcnt vmcnt(1)
	v_cvt_f32_f16_sdwa v29, v6 dst_sel:DWORD dst_unused:UNUSED_PAD src0_sel:WORD_1
	v_cvt_f32_f16_e32 v28, v6
	v_cvt_f32_f16_sdwa v31, v7 dst_sel:DWORD dst_unused:UNUSED_PAD src0_sel:WORD_1
	v_cvt_f32_f16_e32 v30, v7
	;;#ASMSTART
	v_pk_mul_f32 v[26:27], v[26:27], v[10:11]
	;;#ASMEND
	;;#ASMSTART
	v_pk_mul_f32 v[24:25], v[24:25], v[10:11]
	;;#ASMEND
	;; [unrolled: 3-line block ×4, first 2 shown]
	v_cvt_f32_f16_sdwa v21, v8 dst_sel:DWORD dst_unused:UNUSED_PAD src0_sel:WORD_1
	v_cvt_f32_f16_e32 v20, v8
	v_pk_add_f32 v[10:11], v[28:29], 1.0 op_sel_hi:[1,0]
	;;#ASMSTART
	v_pk_mul_f32 v[10:11], v[12:13], v[10:11]
	;;#ASMEND
	v_pk_add_f32 v[12:13], v[30:31], 1.0 op_sel_hi:[1,0]
	v_cvt_f32_f16_sdwa v29, v9 dst_sel:DWORD dst_unused:UNUSED_PAD src0_sel:WORD_1
	v_cvt_f32_f16_e32 v28, v9
	;;#ASMSTART
	v_pk_mul_f32 v[8:9], v[14:15], v[12:13]
	;;#ASMEND
	v_pk_add_f32 v[12:13], v[20:21], 1.0 op_sel_hi:[1,0]
	;;#ASMSTART
	v_pk_mul_f32 v[12:13], v[16:17], v[12:13]
	;;#ASMEND
	s_waitcnt vmcnt(0)
	v_cvt_f32_f16_sdwa v17, v2 dst_sel:DWORD dst_unused:UNUSED_PAD src0_sel:WORD_1
	v_cvt_f32_f16_e32 v16, v2
	v_cvt_f32_f16_sdwa v21, v3 dst_sel:DWORD dst_unused:UNUSED_PAD src0_sel:WORD_1
	v_cvt_f32_f16_e32 v20, v3
	v_pk_add_f32 v[14:15], v[28:29], 1.0 op_sel_hi:[1,0]
	;;#ASMSTART
	v_pk_mul_f32 v[2:3], v[18:19], v[14:15]
	;;#ASMEND
	v_cvt_f32_f16_sdwa v19, v4 dst_sel:DWORD dst_unused:UNUSED_PAD src0_sel:WORD_1
	v_cvt_f32_f16_e32 v18, v4
	v_pk_add_f32 v[14:15], v[16:17], 1.0 op_sel_hi:[1,0]
	v_pk_add_f32 v[16:17], v[20:21], 1.0 op_sel_hi:[1,0]
	v_cvt_f32_f16_sdwa v21, v5 dst_sel:DWORD dst_unused:UNUSED_PAD src0_sel:WORD_1
	v_cvt_f32_f16_e32 v20, v5
	v_pk_add_f32 v[4:5], v[18:19], 1.0 op_sel_hi:[1,0]
	;;#ASMSTART
	v_pk_mul_f32 v[14:15], v[26:27], v[14:15]
	;;#ASMEND
	;;#ASMSTART
	v_pk_mul_f32 v[16:17], v[24:25], v[16:17]
	;;#ASMEND
	;; [unrolled: 3-line block ×3, first 2 shown]
	v_pk_add_f32 v[4:5], v[20:21], 1.0 op_sel_hi:[1,0]
	;;#ASMSTART
	v_pk_mul_f32 v[6:7], v[6:7], v[4:5]
	;;#ASMEND
	v_cvt_f16_f32_e32 v0, v10
	v_cvt_f16_f32_e32 v4, v11
	;; [unrolled: 1-line block ×8, first 2 shown]
	s_add_u32 s20, s36, s0
	s_addc_u32 s0, s37, s1
	s_and_b32 s21, s0, 0xffff
	v_pack_b32_f16 v2, v0, v4
	v_pack_b32_f16 v3, v5, v8
	;; [unrolled: 1-line block ×4, first 2 shown]
	buffer_store_dwordx4 v[2:5], v1, s[20:23], 0 offen
	v_cvt_f16_f32_e32 v0, v14
	v_cvt_f16_f32_e32 v2, v15
	;; [unrolled: 1-line block ×8, first 2 shown]
	v_pack_b32_f16 v2, v0, v2
	v_pack_b32_f16 v3, v3, v4
	;; [unrolled: 1-line block ×4, first 2 shown]
	;;#ASMSTART
	s_nop 0
	;;#ASMEND
	buffer_store_dwordx4 v[2:5], v1, s[20:23], 16 offen
	;;#ASMSTART
	s_nop 0
	;;#ASMEND
	s_endpgm
	.section	.rodata,"a",@progbits
	.p2align	6, 0x0
	.amdhsa_kernel _ZN5aiter35fused_qk_rmsnorm_group_quant_kernelIDF16_N4opus5fp4_tELi512ELi16ELi4ELb1ELb0ELb1ELb0ELb0ELb0EEEvPT0_PvPT_S7_S7_PKS6_S9_S9_S9_S9_ffiiiiiiiiiiiii
		.amdhsa_group_segment_fixed_size 64
		.amdhsa_private_segment_fixed_size 0
		.amdhsa_kernarg_size 400
		.amdhsa_user_sgpr_count 6
		.amdhsa_user_sgpr_private_segment_buffer 1
		.amdhsa_user_sgpr_dispatch_ptr 0
		.amdhsa_user_sgpr_queue_ptr 0
		.amdhsa_user_sgpr_kernarg_segment_ptr 1
		.amdhsa_user_sgpr_dispatch_id 0
		.amdhsa_user_sgpr_flat_scratch_init 0
		.amdhsa_user_sgpr_kernarg_preload_length 0
		.amdhsa_user_sgpr_kernarg_preload_offset 0
		.amdhsa_user_sgpr_private_segment_size 0
		.amdhsa_uses_dynamic_stack 0
		.amdhsa_system_sgpr_private_segment_wavefront_offset 0
		.amdhsa_system_sgpr_workgroup_id_x 1
		.amdhsa_system_sgpr_workgroup_id_y 1
		.amdhsa_system_sgpr_workgroup_id_z 0
		.amdhsa_system_sgpr_workgroup_info 0
		.amdhsa_system_vgpr_workitem_id 0
		.amdhsa_next_free_vgpr 49
		.amdhsa_next_free_sgpr 40
		.amdhsa_accum_offset 52
		.amdhsa_reserve_vcc 1
		.amdhsa_reserve_flat_scratch 0
		.amdhsa_float_round_mode_32 0
		.amdhsa_float_round_mode_16_64 0
		.amdhsa_float_denorm_mode_32 3
		.amdhsa_float_denorm_mode_16_64 3
		.amdhsa_dx10_clamp 1
		.amdhsa_ieee_mode 1
		.amdhsa_fp16_overflow 0
		.amdhsa_tg_split 0
		.amdhsa_exception_fp_ieee_invalid_op 0
		.amdhsa_exception_fp_denorm_src 0
		.amdhsa_exception_fp_ieee_div_zero 0
		.amdhsa_exception_fp_ieee_overflow 0
		.amdhsa_exception_fp_ieee_underflow 0
		.amdhsa_exception_fp_ieee_inexact 0
		.amdhsa_exception_int_div_zero 0
	.end_amdhsa_kernel
	.section	.text._ZN5aiter35fused_qk_rmsnorm_group_quant_kernelIDF16_N4opus5fp4_tELi512ELi16ELi4ELb1ELb0ELb1ELb0ELb0ELb0EEEvPT0_PvPT_S7_S7_PKS6_S9_S9_S9_S9_ffiiiiiiiiiiiii,"axG",@progbits,_ZN5aiter35fused_qk_rmsnorm_group_quant_kernelIDF16_N4opus5fp4_tELi512ELi16ELi4ELb1ELb0ELb1ELb0ELb0ELb0EEEvPT0_PvPT_S7_S7_PKS6_S9_S9_S9_S9_ffiiiiiiiiiiiii,comdat
.Lfunc_end963:
	.size	_ZN5aiter35fused_qk_rmsnorm_group_quant_kernelIDF16_N4opus5fp4_tELi512ELi16ELi4ELb1ELb0ELb1ELb0ELb0ELb0EEEvPT0_PvPT_S7_S7_PKS6_S9_S9_S9_S9_ffiiiiiiiiiiiii, .Lfunc_end963-_ZN5aiter35fused_qk_rmsnorm_group_quant_kernelIDF16_N4opus5fp4_tELi512ELi16ELi4ELb1ELb0ELb1ELb0ELb0ELb0EEEvPT0_PvPT_S7_S7_PKS6_S9_S9_S9_S9_ffiiiiiiiiiiiii
                                        ; -- End function
	.section	.AMDGPU.csdata,"",@progbits
; Kernel info:
; codeLenInByte = 3912
; NumSgprs: 44
; NumVgprs: 49
; NumAgprs: 0
; TotalNumVgprs: 49
; ScratchSize: 0
; MemoryBound: 0
; FloatMode: 240
; IeeeMode: 1
; LDSByteSize: 64 bytes/workgroup (compile time only)
; SGPRBlocks: 5
; VGPRBlocks: 6
; NumSGPRsForWavesPerEU: 44
; NumVGPRsForWavesPerEU: 49
; AccumOffset: 52
; Occupancy: 8
; WaveLimiterHint : 0
; COMPUTE_PGM_RSRC2:SCRATCH_EN: 0
; COMPUTE_PGM_RSRC2:USER_SGPR: 6
; COMPUTE_PGM_RSRC2:TRAP_HANDLER: 0
; COMPUTE_PGM_RSRC2:TGID_X_EN: 1
; COMPUTE_PGM_RSRC2:TGID_Y_EN: 1
; COMPUTE_PGM_RSRC2:TGID_Z_EN: 0
; COMPUTE_PGM_RSRC2:TIDIG_COMP_CNT: 0
; COMPUTE_PGM_RSRC3_GFX90A:ACCUM_OFFSET: 12
; COMPUTE_PGM_RSRC3_GFX90A:TG_SPLIT: 0
	.section	.text._ZN5aiter35fused_qk_rmsnorm_group_quant_kernelItN4opus5fp4_tELi512ELi16ELi4ELb1ELb0ELb1ELb0ELb0ELb0EEEvPT0_PvPT_S7_S7_PKS6_S9_S9_S9_S9_ffiiiiiiiiiiiii,"axG",@progbits,_ZN5aiter35fused_qk_rmsnorm_group_quant_kernelItN4opus5fp4_tELi512ELi16ELi4ELb1ELb0ELb1ELb0ELb0ELb0EEEvPT0_PvPT_S7_S7_PKS6_S9_S9_S9_S9_ffiiiiiiiiiiiii,comdat
	.protected	_ZN5aiter35fused_qk_rmsnorm_group_quant_kernelItN4opus5fp4_tELi512ELi16ELi4ELb1ELb0ELb1ELb0ELb0ELb0EEEvPT0_PvPT_S7_S7_PKS6_S9_S9_S9_S9_ffiiiiiiiiiiiii ; -- Begin function _ZN5aiter35fused_qk_rmsnorm_group_quant_kernelItN4opus5fp4_tELi512ELi16ELi4ELb1ELb0ELb1ELb0ELb0ELb0EEEvPT0_PvPT_S7_S7_PKS6_S9_S9_S9_S9_ffiiiiiiiiiiiii
	.globl	_ZN5aiter35fused_qk_rmsnorm_group_quant_kernelItN4opus5fp4_tELi512ELi16ELi4ELb1ELb0ELb1ELb0ELb0ELb0EEEvPT0_PvPT_S7_S7_PKS6_S9_S9_S9_S9_ffiiiiiiiiiiiii
	.p2align	8
	.type	_ZN5aiter35fused_qk_rmsnorm_group_quant_kernelItN4opus5fp4_tELi512ELi16ELi4ELb1ELb0ELb1ELb0ELb0ELb0EEEvPT0_PvPT_S7_S7_PKS6_S9_S9_S9_S9_ffiiiiiiiiiiiii,@function
_ZN5aiter35fused_qk_rmsnorm_group_quant_kernelItN4opus5fp4_tELi512ELi16ELi4ELb1ELb0ELb1ELb0ELb0ELb0EEEvPT0_PvPT_S7_S7_PKS6_S9_S9_S9_S9_ffiiiiiiiiiiiii: ; @_ZN5aiter35fused_qk_rmsnorm_group_quant_kernelItN4opus5fp4_tELi512ELi16ELi4ELb1ELb0ELb1ELb0ELb0ELb0EEEvPT0_PvPT_S7_S7_PKS6_S9_S9_S9_S9_ffiiiiiiiiiiiii
; %bb.0:
	s_load_dwordx8 s[12:19], s[4:5], 0x50
	s_waitcnt lgkmcnt(0)
	s_cmp_ge_i32 s6, s14
	s_cbranch_scc1 .LBB964_17
; %bb.1:
	s_cmp_lg_u32 s7, 0
	s_cselect_b64 s[22:23], -1, 0
	s_cmp_eq_u32 s7, 0
	s_cselect_b64 s[2:3], -1, 0
	s_and_b64 s[0:1], s[2:3], exec
	s_load_dwordx2 s[20:21], s[4:5], 0x48
	s_load_dwordx2 s[34:35], s[4:5], 0x30
	s_load_dwordx4 s[24:27], s[4:5], 0x70
	s_cselect_b32 s7, s15, s16
	s_add_i32 s0, s7, 1
	s_lshr_b32 s1, s0, 31
	s_add_i32 s0, s0, s1
	s_lshl_b32 s0, s0, 1
	v_lshlrev_b32_e32 v1, 4, v0
	s_and_b32 s30, s0, -4
	v_cmp_gt_i32_e64 s[0:1], s7, v1
	v_mov_b32_e32 v62, 0
	v_mov_b32_e32 v63, 0
	v_mov_b32_e32 v64, 0
	v_mov_b32_e32 v65, 0
	v_mov_b32_e32 v58, 0
	v_mov_b32_e32 v59, 0
	v_mov_b32_e32 v60, 0
	v_mov_b32_e32 v61, 0
	v_mov_b32_e32 v66, 0
	v_mov_b32_e32 v67, 0
	v_mov_b32_e32 v68, 0
	v_mov_b32_e32 v69, 0
	v_mov_b32_e32 v70, 0
	v_mov_b32_e32 v71, 0
	v_mov_b32_e32 v72, 0
	v_mov_b32_e32 v73, 0
	s_and_saveexec_b64 s[8:9], s[0:1]
	s_cbranch_execz .LBB964_3
; %bb.2:
	s_load_dwordx2 s[10:11], s[4:5], 0x28
	s_load_dwordx2 s[28:29], s[4:5], 0x40
	s_and_b64 s[36:37], s[2:3], exec
	s_cselect_b32 s14, s17, s18
	s_mov_b32 s31, 0x20000
	s_waitcnt lgkmcnt(0)
	s_cselect_b32 s17, s11, s35
	s_cselect_b32 s27, s10, s34
	s_mul_hi_i32 s11, s14, s6
	s_mul_i32 s10, s14, s6
	s_lshl_b64 s[10:11], s[10:11], 1
	s_add_u32 s36, s27, s10
	s_addc_u32 s14, s17, s11
	s_and_b64 s[10:11], s[2:3], exec
	s_cselect_b32 s28, s28, s20
	s_cselect_b32 s10, s29, s21
	s_and_b32 s37, s14, 0xffff
	s_mov_b32 s38, s30
	s_mov_b32 s39, s31
	v_lshlrev_b32_e32 v2, 5, v0
	s_and_b32 s29, s10, 0xffff
	buffer_load_dwordx4 v[66:69], v2, s[36:39], 0 offen
	buffer_load_dwordx4 v[70:73], v2, s[36:39], 16 offen
	;; [unrolled: 1-line block ×4, first 2 shown]
.LBB964_3:
	s_or_b64 exec, exec, s[8:9]
	s_load_dwordx2 s[10:11], s[4:5], 0x80
	s_and_b64 vcc, exec, s[22:23]
	s_cbranch_vccz .LBB964_7
; %bb.4:
	v_mov_b32_e32 v75, 0
	v_mov_b32_e32 v74, 0
	v_mov_b32_e32 v21, 0
	v_mov_b32_e32 v20, 0
	v_mov_b32_e32 v25, 0
	v_mov_b32_e32 v24, 0
	v_mov_b32_e32 v51, 0
	v_mov_b32_e32 v50, 0
	v_mov_b32_e32 v31, 0
	v_mov_b32_e32 v30, 0
	v_mov_b32_e32 v41, 0
	v_mov_b32_e32 v40, 0
	v_mov_b32_e32 v7, 0
	v_mov_b32_e32 v6, 0
	v_mov_b32_e32 v3, 0
	v_mov_b32_e32 v2, 0
	s_and_saveexec_b64 s[8:9], s[0:1]
	s_cbranch_execz .LBB964_6
; %bb.5:
	s_waitcnt vmcnt(3)
	v_cvt_f32_u32_sdwa v2, v66 dst_sel:DWORD dst_unused:UNUSED_PAD src0_sel:WORD_0
	v_cvt_f32_u32_sdwa v3, v66 dst_sel:DWORD dst_unused:UNUSED_PAD src0_sel:WORD_1
	v_cvt_f32_u32_sdwa v6, v67 dst_sel:DWORD dst_unused:UNUSED_PAD src0_sel:WORD_0
	v_cvt_f32_u32_sdwa v7, v67 dst_sel:DWORD dst_unused:UNUSED_PAD src0_sel:WORD_1
	;; [unrolled: 2-line block ×4, first 2 shown]
	s_waitcnt vmcnt(2)
	v_cvt_f32_u32_sdwa v50, v70 dst_sel:DWORD dst_unused:UNUSED_PAD src0_sel:WORD_0
	v_cvt_f32_u32_sdwa v51, v70 dst_sel:DWORD dst_unused:UNUSED_PAD src0_sel:WORD_1
	v_cvt_f32_u32_sdwa v24, v71 dst_sel:DWORD dst_unused:UNUSED_PAD src0_sel:WORD_0
	v_cvt_f32_u32_sdwa v25, v71 dst_sel:DWORD dst_unused:UNUSED_PAD src0_sel:WORD_1
	;; [unrolled: 2-line block ×4, first 2 shown]
.LBB964_6:
	s_or_b64 exec, exec, s[8:9]
	s_cbranch_execz .LBB964_8
	s_branch .LBB964_11
.LBB964_7:
                                        ; implicit-def: $vgpr2_vgpr3_vgpr4_vgpr5_vgpr6_vgpr7_vgpr8_vgpr9_vgpr10_vgpr11_vgpr12_vgpr13_vgpr14_vgpr15_vgpr16_vgpr17
                                        ; implicit-def: $vgpr36_vgpr37_vgpr38_vgpr39_vgpr40_vgpr41_vgpr42_vgpr43_vgpr44_vgpr45_vgpr46_vgpr47_vgpr48_vgpr49_vgpr50_vgpr51
                                        ; implicit-def: $vgpr4_vgpr5_vgpr6_vgpr7_vgpr8_vgpr9_vgpr10_vgpr11_vgpr12_vgpr13_vgpr14_vgpr15_vgpr16_vgpr17_vgpr18_vgpr19
                                        ; implicit-def: $vgpr24_vgpr25_vgpr26_vgpr27_vgpr28_vgpr29_vgpr30_vgpr31_vgpr32_vgpr33_vgpr34_vgpr35_vgpr36_vgpr37_vgpr38_vgpr39
                                        ; implicit-def: $vgpr75
                                        ; implicit-def: $vgpr42_vgpr43_vgpr44_vgpr45_vgpr46_vgpr47_vgpr48_vgpr49_vgpr50_vgpr51_vgpr52_vgpr53_vgpr54_vgpr55_vgpr56_vgpr57
                                        ; implicit-def: $vgpr14_vgpr15_vgpr16_vgpr17_vgpr18_vgpr19_vgpr20_vgpr21_vgpr22_vgpr23_vgpr24_vgpr25_vgpr26_vgpr27_vgpr28_vgpr29
                                        ; implicit-def: $vgpr8_vgpr9_vgpr10_vgpr11_vgpr12_vgpr13_vgpr14_vgpr15_vgpr16_vgpr17_vgpr18_vgpr19_vgpr20_vgpr21_vgpr22_vgpr23
.LBB964_8:
	v_mov_b32_e32 v75, 0
	v_mov_b32_e32 v74, 0
	;; [unrolled: 1-line block ×16, first 2 shown]
	s_and_saveexec_b64 s[8:9], s[0:1]
	s_cbranch_execz .LBB964_10
; %bb.9:
	s_load_dwordx2 s[28:29], s[4:5], 0x38
	s_mul_hi_i32 s37, s19, s6
	s_mul_i32 s36, s19, s6
	s_lshl_b64 s[36:37], s[36:37], 1
	s_mov_b32 s31, 0x20000
	s_waitcnt lgkmcnt(0)
	s_add_u32 s28, s28, s36
	s_addc_u32 s14, s29, s37
	s_and_b32 s29, s14, 0xffff
	v_lshlrev_b32_e32 v38, 5, v0
	buffer_load_dwordx4 v[6:9], v38, s[28:31], 16 offen
	buffer_load_dwordx4 v[10:13], v38, s[28:31], 0 offen
	s_load_dwordx2 s[28:29], s[4:5], 0x20
	s_waitcnt vmcnt(5)
	v_cvt_f32_u32_sdwa v3, v66 dst_sel:DWORD dst_unused:UNUSED_PAD src0_sel:WORD_1
	v_cvt_f32_u32_sdwa v2, v66 dst_sel:DWORD dst_unused:UNUSED_PAD src0_sel:WORD_0
	v_cvt_f32_u32_sdwa v21, v67 dst_sel:DWORD dst_unused:UNUSED_PAD src0_sel:WORD_1
	v_cvt_f32_u32_sdwa v20, v67 dst_sel:DWORD dst_unused:UNUSED_PAD src0_sel:WORD_0
	v_cvt_f32_u32_sdwa v23, v68 dst_sel:DWORD dst_unused:UNUSED_PAD src0_sel:WORD_1
	v_cvt_f32_u32_sdwa v22, v68 dst_sel:DWORD dst_unused:UNUSED_PAD src0_sel:WORD_0
	v_cvt_f32_u32_sdwa v25, v69 dst_sel:DWORD dst_unused:UNUSED_PAD src0_sel:WORD_1
	v_cvt_f32_u32_sdwa v24, v69 dst_sel:DWORD dst_unused:UNUSED_PAD src0_sel:WORD_0
	s_waitcnt vmcnt(4)
	v_cvt_f32_u32_sdwa v5, v70 dst_sel:DWORD dst_unused:UNUSED_PAD src0_sel:WORD_1
	v_cvt_f32_u32_sdwa v4, v70 dst_sel:DWORD dst_unused:UNUSED_PAD src0_sel:WORD_0
	v_cvt_f32_u32_sdwa v15, v71 dst_sel:DWORD dst_unused:UNUSED_PAD src0_sel:WORD_1
	v_cvt_f32_u32_sdwa v14, v71 dst_sel:DWORD dst_unused:UNUSED_PAD src0_sel:WORD_0
	;; [unrolled: 2-line block ×3, first 2 shown]
	v_cvt_f32_u32_sdwa v18, v73 dst_sel:DWORD dst_unused:UNUSED_PAD src0_sel:WORD_0
	v_cvt_f32_u32_sdwa v19, v73 dst_sel:DWORD dst_unused:UNUSED_PAD src0_sel:WORD_1
	s_mul_hi_i32 s37, s11, s6
	s_mul_i32 s36, s11, s6
	s_lshl_b64 s[36:37], s[36:37], 1
	s_waitcnt lgkmcnt(0)
	s_add_u32 s28, s28, s36
	s_mov_b32 s11, 0x7060302
	s_addc_u32 s14, s29, s37
	s_and_b32 s29, s14, 0xffff
	s_waitcnt vmcnt(1)
	v_cvt_f32_u32_sdwa v27, v6 dst_sel:DWORD dst_unused:UNUSED_PAD src0_sel:WORD_1
	v_cvt_f32_u32_sdwa v26, v6 dst_sel:DWORD dst_unused:UNUSED_PAD src0_sel:WORD_0
	v_cvt_f32_u32_sdwa v29, v7 dst_sel:DWORD dst_unused:UNUSED_PAD src0_sel:WORD_1
	v_cvt_f32_u32_sdwa v28, v7 dst_sel:DWORD dst_unused:UNUSED_PAD src0_sel:WORD_0
	;; [unrolled: 2-line block ×3, first 2 shown]
	v_cvt_f32_u32_sdwa v34, v9 dst_sel:DWORD dst_unused:UNUSED_PAD src0_sel:WORD_0
	v_cvt_f32_u32_sdwa v35, v9 dst_sel:DWORD dst_unused:UNUSED_PAD src0_sel:WORD_1
	s_waitcnt vmcnt(0)
	v_cvt_f32_u32_sdwa v37, v10 dst_sel:DWORD dst_unused:UNUSED_PAD src0_sel:WORD_1
	v_cvt_f32_u32_sdwa v36, v10 dst_sel:DWORD dst_unused:UNUSED_PAD src0_sel:WORD_0
	v_cvt_f32_u32_sdwa v7, v12 dst_sel:DWORD dst_unused:UNUSED_PAD src0_sel:WORD_1
	v_cvt_f32_u32_sdwa v6, v12 dst_sel:DWORD dst_unused:UNUSED_PAD src0_sel:WORD_0
	v_cvt_f32_u32_sdwa v9, v13 dst_sel:DWORD dst_unused:UNUSED_PAD src0_sel:WORD_1
	v_cvt_f32_u32_sdwa v8, v13 dst_sel:DWORD dst_unused:UNUSED_PAD src0_sel:WORD_0
	v_cvt_f32_u32_sdwa v13, v11 dst_sel:DWORD dst_unused:UNUSED_PAD src0_sel:WORD_1
	v_cvt_f32_u32_sdwa v12, v11 dst_sel:DWORD dst_unused:UNUSED_PAD src0_sel:WORD_0
	v_pk_add_f32 v[40:41], v[22:23], v[6:7]
	v_pk_add_f32 v[30:31], v[24:25], v[8:9]
	;; [unrolled: 1-line block ×4, first 2 shown]
	v_perm_b32 v11, v31, v30, s11
	v_perm_b32 v10, v41, v40, s11
	;; [unrolled: 1-line block ×4, first 2 shown]
	v_pk_add_f32 v[74:75], v[18:19], v[34:35]
	v_pk_add_f32 v[20:21], v[16:17], v[32:33]
	;; [unrolled: 1-line block ×4, first 2 shown]
	buffer_store_dwordx4 v[8:11], v38, s[28:31], 0 offen
	;;#ASMSTART
	s_nop 0
	;;#ASMEND
	s_nop 0
	v_perm_b32 v11, v75, v74, s11
	v_perm_b32 v10, v21, v20, s11
	;; [unrolled: 1-line block ×4, first 2 shown]
	buffer_store_dwordx4 v[8:11], v38, s[28:31], 16 offen
	;;#ASMSTART
	s_nop 0
	;;#ASMEND
.LBB964_10:
	s_or_b64 exec, exec, s[8:9]
.LBB964_11:
	v_mul_f32_e32 v4, v3, v3
	v_fmac_f32_e32 v4, v2, v2
	v_fmac_f32_e32 v4, v6, v6
	v_fmac_f32_e32 v4, v7, v7
	v_fmac_f32_e32 v4, v40, v40
	v_fmac_f32_e32 v4, v41, v41
	v_fmac_f32_e32 v4, v30, v30
	v_fmac_f32_e32 v4, v31, v31
	v_fmac_f32_e32 v4, v50, v50
	v_fmac_f32_e32 v4, v51, v51
	v_fmac_f32_e32 v4, v24, v24
	v_fmac_f32_e32 v4, v25, v25
	v_fmac_f32_e32 v4, v20, v20
	v_fmac_f32_e32 v4, v21, v21
	v_fmac_f32_e32 v4, v74, v74
	v_fmac_f32_e32 v4, v75, v75
	s_nop 1
	v_mov_b32_dpp v5, v4 quad_perm:[1,0,3,2] row_mask:0xf bank_mask:0xf
	v_add_f32_e32 v4, v4, v5
	s_nop 1
	v_mov_b32_dpp v5, v4 quad_perm:[2,3,0,1] row_mask:0xf bank_mask:0xf
	v_add_f32_e32 v4, v4, v5
	s_nop 1
	v_mov_b32_dpp v5, v4 row_half_mirror row_mask:0xf bank_mask:0xf
	v_add_f32_e32 v4, v4, v5
	s_nop 1
	v_mov_b32_dpp v5, v4 row_mirror row_mask:0xf bank_mask:0xf
	v_add_f32_e32 v4, v4, v5
	s_nop 1
	v_mov_b32_dpp v5, v4 row_bcast:15 row_mask:0xf bank_mask:0xf
	v_add_f32_e32 v4, v4, v5
	v_and_b32_e32 v5, 63, v0
	v_cmp_eq_u32_e64 s[8:9], 63, v5
	s_nop 0
	v_mov_b32_dpp v5, v4 row_bcast:31 row_mask:0xf bank_mask:0xf
	s_and_saveexec_b64 s[28:29], s[8:9]
	s_cbranch_execz .LBB964_13
; %bb.12:
	v_add_f32_e32 v4, v4, v5
	v_lshrrev_b32_e32 v5, 4, v0
	v_and_b32_e32 v5, 60, v5
	ds_write_b32 v5, v4 offset:32
.LBB964_13:
	s_or_b64 exec, exec, s[28:29]
	v_and_b32_e32 v4, 7, v0
	v_lshlrev_b32_e32 v34, 2, v4
	s_waitcnt lgkmcnt(0)
	s_barrier
	ds_read_b32 v4, v34 offset:32
	s_load_dwordx2 s[36:37], s[4:5], 0x18
	s_waitcnt lgkmcnt(0)
	v_mov_b32_dpp v5, v4 quad_perm:[1,0,3,2] row_mask:0xf bank_mask:0xf
	v_add_f32_e32 v4, v4, v5
	s_nop 1
	v_mov_b32_dpp v5, v4 quad_perm:[2,3,0,1] row_mask:0xf bank_mask:0xf
	v_add_f32_e32 v4, v4, v5
	s_nop 1
	v_mov_b32_dpp v5, v4 row_half_mirror row_mask:0xf bank_mask:0xf
	s_and_saveexec_b64 s[28:29], s[0:1]
	s_cbranch_execnz .LBB964_18
; %bb.14:
	s_or_b64 exec, exec, s[28:29]
	s_mov_b64 s[2:3], -1
	s_and_b64 vcc, exec, s[22:23]
	s_cbranch_vccnz .LBB964_19
.LBB964_15:
	s_andn2_b64 vcc, exec, s[2:3]
	s_cbranch_vccz .LBB964_22
.LBB964_16:
	s_cmp_lt_i32 s16, 1
	s_cbranch_scc0 .LBB964_29
.LBB964_17:
	s_endpgm
.LBB964_18:
	v_add_f32_e32 v4, v4, v5
	v_cvt_f32_u32_e32 v5, s7
	s_waitcnt vmcnt(1)
	v_cvt_f32_u32_sdwa v15, v62 dst_sel:DWORD dst_unused:UNUSED_PAD src0_sel:WORD_1
	v_cvt_f32_u32_sdwa v14, v62 dst_sel:DWORD dst_unused:UNUSED_PAD src0_sel:WORD_0
	v_cvt_f32_u32_sdwa v23, v65 dst_sel:DWORD dst_unused:UNUSED_PAD src0_sel:WORD_1
	v_div_scale_f32 v8, s[38:39], v5, v5, v4
	v_rcp_f32_e32 v9, v8
	v_pk_add_f32 v[14:15], v[14:15], 1.0 op_sel_hi:[1,0]
	v_cvt_f32_u32_sdwa v22, v65 dst_sel:DWORD dst_unused:UNUSED_PAD src0_sel:WORD_0
	s_waitcnt vmcnt(0)
	v_cvt_f32_u32_sdwa v27, v60 dst_sel:DWORD dst_unused:UNUSED_PAD src0_sel:WORD_1
	v_fma_f32 v10, -v8, v9, 1.0
	v_fmac_f32_e32 v9, v10, v9
	v_div_scale_f32 v10, vcc, v4, v5, v4
	v_mul_f32_e32 v11, v10, v9
	v_fma_f32 v12, -v8, v11, v10
	v_fmac_f32_e32 v11, v12, v9
	v_fma_f32 v8, -v8, v11, v10
	v_div_fmas_f32 v8, v8, v9, v11
	v_div_fixup_f32 v4, v8, v5, v4
	v_mov_b32_e32 v5, s13
	v_mov_b32_e32 v8, s12
	v_cndmask_b32_e64 v5, v5, v8, s[2:3]
	v_add_f32_e32 v4, v5, v4
	s_mov_b32 s2, 0x800000
	v_mul_f32_e32 v5, 0x4b800000, v4
	v_cmp_gt_f32_e32 vcc, s2, v4
	v_cndmask_b32_e32 v4, v4, v5, vcc
	v_rsq_f32_e32 v4, v4
	v_cvt_f32_u32_sdwa v26, v60 dst_sel:DWORD dst_unused:UNUSED_PAD src0_sel:WORD_0
	v_cvt_f32_u32_sdwa v29, v61 dst_sel:DWORD dst_unused:UNUSED_PAD src0_sel:WORD_1
	v_cvt_f32_u32_sdwa v28, v61 dst_sel:DWORD dst_unused:UNUSED_PAD src0_sel:WORD_0
	v_mul_f32_e32 v5, 0x45800000, v4
	v_cndmask_b32_e32 v4, v4, v5, vcc
	v_mov_b32_e32 v5, v4
	;;#ASMSTART
	v_pk_mul_f32 v[2:3], v[2:3], v[4:5]
	;;#ASMEND
	;;#ASMSTART
	v_pk_mul_f32 v[6:7], v[6:7], v[4:5]
	;;#ASMEND
	;; [unrolled: 3-line block ×9, first 2 shown]
	v_cvt_f32_u32_sdwa v15, v63 dst_sel:DWORD dst_unused:UNUSED_PAD src0_sel:WORD_1
	v_cvt_f32_u32_sdwa v14, v63 dst_sel:DWORD dst_unused:UNUSED_PAD src0_sel:WORD_0
	v_cvt_f32_u32_sdwa v21, v64 dst_sel:DWORD dst_unused:UNUSED_PAD src0_sel:WORD_1
	v_cvt_f32_u32_sdwa v20, v64 dst_sel:DWORD dst_unused:UNUSED_PAD src0_sel:WORD_0
	v_cvt_f32_u32_sdwa v25, v59 dst_sel:DWORD dst_unused:UNUSED_PAD src0_sel:WORD_1
	v_pk_add_f32 v[14:15], v[14:15], 1.0 op_sel_hi:[1,0]
	v_cvt_f32_u32_sdwa v24, v59 dst_sel:DWORD dst_unused:UNUSED_PAD src0_sel:WORD_0
	;;#ASMSTART
	v_pk_mul_f32 v[6:7], v[6:7], v[14:15]
	;;#ASMEND
	v_pk_add_f32 v[14:15], v[20:21], 1.0 op_sel_hi:[1,0]
	v_pk_add_f32 v[20:21], v[22:23], 1.0 op_sel_hi:[1,0]
	v_cvt_f32_u32_sdwa v23, v58 dst_sel:DWORD dst_unused:UNUSED_PAD src0_sel:WORD_1
	v_cvt_f32_u32_sdwa v22, v58 dst_sel:DWORD dst_unused:UNUSED_PAD src0_sel:WORD_0
	v_pk_add_f32 v[24:25], v[24:25], 1.0 op_sel_hi:[1,0]
	v_pk_add_f32 v[26:27], v[26:27], 1.0 op_sel_hi:[1,0]
	;; [unrolled: 1-line block ×4, first 2 shown]
	;;#ASMSTART
	v_pk_mul_f32 v[40:41], v[8:9], v[14:15]
	;;#ASMEND
	;;#ASMSTART
	v_pk_mul_f32 v[30:31], v[10:11], v[20:21]
	;;#ASMEND
	;; [unrolled: 3-line block ×6, first 2 shown]
	s_or_b64 exec, exec, s[28:29]
	s_mov_b64 s[2:3], -1
	s_and_b64 vcc, exec, s[22:23]
	s_cbranch_vccz .LBB964_15
.LBB964_19:
	s_and_saveexec_b64 s[2:3], s[0:1]
	s_cbranch_execz .LBB964_21
; %bb.20:
	s_mul_hi_i32 s23, s10, s6
	s_mul_i32 s22, s10, s6
	s_lshl_b64 s[22:23], s[22:23], 1
	s_add_u32 s28, s36, s22
	s_addc_u32 s7, s37, s23
	s_and_b32 s29, s7, 0xffff
	s_mov_b32 s7, 0x7060302
	s_mov_b32 s31, 0x20000
	v_perm_b32 v11, v31, v30, s7
	v_perm_b32 v10, v41, v40, s7
	;; [unrolled: 1-line block ×4, first 2 shown]
	v_lshlrev_b32_e32 v4, 5, v0
	buffer_store_dwordx4 v[8:11], v4, s[28:31], 0 offen
	;;#ASMSTART
	s_nop 0
	;;#ASMEND
	s_nop 0
	v_perm_b32 v11, v75, v74, s7
	v_perm_b32 v10, v21, v20, s7
	;; [unrolled: 1-line block ×4, first 2 shown]
	buffer_store_dwordx4 v[8:11], v4, s[28:31], 16 offen
	;;#ASMSTART
	s_nop 0
	;;#ASMEND
.LBB964_21:
	s_or_b64 exec, exec, s[2:3]
	s_cbranch_execnz .LBB964_16
.LBB964_22:
	v_mov_b32_e32 v4, 0
	s_and_saveexec_b64 s[2:3], s[0:1]
	s_cbranch_execz .LBB964_24
; %bb.23:
	v_and_b32_e32 v2, 0x7fffffff, v2
	v_and_b32_e32 v3, 0x7fffffff, v3
	v_mov_b32_e32 v10, 0x2edbe6ff
	;;#ASMSTART
	v_max3_f32 v2, v10, v2, v3

	;;#ASMEND
	v_and_b32_e32 v4, 0x7fffffff, v6
	v_and_b32_e32 v5, 0x7fffffff, v7
	;;#ASMSTART
	v_max3_f32 v2, v2, v4, v5

	;;#ASMEND
	v_and_b32_e32 v6, 0x7fffffff, v40
	v_and_b32_e32 v7, 0x7fffffff, v41
	;; [unrolled: 6-line block ×7, first 2 shown]
	;;#ASMSTART
	v_max3_f32 v4, v2, v3, v4

	;;#ASMEND
.LBB964_24:
	s_or_b64 exec, exec, s[2:3]
	;;#ASMSTART
	v_max_f32 v3, v4, v4 quad_perm:[1,0,3,2] row_mask:0xf bank_mask:0xf bound_ctrl:1
	;;#ASMEND
	;;#ASMSTART
	v_max_f32 v2, v3, v3 quad_perm:[2,3,0,1] row_mask:0xf bank_mask:0xf bound_ctrl:1
	;;#ASMEND
	v_and_b32_e32 v3, 3, v0
	v_cmp_eq_u32_e32 vcc, 0, v3
	v_cmp_gt_i32_e64 s[2:3], s15, v1
	s_and_b64 s[22:23], vcc, s[2:3]
	s_and_saveexec_b64 s[2:3], s[22:23]
	s_cbranch_execz .LBB964_26
; %bb.25:
	s_load_dwordx2 s[22:23], s[4:5], 0x8
	v_mul_f32_e32 v2, 0x3e2aaaab, v2
	v_lshrrev_b32_e32 v3, 23, v2
	v_and_b32_e32 v4, 0x7f800000, v2
	v_and_b32_e32 v2, 0x7fffff, v2
	v_cmp_ne_u32_e32 vcc, 0, v2
	s_mul_i32 s12, s25, s6
	s_mov_b32 s7, 0x7f800000
	v_addc_co_u32_e32 v2, vcc, 0, v3, vcc
	s_mul_hi_i32 s11, s25, s6
	s_waitcnt lgkmcnt(0)
	s_add_u32 s22, s22, s12
	v_cmp_ne_u32_e32 vcc, s7, v4
	s_addc_u32 s23, s23, s11
	v_lshrrev_b32_e32 v5, 2, v0
	v_cndmask_b32_e32 v4, -1, v2, vcc
	v_pk_mov_b32 v[2:3], s[22:23], s[22:23] op_sel:[0,1]
	v_mad_i64_i32 v[2:3], s[22:23], s26, v5, v[2:3]
	global_store_byte v[2:3], v4, off
.LBB964_26:
	s_or_b64 exec, exec, s[2:3]
	s_and_saveexec_b64 s[2:3], s[0:1]
	s_cbranch_execz .LBB964_28
; %bb.27:
	s_load_dwordx2 s[0:1], s[4:5], 0x0
	s_mul_i32 s11, s24, s6
	s_mul_hi_i32 s7, s24, s6
	v_mov_b32_e32 v2, 0
	v_lshlrev_b32_e32 v4, 3, v0
	s_waitcnt lgkmcnt(0)
	s_add_u32 s24, s0, s11
	s_addc_u32 s0, s1, s7
	s_lshr_b32 s1, s15, 31
	s_add_i32 s1, s15, s1
	s_ashr_i32 s1, s1, 1
	s_add_i32 s1, s1, 3
	s_ashr_i32 s7, s1, 31
	s_lshr_b32 s7, s7, 30
	s_add_i32 s1, s1, s7
	s_and_b32 s26, s1, -4
	s_and_b32 s25, s0, 0xffff
	s_mov_b32 s27, 0x20000
	v_mov_b32_e32 v3, v2
	buffer_store_dwordx2 v[2:3], v4, s[24:27], 0 offen
	;;#ASMSTART
	s_nop 0
	;;#ASMEND
.LBB964_28:
	s_or_b64 exec, exec, s[2:3]
	s_cmp_lt_i32 s16, 1
	s_cbranch_scc1 .LBB964_17
.LBB964_29:
	s_load_dword s0, s[4:5], 0x94
	s_waitcnt lgkmcnt(0)
	s_cmp_lg_u32 s0, 1
	s_cbranch_scc1 .LBB964_17
; %bb.30:
	s_lshl_b32 s0, s16, 1
	s_add_i32 s0, s0, 2
	v_cmp_gt_u32_e32 vcc, s16, v1
	s_and_b32 s22, s0, -4
	v_mov_b32_e32 v18, 0
	v_lshlrev_b32_e32 v1, 5, v0
	v_mov_b32_e32 v14, 0
	v_mov_b32_e32 v15, 0
	;; [unrolled: 1-line block ×16, first 2 shown]
	s_barrier
	s_and_saveexec_b64 s[0:1], vcc
	s_cbranch_execz .LBB964_32
; %bb.31:
	s_mul_hi_i32 s3, s18, s6
	s_mul_i32 s2, s18, s6
	s_and_b32 s21, s21, 0xffff
	s_lshl_b64 s[2:3], s[2:3], 1
	s_add_u32 s24, s34, s2
	s_mov_b32 s23, 0x20000
	s_addc_u32 s2, s35, s3
	s_and_b32 s25, s2, 0xffff
	s_mov_b32 s26, s22
	s_mov_b32 s27, s23
	buffer_load_dwordx4 v[14:17], v1, s[24:27], 0 offen
	buffer_load_dwordx4 v[10:13], v1, s[24:27], 16 offen
	;; [unrolled: 1-line block ×4, first 2 shown]
.LBB964_32:
	s_or_b64 exec, exec, s[0:1]
	v_mov_b32_e32 v19, 0
	v_mov_b32_e32 v32, 0
	;; [unrolled: 1-line block ×15, first 2 shown]
	s_and_saveexec_b64 s[0:1], vcc
	s_cbranch_execz .LBB964_34
; %bb.33:
	s_waitcnt vmcnt(3)
	v_cvt_f32_u32_sdwa v18, v14 dst_sel:DWORD dst_unused:UNUSED_PAD src0_sel:WORD_0
	v_cvt_f32_u32_sdwa v19, v14 dst_sel:DWORD dst_unused:UNUSED_PAD src0_sel:WORD_1
	v_cvt_f32_u32_sdwa v32, v15 dst_sel:DWORD dst_unused:UNUSED_PAD src0_sel:WORD_0
	v_cvt_f32_u32_sdwa v33, v15 dst_sel:DWORD dst_unused:UNUSED_PAD src0_sel:WORD_1
	;; [unrolled: 2-line block ×4, first 2 shown]
	s_waitcnt vmcnt(2)
	v_cvt_f32_u32_sdwa v26, v10 dst_sel:DWORD dst_unused:UNUSED_PAD src0_sel:WORD_0
	v_cvt_f32_u32_sdwa v27, v10 dst_sel:DWORD dst_unused:UNUSED_PAD src0_sel:WORD_1
	v_cvt_f32_u32_sdwa v24, v11 dst_sel:DWORD dst_unused:UNUSED_PAD src0_sel:WORD_0
	v_cvt_f32_u32_sdwa v25, v11 dst_sel:DWORD dst_unused:UNUSED_PAD src0_sel:WORD_1
	;; [unrolled: 2-line block ×4, first 2 shown]
.LBB964_34:
	s_or_b64 exec, exec, s[0:1]
	s_waitcnt vmcnt(2)
	v_mul_f32_e32 v10, v19, v19
	v_fmac_f32_e32 v10, v18, v18
	v_fmac_f32_e32 v10, v32, v32
	v_fmac_f32_e32 v10, v33, v33
	v_fmac_f32_e32 v10, v30, v30
	v_fmac_f32_e32 v10, v31, v31
	v_fmac_f32_e32 v10, v28, v28
	v_fmac_f32_e32 v10, v29, v29
	v_fmac_f32_e32 v10, v26, v26
	v_fmac_f32_e32 v10, v27, v27
	v_fmac_f32_e32 v10, v24, v24
	v_fmac_f32_e32 v10, v25, v25
	v_fmac_f32_e32 v10, v22, v22
	v_fmac_f32_e32 v10, v23, v23
	v_fmac_f32_e32 v10, v20, v20
	v_fmac_f32_e32 v10, v21, v21
	s_nop 1
	v_mov_b32_dpp v11, v10 quad_perm:[1,0,3,2] row_mask:0xf bank_mask:0xf
	v_add_f32_e32 v10, v10, v11
	s_nop 1
	v_mov_b32_dpp v11, v10 quad_perm:[2,3,0,1] row_mask:0xf bank_mask:0xf
	v_add_f32_e32 v10, v10, v11
	s_nop 1
	v_mov_b32_dpp v11, v10 row_half_mirror row_mask:0xf bank_mask:0xf
	v_add_f32_e32 v10, v10, v11
	s_nop 1
	v_mov_b32_dpp v11, v10 row_mirror row_mask:0xf bank_mask:0xf
	v_add_f32_e32 v10, v10, v11
	s_nop 1
	v_mov_b32_dpp v11, v10 row_bcast:15 row_mask:0xf bank_mask:0xf
	v_add_f32_e32 v10, v10, v11
	s_nop 1
	v_mov_b32_dpp v11, v10 row_bcast:31 row_mask:0xf bank_mask:0xf
	s_and_saveexec_b64 s[0:1], s[8:9]
	s_cbranch_execz .LBB964_36
; %bb.35:
	v_lshrrev_b32_e32 v0, 4, v0
	v_add_f32_e32 v10, v10, v11
	v_and_b32_e32 v0, 60, v0
	ds_write_b32 v0, v10
.LBB964_36:
	s_or_b64 exec, exec, s[0:1]
	s_waitcnt lgkmcnt(0)
	s_barrier
	ds_read_b32 v0, v34
	s_waitcnt lgkmcnt(0)
	s_nop 0
	v_mov_b32_dpp v10, v0 quad_perm:[1,0,3,2] row_mask:0xf bank_mask:0xf
	v_add_f32_e32 v0, v0, v10
	s_nop 1
	v_mov_b32_dpp v10, v0 quad_perm:[2,3,0,1] row_mask:0xf bank_mask:0xf
	v_add_f32_e32 v0, v0, v10
	s_nop 1
	v_mov_b32_dpp v10, v0 row_half_mirror row_mask:0xf bank_mask:0xf
	s_and_saveexec_b64 s[0:1], vcc
	s_cbranch_execz .LBB964_17
; %bb.37:
	v_cvt_f32_u32_e32 v11, s16
	v_add_f32_e32 v0, v0, v10
	s_mov_b32 s23, 0x20000
	v_div_scale_f32 v10, s[0:1], v11, v11, v0
	v_rcp_f32_e32 v12, v10
	v_div_scale_f32 v13, vcc, v0, v11, v0
	s_mov_b32 s0, 0x800000
	v_fma_f32 v14, -v10, v12, 1.0
	v_fmac_f32_e32 v12, v14, v12
	v_mul_f32_e32 v14, v13, v12
	v_fma_f32 v15, -v10, v14, v13
	v_fmac_f32_e32 v14, v15, v12
	v_fma_f32 v10, -v10, v14, v13
	v_div_fmas_f32 v10, v10, v12, v14
	v_div_fixup_f32 v0, v10, v11, v0
	v_add_f32_e32 v0, s13, v0
	v_mul_f32_e32 v10, 0x4b800000, v0
	v_cmp_gt_f32_e32 vcc, s0, v0
	v_cndmask_b32_e32 v0, v0, v10, vcc
	v_rsq_f32_e32 v0, v0
	s_mul_hi_i32 s1, s10, s6
	s_mul_i32 s0, s10, s6
	s_lshl_b64 s[0:1], s[0:1], 1
	v_mul_f32_e32 v10, 0x45800000, v0
	v_cndmask_b32_e32 v10, v0, v10, vcc
	v_mov_b32_e32 v11, v10
	;;#ASMSTART
	v_pk_mul_f32 v[12:13], v[18:19], v[10:11]
	;;#ASMEND
	;;#ASMSTART
	v_pk_mul_f32 v[14:15], v[32:33], v[10:11]
	;;#ASMEND
	;; [unrolled: 3-line block ×4, first 2 shown]
	s_waitcnt vmcnt(1)
	v_cvt_f32_u32_sdwa v29, v6 dst_sel:DWORD dst_unused:UNUSED_PAD src0_sel:WORD_1
	v_cvt_f32_u32_sdwa v28, v6 dst_sel:DWORD dst_unused:UNUSED_PAD src0_sel:WORD_0
	v_cvt_f32_u32_sdwa v31, v7 dst_sel:DWORD dst_unused:UNUSED_PAD src0_sel:WORD_1
	v_cvt_f32_u32_sdwa v30, v7 dst_sel:DWORD dst_unused:UNUSED_PAD src0_sel:WORD_0
	;;#ASMSTART
	v_pk_mul_f32 v[26:27], v[26:27], v[10:11]
	;;#ASMEND
	;;#ASMSTART
	v_pk_mul_f32 v[24:25], v[24:25], v[10:11]
	;;#ASMEND
	;; [unrolled: 3-line block ×4, first 2 shown]
	v_cvt_f32_u32_sdwa v21, v8 dst_sel:DWORD dst_unused:UNUSED_PAD src0_sel:WORD_1
	v_cvt_f32_u32_sdwa v20, v8 dst_sel:DWORD dst_unused:UNUSED_PAD src0_sel:WORD_0
	v_pk_add_f32 v[10:11], v[28:29], 1.0 op_sel_hi:[1,0]
	;;#ASMSTART
	v_pk_mul_f32 v[10:11], v[12:13], v[10:11]
	;;#ASMEND
	v_pk_add_f32 v[12:13], v[30:31], 1.0 op_sel_hi:[1,0]
	v_cvt_f32_u32_sdwa v29, v9 dst_sel:DWORD dst_unused:UNUSED_PAD src0_sel:WORD_1
	v_cvt_f32_u32_sdwa v28, v9 dst_sel:DWORD dst_unused:UNUSED_PAD src0_sel:WORD_0
	;;#ASMSTART
	v_pk_mul_f32 v[8:9], v[14:15], v[12:13]
	;;#ASMEND
	v_pk_add_f32 v[12:13], v[20:21], 1.0 op_sel_hi:[1,0]
	;;#ASMSTART
	v_pk_mul_f32 v[12:13], v[16:17], v[12:13]
	;;#ASMEND
	s_waitcnt vmcnt(0)
	v_cvt_f32_u32_sdwa v17, v2 dst_sel:DWORD dst_unused:UNUSED_PAD src0_sel:WORD_1
	v_cvt_f32_u32_sdwa v16, v2 dst_sel:DWORD dst_unused:UNUSED_PAD src0_sel:WORD_0
	v_cvt_f32_u32_sdwa v21, v3 dst_sel:DWORD dst_unused:UNUSED_PAD src0_sel:WORD_1
	v_cvt_f32_u32_sdwa v20, v3 dst_sel:DWORD dst_unused:UNUSED_PAD src0_sel:WORD_0
	v_pk_add_f32 v[14:15], v[28:29], 1.0 op_sel_hi:[1,0]
	;;#ASMSTART
	v_pk_mul_f32 v[14:15], v[18:19], v[14:15]
	;;#ASMEND
	v_pk_add_f32 v[2:3], v[16:17], 1.0 op_sel_hi:[1,0]
	v_cvt_f32_u32_sdwa v19, v4 dst_sel:DWORD dst_unused:UNUSED_PAD src0_sel:WORD_1
	v_cvt_f32_u32_sdwa v18, v4 dst_sel:DWORD dst_unused:UNUSED_PAD src0_sel:WORD_0
	;;#ASMSTART
	v_pk_mul_f32 v[16:17], v[26:27], v[2:3]
	;;#ASMEND
	v_pk_add_f32 v[2:3], v[20:21], 1.0 op_sel_hi:[1,0]
	v_cvt_f32_u32_sdwa v21, v5 dst_sel:DWORD dst_unused:UNUSED_PAD src0_sel:WORD_1
	v_cvt_f32_u32_sdwa v20, v5 dst_sel:DWORD dst_unused:UNUSED_PAD src0_sel:WORD_0
	s_add_u32 s20, s36, s0
	;;#ASMSTART
	v_pk_mul_f32 v[24:25], v[24:25], v[2:3]
	;;#ASMEND
	v_pk_add_f32 v[2:3], v[18:19], 1.0 op_sel_hi:[1,0]
	s_addc_u32 s0, s37, s1
	;;#ASMSTART
	v_pk_mul_f32 v[18:19], v[22:23], v[2:3]
	;;#ASMEND
	v_pk_add_f32 v[2:3], v[20:21], 1.0 op_sel_hi:[1,0]
	s_and_b32 s21, s0, 0xffff
	s_mov_b32 s0, 0x7060302
	;;#ASMSTART
	v_pk_mul_f32 v[6:7], v[6:7], v[2:3]
	;;#ASMEND
	v_perm_b32 v2, v11, v10, s0
	v_perm_b32 v3, v9, v8, s0
	;; [unrolled: 1-line block ×4, first 2 shown]
	buffer_store_dwordx4 v[2:5], v1, s[20:23], 0 offen
	;;#ASMSTART
	s_nop 0
	;;#ASMEND
	s_nop 0
	v_perm_b32 v2, v17, v16, s0
	v_perm_b32 v3, v25, v24, s0
	;; [unrolled: 1-line block ×4, first 2 shown]
	buffer_store_dwordx4 v[2:5], v1, s[20:23], 16 offen
	;;#ASMSTART
	s_nop 0
	;;#ASMEND
	s_endpgm
	.section	.rodata,"a",@progbits
	.p2align	6, 0x0
	.amdhsa_kernel _ZN5aiter35fused_qk_rmsnorm_group_quant_kernelItN4opus5fp4_tELi512ELi16ELi4ELb1ELb0ELb1ELb0ELb0ELb0EEEvPT0_PvPT_S7_S7_PKS6_S9_S9_S9_S9_ffiiiiiiiiiiiii
		.amdhsa_group_segment_fixed_size 64
		.amdhsa_private_segment_fixed_size 0
		.amdhsa_kernarg_size 400
		.amdhsa_user_sgpr_count 6
		.amdhsa_user_sgpr_private_segment_buffer 1
		.amdhsa_user_sgpr_dispatch_ptr 0
		.amdhsa_user_sgpr_queue_ptr 0
		.amdhsa_user_sgpr_kernarg_segment_ptr 1
		.amdhsa_user_sgpr_dispatch_id 0
		.amdhsa_user_sgpr_flat_scratch_init 0
		.amdhsa_user_sgpr_kernarg_preload_length 0
		.amdhsa_user_sgpr_kernarg_preload_offset 0
		.amdhsa_user_sgpr_private_segment_size 0
		.amdhsa_uses_dynamic_stack 0
		.amdhsa_system_sgpr_private_segment_wavefront_offset 0
		.amdhsa_system_sgpr_workgroup_id_x 1
		.amdhsa_system_sgpr_workgroup_id_y 1
		.amdhsa_system_sgpr_workgroup_id_z 0
		.amdhsa_system_sgpr_workgroup_info 0
		.amdhsa_system_vgpr_workitem_id 0
		.amdhsa_next_free_vgpr 76
		.amdhsa_next_free_sgpr 40
		.amdhsa_accum_offset 76
		.amdhsa_reserve_vcc 1
		.amdhsa_reserve_flat_scratch 0
		.amdhsa_float_round_mode_32 0
		.amdhsa_float_round_mode_16_64 0
		.amdhsa_float_denorm_mode_32 3
		.amdhsa_float_denorm_mode_16_64 3
		.amdhsa_dx10_clamp 1
		.amdhsa_ieee_mode 1
		.amdhsa_fp16_overflow 0
		.amdhsa_tg_split 0
		.amdhsa_exception_fp_ieee_invalid_op 0
		.amdhsa_exception_fp_denorm_src 0
		.amdhsa_exception_fp_ieee_div_zero 0
		.amdhsa_exception_fp_ieee_overflow 0
		.amdhsa_exception_fp_ieee_underflow 0
		.amdhsa_exception_fp_ieee_inexact 0
		.amdhsa_exception_int_div_zero 0
	.end_amdhsa_kernel
	.section	.text._ZN5aiter35fused_qk_rmsnorm_group_quant_kernelItN4opus5fp4_tELi512ELi16ELi4ELb1ELb0ELb1ELb0ELb0ELb0EEEvPT0_PvPT_S7_S7_PKS6_S9_S9_S9_S9_ffiiiiiiiiiiiii,"axG",@progbits,_ZN5aiter35fused_qk_rmsnorm_group_quant_kernelItN4opus5fp4_tELi512ELi16ELi4ELb1ELb0ELb1ELb0ELb0ELb0EEEvPT0_PvPT_S7_S7_PKS6_S9_S9_S9_S9_ffiiiiiiiiiiiii,comdat
.Lfunc_end964:
	.size	_ZN5aiter35fused_qk_rmsnorm_group_quant_kernelItN4opus5fp4_tELi512ELi16ELi4ELb1ELb0ELb1ELb0ELb0ELb0EEEvPT0_PvPT_S7_S7_PKS6_S9_S9_S9_S9_ffiiiiiiiiiiiii, .Lfunc_end964-_ZN5aiter35fused_qk_rmsnorm_group_quant_kernelItN4opus5fp4_tELi512ELi16ELi4ELb1ELb0ELb1ELb0ELb0ELb0EEEvPT0_PvPT_S7_S7_PKS6_S9_S9_S9_S9_ffiiiiiiiiiiiii
                                        ; -- End function
	.section	.AMDGPU.csdata,"",@progbits
; Kernel info:
; codeLenInByte = 3928
; NumSgprs: 44
; NumVgprs: 76
; NumAgprs: 0
; TotalNumVgprs: 76
; ScratchSize: 0
; MemoryBound: 0
; FloatMode: 240
; IeeeMode: 1
; LDSByteSize: 64 bytes/workgroup (compile time only)
; SGPRBlocks: 5
; VGPRBlocks: 9
; NumSGPRsForWavesPerEU: 44
; NumVGPRsForWavesPerEU: 76
; AccumOffset: 76
; Occupancy: 6
; WaveLimiterHint : 0
; COMPUTE_PGM_RSRC2:SCRATCH_EN: 0
; COMPUTE_PGM_RSRC2:USER_SGPR: 6
; COMPUTE_PGM_RSRC2:TRAP_HANDLER: 0
; COMPUTE_PGM_RSRC2:TGID_X_EN: 1
; COMPUTE_PGM_RSRC2:TGID_Y_EN: 1
; COMPUTE_PGM_RSRC2:TGID_Z_EN: 0
; COMPUTE_PGM_RSRC2:TIDIG_COMP_CNT: 0
; COMPUTE_PGM_RSRC3_GFX90A:ACCUM_OFFSET: 18
; COMPUTE_PGM_RSRC3_GFX90A:TG_SPLIT: 0
	.section	.text._ZN5aiter35fused_qk_rmsnorm_group_quant_kernelIDF16_DB8_Li512ELi16ELi4ELb1ELb0ELb0ELb0ELb0ELb0EEEvPT0_PvPT_S6_S6_PKS5_S8_S8_S8_S8_ffiiiiiiiiiiiii,"axG",@progbits,_ZN5aiter35fused_qk_rmsnorm_group_quant_kernelIDF16_DB8_Li512ELi16ELi4ELb1ELb0ELb0ELb0ELb0ELb0EEEvPT0_PvPT_S6_S6_PKS5_S8_S8_S8_S8_ffiiiiiiiiiiiii,comdat
	.protected	_ZN5aiter35fused_qk_rmsnorm_group_quant_kernelIDF16_DB8_Li512ELi16ELi4ELb1ELb0ELb0ELb0ELb0ELb0EEEvPT0_PvPT_S6_S6_PKS5_S8_S8_S8_S8_ffiiiiiiiiiiiii ; -- Begin function _ZN5aiter35fused_qk_rmsnorm_group_quant_kernelIDF16_DB8_Li512ELi16ELi4ELb1ELb0ELb0ELb0ELb0ELb0EEEvPT0_PvPT_S6_S6_PKS5_S8_S8_S8_S8_ffiiiiiiiiiiiii
	.globl	_ZN5aiter35fused_qk_rmsnorm_group_quant_kernelIDF16_DB8_Li512ELi16ELi4ELb1ELb0ELb0ELb0ELb0ELb0EEEvPT0_PvPT_S6_S6_PKS5_S8_S8_S8_S8_ffiiiiiiiiiiiii
	.p2align	8
	.type	_ZN5aiter35fused_qk_rmsnorm_group_quant_kernelIDF16_DB8_Li512ELi16ELi4ELb1ELb0ELb0ELb0ELb0ELb0EEEvPT0_PvPT_S6_S6_PKS5_S8_S8_S8_S8_ffiiiiiiiiiiiii,@function
_ZN5aiter35fused_qk_rmsnorm_group_quant_kernelIDF16_DB8_Li512ELi16ELi4ELb1ELb0ELb0ELb0ELb0ELb0EEEvPT0_PvPT_S6_S6_PKS5_S8_S8_S8_S8_ffiiiiiiiiiiiii: ; @_ZN5aiter35fused_qk_rmsnorm_group_quant_kernelIDF16_DB8_Li512ELi16ELi4ELb1ELb0ELb0ELb0ELb0ELb0EEEvPT0_PvPT_S6_S6_PKS5_S8_S8_S8_S8_ffiiiiiiiiiiiii
; %bb.0:
	s_load_dwordx8 s[12:19], s[4:5], 0x50
	s_waitcnt lgkmcnt(0)
	s_cmp_ge_i32 s6, s14
	s_cbranch_scc1 .LBB965_17
; %bb.1:
	s_cmp_lg_u32 s7, 0
	s_cselect_b64 s[10:11], -1, 0
	s_cmp_eq_u32 s7, 0
	s_cselect_b64 s[8:9], -1, 0
	s_and_b64 s[0:1], s[8:9], exec
	s_load_dwordx2 s[20:21], s[4:5], 0x48
	s_load_dwordx2 s[36:37], s[4:5], 0x30
	s_load_dwordx4 s[24:27], s[4:5], 0x70
	s_cselect_b32 s7, s15, s16
	s_add_i32 s0, s7, 1
	s_lshr_b32 s1, s0, 31
	s_add_i32 s0, s0, s1
	s_lshl_b32 s0, s0, 1
	v_lshlrev_b32_e32 v1, 4, v0
	s_and_b32 s30, s0, -4
	v_cmp_gt_i32_e64 s[0:1], s7, v1
	v_mov_b32_e32 v80, 0
	v_mov_b32_e32 v81, 0
	;; [unrolled: 1-line block ×16, first 2 shown]
	s_and_saveexec_b64 s[2:3], s[0:1]
	s_cbranch_execz .LBB965_3
; %bb.2:
	s_load_dwordx2 s[22:23], s[4:5], 0x28
	s_load_dwordx2 s[28:29], s[4:5], 0x40
	s_and_b64 s[34:35], s[8:9], exec
	s_cselect_b32 s14, s17, s18
	s_mov_b32 s31, 0x20000
	s_waitcnt lgkmcnt(0)
	s_cselect_b32 s17, s23, s37
	s_cselect_b32 s27, s22, s36
	s_mul_hi_i32 s23, s14, s6
	s_mul_i32 s22, s14, s6
	s_lshl_b64 s[22:23], s[22:23], 1
	s_add_u32 s40, s27, s22
	s_addc_u32 s14, s17, s23
	s_and_b64 s[22:23], s[8:9], exec
	s_cselect_b32 s28, s28, s20
	s_cselect_b32 s17, s29, s21
	s_and_b32 s41, s14, 0xffff
	s_mov_b32 s42, s30
	s_mov_b32 s43, s31
	v_lshlrev_b32_e32 v2, 5, v0
	s_and_b32 s29, s17, 0xffff
	buffer_load_dwordx4 v[84:87], v2, s[40:43], 0 offen
	buffer_load_dwordx4 v[88:91], v2, s[40:43], 16 offen
	;; [unrolled: 1-line block ×4, first 2 shown]
.LBB965_3:
	s_or_b64 exec, exec, s[2:3]
	s_load_dwordx2 s[34:35], s[4:5], 0x80
	s_and_b64 vcc, exec, s[10:11]
	s_cbranch_vccz .LBB965_7
; %bb.4:
	v_mov_b32_e32 v93, 0
	v_mov_b32_e32 v92, 0
	;; [unrolled: 1-line block ×16, first 2 shown]
	s_and_saveexec_b64 s[2:3], s[0:1]
	s_cbranch_execz .LBB965_6
; %bb.5:
	s_waitcnt vmcnt(3)
	v_cvt_f32_f16_sdwa v59, v84 dst_sel:DWORD dst_unused:UNUSED_PAD src0_sel:WORD_1
	v_cvt_f32_f16_e32 v58, v84
	v_cvt_f32_f16_sdwa v29, v85 dst_sel:DWORD dst_unused:UNUSED_PAD src0_sel:WORD_1
	v_cvt_f32_f16_e32 v28, v85
	;; [unrolled: 2-line block ×4, first 2 shown]
	s_waitcnt vmcnt(2)
	v_cvt_f32_f16_sdwa v69, v88 dst_sel:DWORD dst_unused:UNUSED_PAD src0_sel:WORD_1
	v_cvt_f32_f16_e32 v68, v88
	v_cvt_f32_f16_sdwa v41, v89 dst_sel:DWORD dst_unused:UNUSED_PAD src0_sel:WORD_1
	v_cvt_f32_f16_e32 v40, v89
	;; [unrolled: 2-line block ×4, first 2 shown]
.LBB965_6:
	s_or_b64 exec, exec, s[2:3]
	s_cbranch_execz .LBB965_8
	s_branch .LBB965_11
.LBB965_7:
                                        ; implicit-def: $vgpr26_vgpr27_vgpr28_vgpr29_vgpr30_vgpr31_vgpr32_vgpr33_vgpr34_vgpr35_vgpr36_vgpr37_vgpr38_vgpr39_vgpr40_vgpr41
                                        ; implicit-def: $vgpr58_vgpr59_vgpr60_vgpr61_vgpr62_vgpr63_vgpr64_vgpr65_vgpr66_vgpr67_vgpr68_vgpr69_vgpr70_vgpr71_vgpr72_vgpr73
                                        ; implicit-def: $vgpr42_vgpr43_vgpr44_vgpr45_vgpr46_vgpr47_vgpr48_vgpr49_vgpr50_vgpr51_vgpr52_vgpr53_vgpr54_vgpr55_vgpr56_vgpr57
                                        ; implicit-def: $vgpr12_vgpr13_vgpr14_vgpr15_vgpr16_vgpr17_vgpr18_vgpr19_vgpr20_vgpr21_vgpr22_vgpr23_vgpr24_vgpr25_vgpr26_vgpr27
                                        ; implicit-def: $vgpr93
                                        ; implicit-def: $vgpr60_vgpr61_vgpr62_vgpr63_vgpr64_vgpr65_vgpr66_vgpr67_vgpr68_vgpr69_vgpr70_vgpr71_vgpr72_vgpr73_vgpr74_vgpr75
                                        ; implicit-def: $vgpr30_vgpr31_vgpr32_vgpr33_vgpr34_vgpr35_vgpr36_vgpr37_vgpr38_vgpr39_vgpr40_vgpr41_vgpr42_vgpr43_vgpr44_vgpr45
                                        ; implicit-def: $vgpr2_vgpr3_vgpr4_vgpr5_vgpr6_vgpr7_vgpr8_vgpr9_vgpr10_vgpr11_vgpr12_vgpr13_vgpr14_vgpr15_vgpr16_vgpr17
.LBB965_8:
	v_mov_b32_e32 v93, 0
	v_mov_b32_e32 v92, 0
	;; [unrolled: 1-line block ×16, first 2 shown]
	s_and_saveexec_b64 s[2:3], s[0:1]
	s_cbranch_execz .LBB965_10
; %bb.9:
	s_load_dwordx2 s[22:23], s[4:5], 0x38
	s_mul_hi_i32 s29, s19, s6
	s_mul_i32 s28, s19, s6
	s_lshl_b64 s[28:29], s[28:29], 1
	s_mov_b32 s31, 0x20000
	s_waitcnt lgkmcnt(0)
	s_add_u32 s28, s22, s28
	s_addc_u32 s14, s23, s29
	s_and_b32 s29, s14, 0xffff
	v_lshlrev_b32_e32 v38, 5, v0
	buffer_load_dwordx4 v[6:9], v38, s[28:31], 16 offen
	buffer_load_dwordx4 v[10:13], v38, s[28:31], 0 offen
	s_waitcnt vmcnt(5)
	v_cvt_f32_f16_sdwa v19, v86 dst_sel:DWORD dst_unused:UNUSED_PAD src0_sel:WORD_1
	v_cvt_f32_f16_e32 v18, v86
	v_cvt_f32_f16_sdwa v25, v87 dst_sel:DWORD dst_unused:UNUSED_PAD src0_sel:WORD_1
	v_cvt_f32_f16_e32 v24, v87
	;; [unrolled: 2-line block ×4, first 2 shown]
	s_load_dwordx2 s[22:23], s[4:5], 0x20
	s_waitcnt vmcnt(4)
	v_cvt_f32_f16_sdwa v3, v88 dst_sel:DWORD dst_unused:UNUSED_PAD src0_sel:WORD_1
	v_cvt_f32_f16_e32 v2, v88
	v_cvt_f32_f16_sdwa v5, v89 dst_sel:DWORD dst_unused:UNUSED_PAD src0_sel:WORD_1
	v_cvt_f32_f16_e32 v4, v89
	;; [unrolled: 2-line block ×4, first 2 shown]
	s_mul_hi_i32 s29, s35, s6
	s_mul_i32 s28, s35, s6
	s_lshl_b64 s[28:29], s[28:29], 1
	s_waitcnt lgkmcnt(0)
	s_add_u32 s28, s22, s28
	s_addc_u32 s14, s23, s29
	s_and_b32 s29, s14, 0xffff
	s_waitcnt vmcnt(1)
	v_cvt_f32_f16_e32 v26, v6
	v_cvt_f32_f16_sdwa v27, v6 dst_sel:DWORD dst_unused:UNUSED_PAD src0_sel:WORD_1
	v_cvt_f32_f16_e32 v30, v7
	v_cvt_f32_f16_sdwa v31, v7 dst_sel:DWORD dst_unused:UNUSED_PAD src0_sel:WORD_1
	v_cvt_f32_f16_e32 v32, v8
	v_cvt_f32_f16_sdwa v33, v8 dst_sel:DWORD dst_unused:UNUSED_PAD src0_sel:WORD_1
	v_cvt_f32_f16_e32 v34, v9
	v_cvt_f32_f16_sdwa v35, v9 dst_sel:DWORD dst_unused:UNUSED_PAD src0_sel:WORD_1
	s_waitcnt vmcnt(0)
	v_cvt_f32_f16_e32 v6, v12
	v_cvt_f32_f16_sdwa v7, v12 dst_sel:DWORD dst_unused:UNUSED_PAD src0_sel:WORD_1
	v_cvt_f32_f16_e32 v8, v13
	v_cvt_f32_f16_sdwa v9, v13 dst_sel:DWORD dst_unused:UNUSED_PAD src0_sel:WORD_1
	v_cvt_f32_f16_e32 v36, v10
	v_cvt_f32_f16_sdwa v37, v10 dst_sel:DWORD dst_unused:UNUSED_PAD src0_sel:WORD_1
	v_cvt_f32_f16_e32 v10, v11
	v_cvt_f32_f16_sdwa v11, v11 dst_sel:DWORD dst_unused:UNUSED_PAD src0_sel:WORD_1
	v_pk_add_f32 v[46:47], v[18:19], v[6:7]
	v_pk_add_f32 v[18:19], v[24:25], v[8:9]
	v_cvt_f16_f32_e32 v6, v47
	v_cvt_f16_f32_e32 v7, v19
	;; [unrolled: 1-line block ×4, first 2 shown]
	v_pk_add_f32 v[28:29], v[22:23], v[10:11]
	v_pk_add_f32 v[58:59], v[20:21], v[36:37]
	v_pack_b32_f16 v9, v8, v7
	v_pack_b32_f16 v8, v12, v6
	v_cvt_f16_f32_e32 v6, v29
	v_cvt_f16_f32_e32 v7, v28
	;; [unrolled: 1-line block ×3, first 2 shown]
	v_pk_add_f32 v[92:93], v[16:17], v[34:35]
	v_pk_add_f32 v[14:15], v[14:15], v[32:33]
	v_pack_b32_f16 v7, v7, v6
	v_cvt_f16_f32_e32 v6, v59
	v_pk_add_f32 v[40:41], v[4:5], v[30:31]
	v_pk_add_f32 v[68:69], v[2:3], v[26:27]
	v_cvt_f16_f32_e32 v4, v40
	v_pack_b32_f16 v6, v10, v6
	buffer_store_dwordx4 v[6:9], v38, s[28:31], 0 offen
	v_cvt_f16_f32_e32 v5, v41
	v_cvt_f16_f32_e32 v6, v14
	v_cvt_f16_f32_e32 v7, v92
	v_cvt_f16_f32_e32 v8, v93
	v_cvt_f16_f32_e32 v9, v15
	v_cvt_f16_f32_e32 v2, v68
	v_cvt_f16_f32_e32 v3, v69
	v_pack_b32_f16 v7, v7, v8
	v_pack_b32_f16 v6, v6, v9
	;; [unrolled: 1-line block ×4, first 2 shown]
	;;#ASMSTART
	s_nop 0
	;;#ASMEND
	buffer_store_dwordx4 v[4:7], v38, s[28:31], 16 offen
	;;#ASMSTART
	s_nop 0
	;;#ASMEND
.LBB965_10:
	s_or_b64 exec, exec, s[2:3]
.LBB965_11:
	v_mul_f32_e32 v2, v59, v59
	v_fmac_f32_e32 v2, v58, v58
	v_fmac_f32_e32 v2, v28, v28
	;; [unrolled: 1-line block ×15, first 2 shown]
	s_nop 1
	v_mov_b32_dpp v3, v2 quad_perm:[1,0,3,2] row_mask:0xf bank_mask:0xf
	v_add_f32_e32 v2, v2, v3
	s_nop 1
	v_mov_b32_dpp v3, v2 quad_perm:[2,3,0,1] row_mask:0xf bank_mask:0xf
	v_add_f32_e32 v2, v2, v3
	s_nop 1
	v_mov_b32_dpp v3, v2 row_half_mirror row_mask:0xf bank_mask:0xf
	v_add_f32_e32 v2, v2, v3
	s_nop 1
	v_mov_b32_dpp v3, v2 row_mirror row_mask:0xf bank_mask:0xf
	v_add_f32_e32 v2, v2, v3
	s_nop 1
	v_mov_b32_dpp v3, v2 row_bcast:15 row_mask:0xf bank_mask:0xf
	v_add_f32_e32 v2, v2, v3
	v_and_b32_e32 v3, 63, v0
	v_cmp_eq_u32_e64 s[2:3], 63, v3
	s_nop 0
	v_mov_b32_dpp v3, v2 row_bcast:31 row_mask:0xf bank_mask:0xf
	s_and_saveexec_b64 s[22:23], s[2:3]
	s_cbranch_execz .LBB965_13
; %bb.12:
	v_add_f32_e32 v2, v2, v3
	v_lshrrev_b32_e32 v3, 4, v0
	v_and_b32_e32 v3, 60, v3
	ds_write_b32 v3, v2 offset:32
.LBB965_13:
	s_or_b64 exec, exec, s[22:23]
	v_and_b32_e32 v2, 7, v0
	v_lshlrev_b32_e32 v34, 2, v2
	s_waitcnt lgkmcnt(0)
	s_barrier
	ds_read_b32 v2, v34 offset:32
	s_load_dwordx2 s[38:39], s[4:5], 0x18
	s_waitcnt lgkmcnt(0)
	v_mov_b32_dpp v3, v2 quad_perm:[1,0,3,2] row_mask:0xf bank_mask:0xf
	v_add_f32_e32 v2, v2, v3
	s_nop 1
	v_mov_b32_dpp v3, v2 quad_perm:[2,3,0,1] row_mask:0xf bank_mask:0xf
	v_add_f32_e32 v2, v2, v3
	s_nop 1
	v_mov_b32_dpp v3, v2 row_half_mirror row_mask:0xf bank_mask:0xf
	s_and_saveexec_b64 s[22:23], s[0:1]
	s_cbranch_execnz .LBB965_18
; %bb.14:
	s_or_b64 exec, exec, s[22:23]
	s_mov_b64 s[8:9], -1
	s_and_b64 vcc, exec, s[10:11]
	s_cbranch_vccnz .LBB965_19
.LBB965_15:
	s_andn2_b64 vcc, exec, s[8:9]
	s_cbranch_vccz .LBB965_22
.LBB965_16:
	s_cmp_lt_i32 s16, 1
	s_cbranch_scc0 .LBB965_29
.LBB965_17:
	s_endpgm
.LBB965_18:
	v_add_f32_e32 v2, v2, v3
	v_cvt_f32_u32_e32 v3, s7
	s_mov_b32 s7, 0x800000
	s_waitcnt vmcnt(1)
	v_cvt_f32_f16_sdwa v21, v81 dst_sel:DWORD dst_unused:UNUSED_PAD src0_sel:WORD_1
	v_cvt_f32_f16_e32 v20, v81
	v_div_scale_f32 v4, s[28:29], v3, v3, v2
	v_rcp_f32_e32 v5, v4
	s_waitcnt vmcnt(0)
	v_cvt_f32_f16_sdwa v23, v77 dst_sel:DWORD dst_unused:UNUSED_PAD src0_sel:WORD_1
	v_cvt_f32_f16_e32 v22, v77
	v_cvt_f32_f16_sdwa v25, v78 dst_sel:DWORD dst_unused:UNUSED_PAD src0_sel:WORD_1
	v_fma_f32 v6, -v4, v5, 1.0
	v_fmac_f32_e32 v5, v6, v5
	v_div_scale_f32 v6, vcc, v2, v3, v2
	v_mul_f32_e32 v7, v6, v5
	v_fma_f32 v8, -v4, v7, v6
	v_fmac_f32_e32 v7, v8, v5
	v_fma_f32 v4, -v4, v7, v6
	v_div_fmas_f32 v4, v4, v5, v7
	v_div_fixup_f32 v2, v4, v3, v2
	v_mov_b32_e32 v3, s13
	v_mov_b32_e32 v4, s12
	v_cndmask_b32_e64 v3, v3, v4, s[8:9]
	v_add_f32_e32 v2, v3, v2
	v_mul_f32_e32 v3, 0x4b800000, v2
	v_cmp_gt_f32_e32 vcc, s7, v2
	v_cndmask_b32_e32 v2, v2, v3, vcc
	v_rsq_f32_e32 v2, v2
	v_cvt_f32_f16_e32 v24, v78
	v_cvt_f32_f16_sdwa v27, v79 dst_sel:DWORD dst_unused:UNUSED_PAD src0_sel:WORD_1
	v_cvt_f32_f16_e32 v26, v79
	v_mul_f32_e32 v3, 0x45800000, v2
	v_cndmask_b32_e32 v2, v2, v3, vcc
	v_mov_b32_e32 v3, v2
	;;#ASMSTART
	v_pk_mul_f32 v[4:5], v[58:59], v[2:3]
	;;#ASMEND
	;;#ASMSTART
	v_pk_mul_f32 v[6:7], v[28:29], v[2:3]
	;;#ASMEND
	;; [unrolled: 3-line block ×6, first 2 shown]
	v_cvt_f32_f16_sdwa v19, v80 dst_sel:DWORD dst_unused:UNUSED_PAD src0_sel:WORD_1
	v_cvt_f32_f16_e32 v18, v80
	;;#ASMSTART
	v_pk_mul_f32 v[14:15], v[14:15], v[2:3]
	;;#ASMEND
	;;#ASMSTART
	v_pk_mul_f32 v[2:3], v[92:93], v[2:3]
	;;#ASMEND
	;;#ASMSTART
	v_pk_mul_f32 v[58:59], v[4:5], v[18:19]
	;;#ASMEND
	;;#ASMSTART
	v_pk_mul_f32 v[28:29], v[6:7], v[20:21]
	;;#ASMEND
	v_cvt_f32_f16_sdwa v5, v82 dst_sel:DWORD dst_unused:UNUSED_PAD src0_sel:WORD_1
	v_cvt_f32_f16_e32 v4, v82
	v_cvt_f32_f16_sdwa v7, v83 dst_sel:DWORD dst_unused:UNUSED_PAD src0_sel:WORD_1
	v_cvt_f32_f16_e32 v6, v83
	;; [unrolled: 2-line block ×3, first 2 shown]
	;;#ASMSTART
	v_pk_mul_f32 v[46:47], v[8:9], v[4:5]
	;;#ASMEND
	;;#ASMSTART
	v_pk_mul_f32 v[18:19], v[10:11], v[6:7]
	;;#ASMEND
	;; [unrolled: 3-line block ×6, first 2 shown]
	s_or_b64 exec, exec, s[22:23]
	s_mov_b64 s[8:9], -1
	s_and_b64 vcc, exec, s[10:11]
	s_cbranch_vccz .LBB965_15
.LBB965_19:
	s_and_saveexec_b64 s[8:9], s[0:1]
	s_cbranch_execz .LBB965_21
; %bb.20:
	v_cvt_f16_f32_e32 v2, v46
	v_cvt_f16_f32_e32 v3, v18
	;; [unrolled: 1-line block ×4, first 2 shown]
	s_mul_hi_i32 s11, s34, s6
	s_mul_i32 s10, s34, s6
	v_pack_b32_f16 v5, v3, v4
	v_pack_b32_f16 v4, v2, v6
	v_cvt_f16_f32_e32 v2, v28
	v_cvt_f16_f32_e32 v3, v29
	;; [unrolled: 1-line block ×3, first 2 shown]
	s_lshl_b64 s[10:11], s[10:11], 1
	s_add_u32 s28, s38, s10
	v_pack_b32_f16 v3, v2, v3
	v_cvt_f16_f32_e32 v2, v58
	s_addc_u32 s7, s39, s11
	s_and_b32 s29, s7, 0xffff
	s_mov_b32 s31, 0x20000
	v_pack_b32_f16 v2, v2, v6
	v_lshlrev_b32_e32 v6, 5, v0
	buffer_store_dwordx4 v[2:5], v6, s[28:31], 0 offen
	v_cvt_f16_f32_e32 v7, v15
	v_cvt_f16_f32_e32 v2, v14
	v_cvt_f16_f32_e32 v3, v92
	v_cvt_f16_f32_e32 v4, v93
	;;#ASMSTART
	s_nop 0
	;;#ASMEND
	v_pack_b32_f16 v5, v3, v4
	v_pack_b32_f16 v4, v2, v7
	v_cvt_f16_f32_e32 v2, v40
	v_cvt_f16_f32_e32 v3, v41
	;; [unrolled: 1-line block ×3, first 2 shown]
	v_pack_b32_f16 v3, v2, v3
	v_cvt_f16_f32_e32 v2, v68
	v_pack_b32_f16 v2, v2, v7
	buffer_store_dwordx4 v[2:5], v6, s[28:31], 16 offen
	;;#ASMSTART
	s_nop 0
	;;#ASMEND
.LBB965_21:
	s_or_b64 exec, exec, s[8:9]
	s_cbranch_execnz .LBB965_16
.LBB965_22:
	v_mov_b32_e32 v2, 0
	s_and_saveexec_b64 s[8:9], s[0:1]
	s_cbranch_execz .LBB965_24
; %bb.23:
	v_and_b32_e32 v2, 0x7fffffff, v58
	v_and_b32_e32 v3, 0x7fffffff, v59
	v_mov_b32_e32 v4, 0x2edbe6ff
	;;#ASMSTART
	v_max3_f32 v2, v4, v2, v3

	;;#ASMEND
	v_and_b32_e32 v3, 0x7fffffff, v28
	v_and_b32_e32 v4, 0x7fffffff, v29
	;;#ASMSTART
	v_max3_f32 v2, v2, v3, v4

	;;#ASMEND
	v_and_b32_e32 v3, 0x7fffffff, v46
	v_and_b32_e32 v4, 0x7fffffff, v47
	;; [unrolled: 6-line block ×7, first 2 shown]
	;;#ASMSTART
	v_max3_f32 v2, v2, v3, v4

	;;#ASMEND
.LBB965_24:
	s_or_b64 exec, exec, s[8:9]
	;;#ASMSTART
	v_max_f32 v3, v2, v2 quad_perm:[1,0,3,2] row_mask:0xf bank_mask:0xf bound_ctrl:1
	;;#ASMEND
	;;#ASMSTART
	v_max_f32 v2, v3, v3 quad_perm:[2,3,0,1] row_mask:0xf bank_mask:0xf bound_ctrl:1
	;;#ASMEND
	v_and_b32_e32 v3, 3, v0
	v_cmp_eq_u32_e32 vcc, 0, v3
	v_cmp_gt_i32_e64 s[8:9], s15, v1
	v_mul_f32_e32 v2, 0x3b124925, v2
	s_and_b64 s[10:11], vcc, s[8:9]
	s_and_saveexec_b64 s[8:9], s[10:11]
	s_cbranch_execz .LBB965_26
; %bb.25:
	s_load_dwordx2 s[10:11], s[4:5], 0x8
	s_mul_hi_i32 s23, s25, s6
	s_mul_i32 s22, s25, s6
	v_lshrrev_b32_e32 v3, 2, v0
	s_lshl_b64 s[22:23], s[22:23], 2
	v_mad_i64_i32 v[4:5], s[26:27], s26, v3, 0
	s_waitcnt lgkmcnt(0)
	s_add_u32 s7, s10, s22
	s_addc_u32 s10, s11, s23
	v_lshlrev_b64 v[4:5], 2, v[4:5]
	v_mov_b32_e32 v3, s10
	v_add_co_u32_e32 v4, vcc, s7, v4
	v_addc_co_u32_e32 v5, vcc, v3, v5, vcc
	global_store_dword v[4:5], v2, off
.LBB965_26:
	s_or_b64 exec, exec, s[8:9]
	;;#ASMSTART
	v_rcp_f32 v2, v2
	;;#ASMEND
	s_and_saveexec_b64 s[22:23], s[0:1]
	s_cbranch_execz .LBB965_28
; %bb.27:
	v_mov_b32_e32 v3, v2
	;;#ASMSTART
	v_pk_mul_f32 v[4:5], v[58:59], v[2:3]
	;;#ASMEND
	v_mov_b32_e32 v10, 0xc3e00000
	v_mov_b32_e32 v11, 0x43e00000
	;;#ASMSTART
	v_med3_f32 v4, v4, v10, v11
v_med3_f32 v5, v5, v10, v11
v_cvt_pk_fp8_f32 v6, v4, v5
	;;#ASMEND
	;;#ASMSTART
	v_pk_mul_f32 v[4:5], v[28:29], v[2:3]
	;;#ASMEND
	;;#ASMSTART
	v_med3_f32 v4, v4, v10, v11
v_med3_f32 v5, v5, v10, v11
v_cvt_pk_fp8_f32 v7, v4, v5
	;;#ASMEND
	;;#ASMSTART
	v_pk_mul_f32 v[4:5], v[46:47], v[2:3]
	;;#ASMEND
	;; [unrolled: 8-line block ×3, first 2 shown]
	;;#ASMSTART
	v_med3_f32 v4, v4, v10, v11
v_med3_f32 v5, v5, v10, v11
v_cvt_pk_fp8_f32 v9, v4, v5
	;;#ASMEND
	s_mov_b32 s0, 0x5040100
	v_perm_b32 v4, v7, v6, s0
	s_mov_b32 s0, 0x1060504
	v_perm_b32 v4, v4, v7, s0
	s_load_dwordx2 s[0:1], s[4:5], 0x0
	s_mov_b32 s7, 0x1000504
	;;#ASMSTART
	v_pk_mul_f32 v[6:7], v[68:69], v[2:3]
	;;#ASMEND
	v_perm_b32 v5, v8, v9, s7
	s_mul_i32 s8, s24, s6
	;;#ASMSTART
	v_med3_f32 v6, v6, v10, v11
v_med3_f32 v7, v7, v10, v11
v_cvt_pk_fp8_f32 v8, v6, v7
	;;#ASMEND
	s_mul_hi_i32 s9, s24, s6
	s_waitcnt lgkmcnt(0)
	s_add_u32 s8, s0, s8
	;;#ASMSTART
	v_pk_mul_f32 v[6:7], v[40:41], v[2:3]
	;;#ASMEND
	s_addc_u32 s0, s1, s9
	s_add_i32 s1, s15, 3
	;;#ASMSTART
	v_med3_f32 v6, v6, v10, v11
v_med3_f32 v7, v7, v10, v11
v_cvt_pk_fp8_f32 v9, v6, v7
	;;#ASMEND
	s_ashr_i32 s9, s1, 31
	v_perm_b32 v6, v8, v9, s7
	;;#ASMSTART
	v_pk_mul_f32 v[8:9], v[14:15], v[2:3]
	;;#ASMEND
	v_mov_b32_e32 v7, v9
	s_lshr_b32 s9, s9, 30
	;;#ASMSTART
	v_med3_f32 v8, v8, v10, v11
v_med3_f32 v7, v7, v10, v11
v_cvt_pk_fp8_f32 v9, v8, v7
	;;#ASMEND
	;;#ASMSTART
	v_pk_mul_f32 v[2:3], v[92:93], v[2:3]
	;;#ASMEND
	s_add_i32 s1, s1, s9
	;;#ASMSTART
	v_med3_f32 v2, v2, v10, v11
v_med3_f32 v3, v3, v10, v11
v_cvt_pk_fp8_f32 v7, v2, v3
	;;#ASMEND
	s_and_b32 s10, s1, -4
	s_and_b32 s9, s0, 0xffff
	s_mov_b32 s11, 0x20000
	v_perm_b32 v7, v9, v7, s7
	buffer_store_dwordx4 v[4:7], v1, s[8:11], 0 offen
	;;#ASMSTART
	s_nop 0
	;;#ASMEND
.LBB965_28:
	s_or_b64 exec, exec, s[22:23]
	s_cmp_lt_i32 s16, 1
	s_cbranch_scc1 .LBB965_17
.LBB965_29:
	s_load_dword s0, s[4:5], 0x94
	s_waitcnt lgkmcnt(0)
	s_cmp_lg_u32 s0, 1
	s_cbranch_scc1 .LBB965_17
; %bb.30:
	s_lshl_b32 s0, s16, 1
	s_add_i32 s0, s0, 2
	v_cmp_gt_u32_e32 vcc, s16, v1
	s_and_b32 s22, s0, -4
	v_mov_b32_e32 v18, 0
	v_lshlrev_b32_e32 v1, 5, v0
	v_mov_b32_e32 v14, 0
	v_mov_b32_e32 v15, 0
	;; [unrolled: 1-line block ×16, first 2 shown]
	s_barrier
	s_and_saveexec_b64 s[0:1], vcc
	s_cbranch_execz .LBB965_32
; %bb.31:
	s_mul_hi_i32 s5, s18, s6
	s_mul_i32 s4, s18, s6
	s_and_b32 s21, s21, 0xffff
	s_lshl_b64 s[4:5], s[4:5], 1
	s_add_u32 s8, s36, s4
	s_mov_b32 s23, 0x20000
	s_addc_u32 s4, s37, s5
	s_and_b32 s9, s4, 0xffff
	s_mov_b32 s10, s22
	s_mov_b32 s11, s23
	buffer_load_dwordx4 v[14:17], v1, s[8:11], 0 offen
	buffer_load_dwordx4 v[10:13], v1, s[8:11], 16 offen
	;; [unrolled: 1-line block ×4, first 2 shown]
.LBB965_32:
	s_or_b64 exec, exec, s[0:1]
	v_mov_b32_e32 v19, 0
	v_mov_b32_e32 v32, 0
	;; [unrolled: 1-line block ×15, first 2 shown]
	s_and_saveexec_b64 s[0:1], vcc
	s_cbranch_execz .LBB965_34
; %bb.33:
	s_waitcnt vmcnt(3)
	v_cvt_f32_f16_sdwa v19, v14 dst_sel:DWORD dst_unused:UNUSED_PAD src0_sel:WORD_1
	v_cvt_f32_f16_e32 v18, v14
	v_cvt_f32_f16_sdwa v33, v15 dst_sel:DWORD dst_unused:UNUSED_PAD src0_sel:WORD_1
	v_cvt_f32_f16_e32 v32, v15
	;; [unrolled: 2-line block ×4, first 2 shown]
	s_waitcnt vmcnt(2)
	v_cvt_f32_f16_sdwa v27, v10 dst_sel:DWORD dst_unused:UNUSED_PAD src0_sel:WORD_1
	v_cvt_f32_f16_e32 v26, v10
	v_cvt_f32_f16_sdwa v25, v11 dst_sel:DWORD dst_unused:UNUSED_PAD src0_sel:WORD_1
	v_cvt_f32_f16_e32 v24, v11
	;; [unrolled: 2-line block ×4, first 2 shown]
.LBB965_34:
	s_or_b64 exec, exec, s[0:1]
	s_waitcnt vmcnt(2)
	v_mul_f32_e32 v10, v19, v19
	v_fmac_f32_e32 v10, v18, v18
	v_fmac_f32_e32 v10, v32, v32
	;; [unrolled: 1-line block ×15, first 2 shown]
	s_nop 1
	v_mov_b32_dpp v11, v10 quad_perm:[1,0,3,2] row_mask:0xf bank_mask:0xf
	v_add_f32_e32 v10, v10, v11
	s_nop 1
	v_mov_b32_dpp v11, v10 quad_perm:[2,3,0,1] row_mask:0xf bank_mask:0xf
	v_add_f32_e32 v10, v10, v11
	s_nop 1
	v_mov_b32_dpp v11, v10 row_half_mirror row_mask:0xf bank_mask:0xf
	v_add_f32_e32 v10, v10, v11
	s_nop 1
	v_mov_b32_dpp v11, v10 row_mirror row_mask:0xf bank_mask:0xf
	v_add_f32_e32 v10, v10, v11
	s_nop 1
	v_mov_b32_dpp v11, v10 row_bcast:15 row_mask:0xf bank_mask:0xf
	v_add_f32_e32 v10, v10, v11
	s_nop 1
	v_mov_b32_dpp v11, v10 row_bcast:31 row_mask:0xf bank_mask:0xf
	s_and_saveexec_b64 s[0:1], s[2:3]
	s_cbranch_execz .LBB965_36
; %bb.35:
	v_lshrrev_b32_e32 v0, 4, v0
	v_add_f32_e32 v10, v10, v11
	v_and_b32_e32 v0, 60, v0
	ds_write_b32 v0, v10
.LBB965_36:
	s_or_b64 exec, exec, s[0:1]
	s_waitcnt lgkmcnt(0)
	s_barrier
	ds_read_b32 v0, v34
	s_waitcnt lgkmcnt(0)
	s_nop 0
	v_mov_b32_dpp v10, v0 quad_perm:[1,0,3,2] row_mask:0xf bank_mask:0xf
	v_add_f32_e32 v0, v0, v10
	s_nop 1
	v_mov_b32_dpp v10, v0 quad_perm:[2,3,0,1] row_mask:0xf bank_mask:0xf
	v_add_f32_e32 v0, v0, v10
	s_nop 1
	v_mov_b32_dpp v10, v0 row_half_mirror row_mask:0xf bank_mask:0xf
	s_and_saveexec_b64 s[0:1], vcc
	s_cbranch_execz .LBB965_17
; %bb.37:
	v_cvt_f32_u32_e32 v11, s16
	v_add_f32_e32 v0, v0, v10
	s_mov_b32 s23, 0x20000
	v_div_scale_f32 v10, s[0:1], v11, v11, v0
	v_rcp_f32_e32 v12, v10
	v_div_scale_f32 v13, vcc, v0, v11, v0
	s_mov_b32 s0, 0x800000
	v_fma_f32 v14, -v10, v12, 1.0
	v_fmac_f32_e32 v12, v14, v12
	v_mul_f32_e32 v14, v13, v12
	v_fma_f32 v15, -v10, v14, v13
	v_fmac_f32_e32 v14, v15, v12
	v_fma_f32 v10, -v10, v14, v13
	v_div_fmas_f32 v10, v10, v12, v14
	v_div_fixup_f32 v0, v10, v11, v0
	v_add_f32_e32 v0, s13, v0
	v_mul_f32_e32 v10, 0x4b800000, v0
	v_cmp_gt_f32_e32 vcc, s0, v0
	v_cndmask_b32_e32 v0, v0, v10, vcc
	v_rsq_f32_e32 v0, v0
	s_mul_hi_i32 s1, s34, s6
	s_mul_i32 s0, s34, s6
	s_lshl_b64 s[0:1], s[0:1], 1
	v_mul_f32_e32 v10, 0x45800000, v0
	v_cndmask_b32_e32 v10, v0, v10, vcc
	v_mov_b32_e32 v11, v10
	;;#ASMSTART
	v_pk_mul_f32 v[12:13], v[18:19], v[10:11]
	;;#ASMEND
	;;#ASMSTART
	v_pk_mul_f32 v[14:15], v[32:33], v[10:11]
	;;#ASMEND
	;; [unrolled: 3-line block ×8, first 2 shown]
	s_waitcnt vmcnt(1)
	v_cvt_f32_f16_sdwa v21, v6 dst_sel:DWORD dst_unused:UNUSED_PAD src0_sel:WORD_1
	v_cvt_f32_f16_e32 v20, v6
	v_cvt_f32_f16_sdwa v29, v7 dst_sel:DWORD dst_unused:UNUSED_PAD src0_sel:WORD_1
	v_cvt_f32_f16_e32 v28, v7
	;; [unrolled: 2-line block ×4, first 2 shown]
	;;#ASMSTART
	v_pk_mul_f32 v[8:9], v[12:13], v[20:21]
	;;#ASMEND
	;;#ASMSTART
	v_pk_mul_f32 v[12:13], v[14:15], v[28:29]
	;;#ASMEND
	;; [unrolled: 3-line block ×4, first 2 shown]
	s_waitcnt vmcnt(0)
	v_cvt_f32_f16_sdwa v17, v2 dst_sel:DWORD dst_unused:UNUSED_PAD src0_sel:WORD_1
	v_cvt_f32_f16_e32 v16, v2
	v_cvt_f32_f16_sdwa v19, v3 dst_sel:DWORD dst_unused:UNUSED_PAD src0_sel:WORD_1
	v_cvt_f32_f16_e32 v18, v3
	;; [unrolled: 2-line block ×4, first 2 shown]
	;;#ASMSTART
	v_pk_mul_f32 v[16:17], v[26:27], v[16:17]
	;;#ASMEND
	;;#ASMSTART
	v_pk_mul_f32 v[18:19], v[24:25], v[18:19]
	;;#ASMEND
	;; [unrolled: 3-line block ×3, first 2 shown]
	v_cvt_f16_f32_e32 v0, v8
	v_cvt_f16_f32_e32 v2, v9
	;; [unrolled: 1-line block ×8, first 2 shown]
	s_add_u32 s20, s38, s0
	s_addc_u32 s0, s39, s1
	s_and_b32 s21, s0, 0xffff
	v_pack_b32_f16 v2, v0, v2
	v_pack_b32_f16 v3, v3, v4
	;; [unrolled: 1-line block ×4, first 2 shown]
	;;#ASMSTART
	v_pk_mul_f32 v[10:11], v[10:11], v[20:21]
	;;#ASMEND
	buffer_store_dwordx4 v[2:5], v1, s[20:23], 0 offen
	v_cvt_f16_f32_e32 v0, v16
	v_cvt_f16_f32_e32 v2, v17
	;; [unrolled: 1-line block ×8, first 2 shown]
	v_pack_b32_f16 v2, v0, v2
	v_pack_b32_f16 v3, v3, v4
	;; [unrolled: 1-line block ×4, first 2 shown]
	;;#ASMSTART
	s_nop 0
	;;#ASMEND
	buffer_store_dwordx4 v[2:5], v1, s[20:23], 16 offen
	;;#ASMSTART
	s_nop 0
	;;#ASMEND
	s_endpgm
	.section	.rodata,"a",@progbits
	.p2align	6, 0x0
	.amdhsa_kernel _ZN5aiter35fused_qk_rmsnorm_group_quant_kernelIDF16_DB8_Li512ELi16ELi4ELb1ELb0ELb0ELb0ELb0ELb0EEEvPT0_PvPT_S6_S6_PKS5_S8_S8_S8_S8_ffiiiiiiiiiiiii
		.amdhsa_group_segment_fixed_size 64
		.amdhsa_private_segment_fixed_size 0
		.amdhsa_kernarg_size 400
		.amdhsa_user_sgpr_count 6
		.amdhsa_user_sgpr_private_segment_buffer 1
		.amdhsa_user_sgpr_dispatch_ptr 0
		.amdhsa_user_sgpr_queue_ptr 0
		.amdhsa_user_sgpr_kernarg_segment_ptr 1
		.amdhsa_user_sgpr_dispatch_id 0
		.amdhsa_user_sgpr_flat_scratch_init 0
		.amdhsa_user_sgpr_kernarg_preload_length 0
		.amdhsa_user_sgpr_kernarg_preload_offset 0
		.amdhsa_user_sgpr_private_segment_size 0
		.amdhsa_uses_dynamic_stack 0
		.amdhsa_system_sgpr_private_segment_wavefront_offset 0
		.amdhsa_system_sgpr_workgroup_id_x 1
		.amdhsa_system_sgpr_workgroup_id_y 1
		.amdhsa_system_sgpr_workgroup_id_z 0
		.amdhsa_system_sgpr_workgroup_info 0
		.amdhsa_system_vgpr_workitem_id 0
		.amdhsa_next_free_vgpr 94
		.amdhsa_next_free_sgpr 44
		.amdhsa_accum_offset 96
		.amdhsa_reserve_vcc 1
		.amdhsa_reserve_flat_scratch 0
		.amdhsa_float_round_mode_32 0
		.amdhsa_float_round_mode_16_64 0
		.amdhsa_float_denorm_mode_32 3
		.amdhsa_float_denorm_mode_16_64 3
		.amdhsa_dx10_clamp 1
		.amdhsa_ieee_mode 1
		.amdhsa_fp16_overflow 0
		.amdhsa_tg_split 0
		.amdhsa_exception_fp_ieee_invalid_op 0
		.amdhsa_exception_fp_denorm_src 0
		.amdhsa_exception_fp_ieee_div_zero 0
		.amdhsa_exception_fp_ieee_overflow 0
		.amdhsa_exception_fp_ieee_underflow 0
		.amdhsa_exception_fp_ieee_inexact 0
		.amdhsa_exception_int_div_zero 0
	.end_amdhsa_kernel
	.section	.text._ZN5aiter35fused_qk_rmsnorm_group_quant_kernelIDF16_DB8_Li512ELi16ELi4ELb1ELb0ELb0ELb0ELb0ELb0EEEvPT0_PvPT_S6_S6_PKS5_S8_S8_S8_S8_ffiiiiiiiiiiiii,"axG",@progbits,_ZN5aiter35fused_qk_rmsnorm_group_quant_kernelIDF16_DB8_Li512ELi16ELi4ELb1ELb0ELb0ELb0ELb0ELb0EEEvPT0_PvPT_S6_S6_PKS5_S8_S8_S8_S8_ffiiiiiiiiiiiii,comdat
.Lfunc_end965:
	.size	_ZN5aiter35fused_qk_rmsnorm_group_quant_kernelIDF16_DB8_Li512ELi16ELi4ELb1ELb0ELb0ELb0ELb0ELb0EEEvPT0_PvPT_S6_S6_PKS5_S8_S8_S8_S8_ffiiiiiiiiiiiii, .Lfunc_end965-_ZN5aiter35fused_qk_rmsnorm_group_quant_kernelIDF16_DB8_Li512ELi16ELi4ELb1ELb0ELb0ELb0ELb0ELb0EEEvPT0_PvPT_S6_S6_PKS5_S8_S8_S8_S8_ffiiiiiiiiiiiii
                                        ; -- End function
	.section	.AMDGPU.csdata,"",@progbits
; Kernel info:
; codeLenInByte = 4064
; NumSgprs: 48
; NumVgprs: 94
; NumAgprs: 0
; TotalNumVgprs: 94
; ScratchSize: 0
; MemoryBound: 0
; FloatMode: 240
; IeeeMode: 1
; LDSByteSize: 64 bytes/workgroup (compile time only)
; SGPRBlocks: 5
; VGPRBlocks: 11
; NumSGPRsForWavesPerEU: 48
; NumVGPRsForWavesPerEU: 94
; AccumOffset: 96
; Occupancy: 5
; WaveLimiterHint : 0
; COMPUTE_PGM_RSRC2:SCRATCH_EN: 0
; COMPUTE_PGM_RSRC2:USER_SGPR: 6
; COMPUTE_PGM_RSRC2:TRAP_HANDLER: 0
; COMPUTE_PGM_RSRC2:TGID_X_EN: 1
; COMPUTE_PGM_RSRC2:TGID_Y_EN: 1
; COMPUTE_PGM_RSRC2:TGID_Z_EN: 0
; COMPUTE_PGM_RSRC2:TIDIG_COMP_CNT: 0
; COMPUTE_PGM_RSRC3_GFX90A:ACCUM_OFFSET: 23
; COMPUTE_PGM_RSRC3_GFX90A:TG_SPLIT: 0
	.section	.text._ZN5aiter35fused_qk_rmsnorm_group_quant_kernelItDB8_Li512ELi16ELi4ELb1ELb0ELb0ELb0ELb0ELb0EEEvPT0_PvPT_S6_S6_PKS5_S8_S8_S8_S8_ffiiiiiiiiiiiii,"axG",@progbits,_ZN5aiter35fused_qk_rmsnorm_group_quant_kernelItDB8_Li512ELi16ELi4ELb1ELb0ELb0ELb0ELb0ELb0EEEvPT0_PvPT_S6_S6_PKS5_S8_S8_S8_S8_ffiiiiiiiiiiiii,comdat
	.protected	_ZN5aiter35fused_qk_rmsnorm_group_quant_kernelItDB8_Li512ELi16ELi4ELb1ELb0ELb0ELb0ELb0ELb0EEEvPT0_PvPT_S6_S6_PKS5_S8_S8_S8_S8_ffiiiiiiiiiiiii ; -- Begin function _ZN5aiter35fused_qk_rmsnorm_group_quant_kernelItDB8_Li512ELi16ELi4ELb1ELb0ELb0ELb0ELb0ELb0EEEvPT0_PvPT_S6_S6_PKS5_S8_S8_S8_S8_ffiiiiiiiiiiiii
	.globl	_ZN5aiter35fused_qk_rmsnorm_group_quant_kernelItDB8_Li512ELi16ELi4ELb1ELb0ELb0ELb0ELb0ELb0EEEvPT0_PvPT_S6_S6_PKS5_S8_S8_S8_S8_ffiiiiiiiiiiiii
	.p2align	8
	.type	_ZN5aiter35fused_qk_rmsnorm_group_quant_kernelItDB8_Li512ELi16ELi4ELb1ELb0ELb0ELb0ELb0ELb0EEEvPT0_PvPT_S6_S6_PKS5_S8_S8_S8_S8_ffiiiiiiiiiiiii,@function
_ZN5aiter35fused_qk_rmsnorm_group_quant_kernelItDB8_Li512ELi16ELi4ELb1ELb0ELb0ELb0ELb0ELb0EEEvPT0_PvPT_S6_S6_PKS5_S8_S8_S8_S8_ffiiiiiiiiiiiii: ; @_ZN5aiter35fused_qk_rmsnorm_group_quant_kernelItDB8_Li512ELi16ELi4ELb1ELb0ELb0ELb0ELb0ELb0EEEvPT0_PvPT_S6_S6_PKS5_S8_S8_S8_S8_ffiiiiiiiiiiiii
; %bb.0:
	s_load_dwordx8 s[12:19], s[4:5], 0x50
	s_waitcnt lgkmcnt(0)
	s_cmp_ge_i32 s6, s14
	s_cbranch_scc1 .LBB966_17
; %bb.1:
	s_cmp_lg_u32 s7, 0
	s_cselect_b64 s[10:11], -1, 0
	s_cmp_eq_u32 s7, 0
	s_cselect_b64 s[8:9], -1, 0
	s_and_b64 s[0:1], s[8:9], exec
	s_load_dwordx2 s[20:21], s[4:5], 0x48
	s_load_dwordx2 s[36:37], s[4:5], 0x30
	s_load_dwordx4 s[24:27], s[4:5], 0x70
	s_cselect_b32 s7, s15, s16
	s_add_i32 s0, s7, 1
	s_lshr_b32 s1, s0, 31
	s_add_i32 s0, s0, s1
	s_lshl_b32 s0, s0, 1
	v_lshlrev_b32_e32 v1, 4, v0
	s_and_b32 s30, s0, -4
	v_cmp_gt_i32_e64 s[0:1], s7, v1
	v_mov_b32_e32 v82, 0
	v_mov_b32_e32 v83, 0
	;; [unrolled: 1-line block ×16, first 2 shown]
	s_and_saveexec_b64 s[2:3], s[0:1]
	s_cbranch_execz .LBB966_3
; %bb.2:
	s_load_dwordx2 s[22:23], s[4:5], 0x28
	s_load_dwordx2 s[28:29], s[4:5], 0x40
	s_and_b64 s[34:35], s[8:9], exec
	s_cselect_b32 s14, s17, s18
	s_mov_b32 s31, 0x20000
	s_waitcnt lgkmcnt(0)
	s_cselect_b32 s17, s23, s37
	s_cselect_b32 s27, s22, s36
	s_mul_hi_i32 s23, s14, s6
	s_mul_i32 s22, s14, s6
	s_lshl_b64 s[22:23], s[22:23], 1
	s_add_u32 s40, s27, s22
	s_addc_u32 s14, s17, s23
	s_and_b64 s[22:23], s[8:9], exec
	s_cselect_b32 s28, s28, s20
	s_cselect_b32 s17, s29, s21
	s_and_b32 s41, s14, 0xffff
	s_mov_b32 s42, s30
	s_mov_b32 s43, s31
	v_lshlrev_b32_e32 v2, 5, v0
	s_and_b32 s29, s17, 0xffff
	buffer_load_dwordx4 v[86:89], v2, s[40:43], 0 offen
	buffer_load_dwordx4 v[90:93], v2, s[40:43], 16 offen
	;; [unrolled: 1-line block ×4, first 2 shown]
.LBB966_3:
	s_or_b64 exec, exec, s[2:3]
	s_load_dwordx2 s[34:35], s[4:5], 0x80
	s_and_b64 vcc, exec, s[10:11]
	s_cbranch_vccz .LBB966_7
; %bb.4:
	v_mov_b32_e32 v95, 0
	v_mov_b32_e32 v94, 0
	;; [unrolled: 1-line block ×16, first 2 shown]
	s_and_saveexec_b64 s[2:3], s[0:1]
	s_cbranch_execz .LBB966_6
; %bb.5:
	s_waitcnt vmcnt(3)
	v_cvt_f32_u32_sdwa v62, v86 dst_sel:DWORD dst_unused:UNUSED_PAD src0_sel:WORD_0
	v_cvt_f32_u32_sdwa v63, v86 dst_sel:DWORD dst_unused:UNUSED_PAD src0_sel:WORD_1
	v_cvt_f32_u32_sdwa v24, v87 dst_sel:DWORD dst_unused:UNUSED_PAD src0_sel:WORD_0
	v_cvt_f32_u32_sdwa v25, v87 dst_sel:DWORD dst_unused:UNUSED_PAD src0_sel:WORD_1
	;; [unrolled: 2-line block ×4, first 2 shown]
	s_waitcnt vmcnt(2)
	v_cvt_f32_u32_sdwa v42, v90 dst_sel:DWORD dst_unused:UNUSED_PAD src0_sel:WORD_0
	v_cvt_f32_u32_sdwa v43, v90 dst_sel:DWORD dst_unused:UNUSED_PAD src0_sel:WORD_1
	v_cvt_f32_u32_sdwa v18, v91 dst_sel:DWORD dst_unused:UNUSED_PAD src0_sel:WORD_0
	v_cvt_f32_u32_sdwa v19, v91 dst_sel:DWORD dst_unused:UNUSED_PAD src0_sel:WORD_1
	;; [unrolled: 2-line block ×4, first 2 shown]
.LBB966_6:
	s_or_b64 exec, exec, s[2:3]
	s_cbranch_execz .LBB966_8
	s_branch .LBB966_11
.LBB966_7:
                                        ; implicit-def: $vgpr22_vgpr23_vgpr24_vgpr25_vgpr26_vgpr27_vgpr28_vgpr29_vgpr30_vgpr31_vgpr32_vgpr33_vgpr34_vgpr35_vgpr36_vgpr37
                                        ; implicit-def: $vgpr46_vgpr47_vgpr48_vgpr49_vgpr50_vgpr51_vgpr52_vgpr53_vgpr54_vgpr55_vgpr56_vgpr57_vgpr58_vgpr59_vgpr60_vgpr61
                                        ; implicit-def: $vgpr26_vgpr27_vgpr28_vgpr29_vgpr30_vgpr31_vgpr32_vgpr33_vgpr34_vgpr35_vgpr36_vgpr37_vgpr38_vgpr39_vgpr40_vgpr41
                                        ; implicit-def: $vgpr8_vgpr9_vgpr10_vgpr11_vgpr12_vgpr13_vgpr14_vgpr15_vgpr16_vgpr17_vgpr18_vgpr19_vgpr20_vgpr21_vgpr22_vgpr23
                                        ; implicit-def: $vgpr95
                                        ; implicit-def: $vgpr62_vgpr63_vgpr64_vgpr65_vgpr66_vgpr67_vgpr68_vgpr69_vgpr70_vgpr71_vgpr72_vgpr73_vgpr74_vgpr75_vgpr76_vgpr77
                                        ; implicit-def: $vgpr34_vgpr35_vgpr36_vgpr37_vgpr38_vgpr39_vgpr40_vgpr41_vgpr42_vgpr43_vgpr44_vgpr45_vgpr46_vgpr47_vgpr48_vgpr49
                                        ; implicit-def: $vgpr2_vgpr3_vgpr4_vgpr5_vgpr6_vgpr7_vgpr8_vgpr9_vgpr10_vgpr11_vgpr12_vgpr13_vgpr14_vgpr15_vgpr16_vgpr17
.LBB966_8:
	v_mov_b32_e32 v95, 0
	v_mov_b32_e32 v94, 0
	v_mov_b32_e32 v15, 0
	v_mov_b32_e32 v14, 0
	v_mov_b32_e32 v19, 0
	v_mov_b32_e32 v18, 0
	v_mov_b32_e32 v43, 0
	v_mov_b32_e32 v42, 0
	v_mov_b32_e32 v33, 0
	v_mov_b32_e32 v32, 0
	v_mov_b32_e32 v51, 0
	v_mov_b32_e32 v50, 0
	v_mov_b32_e32 v25, 0
	v_mov_b32_e32 v24, 0
	v_mov_b32_e32 v63, 0
	v_mov_b32_e32 v62, 0
	s_and_saveexec_b64 s[2:3], s[0:1]
	s_cbranch_execz .LBB966_10
; %bb.9:
	s_load_dwordx2 s[22:23], s[4:5], 0x38
	s_mul_hi_i32 s29, s19, s6
	s_mul_i32 s28, s19, s6
	s_lshl_b64 s[28:29], s[28:29], 1
	s_mov_b32 s31, 0x20000
	s_waitcnt lgkmcnt(0)
	s_add_u32 s28, s22, s28
	s_addc_u32 s14, s23, s29
	s_and_b32 s29, s14, 0xffff
	v_lshlrev_b32_e32 v38, 5, v0
	buffer_load_dwordx4 v[4:7], v38, s[28:31], 16 offen
	buffer_load_dwordx4 v[8:11], v38, s[28:31], 0 offen
	s_load_dwordx2 s[22:23], s[4:5], 0x20
	s_waitcnt vmcnt(5)
	v_cvt_f32_u32_sdwa v19, v86 dst_sel:DWORD dst_unused:UNUSED_PAD src0_sel:WORD_1
	v_cvt_f32_u32_sdwa v18, v86 dst_sel:DWORD dst_unused:UNUSED_PAD src0_sel:WORD_0
	v_cvt_f32_u32_sdwa v21, v87 dst_sel:DWORD dst_unused:UNUSED_PAD src0_sel:WORD_1
	v_cvt_f32_u32_sdwa v20, v87 dst_sel:DWORD dst_unused:UNUSED_PAD src0_sel:WORD_0
	;; [unrolled: 2-line block ×4, first 2 shown]
	s_waitcnt vmcnt(4)
	v_cvt_f32_u32_sdwa v3, v90 dst_sel:DWORD dst_unused:UNUSED_PAD src0_sel:WORD_1
	v_cvt_f32_u32_sdwa v2, v90 dst_sel:DWORD dst_unused:UNUSED_PAD src0_sel:WORD_0
	v_cvt_f32_u32_sdwa v13, v91 dst_sel:DWORD dst_unused:UNUSED_PAD src0_sel:WORD_1
	v_cvt_f32_u32_sdwa v12, v91 dst_sel:DWORD dst_unused:UNUSED_PAD src0_sel:WORD_0
	v_cvt_f32_u32_sdwa v15, v92 dst_sel:DWORD dst_unused:UNUSED_PAD src0_sel:WORD_1
	v_cvt_f32_u32_sdwa v14, v92 dst_sel:DWORD dst_unused:UNUSED_PAD src0_sel:WORD_0
	v_cvt_f32_u32_sdwa v16, v93 dst_sel:DWORD dst_unused:UNUSED_PAD src0_sel:WORD_0
	v_cvt_f32_u32_sdwa v17, v93 dst_sel:DWORD dst_unused:UNUSED_PAD src0_sel:WORD_1
	s_mul_hi_i32 s29, s35, s6
	s_mul_i32 s28, s35, s6
	s_lshl_b64 s[28:29], s[28:29], 1
	s_waitcnt lgkmcnt(0)
	s_add_u32 s28, s22, s28
	s_mov_b32 s14, 0x7060302
	s_addc_u32 s17, s23, s29
	s_and_b32 s29, s17, 0xffff
	s_waitcnt vmcnt(1)
	v_cvt_f32_u32_sdwa v27, v4 dst_sel:DWORD dst_unused:UNUSED_PAD src0_sel:WORD_1
	v_cvt_f32_u32_sdwa v26, v4 dst_sel:DWORD dst_unused:UNUSED_PAD src0_sel:WORD_0
	v_cvt_f32_u32_sdwa v29, v5 dst_sel:DWORD dst_unused:UNUSED_PAD src0_sel:WORD_1
	v_cvt_f32_u32_sdwa v28, v5 dst_sel:DWORD dst_unused:UNUSED_PAD src0_sel:WORD_0
	v_cvt_f32_u32_sdwa v31, v6 dst_sel:DWORD dst_unused:UNUSED_PAD src0_sel:WORD_1
	v_cvt_f32_u32_sdwa v30, v6 dst_sel:DWORD dst_unused:UNUSED_PAD src0_sel:WORD_0
	v_cvt_f32_u32_sdwa v34, v7 dst_sel:DWORD dst_unused:UNUSED_PAD src0_sel:WORD_0
	v_cvt_f32_u32_sdwa v35, v7 dst_sel:DWORD dst_unused:UNUSED_PAD src0_sel:WORD_1
	s_waitcnt vmcnt(0)
	v_cvt_f32_u32_sdwa v37, v8 dst_sel:DWORD dst_unused:UNUSED_PAD src0_sel:WORD_1
	v_cvt_f32_u32_sdwa v36, v8 dst_sel:DWORD dst_unused:UNUSED_PAD src0_sel:WORD_0
	v_cvt_f32_u32_sdwa v5, v10 dst_sel:DWORD dst_unused:UNUSED_PAD src0_sel:WORD_1
	v_cvt_f32_u32_sdwa v4, v10 dst_sel:DWORD dst_unused:UNUSED_PAD src0_sel:WORD_0
	;; [unrolled: 2-line block ×4, first 2 shown]
	v_pk_add_f32 v[50:51], v[22:23], v[4:5]
	v_pk_add_f32 v[32:33], v[24:25], v[6:7]
	v_pk_add_f32 v[62:63], v[18:19], v[36:37]
	v_pk_add_f32 v[24:25], v[20:21], v[10:11]
	v_perm_b32 v7, v33, v32, s14
	v_perm_b32 v6, v51, v50, s14
	;; [unrolled: 1-line block ×4, first 2 shown]
	v_pk_add_f32 v[94:95], v[16:17], v[34:35]
	v_pk_add_f32 v[14:15], v[14:15], v[30:31]
	v_pk_add_f32 v[18:19], v[12:13], v[28:29]
	v_pk_add_f32 v[42:43], v[2:3], v[26:27]
	buffer_store_dwordx4 v[4:7], v38, s[28:31], 0 offen
	;;#ASMSTART
	s_nop 0
	;;#ASMEND
	s_nop 0
	v_perm_b32 v7, v95, v94, s14
	v_perm_b32 v6, v15, v14, s14
	v_perm_b32 v5, v19, v18, s14
	v_perm_b32 v4, v43, v42, s14
	buffer_store_dwordx4 v[4:7], v38, s[28:31], 16 offen
	;;#ASMSTART
	s_nop 0
	;;#ASMEND
.LBB966_10:
	s_or_b64 exec, exec, s[2:3]
.LBB966_11:
	v_mul_f32_e32 v2, v63, v63
	v_fmac_f32_e32 v2, v62, v62
	v_fmac_f32_e32 v2, v24, v24
	;; [unrolled: 1-line block ×15, first 2 shown]
	s_nop 1
	v_mov_b32_dpp v3, v2 quad_perm:[1,0,3,2] row_mask:0xf bank_mask:0xf
	v_add_f32_e32 v2, v2, v3
	s_nop 1
	v_mov_b32_dpp v3, v2 quad_perm:[2,3,0,1] row_mask:0xf bank_mask:0xf
	v_add_f32_e32 v2, v2, v3
	s_nop 1
	v_mov_b32_dpp v3, v2 row_half_mirror row_mask:0xf bank_mask:0xf
	v_add_f32_e32 v2, v2, v3
	s_nop 1
	v_mov_b32_dpp v3, v2 row_mirror row_mask:0xf bank_mask:0xf
	v_add_f32_e32 v2, v2, v3
	s_nop 1
	v_mov_b32_dpp v3, v2 row_bcast:15 row_mask:0xf bank_mask:0xf
	v_add_f32_e32 v2, v2, v3
	v_and_b32_e32 v3, 63, v0
	v_cmp_eq_u32_e64 s[2:3], 63, v3
	s_nop 0
	v_mov_b32_dpp v3, v2 row_bcast:31 row_mask:0xf bank_mask:0xf
	s_and_saveexec_b64 s[22:23], s[2:3]
	s_cbranch_execz .LBB966_13
; %bb.12:
	v_add_f32_e32 v2, v2, v3
	v_lshrrev_b32_e32 v3, 4, v0
	v_and_b32_e32 v3, 60, v3
	ds_write_b32 v3, v2 offset:32
.LBB966_13:
	s_or_b64 exec, exec, s[22:23]
	v_and_b32_e32 v2, 7, v0
	v_lshlrev_b32_e32 v34, 2, v2
	s_waitcnt lgkmcnt(0)
	s_barrier
	ds_read_b32 v2, v34 offset:32
	s_load_dwordx2 s[38:39], s[4:5], 0x18
	s_waitcnt lgkmcnt(0)
	v_mov_b32_dpp v3, v2 quad_perm:[1,0,3,2] row_mask:0xf bank_mask:0xf
	v_add_f32_e32 v2, v2, v3
	s_nop 1
	v_mov_b32_dpp v3, v2 quad_perm:[2,3,0,1] row_mask:0xf bank_mask:0xf
	v_add_f32_e32 v2, v2, v3
	s_nop 1
	v_mov_b32_dpp v3, v2 row_half_mirror row_mask:0xf bank_mask:0xf
	s_and_saveexec_b64 s[22:23], s[0:1]
	s_cbranch_execnz .LBB966_18
; %bb.14:
	s_or_b64 exec, exec, s[22:23]
	s_mov_b64 s[8:9], -1
	s_and_b64 vcc, exec, s[10:11]
	s_cbranch_vccnz .LBB966_19
.LBB966_15:
	s_andn2_b64 vcc, exec, s[8:9]
	s_cbranch_vccz .LBB966_22
.LBB966_16:
	s_cmp_lt_i32 s16, 1
	s_cbranch_scc0 .LBB966_29
.LBB966_17:
	s_endpgm
.LBB966_18:
	v_add_f32_e32 v2, v2, v3
	v_cvt_f32_u32_e32 v3, s7
	s_mov_b32 s7, 0x800000
	s_waitcnt vmcnt(1)
	v_cvt_f32_u32_sdwa v21, v83 dst_sel:DWORD dst_unused:UNUSED_PAD src0_sel:WORD_1
	v_cvt_f32_u32_sdwa v20, v83 dst_sel:DWORD dst_unused:UNUSED_PAD src0_sel:WORD_0
	v_div_scale_f32 v4, s[28:29], v3, v3, v2
	v_rcp_f32_e32 v5, v4
	s_waitcnt vmcnt(0)
	v_cvt_f32_u32_sdwa v23, v80 dst_sel:DWORD dst_unused:UNUSED_PAD src0_sel:WORD_1
	v_cvt_f32_u32_sdwa v22, v80 dst_sel:DWORD dst_unused:UNUSED_PAD src0_sel:WORD_0
	v_cvt_f32_u32_sdwa v27, v81 dst_sel:DWORD dst_unused:UNUSED_PAD src0_sel:WORD_1
	v_fma_f32 v6, -v4, v5, 1.0
	v_fmac_f32_e32 v5, v6, v5
	v_div_scale_f32 v6, vcc, v2, v3, v2
	v_mul_f32_e32 v7, v6, v5
	v_fma_f32 v8, -v4, v7, v6
	v_fmac_f32_e32 v7, v8, v5
	v_fma_f32 v4, -v4, v7, v6
	v_div_fmas_f32 v4, v4, v5, v7
	v_div_fixup_f32 v2, v4, v3, v2
	v_mov_b32_e32 v3, s13
	v_mov_b32_e32 v4, s12
	v_cndmask_b32_e64 v3, v3, v4, s[8:9]
	v_add_f32_e32 v2, v3, v2
	v_mul_f32_e32 v3, 0x4b800000, v2
	v_cmp_gt_f32_e32 vcc, s7, v2
	v_cndmask_b32_e32 v2, v2, v3, vcc
	v_rsq_f32_e32 v2, v2
	v_cvt_f32_u32_sdwa v26, v81 dst_sel:DWORD dst_unused:UNUSED_PAD src0_sel:WORD_0
	v_mul_f32_e32 v3, 0x45800000, v2
	v_cndmask_b32_e32 v2, v2, v3, vcc
	v_mov_b32_e32 v3, v2
	;;#ASMSTART
	v_pk_mul_f32 v[4:5], v[62:63], v[2:3]
	;;#ASMEND
	;;#ASMSTART
	v_pk_mul_f32 v[6:7], v[24:25], v[2:3]
	;;#ASMEND
	;; [unrolled: 3-line block ×6, first 2 shown]
	v_cvt_f32_u32_sdwa v19, v82 dst_sel:DWORD dst_unused:UNUSED_PAD src0_sel:WORD_1
	v_cvt_f32_u32_sdwa v18, v82 dst_sel:DWORD dst_unused:UNUSED_PAD src0_sel:WORD_0
	;;#ASMSTART
	v_pk_mul_f32 v[14:15], v[14:15], v[2:3]
	;;#ASMEND
	;;#ASMSTART
	v_pk_mul_f32 v[2:3], v[94:95], v[2:3]
	;;#ASMEND
	;;#ASMSTART
	v_pk_mul_f32 v[62:63], v[4:5], v[18:19]
	;;#ASMEND
	v_cvt_f32_u32_sdwa v19, v78 dst_sel:DWORD dst_unused:UNUSED_PAD src0_sel:WORD_1
	v_cvt_f32_u32_sdwa v18, v78 dst_sel:DWORD dst_unused:UNUSED_PAD src0_sel:WORD_0
	;;#ASMSTART
	v_pk_mul_f32 v[24:25], v[6:7], v[20:21]
	;;#ASMEND
	v_cvt_f32_u32_sdwa v5, v84 dst_sel:DWORD dst_unused:UNUSED_PAD src0_sel:WORD_1
	v_cvt_f32_u32_sdwa v4, v84 dst_sel:DWORD dst_unused:UNUSED_PAD src0_sel:WORD_0
	v_cvt_f32_u32_sdwa v7, v85 dst_sel:DWORD dst_unused:UNUSED_PAD src0_sel:WORD_1
	v_cvt_f32_u32_sdwa v6, v85 dst_sel:DWORD dst_unused:UNUSED_PAD src0_sel:WORD_0
	;; [unrolled: 2-line block ×3, first 2 shown]
	;;#ASMSTART
	v_pk_mul_f32 v[50:51], v[8:9], v[4:5]
	;;#ASMEND
	;;#ASMSTART
	v_pk_mul_f32 v[32:33], v[10:11], v[6:7]
	;;#ASMEND
	;; [unrolled: 3-line block ×6, first 2 shown]
	s_or_b64 exec, exec, s[22:23]
	s_mov_b64 s[8:9], -1
	s_and_b64 vcc, exec, s[10:11]
	s_cbranch_vccz .LBB966_15
.LBB966_19:
	s_and_saveexec_b64 s[8:9], s[0:1]
	s_cbranch_execz .LBB966_21
; %bb.20:
	s_mul_hi_i32 s11, s34, s6
	s_mul_i32 s10, s34, s6
	s_lshl_b64 s[10:11], s[10:11], 1
	s_add_u32 s28, s38, s10
	s_addc_u32 s7, s39, s11
	s_and_b32 s29, s7, 0xffff
	s_mov_b32 s7, 0x7060302
	s_mov_b32 s31, 0x20000
	v_perm_b32 v5, v33, v32, s7
	v_perm_b32 v4, v51, v50, s7
	;; [unrolled: 1-line block ×4, first 2 shown]
	v_lshlrev_b32_e32 v6, 5, v0
	buffer_store_dwordx4 v[2:5], v6, s[28:31], 0 offen
	;;#ASMSTART
	s_nop 0
	;;#ASMEND
	s_nop 0
	v_perm_b32 v5, v95, v94, s7
	v_perm_b32 v4, v15, v14, s7
	v_perm_b32 v3, v19, v18, s7
	v_perm_b32 v2, v43, v42, s7
	buffer_store_dwordx4 v[2:5], v6, s[28:31], 16 offen
	;;#ASMSTART
	s_nop 0
	;;#ASMEND
.LBB966_21:
	s_or_b64 exec, exec, s[8:9]
	s_cbranch_execnz .LBB966_16
.LBB966_22:
	v_mov_b32_e32 v2, 0
	s_and_saveexec_b64 s[8:9], s[0:1]
	s_cbranch_execz .LBB966_24
; %bb.23:
	v_and_b32_e32 v2, 0x7fffffff, v62
	v_and_b32_e32 v3, 0x7fffffff, v63
	v_mov_b32_e32 v4, 0x2edbe6ff
	;;#ASMSTART
	v_max3_f32 v2, v4, v2, v3

	;;#ASMEND
	v_and_b32_e32 v3, 0x7fffffff, v24
	v_and_b32_e32 v4, 0x7fffffff, v25
	;;#ASMSTART
	v_max3_f32 v2, v2, v3, v4

	;;#ASMEND
	v_and_b32_e32 v3, 0x7fffffff, v50
	v_and_b32_e32 v4, 0x7fffffff, v51
	;; [unrolled: 6-line block ×7, first 2 shown]
	;;#ASMSTART
	v_max3_f32 v2, v2, v3, v4

	;;#ASMEND
.LBB966_24:
	s_or_b64 exec, exec, s[8:9]
	;;#ASMSTART
	v_max_f32 v3, v2, v2 quad_perm:[1,0,3,2] row_mask:0xf bank_mask:0xf bound_ctrl:1
	;;#ASMEND
	;;#ASMSTART
	v_max_f32 v2, v3, v3 quad_perm:[2,3,0,1] row_mask:0xf bank_mask:0xf bound_ctrl:1
	;;#ASMEND
	v_and_b32_e32 v3, 3, v0
	v_cmp_eq_u32_e32 vcc, 0, v3
	v_cmp_gt_i32_e64 s[8:9], s15, v1
	v_mul_f32_e32 v2, 0x3b124925, v2
	s_and_b64 s[10:11], vcc, s[8:9]
	s_and_saveexec_b64 s[8:9], s[10:11]
	s_cbranch_execz .LBB966_26
; %bb.25:
	s_load_dwordx2 s[10:11], s[4:5], 0x8
	s_mul_hi_i32 s23, s25, s6
	s_mul_i32 s22, s25, s6
	v_lshrrev_b32_e32 v3, 2, v0
	s_lshl_b64 s[22:23], s[22:23], 2
	v_mad_i64_i32 v[4:5], s[26:27], s26, v3, 0
	s_waitcnt lgkmcnt(0)
	s_add_u32 s7, s10, s22
	s_addc_u32 s10, s11, s23
	v_lshlrev_b64 v[4:5], 2, v[4:5]
	v_mov_b32_e32 v3, s10
	v_add_co_u32_e32 v4, vcc, s7, v4
	v_addc_co_u32_e32 v5, vcc, v3, v5, vcc
	global_store_dword v[4:5], v2, off
.LBB966_26:
	s_or_b64 exec, exec, s[8:9]
	;;#ASMSTART
	v_rcp_f32 v2, v2
	;;#ASMEND
	s_and_saveexec_b64 s[22:23], s[0:1]
	s_cbranch_execz .LBB966_28
; %bb.27:
	v_mov_b32_e32 v3, v2
	;;#ASMSTART
	v_pk_mul_f32 v[4:5], v[62:63], v[2:3]
	;;#ASMEND
	v_mov_b32_e32 v10, 0xc3e00000
	v_mov_b32_e32 v11, 0x43e00000
	;;#ASMSTART
	v_med3_f32 v4, v4, v10, v11
v_med3_f32 v5, v5, v10, v11
v_cvt_pk_fp8_f32 v6, v4, v5
	;;#ASMEND
	;;#ASMSTART
	v_pk_mul_f32 v[4:5], v[24:25], v[2:3]
	;;#ASMEND
	;;#ASMSTART
	v_med3_f32 v4, v4, v10, v11
v_med3_f32 v5, v5, v10, v11
v_cvt_pk_fp8_f32 v7, v4, v5
	;;#ASMEND
	;;#ASMSTART
	v_pk_mul_f32 v[4:5], v[50:51], v[2:3]
	;;#ASMEND
	;; [unrolled: 8-line block ×3, first 2 shown]
	;;#ASMSTART
	v_med3_f32 v4, v4, v10, v11
v_med3_f32 v5, v5, v10, v11
v_cvt_pk_fp8_f32 v9, v4, v5
	;;#ASMEND
	s_mov_b32 s0, 0x5040100
	v_perm_b32 v4, v7, v6, s0
	s_mov_b32 s0, 0x1060504
	v_perm_b32 v4, v4, v7, s0
	s_load_dwordx2 s[0:1], s[4:5], 0x0
	s_mov_b32 s7, 0x1000504
	;;#ASMSTART
	v_pk_mul_f32 v[6:7], v[42:43], v[2:3]
	;;#ASMEND
	v_perm_b32 v5, v8, v9, s7
	s_mul_i32 s8, s24, s6
	;;#ASMSTART
	v_med3_f32 v6, v6, v10, v11
v_med3_f32 v7, v7, v10, v11
v_cvt_pk_fp8_f32 v8, v6, v7
	;;#ASMEND
	s_mul_hi_i32 s9, s24, s6
	s_waitcnt lgkmcnt(0)
	s_add_u32 s8, s0, s8
	;;#ASMSTART
	v_pk_mul_f32 v[6:7], v[18:19], v[2:3]
	;;#ASMEND
	s_addc_u32 s0, s1, s9
	s_add_i32 s1, s15, 3
	;;#ASMSTART
	v_med3_f32 v6, v6, v10, v11
v_med3_f32 v7, v7, v10, v11
v_cvt_pk_fp8_f32 v9, v6, v7
	;;#ASMEND
	s_ashr_i32 s9, s1, 31
	v_perm_b32 v6, v8, v9, s7
	;;#ASMSTART
	v_pk_mul_f32 v[8:9], v[14:15], v[2:3]
	;;#ASMEND
	v_mov_b32_e32 v7, v9
	s_lshr_b32 s9, s9, 30
	;;#ASMSTART
	v_med3_f32 v8, v8, v10, v11
v_med3_f32 v7, v7, v10, v11
v_cvt_pk_fp8_f32 v9, v8, v7
	;;#ASMEND
	;;#ASMSTART
	v_pk_mul_f32 v[2:3], v[94:95], v[2:3]
	;;#ASMEND
	s_add_i32 s1, s1, s9
	;;#ASMSTART
	v_med3_f32 v2, v2, v10, v11
v_med3_f32 v3, v3, v10, v11
v_cvt_pk_fp8_f32 v7, v2, v3
	;;#ASMEND
	s_and_b32 s10, s1, -4
	s_and_b32 s9, s0, 0xffff
	s_mov_b32 s11, 0x20000
	v_perm_b32 v7, v9, v7, s7
	buffer_store_dwordx4 v[4:7], v1, s[8:11], 0 offen
	;;#ASMSTART
	s_nop 0
	;;#ASMEND
.LBB966_28:
	s_or_b64 exec, exec, s[22:23]
	s_cmp_lt_i32 s16, 1
	s_cbranch_scc1 .LBB966_17
.LBB966_29:
	s_load_dword s0, s[4:5], 0x94
	s_waitcnt lgkmcnt(0)
	s_cmp_lg_u32 s0, 1
	s_cbranch_scc1 .LBB966_17
; %bb.30:
	s_lshl_b32 s0, s16, 1
	s_add_i32 s0, s0, 2
	v_cmp_gt_u32_e32 vcc, s16, v1
	s_and_b32 s22, s0, -4
	v_mov_b32_e32 v18, 0
	v_lshlrev_b32_e32 v1, 5, v0
	v_mov_b32_e32 v14, 0
	v_mov_b32_e32 v15, 0
	;; [unrolled: 1-line block ×16, first 2 shown]
	s_barrier
	s_and_saveexec_b64 s[0:1], vcc
	s_cbranch_execz .LBB966_32
; %bb.31:
	s_mul_hi_i32 s5, s18, s6
	s_mul_i32 s4, s18, s6
	s_and_b32 s21, s21, 0xffff
	s_lshl_b64 s[4:5], s[4:5], 1
	s_add_u32 s8, s36, s4
	s_mov_b32 s23, 0x20000
	s_addc_u32 s4, s37, s5
	s_and_b32 s9, s4, 0xffff
	s_mov_b32 s10, s22
	s_mov_b32 s11, s23
	buffer_load_dwordx4 v[14:17], v1, s[8:11], 0 offen
	buffer_load_dwordx4 v[10:13], v1, s[8:11], 16 offen
	;; [unrolled: 1-line block ×4, first 2 shown]
.LBB966_32:
	s_or_b64 exec, exec, s[0:1]
	v_mov_b32_e32 v19, 0
	v_mov_b32_e32 v32, 0
	;; [unrolled: 1-line block ×15, first 2 shown]
	s_and_saveexec_b64 s[0:1], vcc
	s_cbranch_execz .LBB966_34
; %bb.33:
	s_waitcnt vmcnt(3)
	v_cvt_f32_u32_sdwa v18, v14 dst_sel:DWORD dst_unused:UNUSED_PAD src0_sel:WORD_0
	v_cvt_f32_u32_sdwa v19, v14 dst_sel:DWORD dst_unused:UNUSED_PAD src0_sel:WORD_1
	v_cvt_f32_u32_sdwa v32, v15 dst_sel:DWORD dst_unused:UNUSED_PAD src0_sel:WORD_0
	v_cvt_f32_u32_sdwa v33, v15 dst_sel:DWORD dst_unused:UNUSED_PAD src0_sel:WORD_1
	;; [unrolled: 2-line block ×4, first 2 shown]
	s_waitcnt vmcnt(2)
	v_cvt_f32_u32_sdwa v26, v10 dst_sel:DWORD dst_unused:UNUSED_PAD src0_sel:WORD_0
	v_cvt_f32_u32_sdwa v27, v10 dst_sel:DWORD dst_unused:UNUSED_PAD src0_sel:WORD_1
	v_cvt_f32_u32_sdwa v24, v11 dst_sel:DWORD dst_unused:UNUSED_PAD src0_sel:WORD_0
	v_cvt_f32_u32_sdwa v25, v11 dst_sel:DWORD dst_unused:UNUSED_PAD src0_sel:WORD_1
	;; [unrolled: 2-line block ×4, first 2 shown]
.LBB966_34:
	s_or_b64 exec, exec, s[0:1]
	s_waitcnt vmcnt(2)
	v_mul_f32_e32 v10, v19, v19
	v_fmac_f32_e32 v10, v18, v18
	v_fmac_f32_e32 v10, v32, v32
	;; [unrolled: 1-line block ×15, first 2 shown]
	s_nop 1
	v_mov_b32_dpp v11, v10 quad_perm:[1,0,3,2] row_mask:0xf bank_mask:0xf
	v_add_f32_e32 v10, v10, v11
	s_nop 1
	v_mov_b32_dpp v11, v10 quad_perm:[2,3,0,1] row_mask:0xf bank_mask:0xf
	v_add_f32_e32 v10, v10, v11
	s_nop 1
	v_mov_b32_dpp v11, v10 row_half_mirror row_mask:0xf bank_mask:0xf
	v_add_f32_e32 v10, v10, v11
	s_nop 1
	v_mov_b32_dpp v11, v10 row_mirror row_mask:0xf bank_mask:0xf
	v_add_f32_e32 v10, v10, v11
	s_nop 1
	v_mov_b32_dpp v11, v10 row_bcast:15 row_mask:0xf bank_mask:0xf
	v_add_f32_e32 v10, v10, v11
	s_nop 1
	v_mov_b32_dpp v11, v10 row_bcast:31 row_mask:0xf bank_mask:0xf
	s_and_saveexec_b64 s[0:1], s[2:3]
	s_cbranch_execz .LBB966_36
; %bb.35:
	v_lshrrev_b32_e32 v0, 4, v0
	v_add_f32_e32 v10, v10, v11
	v_and_b32_e32 v0, 60, v0
	ds_write_b32 v0, v10
.LBB966_36:
	s_or_b64 exec, exec, s[0:1]
	s_waitcnt lgkmcnt(0)
	s_barrier
	ds_read_b32 v0, v34
	s_waitcnt lgkmcnt(0)
	s_nop 0
	v_mov_b32_dpp v10, v0 quad_perm:[1,0,3,2] row_mask:0xf bank_mask:0xf
	v_add_f32_e32 v0, v0, v10
	s_nop 1
	v_mov_b32_dpp v10, v0 quad_perm:[2,3,0,1] row_mask:0xf bank_mask:0xf
	v_add_f32_e32 v0, v0, v10
	s_nop 1
	v_mov_b32_dpp v10, v0 row_half_mirror row_mask:0xf bank_mask:0xf
	s_and_saveexec_b64 s[0:1], vcc
	s_cbranch_execz .LBB966_17
; %bb.37:
	v_cvt_f32_u32_e32 v11, s16
	v_add_f32_e32 v0, v0, v10
	s_mov_b32 s23, 0x20000
	v_div_scale_f32 v10, s[0:1], v11, v11, v0
	v_rcp_f32_e32 v12, v10
	v_div_scale_f32 v13, vcc, v0, v11, v0
	s_mov_b32 s0, 0x800000
	v_fma_f32 v14, -v10, v12, 1.0
	v_fmac_f32_e32 v12, v14, v12
	v_mul_f32_e32 v14, v13, v12
	v_fma_f32 v15, -v10, v14, v13
	v_fmac_f32_e32 v14, v15, v12
	v_fma_f32 v10, -v10, v14, v13
	v_div_fmas_f32 v10, v10, v12, v14
	v_div_fixup_f32 v0, v10, v11, v0
	v_add_f32_e32 v0, s13, v0
	v_mul_f32_e32 v10, 0x4b800000, v0
	v_cmp_gt_f32_e32 vcc, s0, v0
	v_cndmask_b32_e32 v0, v0, v10, vcc
	v_rsq_f32_e32 v0, v0
	s_mul_hi_i32 s1, s34, s6
	s_mul_i32 s0, s34, s6
	s_lshl_b64 s[0:1], s[0:1], 1
	v_mul_f32_e32 v10, 0x45800000, v0
	v_cndmask_b32_e32 v10, v0, v10, vcc
	v_mov_b32_e32 v11, v10
	s_add_u32 s20, s38, s0
	;;#ASMSTART
	v_pk_mul_f32 v[12:13], v[18:19], v[10:11]
	;;#ASMEND
	;;#ASMSTART
	v_pk_mul_f32 v[14:15], v[32:33], v[10:11]
	;;#ASMEND
	;; [unrolled: 3-line block ×8, first 2 shown]
	s_waitcnt vmcnt(1)
	v_cvt_f32_u32_sdwa v21, v6 dst_sel:DWORD dst_unused:UNUSED_PAD src0_sel:WORD_1
	v_cvt_f32_u32_sdwa v20, v6 dst_sel:DWORD dst_unused:UNUSED_PAD src0_sel:WORD_0
	v_cvt_f32_u32_sdwa v29, v7 dst_sel:DWORD dst_unused:UNUSED_PAD src0_sel:WORD_1
	v_cvt_f32_u32_sdwa v28, v7 dst_sel:DWORD dst_unused:UNUSED_PAD src0_sel:WORD_0
	;; [unrolled: 2-line block ×3, first 2 shown]
	s_addc_u32 s0, s39, s1
	v_cvt_f32_u32_sdwa v31, v9 dst_sel:DWORD dst_unused:UNUSED_PAD src0_sel:WORD_1
	v_cvt_f32_u32_sdwa v30, v9 dst_sel:DWORD dst_unused:UNUSED_PAD src0_sel:WORD_0
	;;#ASMSTART
	v_pk_mul_f32 v[8:9], v[12:13], v[20:21]
	;;#ASMEND
	;;#ASMSTART
	v_pk_mul_f32 v[12:13], v[14:15], v[28:29]
	;;#ASMEND
	;; [unrolled: 3-line block ×4, first 2 shown]
	s_waitcnt vmcnt(0)
	v_cvt_f32_u32_sdwa v17, v2 dst_sel:DWORD dst_unused:UNUSED_PAD src0_sel:WORD_1
	v_cvt_f32_u32_sdwa v16, v2 dst_sel:DWORD dst_unused:UNUSED_PAD src0_sel:WORD_0
	v_cvt_f32_u32_sdwa v19, v3 dst_sel:DWORD dst_unused:UNUSED_PAD src0_sel:WORD_1
	v_cvt_f32_u32_sdwa v18, v3 dst_sel:DWORD dst_unused:UNUSED_PAD src0_sel:WORD_0
	;; [unrolled: 2-line block ×3, first 2 shown]
	s_and_b32 s21, s0, 0xffff
	s_mov_b32 s0, 0x7060302
	v_cvt_f32_u32_sdwa v21, v5 dst_sel:DWORD dst_unused:UNUSED_PAD src0_sel:WORD_1
	v_cvt_f32_u32_sdwa v20, v5 dst_sel:DWORD dst_unused:UNUSED_PAD src0_sel:WORD_0
	;;#ASMSTART
	v_pk_mul_f32 v[16:17], v[26:27], v[16:17]
	;;#ASMEND
	;;#ASMSTART
	v_pk_mul_f32 v[18:19], v[24:25], v[18:19]
	;;#ASMEND
	;; [unrolled: 3-line block ×3, first 2 shown]
	v_perm_b32 v2, v9, v8, s0
	v_perm_b32 v3, v13, v12, s0
	;; [unrolled: 1-line block ×4, first 2 shown]
	;;#ASMSTART
	v_pk_mul_f32 v[10:11], v[10:11], v[20:21]
	;;#ASMEND
	buffer_store_dwordx4 v[2:5], v1, s[20:23], 0 offen
	;;#ASMSTART
	s_nop 0
	;;#ASMEND
	s_nop 0
	v_perm_b32 v2, v17, v16, s0
	v_perm_b32 v3, v19, v18, s0
	;; [unrolled: 1-line block ×4, first 2 shown]
	buffer_store_dwordx4 v[2:5], v1, s[20:23], 16 offen
	;;#ASMSTART
	s_nop 0
	;;#ASMEND
	s_endpgm
	.section	.rodata,"a",@progbits
	.p2align	6, 0x0
	.amdhsa_kernel _ZN5aiter35fused_qk_rmsnorm_group_quant_kernelItDB8_Li512ELi16ELi4ELb1ELb0ELb0ELb0ELb0ELb0EEEvPT0_PvPT_S6_S6_PKS5_S8_S8_S8_S8_ffiiiiiiiiiiiii
		.amdhsa_group_segment_fixed_size 64
		.amdhsa_private_segment_fixed_size 0
		.amdhsa_kernarg_size 400
		.amdhsa_user_sgpr_count 6
		.amdhsa_user_sgpr_private_segment_buffer 1
		.amdhsa_user_sgpr_dispatch_ptr 0
		.amdhsa_user_sgpr_queue_ptr 0
		.amdhsa_user_sgpr_kernarg_segment_ptr 1
		.amdhsa_user_sgpr_dispatch_id 0
		.amdhsa_user_sgpr_flat_scratch_init 0
		.amdhsa_user_sgpr_kernarg_preload_length 0
		.amdhsa_user_sgpr_kernarg_preload_offset 0
		.amdhsa_user_sgpr_private_segment_size 0
		.amdhsa_uses_dynamic_stack 0
		.amdhsa_system_sgpr_private_segment_wavefront_offset 0
		.amdhsa_system_sgpr_workgroup_id_x 1
		.amdhsa_system_sgpr_workgroup_id_y 1
		.amdhsa_system_sgpr_workgroup_id_z 0
		.amdhsa_system_sgpr_workgroup_info 0
		.amdhsa_system_vgpr_workitem_id 0
		.amdhsa_next_free_vgpr 96
		.amdhsa_next_free_sgpr 44
		.amdhsa_accum_offset 96
		.amdhsa_reserve_vcc 1
		.amdhsa_reserve_flat_scratch 0
		.amdhsa_float_round_mode_32 0
		.amdhsa_float_round_mode_16_64 0
		.amdhsa_float_denorm_mode_32 3
		.amdhsa_float_denorm_mode_16_64 3
		.amdhsa_dx10_clamp 1
		.amdhsa_ieee_mode 1
		.amdhsa_fp16_overflow 0
		.amdhsa_tg_split 0
		.amdhsa_exception_fp_ieee_invalid_op 0
		.amdhsa_exception_fp_denorm_src 0
		.amdhsa_exception_fp_ieee_div_zero 0
		.amdhsa_exception_fp_ieee_overflow 0
		.amdhsa_exception_fp_ieee_underflow 0
		.amdhsa_exception_fp_ieee_inexact 0
		.amdhsa_exception_int_div_zero 0
	.end_amdhsa_kernel
	.section	.text._ZN5aiter35fused_qk_rmsnorm_group_quant_kernelItDB8_Li512ELi16ELi4ELb1ELb0ELb0ELb0ELb0ELb0EEEvPT0_PvPT_S6_S6_PKS5_S8_S8_S8_S8_ffiiiiiiiiiiiii,"axG",@progbits,_ZN5aiter35fused_qk_rmsnorm_group_quant_kernelItDB8_Li512ELi16ELi4ELb1ELb0ELb0ELb0ELb0ELb0EEEvPT0_PvPT_S6_S6_PKS5_S8_S8_S8_S8_ffiiiiiiiiiiiii,comdat
.Lfunc_end966:
	.size	_ZN5aiter35fused_qk_rmsnorm_group_quant_kernelItDB8_Li512ELi16ELi4ELb1ELb0ELb0ELb0ELb0ELb0EEEvPT0_PvPT_S6_S6_PKS5_S8_S8_S8_S8_ffiiiiiiiiiiiii, .Lfunc_end966-_ZN5aiter35fused_qk_rmsnorm_group_quant_kernelItDB8_Li512ELi16ELi4ELb1ELb0ELb0ELb0ELb0ELb0EEEvPT0_PvPT_S6_S6_PKS5_S8_S8_S8_S8_ffiiiiiiiiiiiii
                                        ; -- End function
	.section	.AMDGPU.csdata,"",@progbits
; Kernel info:
; codeLenInByte = 4100
; NumSgprs: 48
; NumVgprs: 96
; NumAgprs: 0
; TotalNumVgprs: 96
; ScratchSize: 0
; MemoryBound: 0
; FloatMode: 240
; IeeeMode: 1
; LDSByteSize: 64 bytes/workgroup (compile time only)
; SGPRBlocks: 5
; VGPRBlocks: 11
; NumSGPRsForWavesPerEU: 48
; NumVGPRsForWavesPerEU: 96
; AccumOffset: 96
; Occupancy: 5
; WaveLimiterHint : 0
; COMPUTE_PGM_RSRC2:SCRATCH_EN: 0
; COMPUTE_PGM_RSRC2:USER_SGPR: 6
; COMPUTE_PGM_RSRC2:TRAP_HANDLER: 0
; COMPUTE_PGM_RSRC2:TGID_X_EN: 1
; COMPUTE_PGM_RSRC2:TGID_Y_EN: 1
; COMPUTE_PGM_RSRC2:TGID_Z_EN: 0
; COMPUTE_PGM_RSRC2:TIDIG_COMP_CNT: 0
; COMPUTE_PGM_RSRC3_GFX90A:ACCUM_OFFSET: 23
; COMPUTE_PGM_RSRC3_GFX90A:TG_SPLIT: 0
	.section	.text._ZN5aiter35fused_qk_rmsnorm_group_quant_kernelIDF16_N4opus5fp4_tELi512ELi16ELi4ELb1ELb0ELb0ELb0ELb0ELb0EEEvPT0_PvPT_S7_S7_PKS6_S9_S9_S9_S9_ffiiiiiiiiiiiii,"axG",@progbits,_ZN5aiter35fused_qk_rmsnorm_group_quant_kernelIDF16_N4opus5fp4_tELi512ELi16ELi4ELb1ELb0ELb0ELb0ELb0ELb0EEEvPT0_PvPT_S7_S7_PKS6_S9_S9_S9_S9_ffiiiiiiiiiiiii,comdat
	.protected	_ZN5aiter35fused_qk_rmsnorm_group_quant_kernelIDF16_N4opus5fp4_tELi512ELi16ELi4ELb1ELb0ELb0ELb0ELb0ELb0EEEvPT0_PvPT_S7_S7_PKS6_S9_S9_S9_S9_ffiiiiiiiiiiiii ; -- Begin function _ZN5aiter35fused_qk_rmsnorm_group_quant_kernelIDF16_N4opus5fp4_tELi512ELi16ELi4ELb1ELb0ELb0ELb0ELb0ELb0EEEvPT0_PvPT_S7_S7_PKS6_S9_S9_S9_S9_ffiiiiiiiiiiiii
	.globl	_ZN5aiter35fused_qk_rmsnorm_group_quant_kernelIDF16_N4opus5fp4_tELi512ELi16ELi4ELb1ELb0ELb0ELb0ELb0ELb0EEEvPT0_PvPT_S7_S7_PKS6_S9_S9_S9_S9_ffiiiiiiiiiiiii
	.p2align	8
	.type	_ZN5aiter35fused_qk_rmsnorm_group_quant_kernelIDF16_N4opus5fp4_tELi512ELi16ELi4ELb1ELb0ELb0ELb0ELb0ELb0EEEvPT0_PvPT_S7_S7_PKS6_S9_S9_S9_S9_ffiiiiiiiiiiiii,@function
_ZN5aiter35fused_qk_rmsnorm_group_quant_kernelIDF16_N4opus5fp4_tELi512ELi16ELi4ELb1ELb0ELb0ELb0ELb0ELb0EEEvPT0_PvPT_S7_S7_PKS6_S9_S9_S9_S9_ffiiiiiiiiiiiii: ; @_ZN5aiter35fused_qk_rmsnorm_group_quant_kernelIDF16_N4opus5fp4_tELi512ELi16ELi4ELb1ELb0ELb0ELb0ELb0ELb0EEEvPT0_PvPT_S7_S7_PKS6_S9_S9_S9_S9_ffiiiiiiiiiiiii
; %bb.0:
	s_load_dwordx8 s[12:19], s[4:5], 0x50
	s_waitcnt lgkmcnt(0)
	s_cmp_ge_i32 s6, s14
	s_cbranch_scc1 .LBB967_17
; %bb.1:
	s_cmp_lg_u32 s7, 0
	s_cselect_b64 s[22:23], -1, 0
	s_cmp_eq_u32 s7, 0
	s_cselect_b64 s[2:3], -1, 0
	s_and_b64 s[0:1], s[2:3], exec
	s_load_dwordx2 s[20:21], s[4:5], 0x48
	s_load_dwordx2 s[34:35], s[4:5], 0x30
	s_load_dwordx4 s[24:27], s[4:5], 0x70
	s_cselect_b32 s7, s15, s16
	s_add_i32 s0, s7, 1
	s_lshr_b32 s1, s0, 31
	s_add_i32 s0, s0, s1
	s_lshl_b32 s0, s0, 1
	v_lshlrev_b32_e32 v1, 4, v0
	s_and_b32 s30, s0, -4
	v_cmp_gt_i32_e64 s[0:1], s7, v1
	v_mov_b32_e32 v6, 0
	v_mov_b32_e32 v7, 0
	;; [unrolled: 1-line block ×16, first 2 shown]
	s_and_saveexec_b64 s[8:9], s[0:1]
	s_cbranch_execz .LBB967_3
; %bb.2:
	s_load_dwordx2 s[10:11], s[4:5], 0x28
	s_load_dwordx2 s[28:29], s[4:5], 0x40
	s_and_b64 s[36:37], s[2:3], exec
	s_cselect_b32 s14, s17, s18
	s_mov_b32 s31, 0x20000
	s_waitcnt lgkmcnt(0)
	s_cselect_b32 s17, s11, s35
	s_cselect_b32 s27, s10, s34
	s_mul_hi_i32 s11, s14, s6
	s_mul_i32 s10, s14, s6
	s_lshl_b64 s[10:11], s[10:11], 1
	s_add_u32 s36, s27, s10
	s_addc_u32 s14, s17, s11
	s_and_b64 s[10:11], s[2:3], exec
	s_cselect_b32 s28, s28, s20
	s_cselect_b32 s10, s29, s21
	s_and_b32 s37, s14, 0xffff
	s_mov_b32 s38, s30
	s_mov_b32 s39, s31
	v_lshlrev_b32_e32 v18, 5, v0
	s_and_b32 s29, s10, 0xffff
	buffer_load_dwordx4 v[10:13], v18, s[36:39], 0 offen
	buffer_load_dwordx4 v[14:17], v18, s[36:39], 16 offen
	;; [unrolled: 1-line block ×4, first 2 shown]
.LBB967_3:
	s_or_b64 exec, exec, s[8:9]
	s_load_dwordx2 s[10:11], s[4:5], 0x80
	s_and_b64 vcc, exec, s[22:23]
	s_cbranch_vccz .LBB967_7
; %bb.4:
	v_mov_b32_e32 v19, 0
	v_mov_b32_e32 v18, 0
	v_mov_b32_e32 v21, 0
	v_mov_b32_e32 v20, 0
	v_mov_b32_e32 v23, 0
	v_mov_b32_e32 v22, 0
	v_mov_b32_e32 v27, 0
	v_mov_b32_e32 v26, 0
	v_mov_b32_e32 v25, 0
	v_mov_b32_e32 v24, 0
	v_mov_b32_e32 v29, 0
	v_mov_b32_e32 v28, 0
	v_mov_b32_e32 v31, 0
	v_mov_b32_e32 v30, 0
	v_mov_b32_e32 v33, 0
	v_mov_b32_e32 v32, 0
	s_and_saveexec_b64 s[8:9], s[0:1]
	s_cbranch_execz .LBB967_6
; %bb.5:
	s_waitcnt vmcnt(3)
	v_cvt_f32_f16_sdwa v33, v10 dst_sel:DWORD dst_unused:UNUSED_PAD src0_sel:WORD_1
	v_cvt_f32_f16_e32 v32, v10
	v_cvt_f32_f16_sdwa v31, v11 dst_sel:DWORD dst_unused:UNUSED_PAD src0_sel:WORD_1
	v_cvt_f32_f16_e32 v30, v11
	;; [unrolled: 2-line block ×4, first 2 shown]
	s_waitcnt vmcnt(2)
	v_cvt_f32_f16_sdwa v27, v14 dst_sel:DWORD dst_unused:UNUSED_PAD src0_sel:WORD_1
	v_cvt_f32_f16_e32 v26, v14
	v_cvt_f32_f16_sdwa v23, v15 dst_sel:DWORD dst_unused:UNUSED_PAD src0_sel:WORD_1
	v_cvt_f32_f16_e32 v22, v15
	v_cvt_f32_f16_sdwa v21, v16 dst_sel:DWORD dst_unused:UNUSED_PAD src0_sel:WORD_1
	v_cvt_f32_f16_e32 v20, v16
	v_cvt_f32_f16_sdwa v19, v17 dst_sel:DWORD dst_unused:UNUSED_PAD src0_sel:WORD_1
	v_cvt_f32_f16_e32 v18, v17
.LBB967_6:
	s_or_b64 exec, exec, s[8:9]
	s_cbranch_execz .LBB967_8
	s_branch .LBB967_11
.LBB967_7:
                                        ; implicit-def: $vgpr19
                                        ; implicit-def: $vgpr21
                                        ; implicit-def: $vgpr23
                                        ; implicit-def: $vgpr27
                                        ; implicit-def: $vgpr25
                                        ; implicit-def: $vgpr29
                                        ; implicit-def: $vgpr31
                                        ; implicit-def: $vgpr33
.LBB967_8:
	v_mov_b32_e32 v19, 0
	v_mov_b32_e32 v18, 0
	;; [unrolled: 1-line block ×16, first 2 shown]
	s_and_saveexec_b64 s[8:9], s[0:1]
	s_cbranch_execz .LBB967_10
; %bb.9:
	s_load_dwordx2 s[28:29], s[4:5], 0x38
	s_mul_hi_i32 s37, s19, s6
	s_mul_i32 s36, s19, s6
	s_lshl_b64 s[36:37], s[36:37], 1
	s_mov_b32 s31, 0x20000
	s_waitcnt lgkmcnt(0)
	s_add_u32 s28, s28, s36
	s_addc_u32 s14, s29, s37
	s_and_b32 s29, s14, 0xffff
	v_lshlrev_b32_e32 v46, 5, v0
	buffer_load_dwordx4 v[18:21], v46, s[28:31], 16 offen
	buffer_load_dwordx4 v[22:25], v46, s[28:31], 0 offen
	s_waitcnt vmcnt(4)
	v_cvt_f32_f16_sdwa v27, v14 dst_sel:DWORD dst_unused:UNUSED_PAD src0_sel:WORD_1
	v_cvt_f32_f16_e32 v26, v14
	v_cvt_f32_f16_sdwa v29, v15 dst_sel:DWORD dst_unused:UNUSED_PAD src0_sel:WORD_1
	v_cvt_f32_f16_e32 v28, v15
	;; [unrolled: 2-line block ×8, first 2 shown]
	s_load_dwordx2 s[28:29], s[4:5], 0x20
	s_mul_hi_i32 s37, s11, s6
	s_mul_i32 s36, s11, s6
	s_lshl_b64 s[36:37], s[36:37], 1
	s_waitcnt lgkmcnt(0)
	s_add_u32 s28, s28, s36
	s_addc_u32 s11, s29, s37
	s_and_b32 s29, s11, 0xffff
	s_waitcnt vmcnt(1)
	v_cvt_f32_f16_e32 v12, v18
	v_cvt_f32_f16_sdwa v13, v18 dst_sel:DWORD dst_unused:UNUSED_PAD src0_sel:WORD_1
	v_cvt_f32_f16_e32 v18, v19
	v_cvt_f32_f16_sdwa v19, v19 dst_sel:DWORD dst_unused:UNUSED_PAD src0_sel:WORD_1
	;; [unrolled: 2-line block ×4, first 2 shown]
	s_waitcnt vmcnt(0)
	v_cvt_f32_f16_e32 v40, v22
	v_cvt_f32_f16_sdwa v41, v22 dst_sel:DWORD dst_unused:UNUSED_PAD src0_sel:WORD_1
	v_cvt_f32_f16_e32 v42, v23
	v_cvt_f32_f16_sdwa v43, v23 dst_sel:DWORD dst_unused:UNUSED_PAD src0_sel:WORD_1
	;; [unrolled: 2-line block ×4, first 2 shown]
	v_pk_add_f32 v[26:27], v[26:27], v[12:13]
	v_pk_add_f32 v[22:23], v[28:29], v[18:19]
	;; [unrolled: 1-line block ×8, first 2 shown]
	v_cvt_f16_f32_e32 v10, v33
	v_cvt_f16_f32_e32 v14, v32
	v_cvt_f16_f32_e32 v11, v31
	v_cvt_f16_f32_e32 v15, v30
	v_cvt_f16_f32_e32 v12, v29
	v_cvt_f16_f32_e32 v16, v28
	v_cvt_f16_f32_e32 v13, v25
	v_cvt_f16_f32_e32 v17, v24
	v_cvt_f16_f32_e32 v34, v26
	v_cvt_f16_f32_e32 v35, v27
	v_cvt_f16_f32_e32 v36, v22
	v_cvt_f16_f32_e32 v37, v23
	v_cvt_f16_f32_e32 v38, v20
	v_cvt_f16_f32_e32 v39, v21
	v_cvt_f16_f32_e32 v40, v18
	v_cvt_f16_f32_e32 v41, v19
	v_pack_b32_f16 v13, v17, v13
	v_pack_b32_f16 v12, v16, v12
	;; [unrolled: 1-line block ×8, first 2 shown]
	buffer_store_dwordx4 v[10:13], v46, s[28:31], 0 offen
	;;#ASMSTART
	s_nop 0
	;;#ASMEND
	buffer_store_dwordx4 v[14:17], v46, s[28:31], 16 offen
	;;#ASMSTART
	s_nop 0
	;;#ASMEND
.LBB967_10:
	s_or_b64 exec, exec, s[8:9]
.LBB967_11:
	s_waitcnt vmcnt(3)
	v_mul_f32_e32 v10, v33, v33
	v_fmac_f32_e32 v10, v32, v32
	v_fmac_f32_e32 v10, v30, v30
	;; [unrolled: 1-line block ×15, first 2 shown]
	v_and_b32_e32 v12, 63, v0
	v_cmp_eq_u32_e64 s[8:9], 63, v12
	v_mov_b32_dpp v11, v10 quad_perm:[1,0,3,2] row_mask:0xf bank_mask:0xf
	v_add_f32_e32 v10, v10, v11
	s_nop 1
	v_mov_b32_dpp v11, v10 quad_perm:[2,3,0,1] row_mask:0xf bank_mask:0xf
	v_add_f32_e32 v10, v10, v11
	s_nop 1
	v_mov_b32_dpp v11, v10 row_half_mirror row_mask:0xf bank_mask:0xf
	v_add_f32_e32 v10, v10, v11
	s_nop 1
	v_mov_b32_dpp v11, v10 row_mirror row_mask:0xf bank_mask:0xf
	v_add_f32_e32 v10, v10, v11
	s_nop 1
	v_mov_b32_dpp v11, v10 row_bcast:15 row_mask:0xf bank_mask:0xf
	v_add_f32_e32 v10, v10, v11
	s_nop 1
	v_mov_b32_dpp v11, v10 row_bcast:31 row_mask:0xf bank_mask:0xf
	s_and_saveexec_b64 s[28:29], s[8:9]
	s_cbranch_execz .LBB967_13
; %bb.12:
	v_add_f32_e32 v10, v10, v11
	v_lshrrev_b32_e32 v11, 4, v0
	v_and_b32_e32 v11, 60, v11
	ds_write_b32 v11, v10 offset:32
.LBB967_13:
	s_or_b64 exec, exec, s[28:29]
	v_and_b32_e32 v10, 7, v0
	v_lshlrev_b32_e32 v34, 2, v10
	s_waitcnt lgkmcnt(0)
	s_barrier
	ds_read_b32 v10, v34 offset:32
	s_load_dwordx2 s[36:37], s[4:5], 0x18
	s_waitcnt lgkmcnt(0)
	v_mov_b32_dpp v11, v10 quad_perm:[1,0,3,2] row_mask:0xf bank_mask:0xf
	v_add_f32_e32 v10, v10, v11
	s_nop 1
	v_mov_b32_dpp v11, v10 quad_perm:[2,3,0,1] row_mask:0xf bank_mask:0xf
	v_add_f32_e32 v10, v10, v11
	s_nop 1
	v_mov_b32_dpp v11, v10 row_half_mirror row_mask:0xf bank_mask:0xf
	s_and_saveexec_b64 s[28:29], s[0:1]
	s_cbranch_execnz .LBB967_18
; %bb.14:
	s_or_b64 exec, exec, s[28:29]
	s_mov_b64 s[2:3], -1
	s_and_b64 vcc, exec, s[22:23]
	s_cbranch_vccnz .LBB967_19
.LBB967_15:
	s_andn2_b64 vcc, exec, s[2:3]
	s_cbranch_vccz .LBB967_22
.LBB967_16:
	s_cmp_lt_i32 s16, 1
	s_cbranch_scc0 .LBB967_29
.LBB967_17:
	s_endpgm
.LBB967_18:
	v_cvt_f32_u32_e32 v12, s7
	v_add_f32_e32 v10, v10, v11
	s_waitcnt vmcnt(2)
	v_mov_b32_e32 v14, s13
	v_mov_b32_e32 v15, s12
	v_div_scale_f32 v11, s[38:39], v12, v12, v10
	v_rcp_f32_e32 v13, v11
	v_cndmask_b32_e64 v14, v14, v15, s[2:3]
	s_mov_b32 s2, 0x800000
	s_waitcnt vmcnt(1)
	v_cvt_f32_f16_sdwa v37, v9 dst_sel:DWORD dst_unused:UNUSED_PAD src0_sel:WORD_1
	v_fma_f32 v15, -v11, v13, 1.0
	v_fmac_f32_e32 v13, v15, v13
	v_div_scale_f32 v15, vcc, v10, v12, v10
	v_mul_f32_e32 v16, v15, v13
	v_fma_f32 v17, -v11, v16, v15
	v_fmac_f32_e32 v16, v17, v13
	v_fma_f32 v11, -v11, v16, v15
	v_div_fmas_f32 v11, v11, v13, v16
	v_div_fixup_f32 v10, v11, v12, v10
	v_add_f32_e32 v10, v14, v10
	v_mul_f32_e32 v11, 0x4b800000, v10
	v_cmp_gt_f32_e32 vcc, s2, v10
	v_cndmask_b32_e32 v10, v10, v11, vcc
	v_rsq_f32_e32 v10, v10
	v_cvt_f32_f16_e32 v36, v9
	s_waitcnt vmcnt(0)
	v_cvt_f32_f16_sdwa v9, v3 dst_sel:DWORD dst_unused:UNUSED_PAD src0_sel:WORD_1
	v_mul_f32_e32 v11, 0x45800000, v10
	v_cndmask_b32_e32 v10, v10, v11, vcc
	v_mov_b32_e32 v11, v10
	;;#ASMSTART
	v_pk_mul_f32 v[12:13], v[32:33], v[10:11]
	;;#ASMEND
	;;#ASMSTART
	v_pk_mul_f32 v[14:15], v[30:31], v[10:11]
	;;#ASMEND
	;; [unrolled: 3-line block ×8, first 2 shown]
	v_cvt_f32_f16_sdwa v19, v6 dst_sel:DWORD dst_unused:UNUSED_PAD src0_sel:WORD_1
	v_cvt_f32_f16_e32 v18, v6
	v_cvt_f32_f16_sdwa v29, v7 dst_sel:DWORD dst_unused:UNUSED_PAD src0_sel:WORD_1
	v_cvt_f32_f16_e32 v28, v7
	v_cvt_f32_f16_sdwa v7, v8 dst_sel:DWORD dst_unused:UNUSED_PAD src0_sel:WORD_1
	v_cvt_f32_f16_e32 v6, v8
	;;#ASMSTART
	v_pk_mul_f32 v[32:33], v[12:13], v[18:19]
	;;#ASMEND
	;;#ASMSTART
	v_pk_mul_f32 v[30:31], v[14:15], v[28:29]
	;;#ASMEND
	;; [unrolled: 3-line block ×4, first 2 shown]
	v_cvt_f32_f16_sdwa v7, v2 dst_sel:DWORD dst_unused:UNUSED_PAD src0_sel:WORD_1
	v_cvt_f32_f16_e32 v6, v2
	v_cvt_f32_f16_e32 v8, v3
	v_cvt_f32_f16_sdwa v3, v4 dst_sel:DWORD dst_unused:UNUSED_PAD src0_sel:WORD_1
	v_cvt_f32_f16_e32 v2, v4
	v_cvt_f32_f16_sdwa v13, v5 dst_sel:DWORD dst_unused:UNUSED_PAD src0_sel:WORD_1
	v_cvt_f32_f16_e32 v12, v5
	;;#ASMSTART
	v_pk_mul_f32 v[26:27], v[26:27], v[6:7]
	;;#ASMEND
	;;#ASMSTART
	v_pk_mul_f32 v[22:23], v[22:23], v[8:9]
	;;#ASMEND
	;; [unrolled: 3-line block ×4, first 2 shown]
	s_or_b64 exec, exec, s[28:29]
	s_mov_b64 s[2:3], -1
	s_and_b64 vcc, exec, s[22:23]
	s_cbranch_vccz .LBB967_15
.LBB967_19:
	s_and_saveexec_b64 s[2:3], s[0:1]
	s_cbranch_execz .LBB967_21
; %bb.20:
	s_mul_hi_i32 s23, s10, s6
	s_mul_i32 s22, s10, s6
	s_waitcnt vmcnt(0)
	v_cvt_f16_f32_e32 v2, v32
	v_cvt_f16_f32_e32 v3, v30
	;; [unrolled: 1-line block ×8, first 2 shown]
	s_lshl_b64 s[22:23], s[22:23], 1
	s_add_u32 s28, s36, s22
	s_addc_u32 s7, s37, s23
	s_and_b32 s29, s7, 0xffff
	s_mov_b32 s31, 0x20000
	v_pack_b32_f16 v5, v5, v6
	v_pack_b32_f16 v4, v4, v7
	;; [unrolled: 1-line block ×4, first 2 shown]
	v_lshlrev_b32_e32 v6, 5, v0
	buffer_store_dwordx4 v[2:5], v6, s[28:31], 0 offen
	v_cvt_f16_f32_e32 v7, v19
	v_cvt_f16_f32_e32 v2, v26
	;; [unrolled: 1-line block ×8, first 2 shown]
	v_pack_b32_f16 v5, v5, v7
	v_pack_b32_f16 v4, v4, v8
	;; [unrolled: 1-line block ×4, first 2 shown]
	;;#ASMSTART
	s_nop 0
	;;#ASMEND
	buffer_store_dwordx4 v[2:5], v6, s[28:31], 16 offen
	;;#ASMSTART
	s_nop 0
	;;#ASMEND
.LBB967_21:
	s_or_b64 exec, exec, s[2:3]
	s_cbranch_execnz .LBB967_16
.LBB967_22:
	s_waitcnt vmcnt(0)
	v_mov_b32_e32 v2, 0
	s_and_saveexec_b64 s[2:3], s[0:1]
	s_cbranch_execz .LBB967_24
; %bb.23:
	v_and_b32_e32 v2, 0x7fffffff, v32
	v_and_b32_e32 v3, 0x7fffffff, v33
	v_mov_b32_e32 v4, 0x2edbe6ff
	;;#ASMSTART
	v_max3_f32 v2, v4, v2, v3

	;;#ASMEND
	v_and_b32_e32 v3, 0x7fffffff, v30
	v_and_b32_e32 v4, 0x7fffffff, v31
	;;#ASMSTART
	v_max3_f32 v2, v2, v3, v4

	;;#ASMEND
	v_and_b32_e32 v3, 0x7fffffff, v28
	v_and_b32_e32 v4, 0x7fffffff, v29
	;; [unrolled: 6-line block ×7, first 2 shown]
	;;#ASMSTART
	v_max3_f32 v2, v2, v3, v4

	;;#ASMEND
.LBB967_24:
	s_or_b64 exec, exec, s[2:3]
	;;#ASMSTART
	v_max_f32 v3, v2, v2 quad_perm:[1,0,3,2] row_mask:0xf bank_mask:0xf bound_ctrl:1
	;;#ASMEND
	;;#ASMSTART
	v_max_f32 v2, v3, v3 quad_perm:[2,3,0,1] row_mask:0xf bank_mask:0xf bound_ctrl:1
	;;#ASMEND
	v_and_b32_e32 v3, 3, v0
	v_cmp_eq_u32_e32 vcc, 0, v3
	v_cmp_gt_i32_e64 s[2:3], s15, v1
	s_and_b64 s[22:23], vcc, s[2:3]
	s_and_saveexec_b64 s[2:3], s[22:23]
	s_cbranch_execz .LBB967_26
; %bb.25:
	s_load_dwordx2 s[22:23], s[4:5], 0x8
	v_mul_f32_e32 v2, 0x3e2aaaab, v2
	v_lshrrev_b32_e32 v3, 23, v2
	v_and_b32_e32 v4, 0x7f800000, v2
	v_and_b32_e32 v2, 0x7fffff, v2
	v_cmp_ne_u32_e32 vcc, 0, v2
	s_mul_i32 s12, s25, s6
	s_mov_b32 s7, 0x7f800000
	v_addc_co_u32_e32 v2, vcc, 0, v3, vcc
	s_mul_hi_i32 s11, s25, s6
	s_waitcnt lgkmcnt(0)
	s_add_u32 s22, s22, s12
	v_cmp_ne_u32_e32 vcc, s7, v4
	s_addc_u32 s23, s23, s11
	v_lshrrev_b32_e32 v5, 2, v0
	v_cndmask_b32_e32 v4, -1, v2, vcc
	v_pk_mov_b32 v[2:3], s[22:23], s[22:23] op_sel:[0,1]
	v_mad_i64_i32 v[2:3], s[22:23], s26, v5, v[2:3]
	global_store_byte v[2:3], v4, off
.LBB967_26:
	s_or_b64 exec, exec, s[2:3]
	s_and_saveexec_b64 s[2:3], s[0:1]
	s_cbranch_execz .LBB967_28
; %bb.27:
	s_load_dwordx2 s[0:1], s[4:5], 0x0
	s_mul_i32 s11, s24, s6
	s_mul_hi_i32 s7, s24, s6
	v_mov_b32_e32 v2, 0
	v_lshlrev_b32_e32 v4, 3, v0
	s_waitcnt lgkmcnt(0)
	s_add_u32 s24, s0, s11
	s_addc_u32 s0, s1, s7
	s_lshr_b32 s1, s15, 31
	s_add_i32 s1, s15, s1
	s_ashr_i32 s1, s1, 1
	s_add_i32 s1, s1, 3
	s_ashr_i32 s7, s1, 31
	s_lshr_b32 s7, s7, 30
	s_add_i32 s1, s1, s7
	s_and_b32 s26, s1, -4
	s_and_b32 s25, s0, 0xffff
	s_mov_b32 s27, 0x20000
	v_mov_b32_e32 v3, v2
	buffer_store_dwordx2 v[2:3], v4, s[24:27], 0 offen
	;;#ASMSTART
	s_nop 0
	;;#ASMEND
.LBB967_28:
	s_or_b64 exec, exec, s[2:3]
	s_cmp_lt_i32 s16, 1
	s_cbranch_scc1 .LBB967_17
.LBB967_29:
	s_load_dword s0, s[4:5], 0x94
	s_waitcnt lgkmcnt(0)
	s_cmp_lg_u32 s0, 1
	s_cbranch_scc1 .LBB967_17
; %bb.30:
	s_lshl_b32 s0, s16, 1
	s_add_i32 s0, s0, 2
	v_cmp_gt_u32_e32 vcc, s16, v1
	s_and_b32 s22, s0, -4
	v_mov_b32_e32 v18, 0
	v_lshlrev_b32_e32 v1, 5, v0
	s_waitcnt vmcnt(2)
	v_mov_b32_e32 v14, 0
	v_mov_b32_e32 v15, 0
	;; [unrolled: 1-line block ×8, first 2 shown]
	s_waitcnt vmcnt(1)
	v_mov_b32_e32 v6, 0
	v_mov_b32_e32 v7, 0
	;; [unrolled: 1-line block ×4, first 2 shown]
	s_waitcnt vmcnt(0)
	v_mov_b32_e32 v2, 0
	v_mov_b32_e32 v3, 0
	;; [unrolled: 1-line block ×4, first 2 shown]
	s_barrier
	s_and_saveexec_b64 s[0:1], vcc
	s_cbranch_execz .LBB967_32
; %bb.31:
	s_mul_hi_i32 s3, s18, s6
	s_mul_i32 s2, s18, s6
	s_and_b32 s21, s21, 0xffff
	s_lshl_b64 s[2:3], s[2:3], 1
	s_add_u32 s24, s34, s2
	s_mov_b32 s23, 0x20000
	s_addc_u32 s2, s35, s3
	s_and_b32 s25, s2, 0xffff
	s_mov_b32 s26, s22
	s_mov_b32 s27, s23
	buffer_load_dwordx4 v[14:17], v1, s[24:27], 0 offen
	buffer_load_dwordx4 v[10:13], v1, s[24:27], 16 offen
	;; [unrolled: 1-line block ×4, first 2 shown]
.LBB967_32:
	s_or_b64 exec, exec, s[0:1]
	v_mov_b32_e32 v19, 0
	v_mov_b32_e32 v32, 0
	;; [unrolled: 1-line block ×15, first 2 shown]
	s_and_saveexec_b64 s[0:1], vcc
	s_cbranch_execz .LBB967_34
; %bb.33:
	s_waitcnt vmcnt(3)
	v_cvt_f32_f16_sdwa v19, v14 dst_sel:DWORD dst_unused:UNUSED_PAD src0_sel:WORD_1
	v_cvt_f32_f16_e32 v18, v14
	v_cvt_f32_f16_sdwa v33, v15 dst_sel:DWORD dst_unused:UNUSED_PAD src0_sel:WORD_1
	v_cvt_f32_f16_e32 v32, v15
	;; [unrolled: 2-line block ×4, first 2 shown]
	s_waitcnt vmcnt(2)
	v_cvt_f32_f16_sdwa v27, v10 dst_sel:DWORD dst_unused:UNUSED_PAD src0_sel:WORD_1
	v_cvt_f32_f16_e32 v26, v10
	v_cvt_f32_f16_sdwa v25, v11 dst_sel:DWORD dst_unused:UNUSED_PAD src0_sel:WORD_1
	v_cvt_f32_f16_e32 v24, v11
	;; [unrolled: 2-line block ×4, first 2 shown]
.LBB967_34:
	s_or_b64 exec, exec, s[0:1]
	s_waitcnt vmcnt(2)
	v_mul_f32_e32 v10, v19, v19
	v_fmac_f32_e32 v10, v18, v18
	v_fmac_f32_e32 v10, v32, v32
	;; [unrolled: 1-line block ×15, first 2 shown]
	s_nop 1
	v_mov_b32_dpp v11, v10 quad_perm:[1,0,3,2] row_mask:0xf bank_mask:0xf
	v_add_f32_e32 v10, v10, v11
	s_nop 1
	v_mov_b32_dpp v11, v10 quad_perm:[2,3,0,1] row_mask:0xf bank_mask:0xf
	v_add_f32_e32 v10, v10, v11
	s_nop 1
	v_mov_b32_dpp v11, v10 row_half_mirror row_mask:0xf bank_mask:0xf
	v_add_f32_e32 v10, v10, v11
	s_nop 1
	v_mov_b32_dpp v11, v10 row_mirror row_mask:0xf bank_mask:0xf
	v_add_f32_e32 v10, v10, v11
	s_nop 1
	v_mov_b32_dpp v11, v10 row_bcast:15 row_mask:0xf bank_mask:0xf
	v_add_f32_e32 v10, v10, v11
	s_nop 1
	v_mov_b32_dpp v11, v10 row_bcast:31 row_mask:0xf bank_mask:0xf
	s_and_saveexec_b64 s[0:1], s[8:9]
	s_cbranch_execz .LBB967_36
; %bb.35:
	v_lshrrev_b32_e32 v0, 4, v0
	v_add_f32_e32 v10, v10, v11
	v_and_b32_e32 v0, 60, v0
	ds_write_b32 v0, v10
.LBB967_36:
	s_or_b64 exec, exec, s[0:1]
	s_waitcnt lgkmcnt(0)
	s_barrier
	ds_read_b32 v0, v34
	s_waitcnt lgkmcnt(0)
	s_nop 0
	v_mov_b32_dpp v10, v0 quad_perm:[1,0,3,2] row_mask:0xf bank_mask:0xf
	v_add_f32_e32 v0, v0, v10
	s_nop 1
	v_mov_b32_dpp v10, v0 quad_perm:[2,3,0,1] row_mask:0xf bank_mask:0xf
	v_add_f32_e32 v0, v0, v10
	s_nop 1
	v_mov_b32_dpp v10, v0 row_half_mirror row_mask:0xf bank_mask:0xf
	s_and_saveexec_b64 s[0:1], vcc
	s_cbranch_execz .LBB967_17
; %bb.37:
	v_cvt_f32_u32_e32 v11, s16
	v_add_f32_e32 v0, v0, v10
	s_mov_b32 s23, 0x20000
	v_div_scale_f32 v10, s[0:1], v11, v11, v0
	v_rcp_f32_e32 v12, v10
	v_div_scale_f32 v13, vcc, v0, v11, v0
	s_mov_b32 s0, 0x800000
	v_fma_f32 v14, -v10, v12, 1.0
	v_fmac_f32_e32 v12, v14, v12
	v_mul_f32_e32 v14, v13, v12
	v_fma_f32 v15, -v10, v14, v13
	v_fmac_f32_e32 v14, v15, v12
	v_fma_f32 v10, -v10, v14, v13
	v_div_fmas_f32 v10, v10, v12, v14
	v_div_fixup_f32 v0, v10, v11, v0
	v_add_f32_e32 v0, s13, v0
	v_mul_f32_e32 v10, 0x4b800000, v0
	v_cmp_gt_f32_e32 vcc, s0, v0
	v_cndmask_b32_e32 v0, v0, v10, vcc
	v_rsq_f32_e32 v0, v0
	s_mul_hi_i32 s1, s10, s6
	s_mul_i32 s0, s10, s6
	s_lshl_b64 s[0:1], s[0:1], 1
	v_mul_f32_e32 v10, 0x45800000, v0
	v_cndmask_b32_e32 v10, v0, v10, vcc
	v_mov_b32_e32 v11, v10
	;;#ASMSTART
	v_pk_mul_f32 v[12:13], v[18:19], v[10:11]
	;;#ASMEND
	;;#ASMSTART
	v_pk_mul_f32 v[14:15], v[32:33], v[10:11]
	;;#ASMEND
	;; [unrolled: 3-line block ×8, first 2 shown]
	s_waitcnt vmcnt(1)
	v_cvt_f32_f16_sdwa v21, v6 dst_sel:DWORD dst_unused:UNUSED_PAD src0_sel:WORD_1
	v_cvt_f32_f16_e32 v20, v6
	v_cvt_f32_f16_sdwa v29, v7 dst_sel:DWORD dst_unused:UNUSED_PAD src0_sel:WORD_1
	v_cvt_f32_f16_e32 v28, v7
	;; [unrolled: 2-line block ×4, first 2 shown]
	;;#ASMSTART
	v_pk_mul_f32 v[8:9], v[12:13], v[20:21]
	;;#ASMEND
	;;#ASMSTART
	v_pk_mul_f32 v[12:13], v[14:15], v[28:29]
	;;#ASMEND
	;; [unrolled: 3-line block ×4, first 2 shown]
	s_waitcnt vmcnt(0)
	v_cvt_f32_f16_sdwa v17, v2 dst_sel:DWORD dst_unused:UNUSED_PAD src0_sel:WORD_1
	v_cvt_f32_f16_e32 v16, v2
	v_cvt_f32_f16_sdwa v19, v3 dst_sel:DWORD dst_unused:UNUSED_PAD src0_sel:WORD_1
	v_cvt_f32_f16_e32 v18, v3
	;; [unrolled: 2-line block ×4, first 2 shown]
	;;#ASMSTART
	v_pk_mul_f32 v[16:17], v[26:27], v[16:17]
	;;#ASMEND
	;;#ASMSTART
	v_pk_mul_f32 v[18:19], v[24:25], v[18:19]
	;;#ASMEND
	;; [unrolled: 3-line block ×3, first 2 shown]
	v_cvt_f16_f32_e32 v0, v8
	v_cvt_f16_f32_e32 v2, v9
	;; [unrolled: 1-line block ×8, first 2 shown]
	s_add_u32 s20, s36, s0
	s_addc_u32 s0, s37, s1
	s_and_b32 s21, s0, 0xffff
	v_pack_b32_f16 v2, v0, v2
	v_pack_b32_f16 v3, v3, v4
	;; [unrolled: 1-line block ×4, first 2 shown]
	;;#ASMSTART
	v_pk_mul_f32 v[10:11], v[10:11], v[20:21]
	;;#ASMEND
	buffer_store_dwordx4 v[2:5], v1, s[20:23], 0 offen
	v_cvt_f16_f32_e32 v0, v16
	v_cvt_f16_f32_e32 v2, v17
	;; [unrolled: 1-line block ×8, first 2 shown]
	v_pack_b32_f16 v2, v0, v2
	v_pack_b32_f16 v3, v3, v4
	v_pack_b32_f16 v4, v5, v6
	v_pack_b32_f16 v5, v7, v8
	;;#ASMSTART
	s_nop 0
	;;#ASMEND
	buffer_store_dwordx4 v[2:5], v1, s[20:23], 16 offen
	;;#ASMSTART
	s_nop 0
	;;#ASMEND
	s_endpgm
	.section	.rodata,"a",@progbits
	.p2align	6, 0x0
	.amdhsa_kernel _ZN5aiter35fused_qk_rmsnorm_group_quant_kernelIDF16_N4opus5fp4_tELi512ELi16ELi4ELb1ELb0ELb0ELb0ELb0ELb0EEEvPT0_PvPT_S7_S7_PKS6_S9_S9_S9_S9_ffiiiiiiiiiiiii
		.amdhsa_group_segment_fixed_size 64
		.amdhsa_private_segment_fixed_size 0
		.amdhsa_kernarg_size 400
		.amdhsa_user_sgpr_count 6
		.amdhsa_user_sgpr_private_segment_buffer 1
		.amdhsa_user_sgpr_dispatch_ptr 0
		.amdhsa_user_sgpr_queue_ptr 0
		.amdhsa_user_sgpr_kernarg_segment_ptr 1
		.amdhsa_user_sgpr_dispatch_id 0
		.amdhsa_user_sgpr_flat_scratch_init 0
		.amdhsa_user_sgpr_kernarg_preload_length 0
		.amdhsa_user_sgpr_kernarg_preload_offset 0
		.amdhsa_user_sgpr_private_segment_size 0
		.amdhsa_uses_dynamic_stack 0
		.amdhsa_system_sgpr_private_segment_wavefront_offset 0
		.amdhsa_system_sgpr_workgroup_id_x 1
		.amdhsa_system_sgpr_workgroup_id_y 1
		.amdhsa_system_sgpr_workgroup_id_z 0
		.amdhsa_system_sgpr_workgroup_info 0
		.amdhsa_system_vgpr_workitem_id 0
		.amdhsa_next_free_vgpr 47
		.amdhsa_next_free_sgpr 40
		.amdhsa_accum_offset 48
		.amdhsa_reserve_vcc 1
		.amdhsa_reserve_flat_scratch 0
		.amdhsa_float_round_mode_32 0
		.amdhsa_float_round_mode_16_64 0
		.amdhsa_float_denorm_mode_32 3
		.amdhsa_float_denorm_mode_16_64 3
		.amdhsa_dx10_clamp 1
		.amdhsa_ieee_mode 1
		.amdhsa_fp16_overflow 0
		.amdhsa_tg_split 0
		.amdhsa_exception_fp_ieee_invalid_op 0
		.amdhsa_exception_fp_denorm_src 0
		.amdhsa_exception_fp_ieee_div_zero 0
		.amdhsa_exception_fp_ieee_overflow 0
		.amdhsa_exception_fp_ieee_underflow 0
		.amdhsa_exception_fp_ieee_inexact 0
		.amdhsa_exception_int_div_zero 0
	.end_amdhsa_kernel
	.section	.text._ZN5aiter35fused_qk_rmsnorm_group_quant_kernelIDF16_N4opus5fp4_tELi512ELi16ELi4ELb1ELb0ELb0ELb0ELb0ELb0EEEvPT0_PvPT_S7_S7_PKS6_S9_S9_S9_S9_ffiiiiiiiiiiiii,"axG",@progbits,_ZN5aiter35fused_qk_rmsnorm_group_quant_kernelIDF16_N4opus5fp4_tELi512ELi16ELi4ELb1ELb0ELb0ELb0ELb0ELb0EEEvPT0_PvPT_S7_S7_PKS6_S9_S9_S9_S9_ffiiiiiiiiiiiii,comdat
.Lfunc_end967:
	.size	_ZN5aiter35fused_qk_rmsnorm_group_quant_kernelIDF16_N4opus5fp4_tELi512ELi16ELi4ELb1ELb0ELb0ELb0ELb0ELb0EEEvPT0_PvPT_S7_S7_PKS6_S9_S9_S9_S9_ffiiiiiiiiiiiii, .Lfunc_end967-_ZN5aiter35fused_qk_rmsnorm_group_quant_kernelIDF16_N4opus5fp4_tELi512ELi16ELi4ELb1ELb0ELb0ELb0ELb0ELb0EEEvPT0_PvPT_S7_S7_PKS6_S9_S9_S9_S9_ffiiiiiiiiiiiii
                                        ; -- End function
	.section	.AMDGPU.csdata,"",@progbits
; Kernel info:
; codeLenInByte = 3784
; NumSgprs: 44
; NumVgprs: 47
; NumAgprs: 0
; TotalNumVgprs: 47
; ScratchSize: 0
; MemoryBound: 0
; FloatMode: 240
; IeeeMode: 1
; LDSByteSize: 64 bytes/workgroup (compile time only)
; SGPRBlocks: 5
; VGPRBlocks: 5
; NumSGPRsForWavesPerEU: 44
; NumVGPRsForWavesPerEU: 47
; AccumOffset: 48
; Occupancy: 8
; WaveLimiterHint : 0
; COMPUTE_PGM_RSRC2:SCRATCH_EN: 0
; COMPUTE_PGM_RSRC2:USER_SGPR: 6
; COMPUTE_PGM_RSRC2:TRAP_HANDLER: 0
; COMPUTE_PGM_RSRC2:TGID_X_EN: 1
; COMPUTE_PGM_RSRC2:TGID_Y_EN: 1
; COMPUTE_PGM_RSRC2:TGID_Z_EN: 0
; COMPUTE_PGM_RSRC2:TIDIG_COMP_CNT: 0
; COMPUTE_PGM_RSRC3_GFX90A:ACCUM_OFFSET: 11
; COMPUTE_PGM_RSRC3_GFX90A:TG_SPLIT: 0
	.section	.text._ZN5aiter35fused_qk_rmsnorm_group_quant_kernelItN4opus5fp4_tELi512ELi16ELi4ELb1ELb0ELb0ELb0ELb0ELb0EEEvPT0_PvPT_S7_S7_PKS6_S9_S9_S9_S9_ffiiiiiiiiiiiii,"axG",@progbits,_ZN5aiter35fused_qk_rmsnorm_group_quant_kernelItN4opus5fp4_tELi512ELi16ELi4ELb1ELb0ELb0ELb0ELb0ELb0EEEvPT0_PvPT_S7_S7_PKS6_S9_S9_S9_S9_ffiiiiiiiiiiiii,comdat
	.protected	_ZN5aiter35fused_qk_rmsnorm_group_quant_kernelItN4opus5fp4_tELi512ELi16ELi4ELb1ELb0ELb0ELb0ELb0ELb0EEEvPT0_PvPT_S7_S7_PKS6_S9_S9_S9_S9_ffiiiiiiiiiiiii ; -- Begin function _ZN5aiter35fused_qk_rmsnorm_group_quant_kernelItN4opus5fp4_tELi512ELi16ELi4ELb1ELb0ELb0ELb0ELb0ELb0EEEvPT0_PvPT_S7_S7_PKS6_S9_S9_S9_S9_ffiiiiiiiiiiiii
	.globl	_ZN5aiter35fused_qk_rmsnorm_group_quant_kernelItN4opus5fp4_tELi512ELi16ELi4ELb1ELb0ELb0ELb0ELb0ELb0EEEvPT0_PvPT_S7_S7_PKS6_S9_S9_S9_S9_ffiiiiiiiiiiiii
	.p2align	8
	.type	_ZN5aiter35fused_qk_rmsnorm_group_quant_kernelItN4opus5fp4_tELi512ELi16ELi4ELb1ELb0ELb0ELb0ELb0ELb0EEEvPT0_PvPT_S7_S7_PKS6_S9_S9_S9_S9_ffiiiiiiiiiiiii,@function
_ZN5aiter35fused_qk_rmsnorm_group_quant_kernelItN4opus5fp4_tELi512ELi16ELi4ELb1ELb0ELb0ELb0ELb0ELb0EEEvPT0_PvPT_S7_S7_PKS6_S9_S9_S9_S9_ffiiiiiiiiiiiii: ; @_ZN5aiter35fused_qk_rmsnorm_group_quant_kernelItN4opus5fp4_tELi512ELi16ELi4ELb1ELb0ELb0ELb0ELb0ELb0EEEvPT0_PvPT_S7_S7_PKS6_S9_S9_S9_S9_ffiiiiiiiiiiiii
; %bb.0:
	s_load_dwordx8 s[12:19], s[4:5], 0x50
	s_waitcnt lgkmcnt(0)
	s_cmp_ge_i32 s6, s14
	s_cbranch_scc1 .LBB968_17
; %bb.1:
	s_cmp_lg_u32 s7, 0
	s_cselect_b64 s[22:23], -1, 0
	s_cmp_eq_u32 s7, 0
	s_cselect_b64 s[2:3], -1, 0
	s_and_b64 s[0:1], s[2:3], exec
	s_load_dwordx2 s[20:21], s[4:5], 0x48
	s_load_dwordx2 s[34:35], s[4:5], 0x30
	s_load_dwordx4 s[24:27], s[4:5], 0x70
	s_cselect_b32 s7, s15, s16
	s_add_i32 s0, s7, 1
	s_lshr_b32 s1, s0, 31
	s_add_i32 s0, s0, s1
	s_lshl_b32 s0, s0, 1
	v_lshlrev_b32_e32 v1, 4, v0
	s_and_b32 s30, s0, -4
	v_cmp_gt_i32_e64 s[0:1], s7, v1
	v_mov_b32_e32 v80, 0
	v_mov_b32_e32 v81, 0
	;; [unrolled: 1-line block ×16, first 2 shown]
	s_and_saveexec_b64 s[8:9], s[0:1]
	s_cbranch_execz .LBB968_3
; %bb.2:
	s_load_dwordx2 s[10:11], s[4:5], 0x28
	s_load_dwordx2 s[28:29], s[4:5], 0x40
	s_and_b64 s[36:37], s[2:3], exec
	s_cselect_b32 s14, s17, s18
	s_mov_b32 s31, 0x20000
	s_waitcnt lgkmcnt(0)
	s_cselect_b32 s17, s11, s35
	s_cselect_b32 s27, s10, s34
	s_mul_hi_i32 s11, s14, s6
	s_mul_i32 s10, s14, s6
	s_lshl_b64 s[10:11], s[10:11], 1
	s_add_u32 s36, s27, s10
	s_addc_u32 s14, s17, s11
	s_and_b64 s[10:11], s[2:3], exec
	s_cselect_b32 s28, s28, s20
	s_cselect_b32 s10, s29, s21
	s_and_b32 s37, s14, 0xffff
	s_mov_b32 s38, s30
	s_mov_b32 s39, s31
	v_lshlrev_b32_e32 v2, 5, v0
	s_and_b32 s29, s10, 0xffff
	buffer_load_dwordx4 v[84:87], v2, s[36:39], 0 offen
	buffer_load_dwordx4 v[88:91], v2, s[36:39], 16 offen
	;; [unrolled: 1-line block ×4, first 2 shown]
.LBB968_3:
	s_or_b64 exec, exec, s[8:9]
	s_load_dwordx2 s[10:11], s[4:5], 0x80
	s_and_b64 vcc, exec, s[22:23]
	s_cbranch_vccz .LBB968_7
; %bb.4:
	v_mov_b32_e32 v93, 0
	v_mov_b32_e32 v92, 0
	;; [unrolled: 1-line block ×16, first 2 shown]
	s_and_saveexec_b64 s[8:9], s[0:1]
	s_cbranch_execz .LBB968_6
; %bb.5:
	s_waitcnt vmcnt(3)
	v_cvt_f32_u32_sdwa v32, v84 dst_sel:DWORD dst_unused:UNUSED_PAD src0_sel:WORD_0
	v_cvt_f32_u32_sdwa v33, v84 dst_sel:DWORD dst_unused:UNUSED_PAD src0_sel:WORD_1
	v_cvt_f32_u32_sdwa v18, v85 dst_sel:DWORD dst_unused:UNUSED_PAD src0_sel:WORD_0
	v_cvt_f32_u32_sdwa v19, v85 dst_sel:DWORD dst_unused:UNUSED_PAD src0_sel:WORD_1
	;; [unrolled: 2-line block ×4, first 2 shown]
	s_waitcnt vmcnt(2)
	v_cvt_f32_u32_sdwa v68, v88 dst_sel:DWORD dst_unused:UNUSED_PAD src0_sel:WORD_0
	v_cvt_f32_u32_sdwa v69, v88 dst_sel:DWORD dst_unused:UNUSED_PAD src0_sel:WORD_1
	v_cvt_f32_u32_sdwa v62, v89 dst_sel:DWORD dst_unused:UNUSED_PAD src0_sel:WORD_0
	v_cvt_f32_u32_sdwa v63, v89 dst_sel:DWORD dst_unused:UNUSED_PAD src0_sel:WORD_1
	;; [unrolled: 2-line block ×4, first 2 shown]
.LBB968_6:
	s_or_b64 exec, exec, s[8:9]
	s_cbranch_execz .LBB968_8
	s_branch .LBB968_11
.LBB968_7:
                                        ; implicit-def: $vgpr32_vgpr33_vgpr34_vgpr35_vgpr36_vgpr37_vgpr38_vgpr39_vgpr40_vgpr41_vgpr42_vgpr43_vgpr44_vgpr45_vgpr46_vgpr47
                                        ; implicit-def: $vgpr46_vgpr47_vgpr48_vgpr49_vgpr50_vgpr51_vgpr52_vgpr53_vgpr54_vgpr55_vgpr56_vgpr57_vgpr58_vgpr59_vgpr60_vgpr61
                                        ; implicit-def: $vgpr16_vgpr17_vgpr18_vgpr19_vgpr20_vgpr21_vgpr22_vgpr23_vgpr24_vgpr25_vgpr26_vgpr27_vgpr28_vgpr29_vgpr30_vgpr31
                                        ; implicit-def: $vgpr93
                                        ; implicit-def: $vgpr2_vgpr3_vgpr4_vgpr5_vgpr6_vgpr7_vgpr8_vgpr9_vgpr10_vgpr11_vgpr12_vgpr13_vgpr14_vgpr15_vgpr16_vgpr17
                                        ; implicit-def: $vgpr60_vgpr61_vgpr62_vgpr63_vgpr64_vgpr65_vgpr66_vgpr67_vgpr68_vgpr69_vgpr70_vgpr71_vgpr72_vgpr73_vgpr74_vgpr75
                                        ; implicit-def: $vgpr34_vgpr35_vgpr36_vgpr37_vgpr38_vgpr39_vgpr40_vgpr41_vgpr42_vgpr43_vgpr44_vgpr45_vgpr46_vgpr47_vgpr48_vgpr49
                                        ; implicit-def: $vgpr52_vgpr53_vgpr54_vgpr55_vgpr56_vgpr57_vgpr58_vgpr59_vgpr60_vgpr61_vgpr62_vgpr63_vgpr64_vgpr65_vgpr66_vgpr67
.LBB968_8:
	v_mov_b32_e32 v93, 0
	v_mov_b32_e32 v92, 0
	;; [unrolled: 1-line block ×16, first 2 shown]
	s_and_saveexec_b64 s[8:9], s[0:1]
	s_cbranch_execz .LBB968_10
; %bb.9:
	s_load_dwordx2 s[28:29], s[4:5], 0x38
	s_mul_hi_i32 s37, s19, s6
	s_mul_i32 s36, s19, s6
	s_lshl_b64 s[36:37], s[36:37], 1
	s_mov_b32 s31, 0x20000
	s_waitcnt lgkmcnt(0)
	s_add_u32 s28, s28, s36
	s_addc_u32 s14, s29, s37
	s_and_b32 s29, s14, 0xffff
	v_lshlrev_b32_e32 v36, 5, v0
	buffer_load_dwordx4 v[4:7], v36, s[28:31], 16 offen
	buffer_load_dwordx4 v[8:11], v36, s[28:31], 0 offen
	s_load_dwordx2 s[28:29], s[4:5], 0x20
	s_waitcnt vmcnt(5)
	v_cvt_f32_u32_sdwa v21, v84 dst_sel:DWORD dst_unused:UNUSED_PAD src0_sel:WORD_1
	v_cvt_f32_u32_sdwa v20, v84 dst_sel:DWORD dst_unused:UNUSED_PAD src0_sel:WORD_0
	v_cvt_f32_u32_sdwa v19, v85 dst_sel:DWORD dst_unused:UNUSED_PAD src0_sel:WORD_1
	v_cvt_f32_u32_sdwa v18, v85 dst_sel:DWORD dst_unused:UNUSED_PAD src0_sel:WORD_0
	;; [unrolled: 2-line block ×4, first 2 shown]
	s_waitcnt vmcnt(4)
	v_cvt_f32_u32_sdwa v3, v88 dst_sel:DWORD dst_unused:UNUSED_PAD src0_sel:WORD_1
	v_cvt_f32_u32_sdwa v2, v88 dst_sel:DWORD dst_unused:UNUSED_PAD src0_sel:WORD_0
	v_cvt_f32_u32_sdwa v13, v89 dst_sel:DWORD dst_unused:UNUSED_PAD src0_sel:WORD_1
	v_cvt_f32_u32_sdwa v12, v89 dst_sel:DWORD dst_unused:UNUSED_PAD src0_sel:WORD_0
	v_cvt_f32_u32_sdwa v15, v90 dst_sel:DWORD dst_unused:UNUSED_PAD src0_sel:WORD_1
	v_cvt_f32_u32_sdwa v14, v90 dst_sel:DWORD dst_unused:UNUSED_PAD src0_sel:WORD_0
	v_cvt_f32_u32_sdwa v16, v91 dst_sel:DWORD dst_unused:UNUSED_PAD src0_sel:WORD_0
	v_cvt_f32_u32_sdwa v17, v91 dst_sel:DWORD dst_unused:UNUSED_PAD src0_sel:WORD_1
	s_mul_hi_i32 s37, s11, s6
	s_mul_i32 s36, s11, s6
	s_lshl_b64 s[36:37], s[36:37], 1
	s_waitcnt lgkmcnt(0)
	s_add_u32 s28, s28, s36
	s_mov_b32 s11, 0x7060302
	s_addc_u32 s14, s29, s37
	s_and_b32 s29, s14, 0xffff
	s_waitcnt vmcnt(1)
	v_cvt_f32_u32_sdwa v27, v4 dst_sel:DWORD dst_unused:UNUSED_PAD src0_sel:WORD_1
	v_cvt_f32_u32_sdwa v26, v4 dst_sel:DWORD dst_unused:UNUSED_PAD src0_sel:WORD_0
	v_cvt_f32_u32_sdwa v29, v5 dst_sel:DWORD dst_unused:UNUSED_PAD src0_sel:WORD_1
	v_cvt_f32_u32_sdwa v28, v5 dst_sel:DWORD dst_unused:UNUSED_PAD src0_sel:WORD_0
	;; [unrolled: 2-line block ×3, first 2 shown]
	v_cvt_f32_u32_sdwa v34, v7 dst_sel:DWORD dst_unused:UNUSED_PAD src0_sel:WORD_0
	v_cvt_f32_u32_sdwa v35, v7 dst_sel:DWORD dst_unused:UNUSED_PAD src0_sel:WORD_1
	s_waitcnt vmcnt(0)
	v_cvt_f32_u32_sdwa v33, v8 dst_sel:DWORD dst_unused:UNUSED_PAD src0_sel:WORD_1
	v_cvt_f32_u32_sdwa v32, v8 dst_sel:DWORD dst_unused:UNUSED_PAD src0_sel:WORD_0
	v_cvt_f32_u32_sdwa v5, v10 dst_sel:DWORD dst_unused:UNUSED_PAD src0_sel:WORD_1
	v_cvt_f32_u32_sdwa v4, v10 dst_sel:DWORD dst_unused:UNUSED_PAD src0_sel:WORD_0
	;; [unrolled: 2-line block ×4, first 2 shown]
	v_pk_add_f32 v[50:51], v[22:23], v[4:5]
	v_pk_add_f32 v[40:41], v[24:25], v[6:7]
	;; [unrolled: 1-line block ×4, first 2 shown]
	v_perm_b32 v7, v41, v40, s11
	v_perm_b32 v6, v51, v50, s11
	;; [unrolled: 1-line block ×4, first 2 shown]
	v_pk_add_f32 v[92:93], v[16:17], v[34:35]
	v_pk_add_f32 v[14:15], v[14:15], v[30:31]
	;; [unrolled: 1-line block ×4, first 2 shown]
	buffer_store_dwordx4 v[4:7], v36, s[28:31], 0 offen
	;;#ASMSTART
	s_nop 0
	;;#ASMEND
	s_nop 0
	v_perm_b32 v7, v93, v92, s11
	v_perm_b32 v6, v15, v14, s11
	;; [unrolled: 1-line block ×4, first 2 shown]
	buffer_store_dwordx4 v[4:7], v36, s[28:31], 16 offen
	;;#ASMSTART
	s_nop 0
	;;#ASMEND
.LBB968_10:
	s_or_b64 exec, exec, s[8:9]
.LBB968_11:
	v_mul_f32_e32 v2, v33, v33
	v_fmac_f32_e32 v2, v32, v32
	v_fmac_f32_e32 v2, v18, v18
	;; [unrolled: 1-line block ×15, first 2 shown]
	s_nop 1
	v_mov_b32_dpp v3, v2 quad_perm:[1,0,3,2] row_mask:0xf bank_mask:0xf
	v_add_f32_e32 v2, v2, v3
	s_nop 1
	v_mov_b32_dpp v3, v2 quad_perm:[2,3,0,1] row_mask:0xf bank_mask:0xf
	v_add_f32_e32 v2, v2, v3
	s_nop 1
	v_mov_b32_dpp v3, v2 row_half_mirror row_mask:0xf bank_mask:0xf
	v_add_f32_e32 v2, v2, v3
	s_nop 1
	v_mov_b32_dpp v3, v2 row_mirror row_mask:0xf bank_mask:0xf
	v_add_f32_e32 v2, v2, v3
	s_nop 1
	v_mov_b32_dpp v3, v2 row_bcast:15 row_mask:0xf bank_mask:0xf
	v_add_f32_e32 v2, v2, v3
	v_and_b32_e32 v3, 63, v0
	v_cmp_eq_u32_e64 s[8:9], 63, v3
	s_nop 0
	v_mov_b32_dpp v3, v2 row_bcast:31 row_mask:0xf bank_mask:0xf
	s_and_saveexec_b64 s[28:29], s[8:9]
	s_cbranch_execz .LBB968_13
; %bb.12:
	v_add_f32_e32 v2, v2, v3
	v_lshrrev_b32_e32 v3, 4, v0
	v_and_b32_e32 v3, 60, v3
	ds_write_b32 v3, v2 offset:32
.LBB968_13:
	s_or_b64 exec, exec, s[28:29]
	v_and_b32_e32 v2, 7, v0
	v_lshlrev_b32_e32 v34, 2, v2
	s_waitcnt lgkmcnt(0)
	s_barrier
	ds_read_b32 v2, v34 offset:32
	s_load_dwordx2 s[36:37], s[4:5], 0x18
	s_waitcnt lgkmcnt(0)
	v_mov_b32_dpp v3, v2 quad_perm:[1,0,3,2] row_mask:0xf bank_mask:0xf
	v_add_f32_e32 v2, v2, v3
	s_nop 1
	v_mov_b32_dpp v3, v2 quad_perm:[2,3,0,1] row_mask:0xf bank_mask:0xf
	v_add_f32_e32 v2, v2, v3
	s_nop 1
	v_mov_b32_dpp v3, v2 row_half_mirror row_mask:0xf bank_mask:0xf
	s_and_saveexec_b64 s[28:29], s[0:1]
	s_cbranch_execnz .LBB968_18
; %bb.14:
	s_or_b64 exec, exec, s[28:29]
	s_mov_b64 s[2:3], -1
	s_and_b64 vcc, exec, s[22:23]
	s_cbranch_vccnz .LBB968_19
.LBB968_15:
	s_andn2_b64 vcc, exec, s[2:3]
	s_cbranch_vccz .LBB968_22
.LBB968_16:
	s_cmp_lt_i32 s16, 1
	s_cbranch_scc0 .LBB968_29
.LBB968_17:
	s_endpgm
.LBB968_18:
	v_add_f32_e32 v2, v2, v3
	v_cvt_f32_u32_e32 v3, s7
	s_waitcnt vmcnt(1)
	v_cvt_f32_u32_sdwa v21, v81 dst_sel:DWORD dst_unused:UNUSED_PAD src0_sel:WORD_1
	v_cvt_f32_u32_sdwa v20, v81 dst_sel:DWORD dst_unused:UNUSED_PAD src0_sel:WORD_0
	s_waitcnt vmcnt(0)
	v_cvt_f32_u32_sdwa v23, v77 dst_sel:DWORD dst_unused:UNUSED_PAD src0_sel:WORD_1
	v_div_scale_f32 v4, s[38:39], v3, v3, v2
	v_rcp_f32_e32 v5, v4
	v_cvt_f32_u32_sdwa v22, v77 dst_sel:DWORD dst_unused:UNUSED_PAD src0_sel:WORD_0
	v_cvt_f32_u32_sdwa v25, v78 dst_sel:DWORD dst_unused:UNUSED_PAD src0_sel:WORD_1
	v_cvt_f32_u32_sdwa v24, v78 dst_sel:DWORD dst_unused:UNUSED_PAD src0_sel:WORD_0
	v_fma_f32 v6, -v4, v5, 1.0
	v_fmac_f32_e32 v5, v6, v5
	v_div_scale_f32 v6, vcc, v2, v3, v2
	v_mul_f32_e32 v7, v6, v5
	v_fma_f32 v8, -v4, v7, v6
	v_fmac_f32_e32 v7, v8, v5
	v_fma_f32 v4, -v4, v7, v6
	v_div_fmas_f32 v4, v4, v5, v7
	v_div_fixup_f32 v2, v4, v3, v2
	v_mov_b32_e32 v3, s13
	v_mov_b32_e32 v4, s12
	v_cndmask_b32_e64 v3, v3, v4, s[2:3]
	v_add_f32_e32 v2, v3, v2
	s_mov_b32 s2, 0x800000
	v_mul_f32_e32 v3, 0x4b800000, v2
	v_cmp_gt_f32_e32 vcc, s2, v2
	v_cndmask_b32_e32 v2, v2, v3, vcc
	v_rsq_f32_e32 v2, v2
	v_cvt_f32_u32_sdwa v27, v79 dst_sel:DWORD dst_unused:UNUSED_PAD src0_sel:WORD_1
	v_cvt_f32_u32_sdwa v26, v79 dst_sel:DWORD dst_unused:UNUSED_PAD src0_sel:WORD_0
	v_mul_f32_e32 v3, 0x45800000, v2
	v_cndmask_b32_e32 v2, v2, v3, vcc
	v_mov_b32_e32 v3, v2
	;;#ASMSTART
	v_pk_mul_f32 v[4:5], v[32:33], v[2:3]
	;;#ASMEND
	;;#ASMSTART
	v_pk_mul_f32 v[6:7], v[18:19], v[2:3]
	;;#ASMEND
	;; [unrolled: 3-line block ×6, first 2 shown]
	v_cvt_f32_u32_sdwa v19, v80 dst_sel:DWORD dst_unused:UNUSED_PAD src0_sel:WORD_1
	v_cvt_f32_u32_sdwa v18, v80 dst_sel:DWORD dst_unused:UNUSED_PAD src0_sel:WORD_0
	;;#ASMSTART
	v_pk_mul_f32 v[14:15], v[14:15], v[2:3]
	;;#ASMEND
	;;#ASMSTART
	v_pk_mul_f32 v[2:3], v[92:93], v[2:3]
	;;#ASMEND
	;; [unrolled: 3-line block ×4, first 2 shown]
	v_cvt_f32_u32_sdwa v5, v82 dst_sel:DWORD dst_unused:UNUSED_PAD src0_sel:WORD_1
	v_cvt_f32_u32_sdwa v4, v82 dst_sel:DWORD dst_unused:UNUSED_PAD src0_sel:WORD_0
	v_cvt_f32_u32_sdwa v7, v83 dst_sel:DWORD dst_unused:UNUSED_PAD src0_sel:WORD_1
	v_cvt_f32_u32_sdwa v6, v83 dst_sel:DWORD dst_unused:UNUSED_PAD src0_sel:WORD_0
	;; [unrolled: 2-line block ×3, first 2 shown]
	;;#ASMSTART
	v_pk_mul_f32 v[50:51], v[8:9], v[4:5]
	;;#ASMEND
	;;#ASMSTART
	v_pk_mul_f32 v[40:41], v[10:11], v[6:7]
	;;#ASMEND
	;; [unrolled: 3-line block ×6, first 2 shown]
	s_or_b64 exec, exec, s[28:29]
	s_mov_b64 s[2:3], -1
	s_and_b64 vcc, exec, s[22:23]
	s_cbranch_vccz .LBB968_15
.LBB968_19:
	s_and_saveexec_b64 s[2:3], s[0:1]
	s_cbranch_execz .LBB968_21
; %bb.20:
	s_mul_hi_i32 s23, s10, s6
	s_mul_i32 s22, s10, s6
	s_lshl_b64 s[22:23], s[22:23], 1
	s_add_u32 s28, s36, s22
	s_addc_u32 s7, s37, s23
	s_and_b32 s29, s7, 0xffff
	s_mov_b32 s7, 0x7060302
	s_mov_b32 s31, 0x20000
	v_perm_b32 v5, v41, v40, s7
	v_perm_b32 v4, v51, v50, s7
	;; [unrolled: 1-line block ×4, first 2 shown]
	v_lshlrev_b32_e32 v6, 5, v0
	buffer_store_dwordx4 v[2:5], v6, s[28:31], 0 offen
	;;#ASMSTART
	s_nop 0
	;;#ASMEND
	s_nop 0
	v_perm_b32 v5, v93, v92, s7
	v_perm_b32 v4, v15, v14, s7
	;; [unrolled: 1-line block ×4, first 2 shown]
	buffer_store_dwordx4 v[2:5], v6, s[28:31], 16 offen
	;;#ASMSTART
	s_nop 0
	;;#ASMEND
.LBB968_21:
	s_or_b64 exec, exec, s[2:3]
	s_cbranch_execnz .LBB968_16
.LBB968_22:
	v_mov_b32_e32 v2, 0
	s_and_saveexec_b64 s[2:3], s[0:1]
	s_cbranch_execz .LBB968_24
; %bb.23:
	v_and_b32_e32 v2, 0x7fffffff, v32
	v_and_b32_e32 v3, 0x7fffffff, v33
	v_mov_b32_e32 v10, 0x2edbe6ff
	;;#ASMSTART
	v_max3_f32 v2, v10, v2, v3

	;;#ASMEND
	v_and_b32_e32 v4, 0x7fffffff, v18
	v_and_b32_e32 v5, 0x7fffffff, v19
	;;#ASMSTART
	v_max3_f32 v2, v2, v4, v5

	;;#ASMEND
	v_and_b32_e32 v6, 0x7fffffff, v50
	v_and_b32_e32 v7, 0x7fffffff, v51
	;; [unrolled: 6-line block ×7, first 2 shown]
	;;#ASMSTART
	v_max3_f32 v2, v2, v3, v4

	;;#ASMEND
.LBB968_24:
	s_or_b64 exec, exec, s[2:3]
	;;#ASMSTART
	v_max_f32 v3, v2, v2 quad_perm:[1,0,3,2] row_mask:0xf bank_mask:0xf bound_ctrl:1
	;;#ASMEND
	;;#ASMSTART
	v_max_f32 v2, v3, v3 quad_perm:[2,3,0,1] row_mask:0xf bank_mask:0xf bound_ctrl:1
	;;#ASMEND
	v_and_b32_e32 v3, 3, v0
	v_cmp_eq_u32_e32 vcc, 0, v3
	v_cmp_gt_i32_e64 s[2:3], s15, v1
	s_and_b64 s[22:23], vcc, s[2:3]
	s_and_saveexec_b64 s[2:3], s[22:23]
	s_cbranch_execz .LBB968_26
; %bb.25:
	s_load_dwordx2 s[22:23], s[4:5], 0x8
	v_mul_f32_e32 v2, 0x3e2aaaab, v2
	v_lshrrev_b32_e32 v3, 23, v2
	v_and_b32_e32 v4, 0x7f800000, v2
	v_and_b32_e32 v2, 0x7fffff, v2
	v_cmp_ne_u32_e32 vcc, 0, v2
	s_mul_i32 s12, s25, s6
	s_mov_b32 s7, 0x7f800000
	v_addc_co_u32_e32 v2, vcc, 0, v3, vcc
	s_mul_hi_i32 s11, s25, s6
	s_waitcnt lgkmcnt(0)
	s_add_u32 s22, s22, s12
	v_cmp_ne_u32_e32 vcc, s7, v4
	s_addc_u32 s23, s23, s11
	v_lshrrev_b32_e32 v5, 2, v0
	v_cndmask_b32_e32 v4, -1, v2, vcc
	v_pk_mov_b32 v[2:3], s[22:23], s[22:23] op_sel:[0,1]
	v_mad_i64_i32 v[2:3], s[22:23], s26, v5, v[2:3]
	global_store_byte v[2:3], v4, off
.LBB968_26:
	s_or_b64 exec, exec, s[2:3]
	s_and_saveexec_b64 s[2:3], s[0:1]
	s_cbranch_execz .LBB968_28
; %bb.27:
	s_load_dwordx2 s[0:1], s[4:5], 0x0
	s_mul_i32 s11, s24, s6
	s_mul_hi_i32 s7, s24, s6
	v_mov_b32_e32 v2, 0
	v_lshlrev_b32_e32 v4, 3, v0
	s_waitcnt lgkmcnt(0)
	s_add_u32 s24, s0, s11
	s_addc_u32 s0, s1, s7
	s_lshr_b32 s1, s15, 31
	s_add_i32 s1, s15, s1
	s_ashr_i32 s1, s1, 1
	s_add_i32 s1, s1, 3
	s_ashr_i32 s7, s1, 31
	s_lshr_b32 s7, s7, 30
	s_add_i32 s1, s1, s7
	s_and_b32 s26, s1, -4
	s_and_b32 s25, s0, 0xffff
	s_mov_b32 s27, 0x20000
	v_mov_b32_e32 v3, v2
	buffer_store_dwordx2 v[2:3], v4, s[24:27], 0 offen
	;;#ASMSTART
	s_nop 0
	;;#ASMEND
.LBB968_28:
	s_or_b64 exec, exec, s[2:3]
	s_cmp_lt_i32 s16, 1
	s_cbranch_scc1 .LBB968_17
.LBB968_29:
	s_load_dword s0, s[4:5], 0x94
	s_waitcnt lgkmcnt(0)
	s_cmp_lg_u32 s0, 1
	s_cbranch_scc1 .LBB968_17
; %bb.30:
	s_lshl_b32 s0, s16, 1
	s_add_i32 s0, s0, 2
	v_cmp_gt_u32_e32 vcc, s16, v1
	s_and_b32 s22, s0, -4
	v_mov_b32_e32 v18, 0
	v_lshlrev_b32_e32 v1, 5, v0
	v_mov_b32_e32 v14, 0
	v_mov_b32_e32 v15, 0
	;; [unrolled: 1-line block ×16, first 2 shown]
	s_barrier
	s_and_saveexec_b64 s[0:1], vcc
	s_cbranch_execz .LBB968_32
; %bb.31:
	s_mul_hi_i32 s3, s18, s6
	s_mul_i32 s2, s18, s6
	s_and_b32 s21, s21, 0xffff
	s_lshl_b64 s[2:3], s[2:3], 1
	s_add_u32 s24, s34, s2
	s_mov_b32 s23, 0x20000
	s_addc_u32 s2, s35, s3
	s_and_b32 s25, s2, 0xffff
	s_mov_b32 s26, s22
	s_mov_b32 s27, s23
	buffer_load_dwordx4 v[14:17], v1, s[24:27], 0 offen
	buffer_load_dwordx4 v[10:13], v1, s[24:27], 16 offen
	;; [unrolled: 1-line block ×4, first 2 shown]
.LBB968_32:
	s_or_b64 exec, exec, s[0:1]
	v_mov_b32_e32 v19, 0
	v_mov_b32_e32 v32, 0
	;; [unrolled: 1-line block ×15, first 2 shown]
	s_and_saveexec_b64 s[0:1], vcc
	s_cbranch_execz .LBB968_34
; %bb.33:
	s_waitcnt vmcnt(3)
	v_cvt_f32_u32_sdwa v18, v14 dst_sel:DWORD dst_unused:UNUSED_PAD src0_sel:WORD_0
	v_cvt_f32_u32_sdwa v19, v14 dst_sel:DWORD dst_unused:UNUSED_PAD src0_sel:WORD_1
	v_cvt_f32_u32_sdwa v32, v15 dst_sel:DWORD dst_unused:UNUSED_PAD src0_sel:WORD_0
	v_cvt_f32_u32_sdwa v33, v15 dst_sel:DWORD dst_unused:UNUSED_PAD src0_sel:WORD_1
	v_cvt_f32_u32_sdwa v30, v16 dst_sel:DWORD dst_unused:UNUSED_PAD src0_sel:WORD_0
	v_cvt_f32_u32_sdwa v31, v16 dst_sel:DWORD dst_unused:UNUSED_PAD src0_sel:WORD_1
	v_cvt_f32_u32_sdwa v28, v17 dst_sel:DWORD dst_unused:UNUSED_PAD src0_sel:WORD_0
	v_cvt_f32_u32_sdwa v29, v17 dst_sel:DWORD dst_unused:UNUSED_PAD src0_sel:WORD_1
	s_waitcnt vmcnt(2)
	v_cvt_f32_u32_sdwa v26, v10 dst_sel:DWORD dst_unused:UNUSED_PAD src0_sel:WORD_0
	v_cvt_f32_u32_sdwa v27, v10 dst_sel:DWORD dst_unused:UNUSED_PAD src0_sel:WORD_1
	v_cvt_f32_u32_sdwa v24, v11 dst_sel:DWORD dst_unused:UNUSED_PAD src0_sel:WORD_0
	v_cvt_f32_u32_sdwa v25, v11 dst_sel:DWORD dst_unused:UNUSED_PAD src0_sel:WORD_1
	;; [unrolled: 2-line block ×4, first 2 shown]
.LBB968_34:
	s_or_b64 exec, exec, s[0:1]
	s_waitcnt vmcnt(2)
	v_mul_f32_e32 v10, v19, v19
	v_fmac_f32_e32 v10, v18, v18
	v_fmac_f32_e32 v10, v32, v32
	;; [unrolled: 1-line block ×15, first 2 shown]
	s_nop 1
	v_mov_b32_dpp v11, v10 quad_perm:[1,0,3,2] row_mask:0xf bank_mask:0xf
	v_add_f32_e32 v10, v10, v11
	s_nop 1
	v_mov_b32_dpp v11, v10 quad_perm:[2,3,0,1] row_mask:0xf bank_mask:0xf
	v_add_f32_e32 v10, v10, v11
	s_nop 1
	v_mov_b32_dpp v11, v10 row_half_mirror row_mask:0xf bank_mask:0xf
	v_add_f32_e32 v10, v10, v11
	s_nop 1
	v_mov_b32_dpp v11, v10 row_mirror row_mask:0xf bank_mask:0xf
	v_add_f32_e32 v10, v10, v11
	s_nop 1
	v_mov_b32_dpp v11, v10 row_bcast:15 row_mask:0xf bank_mask:0xf
	v_add_f32_e32 v10, v10, v11
	s_nop 1
	v_mov_b32_dpp v11, v10 row_bcast:31 row_mask:0xf bank_mask:0xf
	s_and_saveexec_b64 s[0:1], s[8:9]
	s_cbranch_execz .LBB968_36
; %bb.35:
	v_lshrrev_b32_e32 v0, 4, v0
	v_add_f32_e32 v10, v10, v11
	v_and_b32_e32 v0, 60, v0
	ds_write_b32 v0, v10
.LBB968_36:
	s_or_b64 exec, exec, s[0:1]
	s_waitcnt lgkmcnt(0)
	s_barrier
	ds_read_b32 v0, v34
	s_waitcnt lgkmcnt(0)
	s_nop 0
	v_mov_b32_dpp v10, v0 quad_perm:[1,0,3,2] row_mask:0xf bank_mask:0xf
	v_add_f32_e32 v0, v0, v10
	s_nop 1
	v_mov_b32_dpp v10, v0 quad_perm:[2,3,0,1] row_mask:0xf bank_mask:0xf
	v_add_f32_e32 v0, v0, v10
	s_nop 1
	v_mov_b32_dpp v10, v0 row_half_mirror row_mask:0xf bank_mask:0xf
	s_and_saveexec_b64 s[0:1], vcc
	s_cbranch_execz .LBB968_17
; %bb.37:
	v_cvt_f32_u32_e32 v11, s16
	v_add_f32_e32 v0, v0, v10
	s_mov_b32 s23, 0x20000
	v_div_scale_f32 v10, s[0:1], v11, v11, v0
	v_rcp_f32_e32 v12, v10
	v_div_scale_f32 v13, vcc, v0, v11, v0
	s_mov_b32 s0, 0x800000
	v_fma_f32 v14, -v10, v12, 1.0
	v_fmac_f32_e32 v12, v14, v12
	v_mul_f32_e32 v14, v13, v12
	v_fma_f32 v15, -v10, v14, v13
	v_fmac_f32_e32 v14, v15, v12
	v_fma_f32 v10, -v10, v14, v13
	v_div_fmas_f32 v10, v10, v12, v14
	v_div_fixup_f32 v0, v10, v11, v0
	v_add_f32_e32 v0, s13, v0
	v_mul_f32_e32 v10, 0x4b800000, v0
	v_cmp_gt_f32_e32 vcc, s0, v0
	v_cndmask_b32_e32 v0, v0, v10, vcc
	v_rsq_f32_e32 v0, v0
	s_mul_hi_i32 s1, s10, s6
	s_mul_i32 s0, s10, s6
	s_lshl_b64 s[0:1], s[0:1], 1
	v_mul_f32_e32 v10, 0x45800000, v0
	v_cndmask_b32_e32 v10, v0, v10, vcc
	v_mov_b32_e32 v11, v10
	s_add_u32 s20, s36, s0
	;;#ASMSTART
	v_pk_mul_f32 v[12:13], v[18:19], v[10:11]
	;;#ASMEND
	;;#ASMSTART
	v_pk_mul_f32 v[14:15], v[32:33], v[10:11]
	;;#ASMEND
	;; [unrolled: 3-line block ×8, first 2 shown]
	s_waitcnt vmcnt(1)
	v_cvt_f32_u32_sdwa v21, v6 dst_sel:DWORD dst_unused:UNUSED_PAD src0_sel:WORD_1
	v_cvt_f32_u32_sdwa v20, v6 dst_sel:DWORD dst_unused:UNUSED_PAD src0_sel:WORD_0
	v_cvt_f32_u32_sdwa v29, v7 dst_sel:DWORD dst_unused:UNUSED_PAD src0_sel:WORD_1
	v_cvt_f32_u32_sdwa v28, v7 dst_sel:DWORD dst_unused:UNUSED_PAD src0_sel:WORD_0
	v_cvt_f32_u32_sdwa v7, v8 dst_sel:DWORD dst_unused:UNUSED_PAD src0_sel:WORD_1
	v_cvt_f32_u32_sdwa v6, v8 dst_sel:DWORD dst_unused:UNUSED_PAD src0_sel:WORD_0
	s_addc_u32 s0, s37, s1
	v_cvt_f32_u32_sdwa v31, v9 dst_sel:DWORD dst_unused:UNUSED_PAD src0_sel:WORD_1
	v_cvt_f32_u32_sdwa v30, v9 dst_sel:DWORD dst_unused:UNUSED_PAD src0_sel:WORD_0
	;;#ASMSTART
	v_pk_mul_f32 v[8:9], v[12:13], v[20:21]
	;;#ASMEND
	;;#ASMSTART
	v_pk_mul_f32 v[12:13], v[14:15], v[28:29]
	;;#ASMEND
	;; [unrolled: 3-line block ×4, first 2 shown]
	s_waitcnt vmcnt(0)
	v_cvt_f32_u32_sdwa v17, v2 dst_sel:DWORD dst_unused:UNUSED_PAD src0_sel:WORD_1
	v_cvt_f32_u32_sdwa v16, v2 dst_sel:DWORD dst_unused:UNUSED_PAD src0_sel:WORD_0
	v_cvt_f32_u32_sdwa v19, v3 dst_sel:DWORD dst_unused:UNUSED_PAD src0_sel:WORD_1
	v_cvt_f32_u32_sdwa v18, v3 dst_sel:DWORD dst_unused:UNUSED_PAD src0_sel:WORD_0
	;; [unrolled: 2-line block ×3, first 2 shown]
	s_and_b32 s21, s0, 0xffff
	s_mov_b32 s0, 0x7060302
	v_cvt_f32_u32_sdwa v21, v5 dst_sel:DWORD dst_unused:UNUSED_PAD src0_sel:WORD_1
	v_cvt_f32_u32_sdwa v20, v5 dst_sel:DWORD dst_unused:UNUSED_PAD src0_sel:WORD_0
	;;#ASMSTART
	v_pk_mul_f32 v[16:17], v[26:27], v[16:17]
	;;#ASMEND
	;;#ASMSTART
	v_pk_mul_f32 v[18:19], v[24:25], v[18:19]
	;;#ASMEND
	;;#ASMSTART
	v_pk_mul_f32 v[22:23], v[22:23], v[2:3]
	;;#ASMEND
	v_perm_b32 v2, v9, v8, s0
	v_perm_b32 v3, v13, v12, s0
	;; [unrolled: 1-line block ×4, first 2 shown]
	;;#ASMSTART
	v_pk_mul_f32 v[10:11], v[10:11], v[20:21]
	;;#ASMEND
	buffer_store_dwordx4 v[2:5], v1, s[20:23], 0 offen
	;;#ASMSTART
	s_nop 0
	;;#ASMEND
	s_nop 0
	v_perm_b32 v2, v17, v16, s0
	v_perm_b32 v3, v19, v18, s0
	;; [unrolled: 1-line block ×4, first 2 shown]
	buffer_store_dwordx4 v[2:5], v1, s[20:23], 16 offen
	;;#ASMSTART
	s_nop 0
	;;#ASMEND
	s_endpgm
	.section	.rodata,"a",@progbits
	.p2align	6, 0x0
	.amdhsa_kernel _ZN5aiter35fused_qk_rmsnorm_group_quant_kernelItN4opus5fp4_tELi512ELi16ELi4ELb1ELb0ELb0ELb0ELb0ELb0EEEvPT0_PvPT_S7_S7_PKS6_S9_S9_S9_S9_ffiiiiiiiiiiiii
		.amdhsa_group_segment_fixed_size 64
		.amdhsa_private_segment_fixed_size 0
		.amdhsa_kernarg_size 400
		.amdhsa_user_sgpr_count 6
		.amdhsa_user_sgpr_private_segment_buffer 1
		.amdhsa_user_sgpr_dispatch_ptr 0
		.amdhsa_user_sgpr_queue_ptr 0
		.amdhsa_user_sgpr_kernarg_segment_ptr 1
		.amdhsa_user_sgpr_dispatch_id 0
		.amdhsa_user_sgpr_flat_scratch_init 0
		.amdhsa_user_sgpr_kernarg_preload_length 0
		.amdhsa_user_sgpr_kernarg_preload_offset 0
		.amdhsa_user_sgpr_private_segment_size 0
		.amdhsa_uses_dynamic_stack 0
		.amdhsa_system_sgpr_private_segment_wavefront_offset 0
		.amdhsa_system_sgpr_workgroup_id_x 1
		.amdhsa_system_sgpr_workgroup_id_y 1
		.amdhsa_system_sgpr_workgroup_id_z 0
		.amdhsa_system_sgpr_workgroup_info 0
		.amdhsa_system_vgpr_workitem_id 0
		.amdhsa_next_free_vgpr 94
		.amdhsa_next_free_sgpr 40
		.amdhsa_accum_offset 96
		.amdhsa_reserve_vcc 1
		.amdhsa_reserve_flat_scratch 0
		.amdhsa_float_round_mode_32 0
		.amdhsa_float_round_mode_16_64 0
		.amdhsa_float_denorm_mode_32 3
		.amdhsa_float_denorm_mode_16_64 3
		.amdhsa_dx10_clamp 1
		.amdhsa_ieee_mode 1
		.amdhsa_fp16_overflow 0
		.amdhsa_tg_split 0
		.amdhsa_exception_fp_ieee_invalid_op 0
		.amdhsa_exception_fp_denorm_src 0
		.amdhsa_exception_fp_ieee_div_zero 0
		.amdhsa_exception_fp_ieee_overflow 0
		.amdhsa_exception_fp_ieee_underflow 0
		.amdhsa_exception_fp_ieee_inexact 0
		.amdhsa_exception_int_div_zero 0
	.end_amdhsa_kernel
	.section	.text._ZN5aiter35fused_qk_rmsnorm_group_quant_kernelItN4opus5fp4_tELi512ELi16ELi4ELb1ELb0ELb0ELb0ELb0ELb0EEEvPT0_PvPT_S7_S7_PKS6_S9_S9_S9_S9_ffiiiiiiiiiiiii,"axG",@progbits,_ZN5aiter35fused_qk_rmsnorm_group_quant_kernelItN4opus5fp4_tELi512ELi16ELi4ELb1ELb0ELb0ELb0ELb0ELb0EEEvPT0_PvPT_S7_S7_PKS6_S9_S9_S9_S9_ffiiiiiiiiiiiii,comdat
.Lfunc_end968:
	.size	_ZN5aiter35fused_qk_rmsnorm_group_quant_kernelItN4opus5fp4_tELi512ELi16ELi4ELb1ELb0ELb0ELb0ELb0ELb0EEEvPT0_PvPT_S7_S7_PKS6_S9_S9_S9_S9_ffiiiiiiiiiiiii, .Lfunc_end968-_ZN5aiter35fused_qk_rmsnorm_group_quant_kernelItN4opus5fp4_tELi512ELi16ELi4ELb1ELb0ELb0ELb0ELb0ELb0EEEvPT0_PvPT_S7_S7_PKS6_S9_S9_S9_S9_ffiiiiiiiiiiiii
                                        ; -- End function
	.section	.AMDGPU.csdata,"",@progbits
; Kernel info:
; codeLenInByte = 3800
; NumSgprs: 44
; NumVgprs: 94
; NumAgprs: 0
; TotalNumVgprs: 94
; ScratchSize: 0
; MemoryBound: 0
; FloatMode: 240
; IeeeMode: 1
; LDSByteSize: 64 bytes/workgroup (compile time only)
; SGPRBlocks: 5
; VGPRBlocks: 11
; NumSGPRsForWavesPerEU: 44
; NumVGPRsForWavesPerEU: 94
; AccumOffset: 96
; Occupancy: 5
; WaveLimiterHint : 0
; COMPUTE_PGM_RSRC2:SCRATCH_EN: 0
; COMPUTE_PGM_RSRC2:USER_SGPR: 6
; COMPUTE_PGM_RSRC2:TRAP_HANDLER: 0
; COMPUTE_PGM_RSRC2:TGID_X_EN: 1
; COMPUTE_PGM_RSRC2:TGID_Y_EN: 1
; COMPUTE_PGM_RSRC2:TGID_Z_EN: 0
; COMPUTE_PGM_RSRC2:TIDIG_COMP_CNT: 0
; COMPUTE_PGM_RSRC3_GFX90A:ACCUM_OFFSET: 23
; COMPUTE_PGM_RSRC3_GFX90A:TG_SPLIT: 0
	.section	.text._ZN5aiter35fused_qk_rmsnorm_group_quant_kernelIDF16_DB8_Li512ELi16ELi4ELb0ELb1ELb1ELb0ELb0ELb0EEEvPT0_PvPT_S6_S6_PKS5_S8_S8_S8_S8_ffiiiiiiiiiiiii,"axG",@progbits,_ZN5aiter35fused_qk_rmsnorm_group_quant_kernelIDF16_DB8_Li512ELi16ELi4ELb0ELb1ELb1ELb0ELb0ELb0EEEvPT0_PvPT_S6_S6_PKS5_S8_S8_S8_S8_ffiiiiiiiiiiiii,comdat
	.protected	_ZN5aiter35fused_qk_rmsnorm_group_quant_kernelIDF16_DB8_Li512ELi16ELi4ELb0ELb1ELb1ELb0ELb0ELb0EEEvPT0_PvPT_S6_S6_PKS5_S8_S8_S8_S8_ffiiiiiiiiiiiii ; -- Begin function _ZN5aiter35fused_qk_rmsnorm_group_quant_kernelIDF16_DB8_Li512ELi16ELi4ELb0ELb1ELb1ELb0ELb0ELb0EEEvPT0_PvPT_S6_S6_PKS5_S8_S8_S8_S8_ffiiiiiiiiiiiii
	.globl	_ZN5aiter35fused_qk_rmsnorm_group_quant_kernelIDF16_DB8_Li512ELi16ELi4ELb0ELb1ELb1ELb0ELb0ELb0EEEvPT0_PvPT_S6_S6_PKS5_S8_S8_S8_S8_ffiiiiiiiiiiiii
	.p2align	8
	.type	_ZN5aiter35fused_qk_rmsnorm_group_quant_kernelIDF16_DB8_Li512ELi16ELi4ELb0ELb1ELb1ELb0ELb0ELb0EEEvPT0_PvPT_S6_S6_PKS5_S8_S8_S8_S8_ffiiiiiiiiiiiii,@function
_ZN5aiter35fused_qk_rmsnorm_group_quant_kernelIDF16_DB8_Li512ELi16ELi4ELb0ELb1ELb1ELb0ELb0ELb0EEEvPT0_PvPT_S6_S6_PKS5_S8_S8_S8_S8_ffiiiiiiiiiiiii: ; @_ZN5aiter35fused_qk_rmsnorm_group_quant_kernelIDF16_DB8_Li512ELi16ELi4ELb0ELb1ELb1ELb0ELb0ELb0EEEvPT0_PvPT_S6_S6_PKS5_S8_S8_S8_S8_ffiiiiiiiiiiiii
; %bb.0:
	s_load_dwordx4 s[16:19], s[4:5], 0x50
	s_waitcnt lgkmcnt(0)
	s_cmp_ge_i32 s6, s18
	s_cbranch_scc1 .LBB969_12
; %bb.1:
	s_load_dwordx2 s[12:13], s[4:5], 0x48
	s_load_dwordx2 s[30:31], s[4:5], 0x30
	s_load_dwordx4 s[20:23], s[4:5], 0x60
	s_cmp_lg_u32 s7, 0
	s_cselect_b64 s[14:15], -1, 0
	s_cmp_eq_u32 s7, 0
	s_cselect_b64 vcc, -1, 0
	s_and_b64 s[0:1], vcc, exec
	s_waitcnt lgkmcnt(0)
	s_cselect_b32 s7, s19, s20
	s_add_i32 s0, s7, 1
	s_lshr_b32 s1, s0, 31
	s_add_i32 s0, s0, s1
	s_lshl_b32 s0, s0, 1
	v_lshlrev_b32_e32 v1, 4, v0
	s_and_b32 s10, s0, -4
	v_cmp_gt_i32_e64 s[2:3], s7, v1
	v_mov_b32_e32 v18, 0
	v_mov_b32_e32 v6, 0
	;; [unrolled: 1-line block ×17, first 2 shown]
	s_and_saveexec_b64 s[0:1], s[2:3]
	s_cbranch_execz .LBB969_3
; %bb.2:
	s_load_dwordx2 s[8:9], s[4:5], 0x28
	s_load_dwordx2 s[26:27], s[4:5], 0x40
	s_and_b64 s[24:25], vcc, exec
	s_cselect_b32 s11, s21, s22
	v_lshlrev_b32_e32 v19, 5, v0
	s_waitcnt lgkmcnt(0)
	s_cselect_b32 s18, s9, s31
	s_cselect_b32 s21, s8, s30
	s_mul_hi_i32 s9, s11, s6
	s_mul_i32 s8, s11, s6
	s_lshl_b64 s[8:9], s[8:9], 1
	s_add_u32 s24, s21, s8
	s_addc_u32 s18, s18, s9
	s_and_b64 s[8:9], vcc, exec
	s_mov_b32 s11, 0x20000
	s_cselect_b32 s8, s26, s12
	s_cselect_b32 s9, s27, s13
	s_and_b32 s25, s18, 0xffff
	s_mov_b32 s26, s10
	s_mov_b32 s27, s11
	s_and_b32 s9, s9, 0xffff
	buffer_load_dwordx4 v[14:17], v19, s[24:27], 0 offen
	buffer_load_dwordx4 v[10:13], v19, s[24:27], 16 offen
	;; [unrolled: 1-line block ×4, first 2 shown]
.LBB969_3:
	s_or_b64 exec, exec, s[0:1]
	v_mov_b32_e32 v19, 0
	v_mov_b32_e32 v32, 0
	;; [unrolled: 1-line block ×15, first 2 shown]
	s_and_saveexec_b64 s[0:1], s[2:3]
	s_cbranch_execz .LBB969_5
; %bb.4:
	s_waitcnt vmcnt(3)
	v_cvt_f32_f16_sdwa v19, v14 dst_sel:DWORD dst_unused:UNUSED_PAD src0_sel:WORD_1
	v_cvt_f32_f16_e32 v18, v14
	v_cvt_f32_f16_sdwa v33, v15 dst_sel:DWORD dst_unused:UNUSED_PAD src0_sel:WORD_1
	v_cvt_f32_f16_e32 v32, v15
	;; [unrolled: 2-line block ×4, first 2 shown]
	s_waitcnt vmcnt(2)
	v_cvt_f32_f16_sdwa v25, v10 dst_sel:DWORD dst_unused:UNUSED_PAD src0_sel:WORD_1
	v_cvt_f32_f16_e32 v24, v10
	v_cvt_f32_f16_sdwa v29, v11 dst_sel:DWORD dst_unused:UNUSED_PAD src0_sel:WORD_1
	v_cvt_f32_f16_e32 v28, v11
	;; [unrolled: 2-line block ×4, first 2 shown]
.LBB969_5:
	s_or_b64 exec, exec, s[0:1]
	s_waitcnt vmcnt(2)
	v_mul_f32_e32 v10, v19, v19
	v_fmac_f32_e32 v10, v18, v18
	v_fmac_f32_e32 v10, v32, v32
	v_fmac_f32_e32 v10, v33, v33
	v_fmac_f32_e32 v10, v26, v26
	v_fmac_f32_e32 v10, v27, v27
	v_fmac_f32_e32 v10, v30, v30
	v_fmac_f32_e32 v10, v31, v31
	v_fmac_f32_e32 v10, v24, v24
	v_fmac_f32_e32 v10, v25, v25
	v_fmac_f32_e32 v10, v28, v28
	v_fmac_f32_e32 v10, v29, v29
	v_fmac_f32_e32 v10, v22, v22
	v_fmac_f32_e32 v10, v23, v23
	v_fmac_f32_e32 v10, v20, v20
	v_fmac_f32_e32 v10, v21, v21
	v_and_b32_e32 v12, 63, v0
	v_cmp_eq_u32_e64 s[0:1], 63, v12
	v_mov_b32_dpp v11, v10 quad_perm:[1,0,3,2] row_mask:0xf bank_mask:0xf
	v_add_f32_e32 v10, v10, v11
	s_nop 1
	v_mov_b32_dpp v11, v10 quad_perm:[2,3,0,1] row_mask:0xf bank_mask:0xf
	v_add_f32_e32 v10, v10, v11
	s_nop 1
	v_mov_b32_dpp v11, v10 row_half_mirror row_mask:0xf bank_mask:0xf
	v_add_f32_e32 v10, v10, v11
	s_nop 1
	v_mov_b32_dpp v11, v10 row_mirror row_mask:0xf bank_mask:0xf
	v_add_f32_e32 v10, v10, v11
	s_nop 1
	v_mov_b32_dpp v11, v10 row_bcast:15 row_mask:0xf bank_mask:0xf
	v_add_f32_e32 v10, v10, v11
	s_nop 1
	v_mov_b32_dpp v11, v10 row_bcast:31 row_mask:0xf bank_mask:0xf
	s_and_saveexec_b64 s[8:9], s[0:1]
	s_cbranch_execz .LBB969_7
; %bb.6:
	v_add_f32_e32 v10, v10, v11
	v_lshrrev_b32_e32 v11, 4, v0
	v_and_b32_e32 v11, 60, v11
	ds_write_b32 v11, v10 offset:32
.LBB969_7:
	s_or_b64 exec, exec, s[8:9]
	v_and_b32_e32 v10, 7, v0
	v_lshlrev_b32_e32 v34, 2, v10
	s_waitcnt lgkmcnt(0)
	s_barrier
	ds_read_b32 v10, v34 offset:32
	s_load_dwordx2 s[28:29], s[4:5], 0x18
	s_waitcnt lgkmcnt(0)
	v_mov_b32_dpp v11, v10 quad_perm:[1,0,3,2] row_mask:0xf bank_mask:0xf
	v_add_f32_e32 v10, v10, v11
	s_nop 1
	v_mov_b32_dpp v11, v10 quad_perm:[2,3,0,1] row_mask:0xf bank_mask:0xf
	v_add_f32_e32 v10, v10, v11
	s_nop 1
	v_mov_b32_dpp v11, v10 row_half_mirror row_mask:0xf bank_mask:0xf
	s_and_saveexec_b64 s[8:9], s[2:3]
	s_cbranch_execz .LBB969_9
; %bb.8:
	v_cvt_f32_u32_e32 v12, s7
	v_add_f32_e32 v10, v10, v11
	v_mov_b32_e32 v14, s17
	v_mov_b32_e32 v15, s16
	v_div_scale_f32 v11, s[24:25], v12, v12, v10
	v_rcp_f32_e32 v13, v11
	v_cndmask_b32_e32 v14, v14, v15, vcc
	s_mov_b32 s7, 0x800000
	v_fma_f32 v15, -v11, v13, 1.0
	v_fmac_f32_e32 v13, v15, v13
	v_div_scale_f32 v15, vcc, v10, v12, v10
	v_mul_f32_e32 v16, v15, v13
	v_fma_f32 v17, -v11, v16, v15
	v_fmac_f32_e32 v16, v17, v13
	v_fma_f32 v11, -v11, v16, v15
	v_div_fmas_f32 v11, v11, v13, v16
	v_div_fixup_f32 v10, v11, v12, v10
	v_add_f32_e32 v10, v14, v10
	v_mul_f32_e32 v11, 0x4b800000, v10
	v_cmp_gt_f32_e32 vcc, s7, v10
	v_cndmask_b32_e32 v10, v10, v11, vcc
	v_rsq_f32_e32 v10, v10
	v_mul_f32_e32 v11, 0x45800000, v10
	v_cndmask_b32_e32 v10, v10, v11, vcc
	v_mov_b32_e32 v11, v10
	;;#ASMSTART
	v_pk_mul_f32 v[12:13], v[18:19], v[10:11]
	;;#ASMEND
	s_waitcnt vmcnt(1)
	v_cvt_f32_f16_sdwa v19, v6 dst_sel:DWORD dst_unused:UNUSED_PAD src0_sel:WORD_1
	v_cvt_f32_f16_e32 v18, v6
	;;#ASMSTART
	v_pk_mul_f32 v[14:15], v[32:33], v[10:11]
	;;#ASMEND
	;;#ASMSTART
	v_pk_mul_f32 v[16:17], v[26:27], v[10:11]
	;;#ASMEND
	v_cvt_f32_f16_sdwa v27, v7 dst_sel:DWORD dst_unused:UNUSED_PAD src0_sel:WORD_1
	v_cvt_f32_f16_e32 v26, v7
	;;#ASMSTART
	v_pk_mul_f32 v[30:31], v[30:31], v[10:11]
	;;#ASMEND
	;;#ASMSTART
	v_pk_mul_f32 v[24:25], v[24:25], v[10:11]
	;;#ASMEND
	;; [unrolled: 3-line block ×5, first 2 shown]
	v_pk_add_f32 v[10:11], v[18:19], 1.0 op_sel_hi:[1,0]
	;;#ASMSTART
	v_pk_mul_f32 v[18:19], v[12:13], v[10:11]
	;;#ASMEND
	v_cvt_f32_f16_sdwa v13, v8 dst_sel:DWORD dst_unused:UNUSED_PAD src0_sel:WORD_1
	v_cvt_f32_f16_e32 v12, v8
	v_cvt_f32_f16_sdwa v21, v9 dst_sel:DWORD dst_unused:UNUSED_PAD src0_sel:WORD_1
	v_cvt_f32_f16_e32 v20, v9
	v_pk_add_f32 v[10:11], v[26:27], 1.0 op_sel_hi:[1,0]
	;;#ASMSTART
	v_pk_mul_f32 v[32:33], v[14:15], v[10:11]
	;;#ASMEND
	s_waitcnt vmcnt(0)
	v_cvt_f32_f16_sdwa v11, v2 dst_sel:DWORD dst_unused:UNUSED_PAD src0_sel:WORD_1
	v_cvt_f32_f16_e32 v10, v2
	v_pk_add_f32 v[8:9], v[12:13], 1.0 op_sel_hi:[1,0]
	;;#ASMSTART
	v_pk_mul_f32 v[26:27], v[16:17], v[8:9]
	;;#ASMEND
	v_pk_add_f32 v[8:9], v[20:21], 1.0 op_sel_hi:[1,0]
	v_cvt_f32_f16_sdwa v13, v3 dst_sel:DWORD dst_unused:UNUSED_PAD src0_sel:WORD_1
	v_cvt_f32_f16_e32 v12, v3
	;;#ASMSTART
	v_pk_mul_f32 v[30:31], v[30:31], v[8:9]
	;;#ASMEND
	v_cvt_f32_f16_sdwa v9, v4 dst_sel:DWORD dst_unused:UNUSED_PAD src0_sel:WORD_1
	v_cvt_f32_f16_e32 v8, v4
	v_pk_add_f32 v[2:3], v[10:11], 1.0 op_sel_hi:[1,0]
	v_cvt_f32_f16_sdwa v11, v5 dst_sel:DWORD dst_unused:UNUSED_PAD src0_sel:WORD_1
	v_cvt_f32_f16_e32 v10, v5
	;;#ASMSTART
	v_pk_mul_f32 v[24:25], v[24:25], v[2:3]
	;;#ASMEND
	v_pk_add_f32 v[2:3], v[12:13], 1.0 op_sel_hi:[1,0]
	;;#ASMSTART
	v_pk_mul_f32 v[28:29], v[28:29], v[2:3]
	;;#ASMEND
	v_pk_add_f32 v[2:3], v[8:9], 1.0 op_sel_hi:[1,0]
	;; [unrolled: 4-line block ×3, first 2 shown]
	;;#ASMSTART
	v_pk_mul_f32 v[20:21], v[6:7], v[2:3]
	;;#ASMEND
.LBB969_9:
	s_or_b64 exec, exec, s[8:9]
	s_load_dword s7, s[4:5], 0x80
	s_mov_b64 s[8:9], -1
	s_and_b64 vcc, exec, s[14:15]
	s_cbranch_vccnz .LBB969_13
; %bb.10:
	s_andn2_b64 vcc, exec, s[8:9]
	s_cbranch_vccz .LBB969_16
.LBB969_11:
	s_cmp_lt_i32 s20, 1
	s_cbranch_scc0 .LBB969_25
.LBB969_12:
	s_endpgm
.LBB969_13:
	s_and_saveexec_b64 s[14:15], s[2:3]
	s_cbranch_execz .LBB969_15
; %bb.14:
	s_waitcnt lgkmcnt(0)
	s_mul_hi_i32 s9, s7, s6
	s_mul_i32 s8, s7, s6
	s_waitcnt vmcnt(0)
	v_cvt_f16_f32_e32 v2, v18
	v_cvt_f16_f32_e32 v3, v32
	v_cvt_f16_f32_e32 v4, v26
	v_cvt_f16_f32_e32 v5, v30
	v_cvt_f16_f32_e32 v6, v31
	v_cvt_f16_f32_e32 v7, v27
	v_cvt_f16_f32_e32 v8, v33
	v_cvt_f16_f32_e32 v9, v19
	s_lshl_b64 s[8:9], s[8:9], 1
	s_add_u32 s8, s28, s8
	s_addc_u32 s9, s29, s9
	s_and_b32 s9, s9, 0xffff
	s_mov_b32 s11, 0x20000
	v_pack_b32_f16 v5, v5, v6
	v_pack_b32_f16 v4, v4, v7
	v_pack_b32_f16 v3, v3, v8
	v_pack_b32_f16 v2, v2, v9
	v_lshlrev_b32_e32 v6, 5, v0
	buffer_store_dwordx4 v[2:5], v6, s[8:11], 0 offen
	v_cvt_f16_f32_e32 v7, v21
	v_cvt_f16_f32_e32 v2, v24
	;; [unrolled: 1-line block ×8, first 2 shown]
	v_pack_b32_f16 v5, v5, v7
	v_pack_b32_f16 v4, v4, v8
	;; [unrolled: 1-line block ×4, first 2 shown]
	;;#ASMSTART
	s_nop 0
	;;#ASMEND
	buffer_store_dwordx4 v[2:5], v6, s[8:11], 16 offen
	;;#ASMSTART
	s_nop 0
	;;#ASMEND
.LBB969_15:
	s_or_b64 exec, exec, s[14:15]
	s_cbranch_execnz .LBB969_11
.LBB969_16:
	s_load_dwordx4 s[24:27], s[4:5], 0x70
	s_waitcnt vmcnt(0)
	v_mov_b32_e32 v2, 0
	s_and_saveexec_b64 s[14:15], s[2:3]
	s_cbranch_execz .LBB969_18
; %bb.17:
	s_load_dwordx2 s[8:9], s[4:5], 0x10
	s_waitcnt lgkmcnt(0)
	s_mul_hi_i32 s35, s27, s6
	s_mul_i32 s34, s27, s6
	v_cvt_f16_f32_e32 v2, v18
	v_cvt_f16_f32_e32 v3, v32
	;; [unrolled: 1-line block ×8, first 2 shown]
	s_lshl_b64 s[34:35], s[34:35], 1
	s_add_u32 s8, s8, s34
	s_addc_u32 s9, s9, s35
	s_mov_b32 s11, 0x20000
	s_and_b32 s9, s9, 0xffff
	v_pack_b32_f16 v5, v5, v6
	v_pack_b32_f16 v4, v4, v7
	;; [unrolled: 1-line block ×4, first 2 shown]
	v_lshlrev_b32_e32 v6, 5, v0
	buffer_store_dwordx4 v[2:5], v6, s[8:11], 0 offen
	v_cvt_f16_f32_e32 v7, v21
	v_cvt_f16_f32_e32 v2, v24
	;; [unrolled: 1-line block ×8, first 2 shown]
	v_pack_b32_f16 v5, v5, v7
	v_pack_b32_f16 v4, v4, v8
	;; [unrolled: 1-line block ×4, first 2 shown]
	;;#ASMSTART
	s_nop 0
	;;#ASMEND
	buffer_store_dwordx4 v[2:5], v6, s[8:11], 16 offen
	;;#ASMSTART
	s_nop 0
	;;#ASMEND
	s_nop 0
	v_mov_b32_e32 v2, 0x2edbe6ff
.LBB969_18:
	s_or_b64 exec, exec, s[14:15]
	s_and_saveexec_b64 s[8:9], s[2:3]
	s_cbranch_execz .LBB969_20
; %bb.19:
	v_and_b32_e32 v3, 0x7fffffff, v18
	v_and_b32_e32 v4, 0x7fffffff, v19
	;;#ASMSTART
	v_max3_f32 v2, v2, v3, v4

	;;#ASMEND
	v_and_b32_e32 v3, 0x7fffffff, v32
	v_and_b32_e32 v4, 0x7fffffff, v33
	;;#ASMSTART
	v_max3_f32 v2, v2, v3, v4

	;;#ASMEND
	;; [unrolled: 6-line block ×8, first 2 shown]
.LBB969_20:
	s_or_b64 exec, exec, s[8:9]
	;;#ASMSTART
	v_max_f32 v3, v2, v2 quad_perm:[1,0,3,2] row_mask:0xf bank_mask:0xf bound_ctrl:1
	;;#ASMEND
	;;#ASMSTART
	v_max_f32 v2, v3, v3 quad_perm:[2,3,0,1] row_mask:0xf bank_mask:0xf bound_ctrl:1
	;;#ASMEND
	v_and_b32_e32 v3, 3, v0
	v_cmp_eq_u32_e32 vcc, 0, v3
	v_cmp_gt_i32_e64 s[8:9], s19, v1
	v_mul_f32_e32 v2, 0x3b124925, v2
	s_and_b64 s[10:11], vcc, s[8:9]
	s_and_saveexec_b64 s[8:9], s[10:11]
	s_cbranch_execz .LBB969_22
; %bb.21:
	s_load_dwordx2 s[10:11], s[4:5], 0x8
	s_waitcnt lgkmcnt(0)
	s_mul_hi_i32 s15, s25, s6
	s_mul_i32 s14, s25, s6
	v_lshrrev_b32_e32 v3, 2, v0
	s_lshl_b64 s[14:15], s[14:15], 2
	v_mad_i64_i32 v[4:5], s[26:27], s26, v3, 0
	s_add_u32 s10, s10, s14
	s_addc_u32 s11, s11, s15
	v_lshlrev_b64 v[4:5], 2, v[4:5]
	v_mov_b32_e32 v3, s11
	v_add_co_u32_e32 v4, vcc, s10, v4
	v_addc_co_u32_e32 v5, vcc, v3, v5, vcc
	global_store_dword v[4:5], v2, off
.LBB969_22:
	s_or_b64 exec, exec, s[8:9]
	;;#ASMSTART
	v_rcp_f32 v2, v2
	;;#ASMEND
	s_and_saveexec_b64 s[14:15], s[2:3]
	s_cbranch_execz .LBB969_24
; %bb.23:
	s_load_dwordx2 s[2:3], s[4:5], 0x0
	s_waitcnt lgkmcnt(0)
	s_mul_i32 s8, s24, s6
	s_mul_hi_i32 s9, s24, s6
	v_mov_b32_e32 v3, v2
	;;#ASMSTART
	v_pk_mul_f32 v[4:5], v[18:19], v[2:3]
	;;#ASMEND
	s_add_u32 s8, s2, s8
	s_addc_u32 s2, s3, s9
	s_add_i32 s3, s19, 3
	s_ashr_i32 s10, s3, 31
	v_mov_b32_e32 v10, 0xc3e00000
	v_mov_b32_e32 v11, 0x43e00000
	;;#ASMSTART
	v_med3_f32 v4, v4, v10, v11
v_med3_f32 v5, v5, v10, v11
v_cvt_pk_fp8_f32 v6, v4, v5
	;;#ASMEND
	s_and_b32 s9, s2, 0xffff
	s_lshr_b32 s2, s10, 30
	;;#ASMSTART
	v_pk_mul_f32 v[4:5], v[32:33], v[2:3]
	;;#ASMEND
	s_add_i32 s3, s3, s2
	;;#ASMSTART
	v_med3_f32 v4, v4, v10, v11
v_med3_f32 v5, v5, v10, v11
v_cvt_pk_fp8_f32 v7, v4, v5
	;;#ASMEND
	s_mov_b32 s2, 0x5040100
	v_perm_b32 v4, v7, v6, s2
	s_mov_b32 s2, 0x1060504
	v_perm_b32 v4, v4, v7, s2
	;;#ASMSTART
	v_pk_mul_f32 v[6:7], v[26:27], v[2:3]
	;;#ASMEND
	v_mov_b32_e32 v5, v7
	;;#ASMSTART
	v_med3_f32 v6, v6, v10, v11
v_med3_f32 v5, v5, v10, v11
v_cvt_pk_fp8_f32 v8, v6, v5
	;;#ASMEND
	;;#ASMSTART
	v_pk_mul_f32 v[6:7], v[30:31], v[2:3]
	;;#ASMEND
	v_mov_b32_e32 v5, v7
	;;#ASMSTART
	v_med3_f32 v6, v6, v10, v11
v_med3_f32 v5, v5, v10, v11
v_cvt_pk_fp8_f32 v7, v6, v5
	;;#ASMEND
	s_mov_b32 s2, 0x1000504
	v_perm_b32 v5, v8, v7, s2
	;;#ASMSTART
	v_pk_mul_f32 v[6:7], v[24:25], v[2:3]
	;;#ASMEND
	;;#ASMSTART
	v_med3_f32 v6, v6, v10, v11
v_med3_f32 v7, v7, v10, v11
v_cvt_pk_fp8_f32 v8, v6, v7
	;;#ASMEND
	;;#ASMSTART
	v_pk_mul_f32 v[6:7], v[28:29], v[2:3]
	;;#ASMEND
	;;#ASMSTART
	v_med3_f32 v6, v6, v10, v11
v_med3_f32 v7, v7, v10, v11
v_cvt_pk_fp8_f32 v9, v6, v7
	;;#ASMEND
	v_perm_b32 v6, v8, v9, s2
	;;#ASMSTART
	v_pk_mul_f32 v[8:9], v[22:23], v[2:3]
	;;#ASMEND
	v_mov_b32_e32 v7, v9
	;;#ASMSTART
	v_med3_f32 v8, v8, v10, v11
v_med3_f32 v7, v7, v10, v11
v_cvt_pk_fp8_f32 v9, v8, v7
	;;#ASMEND
	;;#ASMSTART
	v_pk_mul_f32 v[2:3], v[20:21], v[2:3]
	;;#ASMEND
	;;#ASMSTART
	v_med3_f32 v2, v2, v10, v11
v_med3_f32 v3, v3, v10, v11
v_cvt_pk_fp8_f32 v7, v2, v3
	;;#ASMEND
	s_and_b32 s10, s3, -4
	s_mov_b32 s11, 0x20000
	v_perm_b32 v7, v9, v7, s2
	buffer_store_dwordx4 v[4:7], v1, s[8:11], 0 offen
	;;#ASMSTART
	s_nop 0
	;;#ASMEND
.LBB969_24:
	s_or_b64 exec, exec, s[14:15]
	s_cmp_lt_i32 s20, 1
	s_cbranch_scc1 .LBB969_12
.LBB969_25:
	s_load_dword s2, s[4:5], 0x94
	s_waitcnt lgkmcnt(0)
	s_cmp_lg_u32 s2, 1
	s_cbranch_scc1 .LBB969_12
; %bb.26:
	s_lshl_b32 s2, s20, 1
	s_add_i32 s2, s2, 2
	v_cmp_gt_u32_e32 vcc, s20, v1
	s_and_b32 s14, s2, -4
	v_mov_b32_e32 v18, 0
	v_lshlrev_b32_e32 v1, 5, v0
	v_mov_b32_e32 v14, 0
	v_mov_b32_e32 v15, 0
	;; [unrolled: 1-line block ×8, first 2 shown]
	s_waitcnt vmcnt(1)
	v_mov_b32_e32 v6, 0
	v_mov_b32_e32 v7, 0
	;; [unrolled: 1-line block ×4, first 2 shown]
	s_waitcnt vmcnt(0)
	v_mov_b32_e32 v2, 0
	v_mov_b32_e32 v3, 0
	;; [unrolled: 1-line block ×4, first 2 shown]
	s_barrier
	s_and_saveexec_b64 s[2:3], vcc
	s_cbranch_execz .LBB969_28
; %bb.27:
	s_mul_hi_i32 s5, s22, s6
	s_mul_i32 s4, s22, s6
	s_and_b32 s13, s13, 0xffff
	s_lshl_b64 s[4:5], s[4:5], 1
	s_add_u32 s8, s30, s4
	s_mov_b32 s15, 0x20000
	s_addc_u32 s4, s31, s5
	s_and_b32 s9, s4, 0xffff
	s_mov_b32 s10, s14
	s_mov_b32 s11, s15
	buffer_load_dwordx4 v[14:17], v1, s[8:11], 0 offen
	buffer_load_dwordx4 v[10:13], v1, s[8:11], 16 offen
	;; [unrolled: 1-line block ×4, first 2 shown]
.LBB969_28:
	s_or_b64 exec, exec, s[2:3]
	v_mov_b32_e32 v19, 0
	v_mov_b32_e32 v32, 0
	;; [unrolled: 1-line block ×15, first 2 shown]
	s_and_saveexec_b64 s[2:3], vcc
	s_cbranch_execz .LBB969_30
; %bb.29:
	s_waitcnt vmcnt(3)
	v_cvt_f32_f16_sdwa v19, v14 dst_sel:DWORD dst_unused:UNUSED_PAD src0_sel:WORD_1
	v_cvt_f32_f16_e32 v18, v14
	v_cvt_f32_f16_sdwa v33, v15 dst_sel:DWORD dst_unused:UNUSED_PAD src0_sel:WORD_1
	v_cvt_f32_f16_e32 v32, v15
	;; [unrolled: 2-line block ×4, first 2 shown]
	s_waitcnt vmcnt(2)
	v_cvt_f32_f16_sdwa v27, v10 dst_sel:DWORD dst_unused:UNUSED_PAD src0_sel:WORD_1
	v_cvt_f32_f16_e32 v26, v10
	v_cvt_f32_f16_sdwa v25, v11 dst_sel:DWORD dst_unused:UNUSED_PAD src0_sel:WORD_1
	v_cvt_f32_f16_e32 v24, v11
	;; [unrolled: 2-line block ×4, first 2 shown]
.LBB969_30:
	s_or_b64 exec, exec, s[2:3]
	s_waitcnt vmcnt(2)
	v_mul_f32_e32 v10, v19, v19
	v_fmac_f32_e32 v10, v18, v18
	v_fmac_f32_e32 v10, v32, v32
	;; [unrolled: 1-line block ×15, first 2 shown]
	s_nop 1
	v_mov_b32_dpp v11, v10 quad_perm:[1,0,3,2] row_mask:0xf bank_mask:0xf
	v_add_f32_e32 v10, v10, v11
	s_nop 1
	v_mov_b32_dpp v11, v10 quad_perm:[2,3,0,1] row_mask:0xf bank_mask:0xf
	v_add_f32_e32 v10, v10, v11
	s_nop 1
	v_mov_b32_dpp v11, v10 row_half_mirror row_mask:0xf bank_mask:0xf
	v_add_f32_e32 v10, v10, v11
	s_nop 1
	v_mov_b32_dpp v11, v10 row_mirror row_mask:0xf bank_mask:0xf
	v_add_f32_e32 v10, v10, v11
	s_nop 1
	v_mov_b32_dpp v11, v10 row_bcast:15 row_mask:0xf bank_mask:0xf
	v_add_f32_e32 v10, v10, v11
	s_nop 1
	v_mov_b32_dpp v11, v10 row_bcast:31 row_mask:0xf bank_mask:0xf
	s_and_saveexec_b64 s[2:3], s[0:1]
	s_cbranch_execz .LBB969_32
; %bb.31:
	v_lshrrev_b32_e32 v0, 4, v0
	v_add_f32_e32 v10, v10, v11
	v_and_b32_e32 v0, 60, v0
	ds_write_b32 v0, v10
.LBB969_32:
	s_or_b64 exec, exec, s[2:3]
	s_waitcnt lgkmcnt(0)
	s_barrier
	ds_read_b32 v0, v34
	s_waitcnt lgkmcnt(0)
	s_nop 0
	v_mov_b32_dpp v10, v0 quad_perm:[1,0,3,2] row_mask:0xf bank_mask:0xf
	v_add_f32_e32 v0, v0, v10
	s_nop 1
	v_mov_b32_dpp v10, v0 quad_perm:[2,3,0,1] row_mask:0xf bank_mask:0xf
	v_add_f32_e32 v0, v0, v10
	s_nop 1
	v_mov_b32_dpp v10, v0 row_half_mirror row_mask:0xf bank_mask:0xf
	s_and_saveexec_b64 s[0:1], vcc
	s_cbranch_execz .LBB969_12
; %bb.33:
	v_cvt_f32_u32_e32 v11, s20
	v_add_f32_e32 v0, v0, v10
	s_mov_b32 s15, 0x20000
	v_div_scale_f32 v10, s[0:1], v11, v11, v0
	v_rcp_f32_e32 v12, v10
	v_div_scale_f32 v13, vcc, v0, v11, v0
	s_mov_b32 s0, 0x800000
	v_fma_f32 v14, -v10, v12, 1.0
	v_fmac_f32_e32 v12, v14, v12
	v_mul_f32_e32 v14, v13, v12
	v_fma_f32 v15, -v10, v14, v13
	v_fmac_f32_e32 v14, v15, v12
	v_fma_f32 v10, -v10, v14, v13
	v_div_fmas_f32 v10, v10, v12, v14
	v_div_fixup_f32 v0, v10, v11, v0
	v_add_f32_e32 v0, s17, v0
	v_mul_f32_e32 v10, 0x4b800000, v0
	v_cmp_gt_f32_e32 vcc, s0, v0
	v_cndmask_b32_e32 v0, v0, v10, vcc
	v_rsq_f32_e32 v0, v0
	s_mul_hi_i32 s1, s7, s6
	s_mul_i32 s0, s7, s6
	s_lshl_b64 s[0:1], s[0:1], 1
	v_mul_f32_e32 v10, 0x45800000, v0
	v_cndmask_b32_e32 v10, v0, v10, vcc
	v_mov_b32_e32 v11, v10
	;;#ASMSTART
	v_pk_mul_f32 v[12:13], v[18:19], v[10:11]
	;;#ASMEND
	;;#ASMSTART
	v_pk_mul_f32 v[14:15], v[32:33], v[10:11]
	;;#ASMEND
	;; [unrolled: 3-line block ×4, first 2 shown]
	s_waitcnt vmcnt(1)
	v_cvt_f32_f16_sdwa v29, v6 dst_sel:DWORD dst_unused:UNUSED_PAD src0_sel:WORD_1
	v_cvt_f32_f16_e32 v28, v6
	v_cvt_f32_f16_sdwa v31, v7 dst_sel:DWORD dst_unused:UNUSED_PAD src0_sel:WORD_1
	v_cvt_f32_f16_e32 v30, v7
	;;#ASMSTART
	v_pk_mul_f32 v[26:27], v[26:27], v[10:11]
	;;#ASMEND
	;;#ASMSTART
	v_pk_mul_f32 v[24:25], v[24:25], v[10:11]
	;;#ASMEND
	;; [unrolled: 3-line block ×4, first 2 shown]
	v_cvt_f32_f16_sdwa v21, v8 dst_sel:DWORD dst_unused:UNUSED_PAD src0_sel:WORD_1
	v_cvt_f32_f16_e32 v20, v8
	v_pk_add_f32 v[10:11], v[28:29], 1.0 op_sel_hi:[1,0]
	;;#ASMSTART
	v_pk_mul_f32 v[10:11], v[12:13], v[10:11]
	;;#ASMEND
	v_pk_add_f32 v[12:13], v[30:31], 1.0 op_sel_hi:[1,0]
	v_cvt_f32_f16_sdwa v29, v9 dst_sel:DWORD dst_unused:UNUSED_PAD src0_sel:WORD_1
	v_cvt_f32_f16_e32 v28, v9
	;;#ASMSTART
	v_pk_mul_f32 v[8:9], v[14:15], v[12:13]
	;;#ASMEND
	v_pk_add_f32 v[12:13], v[20:21], 1.0 op_sel_hi:[1,0]
	;;#ASMSTART
	v_pk_mul_f32 v[12:13], v[16:17], v[12:13]
	;;#ASMEND
	s_waitcnt vmcnt(0)
	v_cvt_f32_f16_sdwa v17, v2 dst_sel:DWORD dst_unused:UNUSED_PAD src0_sel:WORD_1
	v_cvt_f32_f16_e32 v16, v2
	v_cvt_f32_f16_sdwa v21, v3 dst_sel:DWORD dst_unused:UNUSED_PAD src0_sel:WORD_1
	v_cvt_f32_f16_e32 v20, v3
	v_pk_add_f32 v[14:15], v[28:29], 1.0 op_sel_hi:[1,0]
	;;#ASMSTART
	v_pk_mul_f32 v[2:3], v[18:19], v[14:15]
	;;#ASMEND
	v_cvt_f32_f16_sdwa v19, v4 dst_sel:DWORD dst_unused:UNUSED_PAD src0_sel:WORD_1
	v_cvt_f32_f16_e32 v18, v4
	v_pk_add_f32 v[14:15], v[16:17], 1.0 op_sel_hi:[1,0]
	v_pk_add_f32 v[16:17], v[20:21], 1.0 op_sel_hi:[1,0]
	v_cvt_f32_f16_sdwa v21, v5 dst_sel:DWORD dst_unused:UNUSED_PAD src0_sel:WORD_1
	v_cvt_f32_f16_e32 v20, v5
	v_pk_add_f32 v[4:5], v[18:19], 1.0 op_sel_hi:[1,0]
	;;#ASMSTART
	v_pk_mul_f32 v[14:15], v[26:27], v[14:15]
	;;#ASMEND
	;;#ASMSTART
	v_pk_mul_f32 v[16:17], v[24:25], v[16:17]
	;;#ASMEND
	;; [unrolled: 3-line block ×3, first 2 shown]
	v_pk_add_f32 v[4:5], v[20:21], 1.0 op_sel_hi:[1,0]
	;;#ASMSTART
	v_pk_mul_f32 v[6:7], v[6:7], v[4:5]
	;;#ASMEND
	v_cvt_f16_f32_e32 v0, v10
	v_cvt_f16_f32_e32 v4, v11
	;; [unrolled: 1-line block ×8, first 2 shown]
	s_add_u32 s12, s28, s0
	s_addc_u32 s0, s29, s1
	s_and_b32 s13, s0, 0xffff
	v_pack_b32_f16 v2, v0, v4
	v_pack_b32_f16 v3, v5, v8
	;; [unrolled: 1-line block ×4, first 2 shown]
	buffer_store_dwordx4 v[2:5], v1, s[12:15], 0 offen
	v_cvt_f16_f32_e32 v0, v14
	v_cvt_f16_f32_e32 v2, v15
	;; [unrolled: 1-line block ×8, first 2 shown]
	v_pack_b32_f16 v2, v0, v2
	v_pack_b32_f16 v3, v3, v4
	;; [unrolled: 1-line block ×4, first 2 shown]
	;;#ASMSTART
	s_nop 0
	;;#ASMEND
	buffer_store_dwordx4 v[2:5], v1, s[12:15], 16 offen
	;;#ASMSTART
	s_nop 0
	;;#ASMEND
	s_endpgm
	.section	.rodata,"a",@progbits
	.p2align	6, 0x0
	.amdhsa_kernel _ZN5aiter35fused_qk_rmsnorm_group_quant_kernelIDF16_DB8_Li512ELi16ELi4ELb0ELb1ELb1ELb0ELb0ELb0EEEvPT0_PvPT_S6_S6_PKS5_S8_S8_S8_S8_ffiiiiiiiiiiiii
		.amdhsa_group_segment_fixed_size 64
		.amdhsa_private_segment_fixed_size 0
		.amdhsa_kernarg_size 400
		.amdhsa_user_sgpr_count 6
		.amdhsa_user_sgpr_private_segment_buffer 1
		.amdhsa_user_sgpr_dispatch_ptr 0
		.amdhsa_user_sgpr_queue_ptr 0
		.amdhsa_user_sgpr_kernarg_segment_ptr 1
		.amdhsa_user_sgpr_dispatch_id 0
		.amdhsa_user_sgpr_flat_scratch_init 0
		.amdhsa_user_sgpr_kernarg_preload_length 0
		.amdhsa_user_sgpr_kernarg_preload_offset 0
		.amdhsa_user_sgpr_private_segment_size 0
		.amdhsa_uses_dynamic_stack 0
		.amdhsa_system_sgpr_private_segment_wavefront_offset 0
		.amdhsa_system_sgpr_workgroup_id_x 1
		.amdhsa_system_sgpr_workgroup_id_y 1
		.amdhsa_system_sgpr_workgroup_id_z 0
		.amdhsa_system_sgpr_workgroup_info 0
		.amdhsa_system_vgpr_workitem_id 0
		.amdhsa_next_free_vgpr 35
		.amdhsa_next_free_sgpr 36
		.amdhsa_accum_offset 36
		.amdhsa_reserve_vcc 1
		.amdhsa_reserve_flat_scratch 0
		.amdhsa_float_round_mode_32 0
		.amdhsa_float_round_mode_16_64 0
		.amdhsa_float_denorm_mode_32 3
		.amdhsa_float_denorm_mode_16_64 3
		.amdhsa_dx10_clamp 1
		.amdhsa_ieee_mode 1
		.amdhsa_fp16_overflow 0
		.amdhsa_tg_split 0
		.amdhsa_exception_fp_ieee_invalid_op 0
		.amdhsa_exception_fp_denorm_src 0
		.amdhsa_exception_fp_ieee_div_zero 0
		.amdhsa_exception_fp_ieee_overflow 0
		.amdhsa_exception_fp_ieee_underflow 0
		.amdhsa_exception_fp_ieee_inexact 0
		.amdhsa_exception_int_div_zero 0
	.end_amdhsa_kernel
	.section	.text._ZN5aiter35fused_qk_rmsnorm_group_quant_kernelIDF16_DB8_Li512ELi16ELi4ELb0ELb1ELb1ELb0ELb0ELb0EEEvPT0_PvPT_S6_S6_PKS5_S8_S8_S8_S8_ffiiiiiiiiiiiii,"axG",@progbits,_ZN5aiter35fused_qk_rmsnorm_group_quant_kernelIDF16_DB8_Li512ELi16ELi4ELb0ELb1ELb1ELb0ELb0ELb0EEEvPT0_PvPT_S6_S6_PKS5_S8_S8_S8_S8_ffiiiiiiiiiiiii,comdat
.Lfunc_end969:
	.size	_ZN5aiter35fused_qk_rmsnorm_group_quant_kernelIDF16_DB8_Li512ELi16ELi4ELb0ELb1ELb1ELb0ELb0ELb0EEEvPT0_PvPT_S6_S6_PKS5_S8_S8_S8_S8_ffiiiiiiiiiiiii, .Lfunc_end969-_ZN5aiter35fused_qk_rmsnorm_group_quant_kernelIDF16_DB8_Li512ELi16ELi4ELb0ELb1ELb1ELb0ELb0ELb0EEEvPT0_PvPT_S6_S6_PKS5_S8_S8_S8_S8_ffiiiiiiiiiiiii
                                        ; -- End function
	.section	.AMDGPU.csdata,"",@progbits
; Kernel info:
; codeLenInByte = 3808
; NumSgprs: 40
; NumVgprs: 35
; NumAgprs: 0
; TotalNumVgprs: 35
; ScratchSize: 0
; MemoryBound: 0
; FloatMode: 240
; IeeeMode: 1
; LDSByteSize: 64 bytes/workgroup (compile time only)
; SGPRBlocks: 4
; VGPRBlocks: 4
; NumSGPRsForWavesPerEU: 40
; NumVGPRsForWavesPerEU: 35
; AccumOffset: 36
; Occupancy: 8
; WaveLimiterHint : 0
; COMPUTE_PGM_RSRC2:SCRATCH_EN: 0
; COMPUTE_PGM_RSRC2:USER_SGPR: 6
; COMPUTE_PGM_RSRC2:TRAP_HANDLER: 0
; COMPUTE_PGM_RSRC2:TGID_X_EN: 1
; COMPUTE_PGM_RSRC2:TGID_Y_EN: 1
; COMPUTE_PGM_RSRC2:TGID_Z_EN: 0
; COMPUTE_PGM_RSRC2:TIDIG_COMP_CNT: 0
; COMPUTE_PGM_RSRC3_GFX90A:ACCUM_OFFSET: 8
; COMPUTE_PGM_RSRC3_GFX90A:TG_SPLIT: 0
	.section	.text._ZN5aiter35fused_qk_rmsnorm_group_quant_kernelItDB8_Li512ELi16ELi4ELb0ELb1ELb1ELb0ELb0ELb0EEEvPT0_PvPT_S6_S6_PKS5_S8_S8_S8_S8_ffiiiiiiiiiiiii,"axG",@progbits,_ZN5aiter35fused_qk_rmsnorm_group_quant_kernelItDB8_Li512ELi16ELi4ELb0ELb1ELb1ELb0ELb0ELb0EEEvPT0_PvPT_S6_S6_PKS5_S8_S8_S8_S8_ffiiiiiiiiiiiii,comdat
	.protected	_ZN5aiter35fused_qk_rmsnorm_group_quant_kernelItDB8_Li512ELi16ELi4ELb0ELb1ELb1ELb0ELb0ELb0EEEvPT0_PvPT_S6_S6_PKS5_S8_S8_S8_S8_ffiiiiiiiiiiiii ; -- Begin function _ZN5aiter35fused_qk_rmsnorm_group_quant_kernelItDB8_Li512ELi16ELi4ELb0ELb1ELb1ELb0ELb0ELb0EEEvPT0_PvPT_S6_S6_PKS5_S8_S8_S8_S8_ffiiiiiiiiiiiii
	.globl	_ZN5aiter35fused_qk_rmsnorm_group_quant_kernelItDB8_Li512ELi16ELi4ELb0ELb1ELb1ELb0ELb0ELb0EEEvPT0_PvPT_S6_S6_PKS5_S8_S8_S8_S8_ffiiiiiiiiiiiii
	.p2align	8
	.type	_ZN5aiter35fused_qk_rmsnorm_group_quant_kernelItDB8_Li512ELi16ELi4ELb0ELb1ELb1ELb0ELb0ELb0EEEvPT0_PvPT_S6_S6_PKS5_S8_S8_S8_S8_ffiiiiiiiiiiiii,@function
_ZN5aiter35fused_qk_rmsnorm_group_quant_kernelItDB8_Li512ELi16ELi4ELb0ELb1ELb1ELb0ELb0ELb0EEEvPT0_PvPT_S6_S6_PKS5_S8_S8_S8_S8_ffiiiiiiiiiiiii: ; @_ZN5aiter35fused_qk_rmsnorm_group_quant_kernelItDB8_Li512ELi16ELi4ELb0ELb1ELb1ELb0ELb0ELb0EEEvPT0_PvPT_S6_S6_PKS5_S8_S8_S8_S8_ffiiiiiiiiiiiii
; %bb.0:
	s_load_dwordx4 s[16:19], s[4:5], 0x50
	s_waitcnt lgkmcnt(0)
	s_cmp_ge_i32 s6, s18
	s_cbranch_scc1 .LBB970_12
; %bb.1:
	s_load_dwordx2 s[12:13], s[4:5], 0x48
	s_load_dwordx2 s[30:31], s[4:5], 0x30
	s_load_dwordx4 s[20:23], s[4:5], 0x60
	s_cmp_lg_u32 s7, 0
	s_cselect_b64 s[14:15], -1, 0
	s_cmp_eq_u32 s7, 0
	s_cselect_b64 vcc, -1, 0
	s_and_b64 s[0:1], vcc, exec
	s_waitcnt lgkmcnt(0)
	s_cselect_b32 s7, s19, s20
	s_add_i32 s0, s7, 1
	s_lshr_b32 s1, s0, 31
	s_add_i32 s0, s0, s1
	s_lshl_b32 s0, s0, 1
	v_lshlrev_b32_e32 v1, 4, v0
	s_and_b32 s10, s0, -4
	v_cmp_gt_i32_e64 s[2:3], s7, v1
	v_mov_b32_e32 v18, 0
	v_mov_b32_e32 v6, 0
	;; [unrolled: 1-line block ×17, first 2 shown]
	s_and_saveexec_b64 s[0:1], s[2:3]
	s_cbranch_execz .LBB970_3
; %bb.2:
	s_load_dwordx2 s[8:9], s[4:5], 0x28
	s_load_dwordx2 s[26:27], s[4:5], 0x40
	s_and_b64 s[24:25], vcc, exec
	s_cselect_b32 s11, s21, s22
	v_lshlrev_b32_e32 v19, 5, v0
	s_waitcnt lgkmcnt(0)
	s_cselect_b32 s18, s9, s31
	s_cselect_b32 s21, s8, s30
	s_mul_hi_i32 s9, s11, s6
	s_mul_i32 s8, s11, s6
	s_lshl_b64 s[8:9], s[8:9], 1
	s_add_u32 s24, s21, s8
	s_addc_u32 s18, s18, s9
	s_and_b64 s[8:9], vcc, exec
	s_mov_b32 s11, 0x20000
	s_cselect_b32 s8, s26, s12
	s_cselect_b32 s9, s27, s13
	s_and_b32 s25, s18, 0xffff
	s_mov_b32 s26, s10
	s_mov_b32 s27, s11
	s_and_b32 s9, s9, 0xffff
	buffer_load_dwordx4 v[14:17], v19, s[24:27], 0 offen
	buffer_load_dwordx4 v[10:13], v19, s[24:27], 16 offen
	;; [unrolled: 1-line block ×4, first 2 shown]
.LBB970_3:
	s_or_b64 exec, exec, s[0:1]
	v_mov_b32_e32 v19, 0
	v_mov_b32_e32 v32, 0
	;; [unrolled: 1-line block ×15, first 2 shown]
	s_and_saveexec_b64 s[0:1], s[2:3]
	s_cbranch_execz .LBB970_5
; %bb.4:
	s_waitcnt vmcnt(3)
	v_cvt_f32_u32_sdwa v18, v14 dst_sel:DWORD dst_unused:UNUSED_PAD src0_sel:WORD_0
	v_cvt_f32_u32_sdwa v19, v14 dst_sel:DWORD dst_unused:UNUSED_PAD src0_sel:WORD_1
	v_cvt_f32_u32_sdwa v32, v15 dst_sel:DWORD dst_unused:UNUSED_PAD src0_sel:WORD_0
	v_cvt_f32_u32_sdwa v33, v15 dst_sel:DWORD dst_unused:UNUSED_PAD src0_sel:WORD_1
	;; [unrolled: 2-line block ×4, first 2 shown]
	s_waitcnt vmcnt(2)
	v_cvt_f32_u32_sdwa v24, v10 dst_sel:DWORD dst_unused:UNUSED_PAD src0_sel:WORD_0
	v_cvt_f32_u32_sdwa v25, v10 dst_sel:DWORD dst_unused:UNUSED_PAD src0_sel:WORD_1
	v_cvt_f32_u32_sdwa v28, v11 dst_sel:DWORD dst_unused:UNUSED_PAD src0_sel:WORD_0
	v_cvt_f32_u32_sdwa v29, v11 dst_sel:DWORD dst_unused:UNUSED_PAD src0_sel:WORD_1
	;; [unrolled: 2-line block ×4, first 2 shown]
.LBB970_5:
	s_or_b64 exec, exec, s[0:1]
	s_waitcnt vmcnt(2)
	v_mul_f32_e32 v10, v19, v19
	v_fmac_f32_e32 v10, v18, v18
	v_fmac_f32_e32 v10, v32, v32
	;; [unrolled: 1-line block ×15, first 2 shown]
	v_and_b32_e32 v12, 63, v0
	v_cmp_eq_u32_e64 s[0:1], 63, v12
	v_mov_b32_dpp v11, v10 quad_perm:[1,0,3,2] row_mask:0xf bank_mask:0xf
	v_add_f32_e32 v10, v10, v11
	s_nop 1
	v_mov_b32_dpp v11, v10 quad_perm:[2,3,0,1] row_mask:0xf bank_mask:0xf
	v_add_f32_e32 v10, v10, v11
	s_nop 1
	v_mov_b32_dpp v11, v10 row_half_mirror row_mask:0xf bank_mask:0xf
	v_add_f32_e32 v10, v10, v11
	s_nop 1
	v_mov_b32_dpp v11, v10 row_mirror row_mask:0xf bank_mask:0xf
	v_add_f32_e32 v10, v10, v11
	s_nop 1
	v_mov_b32_dpp v11, v10 row_bcast:15 row_mask:0xf bank_mask:0xf
	v_add_f32_e32 v10, v10, v11
	s_nop 1
	v_mov_b32_dpp v11, v10 row_bcast:31 row_mask:0xf bank_mask:0xf
	s_and_saveexec_b64 s[8:9], s[0:1]
	s_cbranch_execz .LBB970_7
; %bb.6:
	v_add_f32_e32 v10, v10, v11
	v_lshrrev_b32_e32 v11, 4, v0
	v_and_b32_e32 v11, 60, v11
	ds_write_b32 v11, v10 offset:32
.LBB970_7:
	s_or_b64 exec, exec, s[8:9]
	v_and_b32_e32 v10, 7, v0
	v_lshlrev_b32_e32 v34, 2, v10
	s_waitcnt lgkmcnt(0)
	s_barrier
	ds_read_b32 v10, v34 offset:32
	s_load_dwordx2 s[28:29], s[4:5], 0x18
	s_waitcnt lgkmcnt(0)
	v_mov_b32_dpp v11, v10 quad_perm:[1,0,3,2] row_mask:0xf bank_mask:0xf
	v_add_f32_e32 v10, v10, v11
	s_nop 1
	v_mov_b32_dpp v11, v10 quad_perm:[2,3,0,1] row_mask:0xf bank_mask:0xf
	v_add_f32_e32 v10, v10, v11
	s_nop 1
	v_mov_b32_dpp v11, v10 row_half_mirror row_mask:0xf bank_mask:0xf
	s_and_saveexec_b64 s[8:9], s[2:3]
	s_cbranch_execz .LBB970_9
; %bb.8:
	v_cvt_f32_u32_e32 v12, s7
	v_add_f32_e32 v10, v10, v11
	v_mov_b32_e32 v14, s17
	v_mov_b32_e32 v15, s16
	v_div_scale_f32 v11, s[24:25], v12, v12, v10
	v_rcp_f32_e32 v13, v11
	v_cndmask_b32_e32 v14, v14, v15, vcc
	s_mov_b32 s7, 0x800000
	v_fma_f32 v15, -v11, v13, 1.0
	v_fmac_f32_e32 v13, v15, v13
	v_div_scale_f32 v15, vcc, v10, v12, v10
	v_mul_f32_e32 v16, v15, v13
	v_fma_f32 v17, -v11, v16, v15
	v_fmac_f32_e32 v16, v17, v13
	v_fma_f32 v11, -v11, v16, v15
	v_div_fmas_f32 v11, v11, v13, v16
	v_div_fixup_f32 v10, v11, v12, v10
	v_add_f32_e32 v10, v14, v10
	v_mul_f32_e32 v11, 0x4b800000, v10
	v_cmp_gt_f32_e32 vcc, s7, v10
	v_cndmask_b32_e32 v10, v10, v11, vcc
	v_rsq_f32_e32 v10, v10
	v_mul_f32_e32 v11, 0x45800000, v10
	v_cndmask_b32_e32 v10, v10, v11, vcc
	v_mov_b32_e32 v11, v10
	;;#ASMSTART
	v_pk_mul_f32 v[12:13], v[18:19], v[10:11]
	;;#ASMEND
	s_waitcnt vmcnt(1)
	v_cvt_f32_u32_sdwa v19, v6 dst_sel:DWORD dst_unused:UNUSED_PAD src0_sel:WORD_1
	v_cvt_f32_u32_sdwa v18, v6 dst_sel:DWORD dst_unused:UNUSED_PAD src0_sel:WORD_0
	;;#ASMSTART
	v_pk_mul_f32 v[14:15], v[32:33], v[10:11]
	;;#ASMEND
	;;#ASMSTART
	v_pk_mul_f32 v[16:17], v[26:27], v[10:11]
	;;#ASMEND
	v_cvt_f32_u32_sdwa v27, v7 dst_sel:DWORD dst_unused:UNUSED_PAD src0_sel:WORD_1
	v_cvt_f32_u32_sdwa v26, v7 dst_sel:DWORD dst_unused:UNUSED_PAD src0_sel:WORD_0
	;;#ASMSTART
	v_pk_mul_f32 v[30:31], v[30:31], v[10:11]
	;;#ASMEND
	;;#ASMSTART
	v_pk_mul_f32 v[24:25], v[24:25], v[10:11]
	;;#ASMEND
	;; [unrolled: 3-line block ×5, first 2 shown]
	v_pk_add_f32 v[10:11], v[18:19], 1.0 op_sel_hi:[1,0]
	;;#ASMSTART
	v_pk_mul_f32 v[18:19], v[12:13], v[10:11]
	;;#ASMEND
	v_cvt_f32_u32_sdwa v13, v8 dst_sel:DWORD dst_unused:UNUSED_PAD src0_sel:WORD_1
	v_cvt_f32_u32_sdwa v12, v8 dst_sel:DWORD dst_unused:UNUSED_PAD src0_sel:WORD_0
	v_cvt_f32_u32_sdwa v21, v9 dst_sel:DWORD dst_unused:UNUSED_PAD src0_sel:WORD_1
	v_cvt_f32_u32_sdwa v20, v9 dst_sel:DWORD dst_unused:UNUSED_PAD src0_sel:WORD_0
	v_pk_add_f32 v[10:11], v[26:27], 1.0 op_sel_hi:[1,0]
	;;#ASMSTART
	v_pk_mul_f32 v[32:33], v[14:15], v[10:11]
	;;#ASMEND
	s_waitcnt vmcnt(0)
	v_cvt_f32_u32_sdwa v11, v2 dst_sel:DWORD dst_unused:UNUSED_PAD src0_sel:WORD_1
	v_cvt_f32_u32_sdwa v10, v2 dst_sel:DWORD dst_unused:UNUSED_PAD src0_sel:WORD_0
	v_pk_add_f32 v[8:9], v[12:13], 1.0 op_sel_hi:[1,0]
	;;#ASMSTART
	v_pk_mul_f32 v[26:27], v[16:17], v[8:9]
	;;#ASMEND
	v_pk_add_f32 v[8:9], v[20:21], 1.0 op_sel_hi:[1,0]
	v_cvt_f32_u32_sdwa v13, v3 dst_sel:DWORD dst_unused:UNUSED_PAD src0_sel:WORD_1
	v_cvt_f32_u32_sdwa v12, v3 dst_sel:DWORD dst_unused:UNUSED_PAD src0_sel:WORD_0
	;;#ASMSTART
	v_pk_mul_f32 v[30:31], v[30:31], v[8:9]
	;;#ASMEND
	v_cvt_f32_u32_sdwa v9, v4 dst_sel:DWORD dst_unused:UNUSED_PAD src0_sel:WORD_1
	v_cvt_f32_u32_sdwa v8, v4 dst_sel:DWORD dst_unused:UNUSED_PAD src0_sel:WORD_0
	v_pk_add_f32 v[2:3], v[10:11], 1.0 op_sel_hi:[1,0]
	v_cvt_f32_u32_sdwa v11, v5 dst_sel:DWORD dst_unused:UNUSED_PAD src0_sel:WORD_1
	v_cvt_f32_u32_sdwa v10, v5 dst_sel:DWORD dst_unused:UNUSED_PAD src0_sel:WORD_0
	;;#ASMSTART
	v_pk_mul_f32 v[24:25], v[24:25], v[2:3]
	;;#ASMEND
	v_pk_add_f32 v[2:3], v[12:13], 1.0 op_sel_hi:[1,0]
	;;#ASMSTART
	v_pk_mul_f32 v[28:29], v[28:29], v[2:3]
	;;#ASMEND
	v_pk_add_f32 v[2:3], v[8:9], 1.0 op_sel_hi:[1,0]
	;; [unrolled: 4-line block ×3, first 2 shown]
	;;#ASMSTART
	v_pk_mul_f32 v[20:21], v[6:7], v[2:3]
	;;#ASMEND
.LBB970_9:
	s_or_b64 exec, exec, s[8:9]
	s_load_dword s7, s[4:5], 0x80
	s_mov_b64 s[8:9], -1
	s_and_b64 vcc, exec, s[14:15]
	s_cbranch_vccnz .LBB970_13
; %bb.10:
	s_andn2_b64 vcc, exec, s[8:9]
	s_cbranch_vccz .LBB970_16
.LBB970_11:
	s_cmp_lt_i32 s20, 1
	s_cbranch_scc0 .LBB970_25
.LBB970_12:
	s_endpgm
.LBB970_13:
	s_and_saveexec_b64 s[14:15], s[2:3]
	s_cbranch_execz .LBB970_15
; %bb.14:
	s_waitcnt lgkmcnt(0)
	s_mul_hi_i32 s9, s7, s6
	s_mul_i32 s8, s7, s6
	s_lshl_b64 s[8:9], s[8:9], 1
	s_add_u32 s8, s28, s8
	s_addc_u32 s9, s29, s9
	s_mov_b32 s16, 0x7060302
	s_and_b32 s9, s9, 0xffff
	s_mov_b32 s11, 0x20000
	s_waitcnt vmcnt(0)
	v_perm_b32 v5, v31, v30, s16
	v_perm_b32 v4, v27, v26, s16
	;; [unrolled: 1-line block ×4, first 2 shown]
	v_lshlrev_b32_e32 v6, 5, v0
	buffer_store_dwordx4 v[2:5], v6, s[8:11], 0 offen
	;;#ASMSTART
	s_nop 0
	;;#ASMEND
	s_nop 0
	v_perm_b32 v5, v21, v20, s16
	v_perm_b32 v4, v23, v22, s16
	;; [unrolled: 1-line block ×4, first 2 shown]
	buffer_store_dwordx4 v[2:5], v6, s[8:11], 16 offen
	;;#ASMSTART
	s_nop 0
	;;#ASMEND
.LBB970_15:
	s_or_b64 exec, exec, s[14:15]
	s_cbranch_execnz .LBB970_11
.LBB970_16:
	s_load_dwordx4 s[24:27], s[4:5], 0x70
	s_waitcnt vmcnt(0)
	v_mov_b32_e32 v2, 0
	s_and_saveexec_b64 s[14:15], s[2:3]
	s_cbranch_execz .LBB970_18
; %bb.17:
	s_load_dwordx2 s[8:9], s[4:5], 0x10
	s_waitcnt lgkmcnt(0)
	s_mul_hi_i32 s35, s27, s6
	s_mul_i32 s34, s27, s6
	s_lshl_b64 s[34:35], s[34:35], 1
	s_mov_b32 s16, 0x7060302
	s_add_u32 s8, s8, s34
	s_addc_u32 s9, s9, s35
	s_mov_b32 s11, 0x20000
	s_and_b32 s9, s9, 0xffff
	v_perm_b32 v5, v31, v30, s16
	v_perm_b32 v4, v27, v26, s16
	;; [unrolled: 1-line block ×4, first 2 shown]
	v_lshlrev_b32_e32 v6, 5, v0
	buffer_store_dwordx4 v[2:5], v6, s[8:11], 0 offen
	;;#ASMSTART
	s_nop 0
	;;#ASMEND
	s_nop 0
	v_perm_b32 v5, v21, v20, s16
	v_perm_b32 v4, v23, v22, s16
	;; [unrolled: 1-line block ×4, first 2 shown]
	buffer_store_dwordx4 v[2:5], v6, s[8:11], 16 offen
	;;#ASMSTART
	s_nop 0
	;;#ASMEND
	s_nop 0
	v_mov_b32_e32 v2, 0x2edbe6ff
.LBB970_18:
	s_or_b64 exec, exec, s[14:15]
	s_and_saveexec_b64 s[8:9], s[2:3]
	s_cbranch_execz .LBB970_20
; %bb.19:
	v_and_b32_e32 v3, 0x7fffffff, v18
	v_and_b32_e32 v4, 0x7fffffff, v19
	;;#ASMSTART
	v_max3_f32 v2, v2, v3, v4

	;;#ASMEND
	v_and_b32_e32 v3, 0x7fffffff, v32
	v_and_b32_e32 v4, 0x7fffffff, v33
	;;#ASMSTART
	v_max3_f32 v2, v2, v3, v4

	;;#ASMEND
	;; [unrolled: 6-line block ×8, first 2 shown]
.LBB970_20:
	s_or_b64 exec, exec, s[8:9]
	;;#ASMSTART
	v_max_f32 v3, v2, v2 quad_perm:[1,0,3,2] row_mask:0xf bank_mask:0xf bound_ctrl:1
	;;#ASMEND
	;;#ASMSTART
	v_max_f32 v2, v3, v3 quad_perm:[2,3,0,1] row_mask:0xf bank_mask:0xf bound_ctrl:1
	;;#ASMEND
	v_and_b32_e32 v3, 3, v0
	v_cmp_eq_u32_e32 vcc, 0, v3
	v_cmp_gt_i32_e64 s[8:9], s19, v1
	v_mul_f32_e32 v2, 0x3b124925, v2
	s_and_b64 s[10:11], vcc, s[8:9]
	s_and_saveexec_b64 s[8:9], s[10:11]
	s_cbranch_execz .LBB970_22
; %bb.21:
	s_load_dwordx2 s[10:11], s[4:5], 0x8
	s_waitcnt lgkmcnt(0)
	s_mul_hi_i32 s15, s25, s6
	s_mul_i32 s14, s25, s6
	v_lshrrev_b32_e32 v3, 2, v0
	s_lshl_b64 s[14:15], s[14:15], 2
	v_mad_i64_i32 v[4:5], s[26:27], s26, v3, 0
	s_add_u32 s10, s10, s14
	s_addc_u32 s11, s11, s15
	v_lshlrev_b64 v[4:5], 2, v[4:5]
	v_mov_b32_e32 v3, s11
	v_add_co_u32_e32 v4, vcc, s10, v4
	v_addc_co_u32_e32 v5, vcc, v3, v5, vcc
	global_store_dword v[4:5], v2, off
.LBB970_22:
	s_or_b64 exec, exec, s[8:9]
	;;#ASMSTART
	v_rcp_f32 v2, v2
	;;#ASMEND
	s_and_saveexec_b64 s[14:15], s[2:3]
	s_cbranch_execz .LBB970_24
; %bb.23:
	s_load_dwordx2 s[2:3], s[4:5], 0x0
	s_waitcnt lgkmcnt(0)
	s_mul_i32 s8, s24, s6
	s_mul_hi_i32 s9, s24, s6
	v_mov_b32_e32 v3, v2
	;;#ASMSTART
	v_pk_mul_f32 v[4:5], v[18:19], v[2:3]
	;;#ASMEND
	s_add_u32 s8, s2, s8
	s_addc_u32 s2, s3, s9
	s_add_i32 s3, s19, 3
	s_ashr_i32 s10, s3, 31
	v_mov_b32_e32 v10, 0xc3e00000
	v_mov_b32_e32 v11, 0x43e00000
	;;#ASMSTART
	v_med3_f32 v4, v4, v10, v11
v_med3_f32 v5, v5, v10, v11
v_cvt_pk_fp8_f32 v6, v4, v5
	;;#ASMEND
	s_and_b32 s9, s2, 0xffff
	s_lshr_b32 s2, s10, 30
	;;#ASMSTART
	v_pk_mul_f32 v[4:5], v[32:33], v[2:3]
	;;#ASMEND
	s_add_i32 s3, s3, s2
	;;#ASMSTART
	v_med3_f32 v4, v4, v10, v11
v_med3_f32 v5, v5, v10, v11
v_cvt_pk_fp8_f32 v7, v4, v5
	;;#ASMEND
	s_mov_b32 s2, 0x5040100
	v_perm_b32 v4, v7, v6, s2
	s_mov_b32 s2, 0x1060504
	v_perm_b32 v4, v4, v7, s2
	;;#ASMSTART
	v_pk_mul_f32 v[6:7], v[26:27], v[2:3]
	;;#ASMEND
	v_mov_b32_e32 v5, v7
	;;#ASMSTART
	v_med3_f32 v6, v6, v10, v11
v_med3_f32 v5, v5, v10, v11
v_cvt_pk_fp8_f32 v8, v6, v5
	;;#ASMEND
	;;#ASMSTART
	v_pk_mul_f32 v[6:7], v[30:31], v[2:3]
	;;#ASMEND
	v_mov_b32_e32 v5, v7
	;;#ASMSTART
	v_med3_f32 v6, v6, v10, v11
v_med3_f32 v5, v5, v10, v11
v_cvt_pk_fp8_f32 v7, v6, v5
	;;#ASMEND
	s_mov_b32 s2, 0x1000504
	v_perm_b32 v5, v8, v7, s2
	;;#ASMSTART
	v_pk_mul_f32 v[6:7], v[24:25], v[2:3]
	;;#ASMEND
	;;#ASMSTART
	v_med3_f32 v6, v6, v10, v11
v_med3_f32 v7, v7, v10, v11
v_cvt_pk_fp8_f32 v8, v6, v7
	;;#ASMEND
	;;#ASMSTART
	v_pk_mul_f32 v[6:7], v[28:29], v[2:3]
	;;#ASMEND
	;;#ASMSTART
	v_med3_f32 v6, v6, v10, v11
v_med3_f32 v7, v7, v10, v11
v_cvt_pk_fp8_f32 v9, v6, v7
	;;#ASMEND
	v_perm_b32 v6, v8, v9, s2
	;;#ASMSTART
	v_pk_mul_f32 v[8:9], v[22:23], v[2:3]
	;;#ASMEND
	v_mov_b32_e32 v7, v9
	;;#ASMSTART
	v_med3_f32 v8, v8, v10, v11
v_med3_f32 v7, v7, v10, v11
v_cvt_pk_fp8_f32 v9, v8, v7
	;;#ASMEND
	;;#ASMSTART
	v_pk_mul_f32 v[2:3], v[20:21], v[2:3]
	;;#ASMEND
	;;#ASMSTART
	v_med3_f32 v2, v2, v10, v11
v_med3_f32 v3, v3, v10, v11
v_cvt_pk_fp8_f32 v7, v2, v3
	;;#ASMEND
	s_and_b32 s10, s3, -4
	s_mov_b32 s11, 0x20000
	v_perm_b32 v7, v9, v7, s2
	buffer_store_dwordx4 v[4:7], v1, s[8:11], 0 offen
	;;#ASMSTART
	s_nop 0
	;;#ASMEND
.LBB970_24:
	s_or_b64 exec, exec, s[14:15]
	s_cmp_lt_i32 s20, 1
	s_cbranch_scc1 .LBB970_12
.LBB970_25:
	s_load_dword s2, s[4:5], 0x94
	s_waitcnt lgkmcnt(0)
	s_cmp_lg_u32 s2, 1
	s_cbranch_scc1 .LBB970_12
; %bb.26:
	s_lshl_b32 s2, s20, 1
	s_add_i32 s2, s2, 2
	v_cmp_gt_u32_e32 vcc, s20, v1
	s_and_b32 s14, s2, -4
	v_mov_b32_e32 v18, 0
	v_lshlrev_b32_e32 v1, 5, v0
	v_mov_b32_e32 v14, 0
	v_mov_b32_e32 v15, 0
	;; [unrolled: 1-line block ×8, first 2 shown]
	s_waitcnt vmcnt(1)
	v_mov_b32_e32 v6, 0
	v_mov_b32_e32 v7, 0
	;; [unrolled: 1-line block ×4, first 2 shown]
	s_waitcnt vmcnt(0)
	v_mov_b32_e32 v2, 0
	v_mov_b32_e32 v3, 0
	;; [unrolled: 1-line block ×4, first 2 shown]
	s_barrier
	s_and_saveexec_b64 s[2:3], vcc
	s_cbranch_execz .LBB970_28
; %bb.27:
	s_mul_hi_i32 s5, s22, s6
	s_mul_i32 s4, s22, s6
	s_and_b32 s13, s13, 0xffff
	s_lshl_b64 s[4:5], s[4:5], 1
	s_add_u32 s8, s30, s4
	s_mov_b32 s15, 0x20000
	s_addc_u32 s4, s31, s5
	s_and_b32 s9, s4, 0xffff
	s_mov_b32 s10, s14
	s_mov_b32 s11, s15
	buffer_load_dwordx4 v[14:17], v1, s[8:11], 0 offen
	buffer_load_dwordx4 v[10:13], v1, s[8:11], 16 offen
	buffer_load_dwordx4 v[6:9], v1, s[12:15], 0 offen
	buffer_load_dwordx4 v[2:5], v1, s[12:15], 16 offen
.LBB970_28:
	s_or_b64 exec, exec, s[2:3]
	v_mov_b32_e32 v19, 0
	v_mov_b32_e32 v32, 0
	;; [unrolled: 1-line block ×15, first 2 shown]
	s_and_saveexec_b64 s[2:3], vcc
	s_cbranch_execz .LBB970_30
; %bb.29:
	s_waitcnt vmcnt(3)
	v_cvt_f32_u32_sdwa v18, v14 dst_sel:DWORD dst_unused:UNUSED_PAD src0_sel:WORD_0
	v_cvt_f32_u32_sdwa v19, v14 dst_sel:DWORD dst_unused:UNUSED_PAD src0_sel:WORD_1
	v_cvt_f32_u32_sdwa v32, v15 dst_sel:DWORD dst_unused:UNUSED_PAD src0_sel:WORD_0
	v_cvt_f32_u32_sdwa v33, v15 dst_sel:DWORD dst_unused:UNUSED_PAD src0_sel:WORD_1
	v_cvt_f32_u32_sdwa v30, v16 dst_sel:DWORD dst_unused:UNUSED_PAD src0_sel:WORD_0
	v_cvt_f32_u32_sdwa v31, v16 dst_sel:DWORD dst_unused:UNUSED_PAD src0_sel:WORD_1
	v_cvt_f32_u32_sdwa v28, v17 dst_sel:DWORD dst_unused:UNUSED_PAD src0_sel:WORD_0
	v_cvt_f32_u32_sdwa v29, v17 dst_sel:DWORD dst_unused:UNUSED_PAD src0_sel:WORD_1
	s_waitcnt vmcnt(2)
	v_cvt_f32_u32_sdwa v26, v10 dst_sel:DWORD dst_unused:UNUSED_PAD src0_sel:WORD_0
	v_cvt_f32_u32_sdwa v27, v10 dst_sel:DWORD dst_unused:UNUSED_PAD src0_sel:WORD_1
	v_cvt_f32_u32_sdwa v24, v11 dst_sel:DWORD dst_unused:UNUSED_PAD src0_sel:WORD_0
	v_cvt_f32_u32_sdwa v25, v11 dst_sel:DWORD dst_unused:UNUSED_PAD src0_sel:WORD_1
	;; [unrolled: 2-line block ×4, first 2 shown]
.LBB970_30:
	s_or_b64 exec, exec, s[2:3]
	s_waitcnt vmcnt(2)
	v_mul_f32_e32 v10, v19, v19
	v_fmac_f32_e32 v10, v18, v18
	v_fmac_f32_e32 v10, v32, v32
	;; [unrolled: 1-line block ×15, first 2 shown]
	s_nop 1
	v_mov_b32_dpp v11, v10 quad_perm:[1,0,3,2] row_mask:0xf bank_mask:0xf
	v_add_f32_e32 v10, v10, v11
	s_nop 1
	v_mov_b32_dpp v11, v10 quad_perm:[2,3,0,1] row_mask:0xf bank_mask:0xf
	v_add_f32_e32 v10, v10, v11
	s_nop 1
	v_mov_b32_dpp v11, v10 row_half_mirror row_mask:0xf bank_mask:0xf
	v_add_f32_e32 v10, v10, v11
	s_nop 1
	v_mov_b32_dpp v11, v10 row_mirror row_mask:0xf bank_mask:0xf
	v_add_f32_e32 v10, v10, v11
	s_nop 1
	v_mov_b32_dpp v11, v10 row_bcast:15 row_mask:0xf bank_mask:0xf
	v_add_f32_e32 v10, v10, v11
	s_nop 1
	v_mov_b32_dpp v11, v10 row_bcast:31 row_mask:0xf bank_mask:0xf
	s_and_saveexec_b64 s[2:3], s[0:1]
	s_cbranch_execz .LBB970_32
; %bb.31:
	v_lshrrev_b32_e32 v0, 4, v0
	v_add_f32_e32 v10, v10, v11
	v_and_b32_e32 v0, 60, v0
	ds_write_b32 v0, v10
.LBB970_32:
	s_or_b64 exec, exec, s[2:3]
	s_waitcnt lgkmcnt(0)
	s_barrier
	ds_read_b32 v0, v34
	s_waitcnt lgkmcnt(0)
	s_nop 0
	v_mov_b32_dpp v10, v0 quad_perm:[1,0,3,2] row_mask:0xf bank_mask:0xf
	v_add_f32_e32 v0, v0, v10
	s_nop 1
	v_mov_b32_dpp v10, v0 quad_perm:[2,3,0,1] row_mask:0xf bank_mask:0xf
	v_add_f32_e32 v0, v0, v10
	s_nop 1
	v_mov_b32_dpp v10, v0 row_half_mirror row_mask:0xf bank_mask:0xf
	s_and_saveexec_b64 s[0:1], vcc
	s_cbranch_execz .LBB970_12
; %bb.33:
	v_cvt_f32_u32_e32 v11, s20
	v_add_f32_e32 v0, v0, v10
	s_mov_b32 s15, 0x20000
	v_div_scale_f32 v10, s[0:1], v11, v11, v0
	v_rcp_f32_e32 v12, v10
	v_div_scale_f32 v13, vcc, v0, v11, v0
	s_mov_b32 s0, 0x800000
	v_fma_f32 v14, -v10, v12, 1.0
	v_fmac_f32_e32 v12, v14, v12
	v_mul_f32_e32 v14, v13, v12
	v_fma_f32 v15, -v10, v14, v13
	v_fmac_f32_e32 v14, v15, v12
	v_fma_f32 v10, -v10, v14, v13
	v_div_fmas_f32 v10, v10, v12, v14
	v_div_fixup_f32 v0, v10, v11, v0
	v_add_f32_e32 v0, s17, v0
	v_mul_f32_e32 v10, 0x4b800000, v0
	v_cmp_gt_f32_e32 vcc, s0, v0
	v_cndmask_b32_e32 v0, v0, v10, vcc
	v_rsq_f32_e32 v0, v0
	s_mul_hi_i32 s1, s7, s6
	s_mul_i32 s0, s7, s6
	s_lshl_b64 s[0:1], s[0:1], 1
	v_mul_f32_e32 v10, 0x45800000, v0
	v_cndmask_b32_e32 v10, v0, v10, vcc
	v_mov_b32_e32 v11, v10
	;;#ASMSTART
	v_pk_mul_f32 v[12:13], v[18:19], v[10:11]
	;;#ASMEND
	;;#ASMSTART
	v_pk_mul_f32 v[14:15], v[32:33], v[10:11]
	;;#ASMEND
	;; [unrolled: 3-line block ×4, first 2 shown]
	s_waitcnt vmcnt(1)
	v_cvt_f32_u32_sdwa v29, v6 dst_sel:DWORD dst_unused:UNUSED_PAD src0_sel:WORD_1
	v_cvt_f32_u32_sdwa v28, v6 dst_sel:DWORD dst_unused:UNUSED_PAD src0_sel:WORD_0
	v_cvt_f32_u32_sdwa v31, v7 dst_sel:DWORD dst_unused:UNUSED_PAD src0_sel:WORD_1
	v_cvt_f32_u32_sdwa v30, v7 dst_sel:DWORD dst_unused:UNUSED_PAD src0_sel:WORD_0
	;;#ASMSTART
	v_pk_mul_f32 v[26:27], v[26:27], v[10:11]
	;;#ASMEND
	;;#ASMSTART
	v_pk_mul_f32 v[24:25], v[24:25], v[10:11]
	;;#ASMEND
	;; [unrolled: 3-line block ×4, first 2 shown]
	v_cvt_f32_u32_sdwa v21, v8 dst_sel:DWORD dst_unused:UNUSED_PAD src0_sel:WORD_1
	v_cvt_f32_u32_sdwa v20, v8 dst_sel:DWORD dst_unused:UNUSED_PAD src0_sel:WORD_0
	v_pk_add_f32 v[10:11], v[28:29], 1.0 op_sel_hi:[1,0]
	;;#ASMSTART
	v_pk_mul_f32 v[10:11], v[12:13], v[10:11]
	;;#ASMEND
	v_pk_add_f32 v[12:13], v[30:31], 1.0 op_sel_hi:[1,0]
	v_cvt_f32_u32_sdwa v29, v9 dst_sel:DWORD dst_unused:UNUSED_PAD src0_sel:WORD_1
	v_cvt_f32_u32_sdwa v28, v9 dst_sel:DWORD dst_unused:UNUSED_PAD src0_sel:WORD_0
	;;#ASMSTART
	v_pk_mul_f32 v[8:9], v[14:15], v[12:13]
	;;#ASMEND
	v_pk_add_f32 v[12:13], v[20:21], 1.0 op_sel_hi:[1,0]
	;;#ASMSTART
	v_pk_mul_f32 v[12:13], v[16:17], v[12:13]
	;;#ASMEND
	s_waitcnt vmcnt(0)
	v_cvt_f32_u32_sdwa v17, v2 dst_sel:DWORD dst_unused:UNUSED_PAD src0_sel:WORD_1
	v_cvt_f32_u32_sdwa v16, v2 dst_sel:DWORD dst_unused:UNUSED_PAD src0_sel:WORD_0
	v_cvt_f32_u32_sdwa v21, v3 dst_sel:DWORD dst_unused:UNUSED_PAD src0_sel:WORD_1
	v_cvt_f32_u32_sdwa v20, v3 dst_sel:DWORD dst_unused:UNUSED_PAD src0_sel:WORD_0
	v_pk_add_f32 v[14:15], v[28:29], 1.0 op_sel_hi:[1,0]
	;;#ASMSTART
	v_pk_mul_f32 v[14:15], v[18:19], v[14:15]
	;;#ASMEND
	v_pk_add_f32 v[2:3], v[16:17], 1.0 op_sel_hi:[1,0]
	v_cvt_f32_u32_sdwa v19, v4 dst_sel:DWORD dst_unused:UNUSED_PAD src0_sel:WORD_1
	v_cvt_f32_u32_sdwa v18, v4 dst_sel:DWORD dst_unused:UNUSED_PAD src0_sel:WORD_0
	;;#ASMSTART
	v_pk_mul_f32 v[16:17], v[26:27], v[2:3]
	;;#ASMEND
	v_pk_add_f32 v[2:3], v[20:21], 1.0 op_sel_hi:[1,0]
	v_cvt_f32_u32_sdwa v21, v5 dst_sel:DWORD dst_unused:UNUSED_PAD src0_sel:WORD_1
	v_cvt_f32_u32_sdwa v20, v5 dst_sel:DWORD dst_unused:UNUSED_PAD src0_sel:WORD_0
	s_add_u32 s12, s28, s0
	;;#ASMSTART
	v_pk_mul_f32 v[24:25], v[24:25], v[2:3]
	;;#ASMEND
	v_pk_add_f32 v[2:3], v[18:19], 1.0 op_sel_hi:[1,0]
	s_addc_u32 s0, s29, s1
	;;#ASMSTART
	v_pk_mul_f32 v[18:19], v[22:23], v[2:3]
	;;#ASMEND
	v_pk_add_f32 v[2:3], v[20:21], 1.0 op_sel_hi:[1,0]
	s_and_b32 s13, s0, 0xffff
	s_mov_b32 s0, 0x7060302
	;;#ASMSTART
	v_pk_mul_f32 v[6:7], v[6:7], v[2:3]
	;;#ASMEND
	v_perm_b32 v2, v11, v10, s0
	v_perm_b32 v3, v9, v8, s0
	;; [unrolled: 1-line block ×4, first 2 shown]
	buffer_store_dwordx4 v[2:5], v1, s[12:15], 0 offen
	;;#ASMSTART
	s_nop 0
	;;#ASMEND
	s_nop 0
	v_perm_b32 v2, v17, v16, s0
	v_perm_b32 v3, v25, v24, s0
	;; [unrolled: 1-line block ×4, first 2 shown]
	buffer_store_dwordx4 v[2:5], v1, s[12:15], 16 offen
	;;#ASMSTART
	s_nop 0
	;;#ASMEND
	s_endpgm
	.section	.rodata,"a",@progbits
	.p2align	6, 0x0
	.amdhsa_kernel _ZN5aiter35fused_qk_rmsnorm_group_quant_kernelItDB8_Li512ELi16ELi4ELb0ELb1ELb1ELb0ELb0ELb0EEEvPT0_PvPT_S6_S6_PKS5_S8_S8_S8_S8_ffiiiiiiiiiiiii
		.amdhsa_group_segment_fixed_size 64
		.amdhsa_private_segment_fixed_size 0
		.amdhsa_kernarg_size 400
		.amdhsa_user_sgpr_count 6
		.amdhsa_user_sgpr_private_segment_buffer 1
		.amdhsa_user_sgpr_dispatch_ptr 0
		.amdhsa_user_sgpr_queue_ptr 0
		.amdhsa_user_sgpr_kernarg_segment_ptr 1
		.amdhsa_user_sgpr_dispatch_id 0
		.amdhsa_user_sgpr_flat_scratch_init 0
		.amdhsa_user_sgpr_kernarg_preload_length 0
		.amdhsa_user_sgpr_kernarg_preload_offset 0
		.amdhsa_user_sgpr_private_segment_size 0
		.amdhsa_uses_dynamic_stack 0
		.amdhsa_system_sgpr_private_segment_wavefront_offset 0
		.amdhsa_system_sgpr_workgroup_id_x 1
		.amdhsa_system_sgpr_workgroup_id_y 1
		.amdhsa_system_sgpr_workgroup_id_z 0
		.amdhsa_system_sgpr_workgroup_info 0
		.amdhsa_system_vgpr_workitem_id 0
		.amdhsa_next_free_vgpr 35
		.amdhsa_next_free_sgpr 36
		.amdhsa_accum_offset 36
		.amdhsa_reserve_vcc 1
		.amdhsa_reserve_flat_scratch 0
		.amdhsa_float_round_mode_32 0
		.amdhsa_float_round_mode_16_64 0
		.amdhsa_float_denorm_mode_32 3
		.amdhsa_float_denorm_mode_16_64 3
		.amdhsa_dx10_clamp 1
		.amdhsa_ieee_mode 1
		.amdhsa_fp16_overflow 0
		.amdhsa_tg_split 0
		.amdhsa_exception_fp_ieee_invalid_op 0
		.amdhsa_exception_fp_denorm_src 0
		.amdhsa_exception_fp_ieee_div_zero 0
		.amdhsa_exception_fp_ieee_overflow 0
		.amdhsa_exception_fp_ieee_underflow 0
		.amdhsa_exception_fp_ieee_inexact 0
		.amdhsa_exception_int_div_zero 0
	.end_amdhsa_kernel
	.section	.text._ZN5aiter35fused_qk_rmsnorm_group_quant_kernelItDB8_Li512ELi16ELi4ELb0ELb1ELb1ELb0ELb0ELb0EEEvPT0_PvPT_S6_S6_PKS5_S8_S8_S8_S8_ffiiiiiiiiiiiii,"axG",@progbits,_ZN5aiter35fused_qk_rmsnorm_group_quant_kernelItDB8_Li512ELi16ELi4ELb0ELb1ELb1ELb0ELb0ELb0EEEvPT0_PvPT_S6_S6_PKS5_S8_S8_S8_S8_ffiiiiiiiiiiiii,comdat
.Lfunc_end970:
	.size	_ZN5aiter35fused_qk_rmsnorm_group_quant_kernelItDB8_Li512ELi16ELi4ELb0ELb1ELb1ELb0ELb0ELb0EEEvPT0_PvPT_S6_S6_PKS5_S8_S8_S8_S8_ffiiiiiiiiiiiii, .Lfunc_end970-_ZN5aiter35fused_qk_rmsnorm_group_quant_kernelItDB8_Li512ELi16ELi4ELb0ELb1ELb1ELb0ELb0ELb0EEEvPT0_PvPT_S6_S6_PKS5_S8_S8_S8_S8_ffiiiiiiiiiiiii
                                        ; -- End function
	.section	.AMDGPU.csdata,"",@progbits
; Kernel info:
; codeLenInByte = 3780
; NumSgprs: 40
; NumVgprs: 35
; NumAgprs: 0
; TotalNumVgprs: 35
; ScratchSize: 0
; MemoryBound: 0
; FloatMode: 240
; IeeeMode: 1
; LDSByteSize: 64 bytes/workgroup (compile time only)
; SGPRBlocks: 4
; VGPRBlocks: 4
; NumSGPRsForWavesPerEU: 40
; NumVGPRsForWavesPerEU: 35
; AccumOffset: 36
; Occupancy: 8
; WaveLimiterHint : 0
; COMPUTE_PGM_RSRC2:SCRATCH_EN: 0
; COMPUTE_PGM_RSRC2:USER_SGPR: 6
; COMPUTE_PGM_RSRC2:TRAP_HANDLER: 0
; COMPUTE_PGM_RSRC2:TGID_X_EN: 1
; COMPUTE_PGM_RSRC2:TGID_Y_EN: 1
; COMPUTE_PGM_RSRC2:TGID_Z_EN: 0
; COMPUTE_PGM_RSRC2:TIDIG_COMP_CNT: 0
; COMPUTE_PGM_RSRC3_GFX90A:ACCUM_OFFSET: 8
; COMPUTE_PGM_RSRC3_GFX90A:TG_SPLIT: 0
	.section	.text._ZN5aiter35fused_qk_rmsnorm_group_quant_kernelIDF16_N4opus5fp4_tELi512ELi16ELi4ELb0ELb1ELb1ELb0ELb0ELb0EEEvPT0_PvPT_S7_S7_PKS6_S9_S9_S9_S9_ffiiiiiiiiiiiii,"axG",@progbits,_ZN5aiter35fused_qk_rmsnorm_group_quant_kernelIDF16_N4opus5fp4_tELi512ELi16ELi4ELb0ELb1ELb1ELb0ELb0ELb0EEEvPT0_PvPT_S7_S7_PKS6_S9_S9_S9_S9_ffiiiiiiiiiiiii,comdat
	.protected	_ZN5aiter35fused_qk_rmsnorm_group_quant_kernelIDF16_N4opus5fp4_tELi512ELi16ELi4ELb0ELb1ELb1ELb0ELb0ELb0EEEvPT0_PvPT_S7_S7_PKS6_S9_S9_S9_S9_ffiiiiiiiiiiiii ; -- Begin function _ZN5aiter35fused_qk_rmsnorm_group_quant_kernelIDF16_N4opus5fp4_tELi512ELi16ELi4ELb0ELb1ELb1ELb0ELb0ELb0EEEvPT0_PvPT_S7_S7_PKS6_S9_S9_S9_S9_ffiiiiiiiiiiiii
	.globl	_ZN5aiter35fused_qk_rmsnorm_group_quant_kernelIDF16_N4opus5fp4_tELi512ELi16ELi4ELb0ELb1ELb1ELb0ELb0ELb0EEEvPT0_PvPT_S7_S7_PKS6_S9_S9_S9_S9_ffiiiiiiiiiiiii
	.p2align	8
	.type	_ZN5aiter35fused_qk_rmsnorm_group_quant_kernelIDF16_N4opus5fp4_tELi512ELi16ELi4ELb0ELb1ELb1ELb0ELb0ELb0EEEvPT0_PvPT_S7_S7_PKS6_S9_S9_S9_S9_ffiiiiiiiiiiiii,@function
_ZN5aiter35fused_qk_rmsnorm_group_quant_kernelIDF16_N4opus5fp4_tELi512ELi16ELi4ELb0ELb1ELb1ELb0ELb0ELb0EEEvPT0_PvPT_S7_S7_PKS6_S9_S9_S9_S9_ffiiiiiiiiiiiii: ; @_ZN5aiter35fused_qk_rmsnorm_group_quant_kernelIDF16_N4opus5fp4_tELi512ELi16ELi4ELb0ELb1ELb1ELb0ELb0ELb0EEEvPT0_PvPT_S7_S7_PKS6_S9_S9_S9_S9_ffiiiiiiiiiiiii
; %bb.0:
	s_load_dwordx4 s[16:19], s[4:5], 0x50
	s_waitcnt lgkmcnt(0)
	s_cmp_ge_i32 s6, s18
	s_cbranch_scc1 .LBB971_12
; %bb.1:
	s_load_dwordx2 s[12:13], s[4:5], 0x48
	s_load_dwordx2 s[30:31], s[4:5], 0x30
	s_load_dwordx4 s[20:23], s[4:5], 0x60
	s_cmp_lg_u32 s7, 0
	s_cselect_b64 s[14:15], -1, 0
	s_cmp_eq_u32 s7, 0
	s_cselect_b64 vcc, -1, 0
	s_and_b64 s[0:1], vcc, exec
	s_waitcnt lgkmcnt(0)
	s_cselect_b32 s7, s19, s20
	s_add_i32 s0, s7, 1
	s_lshr_b32 s1, s0, 31
	s_add_i32 s0, s0, s1
	s_lshl_b32 s0, s0, 1
	v_lshlrev_b32_e32 v1, 4, v0
	s_and_b32 s10, s0, -4
	v_cmp_gt_i32_e64 s[2:3], s7, v1
	v_mov_b32_e32 v18, 0
	v_mov_b32_e32 v6, 0
	;; [unrolled: 1-line block ×17, first 2 shown]
	s_and_saveexec_b64 s[0:1], s[2:3]
	s_cbranch_execz .LBB971_3
; %bb.2:
	s_load_dwordx2 s[8:9], s[4:5], 0x28
	s_load_dwordx2 s[26:27], s[4:5], 0x40
	s_and_b64 s[24:25], vcc, exec
	s_cselect_b32 s11, s21, s22
	v_lshlrev_b32_e32 v19, 5, v0
	s_waitcnt lgkmcnt(0)
	s_cselect_b32 s18, s9, s31
	s_cselect_b32 s21, s8, s30
	s_mul_hi_i32 s9, s11, s6
	s_mul_i32 s8, s11, s6
	s_lshl_b64 s[8:9], s[8:9], 1
	s_add_u32 s24, s21, s8
	s_addc_u32 s18, s18, s9
	s_and_b64 s[8:9], vcc, exec
	s_mov_b32 s11, 0x20000
	s_cselect_b32 s8, s26, s12
	s_cselect_b32 s9, s27, s13
	s_and_b32 s25, s18, 0xffff
	s_mov_b32 s26, s10
	s_mov_b32 s27, s11
	s_and_b32 s9, s9, 0xffff
	buffer_load_dwordx4 v[14:17], v19, s[24:27], 0 offen
	buffer_load_dwordx4 v[10:13], v19, s[24:27], 16 offen
	buffer_load_dwordx4 v[6:9], v19, s[8:11], 0 offen
	buffer_load_dwordx4 v[2:5], v19, s[8:11], 16 offen
.LBB971_3:
	s_or_b64 exec, exec, s[0:1]
	v_mov_b32_e32 v19, 0
	v_mov_b32_e32 v22, 0
	;; [unrolled: 1-line block ×15, first 2 shown]
	s_and_saveexec_b64 s[0:1], s[2:3]
	s_cbranch_execz .LBB971_5
; %bb.4:
	s_waitcnt vmcnt(3)
	v_cvt_f32_f16_sdwa v19, v14 dst_sel:DWORD dst_unused:UNUSED_PAD src0_sel:WORD_1
	v_cvt_f32_f16_e32 v18, v14
	v_cvt_f32_f16_sdwa v23, v15 dst_sel:DWORD dst_unused:UNUSED_PAD src0_sel:WORD_1
	v_cvt_f32_f16_e32 v22, v15
	;; [unrolled: 2-line block ×4, first 2 shown]
	s_waitcnt vmcnt(2)
	v_cvt_f32_f16_sdwa v27, v10 dst_sel:DWORD dst_unused:UNUSED_PAD src0_sel:WORD_1
	v_cvt_f32_f16_e32 v26, v10
	v_cvt_f32_f16_sdwa v33, v11 dst_sel:DWORD dst_unused:UNUSED_PAD src0_sel:WORD_1
	v_cvt_f32_f16_e32 v32, v11
	;; [unrolled: 2-line block ×4, first 2 shown]
.LBB971_5:
	s_or_b64 exec, exec, s[0:1]
	s_waitcnt vmcnt(2)
	v_mul_f32_e32 v10, v19, v19
	v_fmac_f32_e32 v10, v18, v18
	v_fmac_f32_e32 v10, v22, v22
	v_fmac_f32_e32 v10, v23, v23
	v_fmac_f32_e32 v10, v20, v20
	v_fmac_f32_e32 v10, v21, v21
	v_fmac_f32_e32 v10, v28, v28
	v_fmac_f32_e32 v10, v29, v29
	v_fmac_f32_e32 v10, v26, v26
	v_fmac_f32_e32 v10, v27, v27
	v_fmac_f32_e32 v10, v32, v32
	v_fmac_f32_e32 v10, v33, v33
	v_fmac_f32_e32 v10, v30, v30
	v_fmac_f32_e32 v10, v31, v31
	v_fmac_f32_e32 v10, v24, v24
	v_fmac_f32_e32 v10, v25, v25
	v_and_b32_e32 v12, 63, v0
	v_cmp_eq_u32_e64 s[0:1], 63, v12
	v_mov_b32_dpp v11, v10 quad_perm:[1,0,3,2] row_mask:0xf bank_mask:0xf
	v_add_f32_e32 v10, v10, v11
	s_nop 1
	v_mov_b32_dpp v11, v10 quad_perm:[2,3,0,1] row_mask:0xf bank_mask:0xf
	v_add_f32_e32 v10, v10, v11
	s_nop 1
	v_mov_b32_dpp v11, v10 row_half_mirror row_mask:0xf bank_mask:0xf
	v_add_f32_e32 v10, v10, v11
	s_nop 1
	v_mov_b32_dpp v11, v10 row_mirror row_mask:0xf bank_mask:0xf
	v_add_f32_e32 v10, v10, v11
	s_nop 1
	v_mov_b32_dpp v11, v10 row_bcast:15 row_mask:0xf bank_mask:0xf
	v_add_f32_e32 v10, v10, v11
	s_nop 1
	v_mov_b32_dpp v11, v10 row_bcast:31 row_mask:0xf bank_mask:0xf
	s_and_saveexec_b64 s[8:9], s[0:1]
	s_cbranch_execz .LBB971_7
; %bb.6:
	v_add_f32_e32 v10, v10, v11
	v_lshrrev_b32_e32 v11, 4, v0
	v_and_b32_e32 v11, 60, v11
	ds_write_b32 v11, v10 offset:32
.LBB971_7:
	s_or_b64 exec, exec, s[8:9]
	v_and_b32_e32 v10, 7, v0
	v_lshlrev_b32_e32 v34, 2, v10
	s_waitcnt lgkmcnt(0)
	s_barrier
	ds_read_b32 v10, v34 offset:32
	s_load_dwordx2 s[28:29], s[4:5], 0x18
	s_waitcnt lgkmcnt(0)
	v_mov_b32_dpp v11, v10 quad_perm:[1,0,3,2] row_mask:0xf bank_mask:0xf
	v_add_f32_e32 v10, v10, v11
	s_nop 1
	v_mov_b32_dpp v11, v10 quad_perm:[2,3,0,1] row_mask:0xf bank_mask:0xf
	v_add_f32_e32 v10, v10, v11
	s_nop 1
	v_mov_b32_dpp v11, v10 row_half_mirror row_mask:0xf bank_mask:0xf
	s_and_saveexec_b64 s[8:9], s[2:3]
	s_cbranch_execz .LBB971_9
; %bb.8:
	v_cvt_f32_u32_e32 v12, s7
	v_add_f32_e32 v10, v10, v11
	v_mov_b32_e32 v14, s17
	v_mov_b32_e32 v15, s16
	v_div_scale_f32 v11, s[24:25], v12, v12, v10
	v_rcp_f32_e32 v13, v11
	v_cndmask_b32_e32 v14, v14, v15, vcc
	s_mov_b32 s7, 0x800000
	v_fma_f32 v15, -v11, v13, 1.0
	v_fmac_f32_e32 v13, v15, v13
	v_div_scale_f32 v15, vcc, v10, v12, v10
	v_mul_f32_e32 v16, v15, v13
	v_fma_f32 v17, -v11, v16, v15
	v_fmac_f32_e32 v16, v17, v13
	v_fma_f32 v11, -v11, v16, v15
	v_div_fmas_f32 v11, v11, v13, v16
	v_div_fixup_f32 v10, v11, v12, v10
	v_add_f32_e32 v10, v14, v10
	v_mul_f32_e32 v11, 0x4b800000, v10
	v_cmp_gt_f32_e32 vcc, s7, v10
	v_cndmask_b32_e32 v10, v10, v11, vcc
	v_rsq_f32_e32 v10, v10
	v_mul_f32_e32 v11, 0x45800000, v10
	v_cndmask_b32_e32 v10, v10, v11, vcc
	v_mov_b32_e32 v11, v10
	;;#ASMSTART
	v_pk_mul_f32 v[12:13], v[18:19], v[10:11]
	;;#ASMEND
	s_waitcnt vmcnt(1)
	v_cvt_f32_f16_sdwa v19, v6 dst_sel:DWORD dst_unused:UNUSED_PAD src0_sel:WORD_1
	v_cvt_f32_f16_e32 v18, v6
	;;#ASMSTART
	v_pk_mul_f32 v[14:15], v[22:23], v[10:11]
	;;#ASMEND
	;;#ASMSTART
	v_pk_mul_f32 v[16:17], v[20:21], v[10:11]
	;;#ASMEND
	v_cvt_f32_f16_sdwa v21, v7 dst_sel:DWORD dst_unused:UNUSED_PAD src0_sel:WORD_1
	v_cvt_f32_f16_e32 v20, v7
	;;#ASMSTART
	v_pk_mul_f32 v[28:29], v[28:29], v[10:11]
	;;#ASMEND
	;;#ASMSTART
	v_pk_mul_f32 v[26:27], v[26:27], v[10:11]
	;;#ASMEND
	;; [unrolled: 3-line block ×5, first 2 shown]
	v_pk_add_f32 v[10:11], v[18:19], 1.0 op_sel_hi:[1,0]
	;;#ASMSTART
	v_pk_mul_f32 v[18:19], v[12:13], v[10:11]
	;;#ASMEND
	v_cvt_f32_f16_sdwa v13, v8 dst_sel:DWORD dst_unused:UNUSED_PAD src0_sel:WORD_1
	v_cvt_f32_f16_e32 v12, v8
	v_cvt_f32_f16_sdwa v25, v9 dst_sel:DWORD dst_unused:UNUSED_PAD src0_sel:WORD_1
	v_cvt_f32_f16_e32 v24, v9
	v_pk_add_f32 v[10:11], v[20:21], 1.0 op_sel_hi:[1,0]
	;;#ASMSTART
	v_pk_mul_f32 v[22:23], v[14:15], v[10:11]
	;;#ASMEND
	s_waitcnt vmcnt(0)
	v_cvt_f32_f16_sdwa v11, v2 dst_sel:DWORD dst_unused:UNUSED_PAD src0_sel:WORD_1
	v_cvt_f32_f16_e32 v10, v2
	v_pk_add_f32 v[8:9], v[12:13], 1.0 op_sel_hi:[1,0]
	;;#ASMSTART
	v_pk_mul_f32 v[20:21], v[16:17], v[8:9]
	;;#ASMEND
	v_pk_add_f32 v[8:9], v[24:25], 1.0 op_sel_hi:[1,0]
	v_cvt_f32_f16_sdwa v13, v3 dst_sel:DWORD dst_unused:UNUSED_PAD src0_sel:WORD_1
	v_cvt_f32_f16_e32 v12, v3
	;;#ASMSTART
	v_pk_mul_f32 v[28:29], v[28:29], v[8:9]
	;;#ASMEND
	v_cvt_f32_f16_sdwa v9, v4 dst_sel:DWORD dst_unused:UNUSED_PAD src0_sel:WORD_1
	v_cvt_f32_f16_e32 v8, v4
	v_pk_add_f32 v[2:3], v[10:11], 1.0 op_sel_hi:[1,0]
	v_cvt_f32_f16_sdwa v11, v5 dst_sel:DWORD dst_unused:UNUSED_PAD src0_sel:WORD_1
	v_cvt_f32_f16_e32 v10, v5
	;;#ASMSTART
	v_pk_mul_f32 v[26:27], v[26:27], v[2:3]
	;;#ASMEND
	v_pk_add_f32 v[2:3], v[12:13], 1.0 op_sel_hi:[1,0]
	;;#ASMSTART
	v_pk_mul_f32 v[32:33], v[32:33], v[2:3]
	;;#ASMEND
	v_pk_add_f32 v[2:3], v[8:9], 1.0 op_sel_hi:[1,0]
	;; [unrolled: 4-line block ×3, first 2 shown]
	;;#ASMSTART
	v_pk_mul_f32 v[24:25], v[6:7], v[2:3]
	;;#ASMEND
.LBB971_9:
	s_or_b64 exec, exec, s[8:9]
	s_load_dword s7, s[4:5], 0x80
	s_mov_b64 s[8:9], -1
	s_and_b64 vcc, exec, s[14:15]
	s_cbranch_vccnz .LBB971_13
; %bb.10:
	s_andn2_b64 vcc, exec, s[8:9]
	s_cbranch_vccz .LBB971_16
.LBB971_11:
	s_cmp_lt_i32 s20, 1
	s_cbranch_scc0 .LBB971_25
.LBB971_12:
	s_endpgm
.LBB971_13:
	s_and_saveexec_b64 s[14:15], s[2:3]
	s_cbranch_execz .LBB971_15
; %bb.14:
	s_waitcnt lgkmcnt(0)
	s_mul_hi_i32 s9, s7, s6
	s_mul_i32 s8, s7, s6
	s_waitcnt vmcnt(0)
	v_cvt_f16_f32_e32 v2, v18
	v_cvt_f16_f32_e32 v3, v22
	;; [unrolled: 1-line block ×8, first 2 shown]
	s_lshl_b64 s[8:9], s[8:9], 1
	s_add_u32 s8, s28, s8
	s_addc_u32 s9, s29, s9
	s_and_b32 s9, s9, 0xffff
	s_mov_b32 s11, 0x20000
	v_pack_b32_f16 v5, v5, v6
	v_pack_b32_f16 v4, v4, v7
	;; [unrolled: 1-line block ×4, first 2 shown]
	v_lshlrev_b32_e32 v6, 5, v0
	buffer_store_dwordx4 v[2:5], v6, s[8:11], 0 offen
	v_cvt_f16_f32_e32 v7, v25
	v_cvt_f16_f32_e32 v2, v26
	;; [unrolled: 1-line block ×8, first 2 shown]
	v_pack_b32_f16 v5, v5, v7
	v_pack_b32_f16 v4, v4, v8
	;; [unrolled: 1-line block ×4, first 2 shown]
	;;#ASMSTART
	s_nop 0
	;;#ASMEND
	buffer_store_dwordx4 v[2:5], v6, s[8:11], 16 offen
	;;#ASMSTART
	s_nop 0
	;;#ASMEND
.LBB971_15:
	s_or_b64 exec, exec, s[14:15]
	s_cbranch_execnz .LBB971_11
.LBB971_16:
	s_load_dwordx4 s[24:27], s[4:5], 0x70
	s_waitcnt vmcnt(0)
	v_mov_b32_e32 v2, 0
	s_and_saveexec_b64 s[14:15], s[2:3]
	s_cbranch_execz .LBB971_18
; %bb.17:
	s_load_dwordx2 s[8:9], s[4:5], 0x10
	s_waitcnt lgkmcnt(0)
	s_mul_hi_i32 s35, s27, s6
	s_mul_i32 s34, s27, s6
	v_cvt_f16_f32_e32 v2, v18
	v_cvt_f16_f32_e32 v3, v22
	;; [unrolled: 1-line block ×8, first 2 shown]
	s_lshl_b64 s[34:35], s[34:35], 1
	s_add_u32 s8, s8, s34
	s_addc_u32 s9, s9, s35
	s_mov_b32 s11, 0x20000
	s_and_b32 s9, s9, 0xffff
	v_pack_b32_f16 v5, v5, v6
	v_pack_b32_f16 v4, v4, v7
	;; [unrolled: 1-line block ×4, first 2 shown]
	v_lshlrev_b32_e32 v6, 5, v0
	buffer_store_dwordx4 v[2:5], v6, s[8:11], 0 offen
	v_cvt_f16_f32_e32 v7, v25
	v_cvt_f16_f32_e32 v2, v26
	;; [unrolled: 1-line block ×8, first 2 shown]
	v_pack_b32_f16 v5, v5, v7
	v_pack_b32_f16 v4, v4, v8
	;; [unrolled: 1-line block ×4, first 2 shown]
	;;#ASMSTART
	s_nop 0
	;;#ASMEND
	buffer_store_dwordx4 v[2:5], v6, s[8:11], 16 offen
	;;#ASMSTART
	s_nop 0
	;;#ASMEND
	s_nop 0
	v_mov_b32_e32 v2, 0x2edbe6ff
.LBB971_18:
	s_or_b64 exec, exec, s[14:15]
	s_and_saveexec_b64 s[8:9], s[2:3]
	s_cbranch_execz .LBB971_20
; %bb.19:
	v_and_b32_e32 v3, 0x7fffffff, v18
	v_and_b32_e32 v4, 0x7fffffff, v19
	;;#ASMSTART
	v_max3_f32 v2, v2, v3, v4

	;;#ASMEND
	v_and_b32_e32 v3, 0x7fffffff, v22
	v_and_b32_e32 v4, 0x7fffffff, v23
	;;#ASMSTART
	v_max3_f32 v2, v2, v3, v4

	;;#ASMEND
	;; [unrolled: 6-line block ×8, first 2 shown]
.LBB971_20:
	s_or_b64 exec, exec, s[8:9]
	;;#ASMSTART
	v_max_f32 v3, v2, v2 quad_perm:[1,0,3,2] row_mask:0xf bank_mask:0xf bound_ctrl:1
	;;#ASMEND
	;;#ASMSTART
	v_max_f32 v2, v3, v3 quad_perm:[2,3,0,1] row_mask:0xf bank_mask:0xf bound_ctrl:1
	;;#ASMEND
	v_and_b32_e32 v3, 3, v0
	v_cmp_eq_u32_e32 vcc, 0, v3
	v_cmp_gt_i32_e64 s[8:9], s19, v1
	s_and_b64 s[10:11], vcc, s[8:9]
	s_and_saveexec_b64 s[8:9], s[10:11]
	s_cbranch_execz .LBB971_22
; %bb.21:
	s_load_dwordx2 s[10:11], s[4:5], 0x8
	v_mul_f32_e32 v2, 0x3e2aaaab, v2
	v_lshrrev_b32_e32 v3, 23, v2
	v_and_b32_e32 v4, 0x7f800000, v2
	v_and_b32_e32 v2, 0x7fffff, v2
	v_cmp_ne_u32_e32 vcc, 0, v2
	s_waitcnt lgkmcnt(0)
	s_mul_i32 s16, s25, s6
	s_mov_b32 s14, 0x7f800000
	v_addc_co_u32_e32 v2, vcc, 0, v3, vcc
	s_mul_hi_i32 s15, s25, s6
	s_add_u32 s10, s10, s16
	v_cmp_ne_u32_e32 vcc, s14, v4
	s_addc_u32 s11, s11, s15
	v_lshrrev_b32_e32 v5, 2, v0
	v_cndmask_b32_e32 v4, -1, v2, vcc
	v_pk_mov_b32 v[2:3], s[10:11], s[10:11] op_sel:[0,1]
	v_mad_i64_i32 v[2:3], s[10:11], s26, v5, v[2:3]
	global_store_byte v[2:3], v4, off
.LBB971_22:
	s_or_b64 exec, exec, s[8:9]
	s_and_saveexec_b64 s[8:9], s[2:3]
	s_cbranch_execz .LBB971_24
; %bb.23:
	s_load_dwordx2 s[2:3], s[4:5], 0x0
	s_waitcnt lgkmcnt(0)
	s_mul_i32 s11, s24, s6
	s_mul_hi_i32 s10, s24, s6
	v_mov_b32_e32 v2, 0
	v_lshlrev_b32_e32 v4, 3, v0
	s_add_u32 s24, s2, s11
	s_addc_u32 s2, s3, s10
	s_lshr_b32 s3, s19, 31
	s_add_i32 s3, s19, s3
	s_ashr_i32 s3, s3, 1
	s_add_i32 s3, s3, 3
	s_ashr_i32 s10, s3, 31
	s_lshr_b32 s10, s10, 30
	s_add_i32 s3, s3, s10
	s_and_b32 s26, s3, -4
	s_and_b32 s25, s2, 0xffff
	s_mov_b32 s27, 0x20000
	v_mov_b32_e32 v3, v2
	buffer_store_dwordx2 v[2:3], v4, s[24:27], 0 offen
	;;#ASMSTART
	s_nop 0
	;;#ASMEND
.LBB971_24:
	s_or_b64 exec, exec, s[8:9]
	s_cmp_lt_i32 s20, 1
	s_cbranch_scc1 .LBB971_12
.LBB971_25:
	s_load_dword s2, s[4:5], 0x94
	s_waitcnt lgkmcnt(0)
	s_cmp_lg_u32 s2, 1
	s_cbranch_scc1 .LBB971_12
; %bb.26:
	s_lshl_b32 s2, s20, 1
	s_add_i32 s2, s2, 2
	v_cmp_gt_u32_e32 vcc, s20, v1
	s_and_b32 s14, s2, -4
	v_mov_b32_e32 v18, 0
	v_lshlrev_b32_e32 v1, 5, v0
	v_mov_b32_e32 v14, 0
	v_mov_b32_e32 v15, 0
	;; [unrolled: 1-line block ×8, first 2 shown]
	s_waitcnt vmcnt(1)
	v_mov_b32_e32 v6, 0
	v_mov_b32_e32 v7, 0
	;; [unrolled: 1-line block ×4, first 2 shown]
	s_waitcnt vmcnt(0)
	v_mov_b32_e32 v2, 0
	v_mov_b32_e32 v3, 0
	;; [unrolled: 1-line block ×4, first 2 shown]
	s_barrier
	s_and_saveexec_b64 s[2:3], vcc
	s_cbranch_execz .LBB971_28
; %bb.27:
	s_mul_hi_i32 s5, s22, s6
	s_mul_i32 s4, s22, s6
	s_and_b32 s13, s13, 0xffff
	s_lshl_b64 s[4:5], s[4:5], 1
	s_add_u32 s8, s30, s4
	s_mov_b32 s15, 0x20000
	s_addc_u32 s4, s31, s5
	s_and_b32 s9, s4, 0xffff
	s_mov_b32 s10, s14
	s_mov_b32 s11, s15
	buffer_load_dwordx4 v[14:17], v1, s[8:11], 0 offen
	buffer_load_dwordx4 v[10:13], v1, s[8:11], 16 offen
	;; [unrolled: 1-line block ×4, first 2 shown]
.LBB971_28:
	s_or_b64 exec, exec, s[2:3]
	v_mov_b32_e32 v19, 0
	v_mov_b32_e32 v32, 0
	;; [unrolled: 1-line block ×15, first 2 shown]
	s_and_saveexec_b64 s[2:3], vcc
	s_cbranch_execz .LBB971_30
; %bb.29:
	s_waitcnt vmcnt(3)
	v_cvt_f32_f16_sdwa v19, v14 dst_sel:DWORD dst_unused:UNUSED_PAD src0_sel:WORD_1
	v_cvt_f32_f16_e32 v18, v14
	v_cvt_f32_f16_sdwa v33, v15 dst_sel:DWORD dst_unused:UNUSED_PAD src0_sel:WORD_1
	v_cvt_f32_f16_e32 v32, v15
	v_cvt_f32_f16_sdwa v31, v16 dst_sel:DWORD dst_unused:UNUSED_PAD src0_sel:WORD_1
	v_cvt_f32_f16_e32 v30, v16
	v_cvt_f32_f16_sdwa v29, v17 dst_sel:DWORD dst_unused:UNUSED_PAD src0_sel:WORD_1
	v_cvt_f32_f16_e32 v28, v17
	s_waitcnt vmcnt(2)
	v_cvt_f32_f16_sdwa v27, v10 dst_sel:DWORD dst_unused:UNUSED_PAD src0_sel:WORD_1
	v_cvt_f32_f16_e32 v26, v10
	v_cvt_f32_f16_sdwa v25, v11 dst_sel:DWORD dst_unused:UNUSED_PAD src0_sel:WORD_1
	v_cvt_f32_f16_e32 v24, v11
	;; [unrolled: 2-line block ×4, first 2 shown]
.LBB971_30:
	s_or_b64 exec, exec, s[2:3]
	s_waitcnt vmcnt(2)
	v_mul_f32_e32 v10, v19, v19
	v_fmac_f32_e32 v10, v18, v18
	v_fmac_f32_e32 v10, v32, v32
	;; [unrolled: 1-line block ×15, first 2 shown]
	s_nop 1
	v_mov_b32_dpp v11, v10 quad_perm:[1,0,3,2] row_mask:0xf bank_mask:0xf
	v_add_f32_e32 v10, v10, v11
	s_nop 1
	v_mov_b32_dpp v11, v10 quad_perm:[2,3,0,1] row_mask:0xf bank_mask:0xf
	v_add_f32_e32 v10, v10, v11
	s_nop 1
	v_mov_b32_dpp v11, v10 row_half_mirror row_mask:0xf bank_mask:0xf
	v_add_f32_e32 v10, v10, v11
	s_nop 1
	v_mov_b32_dpp v11, v10 row_mirror row_mask:0xf bank_mask:0xf
	v_add_f32_e32 v10, v10, v11
	s_nop 1
	v_mov_b32_dpp v11, v10 row_bcast:15 row_mask:0xf bank_mask:0xf
	v_add_f32_e32 v10, v10, v11
	s_nop 1
	v_mov_b32_dpp v11, v10 row_bcast:31 row_mask:0xf bank_mask:0xf
	s_and_saveexec_b64 s[2:3], s[0:1]
	s_cbranch_execz .LBB971_32
; %bb.31:
	v_lshrrev_b32_e32 v0, 4, v0
	v_add_f32_e32 v10, v10, v11
	v_and_b32_e32 v0, 60, v0
	ds_write_b32 v0, v10
.LBB971_32:
	s_or_b64 exec, exec, s[2:3]
	s_waitcnt lgkmcnt(0)
	s_barrier
	ds_read_b32 v0, v34
	s_waitcnt lgkmcnt(0)
	s_nop 0
	v_mov_b32_dpp v10, v0 quad_perm:[1,0,3,2] row_mask:0xf bank_mask:0xf
	v_add_f32_e32 v0, v0, v10
	s_nop 1
	v_mov_b32_dpp v10, v0 quad_perm:[2,3,0,1] row_mask:0xf bank_mask:0xf
	v_add_f32_e32 v0, v0, v10
	s_nop 1
	v_mov_b32_dpp v10, v0 row_half_mirror row_mask:0xf bank_mask:0xf
	s_and_saveexec_b64 s[0:1], vcc
	s_cbranch_execz .LBB971_12
; %bb.33:
	v_cvt_f32_u32_e32 v11, s20
	v_add_f32_e32 v0, v0, v10
	s_mov_b32 s15, 0x20000
	v_div_scale_f32 v10, s[0:1], v11, v11, v0
	v_rcp_f32_e32 v12, v10
	v_div_scale_f32 v13, vcc, v0, v11, v0
	s_mov_b32 s0, 0x800000
	v_fma_f32 v14, -v10, v12, 1.0
	v_fmac_f32_e32 v12, v14, v12
	v_mul_f32_e32 v14, v13, v12
	v_fma_f32 v15, -v10, v14, v13
	v_fmac_f32_e32 v14, v15, v12
	v_fma_f32 v10, -v10, v14, v13
	v_div_fmas_f32 v10, v10, v12, v14
	v_div_fixup_f32 v0, v10, v11, v0
	v_add_f32_e32 v0, s17, v0
	v_mul_f32_e32 v10, 0x4b800000, v0
	v_cmp_gt_f32_e32 vcc, s0, v0
	v_cndmask_b32_e32 v0, v0, v10, vcc
	v_rsq_f32_e32 v0, v0
	s_mul_hi_i32 s1, s7, s6
	s_mul_i32 s0, s7, s6
	s_lshl_b64 s[0:1], s[0:1], 1
	v_mul_f32_e32 v10, 0x45800000, v0
	v_cndmask_b32_e32 v10, v0, v10, vcc
	v_mov_b32_e32 v11, v10
	;;#ASMSTART
	v_pk_mul_f32 v[12:13], v[18:19], v[10:11]
	;;#ASMEND
	;;#ASMSTART
	v_pk_mul_f32 v[14:15], v[32:33], v[10:11]
	;;#ASMEND
	;; [unrolled: 3-line block ×4, first 2 shown]
	s_waitcnt vmcnt(1)
	v_cvt_f32_f16_sdwa v29, v6 dst_sel:DWORD dst_unused:UNUSED_PAD src0_sel:WORD_1
	v_cvt_f32_f16_e32 v28, v6
	v_cvt_f32_f16_sdwa v31, v7 dst_sel:DWORD dst_unused:UNUSED_PAD src0_sel:WORD_1
	v_cvt_f32_f16_e32 v30, v7
	;;#ASMSTART
	v_pk_mul_f32 v[26:27], v[26:27], v[10:11]
	;;#ASMEND
	;;#ASMSTART
	v_pk_mul_f32 v[24:25], v[24:25], v[10:11]
	;;#ASMEND
	;; [unrolled: 3-line block ×4, first 2 shown]
	v_cvt_f32_f16_sdwa v21, v8 dst_sel:DWORD dst_unused:UNUSED_PAD src0_sel:WORD_1
	v_cvt_f32_f16_e32 v20, v8
	v_pk_add_f32 v[10:11], v[28:29], 1.0 op_sel_hi:[1,0]
	;;#ASMSTART
	v_pk_mul_f32 v[10:11], v[12:13], v[10:11]
	;;#ASMEND
	v_pk_add_f32 v[12:13], v[30:31], 1.0 op_sel_hi:[1,0]
	v_cvt_f32_f16_sdwa v29, v9 dst_sel:DWORD dst_unused:UNUSED_PAD src0_sel:WORD_1
	v_cvt_f32_f16_e32 v28, v9
	;;#ASMSTART
	v_pk_mul_f32 v[8:9], v[14:15], v[12:13]
	;;#ASMEND
	v_pk_add_f32 v[12:13], v[20:21], 1.0 op_sel_hi:[1,0]
	;;#ASMSTART
	v_pk_mul_f32 v[12:13], v[16:17], v[12:13]
	;;#ASMEND
	s_waitcnt vmcnt(0)
	v_cvt_f32_f16_sdwa v17, v2 dst_sel:DWORD dst_unused:UNUSED_PAD src0_sel:WORD_1
	v_cvt_f32_f16_e32 v16, v2
	v_cvt_f32_f16_sdwa v21, v3 dst_sel:DWORD dst_unused:UNUSED_PAD src0_sel:WORD_1
	v_cvt_f32_f16_e32 v20, v3
	v_pk_add_f32 v[14:15], v[28:29], 1.0 op_sel_hi:[1,0]
	;;#ASMSTART
	v_pk_mul_f32 v[2:3], v[18:19], v[14:15]
	;;#ASMEND
	v_cvt_f32_f16_sdwa v19, v4 dst_sel:DWORD dst_unused:UNUSED_PAD src0_sel:WORD_1
	v_cvt_f32_f16_e32 v18, v4
	v_pk_add_f32 v[14:15], v[16:17], 1.0 op_sel_hi:[1,0]
	v_pk_add_f32 v[16:17], v[20:21], 1.0 op_sel_hi:[1,0]
	v_cvt_f32_f16_sdwa v21, v5 dst_sel:DWORD dst_unused:UNUSED_PAD src0_sel:WORD_1
	v_cvt_f32_f16_e32 v20, v5
	v_pk_add_f32 v[4:5], v[18:19], 1.0 op_sel_hi:[1,0]
	;;#ASMSTART
	v_pk_mul_f32 v[14:15], v[26:27], v[14:15]
	;;#ASMEND
	;;#ASMSTART
	v_pk_mul_f32 v[16:17], v[24:25], v[16:17]
	;;#ASMEND
	;; [unrolled: 3-line block ×3, first 2 shown]
	v_pk_add_f32 v[4:5], v[20:21], 1.0 op_sel_hi:[1,0]
	;;#ASMSTART
	v_pk_mul_f32 v[6:7], v[6:7], v[4:5]
	;;#ASMEND
	v_cvt_f16_f32_e32 v0, v10
	v_cvt_f16_f32_e32 v4, v11
	;; [unrolled: 1-line block ×8, first 2 shown]
	s_add_u32 s12, s28, s0
	s_addc_u32 s0, s29, s1
	s_and_b32 s13, s0, 0xffff
	v_pack_b32_f16 v2, v0, v4
	v_pack_b32_f16 v3, v5, v8
	;; [unrolled: 1-line block ×4, first 2 shown]
	buffer_store_dwordx4 v[2:5], v1, s[12:15], 0 offen
	v_cvt_f16_f32_e32 v0, v14
	v_cvt_f16_f32_e32 v2, v15
	;; [unrolled: 1-line block ×8, first 2 shown]
	v_pack_b32_f16 v2, v0, v2
	v_pack_b32_f16 v3, v3, v4
	;; [unrolled: 1-line block ×4, first 2 shown]
	;;#ASMSTART
	s_nop 0
	;;#ASMEND
	buffer_store_dwordx4 v[2:5], v1, s[12:15], 16 offen
	;;#ASMSTART
	s_nop 0
	;;#ASMEND
	s_endpgm
	.section	.rodata,"a",@progbits
	.p2align	6, 0x0
	.amdhsa_kernel _ZN5aiter35fused_qk_rmsnorm_group_quant_kernelIDF16_N4opus5fp4_tELi512ELi16ELi4ELb0ELb1ELb1ELb0ELb0ELb0EEEvPT0_PvPT_S7_S7_PKS6_S9_S9_S9_S9_ffiiiiiiiiiiiii
		.amdhsa_group_segment_fixed_size 64
		.amdhsa_private_segment_fixed_size 0
		.amdhsa_kernarg_size 400
		.amdhsa_user_sgpr_count 6
		.amdhsa_user_sgpr_private_segment_buffer 1
		.amdhsa_user_sgpr_dispatch_ptr 0
		.amdhsa_user_sgpr_queue_ptr 0
		.amdhsa_user_sgpr_kernarg_segment_ptr 1
		.amdhsa_user_sgpr_dispatch_id 0
		.amdhsa_user_sgpr_flat_scratch_init 0
		.amdhsa_user_sgpr_kernarg_preload_length 0
		.amdhsa_user_sgpr_kernarg_preload_offset 0
		.amdhsa_user_sgpr_private_segment_size 0
		.amdhsa_uses_dynamic_stack 0
		.amdhsa_system_sgpr_private_segment_wavefront_offset 0
		.amdhsa_system_sgpr_workgroup_id_x 1
		.amdhsa_system_sgpr_workgroup_id_y 1
		.amdhsa_system_sgpr_workgroup_id_z 0
		.amdhsa_system_sgpr_workgroup_info 0
		.amdhsa_system_vgpr_workitem_id 0
		.amdhsa_next_free_vgpr 35
		.amdhsa_next_free_sgpr 36
		.amdhsa_accum_offset 36
		.amdhsa_reserve_vcc 1
		.amdhsa_reserve_flat_scratch 0
		.amdhsa_float_round_mode_32 0
		.amdhsa_float_round_mode_16_64 0
		.amdhsa_float_denorm_mode_32 3
		.amdhsa_float_denorm_mode_16_64 3
		.amdhsa_dx10_clamp 1
		.amdhsa_ieee_mode 1
		.amdhsa_fp16_overflow 0
		.amdhsa_tg_split 0
		.amdhsa_exception_fp_ieee_invalid_op 0
		.amdhsa_exception_fp_denorm_src 0
		.amdhsa_exception_fp_ieee_div_zero 0
		.amdhsa_exception_fp_ieee_overflow 0
		.amdhsa_exception_fp_ieee_underflow 0
		.amdhsa_exception_fp_ieee_inexact 0
		.amdhsa_exception_int_div_zero 0
	.end_amdhsa_kernel
	.section	.text._ZN5aiter35fused_qk_rmsnorm_group_quant_kernelIDF16_N4opus5fp4_tELi512ELi16ELi4ELb0ELb1ELb1ELb0ELb0ELb0EEEvPT0_PvPT_S7_S7_PKS6_S9_S9_S9_S9_ffiiiiiiiiiiiii,"axG",@progbits,_ZN5aiter35fused_qk_rmsnorm_group_quant_kernelIDF16_N4opus5fp4_tELi512ELi16ELi4ELb0ELb1ELb1ELb0ELb0ELb0EEEvPT0_PvPT_S7_S7_PKS6_S9_S9_S9_S9_ffiiiiiiiiiiiii,comdat
.Lfunc_end971:
	.size	_ZN5aiter35fused_qk_rmsnorm_group_quant_kernelIDF16_N4opus5fp4_tELi512ELi16ELi4ELb0ELb1ELb1ELb0ELb0ELb0EEEvPT0_PvPT_S7_S7_PKS6_S9_S9_S9_S9_ffiiiiiiiiiiiii, .Lfunc_end971-_ZN5aiter35fused_qk_rmsnorm_group_quant_kernelIDF16_N4opus5fp4_tELi512ELi16ELi4ELb0ELb1ELb1ELb0ELb0ELb0EEEvPT0_PvPT_S7_S7_PKS6_S9_S9_S9_S9_ffiiiiiiiiiiiii
                                        ; -- End function
	.section	.AMDGPU.csdata,"",@progbits
; Kernel info:
; codeLenInByte = 3500
; NumSgprs: 40
; NumVgprs: 35
; NumAgprs: 0
; TotalNumVgprs: 35
; ScratchSize: 0
; MemoryBound: 0
; FloatMode: 240
; IeeeMode: 1
; LDSByteSize: 64 bytes/workgroup (compile time only)
; SGPRBlocks: 4
; VGPRBlocks: 4
; NumSGPRsForWavesPerEU: 40
; NumVGPRsForWavesPerEU: 35
; AccumOffset: 36
; Occupancy: 8
; WaveLimiterHint : 0
; COMPUTE_PGM_RSRC2:SCRATCH_EN: 0
; COMPUTE_PGM_RSRC2:USER_SGPR: 6
; COMPUTE_PGM_RSRC2:TRAP_HANDLER: 0
; COMPUTE_PGM_RSRC2:TGID_X_EN: 1
; COMPUTE_PGM_RSRC2:TGID_Y_EN: 1
; COMPUTE_PGM_RSRC2:TGID_Z_EN: 0
; COMPUTE_PGM_RSRC2:TIDIG_COMP_CNT: 0
; COMPUTE_PGM_RSRC3_GFX90A:ACCUM_OFFSET: 8
; COMPUTE_PGM_RSRC3_GFX90A:TG_SPLIT: 0
	.section	.text._ZN5aiter35fused_qk_rmsnorm_group_quant_kernelItN4opus5fp4_tELi512ELi16ELi4ELb0ELb1ELb1ELb0ELb0ELb0EEEvPT0_PvPT_S7_S7_PKS6_S9_S9_S9_S9_ffiiiiiiiiiiiii,"axG",@progbits,_ZN5aiter35fused_qk_rmsnorm_group_quant_kernelItN4opus5fp4_tELi512ELi16ELi4ELb0ELb1ELb1ELb0ELb0ELb0EEEvPT0_PvPT_S7_S7_PKS6_S9_S9_S9_S9_ffiiiiiiiiiiiii,comdat
	.protected	_ZN5aiter35fused_qk_rmsnorm_group_quant_kernelItN4opus5fp4_tELi512ELi16ELi4ELb0ELb1ELb1ELb0ELb0ELb0EEEvPT0_PvPT_S7_S7_PKS6_S9_S9_S9_S9_ffiiiiiiiiiiiii ; -- Begin function _ZN5aiter35fused_qk_rmsnorm_group_quant_kernelItN4opus5fp4_tELi512ELi16ELi4ELb0ELb1ELb1ELb0ELb0ELb0EEEvPT0_PvPT_S7_S7_PKS6_S9_S9_S9_S9_ffiiiiiiiiiiiii
	.globl	_ZN5aiter35fused_qk_rmsnorm_group_quant_kernelItN4opus5fp4_tELi512ELi16ELi4ELb0ELb1ELb1ELb0ELb0ELb0EEEvPT0_PvPT_S7_S7_PKS6_S9_S9_S9_S9_ffiiiiiiiiiiiii
	.p2align	8
	.type	_ZN5aiter35fused_qk_rmsnorm_group_quant_kernelItN4opus5fp4_tELi512ELi16ELi4ELb0ELb1ELb1ELb0ELb0ELb0EEEvPT0_PvPT_S7_S7_PKS6_S9_S9_S9_S9_ffiiiiiiiiiiiii,@function
_ZN5aiter35fused_qk_rmsnorm_group_quant_kernelItN4opus5fp4_tELi512ELi16ELi4ELb0ELb1ELb1ELb0ELb0ELb0EEEvPT0_PvPT_S7_S7_PKS6_S9_S9_S9_S9_ffiiiiiiiiiiiii: ; @_ZN5aiter35fused_qk_rmsnorm_group_quant_kernelItN4opus5fp4_tELi512ELi16ELi4ELb0ELb1ELb1ELb0ELb0ELb0EEEvPT0_PvPT_S7_S7_PKS6_S9_S9_S9_S9_ffiiiiiiiiiiiii
; %bb.0:
	s_load_dwordx4 s[16:19], s[4:5], 0x50
	s_waitcnt lgkmcnt(0)
	s_cmp_ge_i32 s6, s18
	s_cbranch_scc1 .LBB972_12
; %bb.1:
	s_load_dwordx2 s[12:13], s[4:5], 0x48
	s_load_dwordx2 s[30:31], s[4:5], 0x30
	s_load_dwordx4 s[20:23], s[4:5], 0x60
	s_cmp_lg_u32 s7, 0
	s_cselect_b64 s[14:15], -1, 0
	s_cmp_eq_u32 s7, 0
	s_cselect_b64 vcc, -1, 0
	s_and_b64 s[0:1], vcc, exec
	s_waitcnt lgkmcnt(0)
	s_cselect_b32 s7, s19, s20
	s_add_i32 s0, s7, 1
	s_lshr_b32 s1, s0, 31
	s_add_i32 s0, s0, s1
	s_lshl_b32 s0, s0, 1
	v_lshlrev_b32_e32 v1, 4, v0
	s_and_b32 s10, s0, -4
	v_cmp_gt_i32_e64 s[2:3], s7, v1
	v_mov_b32_e32 v18, 0
	v_mov_b32_e32 v6, 0
	;; [unrolled: 1-line block ×17, first 2 shown]
	s_and_saveexec_b64 s[0:1], s[2:3]
	s_cbranch_execz .LBB972_3
; %bb.2:
	s_load_dwordx2 s[8:9], s[4:5], 0x28
	s_load_dwordx2 s[26:27], s[4:5], 0x40
	s_and_b64 s[24:25], vcc, exec
	s_cselect_b32 s11, s21, s22
	v_lshlrev_b32_e32 v19, 5, v0
	s_waitcnt lgkmcnt(0)
	s_cselect_b32 s18, s9, s31
	s_cselect_b32 s21, s8, s30
	s_mul_hi_i32 s9, s11, s6
	s_mul_i32 s8, s11, s6
	s_lshl_b64 s[8:9], s[8:9], 1
	s_add_u32 s24, s21, s8
	s_addc_u32 s18, s18, s9
	s_and_b64 s[8:9], vcc, exec
	s_mov_b32 s11, 0x20000
	s_cselect_b32 s8, s26, s12
	s_cselect_b32 s9, s27, s13
	s_and_b32 s25, s18, 0xffff
	s_mov_b32 s26, s10
	s_mov_b32 s27, s11
	s_and_b32 s9, s9, 0xffff
	buffer_load_dwordx4 v[14:17], v19, s[24:27], 0 offen
	buffer_load_dwordx4 v[10:13], v19, s[24:27], 16 offen
	;; [unrolled: 1-line block ×4, first 2 shown]
.LBB972_3:
	s_or_b64 exec, exec, s[0:1]
	v_mov_b32_e32 v19, 0
	v_mov_b32_e32 v22, 0
	;; [unrolled: 1-line block ×15, first 2 shown]
	s_and_saveexec_b64 s[0:1], s[2:3]
	s_cbranch_execz .LBB972_5
; %bb.4:
	s_waitcnt vmcnt(3)
	v_cvt_f32_u32_sdwa v18, v14 dst_sel:DWORD dst_unused:UNUSED_PAD src0_sel:WORD_0
	v_cvt_f32_u32_sdwa v19, v14 dst_sel:DWORD dst_unused:UNUSED_PAD src0_sel:WORD_1
	v_cvt_f32_u32_sdwa v22, v15 dst_sel:DWORD dst_unused:UNUSED_PAD src0_sel:WORD_0
	v_cvt_f32_u32_sdwa v23, v15 dst_sel:DWORD dst_unused:UNUSED_PAD src0_sel:WORD_1
	;; [unrolled: 2-line block ×4, first 2 shown]
	s_waitcnt vmcnt(2)
	v_cvt_f32_u32_sdwa v24, v10 dst_sel:DWORD dst_unused:UNUSED_PAD src0_sel:WORD_0
	v_cvt_f32_u32_sdwa v25, v10 dst_sel:DWORD dst_unused:UNUSED_PAD src0_sel:WORD_1
	v_cvt_f32_u32_sdwa v32, v11 dst_sel:DWORD dst_unused:UNUSED_PAD src0_sel:WORD_0
	v_cvt_f32_u32_sdwa v33, v11 dst_sel:DWORD dst_unused:UNUSED_PAD src0_sel:WORD_1
	;; [unrolled: 2-line block ×4, first 2 shown]
.LBB972_5:
	s_or_b64 exec, exec, s[0:1]
	s_waitcnt vmcnt(2)
	v_mul_f32_e32 v10, v19, v19
	v_fmac_f32_e32 v10, v18, v18
	v_fmac_f32_e32 v10, v22, v22
	;; [unrolled: 1-line block ×15, first 2 shown]
	v_and_b32_e32 v12, 63, v0
	v_cmp_eq_u32_e64 s[0:1], 63, v12
	v_mov_b32_dpp v11, v10 quad_perm:[1,0,3,2] row_mask:0xf bank_mask:0xf
	v_add_f32_e32 v10, v10, v11
	s_nop 1
	v_mov_b32_dpp v11, v10 quad_perm:[2,3,0,1] row_mask:0xf bank_mask:0xf
	v_add_f32_e32 v10, v10, v11
	s_nop 1
	v_mov_b32_dpp v11, v10 row_half_mirror row_mask:0xf bank_mask:0xf
	v_add_f32_e32 v10, v10, v11
	s_nop 1
	v_mov_b32_dpp v11, v10 row_mirror row_mask:0xf bank_mask:0xf
	v_add_f32_e32 v10, v10, v11
	s_nop 1
	v_mov_b32_dpp v11, v10 row_bcast:15 row_mask:0xf bank_mask:0xf
	v_add_f32_e32 v10, v10, v11
	s_nop 1
	v_mov_b32_dpp v11, v10 row_bcast:31 row_mask:0xf bank_mask:0xf
	s_and_saveexec_b64 s[8:9], s[0:1]
	s_cbranch_execz .LBB972_7
; %bb.6:
	v_add_f32_e32 v10, v10, v11
	v_lshrrev_b32_e32 v11, 4, v0
	v_and_b32_e32 v11, 60, v11
	ds_write_b32 v11, v10 offset:32
.LBB972_7:
	s_or_b64 exec, exec, s[8:9]
	v_and_b32_e32 v10, 7, v0
	v_lshlrev_b32_e32 v34, 2, v10
	s_waitcnt lgkmcnt(0)
	s_barrier
	ds_read_b32 v10, v34 offset:32
	s_load_dwordx2 s[28:29], s[4:5], 0x18
	s_waitcnt lgkmcnt(0)
	v_mov_b32_dpp v11, v10 quad_perm:[1,0,3,2] row_mask:0xf bank_mask:0xf
	v_add_f32_e32 v10, v10, v11
	s_nop 1
	v_mov_b32_dpp v11, v10 quad_perm:[2,3,0,1] row_mask:0xf bank_mask:0xf
	v_add_f32_e32 v10, v10, v11
	s_nop 1
	v_mov_b32_dpp v11, v10 row_half_mirror row_mask:0xf bank_mask:0xf
	s_and_saveexec_b64 s[8:9], s[2:3]
	s_cbranch_execz .LBB972_9
; %bb.8:
	v_cvt_f32_u32_e32 v12, s7
	v_add_f32_e32 v10, v10, v11
	v_mov_b32_e32 v14, s17
	v_mov_b32_e32 v15, s16
	v_div_scale_f32 v11, s[24:25], v12, v12, v10
	v_rcp_f32_e32 v13, v11
	v_cndmask_b32_e32 v14, v14, v15, vcc
	s_mov_b32 s7, 0x800000
	v_fma_f32 v15, -v11, v13, 1.0
	v_fmac_f32_e32 v13, v15, v13
	v_div_scale_f32 v15, vcc, v10, v12, v10
	v_mul_f32_e32 v16, v15, v13
	v_fma_f32 v17, -v11, v16, v15
	v_fmac_f32_e32 v16, v17, v13
	v_fma_f32 v11, -v11, v16, v15
	v_div_fmas_f32 v11, v11, v13, v16
	v_div_fixup_f32 v10, v11, v12, v10
	v_add_f32_e32 v10, v14, v10
	v_mul_f32_e32 v11, 0x4b800000, v10
	v_cmp_gt_f32_e32 vcc, s7, v10
	v_cndmask_b32_e32 v10, v10, v11, vcc
	v_rsq_f32_e32 v10, v10
	v_mul_f32_e32 v11, 0x45800000, v10
	v_cndmask_b32_e32 v10, v10, v11, vcc
	v_mov_b32_e32 v11, v10
	;;#ASMSTART
	v_pk_mul_f32 v[12:13], v[18:19], v[10:11]
	;;#ASMEND
	s_waitcnt vmcnt(1)
	v_cvt_f32_u32_sdwa v19, v6 dst_sel:DWORD dst_unused:UNUSED_PAD src0_sel:WORD_1
	v_cvt_f32_u32_sdwa v18, v6 dst_sel:DWORD dst_unused:UNUSED_PAD src0_sel:WORD_0
	;;#ASMSTART
	v_pk_mul_f32 v[14:15], v[22:23], v[10:11]
	;;#ASMEND
	;;#ASMSTART
	v_pk_mul_f32 v[16:17], v[20:21], v[10:11]
	;;#ASMEND
	v_cvt_f32_u32_sdwa v21, v7 dst_sel:DWORD dst_unused:UNUSED_PAD src0_sel:WORD_1
	v_cvt_f32_u32_sdwa v20, v7 dst_sel:DWORD dst_unused:UNUSED_PAD src0_sel:WORD_0
	;;#ASMSTART
	v_pk_mul_f32 v[28:29], v[28:29], v[10:11]
	;;#ASMEND
	;;#ASMSTART
	v_pk_mul_f32 v[24:25], v[24:25], v[10:11]
	;;#ASMEND
	;; [unrolled: 3-line block ×5, first 2 shown]
	v_pk_add_f32 v[10:11], v[18:19], 1.0 op_sel_hi:[1,0]
	;;#ASMSTART
	v_pk_mul_f32 v[18:19], v[12:13], v[10:11]
	;;#ASMEND
	v_cvt_f32_u32_sdwa v13, v8 dst_sel:DWORD dst_unused:UNUSED_PAD src0_sel:WORD_1
	v_cvt_f32_u32_sdwa v12, v8 dst_sel:DWORD dst_unused:UNUSED_PAD src0_sel:WORD_0
	v_cvt_f32_u32_sdwa v27, v9 dst_sel:DWORD dst_unused:UNUSED_PAD src0_sel:WORD_1
	v_cvt_f32_u32_sdwa v26, v9 dst_sel:DWORD dst_unused:UNUSED_PAD src0_sel:WORD_0
	v_pk_add_f32 v[10:11], v[20:21], 1.0 op_sel_hi:[1,0]
	;;#ASMSTART
	v_pk_mul_f32 v[22:23], v[14:15], v[10:11]
	;;#ASMEND
	s_waitcnt vmcnt(0)
	v_cvt_f32_u32_sdwa v11, v2 dst_sel:DWORD dst_unused:UNUSED_PAD src0_sel:WORD_1
	v_cvt_f32_u32_sdwa v10, v2 dst_sel:DWORD dst_unused:UNUSED_PAD src0_sel:WORD_0
	v_pk_add_f32 v[8:9], v[12:13], 1.0 op_sel_hi:[1,0]
	;;#ASMSTART
	v_pk_mul_f32 v[20:21], v[16:17], v[8:9]
	;;#ASMEND
	v_pk_add_f32 v[8:9], v[26:27], 1.0 op_sel_hi:[1,0]
	v_cvt_f32_u32_sdwa v13, v3 dst_sel:DWORD dst_unused:UNUSED_PAD src0_sel:WORD_1
	v_cvt_f32_u32_sdwa v12, v3 dst_sel:DWORD dst_unused:UNUSED_PAD src0_sel:WORD_0
	;;#ASMSTART
	v_pk_mul_f32 v[28:29], v[28:29], v[8:9]
	;;#ASMEND
	v_cvt_f32_u32_sdwa v9, v4 dst_sel:DWORD dst_unused:UNUSED_PAD src0_sel:WORD_1
	v_cvt_f32_u32_sdwa v8, v4 dst_sel:DWORD dst_unused:UNUSED_PAD src0_sel:WORD_0
	v_pk_add_f32 v[2:3], v[10:11], 1.0 op_sel_hi:[1,0]
	v_cvt_f32_u32_sdwa v11, v5 dst_sel:DWORD dst_unused:UNUSED_PAD src0_sel:WORD_1
	v_cvt_f32_u32_sdwa v10, v5 dst_sel:DWORD dst_unused:UNUSED_PAD src0_sel:WORD_0
	;;#ASMSTART
	v_pk_mul_f32 v[24:25], v[24:25], v[2:3]
	;;#ASMEND
	v_pk_add_f32 v[2:3], v[12:13], 1.0 op_sel_hi:[1,0]
	;;#ASMSTART
	v_pk_mul_f32 v[32:33], v[32:33], v[2:3]
	;;#ASMEND
	v_pk_add_f32 v[2:3], v[8:9], 1.0 op_sel_hi:[1,0]
	;; [unrolled: 4-line block ×3, first 2 shown]
	;;#ASMSTART
	v_pk_mul_f32 v[26:27], v[6:7], v[2:3]
	;;#ASMEND
.LBB972_9:
	s_or_b64 exec, exec, s[8:9]
	s_load_dword s7, s[4:5], 0x80
	s_mov_b64 s[8:9], -1
	s_and_b64 vcc, exec, s[14:15]
	s_cbranch_vccnz .LBB972_13
; %bb.10:
	s_andn2_b64 vcc, exec, s[8:9]
	s_cbranch_vccz .LBB972_16
.LBB972_11:
	s_cmp_lt_i32 s20, 1
	s_cbranch_scc0 .LBB972_25
.LBB972_12:
	s_endpgm
.LBB972_13:
	s_and_saveexec_b64 s[14:15], s[2:3]
	s_cbranch_execz .LBB972_15
; %bb.14:
	s_waitcnt lgkmcnt(0)
	s_mul_hi_i32 s9, s7, s6
	s_mul_i32 s8, s7, s6
	s_lshl_b64 s[8:9], s[8:9], 1
	s_add_u32 s8, s28, s8
	s_addc_u32 s9, s29, s9
	s_mov_b32 s16, 0x7060302
	s_and_b32 s9, s9, 0xffff
	s_mov_b32 s11, 0x20000
	s_waitcnt vmcnt(0)
	v_perm_b32 v5, v29, v28, s16
	v_perm_b32 v4, v21, v20, s16
	;; [unrolled: 1-line block ×4, first 2 shown]
	v_lshlrev_b32_e32 v6, 5, v0
	buffer_store_dwordx4 v[2:5], v6, s[8:11], 0 offen
	;;#ASMSTART
	s_nop 0
	;;#ASMEND
	s_nop 0
	v_perm_b32 v5, v27, v26, s16
	v_perm_b32 v4, v31, v30, s16
	;; [unrolled: 1-line block ×4, first 2 shown]
	buffer_store_dwordx4 v[2:5], v6, s[8:11], 16 offen
	;;#ASMSTART
	s_nop 0
	;;#ASMEND
.LBB972_15:
	s_or_b64 exec, exec, s[14:15]
	s_cbranch_execnz .LBB972_11
.LBB972_16:
	s_load_dwordx4 s[24:27], s[4:5], 0x70
	s_waitcnt vmcnt(0)
	v_mov_b32_e32 v2, 0
	s_and_saveexec_b64 s[14:15], s[2:3]
	s_cbranch_execz .LBB972_18
; %bb.17:
	s_load_dwordx2 s[8:9], s[4:5], 0x10
	s_waitcnt lgkmcnt(0)
	s_mul_hi_i32 s35, s27, s6
	s_mul_i32 s34, s27, s6
	s_lshl_b64 s[34:35], s[34:35], 1
	s_mov_b32 s16, 0x7060302
	s_add_u32 s8, s8, s34
	s_addc_u32 s9, s9, s35
	s_mov_b32 s11, 0x20000
	s_and_b32 s9, s9, 0xffff
	v_perm_b32 v5, v29, v28, s16
	v_perm_b32 v4, v21, v20, s16
	;; [unrolled: 1-line block ×4, first 2 shown]
	v_lshlrev_b32_e32 v6, 5, v0
	buffer_store_dwordx4 v[2:5], v6, s[8:11], 0 offen
	;;#ASMSTART
	s_nop 0
	;;#ASMEND
	s_nop 0
	v_perm_b32 v5, v27, v26, s16
	v_perm_b32 v4, v31, v30, s16
	v_perm_b32 v3, v33, v32, s16
	v_perm_b32 v2, v25, v24, s16
	buffer_store_dwordx4 v[2:5], v6, s[8:11], 16 offen
	;;#ASMSTART
	s_nop 0
	;;#ASMEND
	s_nop 0
	v_mov_b32_e32 v2, 0x2edbe6ff
.LBB972_18:
	s_or_b64 exec, exec, s[14:15]
	s_and_saveexec_b64 s[8:9], s[2:3]
	s_cbranch_execz .LBB972_20
; %bb.19:
	v_and_b32_e32 v3, 0x7fffffff, v18
	v_and_b32_e32 v4, 0x7fffffff, v19
	;;#ASMSTART
	v_max3_f32 v2, v2, v3, v4

	;;#ASMEND
	v_and_b32_e32 v3, 0x7fffffff, v22
	v_and_b32_e32 v4, 0x7fffffff, v23
	;;#ASMSTART
	v_max3_f32 v2, v2, v3, v4

	;;#ASMEND
	v_and_b32_e32 v3, 0x7fffffff, v20
	v_and_b32_e32 v4, 0x7fffffff, v21
	;;#ASMSTART
	v_max3_f32 v2, v2, v3, v4

	;;#ASMEND
	v_and_b32_e32 v3, 0x7fffffff, v28
	v_and_b32_e32 v4, 0x7fffffff, v29
	;;#ASMSTART
	v_max3_f32 v2, v2, v3, v4

	;;#ASMEND
	v_and_b32_e32 v3, 0x7fffffff, v24
	v_and_b32_e32 v4, 0x7fffffff, v25
	;;#ASMSTART
	v_max3_f32 v2, v2, v3, v4

	;;#ASMEND
	v_and_b32_e32 v3, 0x7fffffff, v32
	v_and_b32_e32 v4, 0x7fffffff, v33
	;;#ASMSTART
	v_max3_f32 v2, v2, v3, v4

	;;#ASMEND
	v_and_b32_e32 v3, 0x7fffffff, v30
	v_and_b32_e32 v4, 0x7fffffff, v31
	;;#ASMSTART
	v_max3_f32 v2, v2, v3, v4

	;;#ASMEND
	v_and_b32_e32 v3, 0x7fffffff, v26
	v_and_b32_e32 v4, 0x7fffffff, v27
	;;#ASMSTART
	v_max3_f32 v2, v2, v3, v4

	;;#ASMEND
.LBB972_20:
	s_or_b64 exec, exec, s[8:9]
	;;#ASMSTART
	v_max_f32 v3, v2, v2 quad_perm:[1,0,3,2] row_mask:0xf bank_mask:0xf bound_ctrl:1
	;;#ASMEND
	;;#ASMSTART
	v_max_f32 v2, v3, v3 quad_perm:[2,3,0,1] row_mask:0xf bank_mask:0xf bound_ctrl:1
	;;#ASMEND
	v_and_b32_e32 v3, 3, v0
	v_cmp_eq_u32_e32 vcc, 0, v3
	v_cmp_gt_i32_e64 s[8:9], s19, v1
	s_and_b64 s[10:11], vcc, s[8:9]
	s_and_saveexec_b64 s[8:9], s[10:11]
	s_cbranch_execz .LBB972_22
; %bb.21:
	s_load_dwordx2 s[10:11], s[4:5], 0x8
	v_mul_f32_e32 v2, 0x3e2aaaab, v2
	v_lshrrev_b32_e32 v3, 23, v2
	v_and_b32_e32 v4, 0x7f800000, v2
	v_and_b32_e32 v2, 0x7fffff, v2
	v_cmp_ne_u32_e32 vcc, 0, v2
	s_waitcnt lgkmcnt(0)
	s_mul_i32 s16, s25, s6
	s_mov_b32 s14, 0x7f800000
	v_addc_co_u32_e32 v2, vcc, 0, v3, vcc
	s_mul_hi_i32 s15, s25, s6
	s_add_u32 s10, s10, s16
	v_cmp_ne_u32_e32 vcc, s14, v4
	s_addc_u32 s11, s11, s15
	v_lshrrev_b32_e32 v5, 2, v0
	v_cndmask_b32_e32 v4, -1, v2, vcc
	v_pk_mov_b32 v[2:3], s[10:11], s[10:11] op_sel:[0,1]
	v_mad_i64_i32 v[2:3], s[10:11], s26, v5, v[2:3]
	global_store_byte v[2:3], v4, off
.LBB972_22:
	s_or_b64 exec, exec, s[8:9]
	s_and_saveexec_b64 s[8:9], s[2:3]
	s_cbranch_execz .LBB972_24
; %bb.23:
	s_load_dwordx2 s[2:3], s[4:5], 0x0
	s_waitcnt lgkmcnt(0)
	s_mul_i32 s11, s24, s6
	s_mul_hi_i32 s10, s24, s6
	v_mov_b32_e32 v2, 0
	v_lshlrev_b32_e32 v4, 3, v0
	s_add_u32 s24, s2, s11
	s_addc_u32 s2, s3, s10
	s_lshr_b32 s3, s19, 31
	s_add_i32 s3, s19, s3
	s_ashr_i32 s3, s3, 1
	s_add_i32 s3, s3, 3
	s_ashr_i32 s10, s3, 31
	s_lshr_b32 s10, s10, 30
	s_add_i32 s3, s3, s10
	s_and_b32 s26, s3, -4
	s_and_b32 s25, s2, 0xffff
	s_mov_b32 s27, 0x20000
	v_mov_b32_e32 v3, v2
	buffer_store_dwordx2 v[2:3], v4, s[24:27], 0 offen
	;;#ASMSTART
	s_nop 0
	;;#ASMEND
.LBB972_24:
	s_or_b64 exec, exec, s[8:9]
	s_cmp_lt_i32 s20, 1
	s_cbranch_scc1 .LBB972_12
.LBB972_25:
	s_load_dword s2, s[4:5], 0x94
	s_waitcnt lgkmcnt(0)
	s_cmp_lg_u32 s2, 1
	s_cbranch_scc1 .LBB972_12
; %bb.26:
	s_lshl_b32 s2, s20, 1
	s_add_i32 s2, s2, 2
	v_cmp_gt_u32_e32 vcc, s20, v1
	s_and_b32 s14, s2, -4
	v_mov_b32_e32 v18, 0
	v_lshlrev_b32_e32 v1, 5, v0
	v_mov_b32_e32 v14, 0
	v_mov_b32_e32 v15, 0
	v_mov_b32_e32 v16, 0
	v_mov_b32_e32 v17, 0
	v_mov_b32_e32 v10, 0
	v_mov_b32_e32 v11, 0
	v_mov_b32_e32 v12, 0
	v_mov_b32_e32 v13, 0
	s_waitcnt vmcnt(1)
	v_mov_b32_e32 v6, 0
	v_mov_b32_e32 v7, 0
	v_mov_b32_e32 v8, 0
	v_mov_b32_e32 v9, 0
	s_waitcnt vmcnt(0)
	v_mov_b32_e32 v2, 0
	v_mov_b32_e32 v3, 0
	;; [unrolled: 1-line block ×4, first 2 shown]
	s_barrier
	s_and_saveexec_b64 s[2:3], vcc
	s_cbranch_execz .LBB972_28
; %bb.27:
	s_mul_hi_i32 s5, s22, s6
	s_mul_i32 s4, s22, s6
	s_and_b32 s13, s13, 0xffff
	s_lshl_b64 s[4:5], s[4:5], 1
	s_add_u32 s8, s30, s4
	s_mov_b32 s15, 0x20000
	s_addc_u32 s4, s31, s5
	s_and_b32 s9, s4, 0xffff
	s_mov_b32 s10, s14
	s_mov_b32 s11, s15
	buffer_load_dwordx4 v[14:17], v1, s[8:11], 0 offen
	buffer_load_dwordx4 v[10:13], v1, s[8:11], 16 offen
	;; [unrolled: 1-line block ×4, first 2 shown]
.LBB972_28:
	s_or_b64 exec, exec, s[2:3]
	v_mov_b32_e32 v19, 0
	v_mov_b32_e32 v32, 0
	;; [unrolled: 1-line block ×15, first 2 shown]
	s_and_saveexec_b64 s[2:3], vcc
	s_cbranch_execz .LBB972_30
; %bb.29:
	s_waitcnt vmcnt(3)
	v_cvt_f32_u32_sdwa v18, v14 dst_sel:DWORD dst_unused:UNUSED_PAD src0_sel:WORD_0
	v_cvt_f32_u32_sdwa v19, v14 dst_sel:DWORD dst_unused:UNUSED_PAD src0_sel:WORD_1
	v_cvt_f32_u32_sdwa v32, v15 dst_sel:DWORD dst_unused:UNUSED_PAD src0_sel:WORD_0
	v_cvt_f32_u32_sdwa v33, v15 dst_sel:DWORD dst_unused:UNUSED_PAD src0_sel:WORD_1
	;; [unrolled: 2-line block ×4, first 2 shown]
	s_waitcnt vmcnt(2)
	v_cvt_f32_u32_sdwa v26, v10 dst_sel:DWORD dst_unused:UNUSED_PAD src0_sel:WORD_0
	v_cvt_f32_u32_sdwa v27, v10 dst_sel:DWORD dst_unused:UNUSED_PAD src0_sel:WORD_1
	v_cvt_f32_u32_sdwa v24, v11 dst_sel:DWORD dst_unused:UNUSED_PAD src0_sel:WORD_0
	v_cvt_f32_u32_sdwa v25, v11 dst_sel:DWORD dst_unused:UNUSED_PAD src0_sel:WORD_1
	;; [unrolled: 2-line block ×4, first 2 shown]
.LBB972_30:
	s_or_b64 exec, exec, s[2:3]
	s_waitcnt vmcnt(2)
	v_mul_f32_e32 v10, v19, v19
	v_fmac_f32_e32 v10, v18, v18
	v_fmac_f32_e32 v10, v32, v32
	;; [unrolled: 1-line block ×15, first 2 shown]
	s_nop 1
	v_mov_b32_dpp v11, v10 quad_perm:[1,0,3,2] row_mask:0xf bank_mask:0xf
	v_add_f32_e32 v10, v10, v11
	s_nop 1
	v_mov_b32_dpp v11, v10 quad_perm:[2,3,0,1] row_mask:0xf bank_mask:0xf
	v_add_f32_e32 v10, v10, v11
	s_nop 1
	v_mov_b32_dpp v11, v10 row_half_mirror row_mask:0xf bank_mask:0xf
	v_add_f32_e32 v10, v10, v11
	s_nop 1
	v_mov_b32_dpp v11, v10 row_mirror row_mask:0xf bank_mask:0xf
	v_add_f32_e32 v10, v10, v11
	s_nop 1
	v_mov_b32_dpp v11, v10 row_bcast:15 row_mask:0xf bank_mask:0xf
	v_add_f32_e32 v10, v10, v11
	s_nop 1
	v_mov_b32_dpp v11, v10 row_bcast:31 row_mask:0xf bank_mask:0xf
	s_and_saveexec_b64 s[2:3], s[0:1]
	s_cbranch_execz .LBB972_32
; %bb.31:
	v_lshrrev_b32_e32 v0, 4, v0
	v_add_f32_e32 v10, v10, v11
	v_and_b32_e32 v0, 60, v0
	ds_write_b32 v0, v10
.LBB972_32:
	s_or_b64 exec, exec, s[2:3]
	s_waitcnt lgkmcnt(0)
	s_barrier
	ds_read_b32 v0, v34
	s_waitcnt lgkmcnt(0)
	s_nop 0
	v_mov_b32_dpp v10, v0 quad_perm:[1,0,3,2] row_mask:0xf bank_mask:0xf
	v_add_f32_e32 v0, v0, v10
	s_nop 1
	v_mov_b32_dpp v10, v0 quad_perm:[2,3,0,1] row_mask:0xf bank_mask:0xf
	v_add_f32_e32 v0, v0, v10
	s_nop 1
	v_mov_b32_dpp v10, v0 row_half_mirror row_mask:0xf bank_mask:0xf
	s_and_saveexec_b64 s[0:1], vcc
	s_cbranch_execz .LBB972_12
; %bb.33:
	v_cvt_f32_u32_e32 v11, s20
	v_add_f32_e32 v0, v0, v10
	s_mov_b32 s15, 0x20000
	v_div_scale_f32 v10, s[0:1], v11, v11, v0
	v_rcp_f32_e32 v12, v10
	v_div_scale_f32 v13, vcc, v0, v11, v0
	s_mov_b32 s0, 0x800000
	v_fma_f32 v14, -v10, v12, 1.0
	v_fmac_f32_e32 v12, v14, v12
	v_mul_f32_e32 v14, v13, v12
	v_fma_f32 v15, -v10, v14, v13
	v_fmac_f32_e32 v14, v15, v12
	v_fma_f32 v10, -v10, v14, v13
	v_div_fmas_f32 v10, v10, v12, v14
	v_div_fixup_f32 v0, v10, v11, v0
	v_add_f32_e32 v0, s17, v0
	v_mul_f32_e32 v10, 0x4b800000, v0
	v_cmp_gt_f32_e32 vcc, s0, v0
	v_cndmask_b32_e32 v0, v0, v10, vcc
	v_rsq_f32_e32 v0, v0
	s_mul_hi_i32 s1, s7, s6
	s_mul_i32 s0, s7, s6
	s_lshl_b64 s[0:1], s[0:1], 1
	v_mul_f32_e32 v10, 0x45800000, v0
	v_cndmask_b32_e32 v10, v0, v10, vcc
	v_mov_b32_e32 v11, v10
	;;#ASMSTART
	v_pk_mul_f32 v[12:13], v[18:19], v[10:11]
	;;#ASMEND
	;;#ASMSTART
	v_pk_mul_f32 v[14:15], v[32:33], v[10:11]
	;;#ASMEND
	;; [unrolled: 3-line block ×4, first 2 shown]
	s_waitcnt vmcnt(1)
	v_cvt_f32_u32_sdwa v29, v6 dst_sel:DWORD dst_unused:UNUSED_PAD src0_sel:WORD_1
	v_cvt_f32_u32_sdwa v28, v6 dst_sel:DWORD dst_unused:UNUSED_PAD src0_sel:WORD_0
	v_cvt_f32_u32_sdwa v31, v7 dst_sel:DWORD dst_unused:UNUSED_PAD src0_sel:WORD_1
	v_cvt_f32_u32_sdwa v30, v7 dst_sel:DWORD dst_unused:UNUSED_PAD src0_sel:WORD_0
	;;#ASMSTART
	v_pk_mul_f32 v[26:27], v[26:27], v[10:11]
	;;#ASMEND
	;;#ASMSTART
	v_pk_mul_f32 v[24:25], v[24:25], v[10:11]
	;;#ASMEND
	;;#ASMSTART
	v_pk_mul_f32 v[22:23], v[22:23], v[10:11]
	;;#ASMEND
	;;#ASMSTART
	v_pk_mul_f32 v[6:7], v[20:21], v[10:11]
	;;#ASMEND
	v_cvt_f32_u32_sdwa v21, v8 dst_sel:DWORD dst_unused:UNUSED_PAD src0_sel:WORD_1
	v_cvt_f32_u32_sdwa v20, v8 dst_sel:DWORD dst_unused:UNUSED_PAD src0_sel:WORD_0
	v_pk_add_f32 v[10:11], v[28:29], 1.0 op_sel_hi:[1,0]
	;;#ASMSTART
	v_pk_mul_f32 v[10:11], v[12:13], v[10:11]
	;;#ASMEND
	v_pk_add_f32 v[12:13], v[30:31], 1.0 op_sel_hi:[1,0]
	v_cvt_f32_u32_sdwa v29, v9 dst_sel:DWORD dst_unused:UNUSED_PAD src0_sel:WORD_1
	v_cvt_f32_u32_sdwa v28, v9 dst_sel:DWORD dst_unused:UNUSED_PAD src0_sel:WORD_0
	;;#ASMSTART
	v_pk_mul_f32 v[8:9], v[14:15], v[12:13]
	;;#ASMEND
	v_pk_add_f32 v[12:13], v[20:21], 1.0 op_sel_hi:[1,0]
	;;#ASMSTART
	v_pk_mul_f32 v[12:13], v[16:17], v[12:13]
	;;#ASMEND
	s_waitcnt vmcnt(0)
	v_cvt_f32_u32_sdwa v17, v2 dst_sel:DWORD dst_unused:UNUSED_PAD src0_sel:WORD_1
	v_cvt_f32_u32_sdwa v16, v2 dst_sel:DWORD dst_unused:UNUSED_PAD src0_sel:WORD_0
	v_cvt_f32_u32_sdwa v21, v3 dst_sel:DWORD dst_unused:UNUSED_PAD src0_sel:WORD_1
	v_cvt_f32_u32_sdwa v20, v3 dst_sel:DWORD dst_unused:UNUSED_PAD src0_sel:WORD_0
	v_pk_add_f32 v[14:15], v[28:29], 1.0 op_sel_hi:[1,0]
	;;#ASMSTART
	v_pk_mul_f32 v[14:15], v[18:19], v[14:15]
	;;#ASMEND
	v_pk_add_f32 v[2:3], v[16:17], 1.0 op_sel_hi:[1,0]
	v_cvt_f32_u32_sdwa v19, v4 dst_sel:DWORD dst_unused:UNUSED_PAD src0_sel:WORD_1
	v_cvt_f32_u32_sdwa v18, v4 dst_sel:DWORD dst_unused:UNUSED_PAD src0_sel:WORD_0
	;;#ASMSTART
	v_pk_mul_f32 v[16:17], v[26:27], v[2:3]
	;;#ASMEND
	v_pk_add_f32 v[2:3], v[20:21], 1.0 op_sel_hi:[1,0]
	v_cvt_f32_u32_sdwa v21, v5 dst_sel:DWORD dst_unused:UNUSED_PAD src0_sel:WORD_1
	v_cvt_f32_u32_sdwa v20, v5 dst_sel:DWORD dst_unused:UNUSED_PAD src0_sel:WORD_0
	s_add_u32 s12, s28, s0
	;;#ASMSTART
	v_pk_mul_f32 v[24:25], v[24:25], v[2:3]
	;;#ASMEND
	v_pk_add_f32 v[2:3], v[18:19], 1.0 op_sel_hi:[1,0]
	s_addc_u32 s0, s29, s1
	;;#ASMSTART
	v_pk_mul_f32 v[18:19], v[22:23], v[2:3]
	;;#ASMEND
	v_pk_add_f32 v[2:3], v[20:21], 1.0 op_sel_hi:[1,0]
	s_and_b32 s13, s0, 0xffff
	s_mov_b32 s0, 0x7060302
	;;#ASMSTART
	v_pk_mul_f32 v[6:7], v[6:7], v[2:3]
	;;#ASMEND
	v_perm_b32 v2, v11, v10, s0
	v_perm_b32 v3, v9, v8, s0
	v_perm_b32 v4, v13, v12, s0
	v_perm_b32 v5, v15, v14, s0
	buffer_store_dwordx4 v[2:5], v1, s[12:15], 0 offen
	;;#ASMSTART
	s_nop 0
	;;#ASMEND
	s_nop 0
	v_perm_b32 v2, v17, v16, s0
	v_perm_b32 v3, v25, v24, s0
	;; [unrolled: 1-line block ×4, first 2 shown]
	buffer_store_dwordx4 v[2:5], v1, s[12:15], 16 offen
	;;#ASMSTART
	s_nop 0
	;;#ASMEND
	s_endpgm
	.section	.rodata,"a",@progbits
	.p2align	6, 0x0
	.amdhsa_kernel _ZN5aiter35fused_qk_rmsnorm_group_quant_kernelItN4opus5fp4_tELi512ELi16ELi4ELb0ELb1ELb1ELb0ELb0ELb0EEEvPT0_PvPT_S7_S7_PKS6_S9_S9_S9_S9_ffiiiiiiiiiiiii
		.amdhsa_group_segment_fixed_size 64
		.amdhsa_private_segment_fixed_size 0
		.amdhsa_kernarg_size 400
		.amdhsa_user_sgpr_count 6
		.amdhsa_user_sgpr_private_segment_buffer 1
		.amdhsa_user_sgpr_dispatch_ptr 0
		.amdhsa_user_sgpr_queue_ptr 0
		.amdhsa_user_sgpr_kernarg_segment_ptr 1
		.amdhsa_user_sgpr_dispatch_id 0
		.amdhsa_user_sgpr_flat_scratch_init 0
		.amdhsa_user_sgpr_kernarg_preload_length 0
		.amdhsa_user_sgpr_kernarg_preload_offset 0
		.amdhsa_user_sgpr_private_segment_size 0
		.amdhsa_uses_dynamic_stack 0
		.amdhsa_system_sgpr_private_segment_wavefront_offset 0
		.amdhsa_system_sgpr_workgroup_id_x 1
		.amdhsa_system_sgpr_workgroup_id_y 1
		.amdhsa_system_sgpr_workgroup_id_z 0
		.amdhsa_system_sgpr_workgroup_info 0
		.amdhsa_system_vgpr_workitem_id 0
		.amdhsa_next_free_vgpr 35
		.amdhsa_next_free_sgpr 36
		.amdhsa_accum_offset 36
		.amdhsa_reserve_vcc 1
		.amdhsa_reserve_flat_scratch 0
		.amdhsa_float_round_mode_32 0
		.amdhsa_float_round_mode_16_64 0
		.amdhsa_float_denorm_mode_32 3
		.amdhsa_float_denorm_mode_16_64 3
		.amdhsa_dx10_clamp 1
		.amdhsa_ieee_mode 1
		.amdhsa_fp16_overflow 0
		.amdhsa_tg_split 0
		.amdhsa_exception_fp_ieee_invalid_op 0
		.amdhsa_exception_fp_denorm_src 0
		.amdhsa_exception_fp_ieee_div_zero 0
		.amdhsa_exception_fp_ieee_overflow 0
		.amdhsa_exception_fp_ieee_underflow 0
		.amdhsa_exception_fp_ieee_inexact 0
		.amdhsa_exception_int_div_zero 0
	.end_amdhsa_kernel
	.section	.text._ZN5aiter35fused_qk_rmsnorm_group_quant_kernelItN4opus5fp4_tELi512ELi16ELi4ELb0ELb1ELb1ELb0ELb0ELb0EEEvPT0_PvPT_S7_S7_PKS6_S9_S9_S9_S9_ffiiiiiiiiiiiii,"axG",@progbits,_ZN5aiter35fused_qk_rmsnorm_group_quant_kernelItN4opus5fp4_tELi512ELi16ELi4ELb0ELb1ELb1ELb0ELb0ELb0EEEvPT0_PvPT_S7_S7_PKS6_S9_S9_S9_S9_ffiiiiiiiiiiiii,comdat
.Lfunc_end972:
	.size	_ZN5aiter35fused_qk_rmsnorm_group_quant_kernelItN4opus5fp4_tELi512ELi16ELi4ELb0ELb1ELb1ELb0ELb0ELb0EEEvPT0_PvPT_S7_S7_PKS6_S9_S9_S9_S9_ffiiiiiiiiiiiii, .Lfunc_end972-_ZN5aiter35fused_qk_rmsnorm_group_quant_kernelItN4opus5fp4_tELi512ELi16ELi4ELb0ELb1ELb1ELb0ELb0ELb0EEEvPT0_PvPT_S7_S7_PKS6_S9_S9_S9_S9_ffiiiiiiiiiiiii
                                        ; -- End function
	.section	.AMDGPU.csdata,"",@progbits
; Kernel info:
; codeLenInByte = 3472
; NumSgprs: 40
; NumVgprs: 35
; NumAgprs: 0
; TotalNumVgprs: 35
; ScratchSize: 0
; MemoryBound: 0
; FloatMode: 240
; IeeeMode: 1
; LDSByteSize: 64 bytes/workgroup (compile time only)
; SGPRBlocks: 4
; VGPRBlocks: 4
; NumSGPRsForWavesPerEU: 40
; NumVGPRsForWavesPerEU: 35
; AccumOffset: 36
; Occupancy: 8
; WaveLimiterHint : 0
; COMPUTE_PGM_RSRC2:SCRATCH_EN: 0
; COMPUTE_PGM_RSRC2:USER_SGPR: 6
; COMPUTE_PGM_RSRC2:TRAP_HANDLER: 0
; COMPUTE_PGM_RSRC2:TGID_X_EN: 1
; COMPUTE_PGM_RSRC2:TGID_Y_EN: 1
; COMPUTE_PGM_RSRC2:TGID_Z_EN: 0
; COMPUTE_PGM_RSRC2:TIDIG_COMP_CNT: 0
; COMPUTE_PGM_RSRC3_GFX90A:ACCUM_OFFSET: 8
; COMPUTE_PGM_RSRC3_GFX90A:TG_SPLIT: 0
	.section	.text._ZN5aiter35fused_qk_rmsnorm_group_quant_kernelIDF16_DB8_Li512ELi16ELi4ELb0ELb1ELb0ELb0ELb0ELb0EEEvPT0_PvPT_S6_S6_PKS5_S8_S8_S8_S8_ffiiiiiiiiiiiii,"axG",@progbits,_ZN5aiter35fused_qk_rmsnorm_group_quant_kernelIDF16_DB8_Li512ELi16ELi4ELb0ELb1ELb0ELb0ELb0ELb0EEEvPT0_PvPT_S6_S6_PKS5_S8_S8_S8_S8_ffiiiiiiiiiiiii,comdat
	.protected	_ZN5aiter35fused_qk_rmsnorm_group_quant_kernelIDF16_DB8_Li512ELi16ELi4ELb0ELb1ELb0ELb0ELb0ELb0EEEvPT0_PvPT_S6_S6_PKS5_S8_S8_S8_S8_ffiiiiiiiiiiiii ; -- Begin function _ZN5aiter35fused_qk_rmsnorm_group_quant_kernelIDF16_DB8_Li512ELi16ELi4ELb0ELb1ELb0ELb0ELb0ELb0EEEvPT0_PvPT_S6_S6_PKS5_S8_S8_S8_S8_ffiiiiiiiiiiiii
	.globl	_ZN5aiter35fused_qk_rmsnorm_group_quant_kernelIDF16_DB8_Li512ELi16ELi4ELb0ELb1ELb0ELb0ELb0ELb0EEEvPT0_PvPT_S6_S6_PKS5_S8_S8_S8_S8_ffiiiiiiiiiiiii
	.p2align	8
	.type	_ZN5aiter35fused_qk_rmsnorm_group_quant_kernelIDF16_DB8_Li512ELi16ELi4ELb0ELb1ELb0ELb0ELb0ELb0EEEvPT0_PvPT_S6_S6_PKS5_S8_S8_S8_S8_ffiiiiiiiiiiiii,@function
_ZN5aiter35fused_qk_rmsnorm_group_quant_kernelIDF16_DB8_Li512ELi16ELi4ELb0ELb1ELb0ELb0ELb0ELb0EEEvPT0_PvPT_S6_S6_PKS5_S8_S8_S8_S8_ffiiiiiiiiiiiii: ; @_ZN5aiter35fused_qk_rmsnorm_group_quant_kernelIDF16_DB8_Li512ELi16ELi4ELb0ELb1ELb0ELb0ELb0ELb0EEEvPT0_PvPT_S6_S6_PKS5_S8_S8_S8_S8_ffiiiiiiiiiiiii
; %bb.0:
	s_load_dwordx4 s[16:19], s[4:5], 0x50
	s_waitcnt lgkmcnt(0)
	s_cmp_ge_i32 s6, s18
	s_cbranch_scc1 .LBB973_12
; %bb.1:
	s_load_dwordx2 s[12:13], s[4:5], 0x48
	s_load_dwordx2 s[30:31], s[4:5], 0x30
	s_load_dwordx4 s[20:23], s[4:5], 0x60
	s_cmp_lg_u32 s7, 0
	s_cselect_b64 s[14:15], -1, 0
	s_cmp_eq_u32 s7, 0
	s_cselect_b64 vcc, -1, 0
	s_and_b64 s[0:1], vcc, exec
	s_waitcnt lgkmcnt(0)
	s_cselect_b32 s7, s19, s20
	s_add_i32 s0, s7, 1
	s_lshr_b32 s1, s0, 31
	s_add_i32 s0, s0, s1
	s_lshl_b32 s0, s0, 1
	v_lshlrev_b32_e32 v1, 4, v0
	s_and_b32 s10, s0, -4
	v_cmp_gt_i32_e64 s[2:3], s7, v1
	v_mov_b32_e32 v18, 0
	v_mov_b32_e32 v6, 0
	;; [unrolled: 1-line block ×17, first 2 shown]
	s_and_saveexec_b64 s[0:1], s[2:3]
	s_cbranch_execz .LBB973_3
; %bb.2:
	s_load_dwordx2 s[8:9], s[4:5], 0x28
	s_load_dwordx2 s[26:27], s[4:5], 0x40
	s_and_b64 s[24:25], vcc, exec
	s_cselect_b32 s11, s21, s22
	v_lshlrev_b32_e32 v19, 5, v0
	s_waitcnt lgkmcnt(0)
	s_cselect_b32 s18, s9, s31
	s_cselect_b32 s21, s8, s30
	s_mul_hi_i32 s9, s11, s6
	s_mul_i32 s8, s11, s6
	s_lshl_b64 s[8:9], s[8:9], 1
	s_add_u32 s24, s21, s8
	s_addc_u32 s18, s18, s9
	s_and_b64 s[8:9], vcc, exec
	s_mov_b32 s11, 0x20000
	s_cselect_b32 s8, s26, s12
	s_cselect_b32 s9, s27, s13
	s_and_b32 s25, s18, 0xffff
	s_mov_b32 s26, s10
	s_mov_b32 s27, s11
	s_and_b32 s9, s9, 0xffff
	buffer_load_dwordx4 v[14:17], v19, s[24:27], 0 offen
	buffer_load_dwordx4 v[10:13], v19, s[24:27], 16 offen
	;; [unrolled: 1-line block ×4, first 2 shown]
.LBB973_3:
	s_or_b64 exec, exec, s[0:1]
	v_mov_b32_e32 v19, 0
	v_mov_b32_e32 v32, 0
	;; [unrolled: 1-line block ×15, first 2 shown]
	s_and_saveexec_b64 s[0:1], s[2:3]
	s_cbranch_execz .LBB973_5
; %bb.4:
	s_waitcnt vmcnt(3)
	v_cvt_f32_f16_sdwa v19, v14 dst_sel:DWORD dst_unused:UNUSED_PAD src0_sel:WORD_1
	v_cvt_f32_f16_e32 v18, v14
	v_cvt_f32_f16_sdwa v33, v15 dst_sel:DWORD dst_unused:UNUSED_PAD src0_sel:WORD_1
	v_cvt_f32_f16_e32 v32, v15
	;; [unrolled: 2-line block ×4, first 2 shown]
	s_waitcnt vmcnt(2)
	v_cvt_f32_f16_sdwa v31, v10 dst_sel:DWORD dst_unused:UNUSED_PAD src0_sel:WORD_1
	v_cvt_f32_f16_e32 v30, v10
	v_cvt_f32_f16_sdwa v29, v11 dst_sel:DWORD dst_unused:UNUSED_PAD src0_sel:WORD_1
	v_cvt_f32_f16_e32 v28, v11
	;; [unrolled: 2-line block ×4, first 2 shown]
.LBB973_5:
	s_or_b64 exec, exec, s[0:1]
	s_waitcnt vmcnt(2)
	v_mul_f32_e32 v10, v19, v19
	v_fmac_f32_e32 v10, v18, v18
	v_fmac_f32_e32 v10, v32, v32
	;; [unrolled: 1-line block ×15, first 2 shown]
	v_and_b32_e32 v12, 63, v0
	v_cmp_eq_u32_e64 s[0:1], 63, v12
	v_mov_b32_dpp v11, v10 quad_perm:[1,0,3,2] row_mask:0xf bank_mask:0xf
	v_add_f32_e32 v10, v10, v11
	s_nop 1
	v_mov_b32_dpp v11, v10 quad_perm:[2,3,0,1] row_mask:0xf bank_mask:0xf
	v_add_f32_e32 v10, v10, v11
	s_nop 1
	v_mov_b32_dpp v11, v10 row_half_mirror row_mask:0xf bank_mask:0xf
	v_add_f32_e32 v10, v10, v11
	s_nop 1
	v_mov_b32_dpp v11, v10 row_mirror row_mask:0xf bank_mask:0xf
	v_add_f32_e32 v10, v10, v11
	s_nop 1
	v_mov_b32_dpp v11, v10 row_bcast:15 row_mask:0xf bank_mask:0xf
	v_add_f32_e32 v10, v10, v11
	s_nop 1
	v_mov_b32_dpp v11, v10 row_bcast:31 row_mask:0xf bank_mask:0xf
	s_and_saveexec_b64 s[8:9], s[0:1]
	s_cbranch_execz .LBB973_7
; %bb.6:
	v_add_f32_e32 v10, v10, v11
	v_lshrrev_b32_e32 v11, 4, v0
	v_and_b32_e32 v11, 60, v11
	ds_write_b32 v11, v10 offset:32
.LBB973_7:
	s_or_b64 exec, exec, s[8:9]
	v_and_b32_e32 v10, 7, v0
	v_lshlrev_b32_e32 v34, 2, v10
	s_waitcnt lgkmcnt(0)
	s_barrier
	ds_read_b32 v10, v34 offset:32
	s_load_dwordx2 s[28:29], s[4:5], 0x18
	s_waitcnt lgkmcnt(0)
	v_mov_b32_dpp v11, v10 quad_perm:[1,0,3,2] row_mask:0xf bank_mask:0xf
	v_add_f32_e32 v10, v10, v11
	s_nop 1
	v_mov_b32_dpp v11, v10 quad_perm:[2,3,0,1] row_mask:0xf bank_mask:0xf
	v_add_f32_e32 v10, v10, v11
	s_nop 1
	v_mov_b32_dpp v11, v10 row_half_mirror row_mask:0xf bank_mask:0xf
	s_and_saveexec_b64 s[8:9], s[2:3]
	s_cbranch_execz .LBB973_9
; %bb.8:
	v_cvt_f32_u32_e32 v12, s7
	v_add_f32_e32 v10, v10, v11
	v_mov_b32_e32 v14, s17
	v_mov_b32_e32 v15, s16
	v_div_scale_f32 v11, s[24:25], v12, v12, v10
	v_rcp_f32_e32 v13, v11
	v_cndmask_b32_e32 v14, v14, v15, vcc
	s_mov_b32 s7, 0x800000
	s_waitcnt vmcnt(1)
	v_cvt_f32_f16_sdwa v37, v9 dst_sel:DWORD dst_unused:UNUSED_PAD src0_sel:WORD_1
	v_fma_f32 v15, -v11, v13, 1.0
	v_fmac_f32_e32 v13, v15, v13
	v_div_scale_f32 v15, vcc, v10, v12, v10
	v_mul_f32_e32 v16, v15, v13
	v_fma_f32 v17, -v11, v16, v15
	v_fmac_f32_e32 v16, v17, v13
	v_fma_f32 v11, -v11, v16, v15
	v_div_fmas_f32 v11, v11, v13, v16
	v_div_fixup_f32 v10, v11, v12, v10
	v_add_f32_e32 v10, v14, v10
	v_mul_f32_e32 v11, 0x4b800000, v10
	v_cmp_gt_f32_e32 vcc, s7, v10
	v_cndmask_b32_e32 v10, v10, v11, vcc
	v_rsq_f32_e32 v10, v10
	v_cvt_f32_f16_e32 v36, v9
	s_waitcnt vmcnt(0)
	v_cvt_f32_f16_sdwa v9, v3 dst_sel:DWORD dst_unused:UNUSED_PAD src0_sel:WORD_1
	v_mul_f32_e32 v11, 0x45800000, v10
	v_cndmask_b32_e32 v10, v10, v11, vcc
	v_mov_b32_e32 v11, v10
	;;#ASMSTART
	v_pk_mul_f32 v[12:13], v[18:19], v[10:11]
	;;#ASMEND
	;;#ASMSTART
	v_pk_mul_f32 v[14:15], v[32:33], v[10:11]
	;;#ASMEND
	;;#ASMSTART
	v_pk_mul_f32 v[16:17], v[26:27], v[10:11]
	;;#ASMEND
	;;#ASMSTART
	v_pk_mul_f32 v[24:25], v[24:25], v[10:11]
	;;#ASMEND
	;;#ASMSTART
	v_pk_mul_f32 v[30:31], v[30:31], v[10:11]
	;;#ASMEND
	;;#ASMSTART
	v_pk_mul_f32 v[28:29], v[28:29], v[10:11]
	;;#ASMEND
	;;#ASMSTART
	v_pk_mul_f32 v[22:23], v[22:23], v[10:11]
	;;#ASMEND
	;;#ASMSTART
	v_pk_mul_f32 v[10:11], v[20:21], v[10:11]
	;;#ASMEND
	v_cvt_f32_f16_sdwa v19, v6 dst_sel:DWORD dst_unused:UNUSED_PAD src0_sel:WORD_1
	v_cvt_f32_f16_e32 v18, v6
	v_cvt_f32_f16_sdwa v21, v7 dst_sel:DWORD dst_unused:UNUSED_PAD src0_sel:WORD_1
	v_cvt_f32_f16_e32 v20, v7
	;; [unrolled: 2-line block ×3, first 2 shown]
	;;#ASMSTART
	v_pk_mul_f32 v[18:19], v[12:13], v[18:19]
	;;#ASMEND
	;;#ASMSTART
	v_pk_mul_f32 v[32:33], v[14:15], v[20:21]
	;;#ASMEND
	;; [unrolled: 3-line block ×4, first 2 shown]
	v_cvt_f32_f16_sdwa v7, v2 dst_sel:DWORD dst_unused:UNUSED_PAD src0_sel:WORD_1
	v_cvt_f32_f16_e32 v6, v2
	v_cvt_f32_f16_e32 v8, v3
	v_cvt_f32_f16_sdwa v3, v4 dst_sel:DWORD dst_unused:UNUSED_PAD src0_sel:WORD_1
	v_cvt_f32_f16_e32 v2, v4
	v_cvt_f32_f16_sdwa v13, v5 dst_sel:DWORD dst_unused:UNUSED_PAD src0_sel:WORD_1
	v_cvt_f32_f16_e32 v12, v5
	;;#ASMSTART
	v_pk_mul_f32 v[30:31], v[30:31], v[6:7]
	;;#ASMEND
	;;#ASMSTART
	v_pk_mul_f32 v[28:29], v[28:29], v[8:9]
	;;#ASMEND
	;; [unrolled: 3-line block ×4, first 2 shown]
.LBB973_9:
	s_or_b64 exec, exec, s[8:9]
	s_load_dword s7, s[4:5], 0x80
	s_mov_b64 s[8:9], -1
	s_and_b64 vcc, exec, s[14:15]
	s_cbranch_vccnz .LBB973_13
; %bb.10:
	s_andn2_b64 vcc, exec, s[8:9]
	s_cbranch_vccz .LBB973_16
.LBB973_11:
	s_cmp_lt_i32 s20, 1
	s_cbranch_scc0 .LBB973_25
.LBB973_12:
	s_endpgm
.LBB973_13:
	s_and_saveexec_b64 s[14:15], s[2:3]
	s_cbranch_execz .LBB973_15
; %bb.14:
	s_waitcnt lgkmcnt(0)
	s_mul_hi_i32 s9, s7, s6
	s_mul_i32 s8, s7, s6
	s_waitcnt vmcnt(0)
	v_cvt_f16_f32_e32 v2, v18
	v_cvt_f16_f32_e32 v3, v32
	;; [unrolled: 1-line block ×8, first 2 shown]
	s_lshl_b64 s[8:9], s[8:9], 1
	s_add_u32 s8, s28, s8
	s_addc_u32 s9, s29, s9
	s_and_b32 s9, s9, 0xffff
	s_mov_b32 s11, 0x20000
	v_pack_b32_f16 v5, v5, v6
	v_pack_b32_f16 v4, v4, v7
	;; [unrolled: 1-line block ×4, first 2 shown]
	v_lshlrev_b32_e32 v6, 5, v0
	buffer_store_dwordx4 v[2:5], v6, s[8:11], 0 offen
	v_cvt_f16_f32_e32 v7, v21
	v_cvt_f16_f32_e32 v2, v30
	;; [unrolled: 1-line block ×8, first 2 shown]
	v_pack_b32_f16 v5, v5, v7
	v_pack_b32_f16 v4, v4, v8
	;; [unrolled: 1-line block ×4, first 2 shown]
	;;#ASMSTART
	s_nop 0
	;;#ASMEND
	buffer_store_dwordx4 v[2:5], v6, s[8:11], 16 offen
	;;#ASMSTART
	s_nop 0
	;;#ASMEND
.LBB973_15:
	s_or_b64 exec, exec, s[14:15]
	s_cbranch_execnz .LBB973_11
.LBB973_16:
	s_load_dwordx4 s[24:27], s[4:5], 0x70
	s_waitcnt vmcnt(0)
	v_mov_b32_e32 v2, 0
	s_and_saveexec_b64 s[14:15], s[2:3]
	s_cbranch_execz .LBB973_18
; %bb.17:
	s_load_dwordx2 s[8:9], s[4:5], 0x10
	s_waitcnt lgkmcnt(0)
	s_mul_hi_i32 s35, s27, s6
	s_mul_i32 s34, s27, s6
	v_cvt_f16_f32_e32 v2, v18
	v_cvt_f16_f32_e32 v3, v32
	;; [unrolled: 1-line block ×8, first 2 shown]
	s_lshl_b64 s[34:35], s[34:35], 1
	s_add_u32 s8, s8, s34
	s_addc_u32 s9, s9, s35
	s_mov_b32 s11, 0x20000
	s_and_b32 s9, s9, 0xffff
	v_pack_b32_f16 v5, v5, v6
	v_pack_b32_f16 v4, v4, v7
	v_pack_b32_f16 v3, v3, v8
	v_pack_b32_f16 v2, v2, v9
	v_lshlrev_b32_e32 v6, 5, v0
	buffer_store_dwordx4 v[2:5], v6, s[8:11], 0 offen
	v_cvt_f16_f32_e32 v7, v21
	v_cvt_f16_f32_e32 v2, v30
	;; [unrolled: 1-line block ×8, first 2 shown]
	v_pack_b32_f16 v5, v5, v7
	v_pack_b32_f16 v4, v4, v8
	;; [unrolled: 1-line block ×4, first 2 shown]
	;;#ASMSTART
	s_nop 0
	;;#ASMEND
	buffer_store_dwordx4 v[2:5], v6, s[8:11], 16 offen
	;;#ASMSTART
	s_nop 0
	;;#ASMEND
	s_nop 0
	v_mov_b32_e32 v2, 0x2edbe6ff
.LBB973_18:
	s_or_b64 exec, exec, s[14:15]
	s_and_saveexec_b64 s[8:9], s[2:3]
	s_cbranch_execz .LBB973_20
; %bb.19:
	v_and_b32_e32 v3, 0x7fffffff, v18
	v_and_b32_e32 v4, 0x7fffffff, v19
	;;#ASMSTART
	v_max3_f32 v2, v2, v3, v4

	;;#ASMEND
	v_and_b32_e32 v3, 0x7fffffff, v32
	v_and_b32_e32 v4, 0x7fffffff, v33
	;;#ASMSTART
	v_max3_f32 v2, v2, v3, v4

	;;#ASMEND
	;; [unrolled: 6-line block ×8, first 2 shown]
.LBB973_20:
	s_or_b64 exec, exec, s[8:9]
	;;#ASMSTART
	v_max_f32 v3, v2, v2 quad_perm:[1,0,3,2] row_mask:0xf bank_mask:0xf bound_ctrl:1
	;;#ASMEND
	;;#ASMSTART
	v_max_f32 v2, v3, v3 quad_perm:[2,3,0,1] row_mask:0xf bank_mask:0xf bound_ctrl:1
	;;#ASMEND
	v_and_b32_e32 v3, 3, v0
	v_cmp_eq_u32_e32 vcc, 0, v3
	v_cmp_gt_i32_e64 s[8:9], s19, v1
	v_mul_f32_e32 v2, 0x3b124925, v2
	s_and_b64 s[10:11], vcc, s[8:9]
	s_and_saveexec_b64 s[8:9], s[10:11]
	s_cbranch_execz .LBB973_22
; %bb.21:
	s_load_dwordx2 s[10:11], s[4:5], 0x8
	s_waitcnt lgkmcnt(0)
	s_mul_hi_i32 s15, s25, s6
	s_mul_i32 s14, s25, s6
	v_lshrrev_b32_e32 v3, 2, v0
	s_lshl_b64 s[14:15], s[14:15], 2
	v_mad_i64_i32 v[4:5], s[26:27], s26, v3, 0
	s_add_u32 s10, s10, s14
	s_addc_u32 s11, s11, s15
	v_lshlrev_b64 v[4:5], 2, v[4:5]
	v_mov_b32_e32 v3, s11
	v_add_co_u32_e32 v4, vcc, s10, v4
	v_addc_co_u32_e32 v5, vcc, v3, v5, vcc
	global_store_dword v[4:5], v2, off
.LBB973_22:
	s_or_b64 exec, exec, s[8:9]
	;;#ASMSTART
	v_rcp_f32 v2, v2
	;;#ASMEND
	s_and_saveexec_b64 s[14:15], s[2:3]
	s_cbranch_execz .LBB973_24
; %bb.23:
	s_load_dwordx2 s[2:3], s[4:5], 0x0
	s_waitcnt lgkmcnt(0)
	s_mul_i32 s8, s24, s6
	s_mul_hi_i32 s9, s24, s6
	v_mov_b32_e32 v3, v2
	;;#ASMSTART
	v_pk_mul_f32 v[4:5], v[18:19], v[2:3]
	;;#ASMEND
	s_add_u32 s8, s2, s8
	s_addc_u32 s2, s3, s9
	s_add_i32 s3, s19, 3
	s_ashr_i32 s10, s3, 31
	v_mov_b32_e32 v10, 0xc3e00000
	v_mov_b32_e32 v11, 0x43e00000
	;;#ASMSTART
	v_med3_f32 v4, v4, v10, v11
v_med3_f32 v5, v5, v10, v11
v_cvt_pk_fp8_f32 v6, v4, v5
	;;#ASMEND
	s_and_b32 s9, s2, 0xffff
	s_lshr_b32 s2, s10, 30
	;;#ASMSTART
	v_pk_mul_f32 v[4:5], v[32:33], v[2:3]
	;;#ASMEND
	s_add_i32 s3, s3, s2
	;;#ASMSTART
	v_med3_f32 v4, v4, v10, v11
v_med3_f32 v5, v5, v10, v11
v_cvt_pk_fp8_f32 v7, v4, v5
	;;#ASMEND
	s_mov_b32 s2, 0x5040100
	v_perm_b32 v4, v7, v6, s2
	s_mov_b32 s2, 0x1060504
	v_perm_b32 v4, v4, v7, s2
	;;#ASMSTART
	v_pk_mul_f32 v[6:7], v[26:27], v[2:3]
	;;#ASMEND
	v_mov_b32_e32 v5, v7
	;;#ASMSTART
	v_med3_f32 v6, v6, v10, v11
v_med3_f32 v5, v5, v10, v11
v_cvt_pk_fp8_f32 v8, v6, v5
	;;#ASMEND
	;;#ASMSTART
	v_pk_mul_f32 v[6:7], v[24:25], v[2:3]
	;;#ASMEND
	v_mov_b32_e32 v5, v7
	;;#ASMSTART
	v_med3_f32 v6, v6, v10, v11
v_med3_f32 v5, v5, v10, v11
v_cvt_pk_fp8_f32 v7, v6, v5
	;;#ASMEND
	s_mov_b32 s2, 0x1000504
	v_perm_b32 v5, v8, v7, s2
	;;#ASMSTART
	v_pk_mul_f32 v[6:7], v[30:31], v[2:3]
	;;#ASMEND
	;;#ASMSTART
	v_med3_f32 v6, v6, v10, v11
v_med3_f32 v7, v7, v10, v11
v_cvt_pk_fp8_f32 v8, v6, v7
	;;#ASMEND
	;;#ASMSTART
	v_pk_mul_f32 v[6:7], v[28:29], v[2:3]
	;;#ASMEND
	;;#ASMSTART
	v_med3_f32 v6, v6, v10, v11
v_med3_f32 v7, v7, v10, v11
v_cvt_pk_fp8_f32 v9, v6, v7
	;;#ASMEND
	v_perm_b32 v6, v8, v9, s2
	;;#ASMSTART
	v_pk_mul_f32 v[8:9], v[22:23], v[2:3]
	;;#ASMEND
	v_mov_b32_e32 v7, v9
	;;#ASMSTART
	v_med3_f32 v8, v8, v10, v11
v_med3_f32 v7, v7, v10, v11
v_cvt_pk_fp8_f32 v9, v8, v7
	;;#ASMEND
	;;#ASMSTART
	v_pk_mul_f32 v[2:3], v[20:21], v[2:3]
	;;#ASMEND
	;;#ASMSTART
	v_med3_f32 v2, v2, v10, v11
v_med3_f32 v3, v3, v10, v11
v_cvt_pk_fp8_f32 v7, v2, v3
	;;#ASMEND
	s_and_b32 s10, s3, -4
	s_mov_b32 s11, 0x20000
	v_perm_b32 v7, v9, v7, s2
	buffer_store_dwordx4 v[4:7], v1, s[8:11], 0 offen
	;;#ASMSTART
	s_nop 0
	;;#ASMEND
.LBB973_24:
	s_or_b64 exec, exec, s[14:15]
	s_cmp_lt_i32 s20, 1
	s_cbranch_scc1 .LBB973_12
.LBB973_25:
	s_load_dword s2, s[4:5], 0x94
	s_waitcnt lgkmcnt(0)
	s_cmp_lg_u32 s2, 1
	s_cbranch_scc1 .LBB973_12
; %bb.26:
	s_lshl_b32 s2, s20, 1
	s_add_i32 s2, s2, 2
	v_cmp_gt_u32_e32 vcc, s20, v1
	s_and_b32 s14, s2, -4
	v_mov_b32_e32 v18, 0
	v_lshlrev_b32_e32 v1, 5, v0
	v_mov_b32_e32 v14, 0
	v_mov_b32_e32 v15, 0
	;; [unrolled: 1-line block ×8, first 2 shown]
	s_waitcnt vmcnt(1)
	v_mov_b32_e32 v6, 0
	v_mov_b32_e32 v7, 0
	;; [unrolled: 1-line block ×4, first 2 shown]
	s_waitcnt vmcnt(0)
	v_mov_b32_e32 v2, 0
	v_mov_b32_e32 v3, 0
	;; [unrolled: 1-line block ×4, first 2 shown]
	s_barrier
	s_and_saveexec_b64 s[2:3], vcc
	s_cbranch_execz .LBB973_28
; %bb.27:
	s_mul_hi_i32 s5, s22, s6
	s_mul_i32 s4, s22, s6
	s_and_b32 s13, s13, 0xffff
	s_lshl_b64 s[4:5], s[4:5], 1
	s_add_u32 s8, s30, s4
	s_mov_b32 s15, 0x20000
	s_addc_u32 s4, s31, s5
	s_and_b32 s9, s4, 0xffff
	s_mov_b32 s10, s14
	s_mov_b32 s11, s15
	buffer_load_dwordx4 v[14:17], v1, s[8:11], 0 offen
	buffer_load_dwordx4 v[10:13], v1, s[8:11], 16 offen
	;; [unrolled: 1-line block ×4, first 2 shown]
.LBB973_28:
	s_or_b64 exec, exec, s[2:3]
	v_mov_b32_e32 v19, 0
	v_mov_b32_e32 v32, 0
	;; [unrolled: 1-line block ×15, first 2 shown]
	s_and_saveexec_b64 s[2:3], vcc
	s_cbranch_execz .LBB973_30
; %bb.29:
	s_waitcnt vmcnt(3)
	v_cvt_f32_f16_sdwa v19, v14 dst_sel:DWORD dst_unused:UNUSED_PAD src0_sel:WORD_1
	v_cvt_f32_f16_e32 v18, v14
	v_cvt_f32_f16_sdwa v33, v15 dst_sel:DWORD dst_unused:UNUSED_PAD src0_sel:WORD_1
	v_cvt_f32_f16_e32 v32, v15
	;; [unrolled: 2-line block ×4, first 2 shown]
	s_waitcnt vmcnt(2)
	v_cvt_f32_f16_sdwa v27, v10 dst_sel:DWORD dst_unused:UNUSED_PAD src0_sel:WORD_1
	v_cvt_f32_f16_e32 v26, v10
	v_cvt_f32_f16_sdwa v25, v11 dst_sel:DWORD dst_unused:UNUSED_PAD src0_sel:WORD_1
	v_cvt_f32_f16_e32 v24, v11
	;; [unrolled: 2-line block ×4, first 2 shown]
.LBB973_30:
	s_or_b64 exec, exec, s[2:3]
	s_waitcnt vmcnt(2)
	v_mul_f32_e32 v10, v19, v19
	v_fmac_f32_e32 v10, v18, v18
	v_fmac_f32_e32 v10, v32, v32
	;; [unrolled: 1-line block ×15, first 2 shown]
	s_nop 1
	v_mov_b32_dpp v11, v10 quad_perm:[1,0,3,2] row_mask:0xf bank_mask:0xf
	v_add_f32_e32 v10, v10, v11
	s_nop 1
	v_mov_b32_dpp v11, v10 quad_perm:[2,3,0,1] row_mask:0xf bank_mask:0xf
	v_add_f32_e32 v10, v10, v11
	s_nop 1
	v_mov_b32_dpp v11, v10 row_half_mirror row_mask:0xf bank_mask:0xf
	v_add_f32_e32 v10, v10, v11
	s_nop 1
	v_mov_b32_dpp v11, v10 row_mirror row_mask:0xf bank_mask:0xf
	v_add_f32_e32 v10, v10, v11
	s_nop 1
	v_mov_b32_dpp v11, v10 row_bcast:15 row_mask:0xf bank_mask:0xf
	v_add_f32_e32 v10, v10, v11
	s_nop 1
	v_mov_b32_dpp v11, v10 row_bcast:31 row_mask:0xf bank_mask:0xf
	s_and_saveexec_b64 s[2:3], s[0:1]
	s_cbranch_execz .LBB973_32
; %bb.31:
	v_lshrrev_b32_e32 v0, 4, v0
	v_add_f32_e32 v10, v10, v11
	v_and_b32_e32 v0, 60, v0
	ds_write_b32 v0, v10
.LBB973_32:
	s_or_b64 exec, exec, s[2:3]
	s_waitcnt lgkmcnt(0)
	s_barrier
	ds_read_b32 v0, v34
	s_waitcnt lgkmcnt(0)
	s_nop 0
	v_mov_b32_dpp v10, v0 quad_perm:[1,0,3,2] row_mask:0xf bank_mask:0xf
	v_add_f32_e32 v0, v0, v10
	s_nop 1
	v_mov_b32_dpp v10, v0 quad_perm:[2,3,0,1] row_mask:0xf bank_mask:0xf
	v_add_f32_e32 v0, v0, v10
	s_nop 1
	v_mov_b32_dpp v10, v0 row_half_mirror row_mask:0xf bank_mask:0xf
	s_and_saveexec_b64 s[0:1], vcc
	s_cbranch_execz .LBB973_12
; %bb.33:
	v_cvt_f32_u32_e32 v11, s20
	v_add_f32_e32 v0, v0, v10
	s_mov_b32 s15, 0x20000
	v_div_scale_f32 v10, s[0:1], v11, v11, v0
	v_rcp_f32_e32 v12, v10
	v_div_scale_f32 v13, vcc, v0, v11, v0
	s_mov_b32 s0, 0x800000
	v_fma_f32 v14, -v10, v12, 1.0
	v_fmac_f32_e32 v12, v14, v12
	v_mul_f32_e32 v14, v13, v12
	v_fma_f32 v15, -v10, v14, v13
	v_fmac_f32_e32 v14, v15, v12
	v_fma_f32 v10, -v10, v14, v13
	v_div_fmas_f32 v10, v10, v12, v14
	v_div_fixup_f32 v0, v10, v11, v0
	v_add_f32_e32 v0, s17, v0
	v_mul_f32_e32 v10, 0x4b800000, v0
	v_cmp_gt_f32_e32 vcc, s0, v0
	v_cndmask_b32_e32 v0, v0, v10, vcc
	v_rsq_f32_e32 v0, v0
	s_mul_hi_i32 s1, s7, s6
	s_mul_i32 s0, s7, s6
	s_lshl_b64 s[0:1], s[0:1], 1
	v_mul_f32_e32 v10, 0x45800000, v0
	v_cndmask_b32_e32 v10, v0, v10, vcc
	v_mov_b32_e32 v11, v10
	;;#ASMSTART
	v_pk_mul_f32 v[12:13], v[18:19], v[10:11]
	;;#ASMEND
	;;#ASMSTART
	v_pk_mul_f32 v[14:15], v[32:33], v[10:11]
	;;#ASMEND
	;; [unrolled: 3-line block ×8, first 2 shown]
	s_waitcnt vmcnt(1)
	v_cvt_f32_f16_sdwa v21, v6 dst_sel:DWORD dst_unused:UNUSED_PAD src0_sel:WORD_1
	v_cvt_f32_f16_e32 v20, v6
	v_cvt_f32_f16_sdwa v29, v7 dst_sel:DWORD dst_unused:UNUSED_PAD src0_sel:WORD_1
	v_cvt_f32_f16_e32 v28, v7
	;; [unrolled: 2-line block ×4, first 2 shown]
	;;#ASMSTART
	v_pk_mul_f32 v[8:9], v[12:13], v[20:21]
	;;#ASMEND
	;;#ASMSTART
	v_pk_mul_f32 v[12:13], v[14:15], v[28:29]
	;;#ASMEND
	;; [unrolled: 3-line block ×4, first 2 shown]
	s_waitcnt vmcnt(0)
	v_cvt_f32_f16_sdwa v17, v2 dst_sel:DWORD dst_unused:UNUSED_PAD src0_sel:WORD_1
	v_cvt_f32_f16_e32 v16, v2
	v_cvt_f32_f16_sdwa v19, v3 dst_sel:DWORD dst_unused:UNUSED_PAD src0_sel:WORD_1
	v_cvt_f32_f16_e32 v18, v3
	;; [unrolled: 2-line block ×4, first 2 shown]
	;;#ASMSTART
	v_pk_mul_f32 v[16:17], v[26:27], v[16:17]
	;;#ASMEND
	;;#ASMSTART
	v_pk_mul_f32 v[18:19], v[24:25], v[18:19]
	;;#ASMEND
	;; [unrolled: 3-line block ×3, first 2 shown]
	v_cvt_f16_f32_e32 v0, v8
	v_cvt_f16_f32_e32 v2, v9
	;; [unrolled: 1-line block ×8, first 2 shown]
	s_add_u32 s12, s28, s0
	s_addc_u32 s0, s29, s1
	s_and_b32 s13, s0, 0xffff
	v_pack_b32_f16 v2, v0, v2
	v_pack_b32_f16 v3, v3, v4
	;; [unrolled: 1-line block ×4, first 2 shown]
	;;#ASMSTART
	v_pk_mul_f32 v[10:11], v[10:11], v[20:21]
	;;#ASMEND
	buffer_store_dwordx4 v[2:5], v1, s[12:15], 0 offen
	v_cvt_f16_f32_e32 v0, v16
	v_cvt_f16_f32_e32 v2, v17
	;; [unrolled: 1-line block ×8, first 2 shown]
	v_pack_b32_f16 v2, v0, v2
	v_pack_b32_f16 v3, v3, v4
	;; [unrolled: 1-line block ×4, first 2 shown]
	;;#ASMSTART
	s_nop 0
	;;#ASMEND
	buffer_store_dwordx4 v[2:5], v1, s[12:15], 16 offen
	;;#ASMSTART
	s_nop 0
	;;#ASMEND
	s_endpgm
	.section	.rodata,"a",@progbits
	.p2align	6, 0x0
	.amdhsa_kernel _ZN5aiter35fused_qk_rmsnorm_group_quant_kernelIDF16_DB8_Li512ELi16ELi4ELb0ELb1ELb0ELb0ELb0ELb0EEEvPT0_PvPT_S6_S6_PKS5_S8_S8_S8_S8_ffiiiiiiiiiiiii
		.amdhsa_group_segment_fixed_size 64
		.amdhsa_private_segment_fixed_size 0
		.amdhsa_kernarg_size 400
		.amdhsa_user_sgpr_count 6
		.amdhsa_user_sgpr_private_segment_buffer 1
		.amdhsa_user_sgpr_dispatch_ptr 0
		.amdhsa_user_sgpr_queue_ptr 0
		.amdhsa_user_sgpr_kernarg_segment_ptr 1
		.amdhsa_user_sgpr_dispatch_id 0
		.amdhsa_user_sgpr_flat_scratch_init 0
		.amdhsa_user_sgpr_kernarg_preload_length 0
		.amdhsa_user_sgpr_kernarg_preload_offset 0
		.amdhsa_user_sgpr_private_segment_size 0
		.amdhsa_uses_dynamic_stack 0
		.amdhsa_system_sgpr_private_segment_wavefront_offset 0
		.amdhsa_system_sgpr_workgroup_id_x 1
		.amdhsa_system_sgpr_workgroup_id_y 1
		.amdhsa_system_sgpr_workgroup_id_z 0
		.amdhsa_system_sgpr_workgroup_info 0
		.amdhsa_system_vgpr_workitem_id 0
		.amdhsa_next_free_vgpr 38
		.amdhsa_next_free_sgpr 36
		.amdhsa_accum_offset 40
		.amdhsa_reserve_vcc 1
		.amdhsa_reserve_flat_scratch 0
		.amdhsa_float_round_mode_32 0
		.amdhsa_float_round_mode_16_64 0
		.amdhsa_float_denorm_mode_32 3
		.amdhsa_float_denorm_mode_16_64 3
		.amdhsa_dx10_clamp 1
		.amdhsa_ieee_mode 1
		.amdhsa_fp16_overflow 0
		.amdhsa_tg_split 0
		.amdhsa_exception_fp_ieee_invalid_op 0
		.amdhsa_exception_fp_denorm_src 0
		.amdhsa_exception_fp_ieee_div_zero 0
		.amdhsa_exception_fp_ieee_overflow 0
		.amdhsa_exception_fp_ieee_underflow 0
		.amdhsa_exception_fp_ieee_inexact 0
		.amdhsa_exception_int_div_zero 0
	.end_amdhsa_kernel
	.section	.text._ZN5aiter35fused_qk_rmsnorm_group_quant_kernelIDF16_DB8_Li512ELi16ELi4ELb0ELb1ELb0ELb0ELb0ELb0EEEvPT0_PvPT_S6_S6_PKS5_S8_S8_S8_S8_ffiiiiiiiiiiiii,"axG",@progbits,_ZN5aiter35fused_qk_rmsnorm_group_quant_kernelIDF16_DB8_Li512ELi16ELi4ELb0ELb1ELb0ELb0ELb0ELb0EEEvPT0_PvPT_S6_S6_PKS5_S8_S8_S8_S8_ffiiiiiiiiiiiii,comdat
.Lfunc_end973:
	.size	_ZN5aiter35fused_qk_rmsnorm_group_quant_kernelIDF16_DB8_Li512ELi16ELi4ELb0ELb1ELb0ELb0ELb0ELb0EEEvPT0_PvPT_S6_S6_PKS5_S8_S8_S8_S8_ffiiiiiiiiiiiii, .Lfunc_end973-_ZN5aiter35fused_qk_rmsnorm_group_quant_kernelIDF16_DB8_Li512ELi16ELi4ELb0ELb1ELb0ELb0ELb0ELb0EEEvPT0_PvPT_S6_S6_PKS5_S8_S8_S8_S8_ffiiiiiiiiiiiii
                                        ; -- End function
	.section	.AMDGPU.csdata,"",@progbits
; Kernel info:
; codeLenInByte = 3680
; NumSgprs: 40
; NumVgprs: 38
; NumAgprs: 0
; TotalNumVgprs: 38
; ScratchSize: 0
; MemoryBound: 0
; FloatMode: 240
; IeeeMode: 1
; LDSByteSize: 64 bytes/workgroup (compile time only)
; SGPRBlocks: 4
; VGPRBlocks: 4
; NumSGPRsForWavesPerEU: 40
; NumVGPRsForWavesPerEU: 38
; AccumOffset: 40
; Occupancy: 8
; WaveLimiterHint : 0
; COMPUTE_PGM_RSRC2:SCRATCH_EN: 0
; COMPUTE_PGM_RSRC2:USER_SGPR: 6
; COMPUTE_PGM_RSRC2:TRAP_HANDLER: 0
; COMPUTE_PGM_RSRC2:TGID_X_EN: 1
; COMPUTE_PGM_RSRC2:TGID_Y_EN: 1
; COMPUTE_PGM_RSRC2:TGID_Z_EN: 0
; COMPUTE_PGM_RSRC2:TIDIG_COMP_CNT: 0
; COMPUTE_PGM_RSRC3_GFX90A:ACCUM_OFFSET: 9
; COMPUTE_PGM_RSRC3_GFX90A:TG_SPLIT: 0
	.section	.text._ZN5aiter35fused_qk_rmsnorm_group_quant_kernelItDB8_Li512ELi16ELi4ELb0ELb1ELb0ELb0ELb0ELb0EEEvPT0_PvPT_S6_S6_PKS5_S8_S8_S8_S8_ffiiiiiiiiiiiii,"axG",@progbits,_ZN5aiter35fused_qk_rmsnorm_group_quant_kernelItDB8_Li512ELi16ELi4ELb0ELb1ELb0ELb0ELb0ELb0EEEvPT0_PvPT_S6_S6_PKS5_S8_S8_S8_S8_ffiiiiiiiiiiiii,comdat
	.protected	_ZN5aiter35fused_qk_rmsnorm_group_quant_kernelItDB8_Li512ELi16ELi4ELb0ELb1ELb0ELb0ELb0ELb0EEEvPT0_PvPT_S6_S6_PKS5_S8_S8_S8_S8_ffiiiiiiiiiiiii ; -- Begin function _ZN5aiter35fused_qk_rmsnorm_group_quant_kernelItDB8_Li512ELi16ELi4ELb0ELb1ELb0ELb0ELb0ELb0EEEvPT0_PvPT_S6_S6_PKS5_S8_S8_S8_S8_ffiiiiiiiiiiiii
	.globl	_ZN5aiter35fused_qk_rmsnorm_group_quant_kernelItDB8_Li512ELi16ELi4ELb0ELb1ELb0ELb0ELb0ELb0EEEvPT0_PvPT_S6_S6_PKS5_S8_S8_S8_S8_ffiiiiiiiiiiiii
	.p2align	8
	.type	_ZN5aiter35fused_qk_rmsnorm_group_quant_kernelItDB8_Li512ELi16ELi4ELb0ELb1ELb0ELb0ELb0ELb0EEEvPT0_PvPT_S6_S6_PKS5_S8_S8_S8_S8_ffiiiiiiiiiiiii,@function
_ZN5aiter35fused_qk_rmsnorm_group_quant_kernelItDB8_Li512ELi16ELi4ELb0ELb1ELb0ELb0ELb0ELb0EEEvPT0_PvPT_S6_S6_PKS5_S8_S8_S8_S8_ffiiiiiiiiiiiii: ; @_ZN5aiter35fused_qk_rmsnorm_group_quant_kernelItDB8_Li512ELi16ELi4ELb0ELb1ELb0ELb0ELb0ELb0EEEvPT0_PvPT_S6_S6_PKS5_S8_S8_S8_S8_ffiiiiiiiiiiiii
; %bb.0:
	s_load_dwordx4 s[16:19], s[4:5], 0x50
	s_waitcnt lgkmcnt(0)
	s_cmp_ge_i32 s6, s18
	s_cbranch_scc1 .LBB974_12
; %bb.1:
	s_load_dwordx2 s[12:13], s[4:5], 0x48
	s_load_dwordx2 s[30:31], s[4:5], 0x30
	s_load_dwordx4 s[20:23], s[4:5], 0x60
	s_cmp_lg_u32 s7, 0
	s_cselect_b64 s[14:15], -1, 0
	s_cmp_eq_u32 s7, 0
	s_cselect_b64 vcc, -1, 0
	s_and_b64 s[0:1], vcc, exec
	s_waitcnt lgkmcnt(0)
	s_cselect_b32 s7, s19, s20
	s_add_i32 s0, s7, 1
	s_lshr_b32 s1, s0, 31
	s_add_i32 s0, s0, s1
	s_lshl_b32 s0, s0, 1
	v_lshlrev_b32_e32 v1, 4, v0
	s_and_b32 s10, s0, -4
	v_cmp_gt_i32_e64 s[2:3], s7, v1
	v_mov_b32_e32 v18, 0
	v_mov_b32_e32 v6, 0
	;; [unrolled: 1-line block ×17, first 2 shown]
	s_and_saveexec_b64 s[0:1], s[2:3]
	s_cbranch_execz .LBB974_3
; %bb.2:
	s_load_dwordx2 s[8:9], s[4:5], 0x28
	s_load_dwordx2 s[26:27], s[4:5], 0x40
	s_and_b64 s[24:25], vcc, exec
	s_cselect_b32 s11, s21, s22
	v_lshlrev_b32_e32 v19, 5, v0
	s_waitcnt lgkmcnt(0)
	s_cselect_b32 s18, s9, s31
	s_cselect_b32 s21, s8, s30
	s_mul_hi_i32 s9, s11, s6
	s_mul_i32 s8, s11, s6
	s_lshl_b64 s[8:9], s[8:9], 1
	s_add_u32 s24, s21, s8
	s_addc_u32 s18, s18, s9
	s_and_b64 s[8:9], vcc, exec
	s_mov_b32 s11, 0x20000
	s_cselect_b32 s8, s26, s12
	s_cselect_b32 s9, s27, s13
	s_and_b32 s25, s18, 0xffff
	s_mov_b32 s26, s10
	s_mov_b32 s27, s11
	s_and_b32 s9, s9, 0xffff
	buffer_load_dwordx4 v[14:17], v19, s[24:27], 0 offen
	buffer_load_dwordx4 v[10:13], v19, s[24:27], 16 offen
	;; [unrolled: 1-line block ×4, first 2 shown]
.LBB974_3:
	s_or_b64 exec, exec, s[0:1]
	v_mov_b32_e32 v19, 0
	v_mov_b32_e32 v32, 0
	;; [unrolled: 1-line block ×15, first 2 shown]
	s_and_saveexec_b64 s[0:1], s[2:3]
	s_cbranch_execz .LBB974_5
; %bb.4:
	s_waitcnt vmcnt(3)
	v_cvt_f32_u32_sdwa v18, v14 dst_sel:DWORD dst_unused:UNUSED_PAD src0_sel:WORD_0
	v_cvt_f32_u32_sdwa v19, v14 dst_sel:DWORD dst_unused:UNUSED_PAD src0_sel:WORD_1
	v_cvt_f32_u32_sdwa v32, v15 dst_sel:DWORD dst_unused:UNUSED_PAD src0_sel:WORD_0
	v_cvt_f32_u32_sdwa v33, v15 dst_sel:DWORD dst_unused:UNUSED_PAD src0_sel:WORD_1
	;; [unrolled: 2-line block ×4, first 2 shown]
	s_waitcnt vmcnt(2)
	v_cvt_f32_u32_sdwa v30, v10 dst_sel:DWORD dst_unused:UNUSED_PAD src0_sel:WORD_0
	v_cvt_f32_u32_sdwa v31, v10 dst_sel:DWORD dst_unused:UNUSED_PAD src0_sel:WORD_1
	v_cvt_f32_u32_sdwa v28, v11 dst_sel:DWORD dst_unused:UNUSED_PAD src0_sel:WORD_0
	v_cvt_f32_u32_sdwa v29, v11 dst_sel:DWORD dst_unused:UNUSED_PAD src0_sel:WORD_1
	;; [unrolled: 2-line block ×4, first 2 shown]
.LBB974_5:
	s_or_b64 exec, exec, s[0:1]
	s_waitcnt vmcnt(2)
	v_mul_f32_e32 v10, v19, v19
	v_fmac_f32_e32 v10, v18, v18
	v_fmac_f32_e32 v10, v32, v32
	;; [unrolled: 1-line block ×15, first 2 shown]
	v_and_b32_e32 v12, 63, v0
	v_cmp_eq_u32_e64 s[0:1], 63, v12
	v_mov_b32_dpp v11, v10 quad_perm:[1,0,3,2] row_mask:0xf bank_mask:0xf
	v_add_f32_e32 v10, v10, v11
	s_nop 1
	v_mov_b32_dpp v11, v10 quad_perm:[2,3,0,1] row_mask:0xf bank_mask:0xf
	v_add_f32_e32 v10, v10, v11
	s_nop 1
	v_mov_b32_dpp v11, v10 row_half_mirror row_mask:0xf bank_mask:0xf
	v_add_f32_e32 v10, v10, v11
	s_nop 1
	v_mov_b32_dpp v11, v10 row_mirror row_mask:0xf bank_mask:0xf
	v_add_f32_e32 v10, v10, v11
	s_nop 1
	v_mov_b32_dpp v11, v10 row_bcast:15 row_mask:0xf bank_mask:0xf
	v_add_f32_e32 v10, v10, v11
	s_nop 1
	v_mov_b32_dpp v11, v10 row_bcast:31 row_mask:0xf bank_mask:0xf
	s_and_saveexec_b64 s[8:9], s[0:1]
	s_cbranch_execz .LBB974_7
; %bb.6:
	v_add_f32_e32 v10, v10, v11
	v_lshrrev_b32_e32 v11, 4, v0
	v_and_b32_e32 v11, 60, v11
	ds_write_b32 v11, v10 offset:32
.LBB974_7:
	s_or_b64 exec, exec, s[8:9]
	v_and_b32_e32 v10, 7, v0
	v_lshlrev_b32_e32 v34, 2, v10
	s_waitcnt lgkmcnt(0)
	s_barrier
	ds_read_b32 v10, v34 offset:32
	s_load_dwordx2 s[28:29], s[4:5], 0x18
	s_waitcnt lgkmcnt(0)
	v_mov_b32_dpp v11, v10 quad_perm:[1,0,3,2] row_mask:0xf bank_mask:0xf
	v_add_f32_e32 v10, v10, v11
	s_nop 1
	v_mov_b32_dpp v11, v10 quad_perm:[2,3,0,1] row_mask:0xf bank_mask:0xf
	v_add_f32_e32 v10, v10, v11
	s_nop 1
	v_mov_b32_dpp v11, v10 row_half_mirror row_mask:0xf bank_mask:0xf
	s_and_saveexec_b64 s[8:9], s[2:3]
	s_cbranch_execz .LBB974_9
; %bb.8:
	v_cvt_f32_u32_e32 v12, s7
	v_add_f32_e32 v10, v10, v11
	v_mov_b32_e32 v14, s17
	v_mov_b32_e32 v15, s16
	v_div_scale_f32 v11, s[24:25], v12, v12, v10
	v_rcp_f32_e32 v13, v11
	v_cndmask_b32_e32 v14, v14, v15, vcc
	s_mov_b32 s7, 0x800000
	s_waitcnt vmcnt(1)
	v_cvt_f32_u32_sdwa v37, v9 dst_sel:DWORD dst_unused:UNUSED_PAD src0_sel:WORD_1
	v_fma_f32 v15, -v11, v13, 1.0
	v_fmac_f32_e32 v13, v15, v13
	v_div_scale_f32 v15, vcc, v10, v12, v10
	v_mul_f32_e32 v16, v15, v13
	v_fma_f32 v17, -v11, v16, v15
	v_fmac_f32_e32 v16, v17, v13
	v_fma_f32 v11, -v11, v16, v15
	v_div_fmas_f32 v11, v11, v13, v16
	v_div_fixup_f32 v10, v11, v12, v10
	v_add_f32_e32 v10, v14, v10
	v_mul_f32_e32 v11, 0x4b800000, v10
	v_cmp_gt_f32_e32 vcc, s7, v10
	v_cndmask_b32_e32 v10, v10, v11, vcc
	v_rsq_f32_e32 v10, v10
	v_cvt_f32_u32_sdwa v36, v9 dst_sel:DWORD dst_unused:UNUSED_PAD src0_sel:WORD_0
	s_waitcnt vmcnt(0)
	v_cvt_f32_u32_sdwa v9, v3 dst_sel:DWORD dst_unused:UNUSED_PAD src0_sel:WORD_1
	v_mul_f32_e32 v11, 0x45800000, v10
	v_cndmask_b32_e32 v10, v10, v11, vcc
	v_mov_b32_e32 v11, v10
	;;#ASMSTART
	v_pk_mul_f32 v[12:13], v[18:19], v[10:11]
	;;#ASMEND
	;;#ASMSTART
	v_pk_mul_f32 v[14:15], v[32:33], v[10:11]
	;;#ASMEND
	;; [unrolled: 3-line block ×8, first 2 shown]
	v_cvt_f32_u32_sdwa v19, v6 dst_sel:DWORD dst_unused:UNUSED_PAD src0_sel:WORD_1
	v_cvt_f32_u32_sdwa v18, v6 dst_sel:DWORD dst_unused:UNUSED_PAD src0_sel:WORD_0
	v_cvt_f32_u32_sdwa v21, v7 dst_sel:DWORD dst_unused:UNUSED_PAD src0_sel:WORD_1
	v_cvt_f32_u32_sdwa v20, v7 dst_sel:DWORD dst_unused:UNUSED_PAD src0_sel:WORD_0
	;; [unrolled: 2-line block ×3, first 2 shown]
	;;#ASMSTART
	v_pk_mul_f32 v[18:19], v[12:13], v[18:19]
	;;#ASMEND
	;;#ASMSTART
	v_pk_mul_f32 v[32:33], v[14:15], v[20:21]
	;;#ASMEND
	;; [unrolled: 3-line block ×4, first 2 shown]
	v_cvt_f32_u32_sdwa v7, v2 dst_sel:DWORD dst_unused:UNUSED_PAD src0_sel:WORD_1
	v_cvt_f32_u32_sdwa v6, v2 dst_sel:DWORD dst_unused:UNUSED_PAD src0_sel:WORD_0
	v_cvt_f32_u32_sdwa v8, v3 dst_sel:DWORD dst_unused:UNUSED_PAD src0_sel:WORD_0
	v_cvt_f32_u32_sdwa v3, v4 dst_sel:DWORD dst_unused:UNUSED_PAD src0_sel:WORD_1
	v_cvt_f32_u32_sdwa v2, v4 dst_sel:DWORD dst_unused:UNUSED_PAD src0_sel:WORD_0
	v_cvt_f32_u32_sdwa v13, v5 dst_sel:DWORD dst_unused:UNUSED_PAD src0_sel:WORD_1
	v_cvt_f32_u32_sdwa v12, v5 dst_sel:DWORD dst_unused:UNUSED_PAD src0_sel:WORD_0
	;;#ASMSTART
	v_pk_mul_f32 v[30:31], v[30:31], v[6:7]
	;;#ASMEND
	;;#ASMSTART
	v_pk_mul_f32 v[28:29], v[28:29], v[8:9]
	;;#ASMEND
	;; [unrolled: 3-line block ×4, first 2 shown]
.LBB974_9:
	s_or_b64 exec, exec, s[8:9]
	s_load_dword s7, s[4:5], 0x80
	s_mov_b64 s[8:9], -1
	s_and_b64 vcc, exec, s[14:15]
	s_cbranch_vccnz .LBB974_13
; %bb.10:
	s_andn2_b64 vcc, exec, s[8:9]
	s_cbranch_vccz .LBB974_16
.LBB974_11:
	s_cmp_lt_i32 s20, 1
	s_cbranch_scc0 .LBB974_25
.LBB974_12:
	s_endpgm
.LBB974_13:
	s_and_saveexec_b64 s[14:15], s[2:3]
	s_cbranch_execz .LBB974_15
; %bb.14:
	s_waitcnt lgkmcnt(0)
	s_mul_hi_i32 s9, s7, s6
	s_mul_i32 s8, s7, s6
	s_lshl_b64 s[8:9], s[8:9], 1
	s_add_u32 s8, s28, s8
	s_addc_u32 s9, s29, s9
	s_mov_b32 s16, 0x7060302
	s_and_b32 s9, s9, 0xffff
	s_mov_b32 s11, 0x20000
	s_waitcnt vmcnt(0)
	v_perm_b32 v5, v25, v24, s16
	v_perm_b32 v4, v27, v26, s16
	;; [unrolled: 1-line block ×4, first 2 shown]
	v_lshlrev_b32_e32 v6, 5, v0
	buffer_store_dwordx4 v[2:5], v6, s[8:11], 0 offen
	;;#ASMSTART
	s_nop 0
	;;#ASMEND
	s_nop 0
	v_perm_b32 v5, v21, v20, s16
	v_perm_b32 v4, v23, v22, s16
	;; [unrolled: 1-line block ×4, first 2 shown]
	buffer_store_dwordx4 v[2:5], v6, s[8:11], 16 offen
	;;#ASMSTART
	s_nop 0
	;;#ASMEND
.LBB974_15:
	s_or_b64 exec, exec, s[14:15]
	s_cbranch_execnz .LBB974_11
.LBB974_16:
	s_load_dwordx4 s[24:27], s[4:5], 0x70
	s_waitcnt vmcnt(0)
	v_mov_b32_e32 v2, 0
	s_and_saveexec_b64 s[14:15], s[2:3]
	s_cbranch_execz .LBB974_18
; %bb.17:
	s_load_dwordx2 s[8:9], s[4:5], 0x10
	s_waitcnt lgkmcnt(0)
	s_mul_hi_i32 s35, s27, s6
	s_mul_i32 s34, s27, s6
	s_lshl_b64 s[34:35], s[34:35], 1
	s_mov_b32 s16, 0x7060302
	s_add_u32 s8, s8, s34
	s_addc_u32 s9, s9, s35
	s_mov_b32 s11, 0x20000
	s_and_b32 s9, s9, 0xffff
	v_perm_b32 v5, v25, v24, s16
	v_perm_b32 v4, v27, v26, s16
	;; [unrolled: 1-line block ×4, first 2 shown]
	v_lshlrev_b32_e32 v6, 5, v0
	buffer_store_dwordx4 v[2:5], v6, s[8:11], 0 offen
	;;#ASMSTART
	s_nop 0
	;;#ASMEND
	s_nop 0
	v_perm_b32 v5, v21, v20, s16
	v_perm_b32 v4, v23, v22, s16
	;; [unrolled: 1-line block ×4, first 2 shown]
	buffer_store_dwordx4 v[2:5], v6, s[8:11], 16 offen
	;;#ASMSTART
	s_nop 0
	;;#ASMEND
	s_nop 0
	v_mov_b32_e32 v2, 0x2edbe6ff
.LBB974_18:
	s_or_b64 exec, exec, s[14:15]
	s_and_saveexec_b64 s[8:9], s[2:3]
	s_cbranch_execz .LBB974_20
; %bb.19:
	v_and_b32_e32 v3, 0x7fffffff, v18
	v_and_b32_e32 v4, 0x7fffffff, v19
	;;#ASMSTART
	v_max3_f32 v2, v2, v3, v4

	;;#ASMEND
	v_and_b32_e32 v3, 0x7fffffff, v32
	v_and_b32_e32 v4, 0x7fffffff, v33
	;;#ASMSTART
	v_max3_f32 v2, v2, v3, v4

	;;#ASMEND
	;; [unrolled: 6-line block ×8, first 2 shown]
.LBB974_20:
	s_or_b64 exec, exec, s[8:9]
	;;#ASMSTART
	v_max_f32 v3, v2, v2 quad_perm:[1,0,3,2] row_mask:0xf bank_mask:0xf bound_ctrl:1
	;;#ASMEND
	;;#ASMSTART
	v_max_f32 v2, v3, v3 quad_perm:[2,3,0,1] row_mask:0xf bank_mask:0xf bound_ctrl:1
	;;#ASMEND
	v_and_b32_e32 v3, 3, v0
	v_cmp_eq_u32_e32 vcc, 0, v3
	v_cmp_gt_i32_e64 s[8:9], s19, v1
	v_mul_f32_e32 v2, 0x3b124925, v2
	s_and_b64 s[10:11], vcc, s[8:9]
	s_and_saveexec_b64 s[8:9], s[10:11]
	s_cbranch_execz .LBB974_22
; %bb.21:
	s_load_dwordx2 s[10:11], s[4:5], 0x8
	s_waitcnt lgkmcnt(0)
	s_mul_hi_i32 s15, s25, s6
	s_mul_i32 s14, s25, s6
	v_lshrrev_b32_e32 v3, 2, v0
	s_lshl_b64 s[14:15], s[14:15], 2
	v_mad_i64_i32 v[4:5], s[26:27], s26, v3, 0
	s_add_u32 s10, s10, s14
	s_addc_u32 s11, s11, s15
	v_lshlrev_b64 v[4:5], 2, v[4:5]
	v_mov_b32_e32 v3, s11
	v_add_co_u32_e32 v4, vcc, s10, v4
	v_addc_co_u32_e32 v5, vcc, v3, v5, vcc
	global_store_dword v[4:5], v2, off
.LBB974_22:
	s_or_b64 exec, exec, s[8:9]
	;;#ASMSTART
	v_rcp_f32 v2, v2
	;;#ASMEND
	s_and_saveexec_b64 s[14:15], s[2:3]
	s_cbranch_execz .LBB974_24
; %bb.23:
	s_load_dwordx2 s[2:3], s[4:5], 0x0
	s_waitcnt lgkmcnt(0)
	s_mul_i32 s8, s24, s6
	s_mul_hi_i32 s9, s24, s6
	v_mov_b32_e32 v3, v2
	;;#ASMSTART
	v_pk_mul_f32 v[4:5], v[18:19], v[2:3]
	;;#ASMEND
	s_add_u32 s8, s2, s8
	s_addc_u32 s2, s3, s9
	s_add_i32 s3, s19, 3
	s_ashr_i32 s10, s3, 31
	v_mov_b32_e32 v10, 0xc3e00000
	v_mov_b32_e32 v11, 0x43e00000
	;;#ASMSTART
	v_med3_f32 v4, v4, v10, v11
v_med3_f32 v5, v5, v10, v11
v_cvt_pk_fp8_f32 v6, v4, v5
	;;#ASMEND
	s_and_b32 s9, s2, 0xffff
	s_lshr_b32 s2, s10, 30
	;;#ASMSTART
	v_pk_mul_f32 v[4:5], v[32:33], v[2:3]
	;;#ASMEND
	s_add_i32 s3, s3, s2
	;;#ASMSTART
	v_med3_f32 v4, v4, v10, v11
v_med3_f32 v5, v5, v10, v11
v_cvt_pk_fp8_f32 v7, v4, v5
	;;#ASMEND
	s_mov_b32 s2, 0x5040100
	v_perm_b32 v4, v7, v6, s2
	s_mov_b32 s2, 0x1060504
	v_perm_b32 v4, v4, v7, s2
	;;#ASMSTART
	v_pk_mul_f32 v[6:7], v[26:27], v[2:3]
	;;#ASMEND
	v_mov_b32_e32 v5, v7
	;;#ASMSTART
	v_med3_f32 v6, v6, v10, v11
v_med3_f32 v5, v5, v10, v11
v_cvt_pk_fp8_f32 v8, v6, v5
	;;#ASMEND
	;;#ASMSTART
	v_pk_mul_f32 v[6:7], v[24:25], v[2:3]
	;;#ASMEND
	v_mov_b32_e32 v5, v7
	;;#ASMSTART
	v_med3_f32 v6, v6, v10, v11
v_med3_f32 v5, v5, v10, v11
v_cvt_pk_fp8_f32 v7, v6, v5
	;;#ASMEND
	s_mov_b32 s2, 0x1000504
	v_perm_b32 v5, v8, v7, s2
	;;#ASMSTART
	v_pk_mul_f32 v[6:7], v[30:31], v[2:3]
	;;#ASMEND
	;;#ASMSTART
	v_med3_f32 v6, v6, v10, v11
v_med3_f32 v7, v7, v10, v11
v_cvt_pk_fp8_f32 v8, v6, v7
	;;#ASMEND
	;;#ASMSTART
	v_pk_mul_f32 v[6:7], v[28:29], v[2:3]
	;;#ASMEND
	;;#ASMSTART
	v_med3_f32 v6, v6, v10, v11
v_med3_f32 v7, v7, v10, v11
v_cvt_pk_fp8_f32 v9, v6, v7
	;;#ASMEND
	v_perm_b32 v6, v8, v9, s2
	;;#ASMSTART
	v_pk_mul_f32 v[8:9], v[22:23], v[2:3]
	;;#ASMEND
	v_mov_b32_e32 v7, v9
	;;#ASMSTART
	v_med3_f32 v8, v8, v10, v11
v_med3_f32 v7, v7, v10, v11
v_cvt_pk_fp8_f32 v9, v8, v7
	;;#ASMEND
	;;#ASMSTART
	v_pk_mul_f32 v[2:3], v[20:21], v[2:3]
	;;#ASMEND
	;;#ASMSTART
	v_med3_f32 v2, v2, v10, v11
v_med3_f32 v3, v3, v10, v11
v_cvt_pk_fp8_f32 v7, v2, v3
	;;#ASMEND
	s_and_b32 s10, s3, -4
	s_mov_b32 s11, 0x20000
	v_perm_b32 v7, v9, v7, s2
	buffer_store_dwordx4 v[4:7], v1, s[8:11], 0 offen
	;;#ASMSTART
	s_nop 0
	;;#ASMEND
.LBB974_24:
	s_or_b64 exec, exec, s[14:15]
	s_cmp_lt_i32 s20, 1
	s_cbranch_scc1 .LBB974_12
.LBB974_25:
	s_load_dword s2, s[4:5], 0x94
	s_waitcnt lgkmcnt(0)
	s_cmp_lg_u32 s2, 1
	s_cbranch_scc1 .LBB974_12
; %bb.26:
	s_lshl_b32 s2, s20, 1
	s_add_i32 s2, s2, 2
	v_cmp_gt_u32_e32 vcc, s20, v1
	s_and_b32 s14, s2, -4
	v_mov_b32_e32 v18, 0
	v_lshlrev_b32_e32 v1, 5, v0
	v_mov_b32_e32 v14, 0
	v_mov_b32_e32 v15, 0
	;; [unrolled: 1-line block ×8, first 2 shown]
	s_waitcnt vmcnt(1)
	v_mov_b32_e32 v6, 0
	v_mov_b32_e32 v7, 0
	;; [unrolled: 1-line block ×4, first 2 shown]
	s_waitcnt vmcnt(0)
	v_mov_b32_e32 v2, 0
	v_mov_b32_e32 v3, 0
	;; [unrolled: 1-line block ×4, first 2 shown]
	s_barrier
	s_and_saveexec_b64 s[2:3], vcc
	s_cbranch_execz .LBB974_28
; %bb.27:
	s_mul_hi_i32 s5, s22, s6
	s_mul_i32 s4, s22, s6
	s_and_b32 s13, s13, 0xffff
	s_lshl_b64 s[4:5], s[4:5], 1
	s_add_u32 s8, s30, s4
	s_mov_b32 s15, 0x20000
	s_addc_u32 s4, s31, s5
	s_and_b32 s9, s4, 0xffff
	s_mov_b32 s10, s14
	s_mov_b32 s11, s15
	buffer_load_dwordx4 v[14:17], v1, s[8:11], 0 offen
	buffer_load_dwordx4 v[10:13], v1, s[8:11], 16 offen
	;; [unrolled: 1-line block ×4, first 2 shown]
.LBB974_28:
	s_or_b64 exec, exec, s[2:3]
	v_mov_b32_e32 v19, 0
	v_mov_b32_e32 v32, 0
	;; [unrolled: 1-line block ×15, first 2 shown]
	s_and_saveexec_b64 s[2:3], vcc
	s_cbranch_execz .LBB974_30
; %bb.29:
	s_waitcnt vmcnt(3)
	v_cvt_f32_u32_sdwa v18, v14 dst_sel:DWORD dst_unused:UNUSED_PAD src0_sel:WORD_0
	v_cvt_f32_u32_sdwa v19, v14 dst_sel:DWORD dst_unused:UNUSED_PAD src0_sel:WORD_1
	v_cvt_f32_u32_sdwa v32, v15 dst_sel:DWORD dst_unused:UNUSED_PAD src0_sel:WORD_0
	v_cvt_f32_u32_sdwa v33, v15 dst_sel:DWORD dst_unused:UNUSED_PAD src0_sel:WORD_1
	;; [unrolled: 2-line block ×4, first 2 shown]
	s_waitcnt vmcnt(2)
	v_cvt_f32_u32_sdwa v26, v10 dst_sel:DWORD dst_unused:UNUSED_PAD src0_sel:WORD_0
	v_cvt_f32_u32_sdwa v27, v10 dst_sel:DWORD dst_unused:UNUSED_PAD src0_sel:WORD_1
	v_cvt_f32_u32_sdwa v24, v11 dst_sel:DWORD dst_unused:UNUSED_PAD src0_sel:WORD_0
	v_cvt_f32_u32_sdwa v25, v11 dst_sel:DWORD dst_unused:UNUSED_PAD src0_sel:WORD_1
	;; [unrolled: 2-line block ×4, first 2 shown]
.LBB974_30:
	s_or_b64 exec, exec, s[2:3]
	s_waitcnt vmcnt(2)
	v_mul_f32_e32 v10, v19, v19
	v_fmac_f32_e32 v10, v18, v18
	v_fmac_f32_e32 v10, v32, v32
	v_fmac_f32_e32 v10, v33, v33
	v_fmac_f32_e32 v10, v30, v30
	v_fmac_f32_e32 v10, v31, v31
	v_fmac_f32_e32 v10, v28, v28
	v_fmac_f32_e32 v10, v29, v29
	v_fmac_f32_e32 v10, v26, v26
	v_fmac_f32_e32 v10, v27, v27
	v_fmac_f32_e32 v10, v24, v24
	v_fmac_f32_e32 v10, v25, v25
	v_fmac_f32_e32 v10, v22, v22
	v_fmac_f32_e32 v10, v23, v23
	v_fmac_f32_e32 v10, v20, v20
	v_fmac_f32_e32 v10, v21, v21
	s_nop 1
	v_mov_b32_dpp v11, v10 quad_perm:[1,0,3,2] row_mask:0xf bank_mask:0xf
	v_add_f32_e32 v10, v10, v11
	s_nop 1
	v_mov_b32_dpp v11, v10 quad_perm:[2,3,0,1] row_mask:0xf bank_mask:0xf
	v_add_f32_e32 v10, v10, v11
	s_nop 1
	v_mov_b32_dpp v11, v10 row_half_mirror row_mask:0xf bank_mask:0xf
	v_add_f32_e32 v10, v10, v11
	s_nop 1
	v_mov_b32_dpp v11, v10 row_mirror row_mask:0xf bank_mask:0xf
	v_add_f32_e32 v10, v10, v11
	s_nop 1
	v_mov_b32_dpp v11, v10 row_bcast:15 row_mask:0xf bank_mask:0xf
	v_add_f32_e32 v10, v10, v11
	s_nop 1
	v_mov_b32_dpp v11, v10 row_bcast:31 row_mask:0xf bank_mask:0xf
	s_and_saveexec_b64 s[2:3], s[0:1]
	s_cbranch_execz .LBB974_32
; %bb.31:
	v_lshrrev_b32_e32 v0, 4, v0
	v_add_f32_e32 v10, v10, v11
	v_and_b32_e32 v0, 60, v0
	ds_write_b32 v0, v10
.LBB974_32:
	s_or_b64 exec, exec, s[2:3]
	s_waitcnt lgkmcnt(0)
	s_barrier
	ds_read_b32 v0, v34
	s_waitcnt lgkmcnt(0)
	s_nop 0
	v_mov_b32_dpp v10, v0 quad_perm:[1,0,3,2] row_mask:0xf bank_mask:0xf
	v_add_f32_e32 v0, v0, v10
	s_nop 1
	v_mov_b32_dpp v10, v0 quad_perm:[2,3,0,1] row_mask:0xf bank_mask:0xf
	v_add_f32_e32 v0, v0, v10
	s_nop 1
	v_mov_b32_dpp v10, v0 row_half_mirror row_mask:0xf bank_mask:0xf
	s_and_saveexec_b64 s[0:1], vcc
	s_cbranch_execz .LBB974_12
; %bb.33:
	v_cvt_f32_u32_e32 v11, s20
	v_add_f32_e32 v0, v0, v10
	s_mov_b32 s15, 0x20000
	v_div_scale_f32 v10, s[0:1], v11, v11, v0
	v_rcp_f32_e32 v12, v10
	v_div_scale_f32 v13, vcc, v0, v11, v0
	s_mov_b32 s0, 0x800000
	v_fma_f32 v14, -v10, v12, 1.0
	v_fmac_f32_e32 v12, v14, v12
	v_mul_f32_e32 v14, v13, v12
	v_fma_f32 v15, -v10, v14, v13
	v_fmac_f32_e32 v14, v15, v12
	v_fma_f32 v10, -v10, v14, v13
	v_div_fmas_f32 v10, v10, v12, v14
	v_div_fixup_f32 v0, v10, v11, v0
	v_add_f32_e32 v0, s17, v0
	v_mul_f32_e32 v10, 0x4b800000, v0
	v_cmp_gt_f32_e32 vcc, s0, v0
	v_cndmask_b32_e32 v0, v0, v10, vcc
	v_rsq_f32_e32 v0, v0
	s_mul_hi_i32 s1, s7, s6
	s_mul_i32 s0, s7, s6
	s_lshl_b64 s[0:1], s[0:1], 1
	v_mul_f32_e32 v10, 0x45800000, v0
	v_cndmask_b32_e32 v10, v0, v10, vcc
	v_mov_b32_e32 v11, v10
	s_add_u32 s12, s28, s0
	;;#ASMSTART
	v_pk_mul_f32 v[12:13], v[18:19], v[10:11]
	;;#ASMEND
	;;#ASMSTART
	v_pk_mul_f32 v[14:15], v[32:33], v[10:11]
	;;#ASMEND
	;; [unrolled: 3-line block ×8, first 2 shown]
	s_waitcnt vmcnt(1)
	v_cvt_f32_u32_sdwa v21, v6 dst_sel:DWORD dst_unused:UNUSED_PAD src0_sel:WORD_1
	v_cvt_f32_u32_sdwa v20, v6 dst_sel:DWORD dst_unused:UNUSED_PAD src0_sel:WORD_0
	v_cvt_f32_u32_sdwa v29, v7 dst_sel:DWORD dst_unused:UNUSED_PAD src0_sel:WORD_1
	v_cvt_f32_u32_sdwa v28, v7 dst_sel:DWORD dst_unused:UNUSED_PAD src0_sel:WORD_0
	;; [unrolled: 2-line block ×3, first 2 shown]
	s_addc_u32 s0, s29, s1
	v_cvt_f32_u32_sdwa v31, v9 dst_sel:DWORD dst_unused:UNUSED_PAD src0_sel:WORD_1
	v_cvt_f32_u32_sdwa v30, v9 dst_sel:DWORD dst_unused:UNUSED_PAD src0_sel:WORD_0
	;;#ASMSTART
	v_pk_mul_f32 v[8:9], v[12:13], v[20:21]
	;;#ASMEND
	;;#ASMSTART
	v_pk_mul_f32 v[12:13], v[14:15], v[28:29]
	;;#ASMEND
	;; [unrolled: 3-line block ×4, first 2 shown]
	s_waitcnt vmcnt(0)
	v_cvt_f32_u32_sdwa v17, v2 dst_sel:DWORD dst_unused:UNUSED_PAD src0_sel:WORD_1
	v_cvt_f32_u32_sdwa v16, v2 dst_sel:DWORD dst_unused:UNUSED_PAD src0_sel:WORD_0
	v_cvt_f32_u32_sdwa v19, v3 dst_sel:DWORD dst_unused:UNUSED_PAD src0_sel:WORD_1
	v_cvt_f32_u32_sdwa v18, v3 dst_sel:DWORD dst_unused:UNUSED_PAD src0_sel:WORD_0
	v_cvt_f32_u32_sdwa v3, v4 dst_sel:DWORD dst_unused:UNUSED_PAD src0_sel:WORD_1
	v_cvt_f32_u32_sdwa v2, v4 dst_sel:DWORD dst_unused:UNUSED_PAD src0_sel:WORD_0
	s_and_b32 s13, s0, 0xffff
	s_mov_b32 s0, 0x7060302
	v_cvt_f32_u32_sdwa v21, v5 dst_sel:DWORD dst_unused:UNUSED_PAD src0_sel:WORD_1
	v_cvt_f32_u32_sdwa v20, v5 dst_sel:DWORD dst_unused:UNUSED_PAD src0_sel:WORD_0
	;;#ASMSTART
	v_pk_mul_f32 v[16:17], v[26:27], v[16:17]
	;;#ASMEND
	;;#ASMSTART
	v_pk_mul_f32 v[18:19], v[24:25], v[18:19]
	;;#ASMEND
	;; [unrolled: 3-line block ×3, first 2 shown]
	v_perm_b32 v2, v9, v8, s0
	v_perm_b32 v3, v13, v12, s0
	;; [unrolled: 1-line block ×4, first 2 shown]
	;;#ASMSTART
	v_pk_mul_f32 v[10:11], v[10:11], v[20:21]
	;;#ASMEND
	buffer_store_dwordx4 v[2:5], v1, s[12:15], 0 offen
	;;#ASMSTART
	s_nop 0
	;;#ASMEND
	s_nop 0
	v_perm_b32 v2, v17, v16, s0
	v_perm_b32 v3, v19, v18, s0
	;; [unrolled: 1-line block ×4, first 2 shown]
	buffer_store_dwordx4 v[2:5], v1, s[12:15], 16 offen
	;;#ASMSTART
	s_nop 0
	;;#ASMEND
	s_endpgm
	.section	.rodata,"a",@progbits
	.p2align	6, 0x0
	.amdhsa_kernel _ZN5aiter35fused_qk_rmsnorm_group_quant_kernelItDB8_Li512ELi16ELi4ELb0ELb1ELb0ELb0ELb0ELb0EEEvPT0_PvPT_S6_S6_PKS5_S8_S8_S8_S8_ffiiiiiiiiiiiii
		.amdhsa_group_segment_fixed_size 64
		.amdhsa_private_segment_fixed_size 0
		.amdhsa_kernarg_size 400
		.amdhsa_user_sgpr_count 6
		.amdhsa_user_sgpr_private_segment_buffer 1
		.amdhsa_user_sgpr_dispatch_ptr 0
		.amdhsa_user_sgpr_queue_ptr 0
		.amdhsa_user_sgpr_kernarg_segment_ptr 1
		.amdhsa_user_sgpr_dispatch_id 0
		.amdhsa_user_sgpr_flat_scratch_init 0
		.amdhsa_user_sgpr_kernarg_preload_length 0
		.amdhsa_user_sgpr_kernarg_preload_offset 0
		.amdhsa_user_sgpr_private_segment_size 0
		.amdhsa_uses_dynamic_stack 0
		.amdhsa_system_sgpr_private_segment_wavefront_offset 0
		.amdhsa_system_sgpr_workgroup_id_x 1
		.amdhsa_system_sgpr_workgroup_id_y 1
		.amdhsa_system_sgpr_workgroup_id_z 0
		.amdhsa_system_sgpr_workgroup_info 0
		.amdhsa_system_vgpr_workitem_id 0
		.amdhsa_next_free_vgpr 38
		.amdhsa_next_free_sgpr 36
		.amdhsa_accum_offset 40
		.amdhsa_reserve_vcc 1
		.amdhsa_reserve_flat_scratch 0
		.amdhsa_float_round_mode_32 0
		.amdhsa_float_round_mode_16_64 0
		.amdhsa_float_denorm_mode_32 3
		.amdhsa_float_denorm_mode_16_64 3
		.amdhsa_dx10_clamp 1
		.amdhsa_ieee_mode 1
		.amdhsa_fp16_overflow 0
		.amdhsa_tg_split 0
		.amdhsa_exception_fp_ieee_invalid_op 0
		.amdhsa_exception_fp_denorm_src 0
		.amdhsa_exception_fp_ieee_div_zero 0
		.amdhsa_exception_fp_ieee_overflow 0
		.amdhsa_exception_fp_ieee_underflow 0
		.amdhsa_exception_fp_ieee_inexact 0
		.amdhsa_exception_int_div_zero 0
	.end_amdhsa_kernel
	.section	.text._ZN5aiter35fused_qk_rmsnorm_group_quant_kernelItDB8_Li512ELi16ELi4ELb0ELb1ELb0ELb0ELb0ELb0EEEvPT0_PvPT_S6_S6_PKS5_S8_S8_S8_S8_ffiiiiiiiiiiiii,"axG",@progbits,_ZN5aiter35fused_qk_rmsnorm_group_quant_kernelItDB8_Li512ELi16ELi4ELb0ELb1ELb0ELb0ELb0ELb0EEEvPT0_PvPT_S6_S6_PKS5_S8_S8_S8_S8_ffiiiiiiiiiiiii,comdat
.Lfunc_end974:
	.size	_ZN5aiter35fused_qk_rmsnorm_group_quant_kernelItDB8_Li512ELi16ELi4ELb0ELb1ELb0ELb0ELb0ELb0EEEvPT0_PvPT_S6_S6_PKS5_S8_S8_S8_S8_ffiiiiiiiiiiiii, .Lfunc_end974-_ZN5aiter35fused_qk_rmsnorm_group_quant_kernelItDB8_Li512ELi16ELi4ELb0ELb1ELb0ELb0ELb0ELb0EEEvPT0_PvPT_S6_S6_PKS5_S8_S8_S8_S8_ffiiiiiiiiiiiii
                                        ; -- End function
	.section	.AMDGPU.csdata,"",@progbits
; Kernel info:
; codeLenInByte = 3652
; NumSgprs: 40
; NumVgprs: 38
; NumAgprs: 0
; TotalNumVgprs: 38
; ScratchSize: 0
; MemoryBound: 0
; FloatMode: 240
; IeeeMode: 1
; LDSByteSize: 64 bytes/workgroup (compile time only)
; SGPRBlocks: 4
; VGPRBlocks: 4
; NumSGPRsForWavesPerEU: 40
; NumVGPRsForWavesPerEU: 38
; AccumOffset: 40
; Occupancy: 8
; WaveLimiterHint : 0
; COMPUTE_PGM_RSRC2:SCRATCH_EN: 0
; COMPUTE_PGM_RSRC2:USER_SGPR: 6
; COMPUTE_PGM_RSRC2:TRAP_HANDLER: 0
; COMPUTE_PGM_RSRC2:TGID_X_EN: 1
; COMPUTE_PGM_RSRC2:TGID_Y_EN: 1
; COMPUTE_PGM_RSRC2:TGID_Z_EN: 0
; COMPUTE_PGM_RSRC2:TIDIG_COMP_CNT: 0
; COMPUTE_PGM_RSRC3_GFX90A:ACCUM_OFFSET: 9
; COMPUTE_PGM_RSRC3_GFX90A:TG_SPLIT: 0
	.section	.text._ZN5aiter35fused_qk_rmsnorm_group_quant_kernelIDF16_N4opus5fp4_tELi512ELi16ELi4ELb0ELb1ELb0ELb0ELb0ELb0EEEvPT0_PvPT_S7_S7_PKS6_S9_S9_S9_S9_ffiiiiiiiiiiiii,"axG",@progbits,_ZN5aiter35fused_qk_rmsnorm_group_quant_kernelIDF16_N4opus5fp4_tELi512ELi16ELi4ELb0ELb1ELb0ELb0ELb0ELb0EEEvPT0_PvPT_S7_S7_PKS6_S9_S9_S9_S9_ffiiiiiiiiiiiii,comdat
	.protected	_ZN5aiter35fused_qk_rmsnorm_group_quant_kernelIDF16_N4opus5fp4_tELi512ELi16ELi4ELb0ELb1ELb0ELb0ELb0ELb0EEEvPT0_PvPT_S7_S7_PKS6_S9_S9_S9_S9_ffiiiiiiiiiiiii ; -- Begin function _ZN5aiter35fused_qk_rmsnorm_group_quant_kernelIDF16_N4opus5fp4_tELi512ELi16ELi4ELb0ELb1ELb0ELb0ELb0ELb0EEEvPT0_PvPT_S7_S7_PKS6_S9_S9_S9_S9_ffiiiiiiiiiiiii
	.globl	_ZN5aiter35fused_qk_rmsnorm_group_quant_kernelIDF16_N4opus5fp4_tELi512ELi16ELi4ELb0ELb1ELb0ELb0ELb0ELb0EEEvPT0_PvPT_S7_S7_PKS6_S9_S9_S9_S9_ffiiiiiiiiiiiii
	.p2align	8
	.type	_ZN5aiter35fused_qk_rmsnorm_group_quant_kernelIDF16_N4opus5fp4_tELi512ELi16ELi4ELb0ELb1ELb0ELb0ELb0ELb0EEEvPT0_PvPT_S7_S7_PKS6_S9_S9_S9_S9_ffiiiiiiiiiiiii,@function
_ZN5aiter35fused_qk_rmsnorm_group_quant_kernelIDF16_N4opus5fp4_tELi512ELi16ELi4ELb0ELb1ELb0ELb0ELb0ELb0EEEvPT0_PvPT_S7_S7_PKS6_S9_S9_S9_S9_ffiiiiiiiiiiiii: ; @_ZN5aiter35fused_qk_rmsnorm_group_quant_kernelIDF16_N4opus5fp4_tELi512ELi16ELi4ELb0ELb1ELb0ELb0ELb0ELb0EEEvPT0_PvPT_S7_S7_PKS6_S9_S9_S9_S9_ffiiiiiiiiiiiii
; %bb.0:
	s_load_dwordx4 s[16:19], s[4:5], 0x50
	s_waitcnt lgkmcnt(0)
	s_cmp_ge_i32 s6, s18
	s_cbranch_scc1 .LBB975_12
; %bb.1:
	s_load_dwordx2 s[12:13], s[4:5], 0x48
	s_load_dwordx2 s[30:31], s[4:5], 0x30
	s_load_dwordx4 s[20:23], s[4:5], 0x60
	s_cmp_lg_u32 s7, 0
	s_cselect_b64 s[14:15], -1, 0
	s_cmp_eq_u32 s7, 0
	s_cselect_b64 vcc, -1, 0
	s_and_b64 s[0:1], vcc, exec
	s_waitcnt lgkmcnt(0)
	s_cselect_b32 s7, s19, s20
	s_add_i32 s0, s7, 1
	s_lshr_b32 s1, s0, 31
	s_add_i32 s0, s0, s1
	s_lshl_b32 s0, s0, 1
	v_lshlrev_b32_e32 v1, 4, v0
	s_and_b32 s10, s0, -4
	v_cmp_gt_i32_e64 s[2:3], s7, v1
	v_mov_b32_e32 v18, 0
	v_mov_b32_e32 v6, 0
	v_mov_b32_e32 v7, 0
	v_mov_b32_e32 v8, 0
	v_mov_b32_e32 v9, 0
	v_mov_b32_e32 v2, 0
	v_mov_b32_e32 v3, 0
	v_mov_b32_e32 v4, 0
	v_mov_b32_e32 v5, 0
	v_mov_b32_e32 v14, 0
	v_mov_b32_e32 v15, 0
	v_mov_b32_e32 v16, 0
	v_mov_b32_e32 v17, 0
	v_mov_b32_e32 v10, 0
	v_mov_b32_e32 v11, 0
	v_mov_b32_e32 v12, 0
	v_mov_b32_e32 v13, 0
	s_and_saveexec_b64 s[0:1], s[2:3]
	s_cbranch_execz .LBB975_3
; %bb.2:
	s_load_dwordx2 s[8:9], s[4:5], 0x28
	s_load_dwordx2 s[26:27], s[4:5], 0x40
	s_and_b64 s[24:25], vcc, exec
	s_cselect_b32 s11, s21, s22
	v_lshlrev_b32_e32 v19, 5, v0
	s_waitcnt lgkmcnt(0)
	s_cselect_b32 s18, s9, s31
	s_cselect_b32 s21, s8, s30
	s_mul_hi_i32 s9, s11, s6
	s_mul_i32 s8, s11, s6
	s_lshl_b64 s[8:9], s[8:9], 1
	s_add_u32 s24, s21, s8
	s_addc_u32 s18, s18, s9
	s_and_b64 s[8:9], vcc, exec
	s_mov_b32 s11, 0x20000
	s_cselect_b32 s8, s26, s12
	s_cselect_b32 s9, s27, s13
	s_and_b32 s25, s18, 0xffff
	s_mov_b32 s26, s10
	s_mov_b32 s27, s11
	s_and_b32 s9, s9, 0xffff
	buffer_load_dwordx4 v[14:17], v19, s[24:27], 0 offen
	buffer_load_dwordx4 v[10:13], v19, s[24:27], 16 offen
	;; [unrolled: 1-line block ×4, first 2 shown]
.LBB975_3:
	s_or_b64 exec, exec, s[0:1]
	v_mov_b32_e32 v19, 0
	v_mov_b32_e32 v24, 0
	;; [unrolled: 1-line block ×15, first 2 shown]
	s_and_saveexec_b64 s[0:1], s[2:3]
	s_cbranch_execz .LBB975_5
; %bb.4:
	s_waitcnt vmcnt(3)
	v_cvt_f32_f16_sdwa v19, v14 dst_sel:DWORD dst_unused:UNUSED_PAD src0_sel:WORD_1
	v_cvt_f32_f16_e32 v18, v14
	v_cvt_f32_f16_sdwa v25, v15 dst_sel:DWORD dst_unused:UNUSED_PAD src0_sel:WORD_1
	v_cvt_f32_f16_e32 v24, v15
	v_cvt_f32_f16_sdwa v21, v16 dst_sel:DWORD dst_unused:UNUSED_PAD src0_sel:WORD_1
	v_cvt_f32_f16_e32 v20, v16
	v_cvt_f32_f16_sdwa v23, v17 dst_sel:DWORD dst_unused:UNUSED_PAD src0_sel:WORD_1
	v_cvt_f32_f16_e32 v22, v17
	s_waitcnt vmcnt(2)
	v_cvt_f32_f16_sdwa v33, v10 dst_sel:DWORD dst_unused:UNUSED_PAD src0_sel:WORD_1
	v_cvt_f32_f16_e32 v32, v10
	v_cvt_f32_f16_sdwa v31, v11 dst_sel:DWORD dst_unused:UNUSED_PAD src0_sel:WORD_1
	v_cvt_f32_f16_e32 v30, v11
	;; [unrolled: 2-line block ×4, first 2 shown]
.LBB975_5:
	s_or_b64 exec, exec, s[0:1]
	s_waitcnt vmcnt(2)
	v_mul_f32_e32 v10, v19, v19
	v_fmac_f32_e32 v10, v18, v18
	v_fmac_f32_e32 v10, v24, v24
	;; [unrolled: 1-line block ×15, first 2 shown]
	v_and_b32_e32 v12, 63, v0
	v_cmp_eq_u32_e64 s[0:1], 63, v12
	v_mov_b32_dpp v11, v10 quad_perm:[1,0,3,2] row_mask:0xf bank_mask:0xf
	v_add_f32_e32 v10, v10, v11
	s_nop 1
	v_mov_b32_dpp v11, v10 quad_perm:[2,3,0,1] row_mask:0xf bank_mask:0xf
	v_add_f32_e32 v10, v10, v11
	s_nop 1
	v_mov_b32_dpp v11, v10 row_half_mirror row_mask:0xf bank_mask:0xf
	v_add_f32_e32 v10, v10, v11
	s_nop 1
	v_mov_b32_dpp v11, v10 row_mirror row_mask:0xf bank_mask:0xf
	v_add_f32_e32 v10, v10, v11
	s_nop 1
	v_mov_b32_dpp v11, v10 row_bcast:15 row_mask:0xf bank_mask:0xf
	v_add_f32_e32 v10, v10, v11
	s_nop 1
	v_mov_b32_dpp v11, v10 row_bcast:31 row_mask:0xf bank_mask:0xf
	s_and_saveexec_b64 s[8:9], s[0:1]
	s_cbranch_execz .LBB975_7
; %bb.6:
	v_add_f32_e32 v10, v10, v11
	v_lshrrev_b32_e32 v11, 4, v0
	v_and_b32_e32 v11, 60, v11
	ds_write_b32 v11, v10 offset:32
.LBB975_7:
	s_or_b64 exec, exec, s[8:9]
	v_and_b32_e32 v10, 7, v0
	v_lshlrev_b32_e32 v34, 2, v10
	s_waitcnt lgkmcnt(0)
	s_barrier
	ds_read_b32 v10, v34 offset:32
	s_load_dwordx2 s[28:29], s[4:5], 0x18
	s_waitcnt lgkmcnt(0)
	v_mov_b32_dpp v11, v10 quad_perm:[1,0,3,2] row_mask:0xf bank_mask:0xf
	v_add_f32_e32 v10, v10, v11
	s_nop 1
	v_mov_b32_dpp v11, v10 quad_perm:[2,3,0,1] row_mask:0xf bank_mask:0xf
	v_add_f32_e32 v10, v10, v11
	s_nop 1
	v_mov_b32_dpp v11, v10 row_half_mirror row_mask:0xf bank_mask:0xf
	s_and_saveexec_b64 s[8:9], s[2:3]
	s_cbranch_execz .LBB975_9
; %bb.8:
	v_cvt_f32_u32_e32 v12, s7
	v_add_f32_e32 v10, v10, v11
	v_mov_b32_e32 v14, s17
	v_mov_b32_e32 v15, s16
	v_div_scale_f32 v11, s[24:25], v12, v12, v10
	v_rcp_f32_e32 v13, v11
	v_cndmask_b32_e32 v14, v14, v15, vcc
	s_mov_b32 s7, 0x800000
	v_fma_f32 v15, -v11, v13, 1.0
	v_fmac_f32_e32 v13, v15, v13
	v_div_scale_f32 v15, vcc, v10, v12, v10
	v_mul_f32_e32 v16, v15, v13
	v_fma_f32 v17, -v11, v16, v15
	v_fmac_f32_e32 v16, v17, v13
	v_fma_f32 v11, -v11, v16, v15
	v_div_fmas_f32 v11, v11, v13, v16
	v_div_fixup_f32 v10, v11, v12, v10
	v_add_f32_e32 v10, v14, v10
	v_mul_f32_e32 v11, 0x4b800000, v10
	v_cmp_gt_f32_e32 vcc, s7, v10
	v_cndmask_b32_e32 v10, v10, v11, vcc
	v_rsq_f32_e32 v10, v10
	v_mul_f32_e32 v11, 0x45800000, v10
	v_cndmask_b32_e32 v10, v10, v11, vcc
	v_mov_b32_e32 v11, v10
	;;#ASMSTART
	v_pk_mul_f32 v[12:13], v[18:19], v[10:11]
	;;#ASMEND
	;;#ASMSTART
	v_pk_mul_f32 v[14:15], v[24:25], v[10:11]
	;;#ASMEND
	;; [unrolled: 3-line block ×8, first 2 shown]
	s_waitcnt vmcnt(1)
	v_cvt_f32_f16_sdwa v19, v6 dst_sel:DWORD dst_unused:UNUSED_PAD src0_sel:WORD_1
	v_cvt_f32_f16_e32 v18, v6
	v_cvt_f32_f16_sdwa v21, v7 dst_sel:DWORD dst_unused:UNUSED_PAD src0_sel:WORD_1
	v_cvt_f32_f16_e32 v20, v7
	;; [unrolled: 2-line block ×4, first 2 shown]
	;;#ASMSTART
	v_pk_mul_f32 v[18:19], v[12:13], v[18:19]
	;;#ASMEND
	;;#ASMSTART
	v_pk_mul_f32 v[24:25], v[14:15], v[20:21]
	;;#ASMEND
	;; [unrolled: 3-line block ×4, first 2 shown]
	s_waitcnt vmcnt(0)
	v_cvt_f32_f16_sdwa v7, v2 dst_sel:DWORD dst_unused:UNUSED_PAD src0_sel:WORD_1
	v_cvt_f32_f16_e32 v6, v2
	v_cvt_f32_f16_sdwa v9, v3 dst_sel:DWORD dst_unused:UNUSED_PAD src0_sel:WORD_1
	v_cvt_f32_f16_e32 v8, v3
	;; [unrolled: 2-line block ×4, first 2 shown]
	;;#ASMSTART
	v_pk_mul_f32 v[32:33], v[32:33], v[6:7]
	;;#ASMEND
	;;#ASMSTART
	v_pk_mul_f32 v[30:31], v[30:31], v[8:9]
	;;#ASMEND
	;;#ASMSTART
	v_pk_mul_f32 v[26:27], v[26:27], v[2:3]
	;;#ASMEND
	;;#ASMSTART
	v_pk_mul_f32 v[28:29], v[10:11], v[12:13]
	;;#ASMEND
.LBB975_9:
	s_or_b64 exec, exec, s[8:9]
	s_load_dword s7, s[4:5], 0x80
	s_mov_b64 s[8:9], -1
	s_and_b64 vcc, exec, s[14:15]
	s_cbranch_vccnz .LBB975_13
; %bb.10:
	s_andn2_b64 vcc, exec, s[8:9]
	s_cbranch_vccz .LBB975_16
.LBB975_11:
	s_cmp_lt_i32 s20, 1
	s_cbranch_scc0 .LBB975_25
.LBB975_12:
	s_endpgm
.LBB975_13:
	s_and_saveexec_b64 s[14:15], s[2:3]
	s_cbranch_execz .LBB975_15
; %bb.14:
	s_waitcnt lgkmcnt(0)
	s_mul_hi_i32 s9, s7, s6
	s_mul_i32 s8, s7, s6
	s_waitcnt vmcnt(0)
	v_cvt_f16_f32_e32 v2, v18
	v_cvt_f16_f32_e32 v3, v24
	;; [unrolled: 1-line block ×8, first 2 shown]
	s_lshl_b64 s[8:9], s[8:9], 1
	s_add_u32 s8, s28, s8
	s_addc_u32 s9, s29, s9
	s_and_b32 s9, s9, 0xffff
	s_mov_b32 s11, 0x20000
	v_pack_b32_f16 v5, v5, v6
	v_pack_b32_f16 v4, v4, v7
	;; [unrolled: 1-line block ×4, first 2 shown]
	v_lshlrev_b32_e32 v6, 5, v0
	buffer_store_dwordx4 v[2:5], v6, s[8:11], 0 offen
	v_cvt_f16_f32_e32 v7, v29
	v_cvt_f16_f32_e32 v2, v32
	;; [unrolled: 1-line block ×8, first 2 shown]
	v_pack_b32_f16 v5, v5, v7
	v_pack_b32_f16 v4, v4, v8
	;; [unrolled: 1-line block ×4, first 2 shown]
	;;#ASMSTART
	s_nop 0
	;;#ASMEND
	buffer_store_dwordx4 v[2:5], v6, s[8:11], 16 offen
	;;#ASMSTART
	s_nop 0
	;;#ASMEND
.LBB975_15:
	s_or_b64 exec, exec, s[14:15]
	s_cbranch_execnz .LBB975_11
.LBB975_16:
	s_load_dwordx4 s[24:27], s[4:5], 0x70
	s_waitcnt vmcnt(0)
	v_mov_b32_e32 v2, 0
	s_and_saveexec_b64 s[14:15], s[2:3]
	s_cbranch_execz .LBB975_18
; %bb.17:
	s_load_dwordx2 s[8:9], s[4:5], 0x10
	s_waitcnt lgkmcnt(0)
	s_mul_hi_i32 s35, s27, s6
	s_mul_i32 s34, s27, s6
	v_cvt_f16_f32_e32 v2, v18
	v_cvt_f16_f32_e32 v3, v24
	;; [unrolled: 1-line block ×8, first 2 shown]
	s_lshl_b64 s[34:35], s[34:35], 1
	s_add_u32 s8, s8, s34
	s_addc_u32 s9, s9, s35
	s_mov_b32 s11, 0x20000
	s_and_b32 s9, s9, 0xffff
	v_pack_b32_f16 v5, v5, v6
	v_pack_b32_f16 v4, v4, v7
	;; [unrolled: 1-line block ×4, first 2 shown]
	v_lshlrev_b32_e32 v6, 5, v0
	buffer_store_dwordx4 v[2:5], v6, s[8:11], 0 offen
	v_cvt_f16_f32_e32 v7, v29
	v_cvt_f16_f32_e32 v2, v32
	;; [unrolled: 1-line block ×8, first 2 shown]
	v_pack_b32_f16 v5, v5, v7
	v_pack_b32_f16 v4, v4, v8
	;; [unrolled: 1-line block ×4, first 2 shown]
	;;#ASMSTART
	s_nop 0
	;;#ASMEND
	buffer_store_dwordx4 v[2:5], v6, s[8:11], 16 offen
	;;#ASMSTART
	s_nop 0
	;;#ASMEND
	s_nop 0
	v_mov_b32_e32 v2, 0x2edbe6ff
.LBB975_18:
	s_or_b64 exec, exec, s[14:15]
	s_and_saveexec_b64 s[8:9], s[2:3]
	s_cbranch_execz .LBB975_20
; %bb.19:
	v_and_b32_e32 v3, 0x7fffffff, v18
	v_and_b32_e32 v4, 0x7fffffff, v19
	;;#ASMSTART
	v_max3_f32 v2, v2, v3, v4

	;;#ASMEND
	v_and_b32_e32 v3, 0x7fffffff, v24
	v_and_b32_e32 v4, 0x7fffffff, v25
	;;#ASMSTART
	v_max3_f32 v2, v2, v3, v4

	;;#ASMEND
	;; [unrolled: 6-line block ×8, first 2 shown]
.LBB975_20:
	s_or_b64 exec, exec, s[8:9]
	;;#ASMSTART
	v_max_f32 v3, v2, v2 quad_perm:[1,0,3,2] row_mask:0xf bank_mask:0xf bound_ctrl:1
	;;#ASMEND
	;;#ASMSTART
	v_max_f32 v2, v3, v3 quad_perm:[2,3,0,1] row_mask:0xf bank_mask:0xf bound_ctrl:1
	;;#ASMEND
	v_and_b32_e32 v3, 3, v0
	v_cmp_eq_u32_e32 vcc, 0, v3
	v_cmp_gt_i32_e64 s[8:9], s19, v1
	s_and_b64 s[10:11], vcc, s[8:9]
	s_and_saveexec_b64 s[8:9], s[10:11]
	s_cbranch_execz .LBB975_22
; %bb.21:
	s_load_dwordx2 s[10:11], s[4:5], 0x8
	v_mul_f32_e32 v2, 0x3e2aaaab, v2
	v_lshrrev_b32_e32 v3, 23, v2
	v_and_b32_e32 v4, 0x7f800000, v2
	v_and_b32_e32 v2, 0x7fffff, v2
	v_cmp_ne_u32_e32 vcc, 0, v2
	s_waitcnt lgkmcnt(0)
	s_mul_i32 s16, s25, s6
	s_mov_b32 s14, 0x7f800000
	v_addc_co_u32_e32 v2, vcc, 0, v3, vcc
	s_mul_hi_i32 s15, s25, s6
	s_add_u32 s10, s10, s16
	v_cmp_ne_u32_e32 vcc, s14, v4
	s_addc_u32 s11, s11, s15
	v_lshrrev_b32_e32 v5, 2, v0
	v_cndmask_b32_e32 v4, -1, v2, vcc
	v_pk_mov_b32 v[2:3], s[10:11], s[10:11] op_sel:[0,1]
	v_mad_i64_i32 v[2:3], s[10:11], s26, v5, v[2:3]
	global_store_byte v[2:3], v4, off
.LBB975_22:
	s_or_b64 exec, exec, s[8:9]
	s_and_saveexec_b64 s[8:9], s[2:3]
	s_cbranch_execz .LBB975_24
; %bb.23:
	s_load_dwordx2 s[2:3], s[4:5], 0x0
	s_waitcnt lgkmcnt(0)
	s_mul_i32 s11, s24, s6
	s_mul_hi_i32 s10, s24, s6
	v_mov_b32_e32 v2, 0
	v_lshlrev_b32_e32 v4, 3, v0
	s_add_u32 s24, s2, s11
	s_addc_u32 s2, s3, s10
	s_lshr_b32 s3, s19, 31
	s_add_i32 s3, s19, s3
	s_ashr_i32 s3, s3, 1
	s_add_i32 s3, s3, 3
	s_ashr_i32 s10, s3, 31
	s_lshr_b32 s10, s10, 30
	s_add_i32 s3, s3, s10
	s_and_b32 s26, s3, -4
	s_and_b32 s25, s2, 0xffff
	s_mov_b32 s27, 0x20000
	v_mov_b32_e32 v3, v2
	buffer_store_dwordx2 v[2:3], v4, s[24:27], 0 offen
	;;#ASMSTART
	s_nop 0
	;;#ASMEND
.LBB975_24:
	s_or_b64 exec, exec, s[8:9]
	s_cmp_lt_i32 s20, 1
	s_cbranch_scc1 .LBB975_12
.LBB975_25:
	s_load_dword s2, s[4:5], 0x94
	s_waitcnt lgkmcnt(0)
	s_cmp_lg_u32 s2, 1
	s_cbranch_scc1 .LBB975_12
; %bb.26:
	s_lshl_b32 s2, s20, 1
	s_add_i32 s2, s2, 2
	v_cmp_gt_u32_e32 vcc, s20, v1
	s_and_b32 s14, s2, -4
	v_mov_b32_e32 v18, 0
	v_lshlrev_b32_e32 v1, 5, v0
	v_mov_b32_e32 v14, 0
	v_mov_b32_e32 v15, 0
	;; [unrolled: 1-line block ×8, first 2 shown]
	s_waitcnt vmcnt(1)
	v_mov_b32_e32 v6, 0
	v_mov_b32_e32 v7, 0
	;; [unrolled: 1-line block ×4, first 2 shown]
	s_waitcnt vmcnt(0)
	v_mov_b32_e32 v2, 0
	v_mov_b32_e32 v3, 0
	;; [unrolled: 1-line block ×4, first 2 shown]
	s_barrier
	s_and_saveexec_b64 s[2:3], vcc
	s_cbranch_execz .LBB975_28
; %bb.27:
	s_mul_hi_i32 s5, s22, s6
	s_mul_i32 s4, s22, s6
	s_and_b32 s13, s13, 0xffff
	s_lshl_b64 s[4:5], s[4:5], 1
	s_add_u32 s8, s30, s4
	s_mov_b32 s15, 0x20000
	s_addc_u32 s4, s31, s5
	s_and_b32 s9, s4, 0xffff
	s_mov_b32 s10, s14
	s_mov_b32 s11, s15
	buffer_load_dwordx4 v[14:17], v1, s[8:11], 0 offen
	buffer_load_dwordx4 v[10:13], v1, s[8:11], 16 offen
	;; [unrolled: 1-line block ×4, first 2 shown]
.LBB975_28:
	s_or_b64 exec, exec, s[2:3]
	v_mov_b32_e32 v19, 0
	v_mov_b32_e32 v32, 0
	;; [unrolled: 1-line block ×15, first 2 shown]
	s_and_saveexec_b64 s[2:3], vcc
	s_cbranch_execz .LBB975_30
; %bb.29:
	s_waitcnt vmcnt(3)
	v_cvt_f32_f16_sdwa v19, v14 dst_sel:DWORD dst_unused:UNUSED_PAD src0_sel:WORD_1
	v_cvt_f32_f16_e32 v18, v14
	v_cvt_f32_f16_sdwa v33, v15 dst_sel:DWORD dst_unused:UNUSED_PAD src0_sel:WORD_1
	v_cvt_f32_f16_e32 v32, v15
	;; [unrolled: 2-line block ×4, first 2 shown]
	s_waitcnt vmcnt(2)
	v_cvt_f32_f16_sdwa v27, v10 dst_sel:DWORD dst_unused:UNUSED_PAD src0_sel:WORD_1
	v_cvt_f32_f16_e32 v26, v10
	v_cvt_f32_f16_sdwa v25, v11 dst_sel:DWORD dst_unused:UNUSED_PAD src0_sel:WORD_1
	v_cvt_f32_f16_e32 v24, v11
	;; [unrolled: 2-line block ×4, first 2 shown]
.LBB975_30:
	s_or_b64 exec, exec, s[2:3]
	s_waitcnt vmcnt(2)
	v_mul_f32_e32 v10, v19, v19
	v_fmac_f32_e32 v10, v18, v18
	v_fmac_f32_e32 v10, v32, v32
	v_fmac_f32_e32 v10, v33, v33
	v_fmac_f32_e32 v10, v30, v30
	v_fmac_f32_e32 v10, v31, v31
	v_fmac_f32_e32 v10, v28, v28
	v_fmac_f32_e32 v10, v29, v29
	v_fmac_f32_e32 v10, v26, v26
	v_fmac_f32_e32 v10, v27, v27
	v_fmac_f32_e32 v10, v24, v24
	v_fmac_f32_e32 v10, v25, v25
	v_fmac_f32_e32 v10, v22, v22
	v_fmac_f32_e32 v10, v23, v23
	v_fmac_f32_e32 v10, v20, v20
	v_fmac_f32_e32 v10, v21, v21
	s_nop 1
	v_mov_b32_dpp v11, v10 quad_perm:[1,0,3,2] row_mask:0xf bank_mask:0xf
	v_add_f32_e32 v10, v10, v11
	s_nop 1
	v_mov_b32_dpp v11, v10 quad_perm:[2,3,0,1] row_mask:0xf bank_mask:0xf
	v_add_f32_e32 v10, v10, v11
	s_nop 1
	v_mov_b32_dpp v11, v10 row_half_mirror row_mask:0xf bank_mask:0xf
	v_add_f32_e32 v10, v10, v11
	s_nop 1
	v_mov_b32_dpp v11, v10 row_mirror row_mask:0xf bank_mask:0xf
	v_add_f32_e32 v10, v10, v11
	s_nop 1
	v_mov_b32_dpp v11, v10 row_bcast:15 row_mask:0xf bank_mask:0xf
	v_add_f32_e32 v10, v10, v11
	s_nop 1
	v_mov_b32_dpp v11, v10 row_bcast:31 row_mask:0xf bank_mask:0xf
	s_and_saveexec_b64 s[2:3], s[0:1]
	s_cbranch_execz .LBB975_32
; %bb.31:
	v_lshrrev_b32_e32 v0, 4, v0
	v_add_f32_e32 v10, v10, v11
	v_and_b32_e32 v0, 60, v0
	ds_write_b32 v0, v10
.LBB975_32:
	s_or_b64 exec, exec, s[2:3]
	s_waitcnt lgkmcnt(0)
	s_barrier
	ds_read_b32 v0, v34
	s_waitcnt lgkmcnt(0)
	s_nop 0
	v_mov_b32_dpp v10, v0 quad_perm:[1,0,3,2] row_mask:0xf bank_mask:0xf
	v_add_f32_e32 v0, v0, v10
	s_nop 1
	v_mov_b32_dpp v10, v0 quad_perm:[2,3,0,1] row_mask:0xf bank_mask:0xf
	v_add_f32_e32 v0, v0, v10
	s_nop 1
	v_mov_b32_dpp v10, v0 row_half_mirror row_mask:0xf bank_mask:0xf
	s_and_saveexec_b64 s[0:1], vcc
	s_cbranch_execz .LBB975_12
; %bb.33:
	v_cvt_f32_u32_e32 v11, s20
	v_add_f32_e32 v0, v0, v10
	s_mov_b32 s15, 0x20000
	v_div_scale_f32 v10, s[0:1], v11, v11, v0
	v_rcp_f32_e32 v12, v10
	v_div_scale_f32 v13, vcc, v0, v11, v0
	s_mov_b32 s0, 0x800000
	v_fma_f32 v14, -v10, v12, 1.0
	v_fmac_f32_e32 v12, v14, v12
	v_mul_f32_e32 v14, v13, v12
	v_fma_f32 v15, -v10, v14, v13
	v_fmac_f32_e32 v14, v15, v12
	v_fma_f32 v10, -v10, v14, v13
	v_div_fmas_f32 v10, v10, v12, v14
	v_div_fixup_f32 v0, v10, v11, v0
	v_add_f32_e32 v0, s17, v0
	v_mul_f32_e32 v10, 0x4b800000, v0
	v_cmp_gt_f32_e32 vcc, s0, v0
	v_cndmask_b32_e32 v0, v0, v10, vcc
	v_rsq_f32_e32 v0, v0
	s_mul_hi_i32 s1, s7, s6
	s_mul_i32 s0, s7, s6
	s_lshl_b64 s[0:1], s[0:1], 1
	v_mul_f32_e32 v10, 0x45800000, v0
	v_cndmask_b32_e32 v10, v0, v10, vcc
	v_mov_b32_e32 v11, v10
	;;#ASMSTART
	v_pk_mul_f32 v[12:13], v[18:19], v[10:11]
	;;#ASMEND
	;;#ASMSTART
	v_pk_mul_f32 v[14:15], v[32:33], v[10:11]
	;;#ASMEND
	;; [unrolled: 3-line block ×8, first 2 shown]
	s_waitcnt vmcnt(1)
	v_cvt_f32_f16_sdwa v21, v6 dst_sel:DWORD dst_unused:UNUSED_PAD src0_sel:WORD_1
	v_cvt_f32_f16_e32 v20, v6
	v_cvt_f32_f16_sdwa v29, v7 dst_sel:DWORD dst_unused:UNUSED_PAD src0_sel:WORD_1
	v_cvt_f32_f16_e32 v28, v7
	;; [unrolled: 2-line block ×4, first 2 shown]
	;;#ASMSTART
	v_pk_mul_f32 v[8:9], v[12:13], v[20:21]
	;;#ASMEND
	;;#ASMSTART
	v_pk_mul_f32 v[12:13], v[14:15], v[28:29]
	;;#ASMEND
	;; [unrolled: 3-line block ×4, first 2 shown]
	s_waitcnt vmcnt(0)
	v_cvt_f32_f16_sdwa v17, v2 dst_sel:DWORD dst_unused:UNUSED_PAD src0_sel:WORD_1
	v_cvt_f32_f16_e32 v16, v2
	v_cvt_f32_f16_sdwa v19, v3 dst_sel:DWORD dst_unused:UNUSED_PAD src0_sel:WORD_1
	v_cvt_f32_f16_e32 v18, v3
	;; [unrolled: 2-line block ×4, first 2 shown]
	;;#ASMSTART
	v_pk_mul_f32 v[16:17], v[26:27], v[16:17]
	;;#ASMEND
	;;#ASMSTART
	v_pk_mul_f32 v[18:19], v[24:25], v[18:19]
	;;#ASMEND
	;; [unrolled: 3-line block ×3, first 2 shown]
	v_cvt_f16_f32_e32 v0, v8
	v_cvt_f16_f32_e32 v2, v9
	;; [unrolled: 1-line block ×8, first 2 shown]
	s_add_u32 s12, s28, s0
	s_addc_u32 s0, s29, s1
	s_and_b32 s13, s0, 0xffff
	v_pack_b32_f16 v2, v0, v2
	v_pack_b32_f16 v3, v3, v4
	;; [unrolled: 1-line block ×4, first 2 shown]
	;;#ASMSTART
	v_pk_mul_f32 v[10:11], v[10:11], v[20:21]
	;;#ASMEND
	buffer_store_dwordx4 v[2:5], v1, s[12:15], 0 offen
	v_cvt_f16_f32_e32 v0, v16
	v_cvt_f16_f32_e32 v2, v17
	v_cvt_f16_f32_e32 v3, v18
	v_cvt_f16_f32_e32 v4, v19
	v_cvt_f16_f32_e32 v5, v22
	v_cvt_f16_f32_e32 v6, v23
	v_cvt_f16_f32_e32 v7, v10
	v_cvt_f16_f32_e32 v8, v11
	v_pack_b32_f16 v2, v0, v2
	v_pack_b32_f16 v3, v3, v4
	;; [unrolled: 1-line block ×4, first 2 shown]
	;;#ASMSTART
	s_nop 0
	;;#ASMEND
	buffer_store_dwordx4 v[2:5], v1, s[12:15], 16 offen
	;;#ASMSTART
	s_nop 0
	;;#ASMEND
	s_endpgm
	.section	.rodata,"a",@progbits
	.p2align	6, 0x0
	.amdhsa_kernel _ZN5aiter35fused_qk_rmsnorm_group_quant_kernelIDF16_N4opus5fp4_tELi512ELi16ELi4ELb0ELb1ELb0ELb0ELb0ELb0EEEvPT0_PvPT_S7_S7_PKS6_S9_S9_S9_S9_ffiiiiiiiiiiiii
		.amdhsa_group_segment_fixed_size 64
		.amdhsa_private_segment_fixed_size 0
		.amdhsa_kernarg_size 400
		.amdhsa_user_sgpr_count 6
		.amdhsa_user_sgpr_private_segment_buffer 1
		.amdhsa_user_sgpr_dispatch_ptr 0
		.amdhsa_user_sgpr_queue_ptr 0
		.amdhsa_user_sgpr_kernarg_segment_ptr 1
		.amdhsa_user_sgpr_dispatch_id 0
		.amdhsa_user_sgpr_flat_scratch_init 0
		.amdhsa_user_sgpr_kernarg_preload_length 0
		.amdhsa_user_sgpr_kernarg_preload_offset 0
		.amdhsa_user_sgpr_private_segment_size 0
		.amdhsa_uses_dynamic_stack 0
		.amdhsa_system_sgpr_private_segment_wavefront_offset 0
		.amdhsa_system_sgpr_workgroup_id_x 1
		.amdhsa_system_sgpr_workgroup_id_y 1
		.amdhsa_system_sgpr_workgroup_id_z 0
		.amdhsa_system_sgpr_workgroup_info 0
		.amdhsa_system_vgpr_workitem_id 0
		.amdhsa_next_free_vgpr 35
		.amdhsa_next_free_sgpr 36
		.amdhsa_accum_offset 36
		.amdhsa_reserve_vcc 1
		.amdhsa_reserve_flat_scratch 0
		.amdhsa_float_round_mode_32 0
		.amdhsa_float_round_mode_16_64 0
		.amdhsa_float_denorm_mode_32 3
		.amdhsa_float_denorm_mode_16_64 3
		.amdhsa_dx10_clamp 1
		.amdhsa_ieee_mode 1
		.amdhsa_fp16_overflow 0
		.amdhsa_tg_split 0
		.amdhsa_exception_fp_ieee_invalid_op 0
		.amdhsa_exception_fp_denorm_src 0
		.amdhsa_exception_fp_ieee_div_zero 0
		.amdhsa_exception_fp_ieee_overflow 0
		.amdhsa_exception_fp_ieee_underflow 0
		.amdhsa_exception_fp_ieee_inexact 0
		.amdhsa_exception_int_div_zero 0
	.end_amdhsa_kernel
	.section	.text._ZN5aiter35fused_qk_rmsnorm_group_quant_kernelIDF16_N4opus5fp4_tELi512ELi16ELi4ELb0ELb1ELb0ELb0ELb0ELb0EEEvPT0_PvPT_S7_S7_PKS6_S9_S9_S9_S9_ffiiiiiiiiiiiii,"axG",@progbits,_ZN5aiter35fused_qk_rmsnorm_group_quant_kernelIDF16_N4opus5fp4_tELi512ELi16ELi4ELb0ELb1ELb0ELb0ELb0ELb0EEEvPT0_PvPT_S7_S7_PKS6_S9_S9_S9_S9_ffiiiiiiiiiiiii,comdat
.Lfunc_end975:
	.size	_ZN5aiter35fused_qk_rmsnorm_group_quant_kernelIDF16_N4opus5fp4_tELi512ELi16ELi4ELb0ELb1ELb0ELb0ELb0ELb0EEEvPT0_PvPT_S7_S7_PKS6_S9_S9_S9_S9_ffiiiiiiiiiiiii, .Lfunc_end975-_ZN5aiter35fused_qk_rmsnorm_group_quant_kernelIDF16_N4opus5fp4_tELi512ELi16ELi4ELb0ELb1ELb0ELb0ELb0ELb0EEEvPT0_PvPT_S7_S7_PKS6_S9_S9_S9_S9_ffiiiiiiiiiiiii
                                        ; -- End function
	.section	.AMDGPU.csdata,"",@progbits
; Kernel info:
; codeLenInByte = 3372
; NumSgprs: 40
; NumVgprs: 35
; NumAgprs: 0
; TotalNumVgprs: 35
; ScratchSize: 0
; MemoryBound: 0
; FloatMode: 240
; IeeeMode: 1
; LDSByteSize: 64 bytes/workgroup (compile time only)
; SGPRBlocks: 4
; VGPRBlocks: 4
; NumSGPRsForWavesPerEU: 40
; NumVGPRsForWavesPerEU: 35
; AccumOffset: 36
; Occupancy: 8
; WaveLimiterHint : 0
; COMPUTE_PGM_RSRC2:SCRATCH_EN: 0
; COMPUTE_PGM_RSRC2:USER_SGPR: 6
; COMPUTE_PGM_RSRC2:TRAP_HANDLER: 0
; COMPUTE_PGM_RSRC2:TGID_X_EN: 1
; COMPUTE_PGM_RSRC2:TGID_Y_EN: 1
; COMPUTE_PGM_RSRC2:TGID_Z_EN: 0
; COMPUTE_PGM_RSRC2:TIDIG_COMP_CNT: 0
; COMPUTE_PGM_RSRC3_GFX90A:ACCUM_OFFSET: 8
; COMPUTE_PGM_RSRC3_GFX90A:TG_SPLIT: 0
	.section	.text._ZN5aiter35fused_qk_rmsnorm_group_quant_kernelItN4opus5fp4_tELi512ELi16ELi4ELb0ELb1ELb0ELb0ELb0ELb0EEEvPT0_PvPT_S7_S7_PKS6_S9_S9_S9_S9_ffiiiiiiiiiiiii,"axG",@progbits,_ZN5aiter35fused_qk_rmsnorm_group_quant_kernelItN4opus5fp4_tELi512ELi16ELi4ELb0ELb1ELb0ELb0ELb0ELb0EEEvPT0_PvPT_S7_S7_PKS6_S9_S9_S9_S9_ffiiiiiiiiiiiii,comdat
	.protected	_ZN5aiter35fused_qk_rmsnorm_group_quant_kernelItN4opus5fp4_tELi512ELi16ELi4ELb0ELb1ELb0ELb0ELb0ELb0EEEvPT0_PvPT_S7_S7_PKS6_S9_S9_S9_S9_ffiiiiiiiiiiiii ; -- Begin function _ZN5aiter35fused_qk_rmsnorm_group_quant_kernelItN4opus5fp4_tELi512ELi16ELi4ELb0ELb1ELb0ELb0ELb0ELb0EEEvPT0_PvPT_S7_S7_PKS6_S9_S9_S9_S9_ffiiiiiiiiiiiii
	.globl	_ZN5aiter35fused_qk_rmsnorm_group_quant_kernelItN4opus5fp4_tELi512ELi16ELi4ELb0ELb1ELb0ELb0ELb0ELb0EEEvPT0_PvPT_S7_S7_PKS6_S9_S9_S9_S9_ffiiiiiiiiiiiii
	.p2align	8
	.type	_ZN5aiter35fused_qk_rmsnorm_group_quant_kernelItN4opus5fp4_tELi512ELi16ELi4ELb0ELb1ELb0ELb0ELb0ELb0EEEvPT0_PvPT_S7_S7_PKS6_S9_S9_S9_S9_ffiiiiiiiiiiiii,@function
_ZN5aiter35fused_qk_rmsnorm_group_quant_kernelItN4opus5fp4_tELi512ELi16ELi4ELb0ELb1ELb0ELb0ELb0ELb0EEEvPT0_PvPT_S7_S7_PKS6_S9_S9_S9_S9_ffiiiiiiiiiiiii: ; @_ZN5aiter35fused_qk_rmsnorm_group_quant_kernelItN4opus5fp4_tELi512ELi16ELi4ELb0ELb1ELb0ELb0ELb0ELb0EEEvPT0_PvPT_S7_S7_PKS6_S9_S9_S9_S9_ffiiiiiiiiiiiii
; %bb.0:
	s_load_dwordx4 s[16:19], s[4:5], 0x50
	s_waitcnt lgkmcnt(0)
	s_cmp_ge_i32 s6, s18
	s_cbranch_scc1 .LBB976_12
; %bb.1:
	s_load_dwordx2 s[12:13], s[4:5], 0x48
	s_load_dwordx2 s[30:31], s[4:5], 0x30
	s_load_dwordx4 s[20:23], s[4:5], 0x60
	s_cmp_lg_u32 s7, 0
	s_cselect_b64 s[14:15], -1, 0
	s_cmp_eq_u32 s7, 0
	s_cselect_b64 vcc, -1, 0
	s_and_b64 s[0:1], vcc, exec
	s_waitcnt lgkmcnt(0)
	s_cselect_b32 s7, s19, s20
	s_add_i32 s0, s7, 1
	s_lshr_b32 s1, s0, 31
	s_add_i32 s0, s0, s1
	s_lshl_b32 s0, s0, 1
	v_lshlrev_b32_e32 v1, 4, v0
	s_and_b32 s10, s0, -4
	v_cmp_gt_i32_e64 s[2:3], s7, v1
	v_mov_b32_e32 v18, 0
	v_mov_b32_e32 v6, 0
	;; [unrolled: 1-line block ×17, first 2 shown]
	s_and_saveexec_b64 s[0:1], s[2:3]
	s_cbranch_execz .LBB976_3
; %bb.2:
	s_load_dwordx2 s[8:9], s[4:5], 0x28
	s_load_dwordx2 s[26:27], s[4:5], 0x40
	s_and_b64 s[24:25], vcc, exec
	s_cselect_b32 s11, s21, s22
	v_lshlrev_b32_e32 v19, 5, v0
	s_waitcnt lgkmcnt(0)
	s_cselect_b32 s18, s9, s31
	s_cselect_b32 s21, s8, s30
	s_mul_hi_i32 s9, s11, s6
	s_mul_i32 s8, s11, s6
	s_lshl_b64 s[8:9], s[8:9], 1
	s_add_u32 s24, s21, s8
	s_addc_u32 s18, s18, s9
	s_and_b64 s[8:9], vcc, exec
	s_mov_b32 s11, 0x20000
	s_cselect_b32 s8, s26, s12
	s_cselect_b32 s9, s27, s13
	s_and_b32 s25, s18, 0xffff
	s_mov_b32 s26, s10
	s_mov_b32 s27, s11
	s_and_b32 s9, s9, 0xffff
	buffer_load_dwordx4 v[14:17], v19, s[24:27], 0 offen
	buffer_load_dwordx4 v[10:13], v19, s[24:27], 16 offen
	buffer_load_dwordx4 v[6:9], v19, s[8:11], 0 offen
	buffer_load_dwordx4 v[2:5], v19, s[8:11], 16 offen
.LBB976_3:
	s_or_b64 exec, exec, s[0:1]
	v_mov_b32_e32 v19, 0
	v_mov_b32_e32 v24, 0
	;; [unrolled: 1-line block ×15, first 2 shown]
	s_and_saveexec_b64 s[0:1], s[2:3]
	s_cbranch_execz .LBB976_5
; %bb.4:
	s_waitcnt vmcnt(3)
	v_cvt_f32_u32_sdwa v18, v14 dst_sel:DWORD dst_unused:UNUSED_PAD src0_sel:WORD_0
	v_cvt_f32_u32_sdwa v19, v14 dst_sel:DWORD dst_unused:UNUSED_PAD src0_sel:WORD_1
	v_cvt_f32_u32_sdwa v24, v15 dst_sel:DWORD dst_unused:UNUSED_PAD src0_sel:WORD_0
	v_cvt_f32_u32_sdwa v25, v15 dst_sel:DWORD dst_unused:UNUSED_PAD src0_sel:WORD_1
	;; [unrolled: 2-line block ×4, first 2 shown]
	s_waitcnt vmcnt(2)
	v_cvt_f32_u32_sdwa v32, v10 dst_sel:DWORD dst_unused:UNUSED_PAD src0_sel:WORD_0
	v_cvt_f32_u32_sdwa v33, v10 dst_sel:DWORD dst_unused:UNUSED_PAD src0_sel:WORD_1
	v_cvt_f32_u32_sdwa v30, v11 dst_sel:DWORD dst_unused:UNUSED_PAD src0_sel:WORD_0
	v_cvt_f32_u32_sdwa v31, v11 dst_sel:DWORD dst_unused:UNUSED_PAD src0_sel:WORD_1
	;; [unrolled: 2-line block ×4, first 2 shown]
.LBB976_5:
	s_or_b64 exec, exec, s[0:1]
	s_waitcnt vmcnt(2)
	v_mul_f32_e32 v10, v19, v19
	v_fmac_f32_e32 v10, v18, v18
	v_fmac_f32_e32 v10, v24, v24
	;; [unrolled: 1-line block ×15, first 2 shown]
	v_and_b32_e32 v12, 63, v0
	v_cmp_eq_u32_e64 s[0:1], 63, v12
	v_mov_b32_dpp v11, v10 quad_perm:[1,0,3,2] row_mask:0xf bank_mask:0xf
	v_add_f32_e32 v10, v10, v11
	s_nop 1
	v_mov_b32_dpp v11, v10 quad_perm:[2,3,0,1] row_mask:0xf bank_mask:0xf
	v_add_f32_e32 v10, v10, v11
	s_nop 1
	v_mov_b32_dpp v11, v10 row_half_mirror row_mask:0xf bank_mask:0xf
	v_add_f32_e32 v10, v10, v11
	s_nop 1
	v_mov_b32_dpp v11, v10 row_mirror row_mask:0xf bank_mask:0xf
	v_add_f32_e32 v10, v10, v11
	s_nop 1
	v_mov_b32_dpp v11, v10 row_bcast:15 row_mask:0xf bank_mask:0xf
	v_add_f32_e32 v10, v10, v11
	s_nop 1
	v_mov_b32_dpp v11, v10 row_bcast:31 row_mask:0xf bank_mask:0xf
	s_and_saveexec_b64 s[8:9], s[0:1]
	s_cbranch_execz .LBB976_7
; %bb.6:
	v_add_f32_e32 v10, v10, v11
	v_lshrrev_b32_e32 v11, 4, v0
	v_and_b32_e32 v11, 60, v11
	ds_write_b32 v11, v10 offset:32
.LBB976_7:
	s_or_b64 exec, exec, s[8:9]
	v_and_b32_e32 v10, 7, v0
	v_lshlrev_b32_e32 v34, 2, v10
	s_waitcnt lgkmcnt(0)
	s_barrier
	ds_read_b32 v10, v34 offset:32
	s_load_dwordx2 s[28:29], s[4:5], 0x18
	s_waitcnt lgkmcnt(0)
	v_mov_b32_dpp v11, v10 quad_perm:[1,0,3,2] row_mask:0xf bank_mask:0xf
	v_add_f32_e32 v10, v10, v11
	s_nop 1
	v_mov_b32_dpp v11, v10 quad_perm:[2,3,0,1] row_mask:0xf bank_mask:0xf
	v_add_f32_e32 v10, v10, v11
	s_nop 1
	v_mov_b32_dpp v11, v10 row_half_mirror row_mask:0xf bank_mask:0xf
	s_and_saveexec_b64 s[8:9], s[2:3]
	s_cbranch_execz .LBB976_9
; %bb.8:
	v_cvt_f32_u32_e32 v12, s7
	v_add_f32_e32 v10, v10, v11
	v_mov_b32_e32 v14, s17
	v_mov_b32_e32 v15, s16
	v_div_scale_f32 v11, s[24:25], v12, v12, v10
	v_rcp_f32_e32 v13, v11
	v_cndmask_b32_e32 v14, v14, v15, vcc
	s_mov_b32 s7, 0x800000
	v_fma_f32 v15, -v11, v13, 1.0
	v_fmac_f32_e32 v13, v15, v13
	v_div_scale_f32 v15, vcc, v10, v12, v10
	v_mul_f32_e32 v16, v15, v13
	v_fma_f32 v17, -v11, v16, v15
	v_fmac_f32_e32 v16, v17, v13
	v_fma_f32 v11, -v11, v16, v15
	v_div_fmas_f32 v11, v11, v13, v16
	v_div_fixup_f32 v10, v11, v12, v10
	v_add_f32_e32 v10, v14, v10
	v_mul_f32_e32 v11, 0x4b800000, v10
	v_cmp_gt_f32_e32 vcc, s7, v10
	v_cndmask_b32_e32 v10, v10, v11, vcc
	v_rsq_f32_e32 v10, v10
	v_mul_f32_e32 v11, 0x45800000, v10
	v_cndmask_b32_e32 v10, v10, v11, vcc
	v_mov_b32_e32 v11, v10
	;;#ASMSTART
	v_pk_mul_f32 v[12:13], v[18:19], v[10:11]
	;;#ASMEND
	;;#ASMSTART
	v_pk_mul_f32 v[14:15], v[24:25], v[10:11]
	;;#ASMEND
	;;#ASMSTART
	v_pk_mul_f32 v[16:17], v[20:21], v[10:11]
	;;#ASMEND
	;;#ASMSTART
	v_pk_mul_f32 v[22:23], v[22:23], v[10:11]
	;;#ASMEND
	;;#ASMSTART
	v_pk_mul_f32 v[32:33], v[32:33], v[10:11]
	;;#ASMEND
	;;#ASMSTART
	v_pk_mul_f32 v[30:31], v[30:31], v[10:11]
	;;#ASMEND
	;;#ASMSTART
	v_pk_mul_f32 v[26:27], v[26:27], v[10:11]
	;;#ASMEND
	;;#ASMSTART
	v_pk_mul_f32 v[10:11], v[28:29], v[10:11]
	;;#ASMEND
	s_waitcnt vmcnt(1)
	v_cvt_f32_u32_sdwa v19, v6 dst_sel:DWORD dst_unused:UNUSED_PAD src0_sel:WORD_1
	v_cvt_f32_u32_sdwa v18, v6 dst_sel:DWORD dst_unused:UNUSED_PAD src0_sel:WORD_0
	v_cvt_f32_u32_sdwa v21, v7 dst_sel:DWORD dst_unused:UNUSED_PAD src0_sel:WORD_1
	v_cvt_f32_u32_sdwa v20, v7 dst_sel:DWORD dst_unused:UNUSED_PAD src0_sel:WORD_0
	;; [unrolled: 2-line block ×4, first 2 shown]
	;;#ASMSTART
	v_pk_mul_f32 v[18:19], v[12:13], v[18:19]
	;;#ASMEND
	;;#ASMSTART
	v_pk_mul_f32 v[24:25], v[14:15], v[20:21]
	;;#ASMEND
	;; [unrolled: 3-line block ×4, first 2 shown]
	s_waitcnt vmcnt(0)
	v_cvt_f32_u32_sdwa v7, v2 dst_sel:DWORD dst_unused:UNUSED_PAD src0_sel:WORD_1
	v_cvt_f32_u32_sdwa v6, v2 dst_sel:DWORD dst_unused:UNUSED_PAD src0_sel:WORD_0
	v_cvt_f32_u32_sdwa v9, v3 dst_sel:DWORD dst_unused:UNUSED_PAD src0_sel:WORD_1
	v_cvt_f32_u32_sdwa v8, v3 dst_sel:DWORD dst_unused:UNUSED_PAD src0_sel:WORD_0
	v_cvt_f32_u32_sdwa v3, v4 dst_sel:DWORD dst_unused:UNUSED_PAD src0_sel:WORD_1
	v_cvt_f32_u32_sdwa v2, v4 dst_sel:DWORD dst_unused:UNUSED_PAD src0_sel:WORD_0
	v_cvt_f32_u32_sdwa v13, v5 dst_sel:DWORD dst_unused:UNUSED_PAD src0_sel:WORD_1
	v_cvt_f32_u32_sdwa v12, v5 dst_sel:DWORD dst_unused:UNUSED_PAD src0_sel:WORD_0
	;;#ASMSTART
	v_pk_mul_f32 v[32:33], v[32:33], v[6:7]
	;;#ASMEND
	;;#ASMSTART
	v_pk_mul_f32 v[30:31], v[30:31], v[8:9]
	;;#ASMEND
	;; [unrolled: 3-line block ×4, first 2 shown]
.LBB976_9:
	s_or_b64 exec, exec, s[8:9]
	s_load_dword s7, s[4:5], 0x80
	s_mov_b64 s[8:9], -1
	s_and_b64 vcc, exec, s[14:15]
	s_cbranch_vccnz .LBB976_13
; %bb.10:
	s_andn2_b64 vcc, exec, s[8:9]
	s_cbranch_vccz .LBB976_16
.LBB976_11:
	s_cmp_lt_i32 s20, 1
	s_cbranch_scc0 .LBB976_25
.LBB976_12:
	s_endpgm
.LBB976_13:
	s_and_saveexec_b64 s[14:15], s[2:3]
	s_cbranch_execz .LBB976_15
; %bb.14:
	s_waitcnt lgkmcnt(0)
	s_mul_hi_i32 s9, s7, s6
	s_mul_i32 s8, s7, s6
	s_lshl_b64 s[8:9], s[8:9], 1
	s_add_u32 s8, s28, s8
	s_addc_u32 s9, s29, s9
	s_mov_b32 s16, 0x7060302
	s_and_b32 s9, s9, 0xffff
	s_mov_b32 s11, 0x20000
	s_waitcnt vmcnt(0)
	v_perm_b32 v5, v23, v22, s16
	v_perm_b32 v4, v21, v20, s16
	;; [unrolled: 1-line block ×4, first 2 shown]
	v_lshlrev_b32_e32 v6, 5, v0
	buffer_store_dwordx4 v[2:5], v6, s[8:11], 0 offen
	;;#ASMSTART
	s_nop 0
	;;#ASMEND
	s_nop 0
	v_perm_b32 v5, v29, v28, s16
	v_perm_b32 v4, v27, v26, s16
	;; [unrolled: 1-line block ×4, first 2 shown]
	buffer_store_dwordx4 v[2:5], v6, s[8:11], 16 offen
	;;#ASMSTART
	s_nop 0
	;;#ASMEND
.LBB976_15:
	s_or_b64 exec, exec, s[14:15]
	s_cbranch_execnz .LBB976_11
.LBB976_16:
	s_load_dwordx4 s[24:27], s[4:5], 0x70
	s_waitcnt vmcnt(0)
	v_mov_b32_e32 v2, 0
	s_and_saveexec_b64 s[14:15], s[2:3]
	s_cbranch_execz .LBB976_18
; %bb.17:
	s_load_dwordx2 s[8:9], s[4:5], 0x10
	s_waitcnt lgkmcnt(0)
	s_mul_hi_i32 s35, s27, s6
	s_mul_i32 s34, s27, s6
	s_lshl_b64 s[34:35], s[34:35], 1
	s_mov_b32 s16, 0x7060302
	s_add_u32 s8, s8, s34
	s_addc_u32 s9, s9, s35
	s_mov_b32 s11, 0x20000
	s_and_b32 s9, s9, 0xffff
	v_perm_b32 v5, v23, v22, s16
	v_perm_b32 v4, v21, v20, s16
	;; [unrolled: 1-line block ×4, first 2 shown]
	v_lshlrev_b32_e32 v6, 5, v0
	buffer_store_dwordx4 v[2:5], v6, s[8:11], 0 offen
	;;#ASMSTART
	s_nop 0
	;;#ASMEND
	s_nop 0
	v_perm_b32 v5, v29, v28, s16
	v_perm_b32 v4, v27, v26, s16
	;; [unrolled: 1-line block ×4, first 2 shown]
	buffer_store_dwordx4 v[2:5], v6, s[8:11], 16 offen
	;;#ASMSTART
	s_nop 0
	;;#ASMEND
	s_nop 0
	v_mov_b32_e32 v2, 0x2edbe6ff
.LBB976_18:
	s_or_b64 exec, exec, s[14:15]
	s_and_saveexec_b64 s[8:9], s[2:3]
	s_cbranch_execz .LBB976_20
; %bb.19:
	v_and_b32_e32 v3, 0x7fffffff, v18
	v_and_b32_e32 v4, 0x7fffffff, v19
	;;#ASMSTART
	v_max3_f32 v2, v2, v3, v4

	;;#ASMEND
	v_and_b32_e32 v3, 0x7fffffff, v24
	v_and_b32_e32 v4, 0x7fffffff, v25
	;;#ASMSTART
	v_max3_f32 v2, v2, v3, v4

	;;#ASMEND
	;; [unrolled: 6-line block ×8, first 2 shown]
.LBB976_20:
	s_or_b64 exec, exec, s[8:9]
	;;#ASMSTART
	v_max_f32 v3, v2, v2 quad_perm:[1,0,3,2] row_mask:0xf bank_mask:0xf bound_ctrl:1
	;;#ASMEND
	;;#ASMSTART
	v_max_f32 v2, v3, v3 quad_perm:[2,3,0,1] row_mask:0xf bank_mask:0xf bound_ctrl:1
	;;#ASMEND
	v_and_b32_e32 v3, 3, v0
	v_cmp_eq_u32_e32 vcc, 0, v3
	v_cmp_gt_i32_e64 s[8:9], s19, v1
	s_and_b64 s[10:11], vcc, s[8:9]
	s_and_saveexec_b64 s[8:9], s[10:11]
	s_cbranch_execz .LBB976_22
; %bb.21:
	s_load_dwordx2 s[10:11], s[4:5], 0x8
	v_mul_f32_e32 v2, 0x3e2aaaab, v2
	v_lshrrev_b32_e32 v3, 23, v2
	v_and_b32_e32 v4, 0x7f800000, v2
	v_and_b32_e32 v2, 0x7fffff, v2
	v_cmp_ne_u32_e32 vcc, 0, v2
	s_waitcnt lgkmcnt(0)
	s_mul_i32 s16, s25, s6
	s_mov_b32 s14, 0x7f800000
	v_addc_co_u32_e32 v2, vcc, 0, v3, vcc
	s_mul_hi_i32 s15, s25, s6
	s_add_u32 s10, s10, s16
	v_cmp_ne_u32_e32 vcc, s14, v4
	s_addc_u32 s11, s11, s15
	v_lshrrev_b32_e32 v5, 2, v0
	v_cndmask_b32_e32 v4, -1, v2, vcc
	v_pk_mov_b32 v[2:3], s[10:11], s[10:11] op_sel:[0,1]
	v_mad_i64_i32 v[2:3], s[10:11], s26, v5, v[2:3]
	global_store_byte v[2:3], v4, off
.LBB976_22:
	s_or_b64 exec, exec, s[8:9]
	s_and_saveexec_b64 s[8:9], s[2:3]
	s_cbranch_execz .LBB976_24
; %bb.23:
	s_load_dwordx2 s[2:3], s[4:5], 0x0
	s_waitcnt lgkmcnt(0)
	s_mul_i32 s11, s24, s6
	s_mul_hi_i32 s10, s24, s6
	v_mov_b32_e32 v2, 0
	v_lshlrev_b32_e32 v4, 3, v0
	s_add_u32 s24, s2, s11
	s_addc_u32 s2, s3, s10
	s_lshr_b32 s3, s19, 31
	s_add_i32 s3, s19, s3
	s_ashr_i32 s3, s3, 1
	s_add_i32 s3, s3, 3
	s_ashr_i32 s10, s3, 31
	s_lshr_b32 s10, s10, 30
	s_add_i32 s3, s3, s10
	s_and_b32 s26, s3, -4
	s_and_b32 s25, s2, 0xffff
	s_mov_b32 s27, 0x20000
	v_mov_b32_e32 v3, v2
	buffer_store_dwordx2 v[2:3], v4, s[24:27], 0 offen
	;;#ASMSTART
	s_nop 0
	;;#ASMEND
.LBB976_24:
	s_or_b64 exec, exec, s[8:9]
	s_cmp_lt_i32 s20, 1
	s_cbranch_scc1 .LBB976_12
.LBB976_25:
	s_load_dword s2, s[4:5], 0x94
	s_waitcnt lgkmcnt(0)
	s_cmp_lg_u32 s2, 1
	s_cbranch_scc1 .LBB976_12
; %bb.26:
	s_lshl_b32 s2, s20, 1
	s_add_i32 s2, s2, 2
	v_cmp_gt_u32_e32 vcc, s20, v1
	s_and_b32 s14, s2, -4
	v_mov_b32_e32 v18, 0
	v_lshlrev_b32_e32 v1, 5, v0
	v_mov_b32_e32 v14, 0
	v_mov_b32_e32 v15, 0
	;; [unrolled: 1-line block ×8, first 2 shown]
	s_waitcnt vmcnt(1)
	v_mov_b32_e32 v6, 0
	v_mov_b32_e32 v7, 0
	;; [unrolled: 1-line block ×4, first 2 shown]
	s_waitcnt vmcnt(0)
	v_mov_b32_e32 v2, 0
	v_mov_b32_e32 v3, 0
	;; [unrolled: 1-line block ×4, first 2 shown]
	s_barrier
	s_and_saveexec_b64 s[2:3], vcc
	s_cbranch_execz .LBB976_28
; %bb.27:
	s_mul_hi_i32 s5, s22, s6
	s_mul_i32 s4, s22, s6
	s_and_b32 s13, s13, 0xffff
	s_lshl_b64 s[4:5], s[4:5], 1
	s_add_u32 s8, s30, s4
	s_mov_b32 s15, 0x20000
	s_addc_u32 s4, s31, s5
	s_and_b32 s9, s4, 0xffff
	s_mov_b32 s10, s14
	s_mov_b32 s11, s15
	buffer_load_dwordx4 v[14:17], v1, s[8:11], 0 offen
	buffer_load_dwordx4 v[10:13], v1, s[8:11], 16 offen
	;; [unrolled: 1-line block ×4, first 2 shown]
.LBB976_28:
	s_or_b64 exec, exec, s[2:3]
	v_mov_b32_e32 v19, 0
	v_mov_b32_e32 v32, 0
	;; [unrolled: 1-line block ×15, first 2 shown]
	s_and_saveexec_b64 s[2:3], vcc
	s_cbranch_execz .LBB976_30
; %bb.29:
	s_waitcnt vmcnt(3)
	v_cvt_f32_u32_sdwa v18, v14 dst_sel:DWORD dst_unused:UNUSED_PAD src0_sel:WORD_0
	v_cvt_f32_u32_sdwa v19, v14 dst_sel:DWORD dst_unused:UNUSED_PAD src0_sel:WORD_1
	v_cvt_f32_u32_sdwa v32, v15 dst_sel:DWORD dst_unused:UNUSED_PAD src0_sel:WORD_0
	v_cvt_f32_u32_sdwa v33, v15 dst_sel:DWORD dst_unused:UNUSED_PAD src0_sel:WORD_1
	;; [unrolled: 2-line block ×4, first 2 shown]
	s_waitcnt vmcnt(2)
	v_cvt_f32_u32_sdwa v26, v10 dst_sel:DWORD dst_unused:UNUSED_PAD src0_sel:WORD_0
	v_cvt_f32_u32_sdwa v27, v10 dst_sel:DWORD dst_unused:UNUSED_PAD src0_sel:WORD_1
	v_cvt_f32_u32_sdwa v24, v11 dst_sel:DWORD dst_unused:UNUSED_PAD src0_sel:WORD_0
	v_cvt_f32_u32_sdwa v25, v11 dst_sel:DWORD dst_unused:UNUSED_PAD src0_sel:WORD_1
	;; [unrolled: 2-line block ×4, first 2 shown]
.LBB976_30:
	s_or_b64 exec, exec, s[2:3]
	s_waitcnt vmcnt(2)
	v_mul_f32_e32 v10, v19, v19
	v_fmac_f32_e32 v10, v18, v18
	v_fmac_f32_e32 v10, v32, v32
	;; [unrolled: 1-line block ×15, first 2 shown]
	s_nop 1
	v_mov_b32_dpp v11, v10 quad_perm:[1,0,3,2] row_mask:0xf bank_mask:0xf
	v_add_f32_e32 v10, v10, v11
	s_nop 1
	v_mov_b32_dpp v11, v10 quad_perm:[2,3,0,1] row_mask:0xf bank_mask:0xf
	v_add_f32_e32 v10, v10, v11
	s_nop 1
	v_mov_b32_dpp v11, v10 row_half_mirror row_mask:0xf bank_mask:0xf
	v_add_f32_e32 v10, v10, v11
	s_nop 1
	v_mov_b32_dpp v11, v10 row_mirror row_mask:0xf bank_mask:0xf
	v_add_f32_e32 v10, v10, v11
	s_nop 1
	v_mov_b32_dpp v11, v10 row_bcast:15 row_mask:0xf bank_mask:0xf
	v_add_f32_e32 v10, v10, v11
	s_nop 1
	v_mov_b32_dpp v11, v10 row_bcast:31 row_mask:0xf bank_mask:0xf
	s_and_saveexec_b64 s[2:3], s[0:1]
	s_cbranch_execz .LBB976_32
; %bb.31:
	v_lshrrev_b32_e32 v0, 4, v0
	v_add_f32_e32 v10, v10, v11
	v_and_b32_e32 v0, 60, v0
	ds_write_b32 v0, v10
.LBB976_32:
	s_or_b64 exec, exec, s[2:3]
	s_waitcnt lgkmcnt(0)
	s_barrier
	ds_read_b32 v0, v34
	s_waitcnt lgkmcnt(0)
	s_nop 0
	v_mov_b32_dpp v10, v0 quad_perm:[1,0,3,2] row_mask:0xf bank_mask:0xf
	v_add_f32_e32 v0, v0, v10
	s_nop 1
	v_mov_b32_dpp v10, v0 quad_perm:[2,3,0,1] row_mask:0xf bank_mask:0xf
	v_add_f32_e32 v0, v0, v10
	s_nop 1
	v_mov_b32_dpp v10, v0 row_half_mirror row_mask:0xf bank_mask:0xf
	s_and_saveexec_b64 s[0:1], vcc
	s_cbranch_execz .LBB976_12
; %bb.33:
	v_cvt_f32_u32_e32 v11, s20
	v_add_f32_e32 v0, v0, v10
	s_mov_b32 s15, 0x20000
	v_div_scale_f32 v10, s[0:1], v11, v11, v0
	v_rcp_f32_e32 v12, v10
	v_div_scale_f32 v13, vcc, v0, v11, v0
	s_mov_b32 s0, 0x800000
	v_fma_f32 v14, -v10, v12, 1.0
	v_fmac_f32_e32 v12, v14, v12
	v_mul_f32_e32 v14, v13, v12
	v_fma_f32 v15, -v10, v14, v13
	v_fmac_f32_e32 v14, v15, v12
	v_fma_f32 v10, -v10, v14, v13
	v_div_fmas_f32 v10, v10, v12, v14
	v_div_fixup_f32 v0, v10, v11, v0
	v_add_f32_e32 v0, s17, v0
	v_mul_f32_e32 v10, 0x4b800000, v0
	v_cmp_gt_f32_e32 vcc, s0, v0
	v_cndmask_b32_e32 v0, v0, v10, vcc
	v_rsq_f32_e32 v0, v0
	s_mul_hi_i32 s1, s7, s6
	s_mul_i32 s0, s7, s6
	s_lshl_b64 s[0:1], s[0:1], 1
	v_mul_f32_e32 v10, 0x45800000, v0
	v_cndmask_b32_e32 v10, v0, v10, vcc
	v_mov_b32_e32 v11, v10
	s_add_u32 s12, s28, s0
	;;#ASMSTART
	v_pk_mul_f32 v[12:13], v[18:19], v[10:11]
	;;#ASMEND
	;;#ASMSTART
	v_pk_mul_f32 v[14:15], v[32:33], v[10:11]
	;;#ASMEND
	;; [unrolled: 3-line block ×8, first 2 shown]
	s_waitcnt vmcnt(1)
	v_cvt_f32_u32_sdwa v21, v6 dst_sel:DWORD dst_unused:UNUSED_PAD src0_sel:WORD_1
	v_cvt_f32_u32_sdwa v20, v6 dst_sel:DWORD dst_unused:UNUSED_PAD src0_sel:WORD_0
	v_cvt_f32_u32_sdwa v29, v7 dst_sel:DWORD dst_unused:UNUSED_PAD src0_sel:WORD_1
	v_cvt_f32_u32_sdwa v28, v7 dst_sel:DWORD dst_unused:UNUSED_PAD src0_sel:WORD_0
	;; [unrolled: 2-line block ×3, first 2 shown]
	s_addc_u32 s0, s29, s1
	v_cvt_f32_u32_sdwa v31, v9 dst_sel:DWORD dst_unused:UNUSED_PAD src0_sel:WORD_1
	v_cvt_f32_u32_sdwa v30, v9 dst_sel:DWORD dst_unused:UNUSED_PAD src0_sel:WORD_0
	;;#ASMSTART
	v_pk_mul_f32 v[8:9], v[12:13], v[20:21]
	;;#ASMEND
	;;#ASMSTART
	v_pk_mul_f32 v[12:13], v[14:15], v[28:29]
	;;#ASMEND
	;; [unrolled: 3-line block ×4, first 2 shown]
	s_waitcnt vmcnt(0)
	v_cvt_f32_u32_sdwa v17, v2 dst_sel:DWORD dst_unused:UNUSED_PAD src0_sel:WORD_1
	v_cvt_f32_u32_sdwa v16, v2 dst_sel:DWORD dst_unused:UNUSED_PAD src0_sel:WORD_0
	v_cvt_f32_u32_sdwa v19, v3 dst_sel:DWORD dst_unused:UNUSED_PAD src0_sel:WORD_1
	v_cvt_f32_u32_sdwa v18, v3 dst_sel:DWORD dst_unused:UNUSED_PAD src0_sel:WORD_0
	;; [unrolled: 2-line block ×3, first 2 shown]
	s_and_b32 s13, s0, 0xffff
	s_mov_b32 s0, 0x7060302
	v_cvt_f32_u32_sdwa v21, v5 dst_sel:DWORD dst_unused:UNUSED_PAD src0_sel:WORD_1
	v_cvt_f32_u32_sdwa v20, v5 dst_sel:DWORD dst_unused:UNUSED_PAD src0_sel:WORD_0
	;;#ASMSTART
	v_pk_mul_f32 v[16:17], v[26:27], v[16:17]
	;;#ASMEND
	;;#ASMSTART
	v_pk_mul_f32 v[18:19], v[24:25], v[18:19]
	;;#ASMEND
	;; [unrolled: 3-line block ×3, first 2 shown]
	v_perm_b32 v2, v9, v8, s0
	v_perm_b32 v3, v13, v12, s0
	;; [unrolled: 1-line block ×4, first 2 shown]
	;;#ASMSTART
	v_pk_mul_f32 v[10:11], v[10:11], v[20:21]
	;;#ASMEND
	buffer_store_dwordx4 v[2:5], v1, s[12:15], 0 offen
	;;#ASMSTART
	s_nop 0
	;;#ASMEND
	s_nop 0
	v_perm_b32 v2, v17, v16, s0
	v_perm_b32 v3, v19, v18, s0
	;; [unrolled: 1-line block ×4, first 2 shown]
	buffer_store_dwordx4 v[2:5], v1, s[12:15], 16 offen
	;;#ASMSTART
	s_nop 0
	;;#ASMEND
	s_endpgm
	.section	.rodata,"a",@progbits
	.p2align	6, 0x0
	.amdhsa_kernel _ZN5aiter35fused_qk_rmsnorm_group_quant_kernelItN4opus5fp4_tELi512ELi16ELi4ELb0ELb1ELb0ELb0ELb0ELb0EEEvPT0_PvPT_S7_S7_PKS6_S9_S9_S9_S9_ffiiiiiiiiiiiii
		.amdhsa_group_segment_fixed_size 64
		.amdhsa_private_segment_fixed_size 0
		.amdhsa_kernarg_size 400
		.amdhsa_user_sgpr_count 6
		.amdhsa_user_sgpr_private_segment_buffer 1
		.amdhsa_user_sgpr_dispatch_ptr 0
		.amdhsa_user_sgpr_queue_ptr 0
		.amdhsa_user_sgpr_kernarg_segment_ptr 1
		.amdhsa_user_sgpr_dispatch_id 0
		.amdhsa_user_sgpr_flat_scratch_init 0
		.amdhsa_user_sgpr_kernarg_preload_length 0
		.amdhsa_user_sgpr_kernarg_preload_offset 0
		.amdhsa_user_sgpr_private_segment_size 0
		.amdhsa_uses_dynamic_stack 0
		.amdhsa_system_sgpr_private_segment_wavefront_offset 0
		.amdhsa_system_sgpr_workgroup_id_x 1
		.amdhsa_system_sgpr_workgroup_id_y 1
		.amdhsa_system_sgpr_workgroup_id_z 0
		.amdhsa_system_sgpr_workgroup_info 0
		.amdhsa_system_vgpr_workitem_id 0
		.amdhsa_next_free_vgpr 35
		.amdhsa_next_free_sgpr 36
		.amdhsa_accum_offset 36
		.amdhsa_reserve_vcc 1
		.amdhsa_reserve_flat_scratch 0
		.amdhsa_float_round_mode_32 0
		.amdhsa_float_round_mode_16_64 0
		.amdhsa_float_denorm_mode_32 3
		.amdhsa_float_denorm_mode_16_64 3
		.amdhsa_dx10_clamp 1
		.amdhsa_ieee_mode 1
		.amdhsa_fp16_overflow 0
		.amdhsa_tg_split 0
		.amdhsa_exception_fp_ieee_invalid_op 0
		.amdhsa_exception_fp_denorm_src 0
		.amdhsa_exception_fp_ieee_div_zero 0
		.amdhsa_exception_fp_ieee_overflow 0
		.amdhsa_exception_fp_ieee_underflow 0
		.amdhsa_exception_fp_ieee_inexact 0
		.amdhsa_exception_int_div_zero 0
	.end_amdhsa_kernel
	.section	.text._ZN5aiter35fused_qk_rmsnorm_group_quant_kernelItN4opus5fp4_tELi512ELi16ELi4ELb0ELb1ELb0ELb0ELb0ELb0EEEvPT0_PvPT_S7_S7_PKS6_S9_S9_S9_S9_ffiiiiiiiiiiiii,"axG",@progbits,_ZN5aiter35fused_qk_rmsnorm_group_quant_kernelItN4opus5fp4_tELi512ELi16ELi4ELb0ELb1ELb0ELb0ELb0ELb0EEEvPT0_PvPT_S7_S7_PKS6_S9_S9_S9_S9_ffiiiiiiiiiiiii,comdat
.Lfunc_end976:
	.size	_ZN5aiter35fused_qk_rmsnorm_group_quant_kernelItN4opus5fp4_tELi512ELi16ELi4ELb0ELb1ELb0ELb0ELb0ELb0EEEvPT0_PvPT_S7_S7_PKS6_S9_S9_S9_S9_ffiiiiiiiiiiiii, .Lfunc_end976-_ZN5aiter35fused_qk_rmsnorm_group_quant_kernelItN4opus5fp4_tELi512ELi16ELi4ELb0ELb1ELb0ELb0ELb0ELb0EEEvPT0_PvPT_S7_S7_PKS6_S9_S9_S9_S9_ffiiiiiiiiiiiii
                                        ; -- End function
	.section	.AMDGPU.csdata,"",@progbits
; Kernel info:
; codeLenInByte = 3344
; NumSgprs: 40
; NumVgprs: 35
; NumAgprs: 0
; TotalNumVgprs: 35
; ScratchSize: 0
; MemoryBound: 0
; FloatMode: 240
; IeeeMode: 1
; LDSByteSize: 64 bytes/workgroup (compile time only)
; SGPRBlocks: 4
; VGPRBlocks: 4
; NumSGPRsForWavesPerEU: 40
; NumVGPRsForWavesPerEU: 35
; AccumOffset: 36
; Occupancy: 8
; WaveLimiterHint : 0
; COMPUTE_PGM_RSRC2:SCRATCH_EN: 0
; COMPUTE_PGM_RSRC2:USER_SGPR: 6
; COMPUTE_PGM_RSRC2:TRAP_HANDLER: 0
; COMPUTE_PGM_RSRC2:TGID_X_EN: 1
; COMPUTE_PGM_RSRC2:TGID_Y_EN: 1
; COMPUTE_PGM_RSRC2:TGID_Z_EN: 0
; COMPUTE_PGM_RSRC2:TIDIG_COMP_CNT: 0
; COMPUTE_PGM_RSRC3_GFX90A:ACCUM_OFFSET: 8
; COMPUTE_PGM_RSRC3_GFX90A:TG_SPLIT: 0
	.section	.text._ZN5aiter35fused_qk_rmsnorm_group_quant_kernelIDF16_DB8_Li512ELi16ELi4ELb0ELb0ELb1ELb0ELb0ELb0EEEvPT0_PvPT_S6_S6_PKS5_S8_S8_S8_S8_ffiiiiiiiiiiiii,"axG",@progbits,_ZN5aiter35fused_qk_rmsnorm_group_quant_kernelIDF16_DB8_Li512ELi16ELi4ELb0ELb0ELb1ELb0ELb0ELb0EEEvPT0_PvPT_S6_S6_PKS5_S8_S8_S8_S8_ffiiiiiiiiiiiii,comdat
	.protected	_ZN5aiter35fused_qk_rmsnorm_group_quant_kernelIDF16_DB8_Li512ELi16ELi4ELb0ELb0ELb1ELb0ELb0ELb0EEEvPT0_PvPT_S6_S6_PKS5_S8_S8_S8_S8_ffiiiiiiiiiiiii ; -- Begin function _ZN5aiter35fused_qk_rmsnorm_group_quant_kernelIDF16_DB8_Li512ELi16ELi4ELb0ELb0ELb1ELb0ELb0ELb0EEEvPT0_PvPT_S6_S6_PKS5_S8_S8_S8_S8_ffiiiiiiiiiiiii
	.globl	_ZN5aiter35fused_qk_rmsnorm_group_quant_kernelIDF16_DB8_Li512ELi16ELi4ELb0ELb0ELb1ELb0ELb0ELb0EEEvPT0_PvPT_S6_S6_PKS5_S8_S8_S8_S8_ffiiiiiiiiiiiii
	.p2align	8
	.type	_ZN5aiter35fused_qk_rmsnorm_group_quant_kernelIDF16_DB8_Li512ELi16ELi4ELb0ELb0ELb1ELb0ELb0ELb0EEEvPT0_PvPT_S6_S6_PKS5_S8_S8_S8_S8_ffiiiiiiiiiiiii,@function
_ZN5aiter35fused_qk_rmsnorm_group_quant_kernelIDF16_DB8_Li512ELi16ELi4ELb0ELb0ELb1ELb0ELb0ELb0EEEvPT0_PvPT_S6_S6_PKS5_S8_S8_S8_S8_ffiiiiiiiiiiiii: ; @_ZN5aiter35fused_qk_rmsnorm_group_quant_kernelIDF16_DB8_Li512ELi16ELi4ELb0ELb0ELb1ELb0ELb0ELb0EEEvPT0_PvPT_S6_S6_PKS5_S8_S8_S8_S8_ffiiiiiiiiiiiii
; %bb.0:
	s_load_dwordx4 s[16:19], s[4:5], 0x50
	s_waitcnt lgkmcnt(0)
	s_cmp_ge_i32 s6, s18
	s_cbranch_scc1 .LBB977_12
; %bb.1:
	s_load_dwordx2 s[12:13], s[4:5], 0x48
	s_load_dwordx2 s[30:31], s[4:5], 0x30
	s_load_dwordx4 s[20:23], s[4:5], 0x60
	s_cmp_lg_u32 s7, 0
	s_cselect_b64 s[14:15], -1, 0
	s_cmp_eq_u32 s7, 0
	s_cselect_b64 vcc, -1, 0
	s_and_b64 s[0:1], vcc, exec
	s_waitcnt lgkmcnt(0)
	s_cselect_b32 s7, s19, s20
	s_add_i32 s0, s7, 1
	s_lshr_b32 s1, s0, 31
	s_add_i32 s0, s0, s1
	s_lshl_b32 s0, s0, 1
	v_lshlrev_b32_e32 v1, 4, v0
	s_and_b32 s10, s0, -4
	v_cmp_gt_i32_e64 s[2:3], s7, v1
	v_mov_b32_e32 v18, 0
	v_mov_b32_e32 v6, 0
	v_mov_b32_e32 v7, 0
	v_mov_b32_e32 v8, 0
	v_mov_b32_e32 v9, 0
	v_mov_b32_e32 v2, 0
	v_mov_b32_e32 v3, 0
	v_mov_b32_e32 v4, 0
	v_mov_b32_e32 v5, 0
	v_mov_b32_e32 v14, 0
	v_mov_b32_e32 v15, 0
	v_mov_b32_e32 v16, 0
	v_mov_b32_e32 v17, 0
	v_mov_b32_e32 v10, 0
	v_mov_b32_e32 v11, 0
	v_mov_b32_e32 v12, 0
	v_mov_b32_e32 v13, 0
	s_and_saveexec_b64 s[0:1], s[2:3]
	s_cbranch_execz .LBB977_3
; %bb.2:
	s_load_dwordx2 s[8:9], s[4:5], 0x28
	s_load_dwordx2 s[26:27], s[4:5], 0x40
	s_and_b64 s[24:25], vcc, exec
	s_cselect_b32 s11, s21, s22
	v_lshlrev_b32_e32 v19, 5, v0
	s_waitcnt lgkmcnt(0)
	s_cselect_b32 s18, s9, s31
	s_cselect_b32 s21, s8, s30
	s_mul_hi_i32 s9, s11, s6
	s_mul_i32 s8, s11, s6
	s_lshl_b64 s[8:9], s[8:9], 1
	s_add_u32 s24, s21, s8
	s_addc_u32 s18, s18, s9
	s_and_b64 s[8:9], vcc, exec
	s_mov_b32 s11, 0x20000
	s_cselect_b32 s8, s26, s12
	s_cselect_b32 s9, s27, s13
	s_and_b32 s25, s18, 0xffff
	s_mov_b32 s26, s10
	s_mov_b32 s27, s11
	s_and_b32 s9, s9, 0xffff
	buffer_load_dwordx4 v[14:17], v19, s[24:27], 0 offen
	buffer_load_dwordx4 v[10:13], v19, s[24:27], 16 offen
	;; [unrolled: 1-line block ×4, first 2 shown]
.LBB977_3:
	s_or_b64 exec, exec, s[0:1]
	v_mov_b32_e32 v19, 0
	v_mov_b32_e32 v32, 0
	;; [unrolled: 1-line block ×15, first 2 shown]
	s_and_saveexec_b64 s[0:1], s[2:3]
	s_cbranch_execz .LBB977_5
; %bb.4:
	s_waitcnt vmcnt(3)
	v_cvt_f32_f16_sdwa v19, v14 dst_sel:DWORD dst_unused:UNUSED_PAD src0_sel:WORD_1
	v_cvt_f32_f16_e32 v18, v14
	v_cvt_f32_f16_sdwa v33, v15 dst_sel:DWORD dst_unused:UNUSED_PAD src0_sel:WORD_1
	v_cvt_f32_f16_e32 v32, v15
	v_cvt_f32_f16_sdwa v27, v16 dst_sel:DWORD dst_unused:UNUSED_PAD src0_sel:WORD_1
	v_cvt_f32_f16_e32 v26, v16
	v_cvt_f32_f16_sdwa v31, v17 dst_sel:DWORD dst_unused:UNUSED_PAD src0_sel:WORD_1
	v_cvt_f32_f16_e32 v30, v17
	s_waitcnt vmcnt(2)
	v_cvt_f32_f16_sdwa v25, v10 dst_sel:DWORD dst_unused:UNUSED_PAD src0_sel:WORD_1
	v_cvt_f32_f16_e32 v24, v10
	v_cvt_f32_f16_sdwa v29, v11 dst_sel:DWORD dst_unused:UNUSED_PAD src0_sel:WORD_1
	v_cvt_f32_f16_e32 v28, v11
	;; [unrolled: 2-line block ×4, first 2 shown]
.LBB977_5:
	s_or_b64 exec, exec, s[0:1]
	s_waitcnt vmcnt(2)
	v_mul_f32_e32 v10, v19, v19
	v_fmac_f32_e32 v10, v18, v18
	v_fmac_f32_e32 v10, v32, v32
	v_fmac_f32_e32 v10, v33, v33
	v_fmac_f32_e32 v10, v26, v26
	v_fmac_f32_e32 v10, v27, v27
	v_fmac_f32_e32 v10, v30, v30
	v_fmac_f32_e32 v10, v31, v31
	v_fmac_f32_e32 v10, v24, v24
	v_fmac_f32_e32 v10, v25, v25
	v_fmac_f32_e32 v10, v28, v28
	v_fmac_f32_e32 v10, v29, v29
	v_fmac_f32_e32 v10, v22, v22
	v_fmac_f32_e32 v10, v23, v23
	v_fmac_f32_e32 v10, v20, v20
	v_fmac_f32_e32 v10, v21, v21
	v_and_b32_e32 v12, 63, v0
	v_cmp_eq_u32_e64 s[0:1], 63, v12
	v_mov_b32_dpp v11, v10 quad_perm:[1,0,3,2] row_mask:0xf bank_mask:0xf
	v_add_f32_e32 v10, v10, v11
	s_nop 1
	v_mov_b32_dpp v11, v10 quad_perm:[2,3,0,1] row_mask:0xf bank_mask:0xf
	v_add_f32_e32 v10, v10, v11
	s_nop 1
	v_mov_b32_dpp v11, v10 row_half_mirror row_mask:0xf bank_mask:0xf
	v_add_f32_e32 v10, v10, v11
	s_nop 1
	v_mov_b32_dpp v11, v10 row_mirror row_mask:0xf bank_mask:0xf
	v_add_f32_e32 v10, v10, v11
	s_nop 1
	v_mov_b32_dpp v11, v10 row_bcast:15 row_mask:0xf bank_mask:0xf
	v_add_f32_e32 v10, v10, v11
	s_nop 1
	v_mov_b32_dpp v11, v10 row_bcast:31 row_mask:0xf bank_mask:0xf
	s_and_saveexec_b64 s[8:9], s[0:1]
	s_cbranch_execz .LBB977_7
; %bb.6:
	v_add_f32_e32 v10, v10, v11
	v_lshrrev_b32_e32 v11, 4, v0
	v_and_b32_e32 v11, 60, v11
	ds_write_b32 v11, v10 offset:32
.LBB977_7:
	s_or_b64 exec, exec, s[8:9]
	v_and_b32_e32 v10, 7, v0
	v_lshlrev_b32_e32 v34, 2, v10
	s_waitcnt lgkmcnt(0)
	s_barrier
	ds_read_b32 v10, v34 offset:32
	s_load_dwordx2 s[28:29], s[4:5], 0x18
	s_waitcnt lgkmcnt(0)
	v_mov_b32_dpp v11, v10 quad_perm:[1,0,3,2] row_mask:0xf bank_mask:0xf
	v_add_f32_e32 v10, v10, v11
	s_nop 1
	v_mov_b32_dpp v11, v10 quad_perm:[2,3,0,1] row_mask:0xf bank_mask:0xf
	v_add_f32_e32 v10, v10, v11
	s_nop 1
	v_mov_b32_dpp v11, v10 row_half_mirror row_mask:0xf bank_mask:0xf
	s_and_saveexec_b64 s[8:9], s[2:3]
	s_cbranch_execz .LBB977_9
; %bb.8:
	v_cvt_f32_u32_e32 v12, s7
	v_add_f32_e32 v10, v10, v11
	v_mov_b32_e32 v14, s17
	v_mov_b32_e32 v15, s16
	v_div_scale_f32 v11, s[24:25], v12, v12, v10
	v_rcp_f32_e32 v13, v11
	v_cndmask_b32_e32 v14, v14, v15, vcc
	s_mov_b32 s7, 0x800000
	v_fma_f32 v15, -v11, v13, 1.0
	v_fmac_f32_e32 v13, v15, v13
	v_div_scale_f32 v15, vcc, v10, v12, v10
	v_mul_f32_e32 v16, v15, v13
	v_fma_f32 v17, -v11, v16, v15
	v_fmac_f32_e32 v16, v17, v13
	v_fma_f32 v11, -v11, v16, v15
	v_div_fmas_f32 v11, v11, v13, v16
	v_div_fixup_f32 v10, v11, v12, v10
	v_add_f32_e32 v10, v14, v10
	v_mul_f32_e32 v11, 0x4b800000, v10
	v_cmp_gt_f32_e32 vcc, s7, v10
	v_cndmask_b32_e32 v10, v10, v11, vcc
	v_rsq_f32_e32 v10, v10
	v_mul_f32_e32 v11, 0x45800000, v10
	v_cndmask_b32_e32 v10, v10, v11, vcc
	v_mov_b32_e32 v11, v10
	;;#ASMSTART
	v_pk_mul_f32 v[12:13], v[18:19], v[10:11]
	;;#ASMEND
	s_waitcnt vmcnt(1)
	v_cvt_f32_f16_sdwa v19, v6 dst_sel:DWORD dst_unused:UNUSED_PAD src0_sel:WORD_1
	v_cvt_f32_f16_e32 v18, v6
	;;#ASMSTART
	v_pk_mul_f32 v[14:15], v[32:33], v[10:11]
	;;#ASMEND
	;;#ASMSTART
	v_pk_mul_f32 v[16:17], v[26:27], v[10:11]
	;;#ASMEND
	v_cvt_f32_f16_sdwa v27, v7 dst_sel:DWORD dst_unused:UNUSED_PAD src0_sel:WORD_1
	v_cvt_f32_f16_e32 v26, v7
	;;#ASMSTART
	v_pk_mul_f32 v[30:31], v[30:31], v[10:11]
	;;#ASMEND
	;;#ASMSTART
	v_pk_mul_f32 v[24:25], v[24:25], v[10:11]
	;;#ASMEND
	;; [unrolled: 3-line block ×5, first 2 shown]
	v_pk_add_f32 v[10:11], v[18:19], 1.0 op_sel_hi:[1,0]
	;;#ASMSTART
	v_pk_mul_f32 v[18:19], v[12:13], v[10:11]
	;;#ASMEND
	v_cvt_f32_f16_sdwa v13, v8 dst_sel:DWORD dst_unused:UNUSED_PAD src0_sel:WORD_1
	v_cvt_f32_f16_e32 v12, v8
	v_cvt_f32_f16_sdwa v21, v9 dst_sel:DWORD dst_unused:UNUSED_PAD src0_sel:WORD_1
	v_cvt_f32_f16_e32 v20, v9
	v_pk_add_f32 v[10:11], v[26:27], 1.0 op_sel_hi:[1,0]
	;;#ASMSTART
	v_pk_mul_f32 v[32:33], v[14:15], v[10:11]
	;;#ASMEND
	s_waitcnt vmcnt(0)
	v_cvt_f32_f16_sdwa v11, v2 dst_sel:DWORD dst_unused:UNUSED_PAD src0_sel:WORD_1
	v_cvt_f32_f16_e32 v10, v2
	v_pk_add_f32 v[8:9], v[12:13], 1.0 op_sel_hi:[1,0]
	;;#ASMSTART
	v_pk_mul_f32 v[26:27], v[16:17], v[8:9]
	;;#ASMEND
	v_pk_add_f32 v[8:9], v[20:21], 1.0 op_sel_hi:[1,0]
	v_cvt_f32_f16_sdwa v13, v3 dst_sel:DWORD dst_unused:UNUSED_PAD src0_sel:WORD_1
	v_cvt_f32_f16_e32 v12, v3
	;;#ASMSTART
	v_pk_mul_f32 v[30:31], v[30:31], v[8:9]
	;;#ASMEND
	v_cvt_f32_f16_sdwa v9, v4 dst_sel:DWORD dst_unused:UNUSED_PAD src0_sel:WORD_1
	v_cvt_f32_f16_e32 v8, v4
	v_pk_add_f32 v[2:3], v[10:11], 1.0 op_sel_hi:[1,0]
	v_cvt_f32_f16_sdwa v11, v5 dst_sel:DWORD dst_unused:UNUSED_PAD src0_sel:WORD_1
	v_cvt_f32_f16_e32 v10, v5
	;;#ASMSTART
	v_pk_mul_f32 v[24:25], v[24:25], v[2:3]
	;;#ASMEND
	v_pk_add_f32 v[2:3], v[12:13], 1.0 op_sel_hi:[1,0]
	;;#ASMSTART
	v_pk_mul_f32 v[28:29], v[28:29], v[2:3]
	;;#ASMEND
	v_pk_add_f32 v[2:3], v[8:9], 1.0 op_sel_hi:[1,0]
	;; [unrolled: 4-line block ×3, first 2 shown]
	;;#ASMSTART
	v_pk_mul_f32 v[20:21], v[6:7], v[2:3]
	;;#ASMEND
.LBB977_9:
	s_or_b64 exec, exec, s[8:9]
	s_load_dword s7, s[4:5], 0x80
	s_mov_b64 s[8:9], -1
	s_and_b64 vcc, exec, s[14:15]
	s_cbranch_vccnz .LBB977_13
; %bb.10:
	s_andn2_b64 vcc, exec, s[8:9]
	s_cbranch_vccz .LBB977_16
.LBB977_11:
	s_cmp_lt_i32 s20, 1
	s_cbranch_scc0 .LBB977_23
.LBB977_12:
	s_endpgm
.LBB977_13:
	s_and_saveexec_b64 s[14:15], s[2:3]
	s_cbranch_execz .LBB977_15
; %bb.14:
	s_waitcnt lgkmcnt(0)
	s_mul_hi_i32 s9, s7, s6
	s_mul_i32 s8, s7, s6
	s_waitcnt vmcnt(0)
	v_cvt_f16_f32_e32 v2, v18
	v_cvt_f16_f32_e32 v3, v32
	;; [unrolled: 1-line block ×8, first 2 shown]
	s_lshl_b64 s[8:9], s[8:9], 1
	s_add_u32 s8, s28, s8
	s_addc_u32 s9, s29, s9
	s_and_b32 s9, s9, 0xffff
	s_mov_b32 s11, 0x20000
	v_pack_b32_f16 v5, v5, v6
	v_pack_b32_f16 v4, v4, v7
	;; [unrolled: 1-line block ×4, first 2 shown]
	v_lshlrev_b32_e32 v6, 5, v0
	buffer_store_dwordx4 v[2:5], v6, s[8:11], 0 offen
	v_cvt_f16_f32_e32 v7, v21
	v_cvt_f16_f32_e32 v2, v24
	;; [unrolled: 1-line block ×8, first 2 shown]
	v_pack_b32_f16 v5, v5, v7
	v_pack_b32_f16 v4, v4, v8
	v_pack_b32_f16 v3, v3, v9
	v_pack_b32_f16 v2, v2, v10
	;;#ASMSTART
	s_nop 0
	;;#ASMEND
	buffer_store_dwordx4 v[2:5], v6, s[8:11], 16 offen
	;;#ASMSTART
	s_nop 0
	;;#ASMEND
.LBB977_15:
	s_or_b64 exec, exec, s[14:15]
	s_cbranch_execnz .LBB977_11
.LBB977_16:
	s_waitcnt vmcnt(0)
	v_mov_b32_e32 v2, 0
	s_and_saveexec_b64 s[8:9], s[2:3]
	s_cbranch_execz .LBB977_18
; %bb.17:
	v_and_b32_e32 v2, 0x7fffffff, v18
	v_and_b32_e32 v3, 0x7fffffff, v19
	v_mov_b32_e32 v4, 0x2edbe6ff
	;;#ASMSTART
	v_max3_f32 v2, v4, v2, v3

	;;#ASMEND
	v_and_b32_e32 v3, 0x7fffffff, v32
	v_and_b32_e32 v4, 0x7fffffff, v33
	;;#ASMSTART
	v_max3_f32 v2, v2, v3, v4

	;;#ASMEND
	v_and_b32_e32 v3, 0x7fffffff, v26
	v_and_b32_e32 v4, 0x7fffffff, v27
	;; [unrolled: 6-line block ×7, first 2 shown]
	;;#ASMSTART
	v_max3_f32 v2, v2, v3, v4

	;;#ASMEND
.LBB977_18:
	s_or_b64 exec, exec, s[8:9]
	s_load_dwordx4 s[24:27], s[4:5], 0x70
	;;#ASMSTART
	v_max_f32 v3, v2, v2 quad_perm:[1,0,3,2] row_mask:0xf bank_mask:0xf bound_ctrl:1
	;;#ASMEND
	;;#ASMSTART
	v_max_f32 v2, v3, v3 quad_perm:[2,3,0,1] row_mask:0xf bank_mask:0xf bound_ctrl:1
	;;#ASMEND
	v_and_b32_e32 v3, 3, v0
	v_cmp_eq_u32_e32 vcc, 0, v3
	v_cmp_gt_i32_e64 s[8:9], s19, v1
	v_mul_f32_e32 v2, 0x3b124925, v2
	s_and_b64 s[10:11], vcc, s[8:9]
	s_and_saveexec_b64 s[8:9], s[10:11]
	s_cbranch_execz .LBB977_20
; %bb.19:
	s_load_dwordx2 s[10:11], s[4:5], 0x8
	s_waitcnt lgkmcnt(0)
	s_mul_hi_i32 s15, s25, s6
	s_mul_i32 s14, s25, s6
	v_lshrrev_b32_e32 v3, 2, v0
	s_lshl_b64 s[14:15], s[14:15], 2
	v_mad_i64_i32 v[4:5], s[26:27], s26, v3, 0
	s_add_u32 s10, s10, s14
	s_addc_u32 s11, s11, s15
	v_lshlrev_b64 v[4:5], 2, v[4:5]
	v_mov_b32_e32 v3, s11
	v_add_co_u32_e32 v4, vcc, s10, v4
	v_addc_co_u32_e32 v5, vcc, v3, v5, vcc
	global_store_dword v[4:5], v2, off
.LBB977_20:
	s_or_b64 exec, exec, s[8:9]
	;;#ASMSTART
	v_rcp_f32 v2, v2
	;;#ASMEND
	s_and_saveexec_b64 s[14:15], s[2:3]
	s_cbranch_execz .LBB977_22
; %bb.21:
	s_load_dwordx2 s[2:3], s[4:5], 0x0
	s_waitcnt lgkmcnt(0)
	s_mul_i32 s8, s24, s6
	s_mul_hi_i32 s9, s24, s6
	v_mov_b32_e32 v3, v2
	;;#ASMSTART
	v_pk_mul_f32 v[4:5], v[18:19], v[2:3]
	;;#ASMEND
	s_add_u32 s8, s2, s8
	s_addc_u32 s2, s3, s9
	s_add_i32 s3, s19, 3
	s_ashr_i32 s10, s3, 31
	v_mov_b32_e32 v10, 0xc3e00000
	v_mov_b32_e32 v11, 0x43e00000
	;;#ASMSTART
	v_med3_f32 v4, v4, v10, v11
v_med3_f32 v5, v5, v10, v11
v_cvt_pk_fp8_f32 v6, v4, v5
	;;#ASMEND
	s_and_b32 s9, s2, 0xffff
	s_lshr_b32 s2, s10, 30
	;;#ASMSTART
	v_pk_mul_f32 v[4:5], v[32:33], v[2:3]
	;;#ASMEND
	s_add_i32 s3, s3, s2
	;;#ASMSTART
	v_med3_f32 v4, v4, v10, v11
v_med3_f32 v5, v5, v10, v11
v_cvt_pk_fp8_f32 v7, v4, v5
	;;#ASMEND
	s_mov_b32 s2, 0x5040100
	v_perm_b32 v4, v7, v6, s2
	s_mov_b32 s2, 0x1060504
	v_perm_b32 v4, v4, v7, s2
	;;#ASMSTART
	v_pk_mul_f32 v[6:7], v[26:27], v[2:3]
	;;#ASMEND
	v_mov_b32_e32 v5, v7
	;;#ASMSTART
	v_med3_f32 v6, v6, v10, v11
v_med3_f32 v5, v5, v10, v11
v_cvt_pk_fp8_f32 v8, v6, v5
	;;#ASMEND
	;;#ASMSTART
	v_pk_mul_f32 v[6:7], v[30:31], v[2:3]
	;;#ASMEND
	v_mov_b32_e32 v5, v7
	;;#ASMSTART
	v_med3_f32 v6, v6, v10, v11
v_med3_f32 v5, v5, v10, v11
v_cvt_pk_fp8_f32 v7, v6, v5
	;;#ASMEND
	s_mov_b32 s2, 0x1000504
	v_perm_b32 v5, v8, v7, s2
	;;#ASMSTART
	v_pk_mul_f32 v[6:7], v[24:25], v[2:3]
	;;#ASMEND
	;;#ASMSTART
	v_med3_f32 v6, v6, v10, v11
v_med3_f32 v7, v7, v10, v11
v_cvt_pk_fp8_f32 v8, v6, v7
	;;#ASMEND
	;;#ASMSTART
	v_pk_mul_f32 v[6:7], v[28:29], v[2:3]
	;;#ASMEND
	;;#ASMSTART
	v_med3_f32 v6, v6, v10, v11
v_med3_f32 v7, v7, v10, v11
v_cvt_pk_fp8_f32 v9, v6, v7
	;;#ASMEND
	v_perm_b32 v6, v8, v9, s2
	;;#ASMSTART
	v_pk_mul_f32 v[8:9], v[22:23], v[2:3]
	;;#ASMEND
	v_mov_b32_e32 v7, v9
	;;#ASMSTART
	v_med3_f32 v8, v8, v10, v11
v_med3_f32 v7, v7, v10, v11
v_cvt_pk_fp8_f32 v9, v8, v7
	;;#ASMEND
	;;#ASMSTART
	v_pk_mul_f32 v[2:3], v[20:21], v[2:3]
	;;#ASMEND
	;;#ASMSTART
	v_med3_f32 v2, v2, v10, v11
v_med3_f32 v3, v3, v10, v11
v_cvt_pk_fp8_f32 v7, v2, v3
	;;#ASMEND
	s_and_b32 s10, s3, -4
	s_mov_b32 s11, 0x20000
	v_perm_b32 v7, v9, v7, s2
	buffer_store_dwordx4 v[4:7], v1, s[8:11], 0 offen
	;;#ASMSTART
	s_nop 0
	;;#ASMEND
.LBB977_22:
	s_or_b64 exec, exec, s[14:15]
	s_cmp_lt_i32 s20, 1
	s_cbranch_scc1 .LBB977_12
.LBB977_23:
	s_load_dword s2, s[4:5], 0x94
	s_waitcnt lgkmcnt(0)
	s_cmp_lg_u32 s2, 1
	s_cbranch_scc1 .LBB977_12
; %bb.24:
	s_lshl_b32 s2, s20, 1
	s_add_i32 s2, s2, 2
	v_cmp_gt_u32_e32 vcc, s20, v1
	s_and_b32 s14, s2, -4
	v_mov_b32_e32 v18, 0
	v_lshlrev_b32_e32 v1, 5, v0
	v_mov_b32_e32 v14, 0
	v_mov_b32_e32 v15, 0
	;; [unrolled: 1-line block ×8, first 2 shown]
	s_waitcnt vmcnt(1)
	v_mov_b32_e32 v6, 0
	v_mov_b32_e32 v7, 0
	v_mov_b32_e32 v8, 0
	v_mov_b32_e32 v9, 0
	s_waitcnt vmcnt(0)
	v_mov_b32_e32 v2, 0
	v_mov_b32_e32 v3, 0
	;; [unrolled: 1-line block ×4, first 2 shown]
	s_barrier
	s_and_saveexec_b64 s[2:3], vcc
	s_cbranch_execz .LBB977_26
; %bb.25:
	s_mul_hi_i32 s5, s22, s6
	s_mul_i32 s4, s22, s6
	s_and_b32 s13, s13, 0xffff
	s_lshl_b64 s[4:5], s[4:5], 1
	s_add_u32 s8, s30, s4
	s_mov_b32 s15, 0x20000
	s_addc_u32 s4, s31, s5
	s_and_b32 s9, s4, 0xffff
	s_mov_b32 s10, s14
	s_mov_b32 s11, s15
	buffer_load_dwordx4 v[14:17], v1, s[8:11], 0 offen
	buffer_load_dwordx4 v[10:13], v1, s[8:11], 16 offen
	;; [unrolled: 1-line block ×4, first 2 shown]
.LBB977_26:
	s_or_b64 exec, exec, s[2:3]
	v_mov_b32_e32 v19, 0
	v_mov_b32_e32 v32, 0
	;; [unrolled: 1-line block ×15, first 2 shown]
	s_and_saveexec_b64 s[2:3], vcc
	s_cbranch_execz .LBB977_28
; %bb.27:
	s_waitcnt vmcnt(3)
	v_cvt_f32_f16_sdwa v19, v14 dst_sel:DWORD dst_unused:UNUSED_PAD src0_sel:WORD_1
	v_cvt_f32_f16_e32 v18, v14
	v_cvt_f32_f16_sdwa v33, v15 dst_sel:DWORD dst_unused:UNUSED_PAD src0_sel:WORD_1
	v_cvt_f32_f16_e32 v32, v15
	v_cvt_f32_f16_sdwa v31, v16 dst_sel:DWORD dst_unused:UNUSED_PAD src0_sel:WORD_1
	v_cvt_f32_f16_e32 v30, v16
	v_cvt_f32_f16_sdwa v29, v17 dst_sel:DWORD dst_unused:UNUSED_PAD src0_sel:WORD_1
	v_cvt_f32_f16_e32 v28, v17
	s_waitcnt vmcnt(2)
	v_cvt_f32_f16_sdwa v27, v10 dst_sel:DWORD dst_unused:UNUSED_PAD src0_sel:WORD_1
	v_cvt_f32_f16_e32 v26, v10
	v_cvt_f32_f16_sdwa v25, v11 dst_sel:DWORD dst_unused:UNUSED_PAD src0_sel:WORD_1
	v_cvt_f32_f16_e32 v24, v11
	;; [unrolled: 2-line block ×4, first 2 shown]
.LBB977_28:
	s_or_b64 exec, exec, s[2:3]
	s_waitcnt vmcnt(2)
	v_mul_f32_e32 v10, v19, v19
	v_fmac_f32_e32 v10, v18, v18
	v_fmac_f32_e32 v10, v32, v32
	;; [unrolled: 1-line block ×15, first 2 shown]
	s_nop 1
	v_mov_b32_dpp v11, v10 quad_perm:[1,0,3,2] row_mask:0xf bank_mask:0xf
	v_add_f32_e32 v10, v10, v11
	s_nop 1
	v_mov_b32_dpp v11, v10 quad_perm:[2,3,0,1] row_mask:0xf bank_mask:0xf
	v_add_f32_e32 v10, v10, v11
	s_nop 1
	v_mov_b32_dpp v11, v10 row_half_mirror row_mask:0xf bank_mask:0xf
	v_add_f32_e32 v10, v10, v11
	s_nop 1
	v_mov_b32_dpp v11, v10 row_mirror row_mask:0xf bank_mask:0xf
	v_add_f32_e32 v10, v10, v11
	s_nop 1
	v_mov_b32_dpp v11, v10 row_bcast:15 row_mask:0xf bank_mask:0xf
	v_add_f32_e32 v10, v10, v11
	s_nop 1
	v_mov_b32_dpp v11, v10 row_bcast:31 row_mask:0xf bank_mask:0xf
	s_and_saveexec_b64 s[2:3], s[0:1]
	s_cbranch_execz .LBB977_30
; %bb.29:
	v_lshrrev_b32_e32 v0, 4, v0
	v_add_f32_e32 v10, v10, v11
	v_and_b32_e32 v0, 60, v0
	ds_write_b32 v0, v10
.LBB977_30:
	s_or_b64 exec, exec, s[2:3]
	s_waitcnt lgkmcnt(0)
	s_barrier
	ds_read_b32 v0, v34
	s_waitcnt lgkmcnt(0)
	s_nop 0
	v_mov_b32_dpp v10, v0 quad_perm:[1,0,3,2] row_mask:0xf bank_mask:0xf
	v_add_f32_e32 v0, v0, v10
	s_nop 1
	v_mov_b32_dpp v10, v0 quad_perm:[2,3,0,1] row_mask:0xf bank_mask:0xf
	v_add_f32_e32 v0, v0, v10
	s_nop 1
	v_mov_b32_dpp v10, v0 row_half_mirror row_mask:0xf bank_mask:0xf
	s_and_saveexec_b64 s[0:1], vcc
	s_cbranch_execz .LBB977_12
; %bb.31:
	v_cvt_f32_u32_e32 v11, s20
	v_add_f32_e32 v0, v0, v10
	s_mov_b32 s15, 0x20000
	v_div_scale_f32 v10, s[0:1], v11, v11, v0
	v_rcp_f32_e32 v12, v10
	v_div_scale_f32 v13, vcc, v0, v11, v0
	s_mov_b32 s0, 0x800000
	v_fma_f32 v14, -v10, v12, 1.0
	v_fmac_f32_e32 v12, v14, v12
	v_mul_f32_e32 v14, v13, v12
	v_fma_f32 v15, -v10, v14, v13
	v_fmac_f32_e32 v14, v15, v12
	v_fma_f32 v10, -v10, v14, v13
	v_div_fmas_f32 v10, v10, v12, v14
	v_div_fixup_f32 v0, v10, v11, v0
	v_add_f32_e32 v0, s17, v0
	v_mul_f32_e32 v10, 0x4b800000, v0
	v_cmp_gt_f32_e32 vcc, s0, v0
	v_cndmask_b32_e32 v0, v0, v10, vcc
	v_rsq_f32_e32 v0, v0
	s_mul_hi_i32 s1, s7, s6
	s_mul_i32 s0, s7, s6
	s_lshl_b64 s[0:1], s[0:1], 1
	v_mul_f32_e32 v10, 0x45800000, v0
	v_cndmask_b32_e32 v10, v0, v10, vcc
	v_mov_b32_e32 v11, v10
	;;#ASMSTART
	v_pk_mul_f32 v[12:13], v[18:19], v[10:11]
	;;#ASMEND
	;;#ASMSTART
	v_pk_mul_f32 v[14:15], v[32:33], v[10:11]
	;;#ASMEND
	;; [unrolled: 3-line block ×4, first 2 shown]
	s_waitcnt vmcnt(1)
	v_cvt_f32_f16_sdwa v29, v6 dst_sel:DWORD dst_unused:UNUSED_PAD src0_sel:WORD_1
	v_cvt_f32_f16_e32 v28, v6
	v_cvt_f32_f16_sdwa v31, v7 dst_sel:DWORD dst_unused:UNUSED_PAD src0_sel:WORD_1
	v_cvt_f32_f16_e32 v30, v7
	;;#ASMSTART
	v_pk_mul_f32 v[26:27], v[26:27], v[10:11]
	;;#ASMEND
	;;#ASMSTART
	v_pk_mul_f32 v[24:25], v[24:25], v[10:11]
	;;#ASMEND
	;; [unrolled: 3-line block ×4, first 2 shown]
	v_cvt_f32_f16_sdwa v21, v8 dst_sel:DWORD dst_unused:UNUSED_PAD src0_sel:WORD_1
	v_cvt_f32_f16_e32 v20, v8
	v_pk_add_f32 v[10:11], v[28:29], 1.0 op_sel_hi:[1,0]
	;;#ASMSTART
	v_pk_mul_f32 v[10:11], v[12:13], v[10:11]
	;;#ASMEND
	v_pk_add_f32 v[12:13], v[30:31], 1.0 op_sel_hi:[1,0]
	v_cvt_f32_f16_sdwa v29, v9 dst_sel:DWORD dst_unused:UNUSED_PAD src0_sel:WORD_1
	v_cvt_f32_f16_e32 v28, v9
	;;#ASMSTART
	v_pk_mul_f32 v[8:9], v[14:15], v[12:13]
	;;#ASMEND
	v_pk_add_f32 v[12:13], v[20:21], 1.0 op_sel_hi:[1,0]
	;;#ASMSTART
	v_pk_mul_f32 v[12:13], v[16:17], v[12:13]
	;;#ASMEND
	s_waitcnt vmcnt(0)
	v_cvt_f32_f16_sdwa v17, v2 dst_sel:DWORD dst_unused:UNUSED_PAD src0_sel:WORD_1
	v_cvt_f32_f16_e32 v16, v2
	v_cvt_f32_f16_sdwa v21, v3 dst_sel:DWORD dst_unused:UNUSED_PAD src0_sel:WORD_1
	v_cvt_f32_f16_e32 v20, v3
	v_pk_add_f32 v[14:15], v[28:29], 1.0 op_sel_hi:[1,0]
	;;#ASMSTART
	v_pk_mul_f32 v[2:3], v[18:19], v[14:15]
	;;#ASMEND
	v_cvt_f32_f16_sdwa v19, v4 dst_sel:DWORD dst_unused:UNUSED_PAD src0_sel:WORD_1
	v_cvt_f32_f16_e32 v18, v4
	v_pk_add_f32 v[14:15], v[16:17], 1.0 op_sel_hi:[1,0]
	v_pk_add_f32 v[16:17], v[20:21], 1.0 op_sel_hi:[1,0]
	v_cvt_f32_f16_sdwa v21, v5 dst_sel:DWORD dst_unused:UNUSED_PAD src0_sel:WORD_1
	v_cvt_f32_f16_e32 v20, v5
	v_pk_add_f32 v[4:5], v[18:19], 1.0 op_sel_hi:[1,0]
	;;#ASMSTART
	v_pk_mul_f32 v[14:15], v[26:27], v[14:15]
	;;#ASMEND
	;;#ASMSTART
	v_pk_mul_f32 v[16:17], v[24:25], v[16:17]
	;;#ASMEND
	;; [unrolled: 3-line block ×3, first 2 shown]
	v_pk_add_f32 v[4:5], v[20:21], 1.0 op_sel_hi:[1,0]
	;;#ASMSTART
	v_pk_mul_f32 v[6:7], v[6:7], v[4:5]
	;;#ASMEND
	v_cvt_f16_f32_e32 v0, v10
	v_cvt_f16_f32_e32 v4, v11
	;; [unrolled: 1-line block ×8, first 2 shown]
	s_add_u32 s12, s28, s0
	s_addc_u32 s0, s29, s1
	s_and_b32 s13, s0, 0xffff
	v_pack_b32_f16 v2, v0, v4
	v_pack_b32_f16 v3, v5, v8
	v_pack_b32_f16 v4, v9, v10
	v_pack_b32_f16 v5, v11, v12
	buffer_store_dwordx4 v[2:5], v1, s[12:15], 0 offen
	v_cvt_f16_f32_e32 v0, v14
	v_cvt_f16_f32_e32 v2, v15
	;; [unrolled: 1-line block ×8, first 2 shown]
	v_pack_b32_f16 v2, v0, v2
	v_pack_b32_f16 v3, v3, v4
	;; [unrolled: 1-line block ×4, first 2 shown]
	;;#ASMSTART
	s_nop 0
	;;#ASMEND
	buffer_store_dwordx4 v[2:5], v1, s[12:15], 16 offen
	;;#ASMSTART
	s_nop 0
	;;#ASMEND
	s_endpgm
	.section	.rodata,"a",@progbits
	.p2align	6, 0x0
	.amdhsa_kernel _ZN5aiter35fused_qk_rmsnorm_group_quant_kernelIDF16_DB8_Li512ELi16ELi4ELb0ELb0ELb1ELb0ELb0ELb0EEEvPT0_PvPT_S6_S6_PKS5_S8_S8_S8_S8_ffiiiiiiiiiiiii
		.amdhsa_group_segment_fixed_size 64
		.amdhsa_private_segment_fixed_size 0
		.amdhsa_kernarg_size 400
		.amdhsa_user_sgpr_count 6
		.amdhsa_user_sgpr_private_segment_buffer 1
		.amdhsa_user_sgpr_dispatch_ptr 0
		.amdhsa_user_sgpr_queue_ptr 0
		.amdhsa_user_sgpr_kernarg_segment_ptr 1
		.amdhsa_user_sgpr_dispatch_id 0
		.amdhsa_user_sgpr_flat_scratch_init 0
		.amdhsa_user_sgpr_kernarg_preload_length 0
		.amdhsa_user_sgpr_kernarg_preload_offset 0
		.amdhsa_user_sgpr_private_segment_size 0
		.amdhsa_uses_dynamic_stack 0
		.amdhsa_system_sgpr_private_segment_wavefront_offset 0
		.amdhsa_system_sgpr_workgroup_id_x 1
		.amdhsa_system_sgpr_workgroup_id_y 1
		.amdhsa_system_sgpr_workgroup_id_z 0
		.amdhsa_system_sgpr_workgroup_info 0
		.amdhsa_system_vgpr_workitem_id 0
		.amdhsa_next_free_vgpr 35
		.amdhsa_next_free_sgpr 32
		.amdhsa_accum_offset 36
		.amdhsa_reserve_vcc 1
		.amdhsa_reserve_flat_scratch 0
		.amdhsa_float_round_mode_32 0
		.amdhsa_float_round_mode_16_64 0
		.amdhsa_float_denorm_mode_32 3
		.amdhsa_float_denorm_mode_16_64 3
		.amdhsa_dx10_clamp 1
		.amdhsa_ieee_mode 1
		.amdhsa_fp16_overflow 0
		.amdhsa_tg_split 0
		.amdhsa_exception_fp_ieee_invalid_op 0
		.amdhsa_exception_fp_denorm_src 0
		.amdhsa_exception_fp_ieee_div_zero 0
		.amdhsa_exception_fp_ieee_overflow 0
		.amdhsa_exception_fp_ieee_underflow 0
		.amdhsa_exception_fp_ieee_inexact 0
		.amdhsa_exception_int_div_zero 0
	.end_amdhsa_kernel
	.section	.text._ZN5aiter35fused_qk_rmsnorm_group_quant_kernelIDF16_DB8_Li512ELi16ELi4ELb0ELb0ELb1ELb0ELb0ELb0EEEvPT0_PvPT_S6_S6_PKS5_S8_S8_S8_S8_ffiiiiiiiiiiiii,"axG",@progbits,_ZN5aiter35fused_qk_rmsnorm_group_quant_kernelIDF16_DB8_Li512ELi16ELi4ELb0ELb0ELb1ELb0ELb0ELb0EEEvPT0_PvPT_S6_S6_PKS5_S8_S8_S8_S8_ffiiiiiiiiiiiii,comdat
.Lfunc_end977:
	.size	_ZN5aiter35fused_qk_rmsnorm_group_quant_kernelIDF16_DB8_Li512ELi16ELi4ELb0ELb0ELb1ELb0ELb0ELb0EEEvPT0_PvPT_S6_S6_PKS5_S8_S8_S8_S8_ffiiiiiiiiiiiii, .Lfunc_end977-_ZN5aiter35fused_qk_rmsnorm_group_quant_kernelIDF16_DB8_Li512ELi16ELi4ELb0ELb0ELb1ELb0ELb0ELb0EEEvPT0_PvPT_S6_S6_PKS5_S8_S8_S8_S8_ffiiiiiiiiiiiii
                                        ; -- End function
	.section	.AMDGPU.csdata,"",@progbits
; Kernel info:
; codeLenInByte = 3580
; NumSgprs: 36
; NumVgprs: 35
; NumAgprs: 0
; TotalNumVgprs: 35
; ScratchSize: 0
; MemoryBound: 0
; FloatMode: 240
; IeeeMode: 1
; LDSByteSize: 64 bytes/workgroup (compile time only)
; SGPRBlocks: 4
; VGPRBlocks: 4
; NumSGPRsForWavesPerEU: 36
; NumVGPRsForWavesPerEU: 35
; AccumOffset: 36
; Occupancy: 8
; WaveLimiterHint : 0
; COMPUTE_PGM_RSRC2:SCRATCH_EN: 0
; COMPUTE_PGM_RSRC2:USER_SGPR: 6
; COMPUTE_PGM_RSRC2:TRAP_HANDLER: 0
; COMPUTE_PGM_RSRC2:TGID_X_EN: 1
; COMPUTE_PGM_RSRC2:TGID_Y_EN: 1
; COMPUTE_PGM_RSRC2:TGID_Z_EN: 0
; COMPUTE_PGM_RSRC2:TIDIG_COMP_CNT: 0
; COMPUTE_PGM_RSRC3_GFX90A:ACCUM_OFFSET: 8
; COMPUTE_PGM_RSRC3_GFX90A:TG_SPLIT: 0
	.section	.text._ZN5aiter35fused_qk_rmsnorm_group_quant_kernelItDB8_Li512ELi16ELi4ELb0ELb0ELb1ELb0ELb0ELb0EEEvPT0_PvPT_S6_S6_PKS5_S8_S8_S8_S8_ffiiiiiiiiiiiii,"axG",@progbits,_ZN5aiter35fused_qk_rmsnorm_group_quant_kernelItDB8_Li512ELi16ELi4ELb0ELb0ELb1ELb0ELb0ELb0EEEvPT0_PvPT_S6_S6_PKS5_S8_S8_S8_S8_ffiiiiiiiiiiiii,comdat
	.protected	_ZN5aiter35fused_qk_rmsnorm_group_quant_kernelItDB8_Li512ELi16ELi4ELb0ELb0ELb1ELb0ELb0ELb0EEEvPT0_PvPT_S6_S6_PKS5_S8_S8_S8_S8_ffiiiiiiiiiiiii ; -- Begin function _ZN5aiter35fused_qk_rmsnorm_group_quant_kernelItDB8_Li512ELi16ELi4ELb0ELb0ELb1ELb0ELb0ELb0EEEvPT0_PvPT_S6_S6_PKS5_S8_S8_S8_S8_ffiiiiiiiiiiiii
	.globl	_ZN5aiter35fused_qk_rmsnorm_group_quant_kernelItDB8_Li512ELi16ELi4ELb0ELb0ELb1ELb0ELb0ELb0EEEvPT0_PvPT_S6_S6_PKS5_S8_S8_S8_S8_ffiiiiiiiiiiiii
	.p2align	8
	.type	_ZN5aiter35fused_qk_rmsnorm_group_quant_kernelItDB8_Li512ELi16ELi4ELb0ELb0ELb1ELb0ELb0ELb0EEEvPT0_PvPT_S6_S6_PKS5_S8_S8_S8_S8_ffiiiiiiiiiiiii,@function
_ZN5aiter35fused_qk_rmsnorm_group_quant_kernelItDB8_Li512ELi16ELi4ELb0ELb0ELb1ELb0ELb0ELb0EEEvPT0_PvPT_S6_S6_PKS5_S8_S8_S8_S8_ffiiiiiiiiiiiii: ; @_ZN5aiter35fused_qk_rmsnorm_group_quant_kernelItDB8_Li512ELi16ELi4ELb0ELb0ELb1ELb0ELb0ELb0EEEvPT0_PvPT_S6_S6_PKS5_S8_S8_S8_S8_ffiiiiiiiiiiiii
; %bb.0:
	s_load_dwordx4 s[16:19], s[4:5], 0x50
	s_waitcnt lgkmcnt(0)
	s_cmp_ge_i32 s6, s18
	s_cbranch_scc1 .LBB978_12
; %bb.1:
	s_load_dwordx2 s[12:13], s[4:5], 0x48
	s_load_dwordx2 s[30:31], s[4:5], 0x30
	s_load_dwordx4 s[20:23], s[4:5], 0x60
	s_cmp_lg_u32 s7, 0
	s_cselect_b64 s[14:15], -1, 0
	s_cmp_eq_u32 s7, 0
	s_cselect_b64 vcc, -1, 0
	s_and_b64 s[0:1], vcc, exec
	s_waitcnt lgkmcnt(0)
	s_cselect_b32 s7, s19, s20
	s_add_i32 s0, s7, 1
	s_lshr_b32 s1, s0, 31
	s_add_i32 s0, s0, s1
	s_lshl_b32 s0, s0, 1
	v_lshlrev_b32_e32 v1, 4, v0
	s_and_b32 s10, s0, -4
	v_cmp_gt_i32_e64 s[2:3], s7, v1
	v_mov_b32_e32 v18, 0
	v_mov_b32_e32 v6, 0
	;; [unrolled: 1-line block ×17, first 2 shown]
	s_and_saveexec_b64 s[0:1], s[2:3]
	s_cbranch_execz .LBB978_3
; %bb.2:
	s_load_dwordx2 s[8:9], s[4:5], 0x28
	s_load_dwordx2 s[26:27], s[4:5], 0x40
	s_and_b64 s[24:25], vcc, exec
	s_cselect_b32 s11, s21, s22
	v_lshlrev_b32_e32 v19, 5, v0
	s_waitcnt lgkmcnt(0)
	s_cselect_b32 s18, s9, s31
	s_cselect_b32 s21, s8, s30
	s_mul_hi_i32 s9, s11, s6
	s_mul_i32 s8, s11, s6
	s_lshl_b64 s[8:9], s[8:9], 1
	s_add_u32 s24, s21, s8
	s_addc_u32 s18, s18, s9
	s_and_b64 s[8:9], vcc, exec
	s_mov_b32 s11, 0x20000
	s_cselect_b32 s8, s26, s12
	s_cselect_b32 s9, s27, s13
	s_and_b32 s25, s18, 0xffff
	s_mov_b32 s26, s10
	s_mov_b32 s27, s11
	s_and_b32 s9, s9, 0xffff
	buffer_load_dwordx4 v[14:17], v19, s[24:27], 0 offen
	buffer_load_dwordx4 v[10:13], v19, s[24:27], 16 offen
	;; [unrolled: 1-line block ×4, first 2 shown]
.LBB978_3:
	s_or_b64 exec, exec, s[0:1]
	v_mov_b32_e32 v19, 0
	v_mov_b32_e32 v32, 0
	;; [unrolled: 1-line block ×15, first 2 shown]
	s_and_saveexec_b64 s[0:1], s[2:3]
	s_cbranch_execz .LBB978_5
; %bb.4:
	s_waitcnt vmcnt(3)
	v_cvt_f32_u32_sdwa v18, v14 dst_sel:DWORD dst_unused:UNUSED_PAD src0_sel:WORD_0
	v_cvt_f32_u32_sdwa v19, v14 dst_sel:DWORD dst_unused:UNUSED_PAD src0_sel:WORD_1
	v_cvt_f32_u32_sdwa v32, v15 dst_sel:DWORD dst_unused:UNUSED_PAD src0_sel:WORD_0
	v_cvt_f32_u32_sdwa v33, v15 dst_sel:DWORD dst_unused:UNUSED_PAD src0_sel:WORD_1
	;; [unrolled: 2-line block ×4, first 2 shown]
	s_waitcnt vmcnt(2)
	v_cvt_f32_u32_sdwa v24, v10 dst_sel:DWORD dst_unused:UNUSED_PAD src0_sel:WORD_0
	v_cvt_f32_u32_sdwa v25, v10 dst_sel:DWORD dst_unused:UNUSED_PAD src0_sel:WORD_1
	v_cvt_f32_u32_sdwa v28, v11 dst_sel:DWORD dst_unused:UNUSED_PAD src0_sel:WORD_0
	v_cvt_f32_u32_sdwa v29, v11 dst_sel:DWORD dst_unused:UNUSED_PAD src0_sel:WORD_1
	v_cvt_f32_u32_sdwa v22, v12 dst_sel:DWORD dst_unused:UNUSED_PAD src0_sel:WORD_0
	v_cvt_f32_u32_sdwa v23, v12 dst_sel:DWORD dst_unused:UNUSED_PAD src0_sel:WORD_1
	v_cvt_f32_u32_sdwa v20, v13 dst_sel:DWORD dst_unused:UNUSED_PAD src0_sel:WORD_0
	v_cvt_f32_u32_sdwa v21, v13 dst_sel:DWORD dst_unused:UNUSED_PAD src0_sel:WORD_1
.LBB978_5:
	s_or_b64 exec, exec, s[0:1]
	s_waitcnt vmcnt(2)
	v_mul_f32_e32 v10, v19, v19
	v_fmac_f32_e32 v10, v18, v18
	v_fmac_f32_e32 v10, v32, v32
	;; [unrolled: 1-line block ×15, first 2 shown]
	v_and_b32_e32 v12, 63, v0
	v_cmp_eq_u32_e64 s[0:1], 63, v12
	v_mov_b32_dpp v11, v10 quad_perm:[1,0,3,2] row_mask:0xf bank_mask:0xf
	v_add_f32_e32 v10, v10, v11
	s_nop 1
	v_mov_b32_dpp v11, v10 quad_perm:[2,3,0,1] row_mask:0xf bank_mask:0xf
	v_add_f32_e32 v10, v10, v11
	s_nop 1
	v_mov_b32_dpp v11, v10 row_half_mirror row_mask:0xf bank_mask:0xf
	v_add_f32_e32 v10, v10, v11
	s_nop 1
	v_mov_b32_dpp v11, v10 row_mirror row_mask:0xf bank_mask:0xf
	v_add_f32_e32 v10, v10, v11
	s_nop 1
	v_mov_b32_dpp v11, v10 row_bcast:15 row_mask:0xf bank_mask:0xf
	v_add_f32_e32 v10, v10, v11
	s_nop 1
	v_mov_b32_dpp v11, v10 row_bcast:31 row_mask:0xf bank_mask:0xf
	s_and_saveexec_b64 s[8:9], s[0:1]
	s_cbranch_execz .LBB978_7
; %bb.6:
	v_add_f32_e32 v10, v10, v11
	v_lshrrev_b32_e32 v11, 4, v0
	v_and_b32_e32 v11, 60, v11
	ds_write_b32 v11, v10 offset:32
.LBB978_7:
	s_or_b64 exec, exec, s[8:9]
	v_and_b32_e32 v10, 7, v0
	v_lshlrev_b32_e32 v34, 2, v10
	s_waitcnt lgkmcnt(0)
	s_barrier
	ds_read_b32 v10, v34 offset:32
	s_load_dwordx2 s[28:29], s[4:5], 0x18
	s_waitcnt lgkmcnt(0)
	v_mov_b32_dpp v11, v10 quad_perm:[1,0,3,2] row_mask:0xf bank_mask:0xf
	v_add_f32_e32 v10, v10, v11
	s_nop 1
	v_mov_b32_dpp v11, v10 quad_perm:[2,3,0,1] row_mask:0xf bank_mask:0xf
	v_add_f32_e32 v10, v10, v11
	s_nop 1
	v_mov_b32_dpp v11, v10 row_half_mirror row_mask:0xf bank_mask:0xf
	s_and_saveexec_b64 s[8:9], s[2:3]
	s_cbranch_execz .LBB978_9
; %bb.8:
	v_cvt_f32_u32_e32 v12, s7
	v_add_f32_e32 v10, v10, v11
	v_mov_b32_e32 v14, s17
	v_mov_b32_e32 v15, s16
	v_div_scale_f32 v11, s[24:25], v12, v12, v10
	v_rcp_f32_e32 v13, v11
	v_cndmask_b32_e32 v14, v14, v15, vcc
	s_mov_b32 s7, 0x800000
	v_fma_f32 v15, -v11, v13, 1.0
	v_fmac_f32_e32 v13, v15, v13
	v_div_scale_f32 v15, vcc, v10, v12, v10
	v_mul_f32_e32 v16, v15, v13
	v_fma_f32 v17, -v11, v16, v15
	v_fmac_f32_e32 v16, v17, v13
	v_fma_f32 v11, -v11, v16, v15
	v_div_fmas_f32 v11, v11, v13, v16
	v_div_fixup_f32 v10, v11, v12, v10
	v_add_f32_e32 v10, v14, v10
	v_mul_f32_e32 v11, 0x4b800000, v10
	v_cmp_gt_f32_e32 vcc, s7, v10
	v_cndmask_b32_e32 v10, v10, v11, vcc
	v_rsq_f32_e32 v10, v10
	v_mul_f32_e32 v11, 0x45800000, v10
	v_cndmask_b32_e32 v10, v10, v11, vcc
	v_mov_b32_e32 v11, v10
	;;#ASMSTART
	v_pk_mul_f32 v[12:13], v[18:19], v[10:11]
	;;#ASMEND
	s_waitcnt vmcnt(1)
	v_cvt_f32_u32_sdwa v19, v6 dst_sel:DWORD dst_unused:UNUSED_PAD src0_sel:WORD_1
	v_cvt_f32_u32_sdwa v18, v6 dst_sel:DWORD dst_unused:UNUSED_PAD src0_sel:WORD_0
	;;#ASMSTART
	v_pk_mul_f32 v[14:15], v[32:33], v[10:11]
	;;#ASMEND
	;;#ASMSTART
	v_pk_mul_f32 v[16:17], v[26:27], v[10:11]
	;;#ASMEND
	v_cvt_f32_u32_sdwa v27, v7 dst_sel:DWORD dst_unused:UNUSED_PAD src0_sel:WORD_1
	v_cvt_f32_u32_sdwa v26, v7 dst_sel:DWORD dst_unused:UNUSED_PAD src0_sel:WORD_0
	;;#ASMSTART
	v_pk_mul_f32 v[30:31], v[30:31], v[10:11]
	;;#ASMEND
	;;#ASMSTART
	v_pk_mul_f32 v[24:25], v[24:25], v[10:11]
	;;#ASMEND
	;; [unrolled: 3-line block ×5, first 2 shown]
	v_pk_add_f32 v[10:11], v[18:19], 1.0 op_sel_hi:[1,0]
	;;#ASMSTART
	v_pk_mul_f32 v[18:19], v[12:13], v[10:11]
	;;#ASMEND
	v_cvt_f32_u32_sdwa v13, v8 dst_sel:DWORD dst_unused:UNUSED_PAD src0_sel:WORD_1
	v_cvt_f32_u32_sdwa v12, v8 dst_sel:DWORD dst_unused:UNUSED_PAD src0_sel:WORD_0
	v_cvt_f32_u32_sdwa v21, v9 dst_sel:DWORD dst_unused:UNUSED_PAD src0_sel:WORD_1
	v_cvt_f32_u32_sdwa v20, v9 dst_sel:DWORD dst_unused:UNUSED_PAD src0_sel:WORD_0
	v_pk_add_f32 v[10:11], v[26:27], 1.0 op_sel_hi:[1,0]
	;;#ASMSTART
	v_pk_mul_f32 v[32:33], v[14:15], v[10:11]
	;;#ASMEND
	s_waitcnt vmcnt(0)
	v_cvt_f32_u32_sdwa v11, v2 dst_sel:DWORD dst_unused:UNUSED_PAD src0_sel:WORD_1
	v_cvt_f32_u32_sdwa v10, v2 dst_sel:DWORD dst_unused:UNUSED_PAD src0_sel:WORD_0
	v_pk_add_f32 v[8:9], v[12:13], 1.0 op_sel_hi:[1,0]
	;;#ASMSTART
	v_pk_mul_f32 v[26:27], v[16:17], v[8:9]
	;;#ASMEND
	v_pk_add_f32 v[8:9], v[20:21], 1.0 op_sel_hi:[1,0]
	v_cvt_f32_u32_sdwa v13, v3 dst_sel:DWORD dst_unused:UNUSED_PAD src0_sel:WORD_1
	v_cvt_f32_u32_sdwa v12, v3 dst_sel:DWORD dst_unused:UNUSED_PAD src0_sel:WORD_0
	;;#ASMSTART
	v_pk_mul_f32 v[30:31], v[30:31], v[8:9]
	;;#ASMEND
	v_cvt_f32_u32_sdwa v9, v4 dst_sel:DWORD dst_unused:UNUSED_PAD src0_sel:WORD_1
	v_cvt_f32_u32_sdwa v8, v4 dst_sel:DWORD dst_unused:UNUSED_PAD src0_sel:WORD_0
	v_pk_add_f32 v[2:3], v[10:11], 1.0 op_sel_hi:[1,0]
	v_cvt_f32_u32_sdwa v11, v5 dst_sel:DWORD dst_unused:UNUSED_PAD src0_sel:WORD_1
	v_cvt_f32_u32_sdwa v10, v5 dst_sel:DWORD dst_unused:UNUSED_PAD src0_sel:WORD_0
	;;#ASMSTART
	v_pk_mul_f32 v[24:25], v[24:25], v[2:3]
	;;#ASMEND
	v_pk_add_f32 v[2:3], v[12:13], 1.0 op_sel_hi:[1,0]
	;;#ASMSTART
	v_pk_mul_f32 v[28:29], v[28:29], v[2:3]
	;;#ASMEND
	v_pk_add_f32 v[2:3], v[8:9], 1.0 op_sel_hi:[1,0]
	;; [unrolled: 4-line block ×3, first 2 shown]
	;;#ASMSTART
	v_pk_mul_f32 v[20:21], v[6:7], v[2:3]
	;;#ASMEND
.LBB978_9:
	s_or_b64 exec, exec, s[8:9]
	s_load_dword s7, s[4:5], 0x80
	s_mov_b64 s[8:9], -1
	s_and_b64 vcc, exec, s[14:15]
	s_cbranch_vccnz .LBB978_13
; %bb.10:
	s_andn2_b64 vcc, exec, s[8:9]
	s_cbranch_vccz .LBB978_16
.LBB978_11:
	s_cmp_lt_i32 s20, 1
	s_cbranch_scc0 .LBB978_23
.LBB978_12:
	s_endpgm
.LBB978_13:
	s_and_saveexec_b64 s[14:15], s[2:3]
	s_cbranch_execz .LBB978_15
; %bb.14:
	s_waitcnt lgkmcnt(0)
	s_mul_hi_i32 s9, s7, s6
	s_mul_i32 s8, s7, s6
	s_lshl_b64 s[8:9], s[8:9], 1
	s_add_u32 s8, s28, s8
	s_addc_u32 s9, s29, s9
	s_mov_b32 s16, 0x7060302
	s_and_b32 s9, s9, 0xffff
	s_mov_b32 s11, 0x20000
	s_waitcnt vmcnt(0)
	v_perm_b32 v5, v31, v30, s16
	v_perm_b32 v4, v27, v26, s16
	;; [unrolled: 1-line block ×4, first 2 shown]
	v_lshlrev_b32_e32 v6, 5, v0
	buffer_store_dwordx4 v[2:5], v6, s[8:11], 0 offen
	;;#ASMSTART
	s_nop 0
	;;#ASMEND
	s_nop 0
	v_perm_b32 v5, v21, v20, s16
	v_perm_b32 v4, v23, v22, s16
	;; [unrolled: 1-line block ×4, first 2 shown]
	buffer_store_dwordx4 v[2:5], v6, s[8:11], 16 offen
	;;#ASMSTART
	s_nop 0
	;;#ASMEND
.LBB978_15:
	s_or_b64 exec, exec, s[14:15]
	s_cbranch_execnz .LBB978_11
.LBB978_16:
	s_waitcnt vmcnt(0)
	v_mov_b32_e32 v2, 0
	s_and_saveexec_b64 s[8:9], s[2:3]
	s_cbranch_execz .LBB978_18
; %bb.17:
	v_and_b32_e32 v2, 0x7fffffff, v18
	v_and_b32_e32 v3, 0x7fffffff, v19
	v_mov_b32_e32 v4, 0x2edbe6ff
	;;#ASMSTART
	v_max3_f32 v2, v4, v2, v3

	;;#ASMEND
	v_and_b32_e32 v3, 0x7fffffff, v32
	v_and_b32_e32 v4, 0x7fffffff, v33
	;;#ASMSTART
	v_max3_f32 v2, v2, v3, v4

	;;#ASMEND
	v_and_b32_e32 v3, 0x7fffffff, v26
	v_and_b32_e32 v4, 0x7fffffff, v27
	;; [unrolled: 6-line block ×7, first 2 shown]
	;;#ASMSTART
	v_max3_f32 v2, v2, v3, v4

	;;#ASMEND
.LBB978_18:
	s_or_b64 exec, exec, s[8:9]
	s_load_dwordx4 s[24:27], s[4:5], 0x70
	;;#ASMSTART
	v_max_f32 v3, v2, v2 quad_perm:[1,0,3,2] row_mask:0xf bank_mask:0xf bound_ctrl:1
	;;#ASMEND
	;;#ASMSTART
	v_max_f32 v2, v3, v3 quad_perm:[2,3,0,1] row_mask:0xf bank_mask:0xf bound_ctrl:1
	;;#ASMEND
	v_and_b32_e32 v3, 3, v0
	v_cmp_eq_u32_e32 vcc, 0, v3
	v_cmp_gt_i32_e64 s[8:9], s19, v1
	v_mul_f32_e32 v2, 0x3b124925, v2
	s_and_b64 s[10:11], vcc, s[8:9]
	s_and_saveexec_b64 s[8:9], s[10:11]
	s_cbranch_execz .LBB978_20
; %bb.19:
	s_load_dwordx2 s[10:11], s[4:5], 0x8
	s_waitcnt lgkmcnt(0)
	s_mul_hi_i32 s15, s25, s6
	s_mul_i32 s14, s25, s6
	v_lshrrev_b32_e32 v3, 2, v0
	s_lshl_b64 s[14:15], s[14:15], 2
	v_mad_i64_i32 v[4:5], s[26:27], s26, v3, 0
	s_add_u32 s10, s10, s14
	s_addc_u32 s11, s11, s15
	v_lshlrev_b64 v[4:5], 2, v[4:5]
	v_mov_b32_e32 v3, s11
	v_add_co_u32_e32 v4, vcc, s10, v4
	v_addc_co_u32_e32 v5, vcc, v3, v5, vcc
	global_store_dword v[4:5], v2, off
.LBB978_20:
	s_or_b64 exec, exec, s[8:9]
	;;#ASMSTART
	v_rcp_f32 v2, v2
	;;#ASMEND
	s_and_saveexec_b64 s[14:15], s[2:3]
	s_cbranch_execz .LBB978_22
; %bb.21:
	s_load_dwordx2 s[2:3], s[4:5], 0x0
	s_waitcnt lgkmcnt(0)
	s_mul_i32 s8, s24, s6
	s_mul_hi_i32 s9, s24, s6
	v_mov_b32_e32 v3, v2
	;;#ASMSTART
	v_pk_mul_f32 v[4:5], v[18:19], v[2:3]
	;;#ASMEND
	s_add_u32 s8, s2, s8
	s_addc_u32 s2, s3, s9
	s_add_i32 s3, s19, 3
	s_ashr_i32 s10, s3, 31
	v_mov_b32_e32 v10, 0xc3e00000
	v_mov_b32_e32 v11, 0x43e00000
	;;#ASMSTART
	v_med3_f32 v4, v4, v10, v11
v_med3_f32 v5, v5, v10, v11
v_cvt_pk_fp8_f32 v6, v4, v5
	;;#ASMEND
	s_and_b32 s9, s2, 0xffff
	s_lshr_b32 s2, s10, 30
	;;#ASMSTART
	v_pk_mul_f32 v[4:5], v[32:33], v[2:3]
	;;#ASMEND
	s_add_i32 s3, s3, s2
	;;#ASMSTART
	v_med3_f32 v4, v4, v10, v11
v_med3_f32 v5, v5, v10, v11
v_cvt_pk_fp8_f32 v7, v4, v5
	;;#ASMEND
	s_mov_b32 s2, 0x5040100
	v_perm_b32 v4, v7, v6, s2
	s_mov_b32 s2, 0x1060504
	v_perm_b32 v4, v4, v7, s2
	;;#ASMSTART
	v_pk_mul_f32 v[6:7], v[26:27], v[2:3]
	;;#ASMEND
	v_mov_b32_e32 v5, v6
	;;#ASMSTART
	v_med3_f32 v5, v5, v10, v11
v_med3_f32 v7, v7, v10, v11
v_cvt_pk_fp8_f32 v8, v5, v7
	;;#ASMEND
	;;#ASMSTART
	v_pk_mul_f32 v[6:7], v[30:31], v[2:3]
	;;#ASMEND
	v_mov_b32_e32 v5, v7
	;;#ASMSTART
	v_med3_f32 v6, v6, v10, v11
v_med3_f32 v5, v5, v10, v11
v_cvt_pk_fp8_f32 v7, v6, v5
	;;#ASMEND
	s_mov_b32 s2, 0x1000504
	v_perm_b32 v5, v8, v7, s2
	;;#ASMSTART
	v_pk_mul_f32 v[6:7], v[24:25], v[2:3]
	;;#ASMEND
	;;#ASMSTART
	v_med3_f32 v6, v6, v10, v11
v_med3_f32 v7, v7, v10, v11
v_cvt_pk_fp8_f32 v8, v6, v7
	;;#ASMEND
	;;#ASMSTART
	v_pk_mul_f32 v[6:7], v[28:29], v[2:3]
	;;#ASMEND
	;;#ASMSTART
	v_med3_f32 v6, v6, v10, v11
v_med3_f32 v7, v7, v10, v11
v_cvt_pk_fp8_f32 v9, v6, v7
	;;#ASMEND
	v_perm_b32 v6, v8, v9, s2
	;;#ASMSTART
	v_pk_mul_f32 v[8:9], v[22:23], v[2:3]
	;;#ASMEND
	v_mov_b32_e32 v7, v8
	;;#ASMSTART
	v_med3_f32 v7, v7, v10, v11
v_med3_f32 v9, v9, v10, v11
v_cvt_pk_fp8_f32 v8, v7, v9
	;;#ASMEND
	;;#ASMSTART
	v_pk_mul_f32 v[2:3], v[20:21], v[2:3]
	;;#ASMEND
	;;#ASMSTART
	v_med3_f32 v2, v2, v10, v11
v_med3_f32 v3, v3, v10, v11
v_cvt_pk_fp8_f32 v7, v2, v3
	;;#ASMEND
	s_and_b32 s10, s3, -4
	s_mov_b32 s11, 0x20000
	v_perm_b32 v7, v8, v7, s2
	buffer_store_dwordx4 v[4:7], v1, s[8:11], 0 offen
	;;#ASMSTART
	s_nop 0
	;;#ASMEND
.LBB978_22:
	s_or_b64 exec, exec, s[14:15]
	s_cmp_lt_i32 s20, 1
	s_cbranch_scc1 .LBB978_12
.LBB978_23:
	s_load_dword s2, s[4:5], 0x94
	s_waitcnt lgkmcnt(0)
	s_cmp_lg_u32 s2, 1
	s_cbranch_scc1 .LBB978_12
; %bb.24:
	s_lshl_b32 s2, s20, 1
	s_add_i32 s2, s2, 2
	v_cmp_gt_u32_e32 vcc, s20, v1
	s_and_b32 s14, s2, -4
	v_mov_b32_e32 v18, 0
	v_lshlrev_b32_e32 v1, 5, v0
	v_mov_b32_e32 v14, 0
	v_mov_b32_e32 v15, 0
	;; [unrolled: 1-line block ×8, first 2 shown]
	s_waitcnt vmcnt(1)
	v_mov_b32_e32 v6, 0
	v_mov_b32_e32 v7, 0
	;; [unrolled: 1-line block ×4, first 2 shown]
	s_waitcnt vmcnt(0)
	v_mov_b32_e32 v2, 0
	v_mov_b32_e32 v3, 0
	;; [unrolled: 1-line block ×4, first 2 shown]
	s_barrier
	s_and_saveexec_b64 s[2:3], vcc
	s_cbranch_execz .LBB978_26
; %bb.25:
	s_mul_hi_i32 s5, s22, s6
	s_mul_i32 s4, s22, s6
	s_and_b32 s13, s13, 0xffff
	s_lshl_b64 s[4:5], s[4:5], 1
	s_add_u32 s8, s30, s4
	s_mov_b32 s15, 0x20000
	s_addc_u32 s4, s31, s5
	s_and_b32 s9, s4, 0xffff
	s_mov_b32 s10, s14
	s_mov_b32 s11, s15
	buffer_load_dwordx4 v[14:17], v1, s[8:11], 0 offen
	buffer_load_dwordx4 v[10:13], v1, s[8:11], 16 offen
	;; [unrolled: 1-line block ×4, first 2 shown]
.LBB978_26:
	s_or_b64 exec, exec, s[2:3]
	v_mov_b32_e32 v19, 0
	v_mov_b32_e32 v32, 0
	;; [unrolled: 1-line block ×15, first 2 shown]
	s_and_saveexec_b64 s[2:3], vcc
	s_cbranch_execz .LBB978_28
; %bb.27:
	s_waitcnt vmcnt(3)
	v_cvt_f32_u32_sdwa v18, v14 dst_sel:DWORD dst_unused:UNUSED_PAD src0_sel:WORD_0
	v_cvt_f32_u32_sdwa v19, v14 dst_sel:DWORD dst_unused:UNUSED_PAD src0_sel:WORD_1
	v_cvt_f32_u32_sdwa v32, v15 dst_sel:DWORD dst_unused:UNUSED_PAD src0_sel:WORD_0
	v_cvt_f32_u32_sdwa v33, v15 dst_sel:DWORD dst_unused:UNUSED_PAD src0_sel:WORD_1
	;; [unrolled: 2-line block ×4, first 2 shown]
	s_waitcnt vmcnt(2)
	v_cvt_f32_u32_sdwa v26, v10 dst_sel:DWORD dst_unused:UNUSED_PAD src0_sel:WORD_0
	v_cvt_f32_u32_sdwa v27, v10 dst_sel:DWORD dst_unused:UNUSED_PAD src0_sel:WORD_1
	v_cvt_f32_u32_sdwa v24, v11 dst_sel:DWORD dst_unused:UNUSED_PAD src0_sel:WORD_0
	v_cvt_f32_u32_sdwa v25, v11 dst_sel:DWORD dst_unused:UNUSED_PAD src0_sel:WORD_1
	;; [unrolled: 2-line block ×4, first 2 shown]
.LBB978_28:
	s_or_b64 exec, exec, s[2:3]
	s_waitcnt vmcnt(2)
	v_mul_f32_e32 v10, v19, v19
	v_fmac_f32_e32 v10, v18, v18
	v_fmac_f32_e32 v10, v32, v32
	;; [unrolled: 1-line block ×15, first 2 shown]
	s_nop 1
	v_mov_b32_dpp v11, v10 quad_perm:[1,0,3,2] row_mask:0xf bank_mask:0xf
	v_add_f32_e32 v10, v10, v11
	s_nop 1
	v_mov_b32_dpp v11, v10 quad_perm:[2,3,0,1] row_mask:0xf bank_mask:0xf
	v_add_f32_e32 v10, v10, v11
	s_nop 1
	v_mov_b32_dpp v11, v10 row_half_mirror row_mask:0xf bank_mask:0xf
	v_add_f32_e32 v10, v10, v11
	s_nop 1
	v_mov_b32_dpp v11, v10 row_mirror row_mask:0xf bank_mask:0xf
	v_add_f32_e32 v10, v10, v11
	s_nop 1
	v_mov_b32_dpp v11, v10 row_bcast:15 row_mask:0xf bank_mask:0xf
	v_add_f32_e32 v10, v10, v11
	s_nop 1
	v_mov_b32_dpp v11, v10 row_bcast:31 row_mask:0xf bank_mask:0xf
	s_and_saveexec_b64 s[2:3], s[0:1]
	s_cbranch_execz .LBB978_30
; %bb.29:
	v_lshrrev_b32_e32 v0, 4, v0
	v_add_f32_e32 v10, v10, v11
	v_and_b32_e32 v0, 60, v0
	ds_write_b32 v0, v10
.LBB978_30:
	s_or_b64 exec, exec, s[2:3]
	s_waitcnt lgkmcnt(0)
	s_barrier
	ds_read_b32 v0, v34
	s_waitcnt lgkmcnt(0)
	s_nop 0
	v_mov_b32_dpp v10, v0 quad_perm:[1,0,3,2] row_mask:0xf bank_mask:0xf
	v_add_f32_e32 v0, v0, v10
	s_nop 1
	v_mov_b32_dpp v10, v0 quad_perm:[2,3,0,1] row_mask:0xf bank_mask:0xf
	v_add_f32_e32 v0, v0, v10
	s_nop 1
	v_mov_b32_dpp v10, v0 row_half_mirror row_mask:0xf bank_mask:0xf
	s_and_saveexec_b64 s[0:1], vcc
	s_cbranch_execz .LBB978_12
; %bb.31:
	v_cvt_f32_u32_e32 v11, s20
	v_add_f32_e32 v0, v0, v10
	s_mov_b32 s15, 0x20000
	v_div_scale_f32 v10, s[0:1], v11, v11, v0
	v_rcp_f32_e32 v12, v10
	v_div_scale_f32 v13, vcc, v0, v11, v0
	s_mov_b32 s0, 0x800000
	v_fma_f32 v14, -v10, v12, 1.0
	v_fmac_f32_e32 v12, v14, v12
	v_mul_f32_e32 v14, v13, v12
	v_fma_f32 v15, -v10, v14, v13
	v_fmac_f32_e32 v14, v15, v12
	v_fma_f32 v10, -v10, v14, v13
	v_div_fmas_f32 v10, v10, v12, v14
	v_div_fixup_f32 v0, v10, v11, v0
	v_add_f32_e32 v0, s17, v0
	v_mul_f32_e32 v10, 0x4b800000, v0
	v_cmp_gt_f32_e32 vcc, s0, v0
	v_cndmask_b32_e32 v0, v0, v10, vcc
	v_rsq_f32_e32 v0, v0
	s_mul_hi_i32 s1, s7, s6
	s_mul_i32 s0, s7, s6
	s_lshl_b64 s[0:1], s[0:1], 1
	v_mul_f32_e32 v10, 0x45800000, v0
	v_cndmask_b32_e32 v10, v0, v10, vcc
	v_mov_b32_e32 v11, v10
	;;#ASMSTART
	v_pk_mul_f32 v[12:13], v[18:19], v[10:11]
	;;#ASMEND
	;;#ASMSTART
	v_pk_mul_f32 v[14:15], v[32:33], v[10:11]
	;;#ASMEND
	;; [unrolled: 3-line block ×4, first 2 shown]
	s_waitcnt vmcnt(1)
	v_cvt_f32_u32_sdwa v29, v6 dst_sel:DWORD dst_unused:UNUSED_PAD src0_sel:WORD_1
	v_cvt_f32_u32_sdwa v28, v6 dst_sel:DWORD dst_unused:UNUSED_PAD src0_sel:WORD_0
	v_cvt_f32_u32_sdwa v31, v7 dst_sel:DWORD dst_unused:UNUSED_PAD src0_sel:WORD_1
	v_cvt_f32_u32_sdwa v30, v7 dst_sel:DWORD dst_unused:UNUSED_PAD src0_sel:WORD_0
	;;#ASMSTART
	v_pk_mul_f32 v[26:27], v[26:27], v[10:11]
	;;#ASMEND
	;;#ASMSTART
	v_pk_mul_f32 v[24:25], v[24:25], v[10:11]
	;;#ASMEND
	;; [unrolled: 3-line block ×4, first 2 shown]
	v_cvt_f32_u32_sdwa v21, v8 dst_sel:DWORD dst_unused:UNUSED_PAD src0_sel:WORD_1
	v_cvt_f32_u32_sdwa v20, v8 dst_sel:DWORD dst_unused:UNUSED_PAD src0_sel:WORD_0
	v_pk_add_f32 v[10:11], v[28:29], 1.0 op_sel_hi:[1,0]
	;;#ASMSTART
	v_pk_mul_f32 v[10:11], v[12:13], v[10:11]
	;;#ASMEND
	v_pk_add_f32 v[12:13], v[30:31], 1.0 op_sel_hi:[1,0]
	v_cvt_f32_u32_sdwa v29, v9 dst_sel:DWORD dst_unused:UNUSED_PAD src0_sel:WORD_1
	v_cvt_f32_u32_sdwa v28, v9 dst_sel:DWORD dst_unused:UNUSED_PAD src0_sel:WORD_0
	;;#ASMSTART
	v_pk_mul_f32 v[8:9], v[14:15], v[12:13]
	;;#ASMEND
	v_pk_add_f32 v[12:13], v[20:21], 1.0 op_sel_hi:[1,0]
	;;#ASMSTART
	v_pk_mul_f32 v[12:13], v[16:17], v[12:13]
	;;#ASMEND
	s_waitcnt vmcnt(0)
	v_cvt_f32_u32_sdwa v17, v2 dst_sel:DWORD dst_unused:UNUSED_PAD src0_sel:WORD_1
	v_cvt_f32_u32_sdwa v16, v2 dst_sel:DWORD dst_unused:UNUSED_PAD src0_sel:WORD_0
	v_cvt_f32_u32_sdwa v21, v3 dst_sel:DWORD dst_unused:UNUSED_PAD src0_sel:WORD_1
	v_cvt_f32_u32_sdwa v20, v3 dst_sel:DWORD dst_unused:UNUSED_PAD src0_sel:WORD_0
	v_pk_add_f32 v[14:15], v[28:29], 1.0 op_sel_hi:[1,0]
	;;#ASMSTART
	v_pk_mul_f32 v[14:15], v[18:19], v[14:15]
	;;#ASMEND
	v_pk_add_f32 v[2:3], v[16:17], 1.0 op_sel_hi:[1,0]
	v_cvt_f32_u32_sdwa v19, v4 dst_sel:DWORD dst_unused:UNUSED_PAD src0_sel:WORD_1
	v_cvt_f32_u32_sdwa v18, v4 dst_sel:DWORD dst_unused:UNUSED_PAD src0_sel:WORD_0
	;;#ASMSTART
	v_pk_mul_f32 v[16:17], v[26:27], v[2:3]
	;;#ASMEND
	v_pk_add_f32 v[2:3], v[20:21], 1.0 op_sel_hi:[1,0]
	v_cvt_f32_u32_sdwa v21, v5 dst_sel:DWORD dst_unused:UNUSED_PAD src0_sel:WORD_1
	v_cvt_f32_u32_sdwa v20, v5 dst_sel:DWORD dst_unused:UNUSED_PAD src0_sel:WORD_0
	s_add_u32 s12, s28, s0
	;;#ASMSTART
	v_pk_mul_f32 v[24:25], v[24:25], v[2:3]
	;;#ASMEND
	v_pk_add_f32 v[2:3], v[18:19], 1.0 op_sel_hi:[1,0]
	s_addc_u32 s0, s29, s1
	;;#ASMSTART
	v_pk_mul_f32 v[18:19], v[22:23], v[2:3]
	;;#ASMEND
	v_pk_add_f32 v[2:3], v[20:21], 1.0 op_sel_hi:[1,0]
	s_and_b32 s13, s0, 0xffff
	s_mov_b32 s0, 0x7060302
	;;#ASMSTART
	v_pk_mul_f32 v[6:7], v[6:7], v[2:3]
	;;#ASMEND
	v_perm_b32 v2, v11, v10, s0
	v_perm_b32 v3, v9, v8, s0
	;; [unrolled: 1-line block ×4, first 2 shown]
	buffer_store_dwordx4 v[2:5], v1, s[12:15], 0 offen
	;;#ASMSTART
	s_nop 0
	;;#ASMEND
	s_nop 0
	v_perm_b32 v2, v17, v16, s0
	v_perm_b32 v3, v25, v24, s0
	;; [unrolled: 1-line block ×4, first 2 shown]
	buffer_store_dwordx4 v[2:5], v1, s[12:15], 16 offen
	;;#ASMSTART
	s_nop 0
	;;#ASMEND
	s_endpgm
	.section	.rodata,"a",@progbits
	.p2align	6, 0x0
	.amdhsa_kernel _ZN5aiter35fused_qk_rmsnorm_group_quant_kernelItDB8_Li512ELi16ELi4ELb0ELb0ELb1ELb0ELb0ELb0EEEvPT0_PvPT_S6_S6_PKS5_S8_S8_S8_S8_ffiiiiiiiiiiiii
		.amdhsa_group_segment_fixed_size 64
		.amdhsa_private_segment_fixed_size 0
		.amdhsa_kernarg_size 400
		.amdhsa_user_sgpr_count 6
		.amdhsa_user_sgpr_private_segment_buffer 1
		.amdhsa_user_sgpr_dispatch_ptr 0
		.amdhsa_user_sgpr_queue_ptr 0
		.amdhsa_user_sgpr_kernarg_segment_ptr 1
		.amdhsa_user_sgpr_dispatch_id 0
		.amdhsa_user_sgpr_flat_scratch_init 0
		.amdhsa_user_sgpr_kernarg_preload_length 0
		.amdhsa_user_sgpr_kernarg_preload_offset 0
		.amdhsa_user_sgpr_private_segment_size 0
		.amdhsa_uses_dynamic_stack 0
		.amdhsa_system_sgpr_private_segment_wavefront_offset 0
		.amdhsa_system_sgpr_workgroup_id_x 1
		.amdhsa_system_sgpr_workgroup_id_y 1
		.amdhsa_system_sgpr_workgroup_id_z 0
		.amdhsa_system_sgpr_workgroup_info 0
		.amdhsa_system_vgpr_workitem_id 0
		.amdhsa_next_free_vgpr 35
		.amdhsa_next_free_sgpr 32
		.amdhsa_accum_offset 36
		.amdhsa_reserve_vcc 1
		.amdhsa_reserve_flat_scratch 0
		.amdhsa_float_round_mode_32 0
		.amdhsa_float_round_mode_16_64 0
		.amdhsa_float_denorm_mode_32 3
		.amdhsa_float_denorm_mode_16_64 3
		.amdhsa_dx10_clamp 1
		.amdhsa_ieee_mode 1
		.amdhsa_fp16_overflow 0
		.amdhsa_tg_split 0
		.amdhsa_exception_fp_ieee_invalid_op 0
		.amdhsa_exception_fp_denorm_src 0
		.amdhsa_exception_fp_ieee_div_zero 0
		.amdhsa_exception_fp_ieee_overflow 0
		.amdhsa_exception_fp_ieee_underflow 0
		.amdhsa_exception_fp_ieee_inexact 0
		.amdhsa_exception_int_div_zero 0
	.end_amdhsa_kernel
	.section	.text._ZN5aiter35fused_qk_rmsnorm_group_quant_kernelItDB8_Li512ELi16ELi4ELb0ELb0ELb1ELb0ELb0ELb0EEEvPT0_PvPT_S6_S6_PKS5_S8_S8_S8_S8_ffiiiiiiiiiiiii,"axG",@progbits,_ZN5aiter35fused_qk_rmsnorm_group_quant_kernelItDB8_Li512ELi16ELi4ELb0ELb0ELb1ELb0ELb0ELb0EEEvPT0_PvPT_S6_S6_PKS5_S8_S8_S8_S8_ffiiiiiiiiiiiii,comdat
.Lfunc_end978:
	.size	_ZN5aiter35fused_qk_rmsnorm_group_quant_kernelItDB8_Li512ELi16ELi4ELb0ELb0ELb1ELb0ELb0ELb0EEEvPT0_PvPT_S6_S6_PKS5_S8_S8_S8_S8_ffiiiiiiiiiiiii, .Lfunc_end978-_ZN5aiter35fused_qk_rmsnorm_group_quant_kernelItDB8_Li512ELi16ELi4ELb0ELb0ELb1ELb0ELb0ELb0EEEvPT0_PvPT_S6_S6_PKS5_S8_S8_S8_S8_ffiiiiiiiiiiiii
                                        ; -- End function
	.section	.AMDGPU.csdata,"",@progbits
; Kernel info:
; codeLenInByte = 3604
; NumSgprs: 36
; NumVgprs: 35
; NumAgprs: 0
; TotalNumVgprs: 35
; ScratchSize: 0
; MemoryBound: 0
; FloatMode: 240
; IeeeMode: 1
; LDSByteSize: 64 bytes/workgroup (compile time only)
; SGPRBlocks: 4
; VGPRBlocks: 4
; NumSGPRsForWavesPerEU: 36
; NumVGPRsForWavesPerEU: 35
; AccumOffset: 36
; Occupancy: 8
; WaveLimiterHint : 0
; COMPUTE_PGM_RSRC2:SCRATCH_EN: 0
; COMPUTE_PGM_RSRC2:USER_SGPR: 6
; COMPUTE_PGM_RSRC2:TRAP_HANDLER: 0
; COMPUTE_PGM_RSRC2:TGID_X_EN: 1
; COMPUTE_PGM_RSRC2:TGID_Y_EN: 1
; COMPUTE_PGM_RSRC2:TGID_Z_EN: 0
; COMPUTE_PGM_RSRC2:TIDIG_COMP_CNT: 0
; COMPUTE_PGM_RSRC3_GFX90A:ACCUM_OFFSET: 8
; COMPUTE_PGM_RSRC3_GFX90A:TG_SPLIT: 0
	.section	.text._ZN5aiter35fused_qk_rmsnorm_group_quant_kernelIDF16_N4opus5fp4_tELi512ELi16ELi4ELb0ELb0ELb1ELb0ELb0ELb0EEEvPT0_PvPT_S7_S7_PKS6_S9_S9_S9_S9_ffiiiiiiiiiiiii,"axG",@progbits,_ZN5aiter35fused_qk_rmsnorm_group_quant_kernelIDF16_N4opus5fp4_tELi512ELi16ELi4ELb0ELb0ELb1ELb0ELb0ELb0EEEvPT0_PvPT_S7_S7_PKS6_S9_S9_S9_S9_ffiiiiiiiiiiiii,comdat
	.protected	_ZN5aiter35fused_qk_rmsnorm_group_quant_kernelIDF16_N4opus5fp4_tELi512ELi16ELi4ELb0ELb0ELb1ELb0ELb0ELb0EEEvPT0_PvPT_S7_S7_PKS6_S9_S9_S9_S9_ffiiiiiiiiiiiii ; -- Begin function _ZN5aiter35fused_qk_rmsnorm_group_quant_kernelIDF16_N4opus5fp4_tELi512ELi16ELi4ELb0ELb0ELb1ELb0ELb0ELb0EEEvPT0_PvPT_S7_S7_PKS6_S9_S9_S9_S9_ffiiiiiiiiiiiii
	.globl	_ZN5aiter35fused_qk_rmsnorm_group_quant_kernelIDF16_N4opus5fp4_tELi512ELi16ELi4ELb0ELb0ELb1ELb0ELb0ELb0EEEvPT0_PvPT_S7_S7_PKS6_S9_S9_S9_S9_ffiiiiiiiiiiiii
	.p2align	8
	.type	_ZN5aiter35fused_qk_rmsnorm_group_quant_kernelIDF16_N4opus5fp4_tELi512ELi16ELi4ELb0ELb0ELb1ELb0ELb0ELb0EEEvPT0_PvPT_S7_S7_PKS6_S9_S9_S9_S9_ffiiiiiiiiiiiii,@function
_ZN5aiter35fused_qk_rmsnorm_group_quant_kernelIDF16_N4opus5fp4_tELi512ELi16ELi4ELb0ELb0ELb1ELb0ELb0ELb0EEEvPT0_PvPT_S7_S7_PKS6_S9_S9_S9_S9_ffiiiiiiiiiiiii: ; @_ZN5aiter35fused_qk_rmsnorm_group_quant_kernelIDF16_N4opus5fp4_tELi512ELi16ELi4ELb0ELb0ELb1ELb0ELb0ELb0EEEvPT0_PvPT_S7_S7_PKS6_S9_S9_S9_S9_ffiiiiiiiiiiiii
; %bb.0:
	s_load_dwordx4 s[16:19], s[4:5], 0x50
	s_waitcnt lgkmcnt(0)
	s_cmp_ge_i32 s6, s18
	s_cbranch_scc1 .LBB979_12
; %bb.1:
	s_load_dwordx2 s[12:13], s[4:5], 0x48
	s_load_dwordx2 s[30:31], s[4:5], 0x30
	s_load_dwordx4 s[20:23], s[4:5], 0x60
	s_cmp_lg_u32 s7, 0
	s_cselect_b64 s[14:15], -1, 0
	s_cmp_eq_u32 s7, 0
	s_cselect_b64 vcc, -1, 0
	s_and_b64 s[0:1], vcc, exec
	s_waitcnt lgkmcnt(0)
	s_cselect_b32 s7, s19, s20
	s_add_i32 s0, s7, 1
	s_lshr_b32 s1, s0, 31
	s_add_i32 s0, s0, s1
	s_lshl_b32 s0, s0, 1
	v_lshlrev_b32_e32 v1, 4, v0
	s_and_b32 s10, s0, -4
	v_cmp_gt_i32_e64 s[2:3], s7, v1
	v_mov_b32_e32 v18, 0
	v_mov_b32_e32 v6, 0
	;; [unrolled: 1-line block ×17, first 2 shown]
	s_and_saveexec_b64 s[0:1], s[2:3]
	s_cbranch_execz .LBB979_3
; %bb.2:
	s_load_dwordx2 s[8:9], s[4:5], 0x28
	s_load_dwordx2 s[26:27], s[4:5], 0x40
	s_and_b64 s[24:25], vcc, exec
	s_cselect_b32 s11, s21, s22
	v_lshlrev_b32_e32 v19, 5, v0
	s_waitcnt lgkmcnt(0)
	s_cselect_b32 s18, s9, s31
	s_cselect_b32 s21, s8, s30
	s_mul_hi_i32 s9, s11, s6
	s_mul_i32 s8, s11, s6
	s_lshl_b64 s[8:9], s[8:9], 1
	s_add_u32 s24, s21, s8
	s_addc_u32 s18, s18, s9
	s_and_b64 s[8:9], vcc, exec
	s_mov_b32 s11, 0x20000
	s_cselect_b32 s8, s26, s12
	s_cselect_b32 s9, s27, s13
	s_and_b32 s25, s18, 0xffff
	s_mov_b32 s26, s10
	s_mov_b32 s27, s11
	s_and_b32 s9, s9, 0xffff
	buffer_load_dwordx4 v[14:17], v19, s[24:27], 0 offen
	buffer_load_dwordx4 v[10:13], v19, s[24:27], 16 offen
	;; [unrolled: 1-line block ×4, first 2 shown]
.LBB979_3:
	s_or_b64 exec, exec, s[0:1]
	v_mov_b32_e32 v19, 0
	v_mov_b32_e32 v22, 0
	;; [unrolled: 1-line block ×15, first 2 shown]
	s_and_saveexec_b64 s[0:1], s[2:3]
	s_cbranch_execz .LBB979_5
; %bb.4:
	s_waitcnt vmcnt(3)
	v_cvt_f32_f16_sdwa v19, v14 dst_sel:DWORD dst_unused:UNUSED_PAD src0_sel:WORD_1
	v_cvt_f32_f16_e32 v18, v14
	v_cvt_f32_f16_sdwa v23, v15 dst_sel:DWORD dst_unused:UNUSED_PAD src0_sel:WORD_1
	v_cvt_f32_f16_e32 v22, v15
	v_cvt_f32_f16_sdwa v21, v16 dst_sel:DWORD dst_unused:UNUSED_PAD src0_sel:WORD_1
	v_cvt_f32_f16_e32 v20, v16
	v_cvt_f32_f16_sdwa v29, v17 dst_sel:DWORD dst_unused:UNUSED_PAD src0_sel:WORD_1
	v_cvt_f32_f16_e32 v28, v17
	s_waitcnt vmcnt(2)
	v_cvt_f32_f16_sdwa v27, v10 dst_sel:DWORD dst_unused:UNUSED_PAD src0_sel:WORD_1
	v_cvt_f32_f16_e32 v26, v10
	v_cvt_f32_f16_sdwa v33, v11 dst_sel:DWORD dst_unused:UNUSED_PAD src0_sel:WORD_1
	v_cvt_f32_f16_e32 v32, v11
	;; [unrolled: 2-line block ×4, first 2 shown]
.LBB979_5:
	s_or_b64 exec, exec, s[0:1]
	s_waitcnt vmcnt(2)
	v_mul_f32_e32 v10, v19, v19
	v_fmac_f32_e32 v10, v18, v18
	v_fmac_f32_e32 v10, v22, v22
	;; [unrolled: 1-line block ×15, first 2 shown]
	v_and_b32_e32 v12, 63, v0
	v_cmp_eq_u32_e64 s[0:1], 63, v12
	v_mov_b32_dpp v11, v10 quad_perm:[1,0,3,2] row_mask:0xf bank_mask:0xf
	v_add_f32_e32 v10, v10, v11
	s_nop 1
	v_mov_b32_dpp v11, v10 quad_perm:[2,3,0,1] row_mask:0xf bank_mask:0xf
	v_add_f32_e32 v10, v10, v11
	s_nop 1
	v_mov_b32_dpp v11, v10 row_half_mirror row_mask:0xf bank_mask:0xf
	v_add_f32_e32 v10, v10, v11
	s_nop 1
	v_mov_b32_dpp v11, v10 row_mirror row_mask:0xf bank_mask:0xf
	v_add_f32_e32 v10, v10, v11
	s_nop 1
	v_mov_b32_dpp v11, v10 row_bcast:15 row_mask:0xf bank_mask:0xf
	v_add_f32_e32 v10, v10, v11
	s_nop 1
	v_mov_b32_dpp v11, v10 row_bcast:31 row_mask:0xf bank_mask:0xf
	s_and_saveexec_b64 s[8:9], s[0:1]
	s_cbranch_execz .LBB979_7
; %bb.6:
	v_add_f32_e32 v10, v10, v11
	v_lshrrev_b32_e32 v11, 4, v0
	v_and_b32_e32 v11, 60, v11
	ds_write_b32 v11, v10 offset:32
.LBB979_7:
	s_or_b64 exec, exec, s[8:9]
	v_and_b32_e32 v10, 7, v0
	v_lshlrev_b32_e32 v34, 2, v10
	s_waitcnt lgkmcnt(0)
	s_barrier
	ds_read_b32 v10, v34 offset:32
	s_load_dwordx2 s[28:29], s[4:5], 0x18
	s_waitcnt lgkmcnt(0)
	v_mov_b32_dpp v11, v10 quad_perm:[1,0,3,2] row_mask:0xf bank_mask:0xf
	v_add_f32_e32 v10, v10, v11
	s_nop 1
	v_mov_b32_dpp v11, v10 quad_perm:[2,3,0,1] row_mask:0xf bank_mask:0xf
	v_add_f32_e32 v10, v10, v11
	s_nop 1
	v_mov_b32_dpp v11, v10 row_half_mirror row_mask:0xf bank_mask:0xf
	s_and_saveexec_b64 s[8:9], s[2:3]
	s_cbranch_execz .LBB979_9
; %bb.8:
	v_cvt_f32_u32_e32 v12, s7
	v_add_f32_e32 v10, v10, v11
	v_mov_b32_e32 v14, s17
	v_mov_b32_e32 v15, s16
	v_div_scale_f32 v11, s[24:25], v12, v12, v10
	v_rcp_f32_e32 v13, v11
	v_cndmask_b32_e32 v14, v14, v15, vcc
	s_mov_b32 s7, 0x800000
	v_fma_f32 v15, -v11, v13, 1.0
	v_fmac_f32_e32 v13, v15, v13
	v_div_scale_f32 v15, vcc, v10, v12, v10
	v_mul_f32_e32 v16, v15, v13
	v_fma_f32 v17, -v11, v16, v15
	v_fmac_f32_e32 v16, v17, v13
	v_fma_f32 v11, -v11, v16, v15
	v_div_fmas_f32 v11, v11, v13, v16
	v_div_fixup_f32 v10, v11, v12, v10
	v_add_f32_e32 v10, v14, v10
	v_mul_f32_e32 v11, 0x4b800000, v10
	v_cmp_gt_f32_e32 vcc, s7, v10
	v_cndmask_b32_e32 v10, v10, v11, vcc
	v_rsq_f32_e32 v10, v10
	v_mul_f32_e32 v11, 0x45800000, v10
	v_cndmask_b32_e32 v10, v10, v11, vcc
	v_mov_b32_e32 v11, v10
	;;#ASMSTART
	v_pk_mul_f32 v[12:13], v[18:19], v[10:11]
	;;#ASMEND
	s_waitcnt vmcnt(1)
	v_cvt_f32_f16_sdwa v19, v6 dst_sel:DWORD dst_unused:UNUSED_PAD src0_sel:WORD_1
	v_cvt_f32_f16_e32 v18, v6
	;;#ASMSTART
	v_pk_mul_f32 v[14:15], v[22:23], v[10:11]
	;;#ASMEND
	;;#ASMSTART
	v_pk_mul_f32 v[16:17], v[20:21], v[10:11]
	;;#ASMEND
	v_cvt_f32_f16_sdwa v21, v7 dst_sel:DWORD dst_unused:UNUSED_PAD src0_sel:WORD_1
	v_cvt_f32_f16_e32 v20, v7
	;;#ASMSTART
	v_pk_mul_f32 v[28:29], v[28:29], v[10:11]
	;;#ASMEND
	;;#ASMSTART
	v_pk_mul_f32 v[26:27], v[26:27], v[10:11]
	;;#ASMEND
	;; [unrolled: 3-line block ×5, first 2 shown]
	v_pk_add_f32 v[10:11], v[18:19], 1.0 op_sel_hi:[1,0]
	;;#ASMSTART
	v_pk_mul_f32 v[18:19], v[12:13], v[10:11]
	;;#ASMEND
	v_cvt_f32_f16_sdwa v13, v8 dst_sel:DWORD dst_unused:UNUSED_PAD src0_sel:WORD_1
	v_cvt_f32_f16_e32 v12, v8
	v_cvt_f32_f16_sdwa v25, v9 dst_sel:DWORD dst_unused:UNUSED_PAD src0_sel:WORD_1
	v_cvt_f32_f16_e32 v24, v9
	v_pk_add_f32 v[10:11], v[20:21], 1.0 op_sel_hi:[1,0]
	;;#ASMSTART
	v_pk_mul_f32 v[22:23], v[14:15], v[10:11]
	;;#ASMEND
	s_waitcnt vmcnt(0)
	v_cvt_f32_f16_sdwa v11, v2 dst_sel:DWORD dst_unused:UNUSED_PAD src0_sel:WORD_1
	v_cvt_f32_f16_e32 v10, v2
	v_pk_add_f32 v[8:9], v[12:13], 1.0 op_sel_hi:[1,0]
	;;#ASMSTART
	v_pk_mul_f32 v[20:21], v[16:17], v[8:9]
	;;#ASMEND
	v_pk_add_f32 v[8:9], v[24:25], 1.0 op_sel_hi:[1,0]
	v_cvt_f32_f16_sdwa v13, v3 dst_sel:DWORD dst_unused:UNUSED_PAD src0_sel:WORD_1
	v_cvt_f32_f16_e32 v12, v3
	;;#ASMSTART
	v_pk_mul_f32 v[28:29], v[28:29], v[8:9]
	;;#ASMEND
	v_cvt_f32_f16_sdwa v9, v4 dst_sel:DWORD dst_unused:UNUSED_PAD src0_sel:WORD_1
	v_cvt_f32_f16_e32 v8, v4
	v_pk_add_f32 v[2:3], v[10:11], 1.0 op_sel_hi:[1,0]
	v_cvt_f32_f16_sdwa v11, v5 dst_sel:DWORD dst_unused:UNUSED_PAD src0_sel:WORD_1
	v_cvt_f32_f16_e32 v10, v5
	;;#ASMSTART
	v_pk_mul_f32 v[26:27], v[26:27], v[2:3]
	;;#ASMEND
	v_pk_add_f32 v[2:3], v[12:13], 1.0 op_sel_hi:[1,0]
	;;#ASMSTART
	v_pk_mul_f32 v[32:33], v[32:33], v[2:3]
	;;#ASMEND
	v_pk_add_f32 v[2:3], v[8:9], 1.0 op_sel_hi:[1,0]
	;; [unrolled: 4-line block ×3, first 2 shown]
	;;#ASMSTART
	v_pk_mul_f32 v[24:25], v[6:7], v[2:3]
	;;#ASMEND
.LBB979_9:
	s_or_b64 exec, exec, s[8:9]
	s_load_dword s7, s[4:5], 0x80
	s_mov_b64 s[8:9], -1
	s_and_b64 vcc, exec, s[14:15]
	s_cbranch_vccnz .LBB979_13
; %bb.10:
	s_andn2_b64 vcc, exec, s[8:9]
	s_cbranch_vccz .LBB979_16
.LBB979_11:
	s_cmp_lt_i32 s20, 1
	s_cbranch_scc0 .LBB979_23
.LBB979_12:
	s_endpgm
.LBB979_13:
	s_and_saveexec_b64 s[14:15], s[2:3]
	s_cbranch_execz .LBB979_15
; %bb.14:
	s_waitcnt lgkmcnt(0)
	s_mul_hi_i32 s9, s7, s6
	s_mul_i32 s8, s7, s6
	s_waitcnt vmcnt(0)
	v_cvt_f16_f32_e32 v2, v18
	v_cvt_f16_f32_e32 v3, v22
	;; [unrolled: 1-line block ×8, first 2 shown]
	s_lshl_b64 s[8:9], s[8:9], 1
	s_add_u32 s8, s28, s8
	s_addc_u32 s9, s29, s9
	s_and_b32 s9, s9, 0xffff
	s_mov_b32 s11, 0x20000
	v_pack_b32_f16 v5, v5, v6
	v_pack_b32_f16 v4, v4, v7
	;; [unrolled: 1-line block ×4, first 2 shown]
	v_lshlrev_b32_e32 v6, 5, v0
	buffer_store_dwordx4 v[2:5], v6, s[8:11], 0 offen
	v_cvt_f16_f32_e32 v7, v25
	v_cvt_f16_f32_e32 v2, v26
	;; [unrolled: 1-line block ×8, first 2 shown]
	v_pack_b32_f16 v5, v5, v7
	v_pack_b32_f16 v4, v4, v8
	;; [unrolled: 1-line block ×4, first 2 shown]
	;;#ASMSTART
	s_nop 0
	;;#ASMEND
	buffer_store_dwordx4 v[2:5], v6, s[8:11], 16 offen
	;;#ASMSTART
	s_nop 0
	;;#ASMEND
.LBB979_15:
	s_or_b64 exec, exec, s[14:15]
	s_cbranch_execnz .LBB979_11
.LBB979_16:
	s_waitcnt vmcnt(0)
	v_mov_b32_e32 v2, 0
	s_and_saveexec_b64 s[8:9], s[2:3]
	s_cbranch_execz .LBB979_18
; %bb.17:
	v_and_b32_e32 v2, 0x7fffffff, v18
	v_and_b32_e32 v3, 0x7fffffff, v19
	v_mov_b32_e32 v4, 0x2edbe6ff
	;;#ASMSTART
	v_max3_f32 v2, v4, v2, v3

	;;#ASMEND
	v_and_b32_e32 v3, 0x7fffffff, v22
	v_and_b32_e32 v4, 0x7fffffff, v23
	;;#ASMSTART
	v_max3_f32 v2, v2, v3, v4

	;;#ASMEND
	v_and_b32_e32 v3, 0x7fffffff, v20
	v_and_b32_e32 v4, 0x7fffffff, v21
	;;#ASMSTART
	v_max3_f32 v2, v2, v3, v4

	;;#ASMEND
	v_and_b32_e32 v3, 0x7fffffff, v28
	v_and_b32_e32 v4, 0x7fffffff, v29
	;;#ASMSTART
	v_max3_f32 v2, v2, v3, v4

	;;#ASMEND
	v_and_b32_e32 v3, 0x7fffffff, v26
	v_and_b32_e32 v4, 0x7fffffff, v27
	;;#ASMSTART
	v_max3_f32 v2, v2, v3, v4

	;;#ASMEND
	v_and_b32_e32 v3, 0x7fffffff, v32
	v_and_b32_e32 v4, 0x7fffffff, v33
	;;#ASMSTART
	v_max3_f32 v2, v2, v3, v4

	;;#ASMEND
	v_and_b32_e32 v3, 0x7fffffff, v30
	v_and_b32_e32 v4, 0x7fffffff, v31
	;;#ASMSTART
	v_max3_f32 v2, v2, v3, v4

	;;#ASMEND
	v_and_b32_e32 v3, 0x7fffffff, v24
	v_and_b32_e32 v4, 0x7fffffff, v25
	;;#ASMSTART
	v_max3_f32 v2, v2, v3, v4

	;;#ASMEND
.LBB979_18:
	s_or_b64 exec, exec, s[8:9]
	s_load_dwordx4 s[24:27], s[4:5], 0x70
	;;#ASMSTART
	v_max_f32 v3, v2, v2 quad_perm:[1,0,3,2] row_mask:0xf bank_mask:0xf bound_ctrl:1
	;;#ASMEND
	;;#ASMSTART
	v_max_f32 v2, v3, v3 quad_perm:[2,3,0,1] row_mask:0xf bank_mask:0xf bound_ctrl:1
	;;#ASMEND
	v_and_b32_e32 v3, 3, v0
	v_cmp_eq_u32_e32 vcc, 0, v3
	v_cmp_gt_i32_e64 s[8:9], s19, v1
	s_and_b64 s[10:11], vcc, s[8:9]
	s_and_saveexec_b64 s[8:9], s[10:11]
	s_cbranch_execz .LBB979_20
; %bb.19:
	s_load_dwordx2 s[10:11], s[4:5], 0x8
	v_mul_f32_e32 v2, 0x3e2aaaab, v2
	v_lshrrev_b32_e32 v3, 23, v2
	v_and_b32_e32 v4, 0x7f800000, v2
	v_and_b32_e32 v2, 0x7fffff, v2
	v_cmp_ne_u32_e32 vcc, 0, v2
	s_waitcnt lgkmcnt(0)
	s_mul_i32 s16, s25, s6
	s_mov_b32 s14, 0x7f800000
	v_addc_co_u32_e32 v2, vcc, 0, v3, vcc
	s_mul_hi_i32 s15, s25, s6
	s_add_u32 s10, s10, s16
	v_cmp_ne_u32_e32 vcc, s14, v4
	s_addc_u32 s11, s11, s15
	v_lshrrev_b32_e32 v5, 2, v0
	v_cndmask_b32_e32 v4, -1, v2, vcc
	v_pk_mov_b32 v[2:3], s[10:11], s[10:11] op_sel:[0,1]
	v_mad_i64_i32 v[2:3], s[10:11], s26, v5, v[2:3]
	global_store_byte v[2:3], v4, off
.LBB979_20:
	s_or_b64 exec, exec, s[8:9]
	s_and_saveexec_b64 s[8:9], s[2:3]
	s_cbranch_execz .LBB979_22
; %bb.21:
	s_load_dwordx2 s[2:3], s[4:5], 0x0
	s_waitcnt lgkmcnt(0)
	s_mul_i32 s11, s24, s6
	s_mul_hi_i32 s10, s24, s6
	v_mov_b32_e32 v2, 0
	v_lshlrev_b32_e32 v4, 3, v0
	s_add_u32 s24, s2, s11
	s_addc_u32 s2, s3, s10
	s_lshr_b32 s3, s19, 31
	s_add_i32 s3, s19, s3
	s_ashr_i32 s3, s3, 1
	s_add_i32 s3, s3, 3
	s_ashr_i32 s10, s3, 31
	s_lshr_b32 s10, s10, 30
	s_add_i32 s3, s3, s10
	s_and_b32 s26, s3, -4
	s_and_b32 s25, s2, 0xffff
	s_mov_b32 s27, 0x20000
	v_mov_b32_e32 v3, v2
	buffer_store_dwordx2 v[2:3], v4, s[24:27], 0 offen
	;;#ASMSTART
	s_nop 0
	;;#ASMEND
.LBB979_22:
	s_or_b64 exec, exec, s[8:9]
	s_cmp_lt_i32 s20, 1
	s_cbranch_scc1 .LBB979_12
.LBB979_23:
	s_load_dword s2, s[4:5], 0x94
	s_waitcnt lgkmcnt(0)
	s_cmp_lg_u32 s2, 1
	s_cbranch_scc1 .LBB979_12
; %bb.24:
	s_lshl_b32 s2, s20, 1
	s_add_i32 s2, s2, 2
	v_cmp_gt_u32_e32 vcc, s20, v1
	s_and_b32 s14, s2, -4
	v_mov_b32_e32 v18, 0
	v_lshlrev_b32_e32 v1, 5, v0
	v_mov_b32_e32 v14, 0
	v_mov_b32_e32 v15, 0
	;; [unrolled: 1-line block ×8, first 2 shown]
	s_waitcnt vmcnt(1)
	v_mov_b32_e32 v6, 0
	v_mov_b32_e32 v7, 0
	;; [unrolled: 1-line block ×4, first 2 shown]
	s_waitcnt vmcnt(0)
	v_mov_b32_e32 v2, 0
	v_mov_b32_e32 v3, 0
	;; [unrolled: 1-line block ×4, first 2 shown]
	s_barrier
	s_and_saveexec_b64 s[2:3], vcc
	s_cbranch_execz .LBB979_26
; %bb.25:
	s_mul_hi_i32 s5, s22, s6
	s_mul_i32 s4, s22, s6
	s_and_b32 s13, s13, 0xffff
	s_lshl_b64 s[4:5], s[4:5], 1
	s_add_u32 s8, s30, s4
	s_mov_b32 s15, 0x20000
	s_addc_u32 s4, s31, s5
	s_and_b32 s9, s4, 0xffff
	s_mov_b32 s10, s14
	s_mov_b32 s11, s15
	buffer_load_dwordx4 v[14:17], v1, s[8:11], 0 offen
	buffer_load_dwordx4 v[10:13], v1, s[8:11], 16 offen
	;; [unrolled: 1-line block ×4, first 2 shown]
.LBB979_26:
	s_or_b64 exec, exec, s[2:3]
	v_mov_b32_e32 v19, 0
	v_mov_b32_e32 v32, 0
	;; [unrolled: 1-line block ×15, first 2 shown]
	s_and_saveexec_b64 s[2:3], vcc
	s_cbranch_execz .LBB979_28
; %bb.27:
	s_waitcnt vmcnt(3)
	v_cvt_f32_f16_sdwa v19, v14 dst_sel:DWORD dst_unused:UNUSED_PAD src0_sel:WORD_1
	v_cvt_f32_f16_e32 v18, v14
	v_cvt_f32_f16_sdwa v33, v15 dst_sel:DWORD dst_unused:UNUSED_PAD src0_sel:WORD_1
	v_cvt_f32_f16_e32 v32, v15
	;; [unrolled: 2-line block ×4, first 2 shown]
	s_waitcnt vmcnt(2)
	v_cvt_f32_f16_sdwa v27, v10 dst_sel:DWORD dst_unused:UNUSED_PAD src0_sel:WORD_1
	v_cvt_f32_f16_e32 v26, v10
	v_cvt_f32_f16_sdwa v25, v11 dst_sel:DWORD dst_unused:UNUSED_PAD src0_sel:WORD_1
	v_cvt_f32_f16_e32 v24, v11
	v_cvt_f32_f16_sdwa v23, v12 dst_sel:DWORD dst_unused:UNUSED_PAD src0_sel:WORD_1
	v_cvt_f32_f16_e32 v22, v12
	v_cvt_f32_f16_sdwa v21, v13 dst_sel:DWORD dst_unused:UNUSED_PAD src0_sel:WORD_1
	v_cvt_f32_f16_e32 v20, v13
.LBB979_28:
	s_or_b64 exec, exec, s[2:3]
	s_waitcnt vmcnt(2)
	v_mul_f32_e32 v10, v19, v19
	v_fmac_f32_e32 v10, v18, v18
	v_fmac_f32_e32 v10, v32, v32
	;; [unrolled: 1-line block ×15, first 2 shown]
	s_nop 1
	v_mov_b32_dpp v11, v10 quad_perm:[1,0,3,2] row_mask:0xf bank_mask:0xf
	v_add_f32_e32 v10, v10, v11
	s_nop 1
	v_mov_b32_dpp v11, v10 quad_perm:[2,3,0,1] row_mask:0xf bank_mask:0xf
	v_add_f32_e32 v10, v10, v11
	s_nop 1
	v_mov_b32_dpp v11, v10 row_half_mirror row_mask:0xf bank_mask:0xf
	v_add_f32_e32 v10, v10, v11
	s_nop 1
	v_mov_b32_dpp v11, v10 row_mirror row_mask:0xf bank_mask:0xf
	v_add_f32_e32 v10, v10, v11
	s_nop 1
	v_mov_b32_dpp v11, v10 row_bcast:15 row_mask:0xf bank_mask:0xf
	v_add_f32_e32 v10, v10, v11
	s_nop 1
	v_mov_b32_dpp v11, v10 row_bcast:31 row_mask:0xf bank_mask:0xf
	s_and_saveexec_b64 s[2:3], s[0:1]
	s_cbranch_execz .LBB979_30
; %bb.29:
	v_lshrrev_b32_e32 v0, 4, v0
	v_add_f32_e32 v10, v10, v11
	v_and_b32_e32 v0, 60, v0
	ds_write_b32 v0, v10
.LBB979_30:
	s_or_b64 exec, exec, s[2:3]
	s_waitcnt lgkmcnt(0)
	s_barrier
	ds_read_b32 v0, v34
	s_waitcnt lgkmcnt(0)
	s_nop 0
	v_mov_b32_dpp v10, v0 quad_perm:[1,0,3,2] row_mask:0xf bank_mask:0xf
	v_add_f32_e32 v0, v0, v10
	s_nop 1
	v_mov_b32_dpp v10, v0 quad_perm:[2,3,0,1] row_mask:0xf bank_mask:0xf
	v_add_f32_e32 v0, v0, v10
	s_nop 1
	v_mov_b32_dpp v10, v0 row_half_mirror row_mask:0xf bank_mask:0xf
	s_and_saveexec_b64 s[0:1], vcc
	s_cbranch_execz .LBB979_12
; %bb.31:
	v_cvt_f32_u32_e32 v11, s20
	v_add_f32_e32 v0, v0, v10
	s_mov_b32 s15, 0x20000
	v_div_scale_f32 v10, s[0:1], v11, v11, v0
	v_rcp_f32_e32 v12, v10
	v_div_scale_f32 v13, vcc, v0, v11, v0
	s_mov_b32 s0, 0x800000
	v_fma_f32 v14, -v10, v12, 1.0
	v_fmac_f32_e32 v12, v14, v12
	v_mul_f32_e32 v14, v13, v12
	v_fma_f32 v15, -v10, v14, v13
	v_fmac_f32_e32 v14, v15, v12
	v_fma_f32 v10, -v10, v14, v13
	v_div_fmas_f32 v10, v10, v12, v14
	v_div_fixup_f32 v0, v10, v11, v0
	v_add_f32_e32 v0, s17, v0
	v_mul_f32_e32 v10, 0x4b800000, v0
	v_cmp_gt_f32_e32 vcc, s0, v0
	v_cndmask_b32_e32 v0, v0, v10, vcc
	v_rsq_f32_e32 v0, v0
	s_mul_hi_i32 s1, s7, s6
	s_mul_i32 s0, s7, s6
	s_lshl_b64 s[0:1], s[0:1], 1
	v_mul_f32_e32 v10, 0x45800000, v0
	v_cndmask_b32_e32 v10, v0, v10, vcc
	v_mov_b32_e32 v11, v10
	;;#ASMSTART
	v_pk_mul_f32 v[12:13], v[18:19], v[10:11]
	;;#ASMEND
	;;#ASMSTART
	v_pk_mul_f32 v[14:15], v[32:33], v[10:11]
	;;#ASMEND
	;; [unrolled: 3-line block ×4, first 2 shown]
	s_waitcnt vmcnt(1)
	v_cvt_f32_f16_sdwa v29, v6 dst_sel:DWORD dst_unused:UNUSED_PAD src0_sel:WORD_1
	v_cvt_f32_f16_e32 v28, v6
	v_cvt_f32_f16_sdwa v31, v7 dst_sel:DWORD dst_unused:UNUSED_PAD src0_sel:WORD_1
	v_cvt_f32_f16_e32 v30, v7
	;;#ASMSTART
	v_pk_mul_f32 v[26:27], v[26:27], v[10:11]
	;;#ASMEND
	;;#ASMSTART
	v_pk_mul_f32 v[24:25], v[24:25], v[10:11]
	;;#ASMEND
	;;#ASMSTART
	v_pk_mul_f32 v[22:23], v[22:23], v[10:11]
	;;#ASMEND
	;;#ASMSTART
	v_pk_mul_f32 v[6:7], v[20:21], v[10:11]
	;;#ASMEND
	v_cvt_f32_f16_sdwa v21, v8 dst_sel:DWORD dst_unused:UNUSED_PAD src0_sel:WORD_1
	v_cvt_f32_f16_e32 v20, v8
	v_pk_add_f32 v[10:11], v[28:29], 1.0 op_sel_hi:[1,0]
	;;#ASMSTART
	v_pk_mul_f32 v[10:11], v[12:13], v[10:11]
	;;#ASMEND
	v_pk_add_f32 v[12:13], v[30:31], 1.0 op_sel_hi:[1,0]
	v_cvt_f32_f16_sdwa v29, v9 dst_sel:DWORD dst_unused:UNUSED_PAD src0_sel:WORD_1
	v_cvt_f32_f16_e32 v28, v9
	;;#ASMSTART
	v_pk_mul_f32 v[8:9], v[14:15], v[12:13]
	;;#ASMEND
	v_pk_add_f32 v[12:13], v[20:21], 1.0 op_sel_hi:[1,0]
	;;#ASMSTART
	v_pk_mul_f32 v[12:13], v[16:17], v[12:13]
	;;#ASMEND
	s_waitcnt vmcnt(0)
	v_cvt_f32_f16_sdwa v17, v2 dst_sel:DWORD dst_unused:UNUSED_PAD src0_sel:WORD_1
	v_cvt_f32_f16_e32 v16, v2
	v_cvt_f32_f16_sdwa v21, v3 dst_sel:DWORD dst_unused:UNUSED_PAD src0_sel:WORD_1
	v_cvt_f32_f16_e32 v20, v3
	v_pk_add_f32 v[14:15], v[28:29], 1.0 op_sel_hi:[1,0]
	;;#ASMSTART
	v_pk_mul_f32 v[2:3], v[18:19], v[14:15]
	;;#ASMEND
	v_cvt_f32_f16_sdwa v19, v4 dst_sel:DWORD dst_unused:UNUSED_PAD src0_sel:WORD_1
	v_cvt_f32_f16_e32 v18, v4
	v_pk_add_f32 v[14:15], v[16:17], 1.0 op_sel_hi:[1,0]
	v_pk_add_f32 v[16:17], v[20:21], 1.0 op_sel_hi:[1,0]
	v_cvt_f32_f16_sdwa v21, v5 dst_sel:DWORD dst_unused:UNUSED_PAD src0_sel:WORD_1
	v_cvt_f32_f16_e32 v20, v5
	v_pk_add_f32 v[4:5], v[18:19], 1.0 op_sel_hi:[1,0]
	;;#ASMSTART
	v_pk_mul_f32 v[14:15], v[26:27], v[14:15]
	;;#ASMEND
	;;#ASMSTART
	v_pk_mul_f32 v[16:17], v[24:25], v[16:17]
	;;#ASMEND
	;; [unrolled: 3-line block ×3, first 2 shown]
	v_pk_add_f32 v[4:5], v[20:21], 1.0 op_sel_hi:[1,0]
	;;#ASMSTART
	v_pk_mul_f32 v[6:7], v[6:7], v[4:5]
	;;#ASMEND
	v_cvt_f16_f32_e32 v0, v10
	v_cvt_f16_f32_e32 v4, v11
	;; [unrolled: 1-line block ×8, first 2 shown]
	s_add_u32 s12, s28, s0
	s_addc_u32 s0, s29, s1
	s_and_b32 s13, s0, 0xffff
	v_pack_b32_f16 v2, v0, v4
	v_pack_b32_f16 v3, v5, v8
	;; [unrolled: 1-line block ×4, first 2 shown]
	buffer_store_dwordx4 v[2:5], v1, s[12:15], 0 offen
	v_cvt_f16_f32_e32 v0, v14
	v_cvt_f16_f32_e32 v2, v15
	;; [unrolled: 1-line block ×8, first 2 shown]
	v_pack_b32_f16 v2, v0, v2
	v_pack_b32_f16 v3, v3, v4
	;; [unrolled: 1-line block ×4, first 2 shown]
	;;#ASMSTART
	s_nop 0
	;;#ASMEND
	buffer_store_dwordx4 v[2:5], v1, s[12:15], 16 offen
	;;#ASMSTART
	s_nop 0
	;;#ASMEND
	s_endpgm
	.section	.rodata,"a",@progbits
	.p2align	6, 0x0
	.amdhsa_kernel _ZN5aiter35fused_qk_rmsnorm_group_quant_kernelIDF16_N4opus5fp4_tELi512ELi16ELi4ELb0ELb0ELb1ELb0ELb0ELb0EEEvPT0_PvPT_S7_S7_PKS6_S9_S9_S9_S9_ffiiiiiiiiiiiii
		.amdhsa_group_segment_fixed_size 64
		.amdhsa_private_segment_fixed_size 0
		.amdhsa_kernarg_size 400
		.amdhsa_user_sgpr_count 6
		.amdhsa_user_sgpr_private_segment_buffer 1
		.amdhsa_user_sgpr_dispatch_ptr 0
		.amdhsa_user_sgpr_queue_ptr 0
		.amdhsa_user_sgpr_kernarg_segment_ptr 1
		.amdhsa_user_sgpr_dispatch_id 0
		.amdhsa_user_sgpr_flat_scratch_init 0
		.amdhsa_user_sgpr_kernarg_preload_length 0
		.amdhsa_user_sgpr_kernarg_preload_offset 0
		.amdhsa_user_sgpr_private_segment_size 0
		.amdhsa_uses_dynamic_stack 0
		.amdhsa_system_sgpr_private_segment_wavefront_offset 0
		.amdhsa_system_sgpr_workgroup_id_x 1
		.amdhsa_system_sgpr_workgroup_id_y 1
		.amdhsa_system_sgpr_workgroup_id_z 0
		.amdhsa_system_sgpr_workgroup_info 0
		.amdhsa_system_vgpr_workitem_id 0
		.amdhsa_next_free_vgpr 35
		.amdhsa_next_free_sgpr 32
		.amdhsa_accum_offset 36
		.amdhsa_reserve_vcc 1
		.amdhsa_reserve_flat_scratch 0
		.amdhsa_float_round_mode_32 0
		.amdhsa_float_round_mode_16_64 0
		.amdhsa_float_denorm_mode_32 3
		.amdhsa_float_denorm_mode_16_64 3
		.amdhsa_dx10_clamp 1
		.amdhsa_ieee_mode 1
		.amdhsa_fp16_overflow 0
		.amdhsa_tg_split 0
		.amdhsa_exception_fp_ieee_invalid_op 0
		.amdhsa_exception_fp_denorm_src 0
		.amdhsa_exception_fp_ieee_div_zero 0
		.amdhsa_exception_fp_ieee_overflow 0
		.amdhsa_exception_fp_ieee_underflow 0
		.amdhsa_exception_fp_ieee_inexact 0
		.amdhsa_exception_int_div_zero 0
	.end_amdhsa_kernel
	.section	.text._ZN5aiter35fused_qk_rmsnorm_group_quant_kernelIDF16_N4opus5fp4_tELi512ELi16ELi4ELb0ELb0ELb1ELb0ELb0ELb0EEEvPT0_PvPT_S7_S7_PKS6_S9_S9_S9_S9_ffiiiiiiiiiiiii,"axG",@progbits,_ZN5aiter35fused_qk_rmsnorm_group_quant_kernelIDF16_N4opus5fp4_tELi512ELi16ELi4ELb0ELb0ELb1ELb0ELb0ELb0EEEvPT0_PvPT_S7_S7_PKS6_S9_S9_S9_S9_ffiiiiiiiiiiiii,comdat
.Lfunc_end979:
	.size	_ZN5aiter35fused_qk_rmsnorm_group_quant_kernelIDF16_N4opus5fp4_tELi512ELi16ELi4ELb0ELb0ELb1ELb0ELb0ELb0EEEvPT0_PvPT_S7_S7_PKS6_S9_S9_S9_S9_ffiiiiiiiiiiiii, .Lfunc_end979-_ZN5aiter35fused_qk_rmsnorm_group_quant_kernelIDF16_N4opus5fp4_tELi512ELi16ELi4ELb0ELb0ELb1ELb0ELb0ELb0EEEvPT0_PvPT_S7_S7_PKS6_S9_S9_S9_S9_ffiiiiiiiiiiiii
                                        ; -- End function
	.section	.AMDGPU.csdata,"",@progbits
; Kernel info:
; codeLenInByte = 3272
; NumSgprs: 36
; NumVgprs: 35
; NumAgprs: 0
; TotalNumVgprs: 35
; ScratchSize: 0
; MemoryBound: 0
; FloatMode: 240
; IeeeMode: 1
; LDSByteSize: 64 bytes/workgroup (compile time only)
; SGPRBlocks: 4
; VGPRBlocks: 4
; NumSGPRsForWavesPerEU: 36
; NumVGPRsForWavesPerEU: 35
; AccumOffset: 36
; Occupancy: 8
; WaveLimiterHint : 0
; COMPUTE_PGM_RSRC2:SCRATCH_EN: 0
; COMPUTE_PGM_RSRC2:USER_SGPR: 6
; COMPUTE_PGM_RSRC2:TRAP_HANDLER: 0
; COMPUTE_PGM_RSRC2:TGID_X_EN: 1
; COMPUTE_PGM_RSRC2:TGID_Y_EN: 1
; COMPUTE_PGM_RSRC2:TGID_Z_EN: 0
; COMPUTE_PGM_RSRC2:TIDIG_COMP_CNT: 0
; COMPUTE_PGM_RSRC3_GFX90A:ACCUM_OFFSET: 8
; COMPUTE_PGM_RSRC3_GFX90A:TG_SPLIT: 0
	.section	.text._ZN5aiter35fused_qk_rmsnorm_group_quant_kernelItN4opus5fp4_tELi512ELi16ELi4ELb0ELb0ELb1ELb0ELb0ELb0EEEvPT0_PvPT_S7_S7_PKS6_S9_S9_S9_S9_ffiiiiiiiiiiiii,"axG",@progbits,_ZN5aiter35fused_qk_rmsnorm_group_quant_kernelItN4opus5fp4_tELi512ELi16ELi4ELb0ELb0ELb1ELb0ELb0ELb0EEEvPT0_PvPT_S7_S7_PKS6_S9_S9_S9_S9_ffiiiiiiiiiiiii,comdat
	.protected	_ZN5aiter35fused_qk_rmsnorm_group_quant_kernelItN4opus5fp4_tELi512ELi16ELi4ELb0ELb0ELb1ELb0ELb0ELb0EEEvPT0_PvPT_S7_S7_PKS6_S9_S9_S9_S9_ffiiiiiiiiiiiii ; -- Begin function _ZN5aiter35fused_qk_rmsnorm_group_quant_kernelItN4opus5fp4_tELi512ELi16ELi4ELb0ELb0ELb1ELb0ELb0ELb0EEEvPT0_PvPT_S7_S7_PKS6_S9_S9_S9_S9_ffiiiiiiiiiiiii
	.globl	_ZN5aiter35fused_qk_rmsnorm_group_quant_kernelItN4opus5fp4_tELi512ELi16ELi4ELb0ELb0ELb1ELb0ELb0ELb0EEEvPT0_PvPT_S7_S7_PKS6_S9_S9_S9_S9_ffiiiiiiiiiiiii
	.p2align	8
	.type	_ZN5aiter35fused_qk_rmsnorm_group_quant_kernelItN4opus5fp4_tELi512ELi16ELi4ELb0ELb0ELb1ELb0ELb0ELb0EEEvPT0_PvPT_S7_S7_PKS6_S9_S9_S9_S9_ffiiiiiiiiiiiii,@function
_ZN5aiter35fused_qk_rmsnorm_group_quant_kernelItN4opus5fp4_tELi512ELi16ELi4ELb0ELb0ELb1ELb0ELb0ELb0EEEvPT0_PvPT_S7_S7_PKS6_S9_S9_S9_S9_ffiiiiiiiiiiiii: ; @_ZN5aiter35fused_qk_rmsnorm_group_quant_kernelItN4opus5fp4_tELi512ELi16ELi4ELb0ELb0ELb1ELb0ELb0ELb0EEEvPT0_PvPT_S7_S7_PKS6_S9_S9_S9_S9_ffiiiiiiiiiiiii
; %bb.0:
	s_load_dwordx4 s[16:19], s[4:5], 0x50
	s_waitcnt lgkmcnt(0)
	s_cmp_ge_i32 s6, s18
	s_cbranch_scc1 .LBB980_12
; %bb.1:
	s_load_dwordx2 s[12:13], s[4:5], 0x48
	s_load_dwordx2 s[30:31], s[4:5], 0x30
	s_load_dwordx4 s[20:23], s[4:5], 0x60
	s_cmp_lg_u32 s7, 0
	s_cselect_b64 s[14:15], -1, 0
	s_cmp_eq_u32 s7, 0
	s_cselect_b64 vcc, -1, 0
	s_and_b64 s[0:1], vcc, exec
	s_waitcnt lgkmcnt(0)
	s_cselect_b32 s7, s19, s20
	s_add_i32 s0, s7, 1
	s_lshr_b32 s1, s0, 31
	s_add_i32 s0, s0, s1
	s_lshl_b32 s0, s0, 1
	v_lshlrev_b32_e32 v1, 4, v0
	s_and_b32 s10, s0, -4
	v_cmp_gt_i32_e64 s[2:3], s7, v1
	v_mov_b32_e32 v18, 0
	v_mov_b32_e32 v6, 0
	;; [unrolled: 1-line block ×17, first 2 shown]
	s_and_saveexec_b64 s[0:1], s[2:3]
	s_cbranch_execz .LBB980_3
; %bb.2:
	s_load_dwordx2 s[8:9], s[4:5], 0x28
	s_load_dwordx2 s[26:27], s[4:5], 0x40
	s_and_b64 s[24:25], vcc, exec
	s_cselect_b32 s11, s21, s22
	v_lshlrev_b32_e32 v19, 5, v0
	s_waitcnt lgkmcnt(0)
	s_cselect_b32 s18, s9, s31
	s_cselect_b32 s21, s8, s30
	s_mul_hi_i32 s9, s11, s6
	s_mul_i32 s8, s11, s6
	s_lshl_b64 s[8:9], s[8:9], 1
	s_add_u32 s24, s21, s8
	s_addc_u32 s18, s18, s9
	s_and_b64 s[8:9], vcc, exec
	s_mov_b32 s11, 0x20000
	s_cselect_b32 s8, s26, s12
	s_cselect_b32 s9, s27, s13
	s_and_b32 s25, s18, 0xffff
	s_mov_b32 s26, s10
	s_mov_b32 s27, s11
	s_and_b32 s9, s9, 0xffff
	buffer_load_dwordx4 v[14:17], v19, s[24:27], 0 offen
	buffer_load_dwordx4 v[10:13], v19, s[24:27], 16 offen
	;; [unrolled: 1-line block ×4, first 2 shown]
.LBB980_3:
	s_or_b64 exec, exec, s[0:1]
	v_mov_b32_e32 v19, 0
	v_mov_b32_e32 v22, 0
	;; [unrolled: 1-line block ×15, first 2 shown]
	s_and_saveexec_b64 s[0:1], s[2:3]
	s_cbranch_execz .LBB980_5
; %bb.4:
	s_waitcnt vmcnt(3)
	v_cvt_f32_u32_sdwa v18, v14 dst_sel:DWORD dst_unused:UNUSED_PAD src0_sel:WORD_0
	v_cvt_f32_u32_sdwa v19, v14 dst_sel:DWORD dst_unused:UNUSED_PAD src0_sel:WORD_1
	v_cvt_f32_u32_sdwa v22, v15 dst_sel:DWORD dst_unused:UNUSED_PAD src0_sel:WORD_0
	v_cvt_f32_u32_sdwa v23, v15 dst_sel:DWORD dst_unused:UNUSED_PAD src0_sel:WORD_1
	;; [unrolled: 2-line block ×4, first 2 shown]
	s_waitcnt vmcnt(2)
	v_cvt_f32_u32_sdwa v24, v10 dst_sel:DWORD dst_unused:UNUSED_PAD src0_sel:WORD_0
	v_cvt_f32_u32_sdwa v25, v10 dst_sel:DWORD dst_unused:UNUSED_PAD src0_sel:WORD_1
	v_cvt_f32_u32_sdwa v32, v11 dst_sel:DWORD dst_unused:UNUSED_PAD src0_sel:WORD_0
	v_cvt_f32_u32_sdwa v33, v11 dst_sel:DWORD dst_unused:UNUSED_PAD src0_sel:WORD_1
	;; [unrolled: 2-line block ×4, first 2 shown]
.LBB980_5:
	s_or_b64 exec, exec, s[0:1]
	s_waitcnt vmcnt(2)
	v_mul_f32_e32 v10, v19, v19
	v_fmac_f32_e32 v10, v18, v18
	v_fmac_f32_e32 v10, v22, v22
	;; [unrolled: 1-line block ×15, first 2 shown]
	v_and_b32_e32 v12, 63, v0
	v_cmp_eq_u32_e64 s[0:1], 63, v12
	v_mov_b32_dpp v11, v10 quad_perm:[1,0,3,2] row_mask:0xf bank_mask:0xf
	v_add_f32_e32 v10, v10, v11
	s_nop 1
	v_mov_b32_dpp v11, v10 quad_perm:[2,3,0,1] row_mask:0xf bank_mask:0xf
	v_add_f32_e32 v10, v10, v11
	s_nop 1
	v_mov_b32_dpp v11, v10 row_half_mirror row_mask:0xf bank_mask:0xf
	v_add_f32_e32 v10, v10, v11
	s_nop 1
	v_mov_b32_dpp v11, v10 row_mirror row_mask:0xf bank_mask:0xf
	v_add_f32_e32 v10, v10, v11
	s_nop 1
	v_mov_b32_dpp v11, v10 row_bcast:15 row_mask:0xf bank_mask:0xf
	v_add_f32_e32 v10, v10, v11
	s_nop 1
	v_mov_b32_dpp v11, v10 row_bcast:31 row_mask:0xf bank_mask:0xf
	s_and_saveexec_b64 s[8:9], s[0:1]
	s_cbranch_execz .LBB980_7
; %bb.6:
	v_add_f32_e32 v10, v10, v11
	v_lshrrev_b32_e32 v11, 4, v0
	v_and_b32_e32 v11, 60, v11
	ds_write_b32 v11, v10 offset:32
.LBB980_7:
	s_or_b64 exec, exec, s[8:9]
	v_and_b32_e32 v10, 7, v0
	v_lshlrev_b32_e32 v34, 2, v10
	s_waitcnt lgkmcnt(0)
	s_barrier
	ds_read_b32 v10, v34 offset:32
	s_load_dwordx2 s[28:29], s[4:5], 0x18
	s_waitcnt lgkmcnt(0)
	v_mov_b32_dpp v11, v10 quad_perm:[1,0,3,2] row_mask:0xf bank_mask:0xf
	v_add_f32_e32 v10, v10, v11
	s_nop 1
	v_mov_b32_dpp v11, v10 quad_perm:[2,3,0,1] row_mask:0xf bank_mask:0xf
	v_add_f32_e32 v10, v10, v11
	s_nop 1
	v_mov_b32_dpp v11, v10 row_half_mirror row_mask:0xf bank_mask:0xf
	s_and_saveexec_b64 s[8:9], s[2:3]
	s_cbranch_execz .LBB980_9
; %bb.8:
	v_cvt_f32_u32_e32 v12, s7
	v_add_f32_e32 v10, v10, v11
	v_mov_b32_e32 v14, s17
	v_mov_b32_e32 v15, s16
	v_div_scale_f32 v11, s[24:25], v12, v12, v10
	v_rcp_f32_e32 v13, v11
	v_cndmask_b32_e32 v14, v14, v15, vcc
	s_mov_b32 s7, 0x800000
	v_fma_f32 v15, -v11, v13, 1.0
	v_fmac_f32_e32 v13, v15, v13
	v_div_scale_f32 v15, vcc, v10, v12, v10
	v_mul_f32_e32 v16, v15, v13
	v_fma_f32 v17, -v11, v16, v15
	v_fmac_f32_e32 v16, v17, v13
	v_fma_f32 v11, -v11, v16, v15
	v_div_fmas_f32 v11, v11, v13, v16
	v_div_fixup_f32 v10, v11, v12, v10
	v_add_f32_e32 v10, v14, v10
	v_mul_f32_e32 v11, 0x4b800000, v10
	v_cmp_gt_f32_e32 vcc, s7, v10
	v_cndmask_b32_e32 v10, v10, v11, vcc
	v_rsq_f32_e32 v10, v10
	v_mul_f32_e32 v11, 0x45800000, v10
	v_cndmask_b32_e32 v10, v10, v11, vcc
	v_mov_b32_e32 v11, v10
	;;#ASMSTART
	v_pk_mul_f32 v[12:13], v[18:19], v[10:11]
	;;#ASMEND
	s_waitcnt vmcnt(1)
	v_cvt_f32_u32_sdwa v19, v6 dst_sel:DWORD dst_unused:UNUSED_PAD src0_sel:WORD_1
	v_cvt_f32_u32_sdwa v18, v6 dst_sel:DWORD dst_unused:UNUSED_PAD src0_sel:WORD_0
	;;#ASMSTART
	v_pk_mul_f32 v[14:15], v[22:23], v[10:11]
	;;#ASMEND
	;;#ASMSTART
	v_pk_mul_f32 v[16:17], v[20:21], v[10:11]
	;;#ASMEND
	v_cvt_f32_u32_sdwa v21, v7 dst_sel:DWORD dst_unused:UNUSED_PAD src0_sel:WORD_1
	v_cvt_f32_u32_sdwa v20, v7 dst_sel:DWORD dst_unused:UNUSED_PAD src0_sel:WORD_0
	;;#ASMSTART
	v_pk_mul_f32 v[28:29], v[28:29], v[10:11]
	;;#ASMEND
	;;#ASMSTART
	v_pk_mul_f32 v[24:25], v[24:25], v[10:11]
	;;#ASMEND
	;; [unrolled: 3-line block ×5, first 2 shown]
	v_pk_add_f32 v[10:11], v[18:19], 1.0 op_sel_hi:[1,0]
	;;#ASMSTART
	v_pk_mul_f32 v[18:19], v[12:13], v[10:11]
	;;#ASMEND
	v_cvt_f32_u32_sdwa v13, v8 dst_sel:DWORD dst_unused:UNUSED_PAD src0_sel:WORD_1
	v_cvt_f32_u32_sdwa v12, v8 dst_sel:DWORD dst_unused:UNUSED_PAD src0_sel:WORD_0
	v_cvt_f32_u32_sdwa v27, v9 dst_sel:DWORD dst_unused:UNUSED_PAD src0_sel:WORD_1
	v_cvt_f32_u32_sdwa v26, v9 dst_sel:DWORD dst_unused:UNUSED_PAD src0_sel:WORD_0
	v_pk_add_f32 v[10:11], v[20:21], 1.0 op_sel_hi:[1,0]
	;;#ASMSTART
	v_pk_mul_f32 v[22:23], v[14:15], v[10:11]
	;;#ASMEND
	s_waitcnt vmcnt(0)
	v_cvt_f32_u32_sdwa v11, v2 dst_sel:DWORD dst_unused:UNUSED_PAD src0_sel:WORD_1
	v_cvt_f32_u32_sdwa v10, v2 dst_sel:DWORD dst_unused:UNUSED_PAD src0_sel:WORD_0
	v_pk_add_f32 v[8:9], v[12:13], 1.0 op_sel_hi:[1,0]
	;;#ASMSTART
	v_pk_mul_f32 v[20:21], v[16:17], v[8:9]
	;;#ASMEND
	v_pk_add_f32 v[8:9], v[26:27], 1.0 op_sel_hi:[1,0]
	v_cvt_f32_u32_sdwa v13, v3 dst_sel:DWORD dst_unused:UNUSED_PAD src0_sel:WORD_1
	v_cvt_f32_u32_sdwa v12, v3 dst_sel:DWORD dst_unused:UNUSED_PAD src0_sel:WORD_0
	;;#ASMSTART
	v_pk_mul_f32 v[28:29], v[28:29], v[8:9]
	;;#ASMEND
	v_cvt_f32_u32_sdwa v9, v4 dst_sel:DWORD dst_unused:UNUSED_PAD src0_sel:WORD_1
	v_cvt_f32_u32_sdwa v8, v4 dst_sel:DWORD dst_unused:UNUSED_PAD src0_sel:WORD_0
	v_pk_add_f32 v[2:3], v[10:11], 1.0 op_sel_hi:[1,0]
	v_cvt_f32_u32_sdwa v11, v5 dst_sel:DWORD dst_unused:UNUSED_PAD src0_sel:WORD_1
	v_cvt_f32_u32_sdwa v10, v5 dst_sel:DWORD dst_unused:UNUSED_PAD src0_sel:WORD_0
	;;#ASMSTART
	v_pk_mul_f32 v[24:25], v[24:25], v[2:3]
	;;#ASMEND
	v_pk_add_f32 v[2:3], v[12:13], 1.0 op_sel_hi:[1,0]
	;;#ASMSTART
	v_pk_mul_f32 v[32:33], v[32:33], v[2:3]
	;;#ASMEND
	v_pk_add_f32 v[2:3], v[8:9], 1.0 op_sel_hi:[1,0]
	;; [unrolled: 4-line block ×3, first 2 shown]
	;;#ASMSTART
	v_pk_mul_f32 v[26:27], v[6:7], v[2:3]
	;;#ASMEND
.LBB980_9:
	s_or_b64 exec, exec, s[8:9]
	s_load_dword s7, s[4:5], 0x80
	s_mov_b64 s[8:9], -1
	s_and_b64 vcc, exec, s[14:15]
	s_cbranch_vccnz .LBB980_13
; %bb.10:
	s_andn2_b64 vcc, exec, s[8:9]
	s_cbranch_vccz .LBB980_16
.LBB980_11:
	s_cmp_lt_i32 s20, 1
	s_cbranch_scc0 .LBB980_23
.LBB980_12:
	s_endpgm
.LBB980_13:
	s_and_saveexec_b64 s[14:15], s[2:3]
	s_cbranch_execz .LBB980_15
; %bb.14:
	s_waitcnt lgkmcnt(0)
	s_mul_hi_i32 s9, s7, s6
	s_mul_i32 s8, s7, s6
	s_lshl_b64 s[8:9], s[8:9], 1
	s_add_u32 s8, s28, s8
	s_addc_u32 s9, s29, s9
	s_mov_b32 s16, 0x7060302
	s_and_b32 s9, s9, 0xffff
	s_mov_b32 s11, 0x20000
	s_waitcnt vmcnt(0)
	v_perm_b32 v5, v29, v28, s16
	v_perm_b32 v4, v21, v20, s16
	;; [unrolled: 1-line block ×4, first 2 shown]
	v_lshlrev_b32_e32 v6, 5, v0
	buffer_store_dwordx4 v[2:5], v6, s[8:11], 0 offen
	;;#ASMSTART
	s_nop 0
	;;#ASMEND
	s_nop 0
	v_perm_b32 v5, v27, v26, s16
	v_perm_b32 v4, v31, v30, s16
	;; [unrolled: 1-line block ×4, first 2 shown]
	buffer_store_dwordx4 v[2:5], v6, s[8:11], 16 offen
	;;#ASMSTART
	s_nop 0
	;;#ASMEND
.LBB980_15:
	s_or_b64 exec, exec, s[14:15]
	s_cbranch_execnz .LBB980_11
.LBB980_16:
	s_waitcnt vmcnt(0)
	v_mov_b32_e32 v2, 0
	s_and_saveexec_b64 s[8:9], s[2:3]
	s_cbranch_execz .LBB980_18
; %bb.17:
	v_and_b32_e32 v2, 0x7fffffff, v18
	v_and_b32_e32 v3, 0x7fffffff, v19
	v_mov_b32_e32 v4, 0x2edbe6ff
	;;#ASMSTART
	v_max3_f32 v2, v4, v2, v3

	;;#ASMEND
	v_and_b32_e32 v3, 0x7fffffff, v22
	v_and_b32_e32 v4, 0x7fffffff, v23
	;;#ASMSTART
	v_max3_f32 v2, v2, v3, v4

	;;#ASMEND
	v_and_b32_e32 v3, 0x7fffffff, v20
	v_and_b32_e32 v4, 0x7fffffff, v21
	;; [unrolled: 6-line block ×7, first 2 shown]
	;;#ASMSTART
	v_max3_f32 v2, v2, v3, v4

	;;#ASMEND
.LBB980_18:
	s_or_b64 exec, exec, s[8:9]
	s_load_dwordx4 s[24:27], s[4:5], 0x70
	;;#ASMSTART
	v_max_f32 v3, v2, v2 quad_perm:[1,0,3,2] row_mask:0xf bank_mask:0xf bound_ctrl:1
	;;#ASMEND
	;;#ASMSTART
	v_max_f32 v2, v3, v3 quad_perm:[2,3,0,1] row_mask:0xf bank_mask:0xf bound_ctrl:1
	;;#ASMEND
	v_and_b32_e32 v3, 3, v0
	v_cmp_eq_u32_e32 vcc, 0, v3
	v_cmp_gt_i32_e64 s[8:9], s19, v1
	s_and_b64 s[10:11], vcc, s[8:9]
	s_and_saveexec_b64 s[8:9], s[10:11]
	s_cbranch_execz .LBB980_20
; %bb.19:
	s_load_dwordx2 s[10:11], s[4:5], 0x8
	v_mul_f32_e32 v2, 0x3e2aaaab, v2
	v_lshrrev_b32_e32 v3, 23, v2
	v_and_b32_e32 v4, 0x7f800000, v2
	v_and_b32_e32 v2, 0x7fffff, v2
	v_cmp_ne_u32_e32 vcc, 0, v2
	s_waitcnt lgkmcnt(0)
	s_mul_i32 s16, s25, s6
	s_mov_b32 s14, 0x7f800000
	v_addc_co_u32_e32 v2, vcc, 0, v3, vcc
	s_mul_hi_i32 s15, s25, s6
	s_add_u32 s10, s10, s16
	v_cmp_ne_u32_e32 vcc, s14, v4
	s_addc_u32 s11, s11, s15
	v_lshrrev_b32_e32 v5, 2, v0
	v_cndmask_b32_e32 v4, -1, v2, vcc
	v_pk_mov_b32 v[2:3], s[10:11], s[10:11] op_sel:[0,1]
	v_mad_i64_i32 v[2:3], s[10:11], s26, v5, v[2:3]
	global_store_byte v[2:3], v4, off
.LBB980_20:
	s_or_b64 exec, exec, s[8:9]
	s_and_saveexec_b64 s[8:9], s[2:3]
	s_cbranch_execz .LBB980_22
; %bb.21:
	s_load_dwordx2 s[2:3], s[4:5], 0x0
	s_waitcnt lgkmcnt(0)
	s_mul_i32 s11, s24, s6
	s_mul_hi_i32 s10, s24, s6
	v_mov_b32_e32 v2, 0
	v_lshlrev_b32_e32 v4, 3, v0
	s_add_u32 s24, s2, s11
	s_addc_u32 s2, s3, s10
	s_lshr_b32 s3, s19, 31
	s_add_i32 s3, s19, s3
	s_ashr_i32 s3, s3, 1
	s_add_i32 s3, s3, 3
	s_ashr_i32 s10, s3, 31
	s_lshr_b32 s10, s10, 30
	s_add_i32 s3, s3, s10
	s_and_b32 s26, s3, -4
	s_and_b32 s25, s2, 0xffff
	s_mov_b32 s27, 0x20000
	v_mov_b32_e32 v3, v2
	buffer_store_dwordx2 v[2:3], v4, s[24:27], 0 offen
	;;#ASMSTART
	s_nop 0
	;;#ASMEND
.LBB980_22:
	s_or_b64 exec, exec, s[8:9]
	s_cmp_lt_i32 s20, 1
	s_cbranch_scc1 .LBB980_12
.LBB980_23:
	s_load_dword s2, s[4:5], 0x94
	s_waitcnt lgkmcnt(0)
	s_cmp_lg_u32 s2, 1
	s_cbranch_scc1 .LBB980_12
; %bb.24:
	s_lshl_b32 s2, s20, 1
	s_add_i32 s2, s2, 2
	v_cmp_gt_u32_e32 vcc, s20, v1
	s_and_b32 s14, s2, -4
	v_mov_b32_e32 v18, 0
	v_lshlrev_b32_e32 v1, 5, v0
	v_mov_b32_e32 v14, 0
	v_mov_b32_e32 v15, 0
	;; [unrolled: 1-line block ×8, first 2 shown]
	s_waitcnt vmcnt(1)
	v_mov_b32_e32 v6, 0
	v_mov_b32_e32 v7, 0
	;; [unrolled: 1-line block ×4, first 2 shown]
	s_waitcnt vmcnt(0)
	v_mov_b32_e32 v2, 0
	v_mov_b32_e32 v3, 0
	;; [unrolled: 1-line block ×4, first 2 shown]
	s_barrier
	s_and_saveexec_b64 s[2:3], vcc
	s_cbranch_execz .LBB980_26
; %bb.25:
	s_mul_hi_i32 s5, s22, s6
	s_mul_i32 s4, s22, s6
	s_and_b32 s13, s13, 0xffff
	s_lshl_b64 s[4:5], s[4:5], 1
	s_add_u32 s8, s30, s4
	s_mov_b32 s15, 0x20000
	s_addc_u32 s4, s31, s5
	s_and_b32 s9, s4, 0xffff
	s_mov_b32 s10, s14
	s_mov_b32 s11, s15
	buffer_load_dwordx4 v[14:17], v1, s[8:11], 0 offen
	buffer_load_dwordx4 v[10:13], v1, s[8:11], 16 offen
	;; [unrolled: 1-line block ×4, first 2 shown]
.LBB980_26:
	s_or_b64 exec, exec, s[2:3]
	v_mov_b32_e32 v19, 0
	v_mov_b32_e32 v32, 0
	v_mov_b32_e32 v33, 0
	v_mov_b32_e32 v30, 0
	v_mov_b32_e32 v31, 0
	v_mov_b32_e32 v28, 0
	v_mov_b32_e32 v29, 0
	v_mov_b32_e32 v26, 0
	v_mov_b32_e32 v27, 0
	v_mov_b32_e32 v24, 0
	v_mov_b32_e32 v25, 0
	v_mov_b32_e32 v22, 0
	v_mov_b32_e32 v23, 0
	v_mov_b32_e32 v20, 0
	v_mov_b32_e32 v21, 0
	s_and_saveexec_b64 s[2:3], vcc
	s_cbranch_execz .LBB980_28
; %bb.27:
	s_waitcnt vmcnt(3)
	v_cvt_f32_u32_sdwa v18, v14 dst_sel:DWORD dst_unused:UNUSED_PAD src0_sel:WORD_0
	v_cvt_f32_u32_sdwa v19, v14 dst_sel:DWORD dst_unused:UNUSED_PAD src0_sel:WORD_1
	v_cvt_f32_u32_sdwa v32, v15 dst_sel:DWORD dst_unused:UNUSED_PAD src0_sel:WORD_0
	v_cvt_f32_u32_sdwa v33, v15 dst_sel:DWORD dst_unused:UNUSED_PAD src0_sel:WORD_1
	;; [unrolled: 2-line block ×4, first 2 shown]
	s_waitcnt vmcnt(2)
	v_cvt_f32_u32_sdwa v26, v10 dst_sel:DWORD dst_unused:UNUSED_PAD src0_sel:WORD_0
	v_cvt_f32_u32_sdwa v27, v10 dst_sel:DWORD dst_unused:UNUSED_PAD src0_sel:WORD_1
	v_cvt_f32_u32_sdwa v24, v11 dst_sel:DWORD dst_unused:UNUSED_PAD src0_sel:WORD_0
	v_cvt_f32_u32_sdwa v25, v11 dst_sel:DWORD dst_unused:UNUSED_PAD src0_sel:WORD_1
	;; [unrolled: 2-line block ×4, first 2 shown]
.LBB980_28:
	s_or_b64 exec, exec, s[2:3]
	s_waitcnt vmcnt(2)
	v_mul_f32_e32 v10, v19, v19
	v_fmac_f32_e32 v10, v18, v18
	v_fmac_f32_e32 v10, v32, v32
	;; [unrolled: 1-line block ×15, first 2 shown]
	s_nop 1
	v_mov_b32_dpp v11, v10 quad_perm:[1,0,3,2] row_mask:0xf bank_mask:0xf
	v_add_f32_e32 v10, v10, v11
	s_nop 1
	v_mov_b32_dpp v11, v10 quad_perm:[2,3,0,1] row_mask:0xf bank_mask:0xf
	v_add_f32_e32 v10, v10, v11
	s_nop 1
	v_mov_b32_dpp v11, v10 row_half_mirror row_mask:0xf bank_mask:0xf
	v_add_f32_e32 v10, v10, v11
	s_nop 1
	v_mov_b32_dpp v11, v10 row_mirror row_mask:0xf bank_mask:0xf
	v_add_f32_e32 v10, v10, v11
	s_nop 1
	v_mov_b32_dpp v11, v10 row_bcast:15 row_mask:0xf bank_mask:0xf
	v_add_f32_e32 v10, v10, v11
	s_nop 1
	v_mov_b32_dpp v11, v10 row_bcast:31 row_mask:0xf bank_mask:0xf
	s_and_saveexec_b64 s[2:3], s[0:1]
	s_cbranch_execz .LBB980_30
; %bb.29:
	v_lshrrev_b32_e32 v0, 4, v0
	v_add_f32_e32 v10, v10, v11
	v_and_b32_e32 v0, 60, v0
	ds_write_b32 v0, v10
.LBB980_30:
	s_or_b64 exec, exec, s[2:3]
	s_waitcnt lgkmcnt(0)
	s_barrier
	ds_read_b32 v0, v34
	s_waitcnt lgkmcnt(0)
	s_nop 0
	v_mov_b32_dpp v10, v0 quad_perm:[1,0,3,2] row_mask:0xf bank_mask:0xf
	v_add_f32_e32 v0, v0, v10
	s_nop 1
	v_mov_b32_dpp v10, v0 quad_perm:[2,3,0,1] row_mask:0xf bank_mask:0xf
	v_add_f32_e32 v0, v0, v10
	s_nop 1
	v_mov_b32_dpp v10, v0 row_half_mirror row_mask:0xf bank_mask:0xf
	s_and_saveexec_b64 s[0:1], vcc
	s_cbranch_execz .LBB980_12
; %bb.31:
	v_cvt_f32_u32_e32 v11, s20
	v_add_f32_e32 v0, v0, v10
	s_mov_b32 s15, 0x20000
	v_div_scale_f32 v10, s[0:1], v11, v11, v0
	v_rcp_f32_e32 v12, v10
	v_div_scale_f32 v13, vcc, v0, v11, v0
	s_mov_b32 s0, 0x800000
	v_fma_f32 v14, -v10, v12, 1.0
	v_fmac_f32_e32 v12, v14, v12
	v_mul_f32_e32 v14, v13, v12
	v_fma_f32 v15, -v10, v14, v13
	v_fmac_f32_e32 v14, v15, v12
	v_fma_f32 v10, -v10, v14, v13
	v_div_fmas_f32 v10, v10, v12, v14
	v_div_fixup_f32 v0, v10, v11, v0
	v_add_f32_e32 v0, s17, v0
	v_mul_f32_e32 v10, 0x4b800000, v0
	v_cmp_gt_f32_e32 vcc, s0, v0
	v_cndmask_b32_e32 v0, v0, v10, vcc
	v_rsq_f32_e32 v0, v0
	s_mul_hi_i32 s1, s7, s6
	s_mul_i32 s0, s7, s6
	s_lshl_b64 s[0:1], s[0:1], 1
	v_mul_f32_e32 v10, 0x45800000, v0
	v_cndmask_b32_e32 v10, v0, v10, vcc
	v_mov_b32_e32 v11, v10
	;;#ASMSTART
	v_pk_mul_f32 v[12:13], v[18:19], v[10:11]
	;;#ASMEND
	;;#ASMSTART
	v_pk_mul_f32 v[14:15], v[32:33], v[10:11]
	;;#ASMEND
	;; [unrolled: 3-line block ×4, first 2 shown]
	s_waitcnt vmcnt(1)
	v_cvt_f32_u32_sdwa v29, v6 dst_sel:DWORD dst_unused:UNUSED_PAD src0_sel:WORD_1
	v_cvt_f32_u32_sdwa v28, v6 dst_sel:DWORD dst_unused:UNUSED_PAD src0_sel:WORD_0
	v_cvt_f32_u32_sdwa v31, v7 dst_sel:DWORD dst_unused:UNUSED_PAD src0_sel:WORD_1
	v_cvt_f32_u32_sdwa v30, v7 dst_sel:DWORD dst_unused:UNUSED_PAD src0_sel:WORD_0
	;;#ASMSTART
	v_pk_mul_f32 v[26:27], v[26:27], v[10:11]
	;;#ASMEND
	;;#ASMSTART
	v_pk_mul_f32 v[24:25], v[24:25], v[10:11]
	;;#ASMEND
	;;#ASMSTART
	v_pk_mul_f32 v[22:23], v[22:23], v[10:11]
	;;#ASMEND
	;;#ASMSTART
	v_pk_mul_f32 v[6:7], v[20:21], v[10:11]
	;;#ASMEND
	v_cvt_f32_u32_sdwa v21, v8 dst_sel:DWORD dst_unused:UNUSED_PAD src0_sel:WORD_1
	v_cvt_f32_u32_sdwa v20, v8 dst_sel:DWORD dst_unused:UNUSED_PAD src0_sel:WORD_0
	v_pk_add_f32 v[10:11], v[28:29], 1.0 op_sel_hi:[1,0]
	;;#ASMSTART
	v_pk_mul_f32 v[10:11], v[12:13], v[10:11]
	;;#ASMEND
	v_pk_add_f32 v[12:13], v[30:31], 1.0 op_sel_hi:[1,0]
	v_cvt_f32_u32_sdwa v29, v9 dst_sel:DWORD dst_unused:UNUSED_PAD src0_sel:WORD_1
	v_cvt_f32_u32_sdwa v28, v9 dst_sel:DWORD dst_unused:UNUSED_PAD src0_sel:WORD_0
	;;#ASMSTART
	v_pk_mul_f32 v[8:9], v[14:15], v[12:13]
	;;#ASMEND
	v_pk_add_f32 v[12:13], v[20:21], 1.0 op_sel_hi:[1,0]
	;;#ASMSTART
	v_pk_mul_f32 v[12:13], v[16:17], v[12:13]
	;;#ASMEND
	s_waitcnt vmcnt(0)
	v_cvt_f32_u32_sdwa v17, v2 dst_sel:DWORD dst_unused:UNUSED_PAD src0_sel:WORD_1
	v_cvt_f32_u32_sdwa v16, v2 dst_sel:DWORD dst_unused:UNUSED_PAD src0_sel:WORD_0
	v_cvt_f32_u32_sdwa v21, v3 dst_sel:DWORD dst_unused:UNUSED_PAD src0_sel:WORD_1
	v_cvt_f32_u32_sdwa v20, v3 dst_sel:DWORD dst_unused:UNUSED_PAD src0_sel:WORD_0
	v_pk_add_f32 v[14:15], v[28:29], 1.0 op_sel_hi:[1,0]
	;;#ASMSTART
	v_pk_mul_f32 v[14:15], v[18:19], v[14:15]
	;;#ASMEND
	v_pk_add_f32 v[2:3], v[16:17], 1.0 op_sel_hi:[1,0]
	v_cvt_f32_u32_sdwa v19, v4 dst_sel:DWORD dst_unused:UNUSED_PAD src0_sel:WORD_1
	v_cvt_f32_u32_sdwa v18, v4 dst_sel:DWORD dst_unused:UNUSED_PAD src0_sel:WORD_0
	;;#ASMSTART
	v_pk_mul_f32 v[16:17], v[26:27], v[2:3]
	;;#ASMEND
	v_pk_add_f32 v[2:3], v[20:21], 1.0 op_sel_hi:[1,0]
	v_cvt_f32_u32_sdwa v21, v5 dst_sel:DWORD dst_unused:UNUSED_PAD src0_sel:WORD_1
	v_cvt_f32_u32_sdwa v20, v5 dst_sel:DWORD dst_unused:UNUSED_PAD src0_sel:WORD_0
	s_add_u32 s12, s28, s0
	;;#ASMSTART
	v_pk_mul_f32 v[24:25], v[24:25], v[2:3]
	;;#ASMEND
	v_pk_add_f32 v[2:3], v[18:19], 1.0 op_sel_hi:[1,0]
	s_addc_u32 s0, s29, s1
	;;#ASMSTART
	v_pk_mul_f32 v[18:19], v[22:23], v[2:3]
	;;#ASMEND
	v_pk_add_f32 v[2:3], v[20:21], 1.0 op_sel_hi:[1,0]
	s_and_b32 s13, s0, 0xffff
	s_mov_b32 s0, 0x7060302
	;;#ASMSTART
	v_pk_mul_f32 v[6:7], v[6:7], v[2:3]
	;;#ASMEND
	v_perm_b32 v2, v11, v10, s0
	v_perm_b32 v3, v9, v8, s0
	;; [unrolled: 1-line block ×4, first 2 shown]
	buffer_store_dwordx4 v[2:5], v1, s[12:15], 0 offen
	;;#ASMSTART
	s_nop 0
	;;#ASMEND
	s_nop 0
	v_perm_b32 v2, v17, v16, s0
	v_perm_b32 v3, v25, v24, s0
	;; [unrolled: 1-line block ×4, first 2 shown]
	buffer_store_dwordx4 v[2:5], v1, s[12:15], 16 offen
	;;#ASMSTART
	s_nop 0
	;;#ASMEND
	s_endpgm
	.section	.rodata,"a",@progbits
	.p2align	6, 0x0
	.amdhsa_kernel _ZN5aiter35fused_qk_rmsnorm_group_quant_kernelItN4opus5fp4_tELi512ELi16ELi4ELb0ELb0ELb1ELb0ELb0ELb0EEEvPT0_PvPT_S7_S7_PKS6_S9_S9_S9_S9_ffiiiiiiiiiiiii
		.amdhsa_group_segment_fixed_size 64
		.amdhsa_private_segment_fixed_size 0
		.amdhsa_kernarg_size 400
		.amdhsa_user_sgpr_count 6
		.amdhsa_user_sgpr_private_segment_buffer 1
		.amdhsa_user_sgpr_dispatch_ptr 0
		.amdhsa_user_sgpr_queue_ptr 0
		.amdhsa_user_sgpr_kernarg_segment_ptr 1
		.amdhsa_user_sgpr_dispatch_id 0
		.amdhsa_user_sgpr_flat_scratch_init 0
		.amdhsa_user_sgpr_kernarg_preload_length 0
		.amdhsa_user_sgpr_kernarg_preload_offset 0
		.amdhsa_user_sgpr_private_segment_size 0
		.amdhsa_uses_dynamic_stack 0
		.amdhsa_system_sgpr_private_segment_wavefront_offset 0
		.amdhsa_system_sgpr_workgroup_id_x 1
		.amdhsa_system_sgpr_workgroup_id_y 1
		.amdhsa_system_sgpr_workgroup_id_z 0
		.amdhsa_system_sgpr_workgroup_info 0
		.amdhsa_system_vgpr_workitem_id 0
		.amdhsa_next_free_vgpr 35
		.amdhsa_next_free_sgpr 32
		.amdhsa_accum_offset 36
		.amdhsa_reserve_vcc 1
		.amdhsa_reserve_flat_scratch 0
		.amdhsa_float_round_mode_32 0
		.amdhsa_float_round_mode_16_64 0
		.amdhsa_float_denorm_mode_32 3
		.amdhsa_float_denorm_mode_16_64 3
		.amdhsa_dx10_clamp 1
		.amdhsa_ieee_mode 1
		.amdhsa_fp16_overflow 0
		.amdhsa_tg_split 0
		.amdhsa_exception_fp_ieee_invalid_op 0
		.amdhsa_exception_fp_denorm_src 0
		.amdhsa_exception_fp_ieee_div_zero 0
		.amdhsa_exception_fp_ieee_overflow 0
		.amdhsa_exception_fp_ieee_underflow 0
		.amdhsa_exception_fp_ieee_inexact 0
		.amdhsa_exception_int_div_zero 0
	.end_amdhsa_kernel
	.section	.text._ZN5aiter35fused_qk_rmsnorm_group_quant_kernelItN4opus5fp4_tELi512ELi16ELi4ELb0ELb0ELb1ELb0ELb0ELb0EEEvPT0_PvPT_S7_S7_PKS6_S9_S9_S9_S9_ffiiiiiiiiiiiii,"axG",@progbits,_ZN5aiter35fused_qk_rmsnorm_group_quant_kernelItN4opus5fp4_tELi512ELi16ELi4ELb0ELb0ELb1ELb0ELb0ELb0EEEvPT0_PvPT_S7_S7_PKS6_S9_S9_S9_S9_ffiiiiiiiiiiiii,comdat
.Lfunc_end980:
	.size	_ZN5aiter35fused_qk_rmsnorm_group_quant_kernelItN4opus5fp4_tELi512ELi16ELi4ELb0ELb0ELb1ELb0ELb0ELb0EEEvPT0_PvPT_S7_S7_PKS6_S9_S9_S9_S9_ffiiiiiiiiiiiii, .Lfunc_end980-_ZN5aiter35fused_qk_rmsnorm_group_quant_kernelItN4opus5fp4_tELi512ELi16ELi4ELb0ELb0ELb1ELb0ELb0ELb0EEEvPT0_PvPT_S7_S7_PKS6_S9_S9_S9_S9_ffiiiiiiiiiiiii
                                        ; -- End function
	.section	.AMDGPU.csdata,"",@progbits
; Kernel info:
; codeLenInByte = 3296
; NumSgprs: 36
; NumVgprs: 35
; NumAgprs: 0
; TotalNumVgprs: 35
; ScratchSize: 0
; MemoryBound: 0
; FloatMode: 240
; IeeeMode: 1
; LDSByteSize: 64 bytes/workgroup (compile time only)
; SGPRBlocks: 4
; VGPRBlocks: 4
; NumSGPRsForWavesPerEU: 36
; NumVGPRsForWavesPerEU: 35
; AccumOffset: 36
; Occupancy: 8
; WaveLimiterHint : 0
; COMPUTE_PGM_RSRC2:SCRATCH_EN: 0
; COMPUTE_PGM_RSRC2:USER_SGPR: 6
; COMPUTE_PGM_RSRC2:TRAP_HANDLER: 0
; COMPUTE_PGM_RSRC2:TGID_X_EN: 1
; COMPUTE_PGM_RSRC2:TGID_Y_EN: 1
; COMPUTE_PGM_RSRC2:TGID_Z_EN: 0
; COMPUTE_PGM_RSRC2:TIDIG_COMP_CNT: 0
; COMPUTE_PGM_RSRC3_GFX90A:ACCUM_OFFSET: 8
; COMPUTE_PGM_RSRC3_GFX90A:TG_SPLIT: 0
	.section	.text._ZN5aiter35fused_qk_rmsnorm_group_quant_kernelIDF16_DB8_Li512ELi16ELi4ELb0ELb0ELb0ELb0ELb0ELb0EEEvPT0_PvPT_S6_S6_PKS5_S8_S8_S8_S8_ffiiiiiiiiiiiii,"axG",@progbits,_ZN5aiter35fused_qk_rmsnorm_group_quant_kernelIDF16_DB8_Li512ELi16ELi4ELb0ELb0ELb0ELb0ELb0ELb0EEEvPT0_PvPT_S6_S6_PKS5_S8_S8_S8_S8_ffiiiiiiiiiiiii,comdat
	.protected	_ZN5aiter35fused_qk_rmsnorm_group_quant_kernelIDF16_DB8_Li512ELi16ELi4ELb0ELb0ELb0ELb0ELb0ELb0EEEvPT0_PvPT_S6_S6_PKS5_S8_S8_S8_S8_ffiiiiiiiiiiiii ; -- Begin function _ZN5aiter35fused_qk_rmsnorm_group_quant_kernelIDF16_DB8_Li512ELi16ELi4ELb0ELb0ELb0ELb0ELb0ELb0EEEvPT0_PvPT_S6_S6_PKS5_S8_S8_S8_S8_ffiiiiiiiiiiiii
	.globl	_ZN5aiter35fused_qk_rmsnorm_group_quant_kernelIDF16_DB8_Li512ELi16ELi4ELb0ELb0ELb0ELb0ELb0ELb0EEEvPT0_PvPT_S6_S6_PKS5_S8_S8_S8_S8_ffiiiiiiiiiiiii
	.p2align	8
	.type	_ZN5aiter35fused_qk_rmsnorm_group_quant_kernelIDF16_DB8_Li512ELi16ELi4ELb0ELb0ELb0ELb0ELb0ELb0EEEvPT0_PvPT_S6_S6_PKS5_S8_S8_S8_S8_ffiiiiiiiiiiiii,@function
_ZN5aiter35fused_qk_rmsnorm_group_quant_kernelIDF16_DB8_Li512ELi16ELi4ELb0ELb0ELb0ELb0ELb0ELb0EEEvPT0_PvPT_S6_S6_PKS5_S8_S8_S8_S8_ffiiiiiiiiiiiii: ; @_ZN5aiter35fused_qk_rmsnorm_group_quant_kernelIDF16_DB8_Li512ELi16ELi4ELb0ELb0ELb0ELb0ELb0ELb0EEEvPT0_PvPT_S6_S6_PKS5_S8_S8_S8_S8_ffiiiiiiiiiiiii
; %bb.0:
	s_load_dwordx4 s[16:19], s[4:5], 0x50
	s_waitcnt lgkmcnt(0)
	s_cmp_ge_i32 s6, s18
	s_cbranch_scc1 .LBB981_12
; %bb.1:
	s_load_dwordx2 s[12:13], s[4:5], 0x48
	s_load_dwordx2 s[30:31], s[4:5], 0x30
	s_load_dwordx4 s[20:23], s[4:5], 0x60
	s_cmp_lg_u32 s7, 0
	s_cselect_b64 s[14:15], -1, 0
	s_cmp_eq_u32 s7, 0
	s_cselect_b64 vcc, -1, 0
	s_and_b64 s[0:1], vcc, exec
	s_waitcnt lgkmcnt(0)
	s_cselect_b32 s7, s19, s20
	s_add_i32 s0, s7, 1
	s_lshr_b32 s1, s0, 31
	s_add_i32 s0, s0, s1
	s_lshl_b32 s0, s0, 1
	v_lshlrev_b32_e32 v1, 4, v0
	s_and_b32 s10, s0, -4
	v_cmp_gt_i32_e64 s[2:3], s7, v1
	v_mov_b32_e32 v18, 0
	v_mov_b32_e32 v6, 0
	;; [unrolled: 1-line block ×17, first 2 shown]
	s_and_saveexec_b64 s[0:1], s[2:3]
	s_cbranch_execz .LBB981_3
; %bb.2:
	s_load_dwordx2 s[8:9], s[4:5], 0x28
	s_load_dwordx2 s[26:27], s[4:5], 0x40
	s_and_b64 s[24:25], vcc, exec
	s_cselect_b32 s11, s21, s22
	v_lshlrev_b32_e32 v19, 5, v0
	s_waitcnt lgkmcnt(0)
	s_cselect_b32 s18, s9, s31
	s_cselect_b32 s21, s8, s30
	s_mul_hi_i32 s9, s11, s6
	s_mul_i32 s8, s11, s6
	s_lshl_b64 s[8:9], s[8:9], 1
	s_add_u32 s24, s21, s8
	s_addc_u32 s18, s18, s9
	s_and_b64 s[8:9], vcc, exec
	s_mov_b32 s11, 0x20000
	s_cselect_b32 s8, s26, s12
	s_cselect_b32 s9, s27, s13
	s_and_b32 s25, s18, 0xffff
	s_mov_b32 s26, s10
	s_mov_b32 s27, s11
	s_and_b32 s9, s9, 0xffff
	buffer_load_dwordx4 v[14:17], v19, s[24:27], 0 offen
	buffer_load_dwordx4 v[10:13], v19, s[24:27], 16 offen
	;; [unrolled: 1-line block ×4, first 2 shown]
.LBB981_3:
	s_or_b64 exec, exec, s[0:1]
	v_mov_b32_e32 v19, 0
	v_mov_b32_e32 v32, 0
	;; [unrolled: 1-line block ×15, first 2 shown]
	s_and_saveexec_b64 s[0:1], s[2:3]
	s_cbranch_execz .LBB981_5
; %bb.4:
	s_waitcnt vmcnt(3)
	v_cvt_f32_f16_sdwa v19, v14 dst_sel:DWORD dst_unused:UNUSED_PAD src0_sel:WORD_1
	v_cvt_f32_f16_e32 v18, v14
	v_cvt_f32_f16_sdwa v33, v15 dst_sel:DWORD dst_unused:UNUSED_PAD src0_sel:WORD_1
	v_cvt_f32_f16_e32 v32, v15
	;; [unrolled: 2-line block ×4, first 2 shown]
	s_waitcnt vmcnt(2)
	v_cvt_f32_f16_sdwa v31, v10 dst_sel:DWORD dst_unused:UNUSED_PAD src0_sel:WORD_1
	v_cvt_f32_f16_e32 v30, v10
	v_cvt_f32_f16_sdwa v29, v11 dst_sel:DWORD dst_unused:UNUSED_PAD src0_sel:WORD_1
	v_cvt_f32_f16_e32 v28, v11
	;; [unrolled: 2-line block ×4, first 2 shown]
.LBB981_5:
	s_or_b64 exec, exec, s[0:1]
	s_waitcnt vmcnt(2)
	v_mul_f32_e32 v10, v19, v19
	v_fmac_f32_e32 v10, v18, v18
	v_fmac_f32_e32 v10, v32, v32
	;; [unrolled: 1-line block ×15, first 2 shown]
	v_and_b32_e32 v12, 63, v0
	v_cmp_eq_u32_e64 s[0:1], 63, v12
	v_mov_b32_dpp v11, v10 quad_perm:[1,0,3,2] row_mask:0xf bank_mask:0xf
	v_add_f32_e32 v10, v10, v11
	s_nop 1
	v_mov_b32_dpp v11, v10 quad_perm:[2,3,0,1] row_mask:0xf bank_mask:0xf
	v_add_f32_e32 v10, v10, v11
	s_nop 1
	v_mov_b32_dpp v11, v10 row_half_mirror row_mask:0xf bank_mask:0xf
	v_add_f32_e32 v10, v10, v11
	s_nop 1
	v_mov_b32_dpp v11, v10 row_mirror row_mask:0xf bank_mask:0xf
	v_add_f32_e32 v10, v10, v11
	s_nop 1
	v_mov_b32_dpp v11, v10 row_bcast:15 row_mask:0xf bank_mask:0xf
	v_add_f32_e32 v10, v10, v11
	s_nop 1
	v_mov_b32_dpp v11, v10 row_bcast:31 row_mask:0xf bank_mask:0xf
	s_and_saveexec_b64 s[8:9], s[0:1]
	s_cbranch_execz .LBB981_7
; %bb.6:
	v_add_f32_e32 v10, v10, v11
	v_lshrrev_b32_e32 v11, 4, v0
	v_and_b32_e32 v11, 60, v11
	ds_write_b32 v11, v10 offset:32
.LBB981_7:
	s_or_b64 exec, exec, s[8:9]
	v_and_b32_e32 v10, 7, v0
	v_lshlrev_b32_e32 v34, 2, v10
	s_waitcnt lgkmcnt(0)
	s_barrier
	ds_read_b32 v10, v34 offset:32
	s_load_dwordx2 s[28:29], s[4:5], 0x18
	s_waitcnt lgkmcnt(0)
	v_mov_b32_dpp v11, v10 quad_perm:[1,0,3,2] row_mask:0xf bank_mask:0xf
	v_add_f32_e32 v10, v10, v11
	s_nop 1
	v_mov_b32_dpp v11, v10 quad_perm:[2,3,0,1] row_mask:0xf bank_mask:0xf
	v_add_f32_e32 v10, v10, v11
	s_nop 1
	v_mov_b32_dpp v11, v10 row_half_mirror row_mask:0xf bank_mask:0xf
	s_and_saveexec_b64 s[8:9], s[2:3]
	s_cbranch_execz .LBB981_9
; %bb.8:
	v_cvt_f32_u32_e32 v12, s7
	v_add_f32_e32 v10, v10, v11
	v_mov_b32_e32 v14, s17
	v_mov_b32_e32 v15, s16
	v_div_scale_f32 v11, s[24:25], v12, v12, v10
	v_rcp_f32_e32 v13, v11
	v_cndmask_b32_e32 v14, v14, v15, vcc
	s_mov_b32 s7, 0x800000
	s_waitcnt vmcnt(1)
	v_cvt_f32_f16_sdwa v37, v9 dst_sel:DWORD dst_unused:UNUSED_PAD src0_sel:WORD_1
	v_fma_f32 v15, -v11, v13, 1.0
	v_fmac_f32_e32 v13, v15, v13
	v_div_scale_f32 v15, vcc, v10, v12, v10
	v_mul_f32_e32 v16, v15, v13
	v_fma_f32 v17, -v11, v16, v15
	v_fmac_f32_e32 v16, v17, v13
	v_fma_f32 v11, -v11, v16, v15
	v_div_fmas_f32 v11, v11, v13, v16
	v_div_fixup_f32 v10, v11, v12, v10
	v_add_f32_e32 v10, v14, v10
	v_mul_f32_e32 v11, 0x4b800000, v10
	v_cmp_gt_f32_e32 vcc, s7, v10
	v_cndmask_b32_e32 v10, v10, v11, vcc
	v_rsq_f32_e32 v10, v10
	v_cvt_f32_f16_e32 v36, v9
	s_waitcnt vmcnt(0)
	v_cvt_f32_f16_sdwa v9, v3 dst_sel:DWORD dst_unused:UNUSED_PAD src0_sel:WORD_1
	v_mul_f32_e32 v11, 0x45800000, v10
	v_cndmask_b32_e32 v10, v10, v11, vcc
	v_mov_b32_e32 v11, v10
	;;#ASMSTART
	v_pk_mul_f32 v[12:13], v[18:19], v[10:11]
	;;#ASMEND
	;;#ASMSTART
	v_pk_mul_f32 v[14:15], v[32:33], v[10:11]
	;;#ASMEND
	;; [unrolled: 3-line block ×8, first 2 shown]
	v_cvt_f32_f16_sdwa v19, v6 dst_sel:DWORD dst_unused:UNUSED_PAD src0_sel:WORD_1
	v_cvt_f32_f16_e32 v18, v6
	v_cvt_f32_f16_sdwa v21, v7 dst_sel:DWORD dst_unused:UNUSED_PAD src0_sel:WORD_1
	v_cvt_f32_f16_e32 v20, v7
	;; [unrolled: 2-line block ×3, first 2 shown]
	;;#ASMSTART
	v_pk_mul_f32 v[18:19], v[12:13], v[18:19]
	;;#ASMEND
	;;#ASMSTART
	v_pk_mul_f32 v[32:33], v[14:15], v[20:21]
	;;#ASMEND
	;; [unrolled: 3-line block ×4, first 2 shown]
	v_cvt_f32_f16_sdwa v7, v2 dst_sel:DWORD dst_unused:UNUSED_PAD src0_sel:WORD_1
	v_cvt_f32_f16_e32 v6, v2
	v_cvt_f32_f16_e32 v8, v3
	v_cvt_f32_f16_sdwa v3, v4 dst_sel:DWORD dst_unused:UNUSED_PAD src0_sel:WORD_1
	v_cvt_f32_f16_e32 v2, v4
	v_cvt_f32_f16_sdwa v13, v5 dst_sel:DWORD dst_unused:UNUSED_PAD src0_sel:WORD_1
	v_cvt_f32_f16_e32 v12, v5
	;;#ASMSTART
	v_pk_mul_f32 v[30:31], v[30:31], v[6:7]
	;;#ASMEND
	;;#ASMSTART
	v_pk_mul_f32 v[28:29], v[28:29], v[8:9]
	;;#ASMEND
	;;#ASMSTART
	v_pk_mul_f32 v[22:23], v[22:23], v[2:3]
	;;#ASMEND
	;;#ASMSTART
	v_pk_mul_f32 v[20:21], v[10:11], v[12:13]
	;;#ASMEND
.LBB981_9:
	s_or_b64 exec, exec, s[8:9]
	s_load_dword s7, s[4:5], 0x80
	s_mov_b64 s[8:9], -1
	s_and_b64 vcc, exec, s[14:15]
	s_cbranch_vccnz .LBB981_13
; %bb.10:
	s_andn2_b64 vcc, exec, s[8:9]
	s_cbranch_vccz .LBB981_16
.LBB981_11:
	s_cmp_lt_i32 s20, 1
	s_cbranch_scc0 .LBB981_23
.LBB981_12:
	s_endpgm
.LBB981_13:
	s_and_saveexec_b64 s[14:15], s[2:3]
	s_cbranch_execz .LBB981_15
; %bb.14:
	s_waitcnt lgkmcnt(0)
	s_mul_hi_i32 s9, s7, s6
	s_mul_i32 s8, s7, s6
	s_waitcnt vmcnt(0)
	v_cvt_f16_f32_e32 v2, v18
	v_cvt_f16_f32_e32 v3, v32
	;; [unrolled: 1-line block ×8, first 2 shown]
	s_lshl_b64 s[8:9], s[8:9], 1
	s_add_u32 s8, s28, s8
	s_addc_u32 s9, s29, s9
	s_and_b32 s9, s9, 0xffff
	s_mov_b32 s11, 0x20000
	v_pack_b32_f16 v5, v5, v6
	v_pack_b32_f16 v4, v4, v7
	;; [unrolled: 1-line block ×4, first 2 shown]
	v_lshlrev_b32_e32 v6, 5, v0
	buffer_store_dwordx4 v[2:5], v6, s[8:11], 0 offen
	v_cvt_f16_f32_e32 v7, v21
	v_cvt_f16_f32_e32 v2, v30
	;; [unrolled: 1-line block ×8, first 2 shown]
	v_pack_b32_f16 v5, v5, v7
	v_pack_b32_f16 v4, v4, v8
	;; [unrolled: 1-line block ×4, first 2 shown]
	;;#ASMSTART
	s_nop 0
	;;#ASMEND
	buffer_store_dwordx4 v[2:5], v6, s[8:11], 16 offen
	;;#ASMSTART
	s_nop 0
	;;#ASMEND
.LBB981_15:
	s_or_b64 exec, exec, s[14:15]
	s_cbranch_execnz .LBB981_11
.LBB981_16:
	s_waitcnt vmcnt(0)
	v_mov_b32_e32 v2, 0
	s_and_saveexec_b64 s[8:9], s[2:3]
	s_cbranch_execz .LBB981_18
; %bb.17:
	v_and_b32_e32 v2, 0x7fffffff, v18
	v_and_b32_e32 v3, 0x7fffffff, v19
	v_mov_b32_e32 v4, 0x2edbe6ff
	;;#ASMSTART
	v_max3_f32 v2, v4, v2, v3

	;;#ASMEND
	v_and_b32_e32 v3, 0x7fffffff, v32
	v_and_b32_e32 v4, 0x7fffffff, v33
	;;#ASMSTART
	v_max3_f32 v2, v2, v3, v4

	;;#ASMEND
	v_and_b32_e32 v3, 0x7fffffff, v26
	v_and_b32_e32 v4, 0x7fffffff, v27
	;; [unrolled: 6-line block ×7, first 2 shown]
	;;#ASMSTART
	v_max3_f32 v2, v2, v3, v4

	;;#ASMEND
.LBB981_18:
	s_or_b64 exec, exec, s[8:9]
	s_load_dwordx4 s[24:27], s[4:5], 0x70
	;;#ASMSTART
	v_max_f32 v3, v2, v2 quad_perm:[1,0,3,2] row_mask:0xf bank_mask:0xf bound_ctrl:1
	;;#ASMEND
	;;#ASMSTART
	v_max_f32 v2, v3, v3 quad_perm:[2,3,0,1] row_mask:0xf bank_mask:0xf bound_ctrl:1
	;;#ASMEND
	v_and_b32_e32 v3, 3, v0
	v_cmp_eq_u32_e32 vcc, 0, v3
	v_cmp_gt_i32_e64 s[8:9], s19, v1
	v_mul_f32_e32 v2, 0x3b124925, v2
	s_and_b64 s[10:11], vcc, s[8:9]
	s_and_saveexec_b64 s[8:9], s[10:11]
	s_cbranch_execz .LBB981_20
; %bb.19:
	s_load_dwordx2 s[10:11], s[4:5], 0x8
	s_waitcnt lgkmcnt(0)
	s_mul_hi_i32 s15, s25, s6
	s_mul_i32 s14, s25, s6
	v_lshrrev_b32_e32 v3, 2, v0
	s_lshl_b64 s[14:15], s[14:15], 2
	v_mad_i64_i32 v[4:5], s[26:27], s26, v3, 0
	s_add_u32 s10, s10, s14
	s_addc_u32 s11, s11, s15
	v_lshlrev_b64 v[4:5], 2, v[4:5]
	v_mov_b32_e32 v3, s11
	v_add_co_u32_e32 v4, vcc, s10, v4
	v_addc_co_u32_e32 v5, vcc, v3, v5, vcc
	global_store_dword v[4:5], v2, off
.LBB981_20:
	s_or_b64 exec, exec, s[8:9]
	;;#ASMSTART
	v_rcp_f32 v2, v2
	;;#ASMEND
	s_and_saveexec_b64 s[14:15], s[2:3]
	s_cbranch_execz .LBB981_22
; %bb.21:
	s_load_dwordx2 s[2:3], s[4:5], 0x0
	s_waitcnt lgkmcnt(0)
	s_mul_i32 s8, s24, s6
	s_mul_hi_i32 s9, s24, s6
	v_mov_b32_e32 v3, v2
	;;#ASMSTART
	v_pk_mul_f32 v[4:5], v[18:19], v[2:3]
	;;#ASMEND
	s_add_u32 s8, s2, s8
	s_addc_u32 s2, s3, s9
	s_add_i32 s3, s19, 3
	s_ashr_i32 s10, s3, 31
	v_mov_b32_e32 v10, 0xc3e00000
	v_mov_b32_e32 v11, 0x43e00000
	;;#ASMSTART
	v_med3_f32 v4, v4, v10, v11
v_med3_f32 v5, v5, v10, v11
v_cvt_pk_fp8_f32 v6, v4, v5
	;;#ASMEND
	s_and_b32 s9, s2, 0xffff
	s_lshr_b32 s2, s10, 30
	;;#ASMSTART
	v_pk_mul_f32 v[4:5], v[32:33], v[2:3]
	;;#ASMEND
	s_add_i32 s3, s3, s2
	;;#ASMSTART
	v_med3_f32 v4, v4, v10, v11
v_med3_f32 v5, v5, v10, v11
v_cvt_pk_fp8_f32 v7, v4, v5
	;;#ASMEND
	s_mov_b32 s2, 0x5040100
	v_perm_b32 v4, v7, v6, s2
	s_mov_b32 s2, 0x1060504
	v_perm_b32 v4, v4, v7, s2
	;;#ASMSTART
	v_pk_mul_f32 v[6:7], v[26:27], v[2:3]
	;;#ASMEND
	v_mov_b32_e32 v5, v7
	;;#ASMSTART
	v_med3_f32 v6, v6, v10, v11
v_med3_f32 v5, v5, v10, v11
v_cvt_pk_fp8_f32 v8, v6, v5
	;;#ASMEND
	;;#ASMSTART
	v_pk_mul_f32 v[6:7], v[24:25], v[2:3]
	;;#ASMEND
	v_mov_b32_e32 v5, v7
	;;#ASMSTART
	v_med3_f32 v6, v6, v10, v11
v_med3_f32 v5, v5, v10, v11
v_cvt_pk_fp8_f32 v7, v6, v5
	;;#ASMEND
	s_mov_b32 s2, 0x1000504
	v_perm_b32 v5, v8, v7, s2
	;;#ASMSTART
	v_pk_mul_f32 v[6:7], v[30:31], v[2:3]
	;;#ASMEND
	;;#ASMSTART
	v_med3_f32 v6, v6, v10, v11
v_med3_f32 v7, v7, v10, v11
v_cvt_pk_fp8_f32 v8, v6, v7
	;;#ASMEND
	;;#ASMSTART
	v_pk_mul_f32 v[6:7], v[28:29], v[2:3]
	;;#ASMEND
	;;#ASMSTART
	v_med3_f32 v6, v6, v10, v11
v_med3_f32 v7, v7, v10, v11
v_cvt_pk_fp8_f32 v9, v6, v7
	;;#ASMEND
	v_perm_b32 v6, v8, v9, s2
	;;#ASMSTART
	v_pk_mul_f32 v[8:9], v[22:23], v[2:3]
	;;#ASMEND
	v_mov_b32_e32 v7, v9
	;;#ASMSTART
	v_med3_f32 v8, v8, v10, v11
v_med3_f32 v7, v7, v10, v11
v_cvt_pk_fp8_f32 v9, v8, v7
	;;#ASMEND
	;;#ASMSTART
	v_pk_mul_f32 v[2:3], v[20:21], v[2:3]
	;;#ASMEND
	;;#ASMSTART
	v_med3_f32 v2, v2, v10, v11
v_med3_f32 v3, v3, v10, v11
v_cvt_pk_fp8_f32 v7, v2, v3
	;;#ASMEND
	s_and_b32 s10, s3, -4
	s_mov_b32 s11, 0x20000
	v_perm_b32 v7, v9, v7, s2
	buffer_store_dwordx4 v[4:7], v1, s[8:11], 0 offen
	;;#ASMSTART
	s_nop 0
	;;#ASMEND
.LBB981_22:
	s_or_b64 exec, exec, s[14:15]
	s_cmp_lt_i32 s20, 1
	s_cbranch_scc1 .LBB981_12
.LBB981_23:
	s_load_dword s2, s[4:5], 0x94
	s_waitcnt lgkmcnt(0)
	s_cmp_lg_u32 s2, 1
	s_cbranch_scc1 .LBB981_12
; %bb.24:
	s_lshl_b32 s2, s20, 1
	s_add_i32 s2, s2, 2
	v_cmp_gt_u32_e32 vcc, s20, v1
	s_and_b32 s14, s2, -4
	v_mov_b32_e32 v18, 0
	v_lshlrev_b32_e32 v1, 5, v0
	v_mov_b32_e32 v14, 0
	v_mov_b32_e32 v15, 0
	v_mov_b32_e32 v16, 0
	v_mov_b32_e32 v17, 0
	v_mov_b32_e32 v10, 0
	v_mov_b32_e32 v11, 0
	v_mov_b32_e32 v12, 0
	v_mov_b32_e32 v13, 0
	s_waitcnt vmcnt(1)
	v_mov_b32_e32 v6, 0
	v_mov_b32_e32 v7, 0
	v_mov_b32_e32 v8, 0
	v_mov_b32_e32 v9, 0
	s_waitcnt vmcnt(0)
	v_mov_b32_e32 v2, 0
	v_mov_b32_e32 v3, 0
	;; [unrolled: 1-line block ×4, first 2 shown]
	s_barrier
	s_and_saveexec_b64 s[2:3], vcc
	s_cbranch_execz .LBB981_26
; %bb.25:
	s_mul_hi_i32 s5, s22, s6
	s_mul_i32 s4, s22, s6
	s_and_b32 s13, s13, 0xffff
	s_lshl_b64 s[4:5], s[4:5], 1
	s_add_u32 s8, s30, s4
	s_mov_b32 s15, 0x20000
	s_addc_u32 s4, s31, s5
	s_and_b32 s9, s4, 0xffff
	s_mov_b32 s10, s14
	s_mov_b32 s11, s15
	buffer_load_dwordx4 v[14:17], v1, s[8:11], 0 offen
	buffer_load_dwordx4 v[10:13], v1, s[8:11], 16 offen
	;; [unrolled: 1-line block ×4, first 2 shown]
.LBB981_26:
	s_or_b64 exec, exec, s[2:3]
	v_mov_b32_e32 v19, 0
	v_mov_b32_e32 v32, 0
	;; [unrolled: 1-line block ×15, first 2 shown]
	s_and_saveexec_b64 s[2:3], vcc
	s_cbranch_execz .LBB981_28
; %bb.27:
	s_waitcnt vmcnt(3)
	v_cvt_f32_f16_sdwa v19, v14 dst_sel:DWORD dst_unused:UNUSED_PAD src0_sel:WORD_1
	v_cvt_f32_f16_e32 v18, v14
	v_cvt_f32_f16_sdwa v33, v15 dst_sel:DWORD dst_unused:UNUSED_PAD src0_sel:WORD_1
	v_cvt_f32_f16_e32 v32, v15
	v_cvt_f32_f16_sdwa v31, v16 dst_sel:DWORD dst_unused:UNUSED_PAD src0_sel:WORD_1
	v_cvt_f32_f16_e32 v30, v16
	v_cvt_f32_f16_sdwa v29, v17 dst_sel:DWORD dst_unused:UNUSED_PAD src0_sel:WORD_1
	v_cvt_f32_f16_e32 v28, v17
	s_waitcnt vmcnt(2)
	v_cvt_f32_f16_sdwa v27, v10 dst_sel:DWORD dst_unused:UNUSED_PAD src0_sel:WORD_1
	v_cvt_f32_f16_e32 v26, v10
	v_cvt_f32_f16_sdwa v25, v11 dst_sel:DWORD dst_unused:UNUSED_PAD src0_sel:WORD_1
	v_cvt_f32_f16_e32 v24, v11
	v_cvt_f32_f16_sdwa v23, v12 dst_sel:DWORD dst_unused:UNUSED_PAD src0_sel:WORD_1
	v_cvt_f32_f16_e32 v22, v12
	v_cvt_f32_f16_sdwa v21, v13 dst_sel:DWORD dst_unused:UNUSED_PAD src0_sel:WORD_1
	v_cvt_f32_f16_e32 v20, v13
.LBB981_28:
	s_or_b64 exec, exec, s[2:3]
	s_waitcnt vmcnt(2)
	v_mul_f32_e32 v10, v19, v19
	v_fmac_f32_e32 v10, v18, v18
	v_fmac_f32_e32 v10, v32, v32
	v_fmac_f32_e32 v10, v33, v33
	v_fmac_f32_e32 v10, v30, v30
	v_fmac_f32_e32 v10, v31, v31
	v_fmac_f32_e32 v10, v28, v28
	v_fmac_f32_e32 v10, v29, v29
	v_fmac_f32_e32 v10, v26, v26
	v_fmac_f32_e32 v10, v27, v27
	v_fmac_f32_e32 v10, v24, v24
	v_fmac_f32_e32 v10, v25, v25
	v_fmac_f32_e32 v10, v22, v22
	v_fmac_f32_e32 v10, v23, v23
	v_fmac_f32_e32 v10, v20, v20
	v_fmac_f32_e32 v10, v21, v21
	s_nop 1
	v_mov_b32_dpp v11, v10 quad_perm:[1,0,3,2] row_mask:0xf bank_mask:0xf
	v_add_f32_e32 v10, v10, v11
	s_nop 1
	v_mov_b32_dpp v11, v10 quad_perm:[2,3,0,1] row_mask:0xf bank_mask:0xf
	v_add_f32_e32 v10, v10, v11
	s_nop 1
	v_mov_b32_dpp v11, v10 row_half_mirror row_mask:0xf bank_mask:0xf
	v_add_f32_e32 v10, v10, v11
	s_nop 1
	v_mov_b32_dpp v11, v10 row_mirror row_mask:0xf bank_mask:0xf
	v_add_f32_e32 v10, v10, v11
	s_nop 1
	v_mov_b32_dpp v11, v10 row_bcast:15 row_mask:0xf bank_mask:0xf
	v_add_f32_e32 v10, v10, v11
	s_nop 1
	v_mov_b32_dpp v11, v10 row_bcast:31 row_mask:0xf bank_mask:0xf
	s_and_saveexec_b64 s[2:3], s[0:1]
	s_cbranch_execz .LBB981_30
; %bb.29:
	v_lshrrev_b32_e32 v0, 4, v0
	v_add_f32_e32 v10, v10, v11
	v_and_b32_e32 v0, 60, v0
	ds_write_b32 v0, v10
.LBB981_30:
	s_or_b64 exec, exec, s[2:3]
	s_waitcnt lgkmcnt(0)
	s_barrier
	ds_read_b32 v0, v34
	s_waitcnt lgkmcnt(0)
	s_nop 0
	v_mov_b32_dpp v10, v0 quad_perm:[1,0,3,2] row_mask:0xf bank_mask:0xf
	v_add_f32_e32 v0, v0, v10
	s_nop 1
	v_mov_b32_dpp v10, v0 quad_perm:[2,3,0,1] row_mask:0xf bank_mask:0xf
	v_add_f32_e32 v0, v0, v10
	s_nop 1
	v_mov_b32_dpp v10, v0 row_half_mirror row_mask:0xf bank_mask:0xf
	s_and_saveexec_b64 s[0:1], vcc
	s_cbranch_execz .LBB981_12
; %bb.31:
	v_cvt_f32_u32_e32 v11, s20
	v_add_f32_e32 v0, v0, v10
	s_mov_b32 s15, 0x20000
	v_div_scale_f32 v10, s[0:1], v11, v11, v0
	v_rcp_f32_e32 v12, v10
	v_div_scale_f32 v13, vcc, v0, v11, v0
	s_mov_b32 s0, 0x800000
	v_fma_f32 v14, -v10, v12, 1.0
	v_fmac_f32_e32 v12, v14, v12
	v_mul_f32_e32 v14, v13, v12
	v_fma_f32 v15, -v10, v14, v13
	v_fmac_f32_e32 v14, v15, v12
	v_fma_f32 v10, -v10, v14, v13
	v_div_fmas_f32 v10, v10, v12, v14
	v_div_fixup_f32 v0, v10, v11, v0
	v_add_f32_e32 v0, s17, v0
	v_mul_f32_e32 v10, 0x4b800000, v0
	v_cmp_gt_f32_e32 vcc, s0, v0
	v_cndmask_b32_e32 v0, v0, v10, vcc
	v_rsq_f32_e32 v0, v0
	s_mul_hi_i32 s1, s7, s6
	s_mul_i32 s0, s7, s6
	s_lshl_b64 s[0:1], s[0:1], 1
	v_mul_f32_e32 v10, 0x45800000, v0
	v_cndmask_b32_e32 v10, v0, v10, vcc
	v_mov_b32_e32 v11, v10
	;;#ASMSTART
	v_pk_mul_f32 v[12:13], v[18:19], v[10:11]
	;;#ASMEND
	;;#ASMSTART
	v_pk_mul_f32 v[14:15], v[32:33], v[10:11]
	;;#ASMEND
	;; [unrolled: 3-line block ×8, first 2 shown]
	s_waitcnt vmcnt(1)
	v_cvt_f32_f16_sdwa v21, v6 dst_sel:DWORD dst_unused:UNUSED_PAD src0_sel:WORD_1
	v_cvt_f32_f16_e32 v20, v6
	v_cvt_f32_f16_sdwa v29, v7 dst_sel:DWORD dst_unused:UNUSED_PAD src0_sel:WORD_1
	v_cvt_f32_f16_e32 v28, v7
	;; [unrolled: 2-line block ×4, first 2 shown]
	;;#ASMSTART
	v_pk_mul_f32 v[8:9], v[12:13], v[20:21]
	;;#ASMEND
	;;#ASMSTART
	v_pk_mul_f32 v[12:13], v[14:15], v[28:29]
	;;#ASMEND
	;;#ASMSTART
	v_pk_mul_f32 v[6:7], v[16:17], v[6:7]
	;;#ASMEND
	;;#ASMSTART
	v_pk_mul_f32 v[14:15], v[18:19], v[30:31]
	;;#ASMEND
	s_waitcnt vmcnt(0)
	v_cvt_f32_f16_sdwa v17, v2 dst_sel:DWORD dst_unused:UNUSED_PAD src0_sel:WORD_1
	v_cvt_f32_f16_e32 v16, v2
	v_cvt_f32_f16_sdwa v19, v3 dst_sel:DWORD dst_unused:UNUSED_PAD src0_sel:WORD_1
	v_cvt_f32_f16_e32 v18, v3
	v_cvt_f32_f16_sdwa v3, v4 dst_sel:DWORD dst_unused:UNUSED_PAD src0_sel:WORD_1
	v_cvt_f32_f16_e32 v2, v4
	v_cvt_f32_f16_sdwa v21, v5 dst_sel:DWORD dst_unused:UNUSED_PAD src0_sel:WORD_1
	v_cvt_f32_f16_e32 v20, v5
	;;#ASMSTART
	v_pk_mul_f32 v[16:17], v[26:27], v[16:17]
	;;#ASMEND
	;;#ASMSTART
	v_pk_mul_f32 v[18:19], v[24:25], v[18:19]
	;;#ASMEND
	;; [unrolled: 3-line block ×3, first 2 shown]
	v_cvt_f16_f32_e32 v0, v8
	v_cvt_f16_f32_e32 v2, v9
	;; [unrolled: 1-line block ×8, first 2 shown]
	s_add_u32 s12, s28, s0
	s_addc_u32 s0, s29, s1
	s_and_b32 s13, s0, 0xffff
	v_pack_b32_f16 v2, v0, v2
	v_pack_b32_f16 v3, v3, v4
	;; [unrolled: 1-line block ×4, first 2 shown]
	;;#ASMSTART
	v_pk_mul_f32 v[10:11], v[10:11], v[20:21]
	;;#ASMEND
	buffer_store_dwordx4 v[2:5], v1, s[12:15], 0 offen
	v_cvt_f16_f32_e32 v0, v16
	v_cvt_f16_f32_e32 v2, v17
	v_cvt_f16_f32_e32 v3, v18
	v_cvt_f16_f32_e32 v4, v19
	v_cvt_f16_f32_e32 v5, v22
	v_cvt_f16_f32_e32 v6, v23
	v_cvt_f16_f32_e32 v7, v10
	v_cvt_f16_f32_e32 v8, v11
	v_pack_b32_f16 v2, v0, v2
	v_pack_b32_f16 v3, v3, v4
	;; [unrolled: 1-line block ×4, first 2 shown]
	;;#ASMSTART
	s_nop 0
	;;#ASMEND
	buffer_store_dwordx4 v[2:5], v1, s[12:15], 16 offen
	;;#ASMSTART
	s_nop 0
	;;#ASMEND
	s_endpgm
	.section	.rodata,"a",@progbits
	.p2align	6, 0x0
	.amdhsa_kernel _ZN5aiter35fused_qk_rmsnorm_group_quant_kernelIDF16_DB8_Li512ELi16ELi4ELb0ELb0ELb0ELb0ELb0ELb0EEEvPT0_PvPT_S6_S6_PKS5_S8_S8_S8_S8_ffiiiiiiiiiiiii
		.amdhsa_group_segment_fixed_size 64
		.amdhsa_private_segment_fixed_size 0
		.amdhsa_kernarg_size 400
		.amdhsa_user_sgpr_count 6
		.amdhsa_user_sgpr_private_segment_buffer 1
		.amdhsa_user_sgpr_dispatch_ptr 0
		.amdhsa_user_sgpr_queue_ptr 0
		.amdhsa_user_sgpr_kernarg_segment_ptr 1
		.amdhsa_user_sgpr_dispatch_id 0
		.amdhsa_user_sgpr_flat_scratch_init 0
		.amdhsa_user_sgpr_kernarg_preload_length 0
		.amdhsa_user_sgpr_kernarg_preload_offset 0
		.amdhsa_user_sgpr_private_segment_size 0
		.amdhsa_uses_dynamic_stack 0
		.amdhsa_system_sgpr_private_segment_wavefront_offset 0
		.amdhsa_system_sgpr_workgroup_id_x 1
		.amdhsa_system_sgpr_workgroup_id_y 1
		.amdhsa_system_sgpr_workgroup_id_z 0
		.amdhsa_system_sgpr_workgroup_info 0
		.amdhsa_system_vgpr_workitem_id 0
		.amdhsa_next_free_vgpr 38
		.amdhsa_next_free_sgpr 32
		.amdhsa_accum_offset 40
		.amdhsa_reserve_vcc 1
		.amdhsa_reserve_flat_scratch 0
		.amdhsa_float_round_mode_32 0
		.amdhsa_float_round_mode_16_64 0
		.amdhsa_float_denorm_mode_32 3
		.amdhsa_float_denorm_mode_16_64 3
		.amdhsa_dx10_clamp 1
		.amdhsa_ieee_mode 1
		.amdhsa_fp16_overflow 0
		.amdhsa_tg_split 0
		.amdhsa_exception_fp_ieee_invalid_op 0
		.amdhsa_exception_fp_denorm_src 0
		.amdhsa_exception_fp_ieee_div_zero 0
		.amdhsa_exception_fp_ieee_overflow 0
		.amdhsa_exception_fp_ieee_underflow 0
		.amdhsa_exception_fp_ieee_inexact 0
		.amdhsa_exception_int_div_zero 0
	.end_amdhsa_kernel
	.section	.text._ZN5aiter35fused_qk_rmsnorm_group_quant_kernelIDF16_DB8_Li512ELi16ELi4ELb0ELb0ELb0ELb0ELb0ELb0EEEvPT0_PvPT_S6_S6_PKS5_S8_S8_S8_S8_ffiiiiiiiiiiiii,"axG",@progbits,_ZN5aiter35fused_qk_rmsnorm_group_quant_kernelIDF16_DB8_Li512ELi16ELi4ELb0ELb0ELb0ELb0ELb0ELb0EEEvPT0_PvPT_S6_S6_PKS5_S8_S8_S8_S8_ffiiiiiiiiiiiii,comdat
.Lfunc_end981:
	.size	_ZN5aiter35fused_qk_rmsnorm_group_quant_kernelIDF16_DB8_Li512ELi16ELi4ELb0ELb0ELb0ELb0ELb0ELb0EEEvPT0_PvPT_S6_S6_PKS5_S8_S8_S8_S8_ffiiiiiiiiiiiii, .Lfunc_end981-_ZN5aiter35fused_qk_rmsnorm_group_quant_kernelIDF16_DB8_Li512ELi16ELi4ELb0ELb0ELb0ELb0ELb0ELb0EEEvPT0_PvPT_S6_S6_PKS5_S8_S8_S8_S8_ffiiiiiiiiiiiii
                                        ; -- End function
	.section	.AMDGPU.csdata,"",@progbits
; Kernel info:
; codeLenInByte = 3452
; NumSgprs: 36
; NumVgprs: 38
; NumAgprs: 0
; TotalNumVgprs: 38
; ScratchSize: 0
; MemoryBound: 0
; FloatMode: 240
; IeeeMode: 1
; LDSByteSize: 64 bytes/workgroup (compile time only)
; SGPRBlocks: 4
; VGPRBlocks: 4
; NumSGPRsForWavesPerEU: 36
; NumVGPRsForWavesPerEU: 38
; AccumOffset: 40
; Occupancy: 8
; WaveLimiterHint : 0
; COMPUTE_PGM_RSRC2:SCRATCH_EN: 0
; COMPUTE_PGM_RSRC2:USER_SGPR: 6
; COMPUTE_PGM_RSRC2:TRAP_HANDLER: 0
; COMPUTE_PGM_RSRC2:TGID_X_EN: 1
; COMPUTE_PGM_RSRC2:TGID_Y_EN: 1
; COMPUTE_PGM_RSRC2:TGID_Z_EN: 0
; COMPUTE_PGM_RSRC2:TIDIG_COMP_CNT: 0
; COMPUTE_PGM_RSRC3_GFX90A:ACCUM_OFFSET: 9
; COMPUTE_PGM_RSRC3_GFX90A:TG_SPLIT: 0
	.section	.text._ZN5aiter35fused_qk_rmsnorm_group_quant_kernelItDB8_Li512ELi16ELi4ELb0ELb0ELb0ELb0ELb0ELb0EEEvPT0_PvPT_S6_S6_PKS5_S8_S8_S8_S8_ffiiiiiiiiiiiii,"axG",@progbits,_ZN5aiter35fused_qk_rmsnorm_group_quant_kernelItDB8_Li512ELi16ELi4ELb0ELb0ELb0ELb0ELb0ELb0EEEvPT0_PvPT_S6_S6_PKS5_S8_S8_S8_S8_ffiiiiiiiiiiiii,comdat
	.protected	_ZN5aiter35fused_qk_rmsnorm_group_quant_kernelItDB8_Li512ELi16ELi4ELb0ELb0ELb0ELb0ELb0ELb0EEEvPT0_PvPT_S6_S6_PKS5_S8_S8_S8_S8_ffiiiiiiiiiiiii ; -- Begin function _ZN5aiter35fused_qk_rmsnorm_group_quant_kernelItDB8_Li512ELi16ELi4ELb0ELb0ELb0ELb0ELb0ELb0EEEvPT0_PvPT_S6_S6_PKS5_S8_S8_S8_S8_ffiiiiiiiiiiiii
	.globl	_ZN5aiter35fused_qk_rmsnorm_group_quant_kernelItDB8_Li512ELi16ELi4ELb0ELb0ELb0ELb0ELb0ELb0EEEvPT0_PvPT_S6_S6_PKS5_S8_S8_S8_S8_ffiiiiiiiiiiiii
	.p2align	8
	.type	_ZN5aiter35fused_qk_rmsnorm_group_quant_kernelItDB8_Li512ELi16ELi4ELb0ELb0ELb0ELb0ELb0ELb0EEEvPT0_PvPT_S6_S6_PKS5_S8_S8_S8_S8_ffiiiiiiiiiiiii,@function
_ZN5aiter35fused_qk_rmsnorm_group_quant_kernelItDB8_Li512ELi16ELi4ELb0ELb0ELb0ELb0ELb0ELb0EEEvPT0_PvPT_S6_S6_PKS5_S8_S8_S8_S8_ffiiiiiiiiiiiii: ; @_ZN5aiter35fused_qk_rmsnorm_group_quant_kernelItDB8_Li512ELi16ELi4ELb0ELb0ELb0ELb0ELb0ELb0EEEvPT0_PvPT_S6_S6_PKS5_S8_S8_S8_S8_ffiiiiiiiiiiiii
; %bb.0:
	s_load_dwordx4 s[16:19], s[4:5], 0x50
	s_waitcnt lgkmcnt(0)
	s_cmp_ge_i32 s6, s18
	s_cbranch_scc1 .LBB982_12
; %bb.1:
	s_load_dwordx2 s[12:13], s[4:5], 0x48
	s_load_dwordx2 s[30:31], s[4:5], 0x30
	s_load_dwordx4 s[20:23], s[4:5], 0x60
	s_cmp_lg_u32 s7, 0
	s_cselect_b64 s[14:15], -1, 0
	s_cmp_eq_u32 s7, 0
	s_cselect_b64 vcc, -1, 0
	s_and_b64 s[0:1], vcc, exec
	s_waitcnt lgkmcnt(0)
	s_cselect_b32 s7, s19, s20
	s_add_i32 s0, s7, 1
	s_lshr_b32 s1, s0, 31
	s_add_i32 s0, s0, s1
	s_lshl_b32 s0, s0, 1
	v_lshlrev_b32_e32 v1, 4, v0
	s_and_b32 s10, s0, -4
	v_cmp_gt_i32_e64 s[2:3], s7, v1
	v_mov_b32_e32 v18, 0
	v_mov_b32_e32 v6, 0
	;; [unrolled: 1-line block ×17, first 2 shown]
	s_and_saveexec_b64 s[0:1], s[2:3]
	s_cbranch_execz .LBB982_3
; %bb.2:
	s_load_dwordx2 s[8:9], s[4:5], 0x28
	s_load_dwordx2 s[26:27], s[4:5], 0x40
	s_and_b64 s[24:25], vcc, exec
	s_cselect_b32 s11, s21, s22
	v_lshlrev_b32_e32 v19, 5, v0
	s_waitcnt lgkmcnt(0)
	s_cselect_b32 s18, s9, s31
	s_cselect_b32 s21, s8, s30
	s_mul_hi_i32 s9, s11, s6
	s_mul_i32 s8, s11, s6
	s_lshl_b64 s[8:9], s[8:9], 1
	s_add_u32 s24, s21, s8
	s_addc_u32 s18, s18, s9
	s_and_b64 s[8:9], vcc, exec
	s_mov_b32 s11, 0x20000
	s_cselect_b32 s8, s26, s12
	s_cselect_b32 s9, s27, s13
	s_and_b32 s25, s18, 0xffff
	s_mov_b32 s26, s10
	s_mov_b32 s27, s11
	s_and_b32 s9, s9, 0xffff
	buffer_load_dwordx4 v[14:17], v19, s[24:27], 0 offen
	buffer_load_dwordx4 v[10:13], v19, s[24:27], 16 offen
	;; [unrolled: 1-line block ×4, first 2 shown]
.LBB982_3:
	s_or_b64 exec, exec, s[0:1]
	v_mov_b32_e32 v19, 0
	v_mov_b32_e32 v32, 0
	v_mov_b32_e32 v33, 0
	v_mov_b32_e32 v26, 0
	v_mov_b32_e32 v27, 0
	v_mov_b32_e32 v24, 0
	v_mov_b32_e32 v25, 0
	v_mov_b32_e32 v30, 0
	v_mov_b32_e32 v31, 0
	v_mov_b32_e32 v28, 0
	v_mov_b32_e32 v29, 0
	v_mov_b32_e32 v22, 0
	v_mov_b32_e32 v23, 0
	v_mov_b32_e32 v20, 0
	v_mov_b32_e32 v21, 0
	s_and_saveexec_b64 s[0:1], s[2:3]
	s_cbranch_execz .LBB982_5
; %bb.4:
	s_waitcnt vmcnt(3)
	v_cvt_f32_u32_sdwa v18, v14 dst_sel:DWORD dst_unused:UNUSED_PAD src0_sel:WORD_0
	v_cvt_f32_u32_sdwa v19, v14 dst_sel:DWORD dst_unused:UNUSED_PAD src0_sel:WORD_1
	v_cvt_f32_u32_sdwa v32, v15 dst_sel:DWORD dst_unused:UNUSED_PAD src0_sel:WORD_0
	v_cvt_f32_u32_sdwa v33, v15 dst_sel:DWORD dst_unused:UNUSED_PAD src0_sel:WORD_1
	;; [unrolled: 2-line block ×4, first 2 shown]
	s_waitcnt vmcnt(2)
	v_cvt_f32_u32_sdwa v30, v10 dst_sel:DWORD dst_unused:UNUSED_PAD src0_sel:WORD_0
	v_cvt_f32_u32_sdwa v31, v10 dst_sel:DWORD dst_unused:UNUSED_PAD src0_sel:WORD_1
	v_cvt_f32_u32_sdwa v28, v11 dst_sel:DWORD dst_unused:UNUSED_PAD src0_sel:WORD_0
	v_cvt_f32_u32_sdwa v29, v11 dst_sel:DWORD dst_unused:UNUSED_PAD src0_sel:WORD_1
	;; [unrolled: 2-line block ×4, first 2 shown]
.LBB982_5:
	s_or_b64 exec, exec, s[0:1]
	s_waitcnt vmcnt(2)
	v_mul_f32_e32 v10, v19, v19
	v_fmac_f32_e32 v10, v18, v18
	v_fmac_f32_e32 v10, v32, v32
	;; [unrolled: 1-line block ×15, first 2 shown]
	v_and_b32_e32 v12, 63, v0
	v_cmp_eq_u32_e64 s[0:1], 63, v12
	v_mov_b32_dpp v11, v10 quad_perm:[1,0,3,2] row_mask:0xf bank_mask:0xf
	v_add_f32_e32 v10, v10, v11
	s_nop 1
	v_mov_b32_dpp v11, v10 quad_perm:[2,3,0,1] row_mask:0xf bank_mask:0xf
	v_add_f32_e32 v10, v10, v11
	s_nop 1
	v_mov_b32_dpp v11, v10 row_half_mirror row_mask:0xf bank_mask:0xf
	v_add_f32_e32 v10, v10, v11
	s_nop 1
	v_mov_b32_dpp v11, v10 row_mirror row_mask:0xf bank_mask:0xf
	v_add_f32_e32 v10, v10, v11
	s_nop 1
	v_mov_b32_dpp v11, v10 row_bcast:15 row_mask:0xf bank_mask:0xf
	v_add_f32_e32 v10, v10, v11
	s_nop 1
	v_mov_b32_dpp v11, v10 row_bcast:31 row_mask:0xf bank_mask:0xf
	s_and_saveexec_b64 s[8:9], s[0:1]
	s_cbranch_execz .LBB982_7
; %bb.6:
	v_add_f32_e32 v10, v10, v11
	v_lshrrev_b32_e32 v11, 4, v0
	v_and_b32_e32 v11, 60, v11
	ds_write_b32 v11, v10 offset:32
.LBB982_7:
	s_or_b64 exec, exec, s[8:9]
	v_and_b32_e32 v10, 7, v0
	v_lshlrev_b32_e32 v34, 2, v10
	s_waitcnt lgkmcnt(0)
	s_barrier
	ds_read_b32 v10, v34 offset:32
	s_load_dwordx2 s[28:29], s[4:5], 0x18
	s_waitcnt lgkmcnt(0)
	v_mov_b32_dpp v11, v10 quad_perm:[1,0,3,2] row_mask:0xf bank_mask:0xf
	v_add_f32_e32 v10, v10, v11
	s_nop 1
	v_mov_b32_dpp v11, v10 quad_perm:[2,3,0,1] row_mask:0xf bank_mask:0xf
	v_add_f32_e32 v10, v10, v11
	s_nop 1
	v_mov_b32_dpp v11, v10 row_half_mirror row_mask:0xf bank_mask:0xf
	s_and_saveexec_b64 s[8:9], s[2:3]
	s_cbranch_execz .LBB982_9
; %bb.8:
	v_cvt_f32_u32_e32 v12, s7
	v_add_f32_e32 v10, v10, v11
	v_mov_b32_e32 v14, s17
	v_mov_b32_e32 v15, s16
	v_div_scale_f32 v11, s[24:25], v12, v12, v10
	v_rcp_f32_e32 v13, v11
	v_cndmask_b32_e32 v14, v14, v15, vcc
	s_mov_b32 s7, 0x800000
	s_waitcnt vmcnt(1)
	v_cvt_f32_u32_sdwa v37, v9 dst_sel:DWORD dst_unused:UNUSED_PAD src0_sel:WORD_1
	v_fma_f32 v15, -v11, v13, 1.0
	v_fmac_f32_e32 v13, v15, v13
	v_div_scale_f32 v15, vcc, v10, v12, v10
	v_mul_f32_e32 v16, v15, v13
	v_fma_f32 v17, -v11, v16, v15
	v_fmac_f32_e32 v16, v17, v13
	v_fma_f32 v11, -v11, v16, v15
	v_div_fmas_f32 v11, v11, v13, v16
	v_div_fixup_f32 v10, v11, v12, v10
	v_add_f32_e32 v10, v14, v10
	v_mul_f32_e32 v11, 0x4b800000, v10
	v_cmp_gt_f32_e32 vcc, s7, v10
	v_cndmask_b32_e32 v10, v10, v11, vcc
	v_rsq_f32_e32 v10, v10
	v_cvt_f32_u32_sdwa v36, v9 dst_sel:DWORD dst_unused:UNUSED_PAD src0_sel:WORD_0
	s_waitcnt vmcnt(0)
	v_cvt_f32_u32_sdwa v9, v3 dst_sel:DWORD dst_unused:UNUSED_PAD src0_sel:WORD_1
	v_mul_f32_e32 v11, 0x45800000, v10
	v_cndmask_b32_e32 v10, v10, v11, vcc
	v_mov_b32_e32 v11, v10
	;;#ASMSTART
	v_pk_mul_f32 v[12:13], v[18:19], v[10:11]
	;;#ASMEND
	;;#ASMSTART
	v_pk_mul_f32 v[14:15], v[32:33], v[10:11]
	;;#ASMEND
	;; [unrolled: 3-line block ×8, first 2 shown]
	v_cvt_f32_u32_sdwa v19, v6 dst_sel:DWORD dst_unused:UNUSED_PAD src0_sel:WORD_1
	v_cvt_f32_u32_sdwa v18, v6 dst_sel:DWORD dst_unused:UNUSED_PAD src0_sel:WORD_0
	v_cvt_f32_u32_sdwa v21, v7 dst_sel:DWORD dst_unused:UNUSED_PAD src0_sel:WORD_1
	v_cvt_f32_u32_sdwa v20, v7 dst_sel:DWORD dst_unused:UNUSED_PAD src0_sel:WORD_0
	;; [unrolled: 2-line block ×3, first 2 shown]
	;;#ASMSTART
	v_pk_mul_f32 v[18:19], v[12:13], v[18:19]
	;;#ASMEND
	;;#ASMSTART
	v_pk_mul_f32 v[32:33], v[14:15], v[20:21]
	;;#ASMEND
	;; [unrolled: 3-line block ×4, first 2 shown]
	v_cvt_f32_u32_sdwa v7, v2 dst_sel:DWORD dst_unused:UNUSED_PAD src0_sel:WORD_1
	v_cvt_f32_u32_sdwa v6, v2 dst_sel:DWORD dst_unused:UNUSED_PAD src0_sel:WORD_0
	v_cvt_f32_u32_sdwa v8, v3 dst_sel:DWORD dst_unused:UNUSED_PAD src0_sel:WORD_0
	v_cvt_f32_u32_sdwa v3, v4 dst_sel:DWORD dst_unused:UNUSED_PAD src0_sel:WORD_1
	v_cvt_f32_u32_sdwa v2, v4 dst_sel:DWORD dst_unused:UNUSED_PAD src0_sel:WORD_0
	v_cvt_f32_u32_sdwa v13, v5 dst_sel:DWORD dst_unused:UNUSED_PAD src0_sel:WORD_1
	v_cvt_f32_u32_sdwa v12, v5 dst_sel:DWORD dst_unused:UNUSED_PAD src0_sel:WORD_0
	;;#ASMSTART
	v_pk_mul_f32 v[30:31], v[30:31], v[6:7]
	;;#ASMEND
	;;#ASMSTART
	v_pk_mul_f32 v[28:29], v[28:29], v[8:9]
	;;#ASMEND
	;; [unrolled: 3-line block ×4, first 2 shown]
.LBB982_9:
	s_or_b64 exec, exec, s[8:9]
	s_load_dword s7, s[4:5], 0x80
	s_mov_b64 s[8:9], -1
	s_and_b64 vcc, exec, s[14:15]
	s_cbranch_vccnz .LBB982_13
; %bb.10:
	s_andn2_b64 vcc, exec, s[8:9]
	s_cbranch_vccz .LBB982_16
.LBB982_11:
	s_cmp_lt_i32 s20, 1
	s_cbranch_scc0 .LBB982_23
.LBB982_12:
	s_endpgm
.LBB982_13:
	s_and_saveexec_b64 s[14:15], s[2:3]
	s_cbranch_execz .LBB982_15
; %bb.14:
	s_waitcnt lgkmcnt(0)
	s_mul_hi_i32 s9, s7, s6
	s_mul_i32 s8, s7, s6
	s_lshl_b64 s[8:9], s[8:9], 1
	s_add_u32 s8, s28, s8
	s_addc_u32 s9, s29, s9
	s_mov_b32 s16, 0x7060302
	s_and_b32 s9, s9, 0xffff
	s_mov_b32 s11, 0x20000
	s_waitcnt vmcnt(0)
	v_perm_b32 v5, v25, v24, s16
	v_perm_b32 v4, v27, v26, s16
	v_perm_b32 v3, v33, v32, s16
	v_perm_b32 v2, v19, v18, s16
	v_lshlrev_b32_e32 v6, 5, v0
	buffer_store_dwordx4 v[2:5], v6, s[8:11], 0 offen
	;;#ASMSTART
	s_nop 0
	;;#ASMEND
	s_nop 0
	v_perm_b32 v5, v21, v20, s16
	v_perm_b32 v4, v23, v22, s16
	;; [unrolled: 1-line block ×4, first 2 shown]
	buffer_store_dwordx4 v[2:5], v6, s[8:11], 16 offen
	;;#ASMSTART
	s_nop 0
	;;#ASMEND
.LBB982_15:
	s_or_b64 exec, exec, s[14:15]
	s_cbranch_execnz .LBB982_11
.LBB982_16:
	s_waitcnt vmcnt(0)
	v_mov_b32_e32 v2, 0
	s_and_saveexec_b64 s[8:9], s[2:3]
	s_cbranch_execz .LBB982_18
; %bb.17:
	v_and_b32_e32 v2, 0x7fffffff, v18
	v_and_b32_e32 v3, 0x7fffffff, v19
	v_mov_b32_e32 v4, 0x2edbe6ff
	;;#ASMSTART
	v_max3_f32 v2, v4, v2, v3

	;;#ASMEND
	v_and_b32_e32 v3, 0x7fffffff, v32
	v_and_b32_e32 v4, 0x7fffffff, v33
	;;#ASMSTART
	v_max3_f32 v2, v2, v3, v4

	;;#ASMEND
	v_and_b32_e32 v3, 0x7fffffff, v26
	v_and_b32_e32 v4, 0x7fffffff, v27
	;; [unrolled: 6-line block ×7, first 2 shown]
	;;#ASMSTART
	v_max3_f32 v2, v2, v3, v4

	;;#ASMEND
.LBB982_18:
	s_or_b64 exec, exec, s[8:9]
	s_load_dwordx4 s[24:27], s[4:5], 0x70
	;;#ASMSTART
	v_max_f32 v3, v2, v2 quad_perm:[1,0,3,2] row_mask:0xf bank_mask:0xf bound_ctrl:1
	;;#ASMEND
	;;#ASMSTART
	v_max_f32 v2, v3, v3 quad_perm:[2,3,0,1] row_mask:0xf bank_mask:0xf bound_ctrl:1
	;;#ASMEND
	v_and_b32_e32 v3, 3, v0
	v_cmp_eq_u32_e32 vcc, 0, v3
	v_cmp_gt_i32_e64 s[8:9], s19, v1
	v_mul_f32_e32 v2, 0x3b124925, v2
	s_and_b64 s[10:11], vcc, s[8:9]
	s_and_saveexec_b64 s[8:9], s[10:11]
	s_cbranch_execz .LBB982_20
; %bb.19:
	s_load_dwordx2 s[10:11], s[4:5], 0x8
	s_waitcnt lgkmcnt(0)
	s_mul_hi_i32 s15, s25, s6
	s_mul_i32 s14, s25, s6
	v_lshrrev_b32_e32 v3, 2, v0
	s_lshl_b64 s[14:15], s[14:15], 2
	v_mad_i64_i32 v[4:5], s[26:27], s26, v3, 0
	s_add_u32 s10, s10, s14
	s_addc_u32 s11, s11, s15
	v_lshlrev_b64 v[4:5], 2, v[4:5]
	v_mov_b32_e32 v3, s11
	v_add_co_u32_e32 v4, vcc, s10, v4
	v_addc_co_u32_e32 v5, vcc, v3, v5, vcc
	global_store_dword v[4:5], v2, off
.LBB982_20:
	s_or_b64 exec, exec, s[8:9]
	;;#ASMSTART
	v_rcp_f32 v2, v2
	;;#ASMEND
	s_and_saveexec_b64 s[14:15], s[2:3]
	s_cbranch_execz .LBB982_22
; %bb.21:
	s_load_dwordx2 s[2:3], s[4:5], 0x0
	s_waitcnt lgkmcnt(0)
	s_mul_i32 s8, s24, s6
	s_mul_hi_i32 s9, s24, s6
	v_mov_b32_e32 v3, v2
	;;#ASMSTART
	v_pk_mul_f32 v[4:5], v[18:19], v[2:3]
	;;#ASMEND
	s_add_u32 s8, s2, s8
	s_addc_u32 s2, s3, s9
	s_add_i32 s3, s19, 3
	s_ashr_i32 s10, s3, 31
	v_mov_b32_e32 v10, 0xc3e00000
	v_mov_b32_e32 v11, 0x43e00000
	;;#ASMSTART
	v_med3_f32 v4, v4, v10, v11
v_med3_f32 v5, v5, v10, v11
v_cvt_pk_fp8_f32 v6, v4, v5
	;;#ASMEND
	s_and_b32 s9, s2, 0xffff
	s_lshr_b32 s2, s10, 30
	;;#ASMSTART
	v_pk_mul_f32 v[4:5], v[32:33], v[2:3]
	;;#ASMEND
	s_add_i32 s3, s3, s2
	;;#ASMSTART
	v_med3_f32 v4, v4, v10, v11
v_med3_f32 v5, v5, v10, v11
v_cvt_pk_fp8_f32 v7, v4, v5
	;;#ASMEND
	s_mov_b32 s2, 0x5040100
	v_perm_b32 v4, v7, v6, s2
	s_mov_b32 s2, 0x1060504
	v_perm_b32 v4, v4, v7, s2
	;;#ASMSTART
	v_pk_mul_f32 v[6:7], v[26:27], v[2:3]
	;;#ASMEND
	v_mov_b32_e32 v5, v6
	;;#ASMSTART
	v_med3_f32 v5, v5, v10, v11
v_med3_f32 v7, v7, v10, v11
v_cvt_pk_fp8_f32 v8, v5, v7
	;;#ASMEND
	;;#ASMSTART
	v_pk_mul_f32 v[6:7], v[24:25], v[2:3]
	;;#ASMEND
	v_mov_b32_e32 v5, v7
	;;#ASMSTART
	v_med3_f32 v6, v6, v10, v11
v_med3_f32 v5, v5, v10, v11
v_cvt_pk_fp8_f32 v7, v6, v5
	;;#ASMEND
	s_mov_b32 s2, 0x1000504
	v_perm_b32 v5, v8, v7, s2
	;;#ASMSTART
	v_pk_mul_f32 v[6:7], v[30:31], v[2:3]
	;;#ASMEND
	;;#ASMSTART
	v_med3_f32 v6, v6, v10, v11
v_med3_f32 v7, v7, v10, v11
v_cvt_pk_fp8_f32 v8, v6, v7
	;;#ASMEND
	;;#ASMSTART
	v_pk_mul_f32 v[6:7], v[28:29], v[2:3]
	;;#ASMEND
	;;#ASMSTART
	v_med3_f32 v6, v6, v10, v11
v_med3_f32 v7, v7, v10, v11
v_cvt_pk_fp8_f32 v9, v6, v7
	;;#ASMEND
	v_perm_b32 v6, v8, v9, s2
	;;#ASMSTART
	v_pk_mul_f32 v[8:9], v[22:23], v[2:3]
	;;#ASMEND
	v_mov_b32_e32 v7, v8
	;;#ASMSTART
	v_med3_f32 v7, v7, v10, v11
v_med3_f32 v9, v9, v10, v11
v_cvt_pk_fp8_f32 v8, v7, v9
	;;#ASMEND
	;;#ASMSTART
	v_pk_mul_f32 v[2:3], v[20:21], v[2:3]
	;;#ASMEND
	;;#ASMSTART
	v_med3_f32 v2, v2, v10, v11
v_med3_f32 v3, v3, v10, v11
v_cvt_pk_fp8_f32 v7, v2, v3
	;;#ASMEND
	s_and_b32 s10, s3, -4
	s_mov_b32 s11, 0x20000
	v_perm_b32 v7, v8, v7, s2
	buffer_store_dwordx4 v[4:7], v1, s[8:11], 0 offen
	;;#ASMSTART
	s_nop 0
	;;#ASMEND
.LBB982_22:
	s_or_b64 exec, exec, s[14:15]
	s_cmp_lt_i32 s20, 1
	s_cbranch_scc1 .LBB982_12
.LBB982_23:
	s_load_dword s2, s[4:5], 0x94
	s_waitcnt lgkmcnt(0)
	s_cmp_lg_u32 s2, 1
	s_cbranch_scc1 .LBB982_12
; %bb.24:
	s_lshl_b32 s2, s20, 1
	s_add_i32 s2, s2, 2
	v_cmp_gt_u32_e32 vcc, s20, v1
	s_and_b32 s14, s2, -4
	v_mov_b32_e32 v18, 0
	v_lshlrev_b32_e32 v1, 5, v0
	v_mov_b32_e32 v14, 0
	v_mov_b32_e32 v15, 0
	v_mov_b32_e32 v16, 0
	v_mov_b32_e32 v17, 0
	v_mov_b32_e32 v10, 0
	v_mov_b32_e32 v11, 0
	v_mov_b32_e32 v12, 0
	v_mov_b32_e32 v13, 0
	s_waitcnt vmcnt(1)
	v_mov_b32_e32 v6, 0
	v_mov_b32_e32 v7, 0
	;; [unrolled: 1-line block ×4, first 2 shown]
	s_waitcnt vmcnt(0)
	v_mov_b32_e32 v2, 0
	v_mov_b32_e32 v3, 0
	;; [unrolled: 1-line block ×4, first 2 shown]
	s_barrier
	s_and_saveexec_b64 s[2:3], vcc
	s_cbranch_execz .LBB982_26
; %bb.25:
	s_mul_hi_i32 s5, s22, s6
	s_mul_i32 s4, s22, s6
	s_and_b32 s13, s13, 0xffff
	s_lshl_b64 s[4:5], s[4:5], 1
	s_add_u32 s8, s30, s4
	s_mov_b32 s15, 0x20000
	s_addc_u32 s4, s31, s5
	s_and_b32 s9, s4, 0xffff
	s_mov_b32 s10, s14
	s_mov_b32 s11, s15
	buffer_load_dwordx4 v[14:17], v1, s[8:11], 0 offen
	buffer_load_dwordx4 v[10:13], v1, s[8:11], 16 offen
	;; [unrolled: 1-line block ×4, first 2 shown]
.LBB982_26:
	s_or_b64 exec, exec, s[2:3]
	v_mov_b32_e32 v19, 0
	v_mov_b32_e32 v32, 0
	;; [unrolled: 1-line block ×15, first 2 shown]
	s_and_saveexec_b64 s[2:3], vcc
	s_cbranch_execz .LBB982_28
; %bb.27:
	s_waitcnt vmcnt(3)
	v_cvt_f32_u32_sdwa v18, v14 dst_sel:DWORD dst_unused:UNUSED_PAD src0_sel:WORD_0
	v_cvt_f32_u32_sdwa v19, v14 dst_sel:DWORD dst_unused:UNUSED_PAD src0_sel:WORD_1
	v_cvt_f32_u32_sdwa v32, v15 dst_sel:DWORD dst_unused:UNUSED_PAD src0_sel:WORD_0
	v_cvt_f32_u32_sdwa v33, v15 dst_sel:DWORD dst_unused:UNUSED_PAD src0_sel:WORD_1
	v_cvt_f32_u32_sdwa v30, v16 dst_sel:DWORD dst_unused:UNUSED_PAD src0_sel:WORD_0
	v_cvt_f32_u32_sdwa v31, v16 dst_sel:DWORD dst_unused:UNUSED_PAD src0_sel:WORD_1
	v_cvt_f32_u32_sdwa v28, v17 dst_sel:DWORD dst_unused:UNUSED_PAD src0_sel:WORD_0
	v_cvt_f32_u32_sdwa v29, v17 dst_sel:DWORD dst_unused:UNUSED_PAD src0_sel:WORD_1
	s_waitcnt vmcnt(2)
	v_cvt_f32_u32_sdwa v26, v10 dst_sel:DWORD dst_unused:UNUSED_PAD src0_sel:WORD_0
	v_cvt_f32_u32_sdwa v27, v10 dst_sel:DWORD dst_unused:UNUSED_PAD src0_sel:WORD_1
	v_cvt_f32_u32_sdwa v24, v11 dst_sel:DWORD dst_unused:UNUSED_PAD src0_sel:WORD_0
	v_cvt_f32_u32_sdwa v25, v11 dst_sel:DWORD dst_unused:UNUSED_PAD src0_sel:WORD_1
	;; [unrolled: 2-line block ×4, first 2 shown]
.LBB982_28:
	s_or_b64 exec, exec, s[2:3]
	s_waitcnt vmcnt(2)
	v_mul_f32_e32 v10, v19, v19
	v_fmac_f32_e32 v10, v18, v18
	v_fmac_f32_e32 v10, v32, v32
	;; [unrolled: 1-line block ×15, first 2 shown]
	s_nop 1
	v_mov_b32_dpp v11, v10 quad_perm:[1,0,3,2] row_mask:0xf bank_mask:0xf
	v_add_f32_e32 v10, v10, v11
	s_nop 1
	v_mov_b32_dpp v11, v10 quad_perm:[2,3,0,1] row_mask:0xf bank_mask:0xf
	v_add_f32_e32 v10, v10, v11
	s_nop 1
	v_mov_b32_dpp v11, v10 row_half_mirror row_mask:0xf bank_mask:0xf
	v_add_f32_e32 v10, v10, v11
	s_nop 1
	v_mov_b32_dpp v11, v10 row_mirror row_mask:0xf bank_mask:0xf
	v_add_f32_e32 v10, v10, v11
	s_nop 1
	v_mov_b32_dpp v11, v10 row_bcast:15 row_mask:0xf bank_mask:0xf
	v_add_f32_e32 v10, v10, v11
	s_nop 1
	v_mov_b32_dpp v11, v10 row_bcast:31 row_mask:0xf bank_mask:0xf
	s_and_saveexec_b64 s[2:3], s[0:1]
	s_cbranch_execz .LBB982_30
; %bb.29:
	v_lshrrev_b32_e32 v0, 4, v0
	v_add_f32_e32 v10, v10, v11
	v_and_b32_e32 v0, 60, v0
	ds_write_b32 v0, v10
.LBB982_30:
	s_or_b64 exec, exec, s[2:3]
	s_waitcnt lgkmcnt(0)
	s_barrier
	ds_read_b32 v0, v34
	s_waitcnt lgkmcnt(0)
	s_nop 0
	v_mov_b32_dpp v10, v0 quad_perm:[1,0,3,2] row_mask:0xf bank_mask:0xf
	v_add_f32_e32 v0, v0, v10
	s_nop 1
	v_mov_b32_dpp v10, v0 quad_perm:[2,3,0,1] row_mask:0xf bank_mask:0xf
	v_add_f32_e32 v0, v0, v10
	s_nop 1
	v_mov_b32_dpp v10, v0 row_half_mirror row_mask:0xf bank_mask:0xf
	s_and_saveexec_b64 s[0:1], vcc
	s_cbranch_execz .LBB982_12
; %bb.31:
	v_cvt_f32_u32_e32 v11, s20
	v_add_f32_e32 v0, v0, v10
	s_mov_b32 s15, 0x20000
	v_div_scale_f32 v10, s[0:1], v11, v11, v0
	v_rcp_f32_e32 v12, v10
	v_div_scale_f32 v13, vcc, v0, v11, v0
	s_mov_b32 s0, 0x800000
	v_fma_f32 v14, -v10, v12, 1.0
	v_fmac_f32_e32 v12, v14, v12
	v_mul_f32_e32 v14, v13, v12
	v_fma_f32 v15, -v10, v14, v13
	v_fmac_f32_e32 v14, v15, v12
	v_fma_f32 v10, -v10, v14, v13
	v_div_fmas_f32 v10, v10, v12, v14
	v_div_fixup_f32 v0, v10, v11, v0
	v_add_f32_e32 v0, s17, v0
	v_mul_f32_e32 v10, 0x4b800000, v0
	v_cmp_gt_f32_e32 vcc, s0, v0
	v_cndmask_b32_e32 v0, v0, v10, vcc
	v_rsq_f32_e32 v0, v0
	s_mul_hi_i32 s1, s7, s6
	s_mul_i32 s0, s7, s6
	s_lshl_b64 s[0:1], s[0:1], 1
	v_mul_f32_e32 v10, 0x45800000, v0
	v_cndmask_b32_e32 v10, v0, v10, vcc
	v_mov_b32_e32 v11, v10
	s_add_u32 s12, s28, s0
	;;#ASMSTART
	v_pk_mul_f32 v[12:13], v[18:19], v[10:11]
	;;#ASMEND
	;;#ASMSTART
	v_pk_mul_f32 v[14:15], v[32:33], v[10:11]
	;;#ASMEND
	;;#ASMSTART
	v_pk_mul_f32 v[16:17], v[30:31], v[10:11]
	;;#ASMEND
	;;#ASMSTART
	v_pk_mul_f32 v[18:19], v[28:29], v[10:11]
	;;#ASMEND
	;;#ASMSTART
	v_pk_mul_f32 v[26:27], v[26:27], v[10:11]
	;;#ASMEND
	;;#ASMSTART
	v_pk_mul_f32 v[24:25], v[24:25], v[10:11]
	;;#ASMEND
	;;#ASMSTART
	v_pk_mul_f32 v[22:23], v[22:23], v[10:11]
	;;#ASMEND
	;;#ASMSTART
	v_pk_mul_f32 v[10:11], v[20:21], v[10:11]
	;;#ASMEND
	s_waitcnt vmcnt(1)
	v_cvt_f32_u32_sdwa v21, v6 dst_sel:DWORD dst_unused:UNUSED_PAD src0_sel:WORD_1
	v_cvt_f32_u32_sdwa v20, v6 dst_sel:DWORD dst_unused:UNUSED_PAD src0_sel:WORD_0
	v_cvt_f32_u32_sdwa v29, v7 dst_sel:DWORD dst_unused:UNUSED_PAD src0_sel:WORD_1
	v_cvt_f32_u32_sdwa v28, v7 dst_sel:DWORD dst_unused:UNUSED_PAD src0_sel:WORD_0
	;; [unrolled: 2-line block ×3, first 2 shown]
	s_addc_u32 s0, s29, s1
	v_cvt_f32_u32_sdwa v31, v9 dst_sel:DWORD dst_unused:UNUSED_PAD src0_sel:WORD_1
	v_cvt_f32_u32_sdwa v30, v9 dst_sel:DWORD dst_unused:UNUSED_PAD src0_sel:WORD_0
	;;#ASMSTART
	v_pk_mul_f32 v[8:9], v[12:13], v[20:21]
	;;#ASMEND
	;;#ASMSTART
	v_pk_mul_f32 v[12:13], v[14:15], v[28:29]
	;;#ASMEND
	;; [unrolled: 3-line block ×4, first 2 shown]
	s_waitcnt vmcnt(0)
	v_cvt_f32_u32_sdwa v17, v2 dst_sel:DWORD dst_unused:UNUSED_PAD src0_sel:WORD_1
	v_cvt_f32_u32_sdwa v16, v2 dst_sel:DWORD dst_unused:UNUSED_PAD src0_sel:WORD_0
	v_cvt_f32_u32_sdwa v19, v3 dst_sel:DWORD dst_unused:UNUSED_PAD src0_sel:WORD_1
	v_cvt_f32_u32_sdwa v18, v3 dst_sel:DWORD dst_unused:UNUSED_PAD src0_sel:WORD_0
	;; [unrolled: 2-line block ×3, first 2 shown]
	s_and_b32 s13, s0, 0xffff
	s_mov_b32 s0, 0x7060302
	v_cvt_f32_u32_sdwa v21, v5 dst_sel:DWORD dst_unused:UNUSED_PAD src0_sel:WORD_1
	v_cvt_f32_u32_sdwa v20, v5 dst_sel:DWORD dst_unused:UNUSED_PAD src0_sel:WORD_0
	;;#ASMSTART
	v_pk_mul_f32 v[16:17], v[26:27], v[16:17]
	;;#ASMEND
	;;#ASMSTART
	v_pk_mul_f32 v[18:19], v[24:25], v[18:19]
	;;#ASMEND
	;; [unrolled: 3-line block ×3, first 2 shown]
	v_perm_b32 v2, v9, v8, s0
	v_perm_b32 v3, v13, v12, s0
	;; [unrolled: 1-line block ×4, first 2 shown]
	;;#ASMSTART
	v_pk_mul_f32 v[10:11], v[10:11], v[20:21]
	;;#ASMEND
	buffer_store_dwordx4 v[2:5], v1, s[12:15], 0 offen
	;;#ASMSTART
	s_nop 0
	;;#ASMEND
	s_nop 0
	v_perm_b32 v2, v17, v16, s0
	v_perm_b32 v3, v19, v18, s0
	;; [unrolled: 1-line block ×4, first 2 shown]
	buffer_store_dwordx4 v[2:5], v1, s[12:15], 16 offen
	;;#ASMSTART
	s_nop 0
	;;#ASMEND
	s_endpgm
	.section	.rodata,"a",@progbits
	.p2align	6, 0x0
	.amdhsa_kernel _ZN5aiter35fused_qk_rmsnorm_group_quant_kernelItDB8_Li512ELi16ELi4ELb0ELb0ELb0ELb0ELb0ELb0EEEvPT0_PvPT_S6_S6_PKS5_S8_S8_S8_S8_ffiiiiiiiiiiiii
		.amdhsa_group_segment_fixed_size 64
		.amdhsa_private_segment_fixed_size 0
		.amdhsa_kernarg_size 400
		.amdhsa_user_sgpr_count 6
		.amdhsa_user_sgpr_private_segment_buffer 1
		.amdhsa_user_sgpr_dispatch_ptr 0
		.amdhsa_user_sgpr_queue_ptr 0
		.amdhsa_user_sgpr_kernarg_segment_ptr 1
		.amdhsa_user_sgpr_dispatch_id 0
		.amdhsa_user_sgpr_flat_scratch_init 0
		.amdhsa_user_sgpr_kernarg_preload_length 0
		.amdhsa_user_sgpr_kernarg_preload_offset 0
		.amdhsa_user_sgpr_private_segment_size 0
		.amdhsa_uses_dynamic_stack 0
		.amdhsa_system_sgpr_private_segment_wavefront_offset 0
		.amdhsa_system_sgpr_workgroup_id_x 1
		.amdhsa_system_sgpr_workgroup_id_y 1
		.amdhsa_system_sgpr_workgroup_id_z 0
		.amdhsa_system_sgpr_workgroup_info 0
		.amdhsa_system_vgpr_workitem_id 0
		.amdhsa_next_free_vgpr 38
		.amdhsa_next_free_sgpr 32
		.amdhsa_accum_offset 40
		.amdhsa_reserve_vcc 1
		.amdhsa_reserve_flat_scratch 0
		.amdhsa_float_round_mode_32 0
		.amdhsa_float_round_mode_16_64 0
		.amdhsa_float_denorm_mode_32 3
		.amdhsa_float_denorm_mode_16_64 3
		.amdhsa_dx10_clamp 1
		.amdhsa_ieee_mode 1
		.amdhsa_fp16_overflow 0
		.amdhsa_tg_split 0
		.amdhsa_exception_fp_ieee_invalid_op 0
		.amdhsa_exception_fp_denorm_src 0
		.amdhsa_exception_fp_ieee_div_zero 0
		.amdhsa_exception_fp_ieee_overflow 0
		.amdhsa_exception_fp_ieee_underflow 0
		.amdhsa_exception_fp_ieee_inexact 0
		.amdhsa_exception_int_div_zero 0
	.end_amdhsa_kernel
	.section	.text._ZN5aiter35fused_qk_rmsnorm_group_quant_kernelItDB8_Li512ELi16ELi4ELb0ELb0ELb0ELb0ELb0ELb0EEEvPT0_PvPT_S6_S6_PKS5_S8_S8_S8_S8_ffiiiiiiiiiiiii,"axG",@progbits,_ZN5aiter35fused_qk_rmsnorm_group_quant_kernelItDB8_Li512ELi16ELi4ELb0ELb0ELb0ELb0ELb0ELb0EEEvPT0_PvPT_S6_S6_PKS5_S8_S8_S8_S8_ffiiiiiiiiiiiii,comdat
.Lfunc_end982:
	.size	_ZN5aiter35fused_qk_rmsnorm_group_quant_kernelItDB8_Li512ELi16ELi4ELb0ELb0ELb0ELb0ELb0ELb0EEEvPT0_PvPT_S6_S6_PKS5_S8_S8_S8_S8_ffiiiiiiiiiiiii, .Lfunc_end982-_ZN5aiter35fused_qk_rmsnorm_group_quant_kernelItDB8_Li512ELi16ELi4ELb0ELb0ELb0ELb0ELb0ELb0EEEvPT0_PvPT_S6_S6_PKS5_S8_S8_S8_S8_ffiiiiiiiiiiiii
                                        ; -- End function
	.section	.AMDGPU.csdata,"",@progbits
; Kernel info:
; codeLenInByte = 3476
; NumSgprs: 36
; NumVgprs: 38
; NumAgprs: 0
; TotalNumVgprs: 38
; ScratchSize: 0
; MemoryBound: 0
; FloatMode: 240
; IeeeMode: 1
; LDSByteSize: 64 bytes/workgroup (compile time only)
; SGPRBlocks: 4
; VGPRBlocks: 4
; NumSGPRsForWavesPerEU: 36
; NumVGPRsForWavesPerEU: 38
; AccumOffset: 40
; Occupancy: 8
; WaveLimiterHint : 0
; COMPUTE_PGM_RSRC2:SCRATCH_EN: 0
; COMPUTE_PGM_RSRC2:USER_SGPR: 6
; COMPUTE_PGM_RSRC2:TRAP_HANDLER: 0
; COMPUTE_PGM_RSRC2:TGID_X_EN: 1
; COMPUTE_PGM_RSRC2:TGID_Y_EN: 1
; COMPUTE_PGM_RSRC2:TGID_Z_EN: 0
; COMPUTE_PGM_RSRC2:TIDIG_COMP_CNT: 0
; COMPUTE_PGM_RSRC3_GFX90A:ACCUM_OFFSET: 9
; COMPUTE_PGM_RSRC3_GFX90A:TG_SPLIT: 0
	.section	.text._ZN5aiter35fused_qk_rmsnorm_group_quant_kernelIDF16_N4opus5fp4_tELi512ELi16ELi4ELb0ELb0ELb0ELb0ELb0ELb0EEEvPT0_PvPT_S7_S7_PKS6_S9_S9_S9_S9_ffiiiiiiiiiiiii,"axG",@progbits,_ZN5aiter35fused_qk_rmsnorm_group_quant_kernelIDF16_N4opus5fp4_tELi512ELi16ELi4ELb0ELb0ELb0ELb0ELb0ELb0EEEvPT0_PvPT_S7_S7_PKS6_S9_S9_S9_S9_ffiiiiiiiiiiiii,comdat
	.protected	_ZN5aiter35fused_qk_rmsnorm_group_quant_kernelIDF16_N4opus5fp4_tELi512ELi16ELi4ELb0ELb0ELb0ELb0ELb0ELb0EEEvPT0_PvPT_S7_S7_PKS6_S9_S9_S9_S9_ffiiiiiiiiiiiii ; -- Begin function _ZN5aiter35fused_qk_rmsnorm_group_quant_kernelIDF16_N4opus5fp4_tELi512ELi16ELi4ELb0ELb0ELb0ELb0ELb0ELb0EEEvPT0_PvPT_S7_S7_PKS6_S9_S9_S9_S9_ffiiiiiiiiiiiii
	.globl	_ZN5aiter35fused_qk_rmsnorm_group_quant_kernelIDF16_N4opus5fp4_tELi512ELi16ELi4ELb0ELb0ELb0ELb0ELb0ELb0EEEvPT0_PvPT_S7_S7_PKS6_S9_S9_S9_S9_ffiiiiiiiiiiiii
	.p2align	8
	.type	_ZN5aiter35fused_qk_rmsnorm_group_quant_kernelIDF16_N4opus5fp4_tELi512ELi16ELi4ELb0ELb0ELb0ELb0ELb0ELb0EEEvPT0_PvPT_S7_S7_PKS6_S9_S9_S9_S9_ffiiiiiiiiiiiii,@function
_ZN5aiter35fused_qk_rmsnorm_group_quant_kernelIDF16_N4opus5fp4_tELi512ELi16ELi4ELb0ELb0ELb0ELb0ELb0ELb0EEEvPT0_PvPT_S7_S7_PKS6_S9_S9_S9_S9_ffiiiiiiiiiiiii: ; @_ZN5aiter35fused_qk_rmsnorm_group_quant_kernelIDF16_N4opus5fp4_tELi512ELi16ELi4ELb0ELb0ELb0ELb0ELb0ELb0EEEvPT0_PvPT_S7_S7_PKS6_S9_S9_S9_S9_ffiiiiiiiiiiiii
; %bb.0:
	s_load_dwordx4 s[16:19], s[4:5], 0x50
	s_waitcnt lgkmcnt(0)
	s_cmp_ge_i32 s6, s18
	s_cbranch_scc1 .LBB983_12
; %bb.1:
	s_load_dwordx2 s[12:13], s[4:5], 0x48
	s_load_dwordx2 s[30:31], s[4:5], 0x30
	s_load_dwordx4 s[20:23], s[4:5], 0x60
	s_cmp_lg_u32 s7, 0
	s_cselect_b64 s[14:15], -1, 0
	s_cmp_eq_u32 s7, 0
	s_cselect_b64 vcc, -1, 0
	s_and_b64 s[0:1], vcc, exec
	s_waitcnt lgkmcnt(0)
	s_cselect_b32 s7, s19, s20
	s_add_i32 s0, s7, 1
	s_lshr_b32 s1, s0, 31
	s_add_i32 s0, s0, s1
	s_lshl_b32 s0, s0, 1
	v_lshlrev_b32_e32 v1, 4, v0
	s_and_b32 s10, s0, -4
	v_cmp_gt_i32_e64 s[2:3], s7, v1
	v_mov_b32_e32 v18, 0
	v_mov_b32_e32 v6, 0
	;; [unrolled: 1-line block ×17, first 2 shown]
	s_and_saveexec_b64 s[0:1], s[2:3]
	s_cbranch_execz .LBB983_3
; %bb.2:
	s_load_dwordx2 s[8:9], s[4:5], 0x28
	s_load_dwordx2 s[26:27], s[4:5], 0x40
	s_and_b64 s[24:25], vcc, exec
	s_cselect_b32 s11, s21, s22
	v_lshlrev_b32_e32 v19, 5, v0
	s_waitcnt lgkmcnt(0)
	s_cselect_b32 s18, s9, s31
	s_cselect_b32 s21, s8, s30
	s_mul_hi_i32 s9, s11, s6
	s_mul_i32 s8, s11, s6
	s_lshl_b64 s[8:9], s[8:9], 1
	s_add_u32 s24, s21, s8
	s_addc_u32 s18, s18, s9
	s_and_b64 s[8:9], vcc, exec
	s_mov_b32 s11, 0x20000
	s_cselect_b32 s8, s26, s12
	s_cselect_b32 s9, s27, s13
	s_and_b32 s25, s18, 0xffff
	s_mov_b32 s26, s10
	s_mov_b32 s27, s11
	s_and_b32 s9, s9, 0xffff
	buffer_load_dwordx4 v[14:17], v19, s[24:27], 0 offen
	buffer_load_dwordx4 v[10:13], v19, s[24:27], 16 offen
	;; [unrolled: 1-line block ×4, first 2 shown]
.LBB983_3:
	s_or_b64 exec, exec, s[0:1]
	v_mov_b32_e32 v19, 0
	v_mov_b32_e32 v24, 0
	;; [unrolled: 1-line block ×15, first 2 shown]
	s_and_saveexec_b64 s[0:1], s[2:3]
	s_cbranch_execz .LBB983_5
; %bb.4:
	s_waitcnt vmcnt(3)
	v_cvt_f32_f16_sdwa v19, v14 dst_sel:DWORD dst_unused:UNUSED_PAD src0_sel:WORD_1
	v_cvt_f32_f16_e32 v18, v14
	v_cvt_f32_f16_sdwa v25, v15 dst_sel:DWORD dst_unused:UNUSED_PAD src0_sel:WORD_1
	v_cvt_f32_f16_e32 v24, v15
	;; [unrolled: 2-line block ×4, first 2 shown]
	s_waitcnt vmcnt(2)
	v_cvt_f32_f16_sdwa v33, v10 dst_sel:DWORD dst_unused:UNUSED_PAD src0_sel:WORD_1
	v_cvt_f32_f16_e32 v32, v10
	v_cvt_f32_f16_sdwa v31, v11 dst_sel:DWORD dst_unused:UNUSED_PAD src0_sel:WORD_1
	v_cvt_f32_f16_e32 v30, v11
	;; [unrolled: 2-line block ×4, first 2 shown]
.LBB983_5:
	s_or_b64 exec, exec, s[0:1]
	s_waitcnt vmcnt(2)
	v_mul_f32_e32 v10, v19, v19
	v_fmac_f32_e32 v10, v18, v18
	v_fmac_f32_e32 v10, v24, v24
	v_fmac_f32_e32 v10, v25, v25
	v_fmac_f32_e32 v10, v20, v20
	v_fmac_f32_e32 v10, v21, v21
	v_fmac_f32_e32 v10, v22, v22
	v_fmac_f32_e32 v10, v23, v23
	v_fmac_f32_e32 v10, v32, v32
	v_fmac_f32_e32 v10, v33, v33
	v_fmac_f32_e32 v10, v30, v30
	v_fmac_f32_e32 v10, v31, v31
	v_fmac_f32_e32 v10, v26, v26
	v_fmac_f32_e32 v10, v27, v27
	v_fmac_f32_e32 v10, v28, v28
	v_fmac_f32_e32 v10, v29, v29
	v_and_b32_e32 v12, 63, v0
	v_cmp_eq_u32_e64 s[0:1], 63, v12
	v_mov_b32_dpp v11, v10 quad_perm:[1,0,3,2] row_mask:0xf bank_mask:0xf
	v_add_f32_e32 v10, v10, v11
	s_nop 1
	v_mov_b32_dpp v11, v10 quad_perm:[2,3,0,1] row_mask:0xf bank_mask:0xf
	v_add_f32_e32 v10, v10, v11
	s_nop 1
	v_mov_b32_dpp v11, v10 row_half_mirror row_mask:0xf bank_mask:0xf
	v_add_f32_e32 v10, v10, v11
	s_nop 1
	v_mov_b32_dpp v11, v10 row_mirror row_mask:0xf bank_mask:0xf
	v_add_f32_e32 v10, v10, v11
	s_nop 1
	v_mov_b32_dpp v11, v10 row_bcast:15 row_mask:0xf bank_mask:0xf
	v_add_f32_e32 v10, v10, v11
	s_nop 1
	v_mov_b32_dpp v11, v10 row_bcast:31 row_mask:0xf bank_mask:0xf
	s_and_saveexec_b64 s[8:9], s[0:1]
	s_cbranch_execz .LBB983_7
; %bb.6:
	v_add_f32_e32 v10, v10, v11
	v_lshrrev_b32_e32 v11, 4, v0
	v_and_b32_e32 v11, 60, v11
	ds_write_b32 v11, v10 offset:32
.LBB983_7:
	s_or_b64 exec, exec, s[8:9]
	v_and_b32_e32 v10, 7, v0
	v_lshlrev_b32_e32 v34, 2, v10
	s_waitcnt lgkmcnt(0)
	s_barrier
	ds_read_b32 v10, v34 offset:32
	s_load_dwordx2 s[28:29], s[4:5], 0x18
	s_waitcnt lgkmcnt(0)
	v_mov_b32_dpp v11, v10 quad_perm:[1,0,3,2] row_mask:0xf bank_mask:0xf
	v_add_f32_e32 v10, v10, v11
	s_nop 1
	v_mov_b32_dpp v11, v10 quad_perm:[2,3,0,1] row_mask:0xf bank_mask:0xf
	v_add_f32_e32 v10, v10, v11
	s_nop 1
	v_mov_b32_dpp v11, v10 row_half_mirror row_mask:0xf bank_mask:0xf
	s_and_saveexec_b64 s[8:9], s[2:3]
	s_cbranch_execz .LBB983_9
; %bb.8:
	v_cvt_f32_u32_e32 v12, s7
	v_add_f32_e32 v10, v10, v11
	v_mov_b32_e32 v14, s17
	v_mov_b32_e32 v15, s16
	v_div_scale_f32 v11, s[24:25], v12, v12, v10
	v_rcp_f32_e32 v13, v11
	v_cndmask_b32_e32 v14, v14, v15, vcc
	s_mov_b32 s7, 0x800000
	v_fma_f32 v15, -v11, v13, 1.0
	v_fmac_f32_e32 v13, v15, v13
	v_div_scale_f32 v15, vcc, v10, v12, v10
	v_mul_f32_e32 v16, v15, v13
	v_fma_f32 v17, -v11, v16, v15
	v_fmac_f32_e32 v16, v17, v13
	v_fma_f32 v11, -v11, v16, v15
	v_div_fmas_f32 v11, v11, v13, v16
	v_div_fixup_f32 v10, v11, v12, v10
	v_add_f32_e32 v10, v14, v10
	v_mul_f32_e32 v11, 0x4b800000, v10
	v_cmp_gt_f32_e32 vcc, s7, v10
	v_cndmask_b32_e32 v10, v10, v11, vcc
	v_rsq_f32_e32 v10, v10
	v_mul_f32_e32 v11, 0x45800000, v10
	v_cndmask_b32_e32 v10, v10, v11, vcc
	v_mov_b32_e32 v11, v10
	;;#ASMSTART
	v_pk_mul_f32 v[12:13], v[18:19], v[10:11]
	;;#ASMEND
	;;#ASMSTART
	v_pk_mul_f32 v[14:15], v[24:25], v[10:11]
	;;#ASMEND
	;; [unrolled: 3-line block ×8, first 2 shown]
	s_waitcnt vmcnt(1)
	v_cvt_f32_f16_sdwa v19, v6 dst_sel:DWORD dst_unused:UNUSED_PAD src0_sel:WORD_1
	v_cvt_f32_f16_e32 v18, v6
	v_cvt_f32_f16_sdwa v21, v7 dst_sel:DWORD dst_unused:UNUSED_PAD src0_sel:WORD_1
	v_cvt_f32_f16_e32 v20, v7
	;; [unrolled: 2-line block ×4, first 2 shown]
	;;#ASMSTART
	v_pk_mul_f32 v[18:19], v[12:13], v[18:19]
	;;#ASMEND
	;;#ASMSTART
	v_pk_mul_f32 v[24:25], v[14:15], v[20:21]
	;;#ASMEND
	;; [unrolled: 3-line block ×4, first 2 shown]
	s_waitcnt vmcnt(0)
	v_cvt_f32_f16_sdwa v7, v2 dst_sel:DWORD dst_unused:UNUSED_PAD src0_sel:WORD_1
	v_cvt_f32_f16_e32 v6, v2
	v_cvt_f32_f16_sdwa v9, v3 dst_sel:DWORD dst_unused:UNUSED_PAD src0_sel:WORD_1
	v_cvt_f32_f16_e32 v8, v3
	;; [unrolled: 2-line block ×4, first 2 shown]
	;;#ASMSTART
	v_pk_mul_f32 v[32:33], v[32:33], v[6:7]
	;;#ASMEND
	;;#ASMSTART
	v_pk_mul_f32 v[30:31], v[30:31], v[8:9]
	;;#ASMEND
	;; [unrolled: 3-line block ×4, first 2 shown]
.LBB983_9:
	s_or_b64 exec, exec, s[8:9]
	s_load_dword s7, s[4:5], 0x80
	s_mov_b64 s[8:9], -1
	s_and_b64 vcc, exec, s[14:15]
	s_cbranch_vccnz .LBB983_13
; %bb.10:
	s_andn2_b64 vcc, exec, s[8:9]
	s_cbranch_vccz .LBB983_16
.LBB983_11:
	s_cmp_lt_i32 s20, 1
	s_cbranch_scc0 .LBB983_23
.LBB983_12:
	s_endpgm
.LBB983_13:
	s_and_saveexec_b64 s[14:15], s[2:3]
	s_cbranch_execz .LBB983_15
; %bb.14:
	s_waitcnt lgkmcnt(0)
	s_mul_hi_i32 s9, s7, s6
	s_mul_i32 s8, s7, s6
	s_waitcnt vmcnt(0)
	v_cvt_f16_f32_e32 v2, v18
	v_cvt_f16_f32_e32 v3, v24
	v_cvt_f16_f32_e32 v4, v20
	v_cvt_f16_f32_e32 v5, v22
	v_cvt_f16_f32_e32 v6, v23
	v_cvt_f16_f32_e32 v7, v21
	v_cvt_f16_f32_e32 v8, v25
	v_cvt_f16_f32_e32 v9, v19
	s_lshl_b64 s[8:9], s[8:9], 1
	s_add_u32 s8, s28, s8
	s_addc_u32 s9, s29, s9
	s_and_b32 s9, s9, 0xffff
	s_mov_b32 s11, 0x20000
	v_pack_b32_f16 v5, v5, v6
	v_pack_b32_f16 v4, v4, v7
	;; [unrolled: 1-line block ×4, first 2 shown]
	v_lshlrev_b32_e32 v6, 5, v0
	buffer_store_dwordx4 v[2:5], v6, s[8:11], 0 offen
	v_cvt_f16_f32_e32 v7, v29
	v_cvt_f16_f32_e32 v2, v32
	;; [unrolled: 1-line block ×8, first 2 shown]
	v_pack_b32_f16 v5, v5, v7
	v_pack_b32_f16 v4, v4, v8
	;; [unrolled: 1-line block ×4, first 2 shown]
	;;#ASMSTART
	s_nop 0
	;;#ASMEND
	buffer_store_dwordx4 v[2:5], v6, s[8:11], 16 offen
	;;#ASMSTART
	s_nop 0
	;;#ASMEND
.LBB983_15:
	s_or_b64 exec, exec, s[14:15]
	s_cbranch_execnz .LBB983_11
.LBB983_16:
	s_waitcnt vmcnt(0)
	v_mov_b32_e32 v2, 0
	s_and_saveexec_b64 s[8:9], s[2:3]
	s_cbranch_execz .LBB983_18
; %bb.17:
	v_and_b32_e32 v2, 0x7fffffff, v18
	v_and_b32_e32 v3, 0x7fffffff, v19
	v_mov_b32_e32 v4, 0x2edbe6ff
	;;#ASMSTART
	v_max3_f32 v2, v4, v2, v3

	;;#ASMEND
	v_and_b32_e32 v3, 0x7fffffff, v24
	v_and_b32_e32 v4, 0x7fffffff, v25
	;;#ASMSTART
	v_max3_f32 v2, v2, v3, v4

	;;#ASMEND
	v_and_b32_e32 v3, 0x7fffffff, v20
	v_and_b32_e32 v4, 0x7fffffff, v21
	;; [unrolled: 6-line block ×7, first 2 shown]
	;;#ASMSTART
	v_max3_f32 v2, v2, v3, v4

	;;#ASMEND
.LBB983_18:
	s_or_b64 exec, exec, s[8:9]
	s_load_dwordx4 s[24:27], s[4:5], 0x70
	;;#ASMSTART
	v_max_f32 v3, v2, v2 quad_perm:[1,0,3,2] row_mask:0xf bank_mask:0xf bound_ctrl:1
	;;#ASMEND
	;;#ASMSTART
	v_max_f32 v2, v3, v3 quad_perm:[2,3,0,1] row_mask:0xf bank_mask:0xf bound_ctrl:1
	;;#ASMEND
	v_and_b32_e32 v3, 3, v0
	v_cmp_eq_u32_e32 vcc, 0, v3
	v_cmp_gt_i32_e64 s[8:9], s19, v1
	s_and_b64 s[10:11], vcc, s[8:9]
	s_and_saveexec_b64 s[8:9], s[10:11]
	s_cbranch_execz .LBB983_20
; %bb.19:
	s_load_dwordx2 s[10:11], s[4:5], 0x8
	v_mul_f32_e32 v2, 0x3e2aaaab, v2
	v_lshrrev_b32_e32 v3, 23, v2
	v_and_b32_e32 v4, 0x7f800000, v2
	v_and_b32_e32 v2, 0x7fffff, v2
	v_cmp_ne_u32_e32 vcc, 0, v2
	s_waitcnt lgkmcnt(0)
	s_mul_i32 s16, s25, s6
	s_mov_b32 s14, 0x7f800000
	v_addc_co_u32_e32 v2, vcc, 0, v3, vcc
	s_mul_hi_i32 s15, s25, s6
	s_add_u32 s10, s10, s16
	v_cmp_ne_u32_e32 vcc, s14, v4
	s_addc_u32 s11, s11, s15
	v_lshrrev_b32_e32 v5, 2, v0
	v_cndmask_b32_e32 v4, -1, v2, vcc
	v_pk_mov_b32 v[2:3], s[10:11], s[10:11] op_sel:[0,1]
	v_mad_i64_i32 v[2:3], s[10:11], s26, v5, v[2:3]
	global_store_byte v[2:3], v4, off
.LBB983_20:
	s_or_b64 exec, exec, s[8:9]
	s_and_saveexec_b64 s[8:9], s[2:3]
	s_cbranch_execz .LBB983_22
; %bb.21:
	s_load_dwordx2 s[2:3], s[4:5], 0x0
	s_waitcnt lgkmcnt(0)
	s_mul_i32 s11, s24, s6
	s_mul_hi_i32 s10, s24, s6
	v_mov_b32_e32 v2, 0
	v_lshlrev_b32_e32 v4, 3, v0
	s_add_u32 s24, s2, s11
	s_addc_u32 s2, s3, s10
	s_lshr_b32 s3, s19, 31
	s_add_i32 s3, s19, s3
	s_ashr_i32 s3, s3, 1
	s_add_i32 s3, s3, 3
	s_ashr_i32 s10, s3, 31
	s_lshr_b32 s10, s10, 30
	s_add_i32 s3, s3, s10
	s_and_b32 s26, s3, -4
	s_and_b32 s25, s2, 0xffff
	s_mov_b32 s27, 0x20000
	v_mov_b32_e32 v3, v2
	buffer_store_dwordx2 v[2:3], v4, s[24:27], 0 offen
	;;#ASMSTART
	s_nop 0
	;;#ASMEND
.LBB983_22:
	s_or_b64 exec, exec, s[8:9]
	s_cmp_lt_i32 s20, 1
	s_cbranch_scc1 .LBB983_12
.LBB983_23:
	s_load_dword s2, s[4:5], 0x94
	s_waitcnt lgkmcnt(0)
	s_cmp_lg_u32 s2, 1
	s_cbranch_scc1 .LBB983_12
; %bb.24:
	s_lshl_b32 s2, s20, 1
	s_add_i32 s2, s2, 2
	v_cmp_gt_u32_e32 vcc, s20, v1
	s_and_b32 s14, s2, -4
	v_mov_b32_e32 v18, 0
	v_lshlrev_b32_e32 v1, 5, v0
	v_mov_b32_e32 v14, 0
	v_mov_b32_e32 v15, 0
	;; [unrolled: 1-line block ×8, first 2 shown]
	s_waitcnt vmcnt(1)
	v_mov_b32_e32 v6, 0
	v_mov_b32_e32 v7, 0
	;; [unrolled: 1-line block ×4, first 2 shown]
	s_waitcnt vmcnt(0)
	v_mov_b32_e32 v2, 0
	v_mov_b32_e32 v3, 0
	;; [unrolled: 1-line block ×4, first 2 shown]
	s_barrier
	s_and_saveexec_b64 s[2:3], vcc
	s_cbranch_execz .LBB983_26
; %bb.25:
	s_mul_hi_i32 s5, s22, s6
	s_mul_i32 s4, s22, s6
	s_and_b32 s13, s13, 0xffff
	s_lshl_b64 s[4:5], s[4:5], 1
	s_add_u32 s8, s30, s4
	s_mov_b32 s15, 0x20000
	s_addc_u32 s4, s31, s5
	s_and_b32 s9, s4, 0xffff
	s_mov_b32 s10, s14
	s_mov_b32 s11, s15
	buffer_load_dwordx4 v[14:17], v1, s[8:11], 0 offen
	buffer_load_dwordx4 v[10:13], v1, s[8:11], 16 offen
	;; [unrolled: 1-line block ×4, first 2 shown]
.LBB983_26:
	s_or_b64 exec, exec, s[2:3]
	v_mov_b32_e32 v19, 0
	v_mov_b32_e32 v32, 0
	;; [unrolled: 1-line block ×15, first 2 shown]
	s_and_saveexec_b64 s[2:3], vcc
	s_cbranch_execz .LBB983_28
; %bb.27:
	s_waitcnt vmcnt(3)
	v_cvt_f32_f16_sdwa v19, v14 dst_sel:DWORD dst_unused:UNUSED_PAD src0_sel:WORD_1
	v_cvt_f32_f16_e32 v18, v14
	v_cvt_f32_f16_sdwa v33, v15 dst_sel:DWORD dst_unused:UNUSED_PAD src0_sel:WORD_1
	v_cvt_f32_f16_e32 v32, v15
	;; [unrolled: 2-line block ×4, first 2 shown]
	s_waitcnt vmcnt(2)
	v_cvt_f32_f16_sdwa v27, v10 dst_sel:DWORD dst_unused:UNUSED_PAD src0_sel:WORD_1
	v_cvt_f32_f16_e32 v26, v10
	v_cvt_f32_f16_sdwa v25, v11 dst_sel:DWORD dst_unused:UNUSED_PAD src0_sel:WORD_1
	v_cvt_f32_f16_e32 v24, v11
	;; [unrolled: 2-line block ×4, first 2 shown]
.LBB983_28:
	s_or_b64 exec, exec, s[2:3]
	s_waitcnt vmcnt(2)
	v_mul_f32_e32 v10, v19, v19
	v_fmac_f32_e32 v10, v18, v18
	v_fmac_f32_e32 v10, v32, v32
	;; [unrolled: 1-line block ×15, first 2 shown]
	s_nop 1
	v_mov_b32_dpp v11, v10 quad_perm:[1,0,3,2] row_mask:0xf bank_mask:0xf
	v_add_f32_e32 v10, v10, v11
	s_nop 1
	v_mov_b32_dpp v11, v10 quad_perm:[2,3,0,1] row_mask:0xf bank_mask:0xf
	v_add_f32_e32 v10, v10, v11
	s_nop 1
	v_mov_b32_dpp v11, v10 row_half_mirror row_mask:0xf bank_mask:0xf
	v_add_f32_e32 v10, v10, v11
	s_nop 1
	v_mov_b32_dpp v11, v10 row_mirror row_mask:0xf bank_mask:0xf
	v_add_f32_e32 v10, v10, v11
	s_nop 1
	v_mov_b32_dpp v11, v10 row_bcast:15 row_mask:0xf bank_mask:0xf
	v_add_f32_e32 v10, v10, v11
	s_nop 1
	v_mov_b32_dpp v11, v10 row_bcast:31 row_mask:0xf bank_mask:0xf
	s_and_saveexec_b64 s[2:3], s[0:1]
	s_cbranch_execz .LBB983_30
; %bb.29:
	v_lshrrev_b32_e32 v0, 4, v0
	v_add_f32_e32 v10, v10, v11
	v_and_b32_e32 v0, 60, v0
	ds_write_b32 v0, v10
.LBB983_30:
	s_or_b64 exec, exec, s[2:3]
	s_waitcnt lgkmcnt(0)
	s_barrier
	ds_read_b32 v0, v34
	s_waitcnt lgkmcnt(0)
	s_nop 0
	v_mov_b32_dpp v10, v0 quad_perm:[1,0,3,2] row_mask:0xf bank_mask:0xf
	v_add_f32_e32 v0, v0, v10
	s_nop 1
	v_mov_b32_dpp v10, v0 quad_perm:[2,3,0,1] row_mask:0xf bank_mask:0xf
	v_add_f32_e32 v0, v0, v10
	s_nop 1
	v_mov_b32_dpp v10, v0 row_half_mirror row_mask:0xf bank_mask:0xf
	s_and_saveexec_b64 s[0:1], vcc
	s_cbranch_execz .LBB983_12
; %bb.31:
	v_cvt_f32_u32_e32 v11, s20
	v_add_f32_e32 v0, v0, v10
	s_mov_b32 s15, 0x20000
	v_div_scale_f32 v10, s[0:1], v11, v11, v0
	v_rcp_f32_e32 v12, v10
	v_div_scale_f32 v13, vcc, v0, v11, v0
	s_mov_b32 s0, 0x800000
	v_fma_f32 v14, -v10, v12, 1.0
	v_fmac_f32_e32 v12, v14, v12
	v_mul_f32_e32 v14, v13, v12
	v_fma_f32 v15, -v10, v14, v13
	v_fmac_f32_e32 v14, v15, v12
	v_fma_f32 v10, -v10, v14, v13
	v_div_fmas_f32 v10, v10, v12, v14
	v_div_fixup_f32 v0, v10, v11, v0
	v_add_f32_e32 v0, s17, v0
	v_mul_f32_e32 v10, 0x4b800000, v0
	v_cmp_gt_f32_e32 vcc, s0, v0
	v_cndmask_b32_e32 v0, v0, v10, vcc
	v_rsq_f32_e32 v0, v0
	s_mul_hi_i32 s1, s7, s6
	s_mul_i32 s0, s7, s6
	s_lshl_b64 s[0:1], s[0:1], 1
	v_mul_f32_e32 v10, 0x45800000, v0
	v_cndmask_b32_e32 v10, v0, v10, vcc
	v_mov_b32_e32 v11, v10
	;;#ASMSTART
	v_pk_mul_f32 v[12:13], v[18:19], v[10:11]
	;;#ASMEND
	;;#ASMSTART
	v_pk_mul_f32 v[14:15], v[32:33], v[10:11]
	;;#ASMEND
	;; [unrolled: 3-line block ×8, first 2 shown]
	s_waitcnt vmcnt(1)
	v_cvt_f32_f16_sdwa v21, v6 dst_sel:DWORD dst_unused:UNUSED_PAD src0_sel:WORD_1
	v_cvt_f32_f16_e32 v20, v6
	v_cvt_f32_f16_sdwa v29, v7 dst_sel:DWORD dst_unused:UNUSED_PAD src0_sel:WORD_1
	v_cvt_f32_f16_e32 v28, v7
	;; [unrolled: 2-line block ×4, first 2 shown]
	;;#ASMSTART
	v_pk_mul_f32 v[8:9], v[12:13], v[20:21]
	;;#ASMEND
	;;#ASMSTART
	v_pk_mul_f32 v[12:13], v[14:15], v[28:29]
	;;#ASMEND
	;;#ASMSTART
	v_pk_mul_f32 v[6:7], v[16:17], v[6:7]
	;;#ASMEND
	;;#ASMSTART
	v_pk_mul_f32 v[14:15], v[18:19], v[30:31]
	;;#ASMEND
	s_waitcnt vmcnt(0)
	v_cvt_f32_f16_sdwa v17, v2 dst_sel:DWORD dst_unused:UNUSED_PAD src0_sel:WORD_1
	v_cvt_f32_f16_e32 v16, v2
	v_cvt_f32_f16_sdwa v19, v3 dst_sel:DWORD dst_unused:UNUSED_PAD src0_sel:WORD_1
	v_cvt_f32_f16_e32 v18, v3
	;; [unrolled: 2-line block ×4, first 2 shown]
	;;#ASMSTART
	v_pk_mul_f32 v[16:17], v[26:27], v[16:17]
	;;#ASMEND
	;;#ASMSTART
	v_pk_mul_f32 v[18:19], v[24:25], v[18:19]
	;;#ASMEND
	;; [unrolled: 3-line block ×3, first 2 shown]
	v_cvt_f16_f32_e32 v0, v8
	v_cvt_f16_f32_e32 v2, v9
	;; [unrolled: 1-line block ×8, first 2 shown]
	s_add_u32 s12, s28, s0
	s_addc_u32 s0, s29, s1
	s_and_b32 s13, s0, 0xffff
	v_pack_b32_f16 v2, v0, v2
	v_pack_b32_f16 v3, v3, v4
	;; [unrolled: 1-line block ×4, first 2 shown]
	;;#ASMSTART
	v_pk_mul_f32 v[10:11], v[10:11], v[20:21]
	;;#ASMEND
	buffer_store_dwordx4 v[2:5], v1, s[12:15], 0 offen
	v_cvt_f16_f32_e32 v0, v16
	v_cvt_f16_f32_e32 v2, v17
	;; [unrolled: 1-line block ×8, first 2 shown]
	v_pack_b32_f16 v2, v0, v2
	v_pack_b32_f16 v3, v3, v4
	;; [unrolled: 1-line block ×4, first 2 shown]
	;;#ASMSTART
	s_nop 0
	;;#ASMEND
	buffer_store_dwordx4 v[2:5], v1, s[12:15], 16 offen
	;;#ASMSTART
	s_nop 0
	;;#ASMEND
	s_endpgm
	.section	.rodata,"a",@progbits
	.p2align	6, 0x0
	.amdhsa_kernel _ZN5aiter35fused_qk_rmsnorm_group_quant_kernelIDF16_N4opus5fp4_tELi512ELi16ELi4ELb0ELb0ELb0ELb0ELb0ELb0EEEvPT0_PvPT_S7_S7_PKS6_S9_S9_S9_S9_ffiiiiiiiiiiiii
		.amdhsa_group_segment_fixed_size 64
		.amdhsa_private_segment_fixed_size 0
		.amdhsa_kernarg_size 400
		.amdhsa_user_sgpr_count 6
		.amdhsa_user_sgpr_private_segment_buffer 1
		.amdhsa_user_sgpr_dispatch_ptr 0
		.amdhsa_user_sgpr_queue_ptr 0
		.amdhsa_user_sgpr_kernarg_segment_ptr 1
		.amdhsa_user_sgpr_dispatch_id 0
		.amdhsa_user_sgpr_flat_scratch_init 0
		.amdhsa_user_sgpr_kernarg_preload_length 0
		.amdhsa_user_sgpr_kernarg_preload_offset 0
		.amdhsa_user_sgpr_private_segment_size 0
		.amdhsa_uses_dynamic_stack 0
		.amdhsa_system_sgpr_private_segment_wavefront_offset 0
		.amdhsa_system_sgpr_workgroup_id_x 1
		.amdhsa_system_sgpr_workgroup_id_y 1
		.amdhsa_system_sgpr_workgroup_id_z 0
		.amdhsa_system_sgpr_workgroup_info 0
		.amdhsa_system_vgpr_workitem_id 0
		.amdhsa_next_free_vgpr 35
		.amdhsa_next_free_sgpr 32
		.amdhsa_accum_offset 36
		.amdhsa_reserve_vcc 1
		.amdhsa_reserve_flat_scratch 0
		.amdhsa_float_round_mode_32 0
		.amdhsa_float_round_mode_16_64 0
		.amdhsa_float_denorm_mode_32 3
		.amdhsa_float_denorm_mode_16_64 3
		.amdhsa_dx10_clamp 1
		.amdhsa_ieee_mode 1
		.amdhsa_fp16_overflow 0
		.amdhsa_tg_split 0
		.amdhsa_exception_fp_ieee_invalid_op 0
		.amdhsa_exception_fp_denorm_src 0
		.amdhsa_exception_fp_ieee_div_zero 0
		.amdhsa_exception_fp_ieee_overflow 0
		.amdhsa_exception_fp_ieee_underflow 0
		.amdhsa_exception_fp_ieee_inexact 0
		.amdhsa_exception_int_div_zero 0
	.end_amdhsa_kernel
	.section	.text._ZN5aiter35fused_qk_rmsnorm_group_quant_kernelIDF16_N4opus5fp4_tELi512ELi16ELi4ELb0ELb0ELb0ELb0ELb0ELb0EEEvPT0_PvPT_S7_S7_PKS6_S9_S9_S9_S9_ffiiiiiiiiiiiii,"axG",@progbits,_ZN5aiter35fused_qk_rmsnorm_group_quant_kernelIDF16_N4opus5fp4_tELi512ELi16ELi4ELb0ELb0ELb0ELb0ELb0ELb0EEEvPT0_PvPT_S7_S7_PKS6_S9_S9_S9_S9_ffiiiiiiiiiiiii,comdat
.Lfunc_end983:
	.size	_ZN5aiter35fused_qk_rmsnorm_group_quant_kernelIDF16_N4opus5fp4_tELi512ELi16ELi4ELb0ELb0ELb0ELb0ELb0ELb0EEEvPT0_PvPT_S7_S7_PKS6_S9_S9_S9_S9_ffiiiiiiiiiiiii, .Lfunc_end983-_ZN5aiter35fused_qk_rmsnorm_group_quant_kernelIDF16_N4opus5fp4_tELi512ELi16ELi4ELb0ELb0ELb0ELb0ELb0ELb0EEEvPT0_PvPT_S7_S7_PKS6_S9_S9_S9_S9_ffiiiiiiiiiiiii
                                        ; -- End function
	.section	.AMDGPU.csdata,"",@progbits
; Kernel info:
; codeLenInByte = 3144
; NumSgprs: 36
; NumVgprs: 35
; NumAgprs: 0
; TotalNumVgprs: 35
; ScratchSize: 0
; MemoryBound: 0
; FloatMode: 240
; IeeeMode: 1
; LDSByteSize: 64 bytes/workgroup (compile time only)
; SGPRBlocks: 4
; VGPRBlocks: 4
; NumSGPRsForWavesPerEU: 36
; NumVGPRsForWavesPerEU: 35
; AccumOffset: 36
; Occupancy: 8
; WaveLimiterHint : 0
; COMPUTE_PGM_RSRC2:SCRATCH_EN: 0
; COMPUTE_PGM_RSRC2:USER_SGPR: 6
; COMPUTE_PGM_RSRC2:TRAP_HANDLER: 0
; COMPUTE_PGM_RSRC2:TGID_X_EN: 1
; COMPUTE_PGM_RSRC2:TGID_Y_EN: 1
; COMPUTE_PGM_RSRC2:TGID_Z_EN: 0
; COMPUTE_PGM_RSRC2:TIDIG_COMP_CNT: 0
; COMPUTE_PGM_RSRC3_GFX90A:ACCUM_OFFSET: 8
; COMPUTE_PGM_RSRC3_GFX90A:TG_SPLIT: 0
	.section	.text._ZN5aiter35fused_qk_rmsnorm_group_quant_kernelItN4opus5fp4_tELi512ELi16ELi4ELb0ELb0ELb0ELb0ELb0ELb0EEEvPT0_PvPT_S7_S7_PKS6_S9_S9_S9_S9_ffiiiiiiiiiiiii,"axG",@progbits,_ZN5aiter35fused_qk_rmsnorm_group_quant_kernelItN4opus5fp4_tELi512ELi16ELi4ELb0ELb0ELb0ELb0ELb0ELb0EEEvPT0_PvPT_S7_S7_PKS6_S9_S9_S9_S9_ffiiiiiiiiiiiii,comdat
	.protected	_ZN5aiter35fused_qk_rmsnorm_group_quant_kernelItN4opus5fp4_tELi512ELi16ELi4ELb0ELb0ELb0ELb0ELb0ELb0EEEvPT0_PvPT_S7_S7_PKS6_S9_S9_S9_S9_ffiiiiiiiiiiiii ; -- Begin function _ZN5aiter35fused_qk_rmsnorm_group_quant_kernelItN4opus5fp4_tELi512ELi16ELi4ELb0ELb0ELb0ELb0ELb0ELb0EEEvPT0_PvPT_S7_S7_PKS6_S9_S9_S9_S9_ffiiiiiiiiiiiii
	.globl	_ZN5aiter35fused_qk_rmsnorm_group_quant_kernelItN4opus5fp4_tELi512ELi16ELi4ELb0ELb0ELb0ELb0ELb0ELb0EEEvPT0_PvPT_S7_S7_PKS6_S9_S9_S9_S9_ffiiiiiiiiiiiii
	.p2align	8
	.type	_ZN5aiter35fused_qk_rmsnorm_group_quant_kernelItN4opus5fp4_tELi512ELi16ELi4ELb0ELb0ELb0ELb0ELb0ELb0EEEvPT0_PvPT_S7_S7_PKS6_S9_S9_S9_S9_ffiiiiiiiiiiiii,@function
_ZN5aiter35fused_qk_rmsnorm_group_quant_kernelItN4opus5fp4_tELi512ELi16ELi4ELb0ELb0ELb0ELb0ELb0ELb0EEEvPT0_PvPT_S7_S7_PKS6_S9_S9_S9_S9_ffiiiiiiiiiiiii: ; @_ZN5aiter35fused_qk_rmsnorm_group_quant_kernelItN4opus5fp4_tELi512ELi16ELi4ELb0ELb0ELb0ELb0ELb0ELb0EEEvPT0_PvPT_S7_S7_PKS6_S9_S9_S9_S9_ffiiiiiiiiiiiii
; %bb.0:
	s_load_dwordx4 s[16:19], s[4:5], 0x50
	s_waitcnt lgkmcnt(0)
	s_cmp_ge_i32 s6, s18
	s_cbranch_scc1 .LBB984_12
; %bb.1:
	s_load_dwordx2 s[12:13], s[4:5], 0x48
	s_load_dwordx2 s[30:31], s[4:5], 0x30
	s_load_dwordx4 s[20:23], s[4:5], 0x60
	s_cmp_lg_u32 s7, 0
	s_cselect_b64 s[14:15], -1, 0
	s_cmp_eq_u32 s7, 0
	s_cselect_b64 vcc, -1, 0
	s_and_b64 s[0:1], vcc, exec
	s_waitcnt lgkmcnt(0)
	s_cselect_b32 s7, s19, s20
	s_add_i32 s0, s7, 1
	s_lshr_b32 s1, s0, 31
	s_add_i32 s0, s0, s1
	s_lshl_b32 s0, s0, 1
	v_lshlrev_b32_e32 v1, 4, v0
	s_and_b32 s10, s0, -4
	v_cmp_gt_i32_e64 s[2:3], s7, v1
	v_mov_b32_e32 v18, 0
	v_mov_b32_e32 v6, 0
	;; [unrolled: 1-line block ×17, first 2 shown]
	s_and_saveexec_b64 s[0:1], s[2:3]
	s_cbranch_execz .LBB984_3
; %bb.2:
	s_load_dwordx2 s[8:9], s[4:5], 0x28
	s_load_dwordx2 s[26:27], s[4:5], 0x40
	s_and_b64 s[24:25], vcc, exec
	s_cselect_b32 s11, s21, s22
	v_lshlrev_b32_e32 v19, 5, v0
	s_waitcnt lgkmcnt(0)
	s_cselect_b32 s18, s9, s31
	s_cselect_b32 s21, s8, s30
	s_mul_hi_i32 s9, s11, s6
	s_mul_i32 s8, s11, s6
	s_lshl_b64 s[8:9], s[8:9], 1
	s_add_u32 s24, s21, s8
	s_addc_u32 s18, s18, s9
	s_and_b64 s[8:9], vcc, exec
	s_mov_b32 s11, 0x20000
	s_cselect_b32 s8, s26, s12
	s_cselect_b32 s9, s27, s13
	s_and_b32 s25, s18, 0xffff
	s_mov_b32 s26, s10
	s_mov_b32 s27, s11
	s_and_b32 s9, s9, 0xffff
	buffer_load_dwordx4 v[14:17], v19, s[24:27], 0 offen
	buffer_load_dwordx4 v[10:13], v19, s[24:27], 16 offen
	buffer_load_dwordx4 v[6:9], v19, s[8:11], 0 offen
	buffer_load_dwordx4 v[2:5], v19, s[8:11], 16 offen
.LBB984_3:
	s_or_b64 exec, exec, s[0:1]
	v_mov_b32_e32 v19, 0
	v_mov_b32_e32 v24, 0
	;; [unrolled: 1-line block ×15, first 2 shown]
	s_and_saveexec_b64 s[0:1], s[2:3]
	s_cbranch_execz .LBB984_5
; %bb.4:
	s_waitcnt vmcnt(3)
	v_cvt_f32_u32_sdwa v18, v14 dst_sel:DWORD dst_unused:UNUSED_PAD src0_sel:WORD_0
	v_cvt_f32_u32_sdwa v19, v14 dst_sel:DWORD dst_unused:UNUSED_PAD src0_sel:WORD_1
	v_cvt_f32_u32_sdwa v24, v15 dst_sel:DWORD dst_unused:UNUSED_PAD src0_sel:WORD_0
	v_cvt_f32_u32_sdwa v25, v15 dst_sel:DWORD dst_unused:UNUSED_PAD src0_sel:WORD_1
	;; [unrolled: 2-line block ×4, first 2 shown]
	s_waitcnt vmcnt(2)
	v_cvt_f32_u32_sdwa v32, v10 dst_sel:DWORD dst_unused:UNUSED_PAD src0_sel:WORD_0
	v_cvt_f32_u32_sdwa v33, v10 dst_sel:DWORD dst_unused:UNUSED_PAD src0_sel:WORD_1
	v_cvt_f32_u32_sdwa v30, v11 dst_sel:DWORD dst_unused:UNUSED_PAD src0_sel:WORD_0
	v_cvt_f32_u32_sdwa v31, v11 dst_sel:DWORD dst_unused:UNUSED_PAD src0_sel:WORD_1
	;; [unrolled: 2-line block ×4, first 2 shown]
.LBB984_5:
	s_or_b64 exec, exec, s[0:1]
	s_waitcnt vmcnt(2)
	v_mul_f32_e32 v10, v19, v19
	v_fmac_f32_e32 v10, v18, v18
	v_fmac_f32_e32 v10, v24, v24
	;; [unrolled: 1-line block ×15, first 2 shown]
	v_and_b32_e32 v12, 63, v0
	v_cmp_eq_u32_e64 s[0:1], 63, v12
	v_mov_b32_dpp v11, v10 quad_perm:[1,0,3,2] row_mask:0xf bank_mask:0xf
	v_add_f32_e32 v10, v10, v11
	s_nop 1
	v_mov_b32_dpp v11, v10 quad_perm:[2,3,0,1] row_mask:0xf bank_mask:0xf
	v_add_f32_e32 v10, v10, v11
	s_nop 1
	v_mov_b32_dpp v11, v10 row_half_mirror row_mask:0xf bank_mask:0xf
	v_add_f32_e32 v10, v10, v11
	s_nop 1
	v_mov_b32_dpp v11, v10 row_mirror row_mask:0xf bank_mask:0xf
	v_add_f32_e32 v10, v10, v11
	s_nop 1
	v_mov_b32_dpp v11, v10 row_bcast:15 row_mask:0xf bank_mask:0xf
	v_add_f32_e32 v10, v10, v11
	s_nop 1
	v_mov_b32_dpp v11, v10 row_bcast:31 row_mask:0xf bank_mask:0xf
	s_and_saveexec_b64 s[8:9], s[0:1]
	s_cbranch_execz .LBB984_7
; %bb.6:
	v_add_f32_e32 v10, v10, v11
	v_lshrrev_b32_e32 v11, 4, v0
	v_and_b32_e32 v11, 60, v11
	ds_write_b32 v11, v10 offset:32
.LBB984_7:
	s_or_b64 exec, exec, s[8:9]
	v_and_b32_e32 v10, 7, v0
	v_lshlrev_b32_e32 v34, 2, v10
	s_waitcnt lgkmcnt(0)
	s_barrier
	ds_read_b32 v10, v34 offset:32
	s_load_dwordx2 s[28:29], s[4:5], 0x18
	s_waitcnt lgkmcnt(0)
	v_mov_b32_dpp v11, v10 quad_perm:[1,0,3,2] row_mask:0xf bank_mask:0xf
	v_add_f32_e32 v10, v10, v11
	s_nop 1
	v_mov_b32_dpp v11, v10 quad_perm:[2,3,0,1] row_mask:0xf bank_mask:0xf
	v_add_f32_e32 v10, v10, v11
	s_nop 1
	v_mov_b32_dpp v11, v10 row_half_mirror row_mask:0xf bank_mask:0xf
	s_and_saveexec_b64 s[8:9], s[2:3]
	s_cbranch_execz .LBB984_9
; %bb.8:
	v_cvt_f32_u32_e32 v12, s7
	v_add_f32_e32 v10, v10, v11
	v_mov_b32_e32 v14, s17
	v_mov_b32_e32 v15, s16
	v_div_scale_f32 v11, s[24:25], v12, v12, v10
	v_rcp_f32_e32 v13, v11
	v_cndmask_b32_e32 v14, v14, v15, vcc
	s_mov_b32 s7, 0x800000
	v_fma_f32 v15, -v11, v13, 1.0
	v_fmac_f32_e32 v13, v15, v13
	v_div_scale_f32 v15, vcc, v10, v12, v10
	v_mul_f32_e32 v16, v15, v13
	v_fma_f32 v17, -v11, v16, v15
	v_fmac_f32_e32 v16, v17, v13
	v_fma_f32 v11, -v11, v16, v15
	v_div_fmas_f32 v11, v11, v13, v16
	v_div_fixup_f32 v10, v11, v12, v10
	v_add_f32_e32 v10, v14, v10
	v_mul_f32_e32 v11, 0x4b800000, v10
	v_cmp_gt_f32_e32 vcc, s7, v10
	v_cndmask_b32_e32 v10, v10, v11, vcc
	v_rsq_f32_e32 v10, v10
	v_mul_f32_e32 v11, 0x45800000, v10
	v_cndmask_b32_e32 v10, v10, v11, vcc
	v_mov_b32_e32 v11, v10
	;;#ASMSTART
	v_pk_mul_f32 v[12:13], v[18:19], v[10:11]
	;;#ASMEND
	;;#ASMSTART
	v_pk_mul_f32 v[14:15], v[24:25], v[10:11]
	;;#ASMEND
	;; [unrolled: 3-line block ×8, first 2 shown]
	s_waitcnt vmcnt(1)
	v_cvt_f32_u32_sdwa v19, v6 dst_sel:DWORD dst_unused:UNUSED_PAD src0_sel:WORD_1
	v_cvt_f32_u32_sdwa v18, v6 dst_sel:DWORD dst_unused:UNUSED_PAD src0_sel:WORD_0
	v_cvt_f32_u32_sdwa v21, v7 dst_sel:DWORD dst_unused:UNUSED_PAD src0_sel:WORD_1
	v_cvt_f32_u32_sdwa v20, v7 dst_sel:DWORD dst_unused:UNUSED_PAD src0_sel:WORD_0
	;; [unrolled: 2-line block ×4, first 2 shown]
	;;#ASMSTART
	v_pk_mul_f32 v[18:19], v[12:13], v[18:19]
	;;#ASMEND
	;;#ASMSTART
	v_pk_mul_f32 v[24:25], v[14:15], v[20:21]
	;;#ASMEND
	;; [unrolled: 3-line block ×4, first 2 shown]
	s_waitcnt vmcnt(0)
	v_cvt_f32_u32_sdwa v7, v2 dst_sel:DWORD dst_unused:UNUSED_PAD src0_sel:WORD_1
	v_cvt_f32_u32_sdwa v6, v2 dst_sel:DWORD dst_unused:UNUSED_PAD src0_sel:WORD_0
	v_cvt_f32_u32_sdwa v9, v3 dst_sel:DWORD dst_unused:UNUSED_PAD src0_sel:WORD_1
	v_cvt_f32_u32_sdwa v8, v3 dst_sel:DWORD dst_unused:UNUSED_PAD src0_sel:WORD_0
	;; [unrolled: 2-line block ×4, first 2 shown]
	;;#ASMSTART
	v_pk_mul_f32 v[32:33], v[32:33], v[6:7]
	;;#ASMEND
	;;#ASMSTART
	v_pk_mul_f32 v[30:31], v[30:31], v[8:9]
	;;#ASMEND
	;; [unrolled: 3-line block ×4, first 2 shown]
.LBB984_9:
	s_or_b64 exec, exec, s[8:9]
	s_load_dword s7, s[4:5], 0x80
	s_mov_b64 s[8:9], -1
	s_and_b64 vcc, exec, s[14:15]
	s_cbranch_vccnz .LBB984_13
; %bb.10:
	s_andn2_b64 vcc, exec, s[8:9]
	s_cbranch_vccz .LBB984_16
.LBB984_11:
	s_cmp_lt_i32 s20, 1
	s_cbranch_scc0 .LBB984_23
.LBB984_12:
	s_endpgm
.LBB984_13:
	s_and_saveexec_b64 s[14:15], s[2:3]
	s_cbranch_execz .LBB984_15
; %bb.14:
	s_waitcnt lgkmcnt(0)
	s_mul_hi_i32 s9, s7, s6
	s_mul_i32 s8, s7, s6
	s_lshl_b64 s[8:9], s[8:9], 1
	s_add_u32 s8, s28, s8
	s_addc_u32 s9, s29, s9
	s_mov_b32 s16, 0x7060302
	s_and_b32 s9, s9, 0xffff
	s_mov_b32 s11, 0x20000
	s_waitcnt vmcnt(0)
	v_perm_b32 v5, v23, v22, s16
	v_perm_b32 v4, v21, v20, s16
	;; [unrolled: 1-line block ×4, first 2 shown]
	v_lshlrev_b32_e32 v6, 5, v0
	buffer_store_dwordx4 v[2:5], v6, s[8:11], 0 offen
	;;#ASMSTART
	s_nop 0
	;;#ASMEND
	s_nop 0
	v_perm_b32 v5, v29, v28, s16
	v_perm_b32 v4, v27, v26, s16
	;; [unrolled: 1-line block ×4, first 2 shown]
	buffer_store_dwordx4 v[2:5], v6, s[8:11], 16 offen
	;;#ASMSTART
	s_nop 0
	;;#ASMEND
.LBB984_15:
	s_or_b64 exec, exec, s[14:15]
	s_cbranch_execnz .LBB984_11
.LBB984_16:
	s_waitcnt vmcnt(0)
	v_mov_b32_e32 v2, 0
	s_and_saveexec_b64 s[8:9], s[2:3]
	s_cbranch_execz .LBB984_18
; %bb.17:
	v_and_b32_e32 v2, 0x7fffffff, v18
	v_and_b32_e32 v3, 0x7fffffff, v19
	v_mov_b32_e32 v4, 0x2edbe6ff
	;;#ASMSTART
	v_max3_f32 v2, v4, v2, v3

	;;#ASMEND
	v_and_b32_e32 v3, 0x7fffffff, v24
	v_and_b32_e32 v4, 0x7fffffff, v25
	;;#ASMSTART
	v_max3_f32 v2, v2, v3, v4

	;;#ASMEND
	v_and_b32_e32 v3, 0x7fffffff, v20
	v_and_b32_e32 v4, 0x7fffffff, v21
	;; [unrolled: 6-line block ×7, first 2 shown]
	;;#ASMSTART
	v_max3_f32 v2, v2, v3, v4

	;;#ASMEND
.LBB984_18:
	s_or_b64 exec, exec, s[8:9]
	s_load_dwordx4 s[24:27], s[4:5], 0x70
	;;#ASMSTART
	v_max_f32 v3, v2, v2 quad_perm:[1,0,3,2] row_mask:0xf bank_mask:0xf bound_ctrl:1
	;;#ASMEND
	;;#ASMSTART
	v_max_f32 v2, v3, v3 quad_perm:[2,3,0,1] row_mask:0xf bank_mask:0xf bound_ctrl:1
	;;#ASMEND
	v_and_b32_e32 v3, 3, v0
	v_cmp_eq_u32_e32 vcc, 0, v3
	v_cmp_gt_i32_e64 s[8:9], s19, v1
	s_and_b64 s[10:11], vcc, s[8:9]
	s_and_saveexec_b64 s[8:9], s[10:11]
	s_cbranch_execz .LBB984_20
; %bb.19:
	s_load_dwordx2 s[10:11], s[4:5], 0x8
	v_mul_f32_e32 v2, 0x3e2aaaab, v2
	v_lshrrev_b32_e32 v3, 23, v2
	v_and_b32_e32 v4, 0x7f800000, v2
	v_and_b32_e32 v2, 0x7fffff, v2
	v_cmp_ne_u32_e32 vcc, 0, v2
	s_waitcnt lgkmcnt(0)
	s_mul_i32 s16, s25, s6
	s_mov_b32 s14, 0x7f800000
	v_addc_co_u32_e32 v2, vcc, 0, v3, vcc
	s_mul_hi_i32 s15, s25, s6
	s_add_u32 s10, s10, s16
	v_cmp_ne_u32_e32 vcc, s14, v4
	s_addc_u32 s11, s11, s15
	v_lshrrev_b32_e32 v5, 2, v0
	v_cndmask_b32_e32 v4, -1, v2, vcc
	v_pk_mov_b32 v[2:3], s[10:11], s[10:11] op_sel:[0,1]
	v_mad_i64_i32 v[2:3], s[10:11], s26, v5, v[2:3]
	global_store_byte v[2:3], v4, off
.LBB984_20:
	s_or_b64 exec, exec, s[8:9]
	s_and_saveexec_b64 s[8:9], s[2:3]
	s_cbranch_execz .LBB984_22
; %bb.21:
	s_load_dwordx2 s[2:3], s[4:5], 0x0
	s_waitcnt lgkmcnt(0)
	s_mul_i32 s11, s24, s6
	s_mul_hi_i32 s10, s24, s6
	v_mov_b32_e32 v2, 0
	v_lshlrev_b32_e32 v4, 3, v0
	s_add_u32 s24, s2, s11
	s_addc_u32 s2, s3, s10
	s_lshr_b32 s3, s19, 31
	s_add_i32 s3, s19, s3
	s_ashr_i32 s3, s3, 1
	s_add_i32 s3, s3, 3
	s_ashr_i32 s10, s3, 31
	s_lshr_b32 s10, s10, 30
	s_add_i32 s3, s3, s10
	s_and_b32 s26, s3, -4
	s_and_b32 s25, s2, 0xffff
	s_mov_b32 s27, 0x20000
	v_mov_b32_e32 v3, v2
	buffer_store_dwordx2 v[2:3], v4, s[24:27], 0 offen
	;;#ASMSTART
	s_nop 0
	;;#ASMEND
.LBB984_22:
	s_or_b64 exec, exec, s[8:9]
	s_cmp_lt_i32 s20, 1
	s_cbranch_scc1 .LBB984_12
.LBB984_23:
	s_load_dword s2, s[4:5], 0x94
	s_waitcnt lgkmcnt(0)
	s_cmp_lg_u32 s2, 1
	s_cbranch_scc1 .LBB984_12
; %bb.24:
	s_lshl_b32 s2, s20, 1
	s_add_i32 s2, s2, 2
	v_cmp_gt_u32_e32 vcc, s20, v1
	s_and_b32 s14, s2, -4
	v_mov_b32_e32 v18, 0
	v_lshlrev_b32_e32 v1, 5, v0
	v_mov_b32_e32 v14, 0
	v_mov_b32_e32 v15, 0
	;; [unrolled: 1-line block ×8, first 2 shown]
	s_waitcnt vmcnt(1)
	v_mov_b32_e32 v6, 0
	v_mov_b32_e32 v7, 0
	;; [unrolled: 1-line block ×4, first 2 shown]
	s_waitcnt vmcnt(0)
	v_mov_b32_e32 v2, 0
	v_mov_b32_e32 v3, 0
	;; [unrolled: 1-line block ×4, first 2 shown]
	s_barrier
	s_and_saveexec_b64 s[2:3], vcc
	s_cbranch_execz .LBB984_26
; %bb.25:
	s_mul_hi_i32 s5, s22, s6
	s_mul_i32 s4, s22, s6
	s_and_b32 s13, s13, 0xffff
	s_lshl_b64 s[4:5], s[4:5], 1
	s_add_u32 s8, s30, s4
	s_mov_b32 s15, 0x20000
	s_addc_u32 s4, s31, s5
	s_and_b32 s9, s4, 0xffff
	s_mov_b32 s10, s14
	s_mov_b32 s11, s15
	buffer_load_dwordx4 v[14:17], v1, s[8:11], 0 offen
	buffer_load_dwordx4 v[10:13], v1, s[8:11], 16 offen
	;; [unrolled: 1-line block ×4, first 2 shown]
.LBB984_26:
	s_or_b64 exec, exec, s[2:3]
	v_mov_b32_e32 v19, 0
	v_mov_b32_e32 v32, 0
	v_mov_b32_e32 v33, 0
	v_mov_b32_e32 v30, 0
	v_mov_b32_e32 v31, 0
	v_mov_b32_e32 v28, 0
	v_mov_b32_e32 v29, 0
	v_mov_b32_e32 v26, 0
	v_mov_b32_e32 v27, 0
	v_mov_b32_e32 v24, 0
	v_mov_b32_e32 v25, 0
	v_mov_b32_e32 v22, 0
	v_mov_b32_e32 v23, 0
	v_mov_b32_e32 v20, 0
	v_mov_b32_e32 v21, 0
	s_and_saveexec_b64 s[2:3], vcc
	s_cbranch_execz .LBB984_28
; %bb.27:
	s_waitcnt vmcnt(3)
	v_cvt_f32_u32_sdwa v18, v14 dst_sel:DWORD dst_unused:UNUSED_PAD src0_sel:WORD_0
	v_cvt_f32_u32_sdwa v19, v14 dst_sel:DWORD dst_unused:UNUSED_PAD src0_sel:WORD_1
	v_cvt_f32_u32_sdwa v32, v15 dst_sel:DWORD dst_unused:UNUSED_PAD src0_sel:WORD_0
	v_cvt_f32_u32_sdwa v33, v15 dst_sel:DWORD dst_unused:UNUSED_PAD src0_sel:WORD_1
	;; [unrolled: 2-line block ×4, first 2 shown]
	s_waitcnt vmcnt(2)
	v_cvt_f32_u32_sdwa v26, v10 dst_sel:DWORD dst_unused:UNUSED_PAD src0_sel:WORD_0
	v_cvt_f32_u32_sdwa v27, v10 dst_sel:DWORD dst_unused:UNUSED_PAD src0_sel:WORD_1
	v_cvt_f32_u32_sdwa v24, v11 dst_sel:DWORD dst_unused:UNUSED_PAD src0_sel:WORD_0
	v_cvt_f32_u32_sdwa v25, v11 dst_sel:DWORD dst_unused:UNUSED_PAD src0_sel:WORD_1
	;; [unrolled: 2-line block ×4, first 2 shown]
.LBB984_28:
	s_or_b64 exec, exec, s[2:3]
	s_waitcnt vmcnt(2)
	v_mul_f32_e32 v10, v19, v19
	v_fmac_f32_e32 v10, v18, v18
	v_fmac_f32_e32 v10, v32, v32
	;; [unrolled: 1-line block ×15, first 2 shown]
	s_nop 1
	v_mov_b32_dpp v11, v10 quad_perm:[1,0,3,2] row_mask:0xf bank_mask:0xf
	v_add_f32_e32 v10, v10, v11
	s_nop 1
	v_mov_b32_dpp v11, v10 quad_perm:[2,3,0,1] row_mask:0xf bank_mask:0xf
	v_add_f32_e32 v10, v10, v11
	s_nop 1
	v_mov_b32_dpp v11, v10 row_half_mirror row_mask:0xf bank_mask:0xf
	v_add_f32_e32 v10, v10, v11
	s_nop 1
	v_mov_b32_dpp v11, v10 row_mirror row_mask:0xf bank_mask:0xf
	v_add_f32_e32 v10, v10, v11
	s_nop 1
	v_mov_b32_dpp v11, v10 row_bcast:15 row_mask:0xf bank_mask:0xf
	v_add_f32_e32 v10, v10, v11
	s_nop 1
	v_mov_b32_dpp v11, v10 row_bcast:31 row_mask:0xf bank_mask:0xf
	s_and_saveexec_b64 s[2:3], s[0:1]
	s_cbranch_execz .LBB984_30
; %bb.29:
	v_lshrrev_b32_e32 v0, 4, v0
	v_add_f32_e32 v10, v10, v11
	v_and_b32_e32 v0, 60, v0
	ds_write_b32 v0, v10
.LBB984_30:
	s_or_b64 exec, exec, s[2:3]
	s_waitcnt lgkmcnt(0)
	s_barrier
	ds_read_b32 v0, v34
	s_waitcnt lgkmcnt(0)
	s_nop 0
	v_mov_b32_dpp v10, v0 quad_perm:[1,0,3,2] row_mask:0xf bank_mask:0xf
	v_add_f32_e32 v0, v0, v10
	s_nop 1
	v_mov_b32_dpp v10, v0 quad_perm:[2,3,0,1] row_mask:0xf bank_mask:0xf
	v_add_f32_e32 v0, v0, v10
	s_nop 1
	v_mov_b32_dpp v10, v0 row_half_mirror row_mask:0xf bank_mask:0xf
	s_and_saveexec_b64 s[0:1], vcc
	s_cbranch_execz .LBB984_12
; %bb.31:
	v_cvt_f32_u32_e32 v11, s20
	v_add_f32_e32 v0, v0, v10
	s_mov_b32 s15, 0x20000
	v_div_scale_f32 v10, s[0:1], v11, v11, v0
	v_rcp_f32_e32 v12, v10
	v_div_scale_f32 v13, vcc, v0, v11, v0
	s_mov_b32 s0, 0x800000
	v_fma_f32 v14, -v10, v12, 1.0
	v_fmac_f32_e32 v12, v14, v12
	v_mul_f32_e32 v14, v13, v12
	v_fma_f32 v15, -v10, v14, v13
	v_fmac_f32_e32 v14, v15, v12
	v_fma_f32 v10, -v10, v14, v13
	v_div_fmas_f32 v10, v10, v12, v14
	v_div_fixup_f32 v0, v10, v11, v0
	v_add_f32_e32 v0, s17, v0
	v_mul_f32_e32 v10, 0x4b800000, v0
	v_cmp_gt_f32_e32 vcc, s0, v0
	v_cndmask_b32_e32 v0, v0, v10, vcc
	v_rsq_f32_e32 v0, v0
	s_mul_hi_i32 s1, s7, s6
	s_mul_i32 s0, s7, s6
	s_lshl_b64 s[0:1], s[0:1], 1
	v_mul_f32_e32 v10, 0x45800000, v0
	v_cndmask_b32_e32 v10, v0, v10, vcc
	v_mov_b32_e32 v11, v10
	s_add_u32 s12, s28, s0
	;;#ASMSTART
	v_pk_mul_f32 v[12:13], v[18:19], v[10:11]
	;;#ASMEND
	;;#ASMSTART
	v_pk_mul_f32 v[14:15], v[32:33], v[10:11]
	;;#ASMEND
	;; [unrolled: 3-line block ×8, first 2 shown]
	s_waitcnt vmcnt(1)
	v_cvt_f32_u32_sdwa v21, v6 dst_sel:DWORD dst_unused:UNUSED_PAD src0_sel:WORD_1
	v_cvt_f32_u32_sdwa v20, v6 dst_sel:DWORD dst_unused:UNUSED_PAD src0_sel:WORD_0
	v_cvt_f32_u32_sdwa v29, v7 dst_sel:DWORD dst_unused:UNUSED_PAD src0_sel:WORD_1
	v_cvt_f32_u32_sdwa v28, v7 dst_sel:DWORD dst_unused:UNUSED_PAD src0_sel:WORD_0
	;; [unrolled: 2-line block ×3, first 2 shown]
	s_addc_u32 s0, s29, s1
	v_cvt_f32_u32_sdwa v31, v9 dst_sel:DWORD dst_unused:UNUSED_PAD src0_sel:WORD_1
	v_cvt_f32_u32_sdwa v30, v9 dst_sel:DWORD dst_unused:UNUSED_PAD src0_sel:WORD_0
	;;#ASMSTART
	v_pk_mul_f32 v[8:9], v[12:13], v[20:21]
	;;#ASMEND
	;;#ASMSTART
	v_pk_mul_f32 v[12:13], v[14:15], v[28:29]
	;;#ASMEND
	;; [unrolled: 3-line block ×4, first 2 shown]
	s_waitcnt vmcnt(0)
	v_cvt_f32_u32_sdwa v17, v2 dst_sel:DWORD dst_unused:UNUSED_PAD src0_sel:WORD_1
	v_cvt_f32_u32_sdwa v16, v2 dst_sel:DWORD dst_unused:UNUSED_PAD src0_sel:WORD_0
	v_cvt_f32_u32_sdwa v19, v3 dst_sel:DWORD dst_unused:UNUSED_PAD src0_sel:WORD_1
	v_cvt_f32_u32_sdwa v18, v3 dst_sel:DWORD dst_unused:UNUSED_PAD src0_sel:WORD_0
	;; [unrolled: 2-line block ×3, first 2 shown]
	s_and_b32 s13, s0, 0xffff
	s_mov_b32 s0, 0x7060302
	v_cvt_f32_u32_sdwa v21, v5 dst_sel:DWORD dst_unused:UNUSED_PAD src0_sel:WORD_1
	v_cvt_f32_u32_sdwa v20, v5 dst_sel:DWORD dst_unused:UNUSED_PAD src0_sel:WORD_0
	;;#ASMSTART
	v_pk_mul_f32 v[16:17], v[26:27], v[16:17]
	;;#ASMEND
	;;#ASMSTART
	v_pk_mul_f32 v[18:19], v[24:25], v[18:19]
	;;#ASMEND
	;;#ASMSTART
	v_pk_mul_f32 v[22:23], v[22:23], v[2:3]
	;;#ASMEND
	v_perm_b32 v2, v9, v8, s0
	v_perm_b32 v3, v13, v12, s0
	;; [unrolled: 1-line block ×4, first 2 shown]
	;;#ASMSTART
	v_pk_mul_f32 v[10:11], v[10:11], v[20:21]
	;;#ASMEND
	buffer_store_dwordx4 v[2:5], v1, s[12:15], 0 offen
	;;#ASMSTART
	s_nop 0
	;;#ASMEND
	s_nop 0
	v_perm_b32 v2, v17, v16, s0
	v_perm_b32 v3, v19, v18, s0
	;; [unrolled: 1-line block ×4, first 2 shown]
	buffer_store_dwordx4 v[2:5], v1, s[12:15], 16 offen
	;;#ASMSTART
	s_nop 0
	;;#ASMEND
	s_endpgm
	.section	.rodata,"a",@progbits
	.p2align	6, 0x0
	.amdhsa_kernel _ZN5aiter35fused_qk_rmsnorm_group_quant_kernelItN4opus5fp4_tELi512ELi16ELi4ELb0ELb0ELb0ELb0ELb0ELb0EEEvPT0_PvPT_S7_S7_PKS6_S9_S9_S9_S9_ffiiiiiiiiiiiii
		.amdhsa_group_segment_fixed_size 64
		.amdhsa_private_segment_fixed_size 0
		.amdhsa_kernarg_size 400
		.amdhsa_user_sgpr_count 6
		.amdhsa_user_sgpr_private_segment_buffer 1
		.amdhsa_user_sgpr_dispatch_ptr 0
		.amdhsa_user_sgpr_queue_ptr 0
		.amdhsa_user_sgpr_kernarg_segment_ptr 1
		.amdhsa_user_sgpr_dispatch_id 0
		.amdhsa_user_sgpr_flat_scratch_init 0
		.amdhsa_user_sgpr_kernarg_preload_length 0
		.amdhsa_user_sgpr_kernarg_preload_offset 0
		.amdhsa_user_sgpr_private_segment_size 0
		.amdhsa_uses_dynamic_stack 0
		.amdhsa_system_sgpr_private_segment_wavefront_offset 0
		.amdhsa_system_sgpr_workgroup_id_x 1
		.amdhsa_system_sgpr_workgroup_id_y 1
		.amdhsa_system_sgpr_workgroup_id_z 0
		.amdhsa_system_sgpr_workgroup_info 0
		.amdhsa_system_vgpr_workitem_id 0
		.amdhsa_next_free_vgpr 35
		.amdhsa_next_free_sgpr 32
		.amdhsa_accum_offset 36
		.amdhsa_reserve_vcc 1
		.amdhsa_reserve_flat_scratch 0
		.amdhsa_float_round_mode_32 0
		.amdhsa_float_round_mode_16_64 0
		.amdhsa_float_denorm_mode_32 3
		.amdhsa_float_denorm_mode_16_64 3
		.amdhsa_dx10_clamp 1
		.amdhsa_ieee_mode 1
		.amdhsa_fp16_overflow 0
		.amdhsa_tg_split 0
		.amdhsa_exception_fp_ieee_invalid_op 0
		.amdhsa_exception_fp_denorm_src 0
		.amdhsa_exception_fp_ieee_div_zero 0
		.amdhsa_exception_fp_ieee_overflow 0
		.amdhsa_exception_fp_ieee_underflow 0
		.amdhsa_exception_fp_ieee_inexact 0
		.amdhsa_exception_int_div_zero 0
	.end_amdhsa_kernel
	.section	.text._ZN5aiter35fused_qk_rmsnorm_group_quant_kernelItN4opus5fp4_tELi512ELi16ELi4ELb0ELb0ELb0ELb0ELb0ELb0EEEvPT0_PvPT_S7_S7_PKS6_S9_S9_S9_S9_ffiiiiiiiiiiiii,"axG",@progbits,_ZN5aiter35fused_qk_rmsnorm_group_quant_kernelItN4opus5fp4_tELi512ELi16ELi4ELb0ELb0ELb0ELb0ELb0ELb0EEEvPT0_PvPT_S7_S7_PKS6_S9_S9_S9_S9_ffiiiiiiiiiiiii,comdat
.Lfunc_end984:
	.size	_ZN5aiter35fused_qk_rmsnorm_group_quant_kernelItN4opus5fp4_tELi512ELi16ELi4ELb0ELb0ELb0ELb0ELb0ELb0EEEvPT0_PvPT_S7_S7_PKS6_S9_S9_S9_S9_ffiiiiiiiiiiiii, .Lfunc_end984-_ZN5aiter35fused_qk_rmsnorm_group_quant_kernelItN4opus5fp4_tELi512ELi16ELi4ELb0ELb0ELb0ELb0ELb0ELb0EEEvPT0_PvPT_S7_S7_PKS6_S9_S9_S9_S9_ffiiiiiiiiiiiii
                                        ; -- End function
	.section	.AMDGPU.csdata,"",@progbits
; Kernel info:
; codeLenInByte = 3168
; NumSgprs: 36
; NumVgprs: 35
; NumAgprs: 0
; TotalNumVgprs: 35
; ScratchSize: 0
; MemoryBound: 0
; FloatMode: 240
; IeeeMode: 1
; LDSByteSize: 64 bytes/workgroup (compile time only)
; SGPRBlocks: 4
; VGPRBlocks: 4
; NumSGPRsForWavesPerEU: 36
; NumVGPRsForWavesPerEU: 35
; AccumOffset: 36
; Occupancy: 8
; WaveLimiterHint : 0
; COMPUTE_PGM_RSRC2:SCRATCH_EN: 0
; COMPUTE_PGM_RSRC2:USER_SGPR: 6
; COMPUTE_PGM_RSRC2:TRAP_HANDLER: 0
; COMPUTE_PGM_RSRC2:TGID_X_EN: 1
; COMPUTE_PGM_RSRC2:TGID_Y_EN: 1
; COMPUTE_PGM_RSRC2:TGID_Z_EN: 0
; COMPUTE_PGM_RSRC2:TIDIG_COMP_CNT: 0
; COMPUTE_PGM_RSRC3_GFX90A:ACCUM_OFFSET: 8
; COMPUTE_PGM_RSRC3_GFX90A:TG_SPLIT: 0
	.section	.text._ZN5aiter35fused_qk_rmsnorm_group_quant_kernelIDF16_DB8_Li512ELi16ELi2ELb1ELb1ELb1ELb1ELb0ELb0EEEvPT0_PvPT_S6_S6_PKS5_S8_S8_S8_S8_ffiiiiiiiiiiiii,"axG",@progbits,_ZN5aiter35fused_qk_rmsnorm_group_quant_kernelIDF16_DB8_Li512ELi16ELi2ELb1ELb1ELb1ELb1ELb0ELb0EEEvPT0_PvPT_S6_S6_PKS5_S8_S8_S8_S8_ffiiiiiiiiiiiii,comdat
	.protected	_ZN5aiter35fused_qk_rmsnorm_group_quant_kernelIDF16_DB8_Li512ELi16ELi2ELb1ELb1ELb1ELb1ELb0ELb0EEEvPT0_PvPT_S6_S6_PKS5_S8_S8_S8_S8_ffiiiiiiiiiiiii ; -- Begin function _ZN5aiter35fused_qk_rmsnorm_group_quant_kernelIDF16_DB8_Li512ELi16ELi2ELb1ELb1ELb1ELb1ELb0ELb0EEEvPT0_PvPT_S6_S6_PKS5_S8_S8_S8_S8_ffiiiiiiiiiiiii
	.globl	_ZN5aiter35fused_qk_rmsnorm_group_quant_kernelIDF16_DB8_Li512ELi16ELi2ELb1ELb1ELb1ELb1ELb0ELb0EEEvPT0_PvPT_S6_S6_PKS5_S8_S8_S8_S8_ffiiiiiiiiiiiii
	.p2align	8
	.type	_ZN5aiter35fused_qk_rmsnorm_group_quant_kernelIDF16_DB8_Li512ELi16ELi2ELb1ELb1ELb1ELb1ELb0ELb0EEEvPT0_PvPT_S6_S6_PKS5_S8_S8_S8_S8_ffiiiiiiiiiiiii,@function
_ZN5aiter35fused_qk_rmsnorm_group_quant_kernelIDF16_DB8_Li512ELi16ELi2ELb1ELb1ELb1ELb1ELb0ELb0EEEvPT0_PvPT_S6_S6_PKS5_S8_S8_S8_S8_ffiiiiiiiiiiiii: ; @_ZN5aiter35fused_qk_rmsnorm_group_quant_kernelIDF16_DB8_Li512ELi16ELi2ELb1ELb1ELb1ELb1ELb0ELb0EEEvPT0_PvPT_S6_S6_PKS5_S8_S8_S8_S8_ffiiiiiiiiiiiii
; %bb.0:
	s_load_dwordx8 s[12:19], s[4:5], 0x50
	s_waitcnt lgkmcnt(0)
	s_cmp_ge_i32 s6, s14
	s_cbranch_scc1 .LBB985_17
; %bb.1:
	s_cmp_lg_u32 s7, 0
	s_cselect_b64 s[22:23], -1, 0
	s_cmp_eq_u32 s7, 0
	s_cselect_b64 s[2:3], -1, 0
	s_and_b64 s[0:1], s[2:3], exec
	s_cselect_b32 s7, s15, s16
	s_load_dwordx2 s[10:11], s[4:5], 0x30
	s_load_dwordx2 s[20:21], s[4:5], 0x48
	s_add_i32 s0, s7, 1
	s_lshr_b32 s1, s0, 31
	s_add_i32 s0, s0, s1
	s_lshl_b32 s0, s0, 1
	v_lshlrev_b32_e32 v1, 4, v0
	s_and_b32 s30, s0, -4
	v_cmp_gt_i32_e64 s[0:1], s7, v1
	v_mov_b32_e32 v6, 0
	v_mov_b32_e32 v7, 0
	v_mov_b32_e32 v8, 0
	v_mov_b32_e32 v9, 0
	v_mov_b32_e32 v2, 0
	v_mov_b32_e32 v3, 0
	v_mov_b32_e32 v4, 0
	v_mov_b32_e32 v5, 0
	v_mov_b32_e32 v10, 0
	v_mov_b32_e32 v11, 0
	v_mov_b32_e32 v12, 0
	v_mov_b32_e32 v13, 0
	v_mov_b32_e32 v14, 0
	v_mov_b32_e32 v15, 0
	v_mov_b32_e32 v16, 0
	v_mov_b32_e32 v17, 0
	s_and_saveexec_b64 s[8:9], s[0:1]
	s_cbranch_execz .LBB985_3
; %bb.2:
	s_load_dwordx2 s[14:15], s[4:5], 0x28
	s_load_dwordx2 s[26:27], s[4:5], 0x40
	s_and_b64 s[24:25], s[2:3], exec
	s_cselect_b32 s17, s17, s18
	s_mov_b32 s31, 0x20000
	s_waitcnt lgkmcnt(0)
	s_cselect_b32 s25, s15, s11
	s_cselect_b32 s24, s14, s10
	s_mul_hi_i32 s15, s17, s6
	s_mul_i32 s14, s17, s6
	s_lshl_b64 s[14:15], s[14:15], 1
	s_add_u32 s24, s24, s14
	s_addc_u32 s17, s25, s15
	s_and_b64 s[14:15], s[2:3], exec
	s_cselect_b32 s28, s26, s20
	s_cselect_b32 s14, s27, s21
	s_and_b32 s25, s17, 0xffff
	s_mov_b32 s26, s30
	s_mov_b32 s27, s31
	v_lshlrev_b32_e32 v18, 5, v0
	s_and_b32 s29, s14, 0xffff
	buffer_load_dwordx4 v[10:13], v18, s[24:27], 0 offen
	buffer_load_dwordx4 v[14:17], v18, s[24:27], 16 offen
	buffer_load_dwordx4 v[6:9], v18, s[28:31], 0 offen
	buffer_load_dwordx4 v[2:5], v18, s[28:31], 16 offen
.LBB985_3:
	s_or_b64 exec, exec, s[8:9]
	s_load_dwordx4 s[24:27], s[4:5], 0x7c
	s_and_b64 vcc, exec, s[22:23]
	s_cbranch_vccz .LBB985_7
; %bb.4:
	v_mov_b32_e32 v19, 0
	v_mov_b32_e32 v18, 0
	;; [unrolled: 1-line block ×16, first 2 shown]
	s_and_saveexec_b64 s[8:9], s[0:1]
	s_cbranch_execz .LBB985_6
; %bb.5:
	s_waitcnt vmcnt(3)
	v_cvt_f32_f16_sdwa v27, v10 dst_sel:DWORD dst_unused:UNUSED_PAD src0_sel:WORD_1
	v_cvt_f32_f16_e32 v26, v10
	v_cvt_f32_f16_sdwa v31, v11 dst_sel:DWORD dst_unused:UNUSED_PAD src0_sel:WORD_1
	v_cvt_f32_f16_e32 v30, v11
	;; [unrolled: 2-line block ×4, first 2 shown]
	s_waitcnt vmcnt(2)
	v_cvt_f32_f16_sdwa v21, v14 dst_sel:DWORD dst_unused:UNUSED_PAD src0_sel:WORD_1
	v_cvt_f32_f16_e32 v20, v14
	v_cvt_f32_f16_sdwa v25, v15 dst_sel:DWORD dst_unused:UNUSED_PAD src0_sel:WORD_1
	v_cvt_f32_f16_e32 v24, v15
	;; [unrolled: 2-line block ×4, first 2 shown]
.LBB985_6:
	s_or_b64 exec, exec, s[8:9]
	s_cbranch_execz .LBB985_8
	s_branch .LBB985_11
.LBB985_7:
                                        ; implicit-def: $vgpr19
                                        ; implicit-def: $vgpr23
                                        ; implicit-def: $vgpr25
                                        ; implicit-def: $vgpr21
                                        ; implicit-def: $vgpr33
                                        ; implicit-def: $vgpr29
                                        ; implicit-def: $vgpr31
                                        ; implicit-def: $vgpr27
.LBB985_8:
	v_mov_b32_e32 v19, 0
	v_mov_b32_e32 v18, 0
	;; [unrolled: 1-line block ×16, first 2 shown]
	s_and_saveexec_b64 s[8:9], s[0:1]
	s_cbranch_execz .LBB985_10
; %bb.9:
	s_load_dwordx2 s[14:15], s[4:5], 0x38
	s_mul_hi_i32 s29, s19, s6
	s_mul_i32 s28, s19, s6
	s_lshl_b64 s[28:29], s[28:29], 1
	s_mov_b32 s31, 0x20000
	s_waitcnt lgkmcnt(0)
	s_add_u32 s28, s14, s28
	s_addc_u32 s14, s15, s29
	s_and_b32 s29, s14, 0xffff
	v_lshlrev_b32_e32 v48, 5, v0
	buffer_load_dwordx4 v[18:21], v48, s[28:31], 16 offen
	buffer_load_dwordx4 v[22:25], v48, s[28:31], 0 offen
	s_waitcnt vmcnt(4)
	v_cvt_f32_f16_sdwa v27, v14 dst_sel:DWORD dst_unused:UNUSED_PAD src0_sel:WORD_1
	v_cvt_f32_f16_e32 v26, v14
	v_cvt_f32_f16_sdwa v29, v15 dst_sel:DWORD dst_unused:UNUSED_PAD src0_sel:WORD_1
	v_cvt_f32_f16_e32 v28, v15
	;; [unrolled: 2-line block ×8, first 2 shown]
	s_load_dwordx2 s[14:15], s[4:5], 0x20
	s_mul_hi_i32 s27, s26, s6
	s_mul_i32 s26, s26, s6
	s_lshl_b64 s[26:27], s[26:27], 1
	s_waitcnt lgkmcnt(0)
	s_add_u32 s28, s14, s26
	s_addc_u32 s14, s15, s27
	s_and_b32 s29, s14, 0xffff
	s_waitcnt vmcnt(1)
	v_cvt_f32_f16_e32 v12, v18
	v_cvt_f32_f16_sdwa v13, v18 dst_sel:DWORD dst_unused:UNUSED_PAD src0_sel:WORD_1
	v_cvt_f32_f16_e32 v18, v19
	v_cvt_f32_f16_sdwa v19, v19 dst_sel:DWORD dst_unused:UNUSED_PAD src0_sel:WORD_1
	;; [unrolled: 2-line block ×4, first 2 shown]
	s_waitcnt vmcnt(0)
	v_cvt_f32_f16_e32 v40, v22
	v_cvt_f32_f16_sdwa v41, v22 dst_sel:DWORD dst_unused:UNUSED_PAD src0_sel:WORD_1
	v_cvt_f32_f16_e32 v42, v23
	v_cvt_f32_f16_sdwa v43, v23 dst_sel:DWORD dst_unused:UNUSED_PAD src0_sel:WORD_1
	;; [unrolled: 2-line block ×4, first 2 shown]
	v_pk_add_f32 v[20:21], v[26:27], v[12:13]
	v_pk_add_f32 v[24:25], v[28:29], v[18:19]
	;; [unrolled: 1-line block ×8, first 2 shown]
	v_cvt_f16_f32_e32 v10, v27
	v_cvt_f16_f32_e32 v14, v26
	;; [unrolled: 1-line block ×16, first 2 shown]
	v_pack_b32_f16 v13, v17, v13
	v_pack_b32_f16 v12, v16, v12
	v_pack_b32_f16 v11, v15, v11
	v_pack_b32_f16 v10, v14, v10
	v_pack_b32_f16 v17, v40, v41
	v_pack_b32_f16 v16, v38, v39
	v_pack_b32_f16 v15, v36, v37
	v_pack_b32_f16 v14, v34, v35
	buffer_store_dwordx4 v[10:13], v48, s[28:31], 0 offen
	;;#ASMSTART
	s_nop 0
	;;#ASMEND
	buffer_store_dwordx4 v[14:17], v48, s[28:31], 16 offen
	;;#ASMSTART
	s_nop 0
	;;#ASMEND
.LBB985_10:
	s_or_b64 exec, exec, s[8:9]
.LBB985_11:
	s_waitcnt vmcnt(3)
	v_mul_f32_e32 v10, v27, v27
	v_fmac_f32_e32 v10, v26, v26
	v_fmac_f32_e32 v10, v30, v30
	;; [unrolled: 1-line block ×15, first 2 shown]
	v_and_b32_e32 v12, 63, v0
	v_cmp_eq_u32_e64 s[8:9], 63, v12
	v_mov_b32_dpp v11, v10 quad_perm:[1,0,3,2] row_mask:0xf bank_mask:0xf
	v_add_f32_e32 v10, v10, v11
	s_nop 1
	v_mov_b32_dpp v11, v10 quad_perm:[2,3,0,1] row_mask:0xf bank_mask:0xf
	v_add_f32_e32 v10, v10, v11
	s_nop 1
	v_mov_b32_dpp v11, v10 row_half_mirror row_mask:0xf bank_mask:0xf
	v_add_f32_e32 v10, v10, v11
	s_nop 1
	v_mov_b32_dpp v11, v10 row_mirror row_mask:0xf bank_mask:0xf
	v_add_f32_e32 v10, v10, v11
	s_nop 1
	v_mov_b32_dpp v11, v10 row_bcast:15 row_mask:0xf bank_mask:0xf
	v_add_f32_e32 v10, v10, v11
	s_nop 1
	v_mov_b32_dpp v11, v10 row_bcast:31 row_mask:0xf bank_mask:0xf
	s_and_saveexec_b64 s[14:15], s[8:9]
	s_cbranch_execz .LBB985_13
; %bb.12:
	v_add_f32_e32 v10, v10, v11
	v_lshrrev_b32_e32 v11, 4, v0
	v_and_b32_e32 v11, 60, v11
	ds_write_b32 v11, v10 offset:32
.LBB985_13:
	s_or_b64 exec, exec, s[14:15]
	v_and_b32_e32 v10, 7, v0
	v_lshlrev_b32_e32 v34, 2, v10
	s_waitcnt lgkmcnt(0)
	s_barrier
	ds_read_b32 v10, v34 offset:32
	s_load_dwordx2 s[14:15], s[4:5], 0x18
	s_waitcnt lgkmcnt(0)
	v_mov_b32_dpp v11, v10 quad_perm:[1,0,3,2] row_mask:0xf bank_mask:0xf
	v_add_f32_e32 v10, v10, v11
	s_nop 1
	v_mov_b32_dpp v11, v10 quad_perm:[2,3,0,1] row_mask:0xf bank_mask:0xf
	v_add_f32_e32 v10, v10, v11
	s_nop 1
	v_mov_b32_dpp v11, v10 row_half_mirror row_mask:0xf bank_mask:0xf
	s_and_saveexec_b64 s[26:27], s[0:1]
	s_cbranch_execnz .LBB985_18
; %bb.14:
	s_or_b64 exec, exec, s[26:27]
	s_mov_b64 s[2:3], -1
	s_and_b64 vcc, exec, s[22:23]
	s_cbranch_vccnz .LBB985_19
.LBB985_15:
	s_andn2_b64 vcc, exec, s[2:3]
	s_cbranch_vccz .LBB985_22
.LBB985_16:
	s_cmp_lt_i32 s16, 1
	s_cbranch_scc0 .LBB985_25
.LBB985_17:
	s_endpgm
.LBB985_18:
	v_cvt_f32_u32_e32 v12, s7
	v_add_f32_e32 v10, v10, v11
	s_waitcnt vmcnt(2)
	v_mov_b32_e32 v14, s13
	v_mov_b32_e32 v15, s12
	v_div_scale_f32 v11, s[28:29], v12, v12, v10
	v_rcp_f32_e32 v13, v11
	v_cndmask_b32_e64 v14, v14, v15, s[2:3]
	s_mov_b32 s2, 0x800000
	v_fma_f32 v15, -v11, v13, 1.0
	v_fmac_f32_e32 v13, v15, v13
	v_div_scale_f32 v15, vcc, v10, v12, v10
	v_mul_f32_e32 v16, v15, v13
	v_fma_f32 v17, -v11, v16, v15
	v_fmac_f32_e32 v16, v17, v13
	v_fma_f32 v11, -v11, v16, v15
	v_div_fmas_f32 v11, v11, v13, v16
	v_div_fixup_f32 v10, v11, v12, v10
	v_add_f32_e32 v10, v14, v10
	v_mul_f32_e32 v11, 0x4b800000, v10
	v_cmp_gt_f32_e32 vcc, s2, v10
	v_cndmask_b32_e32 v10, v10, v11, vcc
	v_rsq_f32_e32 v10, v10
	v_mul_f32_e32 v11, 0x45800000, v10
	v_cndmask_b32_e32 v10, v10, v11, vcc
	v_mov_b32_e32 v11, v10
	;;#ASMSTART
	v_pk_mul_f32 v[12:13], v[26:27], v[10:11]
	;;#ASMEND
	s_waitcnt vmcnt(1)
	v_cvt_f32_f16_sdwa v27, v6 dst_sel:DWORD dst_unused:UNUSED_PAD src0_sel:WORD_1
	v_cvt_f32_f16_e32 v26, v6
	;;#ASMSTART
	v_pk_mul_f32 v[14:15], v[30:31], v[10:11]
	;;#ASMEND
	;;#ASMSTART
	v_pk_mul_f32 v[16:17], v[28:29], v[10:11]
	;;#ASMEND
	v_cvt_f32_f16_sdwa v29, v7 dst_sel:DWORD dst_unused:UNUSED_PAD src0_sel:WORD_1
	v_cvt_f32_f16_e32 v28, v7
	;;#ASMSTART
	v_pk_mul_f32 v[32:33], v[32:33], v[10:11]
	;;#ASMEND
	;;#ASMSTART
	v_pk_mul_f32 v[20:21], v[20:21], v[10:11]
	;;#ASMEND
	;; [unrolled: 3-line block ×5, first 2 shown]
	v_pk_add_f32 v[10:11], v[26:27], 1.0 op_sel_hi:[1,0]
	;;#ASMSTART
	v_pk_mul_f32 v[26:27], v[12:13], v[10:11]
	;;#ASMEND
	v_cvt_f32_f16_sdwa v13, v8 dst_sel:DWORD dst_unused:UNUSED_PAD src0_sel:WORD_1
	v_cvt_f32_f16_e32 v12, v8
	v_cvt_f32_f16_sdwa v19, v9 dst_sel:DWORD dst_unused:UNUSED_PAD src0_sel:WORD_1
	v_cvt_f32_f16_e32 v18, v9
	v_pk_add_f32 v[10:11], v[28:29], 1.0 op_sel_hi:[1,0]
	;;#ASMSTART
	v_pk_mul_f32 v[30:31], v[14:15], v[10:11]
	;;#ASMEND
	s_waitcnt vmcnt(0)
	v_cvt_f32_f16_sdwa v11, v2 dst_sel:DWORD dst_unused:UNUSED_PAD src0_sel:WORD_1
	v_cvt_f32_f16_e32 v10, v2
	v_pk_add_f32 v[8:9], v[12:13], 1.0 op_sel_hi:[1,0]
	;;#ASMSTART
	v_pk_mul_f32 v[28:29], v[16:17], v[8:9]
	;;#ASMEND
	v_pk_add_f32 v[8:9], v[18:19], 1.0 op_sel_hi:[1,0]
	v_cvt_f32_f16_sdwa v13, v3 dst_sel:DWORD dst_unused:UNUSED_PAD src0_sel:WORD_1
	v_cvt_f32_f16_e32 v12, v3
	;;#ASMSTART
	v_pk_mul_f32 v[32:33], v[32:33], v[8:9]
	;;#ASMEND
	v_cvt_f32_f16_sdwa v9, v4 dst_sel:DWORD dst_unused:UNUSED_PAD src0_sel:WORD_1
	v_cvt_f32_f16_e32 v8, v4
	v_pk_add_f32 v[2:3], v[10:11], 1.0 op_sel_hi:[1,0]
	v_cvt_f32_f16_sdwa v11, v5 dst_sel:DWORD dst_unused:UNUSED_PAD src0_sel:WORD_1
	v_cvt_f32_f16_e32 v10, v5
	;;#ASMSTART
	v_pk_mul_f32 v[20:21], v[20:21], v[2:3]
	;;#ASMEND
	v_pk_add_f32 v[2:3], v[12:13], 1.0 op_sel_hi:[1,0]
	;;#ASMSTART
	v_pk_mul_f32 v[24:25], v[24:25], v[2:3]
	;;#ASMEND
	v_pk_add_f32 v[2:3], v[8:9], 1.0 op_sel_hi:[1,0]
	;; [unrolled: 4-line block ×3, first 2 shown]
	;;#ASMSTART
	v_pk_mul_f32 v[18:19], v[6:7], v[2:3]
	;;#ASMEND
	s_or_b64 exec, exec, s[26:27]
	s_mov_b64 s[2:3], -1
	s_and_b64 vcc, exec, s[22:23]
	s_cbranch_vccz .LBB985_15
.LBB985_19:
	s_and_saveexec_b64 s[2:3], s[0:1]
	s_cbranch_execz .LBB985_21
; %bb.20:
	s_mul_hi_i32 s23, s25, s6
	s_mul_i32 s22, s25, s6
	s_waitcnt vmcnt(0)
	v_cvt_f16_f32_e32 v2, v26
	v_cvt_f16_f32_e32 v3, v30
	v_cvt_f16_f32_e32 v4, v28
	v_cvt_f16_f32_e32 v5, v32
	v_cvt_f16_f32_e32 v6, v33
	v_cvt_f16_f32_e32 v7, v29
	v_cvt_f16_f32_e32 v8, v31
	v_cvt_f16_f32_e32 v9, v27
	s_lshl_b64 s[22:23], s[22:23], 1
	s_add_u32 s28, s14, s22
	s_addc_u32 s7, s15, s23
	s_and_b32 s29, s7, 0xffff
	s_mov_b32 s31, 0x20000
	v_pack_b32_f16 v5, v5, v6
	v_pack_b32_f16 v4, v4, v7
	v_pack_b32_f16 v3, v3, v8
	v_pack_b32_f16 v2, v2, v9
	v_lshlrev_b32_e32 v6, 5, v0
	buffer_store_dwordx4 v[2:5], v6, s[28:31], 0 offen
	v_cvt_f16_f32_e32 v7, v19
	v_cvt_f16_f32_e32 v2, v20
	;; [unrolled: 1-line block ×8, first 2 shown]
	v_pack_b32_f16 v5, v5, v7
	v_pack_b32_f16 v4, v4, v8
	;; [unrolled: 1-line block ×4, first 2 shown]
	;;#ASMSTART
	s_nop 0
	;;#ASMEND
	buffer_store_dwordx4 v[2:5], v6, s[28:31], 16 offen
	;;#ASMSTART
	s_nop 0
	;;#ASMEND
.LBB985_21:
	s_or_b64 exec, exec, s[2:3]
	s_cbranch_execnz .LBB985_16
.LBB985_22:
	s_and_saveexec_b64 s[2:3], s[0:1]
	s_cbranch_execz .LBB985_24
; %bb.23:
	s_load_dwordx2 s[0:1], s[4:5], 0x10
	s_mul_hi_i32 s23, s24, s6
	s_mul_i32 s22, s24, s6
	s_waitcnt vmcnt(0)
	v_cvt_f16_f32_e32 v2, v26
	v_cvt_f16_f32_e32 v3, v30
	;; [unrolled: 1-line block ×8, first 2 shown]
	s_lshl_b64 s[22:23], s[22:23], 1
	s_waitcnt lgkmcnt(0)
	s_add_u32 s28, s0, s22
	s_addc_u32 s0, s1, s23
	s_mov_b32 s31, 0x20000
	s_and_b32 s29, s0, 0xffff
	v_pack_b32_f16 v5, v5, v6
	v_pack_b32_f16 v4, v4, v7
	;; [unrolled: 1-line block ×4, first 2 shown]
	v_lshlrev_b32_e32 v6, 5, v0
	buffer_store_dwordx4 v[2:5], v6, s[28:31], 0 offen
	v_cvt_f16_f32_e32 v7, v19
	v_cvt_f16_f32_e32 v2, v20
	;; [unrolled: 1-line block ×8, first 2 shown]
	v_pack_b32_f16 v5, v5, v7
	v_pack_b32_f16 v4, v4, v8
	;; [unrolled: 1-line block ×4, first 2 shown]
	;;#ASMSTART
	s_nop 0
	;;#ASMEND
	buffer_store_dwordx4 v[2:5], v6, s[28:31], 16 offen
	;;#ASMSTART
	s_nop 0
	;;#ASMEND
.LBB985_24:
	s_or_b64 exec, exec, s[2:3]
	s_cmp_lt_i32 s16, 1
	s_cbranch_scc1 .LBB985_17
.LBB985_25:
	s_load_dword s0, s[4:5], 0x94
	s_waitcnt lgkmcnt(0)
	s_cmp_lg_u32 s0, 1
	s_cbranch_scc1 .LBB985_17
; %bb.26:
	s_lshl_b32 s0, s16, 1
	s_add_i32 s0, s0, 2
	v_cmp_gt_u32_e32 vcc, s16, v1
	s_and_b32 s22, s0, -4
	v_mov_b32_e32 v18, 0
	v_lshlrev_b32_e32 v1, 5, v0
	s_waitcnt vmcnt(2)
	v_mov_b32_e32 v14, 0
	v_mov_b32_e32 v15, 0
	;; [unrolled: 1-line block ×8, first 2 shown]
	s_waitcnt vmcnt(1)
	v_mov_b32_e32 v6, 0
	v_mov_b32_e32 v7, 0
	;; [unrolled: 1-line block ×4, first 2 shown]
	s_waitcnt vmcnt(0)
	v_mov_b32_e32 v2, 0
	v_mov_b32_e32 v3, 0
	;; [unrolled: 1-line block ×4, first 2 shown]
	s_barrier
	s_and_saveexec_b64 s[0:1], vcc
	s_cbranch_execz .LBB985_28
; %bb.27:
	s_mul_hi_i32 s3, s18, s6
	s_mul_i32 s2, s18, s6
	s_and_b32 s21, s21, 0xffff
	s_lshl_b64 s[2:3], s[2:3], 1
	s_add_u32 s28, s10, s2
	s_mov_b32 s23, 0x20000
	s_addc_u32 s2, s11, s3
	s_and_b32 s29, s2, 0xffff
	s_mov_b32 s30, s22
	s_mov_b32 s31, s23
	buffer_load_dwordx4 v[14:17], v1, s[28:31], 0 offen
	buffer_load_dwordx4 v[10:13], v1, s[28:31], 16 offen
	;; [unrolled: 1-line block ×4, first 2 shown]
.LBB985_28:
	s_or_b64 exec, exec, s[0:1]
	v_mov_b32_e32 v19, 0
	v_mov_b32_e32 v32, 0
	;; [unrolled: 1-line block ×15, first 2 shown]
	s_and_saveexec_b64 s[0:1], vcc
	s_cbranch_execz .LBB985_30
; %bb.29:
	s_waitcnt vmcnt(3)
	v_cvt_f32_f16_sdwa v19, v14 dst_sel:DWORD dst_unused:UNUSED_PAD src0_sel:WORD_1
	v_cvt_f32_f16_e32 v18, v14
	v_cvt_f32_f16_sdwa v33, v15 dst_sel:DWORD dst_unused:UNUSED_PAD src0_sel:WORD_1
	v_cvt_f32_f16_e32 v32, v15
	v_cvt_f32_f16_sdwa v31, v16 dst_sel:DWORD dst_unused:UNUSED_PAD src0_sel:WORD_1
	v_cvt_f32_f16_e32 v30, v16
	v_cvt_f32_f16_sdwa v29, v17 dst_sel:DWORD dst_unused:UNUSED_PAD src0_sel:WORD_1
	v_cvt_f32_f16_e32 v28, v17
	s_waitcnt vmcnt(2)
	v_cvt_f32_f16_sdwa v27, v10 dst_sel:DWORD dst_unused:UNUSED_PAD src0_sel:WORD_1
	v_cvt_f32_f16_e32 v26, v10
	v_cvt_f32_f16_sdwa v25, v11 dst_sel:DWORD dst_unused:UNUSED_PAD src0_sel:WORD_1
	v_cvt_f32_f16_e32 v24, v11
	;; [unrolled: 2-line block ×4, first 2 shown]
.LBB985_30:
	s_or_b64 exec, exec, s[0:1]
	s_waitcnt vmcnt(2)
	v_mul_f32_e32 v10, v19, v19
	v_fmac_f32_e32 v10, v18, v18
	v_fmac_f32_e32 v10, v32, v32
	;; [unrolled: 1-line block ×15, first 2 shown]
	s_nop 1
	v_mov_b32_dpp v11, v10 quad_perm:[1,0,3,2] row_mask:0xf bank_mask:0xf
	v_add_f32_e32 v10, v10, v11
	s_nop 1
	v_mov_b32_dpp v11, v10 quad_perm:[2,3,0,1] row_mask:0xf bank_mask:0xf
	v_add_f32_e32 v10, v10, v11
	s_nop 1
	v_mov_b32_dpp v11, v10 row_half_mirror row_mask:0xf bank_mask:0xf
	v_add_f32_e32 v10, v10, v11
	s_nop 1
	v_mov_b32_dpp v11, v10 row_mirror row_mask:0xf bank_mask:0xf
	v_add_f32_e32 v10, v10, v11
	s_nop 1
	v_mov_b32_dpp v11, v10 row_bcast:15 row_mask:0xf bank_mask:0xf
	v_add_f32_e32 v10, v10, v11
	s_nop 1
	v_mov_b32_dpp v11, v10 row_bcast:31 row_mask:0xf bank_mask:0xf
	s_and_saveexec_b64 s[0:1], s[8:9]
	s_cbranch_execz .LBB985_32
; %bb.31:
	v_lshrrev_b32_e32 v0, 4, v0
	v_add_f32_e32 v10, v10, v11
	v_and_b32_e32 v0, 60, v0
	ds_write_b32 v0, v10
.LBB985_32:
	s_or_b64 exec, exec, s[0:1]
	s_waitcnt lgkmcnt(0)
	s_barrier
	ds_read_b32 v0, v34
	s_waitcnt lgkmcnt(0)
	s_nop 0
	v_mov_b32_dpp v10, v0 quad_perm:[1,0,3,2] row_mask:0xf bank_mask:0xf
	v_add_f32_e32 v0, v0, v10
	s_nop 1
	v_mov_b32_dpp v10, v0 quad_perm:[2,3,0,1] row_mask:0xf bank_mask:0xf
	v_add_f32_e32 v0, v0, v10
	s_nop 1
	v_mov_b32_dpp v10, v0 row_half_mirror row_mask:0xf bank_mask:0xf
	s_and_saveexec_b64 s[0:1], vcc
	s_cbranch_execz .LBB985_17
; %bb.33:
	v_cvt_f32_u32_e32 v11, s16
	v_add_f32_e32 v0, v0, v10
	s_mov_b32 s23, 0x20000
	v_div_scale_f32 v10, s[0:1], v11, v11, v0
	v_rcp_f32_e32 v12, v10
	v_div_scale_f32 v13, vcc, v0, v11, v0
	s_mov_b32 s0, 0x800000
	v_fma_f32 v14, -v10, v12, 1.0
	v_fmac_f32_e32 v12, v14, v12
	v_mul_f32_e32 v14, v13, v12
	v_fma_f32 v15, -v10, v14, v13
	v_fmac_f32_e32 v14, v15, v12
	v_fma_f32 v10, -v10, v14, v13
	v_div_fmas_f32 v10, v10, v12, v14
	v_div_fixup_f32 v0, v10, v11, v0
	v_add_f32_e32 v0, s13, v0
	v_mul_f32_e32 v10, 0x4b800000, v0
	v_cmp_gt_f32_e32 vcc, s0, v0
	v_cndmask_b32_e32 v0, v0, v10, vcc
	v_rsq_f32_e32 v0, v0
	s_mul_hi_i32 s1, s25, s6
	s_mul_i32 s0, s25, s6
	s_lshl_b64 s[0:1], s[0:1], 1
	v_mul_f32_e32 v10, 0x45800000, v0
	v_cndmask_b32_e32 v10, v0, v10, vcc
	v_mov_b32_e32 v11, v10
	;;#ASMSTART
	v_pk_mul_f32 v[12:13], v[18:19], v[10:11]
	;;#ASMEND
	;;#ASMSTART
	v_pk_mul_f32 v[14:15], v[32:33], v[10:11]
	;;#ASMEND
	;; [unrolled: 3-line block ×4, first 2 shown]
	s_waitcnt vmcnt(1)
	v_cvt_f32_f16_sdwa v29, v6 dst_sel:DWORD dst_unused:UNUSED_PAD src0_sel:WORD_1
	v_cvt_f32_f16_e32 v28, v6
	v_cvt_f32_f16_sdwa v31, v7 dst_sel:DWORD dst_unused:UNUSED_PAD src0_sel:WORD_1
	v_cvt_f32_f16_e32 v30, v7
	;;#ASMSTART
	v_pk_mul_f32 v[26:27], v[26:27], v[10:11]
	;;#ASMEND
	;;#ASMSTART
	v_pk_mul_f32 v[24:25], v[24:25], v[10:11]
	;;#ASMEND
	;; [unrolled: 3-line block ×4, first 2 shown]
	v_cvt_f32_f16_sdwa v21, v8 dst_sel:DWORD dst_unused:UNUSED_PAD src0_sel:WORD_1
	v_cvt_f32_f16_e32 v20, v8
	v_pk_add_f32 v[10:11], v[28:29], 1.0 op_sel_hi:[1,0]
	;;#ASMSTART
	v_pk_mul_f32 v[10:11], v[12:13], v[10:11]
	;;#ASMEND
	v_pk_add_f32 v[12:13], v[30:31], 1.0 op_sel_hi:[1,0]
	v_cvt_f32_f16_sdwa v29, v9 dst_sel:DWORD dst_unused:UNUSED_PAD src0_sel:WORD_1
	v_cvt_f32_f16_e32 v28, v9
	;;#ASMSTART
	v_pk_mul_f32 v[8:9], v[14:15], v[12:13]
	;;#ASMEND
	v_pk_add_f32 v[12:13], v[20:21], 1.0 op_sel_hi:[1,0]
	;;#ASMSTART
	v_pk_mul_f32 v[12:13], v[16:17], v[12:13]
	;;#ASMEND
	s_waitcnt vmcnt(0)
	v_cvt_f32_f16_sdwa v17, v2 dst_sel:DWORD dst_unused:UNUSED_PAD src0_sel:WORD_1
	v_cvt_f32_f16_e32 v16, v2
	v_cvt_f32_f16_sdwa v21, v3 dst_sel:DWORD dst_unused:UNUSED_PAD src0_sel:WORD_1
	v_cvt_f32_f16_e32 v20, v3
	v_pk_add_f32 v[14:15], v[28:29], 1.0 op_sel_hi:[1,0]
	;;#ASMSTART
	v_pk_mul_f32 v[2:3], v[18:19], v[14:15]
	;;#ASMEND
	v_cvt_f32_f16_sdwa v19, v4 dst_sel:DWORD dst_unused:UNUSED_PAD src0_sel:WORD_1
	v_cvt_f32_f16_e32 v18, v4
	v_pk_add_f32 v[14:15], v[16:17], 1.0 op_sel_hi:[1,0]
	v_pk_add_f32 v[16:17], v[20:21], 1.0 op_sel_hi:[1,0]
	v_cvt_f32_f16_sdwa v21, v5 dst_sel:DWORD dst_unused:UNUSED_PAD src0_sel:WORD_1
	v_cvt_f32_f16_e32 v20, v5
	v_pk_add_f32 v[4:5], v[18:19], 1.0 op_sel_hi:[1,0]
	;;#ASMSTART
	v_pk_mul_f32 v[14:15], v[26:27], v[14:15]
	;;#ASMEND
	;;#ASMSTART
	v_pk_mul_f32 v[16:17], v[24:25], v[16:17]
	;;#ASMEND
	;;#ASMSTART
	v_pk_mul_f32 v[18:19], v[22:23], v[4:5]
	;;#ASMEND
	v_pk_add_f32 v[4:5], v[20:21], 1.0 op_sel_hi:[1,0]
	;;#ASMSTART
	v_pk_mul_f32 v[6:7], v[6:7], v[4:5]
	;;#ASMEND
	v_cvt_f16_f32_e32 v0, v10
	v_cvt_f16_f32_e32 v4, v11
	;; [unrolled: 1-line block ×8, first 2 shown]
	s_add_u32 s20, s14, s0
	s_addc_u32 s0, s15, s1
	s_and_b32 s21, s0, 0xffff
	v_pack_b32_f16 v2, v0, v4
	v_pack_b32_f16 v3, v5, v8
	;; [unrolled: 1-line block ×4, first 2 shown]
	buffer_store_dwordx4 v[2:5], v1, s[20:23], 0 offen
	v_cvt_f16_f32_e32 v0, v14
	v_cvt_f16_f32_e32 v2, v15
	;; [unrolled: 1-line block ×8, first 2 shown]
	v_pack_b32_f16 v2, v0, v2
	v_pack_b32_f16 v3, v3, v4
	;; [unrolled: 1-line block ×4, first 2 shown]
	;;#ASMSTART
	s_nop 0
	;;#ASMEND
	buffer_store_dwordx4 v[2:5], v1, s[20:23], 16 offen
	;;#ASMSTART
	s_nop 0
	;;#ASMEND
	s_endpgm
	.section	.rodata,"a",@progbits
	.p2align	6, 0x0
	.amdhsa_kernel _ZN5aiter35fused_qk_rmsnorm_group_quant_kernelIDF16_DB8_Li512ELi16ELi2ELb1ELb1ELb1ELb1ELb0ELb0EEEvPT0_PvPT_S6_S6_PKS5_S8_S8_S8_S8_ffiiiiiiiiiiiii
		.amdhsa_group_segment_fixed_size 64
		.amdhsa_private_segment_fixed_size 0
		.amdhsa_kernarg_size 400
		.amdhsa_user_sgpr_count 6
		.amdhsa_user_sgpr_private_segment_buffer 1
		.amdhsa_user_sgpr_dispatch_ptr 0
		.amdhsa_user_sgpr_queue_ptr 0
		.amdhsa_user_sgpr_kernarg_segment_ptr 1
		.amdhsa_user_sgpr_dispatch_id 0
		.amdhsa_user_sgpr_flat_scratch_init 0
		.amdhsa_user_sgpr_kernarg_preload_length 0
		.amdhsa_user_sgpr_kernarg_preload_offset 0
		.amdhsa_user_sgpr_private_segment_size 0
		.amdhsa_uses_dynamic_stack 0
		.amdhsa_system_sgpr_private_segment_wavefront_offset 0
		.amdhsa_system_sgpr_workgroup_id_x 1
		.amdhsa_system_sgpr_workgroup_id_y 1
		.amdhsa_system_sgpr_workgroup_id_z 0
		.amdhsa_system_sgpr_workgroup_info 0
		.amdhsa_system_vgpr_workitem_id 0
		.amdhsa_next_free_vgpr 49
		.amdhsa_next_free_sgpr 32
		.amdhsa_accum_offset 52
		.amdhsa_reserve_vcc 1
		.amdhsa_reserve_flat_scratch 0
		.amdhsa_float_round_mode_32 0
		.amdhsa_float_round_mode_16_64 0
		.amdhsa_float_denorm_mode_32 3
		.amdhsa_float_denorm_mode_16_64 3
		.amdhsa_dx10_clamp 1
		.amdhsa_ieee_mode 1
		.amdhsa_fp16_overflow 0
		.amdhsa_tg_split 0
		.amdhsa_exception_fp_ieee_invalid_op 0
		.amdhsa_exception_fp_denorm_src 0
		.amdhsa_exception_fp_ieee_div_zero 0
		.amdhsa_exception_fp_ieee_overflow 0
		.amdhsa_exception_fp_ieee_underflow 0
		.amdhsa_exception_fp_ieee_inexact 0
		.amdhsa_exception_int_div_zero 0
	.end_amdhsa_kernel
	.section	.text._ZN5aiter35fused_qk_rmsnorm_group_quant_kernelIDF16_DB8_Li512ELi16ELi2ELb1ELb1ELb1ELb1ELb0ELb0EEEvPT0_PvPT_S6_S6_PKS5_S8_S8_S8_S8_ffiiiiiiiiiiiii,"axG",@progbits,_ZN5aiter35fused_qk_rmsnorm_group_quant_kernelIDF16_DB8_Li512ELi16ELi2ELb1ELb1ELb1ELb1ELb0ELb0EEEvPT0_PvPT_S6_S6_PKS5_S8_S8_S8_S8_ffiiiiiiiiiiiii,comdat
.Lfunc_end985:
	.size	_ZN5aiter35fused_qk_rmsnorm_group_quant_kernelIDF16_DB8_Li512ELi16ELi2ELb1ELb1ELb1ELb1ELb0ELb0EEEvPT0_PvPT_S6_S6_PKS5_S8_S8_S8_S8_ffiiiiiiiiiiiii, .Lfunc_end985-_ZN5aiter35fused_qk_rmsnorm_group_quant_kernelIDF16_DB8_Li512ELi16ELi2ELb1ELb1ELb1ELb1ELb0ELb0EEEvPT0_PvPT_S6_S6_PKS5_S8_S8_S8_S8_ffiiiiiiiiiiiii
                                        ; -- End function
	.section	.AMDGPU.csdata,"",@progbits
; Kernel info:
; codeLenInByte = 3640
; NumSgprs: 36
; NumVgprs: 49
; NumAgprs: 0
; TotalNumVgprs: 49
; ScratchSize: 0
; MemoryBound: 0
; FloatMode: 240
; IeeeMode: 1
; LDSByteSize: 64 bytes/workgroup (compile time only)
; SGPRBlocks: 4
; VGPRBlocks: 6
; NumSGPRsForWavesPerEU: 36
; NumVGPRsForWavesPerEU: 49
; AccumOffset: 52
; Occupancy: 8
; WaveLimiterHint : 0
; COMPUTE_PGM_RSRC2:SCRATCH_EN: 0
; COMPUTE_PGM_RSRC2:USER_SGPR: 6
; COMPUTE_PGM_RSRC2:TRAP_HANDLER: 0
; COMPUTE_PGM_RSRC2:TGID_X_EN: 1
; COMPUTE_PGM_RSRC2:TGID_Y_EN: 1
; COMPUTE_PGM_RSRC2:TGID_Z_EN: 0
; COMPUTE_PGM_RSRC2:TIDIG_COMP_CNT: 0
; COMPUTE_PGM_RSRC3_GFX90A:ACCUM_OFFSET: 12
; COMPUTE_PGM_RSRC3_GFX90A:TG_SPLIT: 0
	.section	.text._ZN5aiter35fused_qk_rmsnorm_group_quant_kernelItDB8_Li512ELi16ELi2ELb1ELb1ELb1ELb1ELb0ELb0EEEvPT0_PvPT_S6_S6_PKS5_S8_S8_S8_S8_ffiiiiiiiiiiiii,"axG",@progbits,_ZN5aiter35fused_qk_rmsnorm_group_quant_kernelItDB8_Li512ELi16ELi2ELb1ELb1ELb1ELb1ELb0ELb0EEEvPT0_PvPT_S6_S6_PKS5_S8_S8_S8_S8_ffiiiiiiiiiiiii,comdat
	.protected	_ZN5aiter35fused_qk_rmsnorm_group_quant_kernelItDB8_Li512ELi16ELi2ELb1ELb1ELb1ELb1ELb0ELb0EEEvPT0_PvPT_S6_S6_PKS5_S8_S8_S8_S8_ffiiiiiiiiiiiii ; -- Begin function _ZN5aiter35fused_qk_rmsnorm_group_quant_kernelItDB8_Li512ELi16ELi2ELb1ELb1ELb1ELb1ELb0ELb0EEEvPT0_PvPT_S6_S6_PKS5_S8_S8_S8_S8_ffiiiiiiiiiiiii
	.globl	_ZN5aiter35fused_qk_rmsnorm_group_quant_kernelItDB8_Li512ELi16ELi2ELb1ELb1ELb1ELb1ELb0ELb0EEEvPT0_PvPT_S6_S6_PKS5_S8_S8_S8_S8_ffiiiiiiiiiiiii
	.p2align	8
	.type	_ZN5aiter35fused_qk_rmsnorm_group_quant_kernelItDB8_Li512ELi16ELi2ELb1ELb1ELb1ELb1ELb0ELb0EEEvPT0_PvPT_S6_S6_PKS5_S8_S8_S8_S8_ffiiiiiiiiiiiii,@function
_ZN5aiter35fused_qk_rmsnorm_group_quant_kernelItDB8_Li512ELi16ELi2ELb1ELb1ELb1ELb1ELb0ELb0EEEvPT0_PvPT_S6_S6_PKS5_S8_S8_S8_S8_ffiiiiiiiiiiiii: ; @_ZN5aiter35fused_qk_rmsnorm_group_quant_kernelItDB8_Li512ELi16ELi2ELb1ELb1ELb1ELb1ELb0ELb0EEEvPT0_PvPT_S6_S6_PKS5_S8_S8_S8_S8_ffiiiiiiiiiiiii
; %bb.0:
	s_load_dwordx8 s[12:19], s[4:5], 0x50
	s_waitcnt lgkmcnt(0)
	s_cmp_ge_i32 s6, s14
	s_cbranch_scc1 .LBB986_17
; %bb.1:
	s_cmp_lg_u32 s7, 0
	s_cselect_b64 s[22:23], -1, 0
	s_cmp_eq_u32 s7, 0
	s_cselect_b64 s[2:3], -1, 0
	s_and_b64 s[0:1], s[2:3], exec
	s_cselect_b32 s7, s15, s16
	s_load_dwordx2 s[10:11], s[4:5], 0x30
	s_load_dwordx2 s[20:21], s[4:5], 0x48
	s_add_i32 s0, s7, 1
	s_lshr_b32 s1, s0, 31
	s_add_i32 s0, s0, s1
	s_lshl_b32 s0, s0, 1
	v_lshlrev_b32_e32 v1, 4, v0
	s_and_b32 s30, s0, -4
	v_cmp_gt_i32_e64 s[0:1], s7, v1
	v_mov_b32_e32 v62, 0
	v_mov_b32_e32 v63, 0
	;; [unrolled: 1-line block ×16, first 2 shown]
	s_and_saveexec_b64 s[8:9], s[0:1]
	s_cbranch_execz .LBB986_3
; %bb.2:
	s_load_dwordx2 s[14:15], s[4:5], 0x28
	s_load_dwordx2 s[26:27], s[4:5], 0x40
	s_and_b64 s[24:25], s[2:3], exec
	s_cselect_b32 s17, s17, s18
	s_mov_b32 s31, 0x20000
	s_waitcnt lgkmcnt(0)
	s_cselect_b32 s25, s15, s11
	s_cselect_b32 s24, s14, s10
	s_mul_hi_i32 s15, s17, s6
	s_mul_i32 s14, s17, s6
	s_lshl_b64 s[14:15], s[14:15], 1
	s_add_u32 s24, s24, s14
	s_addc_u32 s17, s25, s15
	s_and_b64 s[14:15], s[2:3], exec
	s_cselect_b32 s28, s26, s20
	s_cselect_b32 s14, s27, s21
	s_and_b32 s25, s17, 0xffff
	s_mov_b32 s26, s30
	s_mov_b32 s27, s31
	v_lshlrev_b32_e32 v2, 5, v0
	s_and_b32 s29, s14, 0xffff
	buffer_load_dwordx4 v[66:69], v2, s[24:27], 0 offen
	buffer_load_dwordx4 v[70:73], v2, s[24:27], 16 offen
	;; [unrolled: 1-line block ×4, first 2 shown]
.LBB986_3:
	s_or_b64 exec, exec, s[8:9]
	s_load_dwordx4 s[24:27], s[4:5], 0x7c
	s_and_b64 vcc, exec, s[22:23]
	s_cbranch_vccz .LBB986_7
; %bb.4:
	v_mov_b32_e32 v75, 0
	v_mov_b32_e32 v74, 0
	;; [unrolled: 1-line block ×16, first 2 shown]
	s_and_saveexec_b64 s[8:9], s[0:1]
	s_cbranch_execz .LBB986_6
; %bb.5:
	s_waitcnt vmcnt(3)
	v_cvt_f32_u32_sdwa v2, v66 dst_sel:DWORD dst_unused:UNUSED_PAD src0_sel:WORD_0
	v_cvt_f32_u32_sdwa v3, v66 dst_sel:DWORD dst_unused:UNUSED_PAD src0_sel:WORD_1
	v_cvt_f32_u32_sdwa v6, v67 dst_sel:DWORD dst_unused:UNUSED_PAD src0_sel:WORD_0
	v_cvt_f32_u32_sdwa v7, v67 dst_sel:DWORD dst_unused:UNUSED_PAD src0_sel:WORD_1
	;; [unrolled: 2-line block ×4, first 2 shown]
	s_waitcnt vmcnt(2)
	v_cvt_f32_u32_sdwa v50, v70 dst_sel:DWORD dst_unused:UNUSED_PAD src0_sel:WORD_0
	v_cvt_f32_u32_sdwa v51, v70 dst_sel:DWORD dst_unused:UNUSED_PAD src0_sel:WORD_1
	v_cvt_f32_u32_sdwa v24, v71 dst_sel:DWORD dst_unused:UNUSED_PAD src0_sel:WORD_0
	v_cvt_f32_u32_sdwa v25, v71 dst_sel:DWORD dst_unused:UNUSED_PAD src0_sel:WORD_1
	;; [unrolled: 2-line block ×4, first 2 shown]
.LBB986_6:
	s_or_b64 exec, exec, s[8:9]
	s_cbranch_execz .LBB986_8
	s_branch .LBB986_11
.LBB986_7:
                                        ; implicit-def: $vgpr2_vgpr3_vgpr4_vgpr5_vgpr6_vgpr7_vgpr8_vgpr9_vgpr10_vgpr11_vgpr12_vgpr13_vgpr14_vgpr15_vgpr16_vgpr17
                                        ; implicit-def: $vgpr36_vgpr37_vgpr38_vgpr39_vgpr40_vgpr41_vgpr42_vgpr43_vgpr44_vgpr45_vgpr46_vgpr47_vgpr48_vgpr49_vgpr50_vgpr51
                                        ; implicit-def: $vgpr4_vgpr5_vgpr6_vgpr7_vgpr8_vgpr9_vgpr10_vgpr11_vgpr12_vgpr13_vgpr14_vgpr15_vgpr16_vgpr17_vgpr18_vgpr19
                                        ; implicit-def: $vgpr24_vgpr25_vgpr26_vgpr27_vgpr28_vgpr29_vgpr30_vgpr31_vgpr32_vgpr33_vgpr34_vgpr35_vgpr36_vgpr37_vgpr38_vgpr39
                                        ; implicit-def: $vgpr75
                                        ; implicit-def: $vgpr42_vgpr43_vgpr44_vgpr45_vgpr46_vgpr47_vgpr48_vgpr49_vgpr50_vgpr51_vgpr52_vgpr53_vgpr54_vgpr55_vgpr56_vgpr57
                                        ; implicit-def: $vgpr14_vgpr15_vgpr16_vgpr17_vgpr18_vgpr19_vgpr20_vgpr21_vgpr22_vgpr23_vgpr24_vgpr25_vgpr26_vgpr27_vgpr28_vgpr29
                                        ; implicit-def: $vgpr8_vgpr9_vgpr10_vgpr11_vgpr12_vgpr13_vgpr14_vgpr15_vgpr16_vgpr17_vgpr18_vgpr19_vgpr20_vgpr21_vgpr22_vgpr23
.LBB986_8:
	v_mov_b32_e32 v75, 0
	v_mov_b32_e32 v74, 0
	;; [unrolled: 1-line block ×16, first 2 shown]
	s_and_saveexec_b64 s[8:9], s[0:1]
	s_cbranch_execz .LBB986_10
; %bb.9:
	s_load_dwordx2 s[14:15], s[4:5], 0x38
	s_mul_hi_i32 s29, s19, s6
	s_mul_i32 s28, s19, s6
	s_lshl_b64 s[28:29], s[28:29], 1
	s_mov_b32 s31, 0x20000
	s_waitcnt lgkmcnt(0)
	s_add_u32 s28, s14, s28
	s_addc_u32 s14, s15, s29
	s_and_b32 s29, s14, 0xffff
	v_lshlrev_b32_e32 v38, 5, v0
	buffer_load_dwordx4 v[6:9], v38, s[28:31], 16 offen
	buffer_load_dwordx4 v[10:13], v38, s[28:31], 0 offen
	s_load_dwordx2 s[14:15], s[4:5], 0x20
	s_waitcnt vmcnt(5)
	v_cvt_f32_u32_sdwa v3, v66 dst_sel:DWORD dst_unused:UNUSED_PAD src0_sel:WORD_1
	v_cvt_f32_u32_sdwa v2, v66 dst_sel:DWORD dst_unused:UNUSED_PAD src0_sel:WORD_0
	v_cvt_f32_u32_sdwa v21, v67 dst_sel:DWORD dst_unused:UNUSED_PAD src0_sel:WORD_1
	v_cvt_f32_u32_sdwa v20, v67 dst_sel:DWORD dst_unused:UNUSED_PAD src0_sel:WORD_0
	;; [unrolled: 2-line block ×4, first 2 shown]
	s_waitcnt vmcnt(4)
	v_cvt_f32_u32_sdwa v5, v70 dst_sel:DWORD dst_unused:UNUSED_PAD src0_sel:WORD_1
	v_cvt_f32_u32_sdwa v4, v70 dst_sel:DWORD dst_unused:UNUSED_PAD src0_sel:WORD_0
	v_cvt_f32_u32_sdwa v15, v71 dst_sel:DWORD dst_unused:UNUSED_PAD src0_sel:WORD_1
	v_cvt_f32_u32_sdwa v14, v71 dst_sel:DWORD dst_unused:UNUSED_PAD src0_sel:WORD_0
	;; [unrolled: 2-line block ×3, first 2 shown]
	v_cvt_f32_u32_sdwa v18, v73 dst_sel:DWORD dst_unused:UNUSED_PAD src0_sel:WORD_0
	v_cvt_f32_u32_sdwa v19, v73 dst_sel:DWORD dst_unused:UNUSED_PAD src0_sel:WORD_1
	s_mul_hi_i32 s27, s26, s6
	s_mul_i32 s26, s26, s6
	s_lshl_b64 s[26:27], s[26:27], 1
	s_waitcnt lgkmcnt(0)
	s_add_u32 s28, s14, s26
	s_mov_b32 s17, 0x7060302
	s_addc_u32 s14, s15, s27
	s_and_b32 s29, s14, 0xffff
	s_waitcnt vmcnt(1)
	v_cvt_f32_u32_sdwa v27, v6 dst_sel:DWORD dst_unused:UNUSED_PAD src0_sel:WORD_1
	v_cvt_f32_u32_sdwa v26, v6 dst_sel:DWORD dst_unused:UNUSED_PAD src0_sel:WORD_0
	v_cvt_f32_u32_sdwa v29, v7 dst_sel:DWORD dst_unused:UNUSED_PAD src0_sel:WORD_1
	v_cvt_f32_u32_sdwa v28, v7 dst_sel:DWORD dst_unused:UNUSED_PAD src0_sel:WORD_0
	;; [unrolled: 2-line block ×3, first 2 shown]
	v_cvt_f32_u32_sdwa v34, v9 dst_sel:DWORD dst_unused:UNUSED_PAD src0_sel:WORD_0
	v_cvt_f32_u32_sdwa v35, v9 dst_sel:DWORD dst_unused:UNUSED_PAD src0_sel:WORD_1
	s_waitcnt vmcnt(0)
	v_cvt_f32_u32_sdwa v37, v10 dst_sel:DWORD dst_unused:UNUSED_PAD src0_sel:WORD_1
	v_cvt_f32_u32_sdwa v36, v10 dst_sel:DWORD dst_unused:UNUSED_PAD src0_sel:WORD_0
	v_cvt_f32_u32_sdwa v7, v12 dst_sel:DWORD dst_unused:UNUSED_PAD src0_sel:WORD_1
	v_cvt_f32_u32_sdwa v6, v12 dst_sel:DWORD dst_unused:UNUSED_PAD src0_sel:WORD_0
	;; [unrolled: 2-line block ×4, first 2 shown]
	v_pk_add_f32 v[40:41], v[22:23], v[6:7]
	v_pk_add_f32 v[30:31], v[24:25], v[8:9]
	;; [unrolled: 1-line block ×4, first 2 shown]
	v_perm_b32 v11, v31, v30, s17
	v_perm_b32 v10, v41, v40, s17
	;; [unrolled: 1-line block ×4, first 2 shown]
	v_pk_add_f32 v[74:75], v[18:19], v[34:35]
	v_pk_add_f32 v[20:21], v[16:17], v[32:33]
	;; [unrolled: 1-line block ×4, first 2 shown]
	buffer_store_dwordx4 v[8:11], v38, s[28:31], 0 offen
	;;#ASMSTART
	s_nop 0
	;;#ASMEND
	s_nop 0
	v_perm_b32 v11, v75, v74, s17
	v_perm_b32 v10, v21, v20, s17
	;; [unrolled: 1-line block ×4, first 2 shown]
	buffer_store_dwordx4 v[8:11], v38, s[28:31], 16 offen
	;;#ASMSTART
	s_nop 0
	;;#ASMEND
.LBB986_10:
	s_or_b64 exec, exec, s[8:9]
.LBB986_11:
	v_mul_f32_e32 v4, v3, v3
	v_fmac_f32_e32 v4, v2, v2
	v_fmac_f32_e32 v4, v6, v6
	;; [unrolled: 1-line block ×15, first 2 shown]
	s_nop 1
	v_mov_b32_dpp v5, v4 quad_perm:[1,0,3,2] row_mask:0xf bank_mask:0xf
	v_add_f32_e32 v4, v4, v5
	s_nop 1
	v_mov_b32_dpp v5, v4 quad_perm:[2,3,0,1] row_mask:0xf bank_mask:0xf
	v_add_f32_e32 v4, v4, v5
	s_nop 1
	v_mov_b32_dpp v5, v4 row_half_mirror row_mask:0xf bank_mask:0xf
	v_add_f32_e32 v4, v4, v5
	s_nop 1
	v_mov_b32_dpp v5, v4 row_mirror row_mask:0xf bank_mask:0xf
	v_add_f32_e32 v4, v4, v5
	s_nop 1
	v_mov_b32_dpp v5, v4 row_bcast:15 row_mask:0xf bank_mask:0xf
	v_add_f32_e32 v4, v4, v5
	v_and_b32_e32 v5, 63, v0
	v_cmp_eq_u32_e64 s[8:9], 63, v5
	s_nop 0
	v_mov_b32_dpp v5, v4 row_bcast:31 row_mask:0xf bank_mask:0xf
	s_and_saveexec_b64 s[14:15], s[8:9]
	s_cbranch_execz .LBB986_13
; %bb.12:
	v_add_f32_e32 v4, v4, v5
	v_lshrrev_b32_e32 v5, 4, v0
	v_and_b32_e32 v5, 60, v5
	ds_write_b32 v5, v4 offset:32
.LBB986_13:
	s_or_b64 exec, exec, s[14:15]
	v_and_b32_e32 v4, 7, v0
	v_lshlrev_b32_e32 v34, 2, v4
	s_waitcnt lgkmcnt(0)
	s_barrier
	ds_read_b32 v4, v34 offset:32
	s_load_dwordx2 s[14:15], s[4:5], 0x18
	s_waitcnt lgkmcnt(0)
	v_mov_b32_dpp v5, v4 quad_perm:[1,0,3,2] row_mask:0xf bank_mask:0xf
	v_add_f32_e32 v4, v4, v5
	s_nop 1
	v_mov_b32_dpp v5, v4 quad_perm:[2,3,0,1] row_mask:0xf bank_mask:0xf
	v_add_f32_e32 v4, v4, v5
	s_nop 1
	v_mov_b32_dpp v5, v4 row_half_mirror row_mask:0xf bank_mask:0xf
	s_and_saveexec_b64 s[26:27], s[0:1]
	s_cbranch_execnz .LBB986_18
; %bb.14:
	s_or_b64 exec, exec, s[26:27]
	s_mov_b64 s[2:3], -1
	s_and_b64 vcc, exec, s[22:23]
	s_cbranch_vccnz .LBB986_19
.LBB986_15:
	s_andn2_b64 vcc, exec, s[2:3]
	s_cbranch_vccz .LBB986_22
.LBB986_16:
	s_cmp_lt_i32 s16, 1
	s_cbranch_scc0 .LBB986_25
.LBB986_17:
	s_endpgm
.LBB986_18:
	v_add_f32_e32 v4, v4, v5
	v_cvt_f32_u32_e32 v5, s7
	s_waitcnt vmcnt(1)
	v_cvt_f32_u32_sdwa v15, v62 dst_sel:DWORD dst_unused:UNUSED_PAD src0_sel:WORD_1
	v_cvt_f32_u32_sdwa v14, v62 dst_sel:DWORD dst_unused:UNUSED_PAD src0_sel:WORD_0
	v_cvt_f32_u32_sdwa v23, v65 dst_sel:DWORD dst_unused:UNUSED_PAD src0_sel:WORD_1
	v_div_scale_f32 v8, s[28:29], v5, v5, v4
	v_rcp_f32_e32 v9, v8
	v_pk_add_f32 v[14:15], v[14:15], 1.0 op_sel_hi:[1,0]
	v_cvt_f32_u32_sdwa v22, v65 dst_sel:DWORD dst_unused:UNUSED_PAD src0_sel:WORD_0
	s_waitcnt vmcnt(0)
	v_cvt_f32_u32_sdwa v27, v60 dst_sel:DWORD dst_unused:UNUSED_PAD src0_sel:WORD_1
	v_fma_f32 v10, -v8, v9, 1.0
	v_fmac_f32_e32 v9, v10, v9
	v_div_scale_f32 v10, vcc, v4, v5, v4
	v_mul_f32_e32 v11, v10, v9
	v_fma_f32 v12, -v8, v11, v10
	v_fmac_f32_e32 v11, v12, v9
	v_fma_f32 v8, -v8, v11, v10
	v_div_fmas_f32 v8, v8, v9, v11
	v_div_fixup_f32 v4, v8, v5, v4
	v_mov_b32_e32 v5, s13
	v_mov_b32_e32 v8, s12
	v_cndmask_b32_e64 v5, v5, v8, s[2:3]
	v_add_f32_e32 v4, v5, v4
	s_mov_b32 s2, 0x800000
	v_mul_f32_e32 v5, 0x4b800000, v4
	v_cmp_gt_f32_e32 vcc, s2, v4
	v_cndmask_b32_e32 v4, v4, v5, vcc
	v_rsq_f32_e32 v4, v4
	v_cvt_f32_u32_sdwa v26, v60 dst_sel:DWORD dst_unused:UNUSED_PAD src0_sel:WORD_0
	v_cvt_f32_u32_sdwa v29, v61 dst_sel:DWORD dst_unused:UNUSED_PAD src0_sel:WORD_1
	v_cvt_f32_u32_sdwa v28, v61 dst_sel:DWORD dst_unused:UNUSED_PAD src0_sel:WORD_0
	v_mul_f32_e32 v5, 0x45800000, v4
	v_cndmask_b32_e32 v4, v4, v5, vcc
	v_mov_b32_e32 v5, v4
	;;#ASMSTART
	v_pk_mul_f32 v[2:3], v[2:3], v[4:5]
	;;#ASMEND
	;;#ASMSTART
	v_pk_mul_f32 v[6:7], v[6:7], v[4:5]
	;;#ASMEND
	;; [unrolled: 3-line block ×9, first 2 shown]
	v_cvt_f32_u32_sdwa v15, v63 dst_sel:DWORD dst_unused:UNUSED_PAD src0_sel:WORD_1
	v_cvt_f32_u32_sdwa v14, v63 dst_sel:DWORD dst_unused:UNUSED_PAD src0_sel:WORD_0
	v_cvt_f32_u32_sdwa v21, v64 dst_sel:DWORD dst_unused:UNUSED_PAD src0_sel:WORD_1
	v_cvt_f32_u32_sdwa v20, v64 dst_sel:DWORD dst_unused:UNUSED_PAD src0_sel:WORD_0
	v_cvt_f32_u32_sdwa v25, v59 dst_sel:DWORD dst_unused:UNUSED_PAD src0_sel:WORD_1
	v_pk_add_f32 v[14:15], v[14:15], 1.0 op_sel_hi:[1,0]
	v_cvt_f32_u32_sdwa v24, v59 dst_sel:DWORD dst_unused:UNUSED_PAD src0_sel:WORD_0
	;;#ASMSTART
	v_pk_mul_f32 v[6:7], v[6:7], v[14:15]
	;;#ASMEND
	v_pk_add_f32 v[14:15], v[20:21], 1.0 op_sel_hi:[1,0]
	v_pk_add_f32 v[20:21], v[22:23], 1.0 op_sel_hi:[1,0]
	v_cvt_f32_u32_sdwa v23, v58 dst_sel:DWORD dst_unused:UNUSED_PAD src0_sel:WORD_1
	v_cvt_f32_u32_sdwa v22, v58 dst_sel:DWORD dst_unused:UNUSED_PAD src0_sel:WORD_0
	v_pk_add_f32 v[24:25], v[24:25], 1.0 op_sel_hi:[1,0]
	v_pk_add_f32 v[26:27], v[26:27], 1.0 op_sel_hi:[1,0]
	;; [unrolled: 1-line block ×4, first 2 shown]
	;;#ASMSTART
	v_pk_mul_f32 v[40:41], v[8:9], v[14:15]
	;;#ASMEND
	;;#ASMSTART
	v_pk_mul_f32 v[30:31], v[10:11], v[20:21]
	;;#ASMEND
	;; [unrolled: 3-line block ×6, first 2 shown]
	s_or_b64 exec, exec, s[26:27]
	s_mov_b64 s[2:3], -1
	s_and_b64 vcc, exec, s[22:23]
	s_cbranch_vccz .LBB986_15
.LBB986_19:
	s_and_saveexec_b64 s[2:3], s[0:1]
	s_cbranch_execz .LBB986_21
; %bb.20:
	s_mul_hi_i32 s23, s25, s6
	s_mul_i32 s22, s25, s6
	s_lshl_b64 s[22:23], s[22:23], 1
	s_add_u32 s28, s14, s22
	s_addc_u32 s7, s15, s23
	s_and_b32 s29, s7, 0xffff
	s_mov_b32 s7, 0x7060302
	s_mov_b32 s31, 0x20000
	v_perm_b32 v11, v31, v30, s7
	v_perm_b32 v10, v41, v40, s7
	;; [unrolled: 1-line block ×4, first 2 shown]
	v_lshlrev_b32_e32 v4, 5, v0
	buffer_store_dwordx4 v[8:11], v4, s[28:31], 0 offen
	;;#ASMSTART
	s_nop 0
	;;#ASMEND
	s_nop 0
	v_perm_b32 v11, v75, v74, s7
	v_perm_b32 v10, v21, v20, s7
	;; [unrolled: 1-line block ×4, first 2 shown]
	buffer_store_dwordx4 v[8:11], v4, s[28:31], 16 offen
	;;#ASMSTART
	s_nop 0
	;;#ASMEND
.LBB986_21:
	s_or_b64 exec, exec, s[2:3]
	s_cbranch_execnz .LBB986_16
.LBB986_22:
	s_and_saveexec_b64 s[2:3], s[0:1]
	s_cbranch_execz .LBB986_24
; %bb.23:
	s_load_dwordx2 s[0:1], s[4:5], 0x10
	s_mul_hi_i32 s23, s24, s6
	s_mul_i32 s22, s24, s6
	s_lshl_b64 s[22:23], s[22:23], 1
	s_mov_b32 s7, 0x7060302
	s_waitcnt lgkmcnt(0)
	s_add_u32 s28, s0, s22
	s_addc_u32 s0, s1, s23
	v_perm_b32 v9, v31, v30, s7
	v_perm_b32 v8, v41, v40, s7
	v_perm_b32 v7, v7, v6, s7
	v_perm_b32 v6, v3, v2, s7
	s_and_b32 s29, s0, 0xffff
	s_mov_b32 s31, 0x20000
	v_lshlrev_b32_e32 v10, 5, v0
	v_perm_b32 v5, v75, v74, s7
	v_perm_b32 v4, v21, v20, s7
	;; [unrolled: 1-line block ×4, first 2 shown]
	buffer_store_dwordx4 v[6:9], v10, s[28:31], 0 offen
	;;#ASMSTART
	s_nop 0
	;;#ASMEND
	buffer_store_dwordx4 v[2:5], v10, s[28:31], 16 offen
	;;#ASMSTART
	s_nop 0
	;;#ASMEND
.LBB986_24:
	s_or_b64 exec, exec, s[2:3]
	s_cmp_lt_i32 s16, 1
	s_cbranch_scc1 .LBB986_17
.LBB986_25:
	s_load_dword s0, s[4:5], 0x94
	s_waitcnt lgkmcnt(0)
	s_cmp_lg_u32 s0, 1
	s_cbranch_scc1 .LBB986_17
; %bb.26:
	s_lshl_b32 s0, s16, 1
	s_add_i32 s0, s0, 2
	v_cmp_gt_u32_e32 vcc, s16, v1
	s_and_b32 s22, s0, -4
	v_mov_b32_e32 v18, 0
	v_lshlrev_b32_e32 v1, 5, v0
	v_mov_b32_e32 v14, 0
	v_mov_b32_e32 v15, 0
	;; [unrolled: 1-line block ×16, first 2 shown]
	s_barrier
	s_and_saveexec_b64 s[0:1], vcc
	s_cbranch_execz .LBB986_28
; %bb.27:
	s_mul_hi_i32 s3, s18, s6
	s_mul_i32 s2, s18, s6
	s_and_b32 s21, s21, 0xffff
	s_lshl_b64 s[2:3], s[2:3], 1
	s_add_u32 s28, s10, s2
	s_mov_b32 s23, 0x20000
	s_addc_u32 s2, s11, s3
	s_and_b32 s29, s2, 0xffff
	s_mov_b32 s30, s22
	s_mov_b32 s31, s23
	buffer_load_dwordx4 v[14:17], v1, s[28:31], 0 offen
	buffer_load_dwordx4 v[10:13], v1, s[28:31], 16 offen
	;; [unrolled: 1-line block ×4, first 2 shown]
.LBB986_28:
	s_or_b64 exec, exec, s[0:1]
	v_mov_b32_e32 v19, 0
	v_mov_b32_e32 v32, 0
	;; [unrolled: 1-line block ×15, first 2 shown]
	s_and_saveexec_b64 s[0:1], vcc
	s_cbranch_execz .LBB986_30
; %bb.29:
	s_waitcnt vmcnt(3)
	v_cvt_f32_u32_sdwa v18, v14 dst_sel:DWORD dst_unused:UNUSED_PAD src0_sel:WORD_0
	v_cvt_f32_u32_sdwa v19, v14 dst_sel:DWORD dst_unused:UNUSED_PAD src0_sel:WORD_1
	v_cvt_f32_u32_sdwa v32, v15 dst_sel:DWORD dst_unused:UNUSED_PAD src0_sel:WORD_0
	v_cvt_f32_u32_sdwa v33, v15 dst_sel:DWORD dst_unused:UNUSED_PAD src0_sel:WORD_1
	;; [unrolled: 2-line block ×4, first 2 shown]
	s_waitcnt vmcnt(2)
	v_cvt_f32_u32_sdwa v26, v10 dst_sel:DWORD dst_unused:UNUSED_PAD src0_sel:WORD_0
	v_cvt_f32_u32_sdwa v27, v10 dst_sel:DWORD dst_unused:UNUSED_PAD src0_sel:WORD_1
	v_cvt_f32_u32_sdwa v24, v11 dst_sel:DWORD dst_unused:UNUSED_PAD src0_sel:WORD_0
	v_cvt_f32_u32_sdwa v25, v11 dst_sel:DWORD dst_unused:UNUSED_PAD src0_sel:WORD_1
	;; [unrolled: 2-line block ×4, first 2 shown]
.LBB986_30:
	s_or_b64 exec, exec, s[0:1]
	s_waitcnt vmcnt(2)
	v_mul_f32_e32 v10, v19, v19
	v_fmac_f32_e32 v10, v18, v18
	v_fmac_f32_e32 v10, v32, v32
	;; [unrolled: 1-line block ×15, first 2 shown]
	s_nop 1
	v_mov_b32_dpp v11, v10 quad_perm:[1,0,3,2] row_mask:0xf bank_mask:0xf
	v_add_f32_e32 v10, v10, v11
	s_nop 1
	v_mov_b32_dpp v11, v10 quad_perm:[2,3,0,1] row_mask:0xf bank_mask:0xf
	v_add_f32_e32 v10, v10, v11
	s_nop 1
	v_mov_b32_dpp v11, v10 row_half_mirror row_mask:0xf bank_mask:0xf
	v_add_f32_e32 v10, v10, v11
	s_nop 1
	v_mov_b32_dpp v11, v10 row_mirror row_mask:0xf bank_mask:0xf
	v_add_f32_e32 v10, v10, v11
	s_nop 1
	v_mov_b32_dpp v11, v10 row_bcast:15 row_mask:0xf bank_mask:0xf
	v_add_f32_e32 v10, v10, v11
	s_nop 1
	v_mov_b32_dpp v11, v10 row_bcast:31 row_mask:0xf bank_mask:0xf
	s_and_saveexec_b64 s[0:1], s[8:9]
	s_cbranch_execz .LBB986_32
; %bb.31:
	v_lshrrev_b32_e32 v0, 4, v0
	v_add_f32_e32 v10, v10, v11
	v_and_b32_e32 v0, 60, v0
	ds_write_b32 v0, v10
.LBB986_32:
	s_or_b64 exec, exec, s[0:1]
	s_waitcnt lgkmcnt(0)
	s_barrier
	ds_read_b32 v0, v34
	s_waitcnt lgkmcnt(0)
	s_nop 0
	v_mov_b32_dpp v10, v0 quad_perm:[1,0,3,2] row_mask:0xf bank_mask:0xf
	v_add_f32_e32 v0, v0, v10
	s_nop 1
	v_mov_b32_dpp v10, v0 quad_perm:[2,3,0,1] row_mask:0xf bank_mask:0xf
	v_add_f32_e32 v0, v0, v10
	s_nop 1
	v_mov_b32_dpp v10, v0 row_half_mirror row_mask:0xf bank_mask:0xf
	s_and_saveexec_b64 s[0:1], vcc
	s_cbranch_execz .LBB986_17
; %bb.33:
	v_cvt_f32_u32_e32 v11, s16
	v_add_f32_e32 v0, v0, v10
	s_mov_b32 s23, 0x20000
	v_div_scale_f32 v10, s[0:1], v11, v11, v0
	v_rcp_f32_e32 v12, v10
	v_div_scale_f32 v13, vcc, v0, v11, v0
	s_mov_b32 s0, 0x800000
	v_fma_f32 v14, -v10, v12, 1.0
	v_fmac_f32_e32 v12, v14, v12
	v_mul_f32_e32 v14, v13, v12
	v_fma_f32 v15, -v10, v14, v13
	v_fmac_f32_e32 v14, v15, v12
	v_fma_f32 v10, -v10, v14, v13
	v_div_fmas_f32 v10, v10, v12, v14
	v_div_fixup_f32 v0, v10, v11, v0
	v_add_f32_e32 v0, s13, v0
	v_mul_f32_e32 v10, 0x4b800000, v0
	v_cmp_gt_f32_e32 vcc, s0, v0
	v_cndmask_b32_e32 v0, v0, v10, vcc
	v_rsq_f32_e32 v0, v0
	s_mul_hi_i32 s1, s25, s6
	s_mul_i32 s0, s25, s6
	s_lshl_b64 s[0:1], s[0:1], 1
	v_mul_f32_e32 v10, 0x45800000, v0
	v_cndmask_b32_e32 v10, v0, v10, vcc
	v_mov_b32_e32 v11, v10
	;;#ASMSTART
	v_pk_mul_f32 v[12:13], v[18:19], v[10:11]
	;;#ASMEND
	;;#ASMSTART
	v_pk_mul_f32 v[14:15], v[32:33], v[10:11]
	;;#ASMEND
	;; [unrolled: 3-line block ×4, first 2 shown]
	s_waitcnt vmcnt(1)
	v_cvt_f32_u32_sdwa v29, v6 dst_sel:DWORD dst_unused:UNUSED_PAD src0_sel:WORD_1
	v_cvt_f32_u32_sdwa v28, v6 dst_sel:DWORD dst_unused:UNUSED_PAD src0_sel:WORD_0
	v_cvt_f32_u32_sdwa v31, v7 dst_sel:DWORD dst_unused:UNUSED_PAD src0_sel:WORD_1
	v_cvt_f32_u32_sdwa v30, v7 dst_sel:DWORD dst_unused:UNUSED_PAD src0_sel:WORD_0
	;;#ASMSTART
	v_pk_mul_f32 v[26:27], v[26:27], v[10:11]
	;;#ASMEND
	;;#ASMSTART
	v_pk_mul_f32 v[24:25], v[24:25], v[10:11]
	;;#ASMEND
	;; [unrolled: 3-line block ×4, first 2 shown]
	v_cvt_f32_u32_sdwa v21, v8 dst_sel:DWORD dst_unused:UNUSED_PAD src0_sel:WORD_1
	v_cvt_f32_u32_sdwa v20, v8 dst_sel:DWORD dst_unused:UNUSED_PAD src0_sel:WORD_0
	v_pk_add_f32 v[10:11], v[28:29], 1.0 op_sel_hi:[1,0]
	;;#ASMSTART
	v_pk_mul_f32 v[10:11], v[12:13], v[10:11]
	;;#ASMEND
	v_pk_add_f32 v[12:13], v[30:31], 1.0 op_sel_hi:[1,0]
	v_cvt_f32_u32_sdwa v29, v9 dst_sel:DWORD dst_unused:UNUSED_PAD src0_sel:WORD_1
	v_cvt_f32_u32_sdwa v28, v9 dst_sel:DWORD dst_unused:UNUSED_PAD src0_sel:WORD_0
	;;#ASMSTART
	v_pk_mul_f32 v[8:9], v[14:15], v[12:13]
	;;#ASMEND
	v_pk_add_f32 v[12:13], v[20:21], 1.0 op_sel_hi:[1,0]
	;;#ASMSTART
	v_pk_mul_f32 v[12:13], v[16:17], v[12:13]
	;;#ASMEND
	s_waitcnt vmcnt(0)
	v_cvt_f32_u32_sdwa v17, v2 dst_sel:DWORD dst_unused:UNUSED_PAD src0_sel:WORD_1
	v_cvt_f32_u32_sdwa v16, v2 dst_sel:DWORD dst_unused:UNUSED_PAD src0_sel:WORD_0
	v_cvt_f32_u32_sdwa v21, v3 dst_sel:DWORD dst_unused:UNUSED_PAD src0_sel:WORD_1
	v_cvt_f32_u32_sdwa v20, v3 dst_sel:DWORD dst_unused:UNUSED_PAD src0_sel:WORD_0
	v_pk_add_f32 v[14:15], v[28:29], 1.0 op_sel_hi:[1,0]
	;;#ASMSTART
	v_pk_mul_f32 v[14:15], v[18:19], v[14:15]
	;;#ASMEND
	v_pk_add_f32 v[2:3], v[16:17], 1.0 op_sel_hi:[1,0]
	v_cvt_f32_u32_sdwa v19, v4 dst_sel:DWORD dst_unused:UNUSED_PAD src0_sel:WORD_1
	v_cvt_f32_u32_sdwa v18, v4 dst_sel:DWORD dst_unused:UNUSED_PAD src0_sel:WORD_0
	;;#ASMSTART
	v_pk_mul_f32 v[16:17], v[26:27], v[2:3]
	;;#ASMEND
	v_pk_add_f32 v[2:3], v[20:21], 1.0 op_sel_hi:[1,0]
	v_cvt_f32_u32_sdwa v21, v5 dst_sel:DWORD dst_unused:UNUSED_PAD src0_sel:WORD_1
	v_cvt_f32_u32_sdwa v20, v5 dst_sel:DWORD dst_unused:UNUSED_PAD src0_sel:WORD_0
	s_add_u32 s20, s14, s0
	;;#ASMSTART
	v_pk_mul_f32 v[24:25], v[24:25], v[2:3]
	;;#ASMEND
	v_pk_add_f32 v[2:3], v[18:19], 1.0 op_sel_hi:[1,0]
	s_addc_u32 s0, s15, s1
	;;#ASMSTART
	v_pk_mul_f32 v[18:19], v[22:23], v[2:3]
	;;#ASMEND
	v_pk_add_f32 v[2:3], v[20:21], 1.0 op_sel_hi:[1,0]
	s_and_b32 s21, s0, 0xffff
	s_mov_b32 s0, 0x7060302
	;;#ASMSTART
	v_pk_mul_f32 v[6:7], v[6:7], v[2:3]
	;;#ASMEND
	v_perm_b32 v2, v11, v10, s0
	v_perm_b32 v3, v9, v8, s0
	;; [unrolled: 1-line block ×4, first 2 shown]
	buffer_store_dwordx4 v[2:5], v1, s[20:23], 0 offen
	;;#ASMSTART
	s_nop 0
	;;#ASMEND
	s_nop 0
	v_perm_b32 v2, v17, v16, s0
	v_perm_b32 v3, v25, v24, s0
	;; [unrolled: 1-line block ×4, first 2 shown]
	buffer_store_dwordx4 v[2:5], v1, s[20:23], 16 offen
	;;#ASMSTART
	s_nop 0
	;;#ASMEND
	s_endpgm
	.section	.rodata,"a",@progbits
	.p2align	6, 0x0
	.amdhsa_kernel _ZN5aiter35fused_qk_rmsnorm_group_quant_kernelItDB8_Li512ELi16ELi2ELb1ELb1ELb1ELb1ELb0ELb0EEEvPT0_PvPT_S6_S6_PKS5_S8_S8_S8_S8_ffiiiiiiiiiiiii
		.amdhsa_group_segment_fixed_size 64
		.amdhsa_private_segment_fixed_size 0
		.amdhsa_kernarg_size 400
		.amdhsa_user_sgpr_count 6
		.amdhsa_user_sgpr_private_segment_buffer 1
		.amdhsa_user_sgpr_dispatch_ptr 0
		.amdhsa_user_sgpr_queue_ptr 0
		.amdhsa_user_sgpr_kernarg_segment_ptr 1
		.amdhsa_user_sgpr_dispatch_id 0
		.amdhsa_user_sgpr_flat_scratch_init 0
		.amdhsa_user_sgpr_kernarg_preload_length 0
		.amdhsa_user_sgpr_kernarg_preload_offset 0
		.amdhsa_user_sgpr_private_segment_size 0
		.amdhsa_uses_dynamic_stack 0
		.amdhsa_system_sgpr_private_segment_wavefront_offset 0
		.amdhsa_system_sgpr_workgroup_id_x 1
		.amdhsa_system_sgpr_workgroup_id_y 1
		.amdhsa_system_sgpr_workgroup_id_z 0
		.amdhsa_system_sgpr_workgroup_info 0
		.amdhsa_system_vgpr_workitem_id 0
		.amdhsa_next_free_vgpr 76
		.amdhsa_next_free_sgpr 32
		.amdhsa_accum_offset 76
		.amdhsa_reserve_vcc 1
		.amdhsa_reserve_flat_scratch 0
		.amdhsa_float_round_mode_32 0
		.amdhsa_float_round_mode_16_64 0
		.amdhsa_float_denorm_mode_32 3
		.amdhsa_float_denorm_mode_16_64 3
		.amdhsa_dx10_clamp 1
		.amdhsa_ieee_mode 1
		.amdhsa_fp16_overflow 0
		.amdhsa_tg_split 0
		.amdhsa_exception_fp_ieee_invalid_op 0
		.amdhsa_exception_fp_denorm_src 0
		.amdhsa_exception_fp_ieee_div_zero 0
		.amdhsa_exception_fp_ieee_overflow 0
		.amdhsa_exception_fp_ieee_underflow 0
		.amdhsa_exception_fp_ieee_inexact 0
		.amdhsa_exception_int_div_zero 0
	.end_amdhsa_kernel
	.section	.text._ZN5aiter35fused_qk_rmsnorm_group_quant_kernelItDB8_Li512ELi16ELi2ELb1ELb1ELb1ELb1ELb0ELb0EEEvPT0_PvPT_S6_S6_PKS5_S8_S8_S8_S8_ffiiiiiiiiiiiii,"axG",@progbits,_ZN5aiter35fused_qk_rmsnorm_group_quant_kernelItDB8_Li512ELi16ELi2ELb1ELb1ELb1ELb1ELb0ELb0EEEvPT0_PvPT_S6_S6_PKS5_S8_S8_S8_S8_ffiiiiiiiiiiiii,comdat
.Lfunc_end986:
	.size	_ZN5aiter35fused_qk_rmsnorm_group_quant_kernelItDB8_Li512ELi16ELi2ELb1ELb1ELb1ELb1ELb0ELb0EEEvPT0_PvPT_S6_S6_PKS5_S8_S8_S8_S8_ffiiiiiiiiiiiii, .Lfunc_end986-_ZN5aiter35fused_qk_rmsnorm_group_quant_kernelItDB8_Li512ELi16ELi2ELb1ELb1ELb1ELb1ELb0ELb0EEEvPT0_PvPT_S6_S6_PKS5_S8_S8_S8_S8_ffiiiiiiiiiiiii
                                        ; -- End function
	.section	.AMDGPU.csdata,"",@progbits
; Kernel info:
; codeLenInByte = 3600
; NumSgprs: 36
; NumVgprs: 76
; NumAgprs: 0
; TotalNumVgprs: 76
; ScratchSize: 0
; MemoryBound: 0
; FloatMode: 240
; IeeeMode: 1
; LDSByteSize: 64 bytes/workgroup (compile time only)
; SGPRBlocks: 4
; VGPRBlocks: 9
; NumSGPRsForWavesPerEU: 36
; NumVGPRsForWavesPerEU: 76
; AccumOffset: 76
; Occupancy: 6
; WaveLimiterHint : 0
; COMPUTE_PGM_RSRC2:SCRATCH_EN: 0
; COMPUTE_PGM_RSRC2:USER_SGPR: 6
; COMPUTE_PGM_RSRC2:TRAP_HANDLER: 0
; COMPUTE_PGM_RSRC2:TGID_X_EN: 1
; COMPUTE_PGM_RSRC2:TGID_Y_EN: 1
; COMPUTE_PGM_RSRC2:TGID_Z_EN: 0
; COMPUTE_PGM_RSRC2:TIDIG_COMP_CNT: 0
; COMPUTE_PGM_RSRC3_GFX90A:ACCUM_OFFSET: 18
; COMPUTE_PGM_RSRC3_GFX90A:TG_SPLIT: 0
	.section	.text._ZN5aiter35fused_qk_rmsnorm_group_quant_kernelIDF16_N4opus5fp4_tELi512ELi16ELi2ELb1ELb1ELb1ELb1ELb0ELb0EEEvPT0_PvPT_S7_S7_PKS6_S9_S9_S9_S9_ffiiiiiiiiiiiii,"axG",@progbits,_ZN5aiter35fused_qk_rmsnorm_group_quant_kernelIDF16_N4opus5fp4_tELi512ELi16ELi2ELb1ELb1ELb1ELb1ELb0ELb0EEEvPT0_PvPT_S7_S7_PKS6_S9_S9_S9_S9_ffiiiiiiiiiiiii,comdat
	.protected	_ZN5aiter35fused_qk_rmsnorm_group_quant_kernelIDF16_N4opus5fp4_tELi512ELi16ELi2ELb1ELb1ELb1ELb1ELb0ELb0EEEvPT0_PvPT_S7_S7_PKS6_S9_S9_S9_S9_ffiiiiiiiiiiiii ; -- Begin function _ZN5aiter35fused_qk_rmsnorm_group_quant_kernelIDF16_N4opus5fp4_tELi512ELi16ELi2ELb1ELb1ELb1ELb1ELb0ELb0EEEvPT0_PvPT_S7_S7_PKS6_S9_S9_S9_S9_ffiiiiiiiiiiiii
	.globl	_ZN5aiter35fused_qk_rmsnorm_group_quant_kernelIDF16_N4opus5fp4_tELi512ELi16ELi2ELb1ELb1ELb1ELb1ELb0ELb0EEEvPT0_PvPT_S7_S7_PKS6_S9_S9_S9_S9_ffiiiiiiiiiiiii
	.p2align	8
	.type	_ZN5aiter35fused_qk_rmsnorm_group_quant_kernelIDF16_N4opus5fp4_tELi512ELi16ELi2ELb1ELb1ELb1ELb1ELb0ELb0EEEvPT0_PvPT_S7_S7_PKS6_S9_S9_S9_S9_ffiiiiiiiiiiiii,@function
_ZN5aiter35fused_qk_rmsnorm_group_quant_kernelIDF16_N4opus5fp4_tELi512ELi16ELi2ELb1ELb1ELb1ELb1ELb0ELb0EEEvPT0_PvPT_S7_S7_PKS6_S9_S9_S9_S9_ffiiiiiiiiiiiii: ; @_ZN5aiter35fused_qk_rmsnorm_group_quant_kernelIDF16_N4opus5fp4_tELi512ELi16ELi2ELb1ELb1ELb1ELb1ELb0ELb0EEEvPT0_PvPT_S7_S7_PKS6_S9_S9_S9_S9_ffiiiiiiiiiiiii
; %bb.0:
	s_load_dwordx8 s[12:19], s[4:5], 0x50
	s_waitcnt lgkmcnt(0)
	s_cmp_ge_i32 s6, s14
	s_cbranch_scc1 .LBB987_17
; %bb.1:
	s_cmp_lg_u32 s7, 0
	s_cselect_b64 s[22:23], -1, 0
	s_cmp_eq_u32 s7, 0
	s_cselect_b64 s[2:3], -1, 0
	s_and_b64 s[0:1], s[2:3], exec
	s_cselect_b32 s7, s15, s16
	s_load_dwordx2 s[10:11], s[4:5], 0x30
	s_load_dwordx2 s[20:21], s[4:5], 0x48
	s_add_i32 s0, s7, 1
	s_lshr_b32 s1, s0, 31
	s_add_i32 s0, s0, s1
	s_lshl_b32 s0, s0, 1
	v_lshlrev_b32_e32 v1, 4, v0
	s_and_b32 s30, s0, -4
	v_cmp_gt_i32_e64 s[0:1], s7, v1
	v_mov_b32_e32 v6, 0
	v_mov_b32_e32 v7, 0
	;; [unrolled: 1-line block ×16, first 2 shown]
	s_and_saveexec_b64 s[8:9], s[0:1]
	s_cbranch_execz .LBB987_3
; %bb.2:
	s_load_dwordx2 s[14:15], s[4:5], 0x28
	s_load_dwordx2 s[26:27], s[4:5], 0x40
	s_and_b64 s[24:25], s[2:3], exec
	s_cselect_b32 s17, s17, s18
	s_mov_b32 s31, 0x20000
	s_waitcnt lgkmcnt(0)
	s_cselect_b32 s25, s15, s11
	s_cselect_b32 s24, s14, s10
	s_mul_hi_i32 s15, s17, s6
	s_mul_i32 s14, s17, s6
	s_lshl_b64 s[14:15], s[14:15], 1
	s_add_u32 s24, s24, s14
	s_addc_u32 s17, s25, s15
	s_and_b64 s[14:15], s[2:3], exec
	s_cselect_b32 s28, s26, s20
	s_cselect_b32 s14, s27, s21
	s_and_b32 s25, s17, 0xffff
	s_mov_b32 s26, s30
	s_mov_b32 s27, s31
	v_lshlrev_b32_e32 v18, 5, v0
	s_and_b32 s29, s14, 0xffff
	buffer_load_dwordx4 v[10:13], v18, s[24:27], 0 offen
	buffer_load_dwordx4 v[14:17], v18, s[24:27], 16 offen
	buffer_load_dwordx4 v[6:9], v18, s[28:31], 0 offen
	buffer_load_dwordx4 v[2:5], v18, s[28:31], 16 offen
.LBB987_3:
	s_or_b64 exec, exec, s[8:9]
	s_load_dwordx4 s[24:27], s[4:5], 0x7c
	s_and_b64 vcc, exec, s[22:23]
	s_cbranch_vccz .LBB987_7
; %bb.4:
	v_mov_b32_e32 v19, 0
	v_mov_b32_e32 v18, 0
	;; [unrolled: 1-line block ×16, first 2 shown]
	s_and_saveexec_b64 s[8:9], s[0:1]
	s_cbranch_execz .LBB987_6
; %bb.5:
	s_waitcnt vmcnt(3)
	v_cvt_f32_f16_sdwa v27, v10 dst_sel:DWORD dst_unused:UNUSED_PAD src0_sel:WORD_1
	v_cvt_f32_f16_e32 v26, v10
	v_cvt_f32_f16_sdwa v31, v11 dst_sel:DWORD dst_unused:UNUSED_PAD src0_sel:WORD_1
	v_cvt_f32_f16_e32 v30, v11
	;; [unrolled: 2-line block ×4, first 2 shown]
	s_waitcnt vmcnt(2)
	v_cvt_f32_f16_sdwa v21, v14 dst_sel:DWORD dst_unused:UNUSED_PAD src0_sel:WORD_1
	v_cvt_f32_f16_e32 v20, v14
	v_cvt_f32_f16_sdwa v25, v15 dst_sel:DWORD dst_unused:UNUSED_PAD src0_sel:WORD_1
	v_cvt_f32_f16_e32 v24, v15
	;; [unrolled: 2-line block ×4, first 2 shown]
.LBB987_6:
	s_or_b64 exec, exec, s[8:9]
	s_cbranch_execz .LBB987_8
	s_branch .LBB987_11
.LBB987_7:
                                        ; implicit-def: $vgpr19
                                        ; implicit-def: $vgpr23
                                        ; implicit-def: $vgpr25
                                        ; implicit-def: $vgpr21
                                        ; implicit-def: $vgpr33
                                        ; implicit-def: $vgpr29
                                        ; implicit-def: $vgpr31
                                        ; implicit-def: $vgpr27
.LBB987_8:
	v_mov_b32_e32 v19, 0
	v_mov_b32_e32 v18, 0
	;; [unrolled: 1-line block ×16, first 2 shown]
	s_and_saveexec_b64 s[8:9], s[0:1]
	s_cbranch_execz .LBB987_10
; %bb.9:
	s_load_dwordx2 s[14:15], s[4:5], 0x38
	s_mul_hi_i32 s29, s19, s6
	s_mul_i32 s28, s19, s6
	s_lshl_b64 s[28:29], s[28:29], 1
	s_mov_b32 s31, 0x20000
	s_waitcnt lgkmcnt(0)
	s_add_u32 s28, s14, s28
	s_addc_u32 s14, s15, s29
	s_and_b32 s29, s14, 0xffff
	v_lshlrev_b32_e32 v48, 5, v0
	buffer_load_dwordx4 v[18:21], v48, s[28:31], 16 offen
	buffer_load_dwordx4 v[22:25], v48, s[28:31], 0 offen
	s_waitcnt vmcnt(4)
	v_cvt_f32_f16_sdwa v27, v14 dst_sel:DWORD dst_unused:UNUSED_PAD src0_sel:WORD_1
	v_cvt_f32_f16_e32 v26, v14
	v_cvt_f32_f16_sdwa v29, v15 dst_sel:DWORD dst_unused:UNUSED_PAD src0_sel:WORD_1
	v_cvt_f32_f16_e32 v28, v15
	;; [unrolled: 2-line block ×8, first 2 shown]
	s_load_dwordx2 s[14:15], s[4:5], 0x20
	s_mul_hi_i32 s27, s26, s6
	s_mul_i32 s26, s26, s6
	s_lshl_b64 s[26:27], s[26:27], 1
	s_waitcnt lgkmcnt(0)
	s_add_u32 s28, s14, s26
	s_addc_u32 s14, s15, s27
	s_and_b32 s29, s14, 0xffff
	s_waitcnt vmcnt(1)
	v_cvt_f32_f16_e32 v12, v18
	v_cvt_f32_f16_sdwa v13, v18 dst_sel:DWORD dst_unused:UNUSED_PAD src0_sel:WORD_1
	v_cvt_f32_f16_e32 v18, v19
	v_cvt_f32_f16_sdwa v19, v19 dst_sel:DWORD dst_unused:UNUSED_PAD src0_sel:WORD_1
	;; [unrolled: 2-line block ×4, first 2 shown]
	s_waitcnt vmcnt(0)
	v_cvt_f32_f16_e32 v40, v22
	v_cvt_f32_f16_sdwa v41, v22 dst_sel:DWORD dst_unused:UNUSED_PAD src0_sel:WORD_1
	v_cvt_f32_f16_e32 v42, v23
	v_cvt_f32_f16_sdwa v43, v23 dst_sel:DWORD dst_unused:UNUSED_PAD src0_sel:WORD_1
	;; [unrolled: 2-line block ×4, first 2 shown]
	v_pk_add_f32 v[20:21], v[26:27], v[12:13]
	v_pk_add_f32 v[24:25], v[28:29], v[18:19]
	;; [unrolled: 1-line block ×8, first 2 shown]
	v_cvt_f16_f32_e32 v10, v27
	v_cvt_f16_f32_e32 v14, v26
	;; [unrolled: 1-line block ×16, first 2 shown]
	v_pack_b32_f16 v13, v17, v13
	v_pack_b32_f16 v12, v16, v12
	;; [unrolled: 1-line block ×8, first 2 shown]
	buffer_store_dwordx4 v[10:13], v48, s[28:31], 0 offen
	;;#ASMSTART
	s_nop 0
	;;#ASMEND
	buffer_store_dwordx4 v[14:17], v48, s[28:31], 16 offen
	;;#ASMSTART
	s_nop 0
	;;#ASMEND
.LBB987_10:
	s_or_b64 exec, exec, s[8:9]
.LBB987_11:
	s_waitcnt vmcnt(3)
	v_mul_f32_e32 v10, v27, v27
	v_fmac_f32_e32 v10, v26, v26
	v_fmac_f32_e32 v10, v30, v30
	;; [unrolled: 1-line block ×15, first 2 shown]
	v_and_b32_e32 v12, 63, v0
	v_cmp_eq_u32_e64 s[8:9], 63, v12
	v_mov_b32_dpp v11, v10 quad_perm:[1,0,3,2] row_mask:0xf bank_mask:0xf
	v_add_f32_e32 v10, v10, v11
	s_nop 1
	v_mov_b32_dpp v11, v10 quad_perm:[2,3,0,1] row_mask:0xf bank_mask:0xf
	v_add_f32_e32 v10, v10, v11
	s_nop 1
	v_mov_b32_dpp v11, v10 row_half_mirror row_mask:0xf bank_mask:0xf
	v_add_f32_e32 v10, v10, v11
	s_nop 1
	v_mov_b32_dpp v11, v10 row_mirror row_mask:0xf bank_mask:0xf
	v_add_f32_e32 v10, v10, v11
	s_nop 1
	v_mov_b32_dpp v11, v10 row_bcast:15 row_mask:0xf bank_mask:0xf
	v_add_f32_e32 v10, v10, v11
	s_nop 1
	v_mov_b32_dpp v11, v10 row_bcast:31 row_mask:0xf bank_mask:0xf
	s_and_saveexec_b64 s[14:15], s[8:9]
	s_cbranch_execz .LBB987_13
; %bb.12:
	v_add_f32_e32 v10, v10, v11
	v_lshrrev_b32_e32 v11, 4, v0
	v_and_b32_e32 v11, 60, v11
	ds_write_b32 v11, v10 offset:32
.LBB987_13:
	s_or_b64 exec, exec, s[14:15]
	v_and_b32_e32 v10, 7, v0
	v_lshlrev_b32_e32 v34, 2, v10
	s_waitcnt lgkmcnt(0)
	s_barrier
	ds_read_b32 v10, v34 offset:32
	s_load_dwordx2 s[14:15], s[4:5], 0x18
	s_waitcnt lgkmcnt(0)
	v_mov_b32_dpp v11, v10 quad_perm:[1,0,3,2] row_mask:0xf bank_mask:0xf
	v_add_f32_e32 v10, v10, v11
	s_nop 1
	v_mov_b32_dpp v11, v10 quad_perm:[2,3,0,1] row_mask:0xf bank_mask:0xf
	v_add_f32_e32 v10, v10, v11
	s_nop 1
	v_mov_b32_dpp v11, v10 row_half_mirror row_mask:0xf bank_mask:0xf
	s_and_saveexec_b64 s[26:27], s[0:1]
	s_cbranch_execnz .LBB987_18
; %bb.14:
	s_or_b64 exec, exec, s[26:27]
	s_mov_b64 s[2:3], -1
	s_and_b64 vcc, exec, s[22:23]
	s_cbranch_vccnz .LBB987_19
.LBB987_15:
	s_andn2_b64 vcc, exec, s[2:3]
	s_cbranch_vccz .LBB987_22
.LBB987_16:
	s_cmp_lt_i32 s16, 1
	s_cbranch_scc0 .LBB987_25
.LBB987_17:
	s_endpgm
.LBB987_18:
	v_cvt_f32_u32_e32 v12, s7
	v_add_f32_e32 v10, v10, v11
	s_waitcnt vmcnt(2)
	v_mov_b32_e32 v14, s13
	v_mov_b32_e32 v15, s12
	v_div_scale_f32 v11, s[28:29], v12, v12, v10
	v_rcp_f32_e32 v13, v11
	v_cndmask_b32_e64 v14, v14, v15, s[2:3]
	s_mov_b32 s2, 0x800000
	v_fma_f32 v15, -v11, v13, 1.0
	v_fmac_f32_e32 v13, v15, v13
	v_div_scale_f32 v15, vcc, v10, v12, v10
	v_mul_f32_e32 v16, v15, v13
	v_fma_f32 v17, -v11, v16, v15
	v_fmac_f32_e32 v16, v17, v13
	v_fma_f32 v11, -v11, v16, v15
	v_div_fmas_f32 v11, v11, v13, v16
	v_div_fixup_f32 v10, v11, v12, v10
	v_add_f32_e32 v10, v14, v10
	v_mul_f32_e32 v11, 0x4b800000, v10
	v_cmp_gt_f32_e32 vcc, s2, v10
	v_cndmask_b32_e32 v10, v10, v11, vcc
	v_rsq_f32_e32 v10, v10
	v_mul_f32_e32 v11, 0x45800000, v10
	v_cndmask_b32_e32 v10, v10, v11, vcc
	v_mov_b32_e32 v11, v10
	;;#ASMSTART
	v_pk_mul_f32 v[12:13], v[26:27], v[10:11]
	;;#ASMEND
	s_waitcnt vmcnt(1)
	v_cvt_f32_f16_sdwa v27, v6 dst_sel:DWORD dst_unused:UNUSED_PAD src0_sel:WORD_1
	v_cvt_f32_f16_e32 v26, v6
	;;#ASMSTART
	v_pk_mul_f32 v[14:15], v[30:31], v[10:11]
	;;#ASMEND
	;;#ASMSTART
	v_pk_mul_f32 v[16:17], v[28:29], v[10:11]
	;;#ASMEND
	v_cvt_f32_f16_sdwa v29, v7 dst_sel:DWORD dst_unused:UNUSED_PAD src0_sel:WORD_1
	v_cvt_f32_f16_e32 v28, v7
	;;#ASMSTART
	v_pk_mul_f32 v[32:33], v[32:33], v[10:11]
	;;#ASMEND
	;;#ASMSTART
	v_pk_mul_f32 v[20:21], v[20:21], v[10:11]
	;;#ASMEND
	;; [unrolled: 3-line block ×5, first 2 shown]
	v_pk_add_f32 v[10:11], v[26:27], 1.0 op_sel_hi:[1,0]
	;;#ASMSTART
	v_pk_mul_f32 v[26:27], v[12:13], v[10:11]
	;;#ASMEND
	v_cvt_f32_f16_sdwa v13, v8 dst_sel:DWORD dst_unused:UNUSED_PAD src0_sel:WORD_1
	v_cvt_f32_f16_e32 v12, v8
	v_cvt_f32_f16_sdwa v19, v9 dst_sel:DWORD dst_unused:UNUSED_PAD src0_sel:WORD_1
	v_cvt_f32_f16_e32 v18, v9
	v_pk_add_f32 v[10:11], v[28:29], 1.0 op_sel_hi:[1,0]
	;;#ASMSTART
	v_pk_mul_f32 v[30:31], v[14:15], v[10:11]
	;;#ASMEND
	s_waitcnt vmcnt(0)
	v_cvt_f32_f16_sdwa v11, v2 dst_sel:DWORD dst_unused:UNUSED_PAD src0_sel:WORD_1
	v_cvt_f32_f16_e32 v10, v2
	v_pk_add_f32 v[8:9], v[12:13], 1.0 op_sel_hi:[1,0]
	;;#ASMSTART
	v_pk_mul_f32 v[28:29], v[16:17], v[8:9]
	;;#ASMEND
	v_pk_add_f32 v[8:9], v[18:19], 1.0 op_sel_hi:[1,0]
	v_cvt_f32_f16_sdwa v13, v3 dst_sel:DWORD dst_unused:UNUSED_PAD src0_sel:WORD_1
	v_cvt_f32_f16_e32 v12, v3
	;;#ASMSTART
	v_pk_mul_f32 v[32:33], v[32:33], v[8:9]
	;;#ASMEND
	v_cvt_f32_f16_sdwa v9, v4 dst_sel:DWORD dst_unused:UNUSED_PAD src0_sel:WORD_1
	v_cvt_f32_f16_e32 v8, v4
	v_pk_add_f32 v[2:3], v[10:11], 1.0 op_sel_hi:[1,0]
	v_cvt_f32_f16_sdwa v11, v5 dst_sel:DWORD dst_unused:UNUSED_PAD src0_sel:WORD_1
	v_cvt_f32_f16_e32 v10, v5
	;;#ASMSTART
	v_pk_mul_f32 v[20:21], v[20:21], v[2:3]
	;;#ASMEND
	v_pk_add_f32 v[2:3], v[12:13], 1.0 op_sel_hi:[1,0]
	;;#ASMSTART
	v_pk_mul_f32 v[24:25], v[24:25], v[2:3]
	;;#ASMEND
	v_pk_add_f32 v[2:3], v[8:9], 1.0 op_sel_hi:[1,0]
	;; [unrolled: 4-line block ×3, first 2 shown]
	;;#ASMSTART
	v_pk_mul_f32 v[18:19], v[6:7], v[2:3]
	;;#ASMEND
	s_or_b64 exec, exec, s[26:27]
	s_mov_b64 s[2:3], -1
	s_and_b64 vcc, exec, s[22:23]
	s_cbranch_vccz .LBB987_15
.LBB987_19:
	s_and_saveexec_b64 s[2:3], s[0:1]
	s_cbranch_execz .LBB987_21
; %bb.20:
	s_mul_hi_i32 s23, s25, s6
	s_mul_i32 s22, s25, s6
	s_waitcnt vmcnt(0)
	v_cvt_f16_f32_e32 v2, v26
	v_cvt_f16_f32_e32 v3, v30
	;; [unrolled: 1-line block ×8, first 2 shown]
	s_lshl_b64 s[22:23], s[22:23], 1
	s_add_u32 s28, s14, s22
	s_addc_u32 s7, s15, s23
	s_and_b32 s29, s7, 0xffff
	s_mov_b32 s31, 0x20000
	v_pack_b32_f16 v5, v5, v6
	v_pack_b32_f16 v4, v4, v7
	;; [unrolled: 1-line block ×4, first 2 shown]
	v_lshlrev_b32_e32 v6, 5, v0
	buffer_store_dwordx4 v[2:5], v6, s[28:31], 0 offen
	v_cvt_f16_f32_e32 v7, v19
	v_cvt_f16_f32_e32 v2, v20
	;; [unrolled: 1-line block ×8, first 2 shown]
	v_pack_b32_f16 v5, v5, v7
	v_pack_b32_f16 v4, v4, v8
	v_pack_b32_f16 v3, v3, v9
	v_pack_b32_f16 v2, v2, v10
	;;#ASMSTART
	s_nop 0
	;;#ASMEND
	buffer_store_dwordx4 v[2:5], v6, s[28:31], 16 offen
	;;#ASMSTART
	s_nop 0
	;;#ASMEND
.LBB987_21:
	s_or_b64 exec, exec, s[2:3]
	s_cbranch_execnz .LBB987_16
.LBB987_22:
	s_and_saveexec_b64 s[2:3], s[0:1]
	s_cbranch_execz .LBB987_24
; %bb.23:
	s_load_dwordx2 s[0:1], s[4:5], 0x10
	s_mul_hi_i32 s23, s24, s6
	s_mul_i32 s22, s24, s6
	s_waitcnt vmcnt(0)
	v_cvt_f16_f32_e32 v2, v26
	v_cvt_f16_f32_e32 v3, v30
	;; [unrolled: 1-line block ×8, first 2 shown]
	s_lshl_b64 s[22:23], s[22:23], 1
	s_waitcnt lgkmcnt(0)
	s_add_u32 s28, s0, s22
	s_addc_u32 s0, s1, s23
	s_mov_b32 s31, 0x20000
	s_and_b32 s29, s0, 0xffff
	v_pack_b32_f16 v5, v5, v6
	v_pack_b32_f16 v4, v4, v7
	;; [unrolled: 1-line block ×4, first 2 shown]
	v_lshlrev_b32_e32 v6, 5, v0
	buffer_store_dwordx4 v[2:5], v6, s[28:31], 0 offen
	v_cvt_f16_f32_e32 v7, v19
	v_cvt_f16_f32_e32 v2, v20
	;; [unrolled: 1-line block ×8, first 2 shown]
	v_pack_b32_f16 v5, v5, v7
	v_pack_b32_f16 v4, v4, v8
	;; [unrolled: 1-line block ×4, first 2 shown]
	;;#ASMSTART
	s_nop 0
	;;#ASMEND
	buffer_store_dwordx4 v[2:5], v6, s[28:31], 16 offen
	;;#ASMSTART
	s_nop 0
	;;#ASMEND
.LBB987_24:
	s_or_b64 exec, exec, s[2:3]
	s_cmp_lt_i32 s16, 1
	s_cbranch_scc1 .LBB987_17
.LBB987_25:
	s_load_dword s0, s[4:5], 0x94
	s_waitcnt lgkmcnt(0)
	s_cmp_lg_u32 s0, 1
	s_cbranch_scc1 .LBB987_17
; %bb.26:
	s_lshl_b32 s0, s16, 1
	s_add_i32 s0, s0, 2
	v_cmp_gt_u32_e32 vcc, s16, v1
	s_and_b32 s22, s0, -4
	v_mov_b32_e32 v18, 0
	v_lshlrev_b32_e32 v1, 5, v0
	s_waitcnt vmcnt(2)
	v_mov_b32_e32 v14, 0
	v_mov_b32_e32 v15, 0
	;; [unrolled: 1-line block ×8, first 2 shown]
	s_waitcnt vmcnt(1)
	v_mov_b32_e32 v6, 0
	v_mov_b32_e32 v7, 0
	;; [unrolled: 1-line block ×4, first 2 shown]
	s_waitcnt vmcnt(0)
	v_mov_b32_e32 v2, 0
	v_mov_b32_e32 v3, 0
	;; [unrolled: 1-line block ×4, first 2 shown]
	s_barrier
	s_and_saveexec_b64 s[0:1], vcc
	s_cbranch_execz .LBB987_28
; %bb.27:
	s_mul_hi_i32 s3, s18, s6
	s_mul_i32 s2, s18, s6
	s_and_b32 s21, s21, 0xffff
	s_lshl_b64 s[2:3], s[2:3], 1
	s_add_u32 s28, s10, s2
	s_mov_b32 s23, 0x20000
	s_addc_u32 s2, s11, s3
	s_and_b32 s29, s2, 0xffff
	s_mov_b32 s30, s22
	s_mov_b32 s31, s23
	buffer_load_dwordx4 v[14:17], v1, s[28:31], 0 offen
	buffer_load_dwordx4 v[10:13], v1, s[28:31], 16 offen
	;; [unrolled: 1-line block ×4, first 2 shown]
.LBB987_28:
	s_or_b64 exec, exec, s[0:1]
	v_mov_b32_e32 v19, 0
	v_mov_b32_e32 v32, 0
	;; [unrolled: 1-line block ×15, first 2 shown]
	s_and_saveexec_b64 s[0:1], vcc
	s_cbranch_execz .LBB987_30
; %bb.29:
	s_waitcnt vmcnt(3)
	v_cvt_f32_f16_sdwa v19, v14 dst_sel:DWORD dst_unused:UNUSED_PAD src0_sel:WORD_1
	v_cvt_f32_f16_e32 v18, v14
	v_cvt_f32_f16_sdwa v33, v15 dst_sel:DWORD dst_unused:UNUSED_PAD src0_sel:WORD_1
	v_cvt_f32_f16_e32 v32, v15
	;; [unrolled: 2-line block ×4, first 2 shown]
	s_waitcnt vmcnt(2)
	v_cvt_f32_f16_sdwa v27, v10 dst_sel:DWORD dst_unused:UNUSED_PAD src0_sel:WORD_1
	v_cvt_f32_f16_e32 v26, v10
	v_cvt_f32_f16_sdwa v25, v11 dst_sel:DWORD dst_unused:UNUSED_PAD src0_sel:WORD_1
	v_cvt_f32_f16_e32 v24, v11
	;; [unrolled: 2-line block ×4, first 2 shown]
.LBB987_30:
	s_or_b64 exec, exec, s[0:1]
	s_waitcnt vmcnt(2)
	v_mul_f32_e32 v10, v19, v19
	v_fmac_f32_e32 v10, v18, v18
	v_fmac_f32_e32 v10, v32, v32
	v_fmac_f32_e32 v10, v33, v33
	v_fmac_f32_e32 v10, v30, v30
	v_fmac_f32_e32 v10, v31, v31
	v_fmac_f32_e32 v10, v28, v28
	v_fmac_f32_e32 v10, v29, v29
	v_fmac_f32_e32 v10, v26, v26
	v_fmac_f32_e32 v10, v27, v27
	v_fmac_f32_e32 v10, v24, v24
	v_fmac_f32_e32 v10, v25, v25
	v_fmac_f32_e32 v10, v22, v22
	v_fmac_f32_e32 v10, v23, v23
	v_fmac_f32_e32 v10, v20, v20
	v_fmac_f32_e32 v10, v21, v21
	s_nop 1
	v_mov_b32_dpp v11, v10 quad_perm:[1,0,3,2] row_mask:0xf bank_mask:0xf
	v_add_f32_e32 v10, v10, v11
	s_nop 1
	v_mov_b32_dpp v11, v10 quad_perm:[2,3,0,1] row_mask:0xf bank_mask:0xf
	v_add_f32_e32 v10, v10, v11
	s_nop 1
	v_mov_b32_dpp v11, v10 row_half_mirror row_mask:0xf bank_mask:0xf
	v_add_f32_e32 v10, v10, v11
	s_nop 1
	v_mov_b32_dpp v11, v10 row_mirror row_mask:0xf bank_mask:0xf
	v_add_f32_e32 v10, v10, v11
	s_nop 1
	v_mov_b32_dpp v11, v10 row_bcast:15 row_mask:0xf bank_mask:0xf
	v_add_f32_e32 v10, v10, v11
	s_nop 1
	v_mov_b32_dpp v11, v10 row_bcast:31 row_mask:0xf bank_mask:0xf
	s_and_saveexec_b64 s[0:1], s[8:9]
	s_cbranch_execz .LBB987_32
; %bb.31:
	v_lshrrev_b32_e32 v0, 4, v0
	v_add_f32_e32 v10, v10, v11
	v_and_b32_e32 v0, 60, v0
	ds_write_b32 v0, v10
.LBB987_32:
	s_or_b64 exec, exec, s[0:1]
	s_waitcnt lgkmcnt(0)
	s_barrier
	ds_read_b32 v0, v34
	s_waitcnt lgkmcnt(0)
	s_nop 0
	v_mov_b32_dpp v10, v0 quad_perm:[1,0,3,2] row_mask:0xf bank_mask:0xf
	v_add_f32_e32 v0, v0, v10
	s_nop 1
	v_mov_b32_dpp v10, v0 quad_perm:[2,3,0,1] row_mask:0xf bank_mask:0xf
	v_add_f32_e32 v0, v0, v10
	s_nop 1
	v_mov_b32_dpp v10, v0 row_half_mirror row_mask:0xf bank_mask:0xf
	s_and_saveexec_b64 s[0:1], vcc
	s_cbranch_execz .LBB987_17
; %bb.33:
	v_cvt_f32_u32_e32 v11, s16
	v_add_f32_e32 v0, v0, v10
	s_mov_b32 s23, 0x20000
	v_div_scale_f32 v10, s[0:1], v11, v11, v0
	v_rcp_f32_e32 v12, v10
	v_div_scale_f32 v13, vcc, v0, v11, v0
	s_mov_b32 s0, 0x800000
	v_fma_f32 v14, -v10, v12, 1.0
	v_fmac_f32_e32 v12, v14, v12
	v_mul_f32_e32 v14, v13, v12
	v_fma_f32 v15, -v10, v14, v13
	v_fmac_f32_e32 v14, v15, v12
	v_fma_f32 v10, -v10, v14, v13
	v_div_fmas_f32 v10, v10, v12, v14
	v_div_fixup_f32 v0, v10, v11, v0
	v_add_f32_e32 v0, s13, v0
	v_mul_f32_e32 v10, 0x4b800000, v0
	v_cmp_gt_f32_e32 vcc, s0, v0
	v_cndmask_b32_e32 v0, v0, v10, vcc
	v_rsq_f32_e32 v0, v0
	s_mul_hi_i32 s1, s25, s6
	s_mul_i32 s0, s25, s6
	s_lshl_b64 s[0:1], s[0:1], 1
	v_mul_f32_e32 v10, 0x45800000, v0
	v_cndmask_b32_e32 v10, v0, v10, vcc
	v_mov_b32_e32 v11, v10
	;;#ASMSTART
	v_pk_mul_f32 v[12:13], v[18:19], v[10:11]
	;;#ASMEND
	;;#ASMSTART
	v_pk_mul_f32 v[14:15], v[32:33], v[10:11]
	;;#ASMEND
	;; [unrolled: 3-line block ×4, first 2 shown]
	s_waitcnt vmcnt(1)
	v_cvt_f32_f16_sdwa v29, v6 dst_sel:DWORD dst_unused:UNUSED_PAD src0_sel:WORD_1
	v_cvt_f32_f16_e32 v28, v6
	v_cvt_f32_f16_sdwa v31, v7 dst_sel:DWORD dst_unused:UNUSED_PAD src0_sel:WORD_1
	v_cvt_f32_f16_e32 v30, v7
	;;#ASMSTART
	v_pk_mul_f32 v[26:27], v[26:27], v[10:11]
	;;#ASMEND
	;;#ASMSTART
	v_pk_mul_f32 v[24:25], v[24:25], v[10:11]
	;;#ASMEND
	;; [unrolled: 3-line block ×4, first 2 shown]
	v_cvt_f32_f16_sdwa v21, v8 dst_sel:DWORD dst_unused:UNUSED_PAD src0_sel:WORD_1
	v_cvt_f32_f16_e32 v20, v8
	v_pk_add_f32 v[10:11], v[28:29], 1.0 op_sel_hi:[1,0]
	;;#ASMSTART
	v_pk_mul_f32 v[10:11], v[12:13], v[10:11]
	;;#ASMEND
	v_pk_add_f32 v[12:13], v[30:31], 1.0 op_sel_hi:[1,0]
	v_cvt_f32_f16_sdwa v29, v9 dst_sel:DWORD dst_unused:UNUSED_PAD src0_sel:WORD_1
	v_cvt_f32_f16_e32 v28, v9
	;;#ASMSTART
	v_pk_mul_f32 v[8:9], v[14:15], v[12:13]
	;;#ASMEND
	v_pk_add_f32 v[12:13], v[20:21], 1.0 op_sel_hi:[1,0]
	;;#ASMSTART
	v_pk_mul_f32 v[12:13], v[16:17], v[12:13]
	;;#ASMEND
	s_waitcnt vmcnt(0)
	v_cvt_f32_f16_sdwa v17, v2 dst_sel:DWORD dst_unused:UNUSED_PAD src0_sel:WORD_1
	v_cvt_f32_f16_e32 v16, v2
	v_cvt_f32_f16_sdwa v21, v3 dst_sel:DWORD dst_unused:UNUSED_PAD src0_sel:WORD_1
	v_cvt_f32_f16_e32 v20, v3
	v_pk_add_f32 v[14:15], v[28:29], 1.0 op_sel_hi:[1,0]
	;;#ASMSTART
	v_pk_mul_f32 v[2:3], v[18:19], v[14:15]
	;;#ASMEND
	v_cvt_f32_f16_sdwa v19, v4 dst_sel:DWORD dst_unused:UNUSED_PAD src0_sel:WORD_1
	v_cvt_f32_f16_e32 v18, v4
	v_pk_add_f32 v[14:15], v[16:17], 1.0 op_sel_hi:[1,0]
	v_pk_add_f32 v[16:17], v[20:21], 1.0 op_sel_hi:[1,0]
	v_cvt_f32_f16_sdwa v21, v5 dst_sel:DWORD dst_unused:UNUSED_PAD src0_sel:WORD_1
	v_cvt_f32_f16_e32 v20, v5
	v_pk_add_f32 v[4:5], v[18:19], 1.0 op_sel_hi:[1,0]
	;;#ASMSTART
	v_pk_mul_f32 v[14:15], v[26:27], v[14:15]
	;;#ASMEND
	;;#ASMSTART
	v_pk_mul_f32 v[16:17], v[24:25], v[16:17]
	;;#ASMEND
	;; [unrolled: 3-line block ×3, first 2 shown]
	v_pk_add_f32 v[4:5], v[20:21], 1.0 op_sel_hi:[1,0]
	;;#ASMSTART
	v_pk_mul_f32 v[6:7], v[6:7], v[4:5]
	;;#ASMEND
	v_cvt_f16_f32_e32 v0, v10
	v_cvt_f16_f32_e32 v4, v11
	;; [unrolled: 1-line block ×8, first 2 shown]
	s_add_u32 s20, s14, s0
	s_addc_u32 s0, s15, s1
	s_and_b32 s21, s0, 0xffff
	v_pack_b32_f16 v2, v0, v4
	v_pack_b32_f16 v3, v5, v8
	;; [unrolled: 1-line block ×4, first 2 shown]
	buffer_store_dwordx4 v[2:5], v1, s[20:23], 0 offen
	v_cvt_f16_f32_e32 v0, v14
	v_cvt_f16_f32_e32 v2, v15
	;; [unrolled: 1-line block ×8, first 2 shown]
	v_pack_b32_f16 v2, v0, v2
	v_pack_b32_f16 v3, v3, v4
	;; [unrolled: 1-line block ×4, first 2 shown]
	;;#ASMSTART
	s_nop 0
	;;#ASMEND
	buffer_store_dwordx4 v[2:5], v1, s[20:23], 16 offen
	;;#ASMSTART
	s_nop 0
	;;#ASMEND
	s_endpgm
	.section	.rodata,"a",@progbits
	.p2align	6, 0x0
	.amdhsa_kernel _ZN5aiter35fused_qk_rmsnorm_group_quant_kernelIDF16_N4opus5fp4_tELi512ELi16ELi2ELb1ELb1ELb1ELb1ELb0ELb0EEEvPT0_PvPT_S7_S7_PKS6_S9_S9_S9_S9_ffiiiiiiiiiiiii
		.amdhsa_group_segment_fixed_size 64
		.amdhsa_private_segment_fixed_size 0
		.amdhsa_kernarg_size 400
		.amdhsa_user_sgpr_count 6
		.amdhsa_user_sgpr_private_segment_buffer 1
		.amdhsa_user_sgpr_dispatch_ptr 0
		.amdhsa_user_sgpr_queue_ptr 0
		.amdhsa_user_sgpr_kernarg_segment_ptr 1
		.amdhsa_user_sgpr_dispatch_id 0
		.amdhsa_user_sgpr_flat_scratch_init 0
		.amdhsa_user_sgpr_kernarg_preload_length 0
		.amdhsa_user_sgpr_kernarg_preload_offset 0
		.amdhsa_user_sgpr_private_segment_size 0
		.amdhsa_uses_dynamic_stack 0
		.amdhsa_system_sgpr_private_segment_wavefront_offset 0
		.amdhsa_system_sgpr_workgroup_id_x 1
		.amdhsa_system_sgpr_workgroup_id_y 1
		.amdhsa_system_sgpr_workgroup_id_z 0
		.amdhsa_system_sgpr_workgroup_info 0
		.amdhsa_system_vgpr_workitem_id 0
		.amdhsa_next_free_vgpr 49
		.amdhsa_next_free_sgpr 32
		.amdhsa_accum_offset 52
		.amdhsa_reserve_vcc 1
		.amdhsa_reserve_flat_scratch 0
		.amdhsa_float_round_mode_32 0
		.amdhsa_float_round_mode_16_64 0
		.amdhsa_float_denorm_mode_32 3
		.amdhsa_float_denorm_mode_16_64 3
		.amdhsa_dx10_clamp 1
		.amdhsa_ieee_mode 1
		.amdhsa_fp16_overflow 0
		.amdhsa_tg_split 0
		.amdhsa_exception_fp_ieee_invalid_op 0
		.amdhsa_exception_fp_denorm_src 0
		.amdhsa_exception_fp_ieee_div_zero 0
		.amdhsa_exception_fp_ieee_overflow 0
		.amdhsa_exception_fp_ieee_underflow 0
		.amdhsa_exception_fp_ieee_inexact 0
		.amdhsa_exception_int_div_zero 0
	.end_amdhsa_kernel
	.section	.text._ZN5aiter35fused_qk_rmsnorm_group_quant_kernelIDF16_N4opus5fp4_tELi512ELi16ELi2ELb1ELb1ELb1ELb1ELb0ELb0EEEvPT0_PvPT_S7_S7_PKS6_S9_S9_S9_S9_ffiiiiiiiiiiiii,"axG",@progbits,_ZN5aiter35fused_qk_rmsnorm_group_quant_kernelIDF16_N4opus5fp4_tELi512ELi16ELi2ELb1ELb1ELb1ELb1ELb0ELb0EEEvPT0_PvPT_S7_S7_PKS6_S9_S9_S9_S9_ffiiiiiiiiiiiii,comdat
.Lfunc_end987:
	.size	_ZN5aiter35fused_qk_rmsnorm_group_quant_kernelIDF16_N4opus5fp4_tELi512ELi16ELi2ELb1ELb1ELb1ELb1ELb0ELb0EEEvPT0_PvPT_S7_S7_PKS6_S9_S9_S9_S9_ffiiiiiiiiiiiii, .Lfunc_end987-_ZN5aiter35fused_qk_rmsnorm_group_quant_kernelIDF16_N4opus5fp4_tELi512ELi16ELi2ELb1ELb1ELb1ELb1ELb0ELb0EEEvPT0_PvPT_S7_S7_PKS6_S9_S9_S9_S9_ffiiiiiiiiiiiii
                                        ; -- End function
	.section	.AMDGPU.csdata,"",@progbits
; Kernel info:
; codeLenInByte = 3640
; NumSgprs: 36
; NumVgprs: 49
; NumAgprs: 0
; TotalNumVgprs: 49
; ScratchSize: 0
; MemoryBound: 0
; FloatMode: 240
; IeeeMode: 1
; LDSByteSize: 64 bytes/workgroup (compile time only)
; SGPRBlocks: 4
; VGPRBlocks: 6
; NumSGPRsForWavesPerEU: 36
; NumVGPRsForWavesPerEU: 49
; AccumOffset: 52
; Occupancy: 8
; WaveLimiterHint : 0
; COMPUTE_PGM_RSRC2:SCRATCH_EN: 0
; COMPUTE_PGM_RSRC2:USER_SGPR: 6
; COMPUTE_PGM_RSRC2:TRAP_HANDLER: 0
; COMPUTE_PGM_RSRC2:TGID_X_EN: 1
; COMPUTE_PGM_RSRC2:TGID_Y_EN: 1
; COMPUTE_PGM_RSRC2:TGID_Z_EN: 0
; COMPUTE_PGM_RSRC2:TIDIG_COMP_CNT: 0
; COMPUTE_PGM_RSRC3_GFX90A:ACCUM_OFFSET: 12
; COMPUTE_PGM_RSRC3_GFX90A:TG_SPLIT: 0
	.section	.text._ZN5aiter35fused_qk_rmsnorm_group_quant_kernelItN4opus5fp4_tELi512ELi16ELi2ELb1ELb1ELb1ELb1ELb0ELb0EEEvPT0_PvPT_S7_S7_PKS6_S9_S9_S9_S9_ffiiiiiiiiiiiii,"axG",@progbits,_ZN5aiter35fused_qk_rmsnorm_group_quant_kernelItN4opus5fp4_tELi512ELi16ELi2ELb1ELb1ELb1ELb1ELb0ELb0EEEvPT0_PvPT_S7_S7_PKS6_S9_S9_S9_S9_ffiiiiiiiiiiiii,comdat
	.protected	_ZN5aiter35fused_qk_rmsnorm_group_quant_kernelItN4opus5fp4_tELi512ELi16ELi2ELb1ELb1ELb1ELb1ELb0ELb0EEEvPT0_PvPT_S7_S7_PKS6_S9_S9_S9_S9_ffiiiiiiiiiiiii ; -- Begin function _ZN5aiter35fused_qk_rmsnorm_group_quant_kernelItN4opus5fp4_tELi512ELi16ELi2ELb1ELb1ELb1ELb1ELb0ELb0EEEvPT0_PvPT_S7_S7_PKS6_S9_S9_S9_S9_ffiiiiiiiiiiiii
	.globl	_ZN5aiter35fused_qk_rmsnorm_group_quant_kernelItN4opus5fp4_tELi512ELi16ELi2ELb1ELb1ELb1ELb1ELb0ELb0EEEvPT0_PvPT_S7_S7_PKS6_S9_S9_S9_S9_ffiiiiiiiiiiiii
	.p2align	8
	.type	_ZN5aiter35fused_qk_rmsnorm_group_quant_kernelItN4opus5fp4_tELi512ELi16ELi2ELb1ELb1ELb1ELb1ELb0ELb0EEEvPT0_PvPT_S7_S7_PKS6_S9_S9_S9_S9_ffiiiiiiiiiiiii,@function
_ZN5aiter35fused_qk_rmsnorm_group_quant_kernelItN4opus5fp4_tELi512ELi16ELi2ELb1ELb1ELb1ELb1ELb0ELb0EEEvPT0_PvPT_S7_S7_PKS6_S9_S9_S9_S9_ffiiiiiiiiiiiii: ; @_ZN5aiter35fused_qk_rmsnorm_group_quant_kernelItN4opus5fp4_tELi512ELi16ELi2ELb1ELb1ELb1ELb1ELb0ELb0EEEvPT0_PvPT_S7_S7_PKS6_S9_S9_S9_S9_ffiiiiiiiiiiiii
; %bb.0:
	s_load_dwordx8 s[12:19], s[4:5], 0x50
	s_waitcnt lgkmcnt(0)
	s_cmp_ge_i32 s6, s14
	s_cbranch_scc1 .LBB988_17
; %bb.1:
	s_cmp_lg_u32 s7, 0
	s_cselect_b64 s[22:23], -1, 0
	s_cmp_eq_u32 s7, 0
	s_cselect_b64 s[2:3], -1, 0
	s_and_b64 s[0:1], s[2:3], exec
	s_cselect_b32 s7, s15, s16
	s_load_dwordx2 s[10:11], s[4:5], 0x30
	s_load_dwordx2 s[20:21], s[4:5], 0x48
	s_add_i32 s0, s7, 1
	s_lshr_b32 s1, s0, 31
	s_add_i32 s0, s0, s1
	s_lshl_b32 s0, s0, 1
	v_lshlrev_b32_e32 v1, 4, v0
	s_and_b32 s30, s0, -4
	v_cmp_gt_i32_e64 s[0:1], s7, v1
	v_mov_b32_e32 v62, 0
	v_mov_b32_e32 v63, 0
	v_mov_b32_e32 v64, 0
	v_mov_b32_e32 v65, 0
	v_mov_b32_e32 v58, 0
	v_mov_b32_e32 v59, 0
	v_mov_b32_e32 v60, 0
	v_mov_b32_e32 v61, 0
	v_mov_b32_e32 v66, 0
	v_mov_b32_e32 v67, 0
	v_mov_b32_e32 v68, 0
	v_mov_b32_e32 v69, 0
	v_mov_b32_e32 v70, 0
	v_mov_b32_e32 v71, 0
	v_mov_b32_e32 v72, 0
	v_mov_b32_e32 v73, 0
	s_and_saveexec_b64 s[8:9], s[0:1]
	s_cbranch_execz .LBB988_3
; %bb.2:
	s_load_dwordx2 s[14:15], s[4:5], 0x28
	s_load_dwordx2 s[26:27], s[4:5], 0x40
	s_and_b64 s[24:25], s[2:3], exec
	s_cselect_b32 s17, s17, s18
	s_mov_b32 s31, 0x20000
	s_waitcnt lgkmcnt(0)
	s_cselect_b32 s25, s15, s11
	s_cselect_b32 s24, s14, s10
	s_mul_hi_i32 s15, s17, s6
	s_mul_i32 s14, s17, s6
	s_lshl_b64 s[14:15], s[14:15], 1
	s_add_u32 s24, s24, s14
	s_addc_u32 s17, s25, s15
	s_and_b64 s[14:15], s[2:3], exec
	s_cselect_b32 s28, s26, s20
	s_cselect_b32 s14, s27, s21
	s_and_b32 s25, s17, 0xffff
	s_mov_b32 s26, s30
	s_mov_b32 s27, s31
	v_lshlrev_b32_e32 v2, 5, v0
	s_and_b32 s29, s14, 0xffff
	buffer_load_dwordx4 v[66:69], v2, s[24:27], 0 offen
	buffer_load_dwordx4 v[70:73], v2, s[24:27], 16 offen
	;; [unrolled: 1-line block ×4, first 2 shown]
.LBB988_3:
	s_or_b64 exec, exec, s[8:9]
	s_load_dwordx4 s[24:27], s[4:5], 0x7c
	s_and_b64 vcc, exec, s[22:23]
	s_cbranch_vccz .LBB988_7
; %bb.4:
	v_mov_b32_e32 v75, 0
	v_mov_b32_e32 v74, 0
	;; [unrolled: 1-line block ×16, first 2 shown]
	s_and_saveexec_b64 s[8:9], s[0:1]
	s_cbranch_execz .LBB988_6
; %bb.5:
	s_waitcnt vmcnt(3)
	v_cvt_f32_u32_sdwa v2, v66 dst_sel:DWORD dst_unused:UNUSED_PAD src0_sel:WORD_0
	v_cvt_f32_u32_sdwa v3, v66 dst_sel:DWORD dst_unused:UNUSED_PAD src0_sel:WORD_1
	v_cvt_f32_u32_sdwa v6, v67 dst_sel:DWORD dst_unused:UNUSED_PAD src0_sel:WORD_0
	v_cvt_f32_u32_sdwa v7, v67 dst_sel:DWORD dst_unused:UNUSED_PAD src0_sel:WORD_1
	;; [unrolled: 2-line block ×4, first 2 shown]
	s_waitcnt vmcnt(2)
	v_cvt_f32_u32_sdwa v50, v70 dst_sel:DWORD dst_unused:UNUSED_PAD src0_sel:WORD_0
	v_cvt_f32_u32_sdwa v51, v70 dst_sel:DWORD dst_unused:UNUSED_PAD src0_sel:WORD_1
	v_cvt_f32_u32_sdwa v24, v71 dst_sel:DWORD dst_unused:UNUSED_PAD src0_sel:WORD_0
	v_cvt_f32_u32_sdwa v25, v71 dst_sel:DWORD dst_unused:UNUSED_PAD src0_sel:WORD_1
	;; [unrolled: 2-line block ×4, first 2 shown]
.LBB988_6:
	s_or_b64 exec, exec, s[8:9]
	s_cbranch_execz .LBB988_8
	s_branch .LBB988_11
.LBB988_7:
                                        ; implicit-def: $vgpr2_vgpr3_vgpr4_vgpr5_vgpr6_vgpr7_vgpr8_vgpr9_vgpr10_vgpr11_vgpr12_vgpr13_vgpr14_vgpr15_vgpr16_vgpr17
                                        ; implicit-def: $vgpr36_vgpr37_vgpr38_vgpr39_vgpr40_vgpr41_vgpr42_vgpr43_vgpr44_vgpr45_vgpr46_vgpr47_vgpr48_vgpr49_vgpr50_vgpr51
                                        ; implicit-def: $vgpr4_vgpr5_vgpr6_vgpr7_vgpr8_vgpr9_vgpr10_vgpr11_vgpr12_vgpr13_vgpr14_vgpr15_vgpr16_vgpr17_vgpr18_vgpr19
                                        ; implicit-def: $vgpr24_vgpr25_vgpr26_vgpr27_vgpr28_vgpr29_vgpr30_vgpr31_vgpr32_vgpr33_vgpr34_vgpr35_vgpr36_vgpr37_vgpr38_vgpr39
                                        ; implicit-def: $vgpr75
                                        ; implicit-def: $vgpr42_vgpr43_vgpr44_vgpr45_vgpr46_vgpr47_vgpr48_vgpr49_vgpr50_vgpr51_vgpr52_vgpr53_vgpr54_vgpr55_vgpr56_vgpr57
                                        ; implicit-def: $vgpr14_vgpr15_vgpr16_vgpr17_vgpr18_vgpr19_vgpr20_vgpr21_vgpr22_vgpr23_vgpr24_vgpr25_vgpr26_vgpr27_vgpr28_vgpr29
                                        ; implicit-def: $vgpr8_vgpr9_vgpr10_vgpr11_vgpr12_vgpr13_vgpr14_vgpr15_vgpr16_vgpr17_vgpr18_vgpr19_vgpr20_vgpr21_vgpr22_vgpr23
.LBB988_8:
	v_mov_b32_e32 v75, 0
	v_mov_b32_e32 v74, 0
	;; [unrolled: 1-line block ×16, first 2 shown]
	s_and_saveexec_b64 s[8:9], s[0:1]
	s_cbranch_execz .LBB988_10
; %bb.9:
	s_load_dwordx2 s[14:15], s[4:5], 0x38
	s_mul_hi_i32 s29, s19, s6
	s_mul_i32 s28, s19, s6
	s_lshl_b64 s[28:29], s[28:29], 1
	s_mov_b32 s31, 0x20000
	s_waitcnt lgkmcnt(0)
	s_add_u32 s28, s14, s28
	s_addc_u32 s14, s15, s29
	s_and_b32 s29, s14, 0xffff
	v_lshlrev_b32_e32 v38, 5, v0
	buffer_load_dwordx4 v[6:9], v38, s[28:31], 16 offen
	buffer_load_dwordx4 v[10:13], v38, s[28:31], 0 offen
	s_load_dwordx2 s[14:15], s[4:5], 0x20
	s_waitcnt vmcnt(5)
	v_cvt_f32_u32_sdwa v3, v66 dst_sel:DWORD dst_unused:UNUSED_PAD src0_sel:WORD_1
	v_cvt_f32_u32_sdwa v2, v66 dst_sel:DWORD dst_unused:UNUSED_PAD src0_sel:WORD_0
	v_cvt_f32_u32_sdwa v21, v67 dst_sel:DWORD dst_unused:UNUSED_PAD src0_sel:WORD_1
	v_cvt_f32_u32_sdwa v20, v67 dst_sel:DWORD dst_unused:UNUSED_PAD src0_sel:WORD_0
	;; [unrolled: 2-line block ×4, first 2 shown]
	s_waitcnt vmcnt(4)
	v_cvt_f32_u32_sdwa v5, v70 dst_sel:DWORD dst_unused:UNUSED_PAD src0_sel:WORD_1
	v_cvt_f32_u32_sdwa v4, v70 dst_sel:DWORD dst_unused:UNUSED_PAD src0_sel:WORD_0
	v_cvt_f32_u32_sdwa v15, v71 dst_sel:DWORD dst_unused:UNUSED_PAD src0_sel:WORD_1
	v_cvt_f32_u32_sdwa v14, v71 dst_sel:DWORD dst_unused:UNUSED_PAD src0_sel:WORD_0
	;; [unrolled: 2-line block ×3, first 2 shown]
	v_cvt_f32_u32_sdwa v18, v73 dst_sel:DWORD dst_unused:UNUSED_PAD src0_sel:WORD_0
	v_cvt_f32_u32_sdwa v19, v73 dst_sel:DWORD dst_unused:UNUSED_PAD src0_sel:WORD_1
	s_mul_hi_i32 s27, s26, s6
	s_mul_i32 s26, s26, s6
	s_lshl_b64 s[26:27], s[26:27], 1
	s_waitcnt lgkmcnt(0)
	s_add_u32 s28, s14, s26
	s_mov_b32 s17, 0x7060302
	s_addc_u32 s14, s15, s27
	s_and_b32 s29, s14, 0xffff
	s_waitcnt vmcnt(1)
	v_cvt_f32_u32_sdwa v27, v6 dst_sel:DWORD dst_unused:UNUSED_PAD src0_sel:WORD_1
	v_cvt_f32_u32_sdwa v26, v6 dst_sel:DWORD dst_unused:UNUSED_PAD src0_sel:WORD_0
	v_cvt_f32_u32_sdwa v29, v7 dst_sel:DWORD dst_unused:UNUSED_PAD src0_sel:WORD_1
	v_cvt_f32_u32_sdwa v28, v7 dst_sel:DWORD dst_unused:UNUSED_PAD src0_sel:WORD_0
	;; [unrolled: 2-line block ×3, first 2 shown]
	v_cvt_f32_u32_sdwa v34, v9 dst_sel:DWORD dst_unused:UNUSED_PAD src0_sel:WORD_0
	v_cvt_f32_u32_sdwa v35, v9 dst_sel:DWORD dst_unused:UNUSED_PAD src0_sel:WORD_1
	s_waitcnt vmcnt(0)
	v_cvt_f32_u32_sdwa v37, v10 dst_sel:DWORD dst_unused:UNUSED_PAD src0_sel:WORD_1
	v_cvt_f32_u32_sdwa v36, v10 dst_sel:DWORD dst_unused:UNUSED_PAD src0_sel:WORD_0
	v_cvt_f32_u32_sdwa v7, v12 dst_sel:DWORD dst_unused:UNUSED_PAD src0_sel:WORD_1
	v_cvt_f32_u32_sdwa v6, v12 dst_sel:DWORD dst_unused:UNUSED_PAD src0_sel:WORD_0
	;; [unrolled: 2-line block ×4, first 2 shown]
	v_pk_add_f32 v[40:41], v[22:23], v[6:7]
	v_pk_add_f32 v[30:31], v[24:25], v[8:9]
	;; [unrolled: 1-line block ×4, first 2 shown]
	v_perm_b32 v11, v31, v30, s17
	v_perm_b32 v10, v41, v40, s17
	v_perm_b32 v9, v7, v6, s17
	v_perm_b32 v8, v3, v2, s17
	v_pk_add_f32 v[74:75], v[18:19], v[34:35]
	v_pk_add_f32 v[20:21], v[16:17], v[32:33]
	;; [unrolled: 1-line block ×4, first 2 shown]
	buffer_store_dwordx4 v[8:11], v38, s[28:31], 0 offen
	;;#ASMSTART
	s_nop 0
	;;#ASMEND
	s_nop 0
	v_perm_b32 v11, v75, v74, s17
	v_perm_b32 v10, v21, v20, s17
	v_perm_b32 v9, v25, v24, s17
	v_perm_b32 v8, v51, v50, s17
	buffer_store_dwordx4 v[8:11], v38, s[28:31], 16 offen
	;;#ASMSTART
	s_nop 0
	;;#ASMEND
.LBB988_10:
	s_or_b64 exec, exec, s[8:9]
.LBB988_11:
	v_mul_f32_e32 v4, v3, v3
	v_fmac_f32_e32 v4, v2, v2
	v_fmac_f32_e32 v4, v6, v6
	;; [unrolled: 1-line block ×15, first 2 shown]
	s_nop 1
	v_mov_b32_dpp v5, v4 quad_perm:[1,0,3,2] row_mask:0xf bank_mask:0xf
	v_add_f32_e32 v4, v4, v5
	s_nop 1
	v_mov_b32_dpp v5, v4 quad_perm:[2,3,0,1] row_mask:0xf bank_mask:0xf
	v_add_f32_e32 v4, v4, v5
	s_nop 1
	v_mov_b32_dpp v5, v4 row_half_mirror row_mask:0xf bank_mask:0xf
	v_add_f32_e32 v4, v4, v5
	s_nop 1
	v_mov_b32_dpp v5, v4 row_mirror row_mask:0xf bank_mask:0xf
	v_add_f32_e32 v4, v4, v5
	s_nop 1
	v_mov_b32_dpp v5, v4 row_bcast:15 row_mask:0xf bank_mask:0xf
	v_add_f32_e32 v4, v4, v5
	v_and_b32_e32 v5, 63, v0
	v_cmp_eq_u32_e64 s[8:9], 63, v5
	s_nop 0
	v_mov_b32_dpp v5, v4 row_bcast:31 row_mask:0xf bank_mask:0xf
	s_and_saveexec_b64 s[14:15], s[8:9]
	s_cbranch_execz .LBB988_13
; %bb.12:
	v_add_f32_e32 v4, v4, v5
	v_lshrrev_b32_e32 v5, 4, v0
	v_and_b32_e32 v5, 60, v5
	ds_write_b32 v5, v4 offset:32
.LBB988_13:
	s_or_b64 exec, exec, s[14:15]
	v_and_b32_e32 v4, 7, v0
	v_lshlrev_b32_e32 v34, 2, v4
	s_waitcnt lgkmcnt(0)
	s_barrier
	ds_read_b32 v4, v34 offset:32
	s_load_dwordx2 s[14:15], s[4:5], 0x18
	s_waitcnt lgkmcnt(0)
	v_mov_b32_dpp v5, v4 quad_perm:[1,0,3,2] row_mask:0xf bank_mask:0xf
	v_add_f32_e32 v4, v4, v5
	s_nop 1
	v_mov_b32_dpp v5, v4 quad_perm:[2,3,0,1] row_mask:0xf bank_mask:0xf
	v_add_f32_e32 v4, v4, v5
	s_nop 1
	v_mov_b32_dpp v5, v4 row_half_mirror row_mask:0xf bank_mask:0xf
	s_and_saveexec_b64 s[26:27], s[0:1]
	s_cbranch_execnz .LBB988_18
; %bb.14:
	s_or_b64 exec, exec, s[26:27]
	s_mov_b64 s[2:3], -1
	s_and_b64 vcc, exec, s[22:23]
	s_cbranch_vccnz .LBB988_19
.LBB988_15:
	s_andn2_b64 vcc, exec, s[2:3]
	s_cbranch_vccz .LBB988_22
.LBB988_16:
	s_cmp_lt_i32 s16, 1
	s_cbranch_scc0 .LBB988_25
.LBB988_17:
	s_endpgm
.LBB988_18:
	v_add_f32_e32 v4, v4, v5
	v_cvt_f32_u32_e32 v5, s7
	s_waitcnt vmcnt(1)
	v_cvt_f32_u32_sdwa v15, v62 dst_sel:DWORD dst_unused:UNUSED_PAD src0_sel:WORD_1
	v_cvt_f32_u32_sdwa v14, v62 dst_sel:DWORD dst_unused:UNUSED_PAD src0_sel:WORD_0
	v_cvt_f32_u32_sdwa v23, v65 dst_sel:DWORD dst_unused:UNUSED_PAD src0_sel:WORD_1
	v_div_scale_f32 v8, s[28:29], v5, v5, v4
	v_rcp_f32_e32 v9, v8
	v_pk_add_f32 v[14:15], v[14:15], 1.0 op_sel_hi:[1,0]
	v_cvt_f32_u32_sdwa v22, v65 dst_sel:DWORD dst_unused:UNUSED_PAD src0_sel:WORD_0
	s_waitcnt vmcnt(0)
	v_cvt_f32_u32_sdwa v27, v60 dst_sel:DWORD dst_unused:UNUSED_PAD src0_sel:WORD_1
	v_fma_f32 v10, -v8, v9, 1.0
	v_fmac_f32_e32 v9, v10, v9
	v_div_scale_f32 v10, vcc, v4, v5, v4
	v_mul_f32_e32 v11, v10, v9
	v_fma_f32 v12, -v8, v11, v10
	v_fmac_f32_e32 v11, v12, v9
	v_fma_f32 v8, -v8, v11, v10
	v_div_fmas_f32 v8, v8, v9, v11
	v_div_fixup_f32 v4, v8, v5, v4
	v_mov_b32_e32 v5, s13
	v_mov_b32_e32 v8, s12
	v_cndmask_b32_e64 v5, v5, v8, s[2:3]
	v_add_f32_e32 v4, v5, v4
	s_mov_b32 s2, 0x800000
	v_mul_f32_e32 v5, 0x4b800000, v4
	v_cmp_gt_f32_e32 vcc, s2, v4
	v_cndmask_b32_e32 v4, v4, v5, vcc
	v_rsq_f32_e32 v4, v4
	v_cvt_f32_u32_sdwa v26, v60 dst_sel:DWORD dst_unused:UNUSED_PAD src0_sel:WORD_0
	v_cvt_f32_u32_sdwa v29, v61 dst_sel:DWORD dst_unused:UNUSED_PAD src0_sel:WORD_1
	v_cvt_f32_u32_sdwa v28, v61 dst_sel:DWORD dst_unused:UNUSED_PAD src0_sel:WORD_0
	v_mul_f32_e32 v5, 0x45800000, v4
	v_cndmask_b32_e32 v4, v4, v5, vcc
	v_mov_b32_e32 v5, v4
	;;#ASMSTART
	v_pk_mul_f32 v[2:3], v[2:3], v[4:5]
	;;#ASMEND
	;;#ASMSTART
	v_pk_mul_f32 v[6:7], v[6:7], v[4:5]
	;;#ASMEND
	;; [unrolled: 3-line block ×9, first 2 shown]
	v_cvt_f32_u32_sdwa v15, v63 dst_sel:DWORD dst_unused:UNUSED_PAD src0_sel:WORD_1
	v_cvt_f32_u32_sdwa v14, v63 dst_sel:DWORD dst_unused:UNUSED_PAD src0_sel:WORD_0
	v_cvt_f32_u32_sdwa v21, v64 dst_sel:DWORD dst_unused:UNUSED_PAD src0_sel:WORD_1
	v_cvt_f32_u32_sdwa v20, v64 dst_sel:DWORD dst_unused:UNUSED_PAD src0_sel:WORD_0
	v_cvt_f32_u32_sdwa v25, v59 dst_sel:DWORD dst_unused:UNUSED_PAD src0_sel:WORD_1
	v_pk_add_f32 v[14:15], v[14:15], 1.0 op_sel_hi:[1,0]
	v_cvt_f32_u32_sdwa v24, v59 dst_sel:DWORD dst_unused:UNUSED_PAD src0_sel:WORD_0
	;;#ASMSTART
	v_pk_mul_f32 v[6:7], v[6:7], v[14:15]
	;;#ASMEND
	v_pk_add_f32 v[14:15], v[20:21], 1.0 op_sel_hi:[1,0]
	v_pk_add_f32 v[20:21], v[22:23], 1.0 op_sel_hi:[1,0]
	v_cvt_f32_u32_sdwa v23, v58 dst_sel:DWORD dst_unused:UNUSED_PAD src0_sel:WORD_1
	v_cvt_f32_u32_sdwa v22, v58 dst_sel:DWORD dst_unused:UNUSED_PAD src0_sel:WORD_0
	v_pk_add_f32 v[24:25], v[24:25], 1.0 op_sel_hi:[1,0]
	v_pk_add_f32 v[26:27], v[26:27], 1.0 op_sel_hi:[1,0]
	;; [unrolled: 1-line block ×4, first 2 shown]
	;;#ASMSTART
	v_pk_mul_f32 v[40:41], v[8:9], v[14:15]
	;;#ASMEND
	;;#ASMSTART
	v_pk_mul_f32 v[30:31], v[10:11], v[20:21]
	;;#ASMEND
	;; [unrolled: 3-line block ×6, first 2 shown]
	s_or_b64 exec, exec, s[26:27]
	s_mov_b64 s[2:3], -1
	s_and_b64 vcc, exec, s[22:23]
	s_cbranch_vccz .LBB988_15
.LBB988_19:
	s_and_saveexec_b64 s[2:3], s[0:1]
	s_cbranch_execz .LBB988_21
; %bb.20:
	s_mul_hi_i32 s23, s25, s6
	s_mul_i32 s22, s25, s6
	s_lshl_b64 s[22:23], s[22:23], 1
	s_add_u32 s28, s14, s22
	s_addc_u32 s7, s15, s23
	s_and_b32 s29, s7, 0xffff
	s_mov_b32 s7, 0x7060302
	s_mov_b32 s31, 0x20000
	v_perm_b32 v11, v31, v30, s7
	v_perm_b32 v10, v41, v40, s7
	v_perm_b32 v9, v7, v6, s7
	v_perm_b32 v8, v3, v2, s7
	v_lshlrev_b32_e32 v4, 5, v0
	buffer_store_dwordx4 v[8:11], v4, s[28:31], 0 offen
	;;#ASMSTART
	s_nop 0
	;;#ASMEND
	s_nop 0
	v_perm_b32 v11, v75, v74, s7
	v_perm_b32 v10, v21, v20, s7
	;; [unrolled: 1-line block ×4, first 2 shown]
	buffer_store_dwordx4 v[8:11], v4, s[28:31], 16 offen
	;;#ASMSTART
	s_nop 0
	;;#ASMEND
.LBB988_21:
	s_or_b64 exec, exec, s[2:3]
	s_cbranch_execnz .LBB988_16
.LBB988_22:
	s_and_saveexec_b64 s[2:3], s[0:1]
	s_cbranch_execz .LBB988_24
; %bb.23:
	s_load_dwordx2 s[0:1], s[4:5], 0x10
	s_mul_hi_i32 s23, s24, s6
	s_mul_i32 s22, s24, s6
	s_lshl_b64 s[22:23], s[22:23], 1
	s_mov_b32 s7, 0x7060302
	s_waitcnt lgkmcnt(0)
	s_add_u32 s28, s0, s22
	s_addc_u32 s0, s1, s23
	v_perm_b32 v9, v31, v30, s7
	v_perm_b32 v8, v41, v40, s7
	;; [unrolled: 1-line block ×4, first 2 shown]
	s_and_b32 s29, s0, 0xffff
	s_mov_b32 s31, 0x20000
	v_lshlrev_b32_e32 v10, 5, v0
	v_perm_b32 v5, v75, v74, s7
	v_perm_b32 v4, v21, v20, s7
	;; [unrolled: 1-line block ×4, first 2 shown]
	buffer_store_dwordx4 v[6:9], v10, s[28:31], 0 offen
	;;#ASMSTART
	s_nop 0
	;;#ASMEND
	buffer_store_dwordx4 v[2:5], v10, s[28:31], 16 offen
	;;#ASMSTART
	s_nop 0
	;;#ASMEND
.LBB988_24:
	s_or_b64 exec, exec, s[2:3]
	s_cmp_lt_i32 s16, 1
	s_cbranch_scc1 .LBB988_17
.LBB988_25:
	s_load_dword s0, s[4:5], 0x94
	s_waitcnt lgkmcnt(0)
	s_cmp_lg_u32 s0, 1
	s_cbranch_scc1 .LBB988_17
; %bb.26:
	s_lshl_b32 s0, s16, 1
	s_add_i32 s0, s0, 2
	v_cmp_gt_u32_e32 vcc, s16, v1
	s_and_b32 s22, s0, -4
	v_mov_b32_e32 v18, 0
	v_lshlrev_b32_e32 v1, 5, v0
	v_mov_b32_e32 v14, 0
	v_mov_b32_e32 v15, 0
	;; [unrolled: 1-line block ×16, first 2 shown]
	s_barrier
	s_and_saveexec_b64 s[0:1], vcc
	s_cbranch_execz .LBB988_28
; %bb.27:
	s_mul_hi_i32 s3, s18, s6
	s_mul_i32 s2, s18, s6
	s_and_b32 s21, s21, 0xffff
	s_lshl_b64 s[2:3], s[2:3], 1
	s_add_u32 s28, s10, s2
	s_mov_b32 s23, 0x20000
	s_addc_u32 s2, s11, s3
	s_and_b32 s29, s2, 0xffff
	s_mov_b32 s30, s22
	s_mov_b32 s31, s23
	buffer_load_dwordx4 v[14:17], v1, s[28:31], 0 offen
	buffer_load_dwordx4 v[10:13], v1, s[28:31], 16 offen
	;; [unrolled: 1-line block ×4, first 2 shown]
.LBB988_28:
	s_or_b64 exec, exec, s[0:1]
	v_mov_b32_e32 v19, 0
	v_mov_b32_e32 v32, 0
	;; [unrolled: 1-line block ×15, first 2 shown]
	s_and_saveexec_b64 s[0:1], vcc
	s_cbranch_execz .LBB988_30
; %bb.29:
	s_waitcnt vmcnt(3)
	v_cvt_f32_u32_sdwa v18, v14 dst_sel:DWORD dst_unused:UNUSED_PAD src0_sel:WORD_0
	v_cvt_f32_u32_sdwa v19, v14 dst_sel:DWORD dst_unused:UNUSED_PAD src0_sel:WORD_1
	v_cvt_f32_u32_sdwa v32, v15 dst_sel:DWORD dst_unused:UNUSED_PAD src0_sel:WORD_0
	v_cvt_f32_u32_sdwa v33, v15 dst_sel:DWORD dst_unused:UNUSED_PAD src0_sel:WORD_1
	;; [unrolled: 2-line block ×4, first 2 shown]
	s_waitcnt vmcnt(2)
	v_cvt_f32_u32_sdwa v26, v10 dst_sel:DWORD dst_unused:UNUSED_PAD src0_sel:WORD_0
	v_cvt_f32_u32_sdwa v27, v10 dst_sel:DWORD dst_unused:UNUSED_PAD src0_sel:WORD_1
	v_cvt_f32_u32_sdwa v24, v11 dst_sel:DWORD dst_unused:UNUSED_PAD src0_sel:WORD_0
	v_cvt_f32_u32_sdwa v25, v11 dst_sel:DWORD dst_unused:UNUSED_PAD src0_sel:WORD_1
	;; [unrolled: 2-line block ×4, first 2 shown]
.LBB988_30:
	s_or_b64 exec, exec, s[0:1]
	s_waitcnt vmcnt(2)
	v_mul_f32_e32 v10, v19, v19
	v_fmac_f32_e32 v10, v18, v18
	v_fmac_f32_e32 v10, v32, v32
	;; [unrolled: 1-line block ×15, first 2 shown]
	s_nop 1
	v_mov_b32_dpp v11, v10 quad_perm:[1,0,3,2] row_mask:0xf bank_mask:0xf
	v_add_f32_e32 v10, v10, v11
	s_nop 1
	v_mov_b32_dpp v11, v10 quad_perm:[2,3,0,1] row_mask:0xf bank_mask:0xf
	v_add_f32_e32 v10, v10, v11
	s_nop 1
	v_mov_b32_dpp v11, v10 row_half_mirror row_mask:0xf bank_mask:0xf
	v_add_f32_e32 v10, v10, v11
	s_nop 1
	v_mov_b32_dpp v11, v10 row_mirror row_mask:0xf bank_mask:0xf
	v_add_f32_e32 v10, v10, v11
	s_nop 1
	v_mov_b32_dpp v11, v10 row_bcast:15 row_mask:0xf bank_mask:0xf
	v_add_f32_e32 v10, v10, v11
	s_nop 1
	v_mov_b32_dpp v11, v10 row_bcast:31 row_mask:0xf bank_mask:0xf
	s_and_saveexec_b64 s[0:1], s[8:9]
	s_cbranch_execz .LBB988_32
; %bb.31:
	v_lshrrev_b32_e32 v0, 4, v0
	v_add_f32_e32 v10, v10, v11
	v_and_b32_e32 v0, 60, v0
	ds_write_b32 v0, v10
.LBB988_32:
	s_or_b64 exec, exec, s[0:1]
	s_waitcnt lgkmcnt(0)
	s_barrier
	ds_read_b32 v0, v34
	s_waitcnt lgkmcnt(0)
	s_nop 0
	v_mov_b32_dpp v10, v0 quad_perm:[1,0,3,2] row_mask:0xf bank_mask:0xf
	v_add_f32_e32 v0, v0, v10
	s_nop 1
	v_mov_b32_dpp v10, v0 quad_perm:[2,3,0,1] row_mask:0xf bank_mask:0xf
	v_add_f32_e32 v0, v0, v10
	s_nop 1
	v_mov_b32_dpp v10, v0 row_half_mirror row_mask:0xf bank_mask:0xf
	s_and_saveexec_b64 s[0:1], vcc
	s_cbranch_execz .LBB988_17
; %bb.33:
	v_cvt_f32_u32_e32 v11, s16
	v_add_f32_e32 v0, v0, v10
	s_mov_b32 s23, 0x20000
	v_div_scale_f32 v10, s[0:1], v11, v11, v0
	v_rcp_f32_e32 v12, v10
	v_div_scale_f32 v13, vcc, v0, v11, v0
	s_mov_b32 s0, 0x800000
	v_fma_f32 v14, -v10, v12, 1.0
	v_fmac_f32_e32 v12, v14, v12
	v_mul_f32_e32 v14, v13, v12
	v_fma_f32 v15, -v10, v14, v13
	v_fmac_f32_e32 v14, v15, v12
	v_fma_f32 v10, -v10, v14, v13
	v_div_fmas_f32 v10, v10, v12, v14
	v_div_fixup_f32 v0, v10, v11, v0
	v_add_f32_e32 v0, s13, v0
	v_mul_f32_e32 v10, 0x4b800000, v0
	v_cmp_gt_f32_e32 vcc, s0, v0
	v_cndmask_b32_e32 v0, v0, v10, vcc
	v_rsq_f32_e32 v0, v0
	s_mul_hi_i32 s1, s25, s6
	s_mul_i32 s0, s25, s6
	s_lshl_b64 s[0:1], s[0:1], 1
	v_mul_f32_e32 v10, 0x45800000, v0
	v_cndmask_b32_e32 v10, v0, v10, vcc
	v_mov_b32_e32 v11, v10
	;;#ASMSTART
	v_pk_mul_f32 v[12:13], v[18:19], v[10:11]
	;;#ASMEND
	;;#ASMSTART
	v_pk_mul_f32 v[14:15], v[32:33], v[10:11]
	;;#ASMEND
	;;#ASMSTART
	v_pk_mul_f32 v[16:17], v[30:31], v[10:11]
	;;#ASMEND
	;;#ASMSTART
	v_pk_mul_f32 v[18:19], v[28:29], v[10:11]
	;;#ASMEND
	s_waitcnt vmcnt(1)
	v_cvt_f32_u32_sdwa v29, v6 dst_sel:DWORD dst_unused:UNUSED_PAD src0_sel:WORD_1
	v_cvt_f32_u32_sdwa v28, v6 dst_sel:DWORD dst_unused:UNUSED_PAD src0_sel:WORD_0
	v_cvt_f32_u32_sdwa v31, v7 dst_sel:DWORD dst_unused:UNUSED_PAD src0_sel:WORD_1
	v_cvt_f32_u32_sdwa v30, v7 dst_sel:DWORD dst_unused:UNUSED_PAD src0_sel:WORD_0
	;;#ASMSTART
	v_pk_mul_f32 v[26:27], v[26:27], v[10:11]
	;;#ASMEND
	;;#ASMSTART
	v_pk_mul_f32 v[24:25], v[24:25], v[10:11]
	;;#ASMEND
	;; [unrolled: 3-line block ×4, first 2 shown]
	v_cvt_f32_u32_sdwa v21, v8 dst_sel:DWORD dst_unused:UNUSED_PAD src0_sel:WORD_1
	v_cvt_f32_u32_sdwa v20, v8 dst_sel:DWORD dst_unused:UNUSED_PAD src0_sel:WORD_0
	v_pk_add_f32 v[10:11], v[28:29], 1.0 op_sel_hi:[1,0]
	;;#ASMSTART
	v_pk_mul_f32 v[10:11], v[12:13], v[10:11]
	;;#ASMEND
	v_pk_add_f32 v[12:13], v[30:31], 1.0 op_sel_hi:[1,0]
	v_cvt_f32_u32_sdwa v29, v9 dst_sel:DWORD dst_unused:UNUSED_PAD src0_sel:WORD_1
	v_cvt_f32_u32_sdwa v28, v9 dst_sel:DWORD dst_unused:UNUSED_PAD src0_sel:WORD_0
	;;#ASMSTART
	v_pk_mul_f32 v[8:9], v[14:15], v[12:13]
	;;#ASMEND
	v_pk_add_f32 v[12:13], v[20:21], 1.0 op_sel_hi:[1,0]
	;;#ASMSTART
	v_pk_mul_f32 v[12:13], v[16:17], v[12:13]
	;;#ASMEND
	s_waitcnt vmcnt(0)
	v_cvt_f32_u32_sdwa v17, v2 dst_sel:DWORD dst_unused:UNUSED_PAD src0_sel:WORD_1
	v_cvt_f32_u32_sdwa v16, v2 dst_sel:DWORD dst_unused:UNUSED_PAD src0_sel:WORD_0
	v_cvt_f32_u32_sdwa v21, v3 dst_sel:DWORD dst_unused:UNUSED_PAD src0_sel:WORD_1
	v_cvt_f32_u32_sdwa v20, v3 dst_sel:DWORD dst_unused:UNUSED_PAD src0_sel:WORD_0
	v_pk_add_f32 v[14:15], v[28:29], 1.0 op_sel_hi:[1,0]
	;;#ASMSTART
	v_pk_mul_f32 v[14:15], v[18:19], v[14:15]
	;;#ASMEND
	v_pk_add_f32 v[2:3], v[16:17], 1.0 op_sel_hi:[1,0]
	v_cvt_f32_u32_sdwa v19, v4 dst_sel:DWORD dst_unused:UNUSED_PAD src0_sel:WORD_1
	v_cvt_f32_u32_sdwa v18, v4 dst_sel:DWORD dst_unused:UNUSED_PAD src0_sel:WORD_0
	;;#ASMSTART
	v_pk_mul_f32 v[16:17], v[26:27], v[2:3]
	;;#ASMEND
	v_pk_add_f32 v[2:3], v[20:21], 1.0 op_sel_hi:[1,0]
	v_cvt_f32_u32_sdwa v21, v5 dst_sel:DWORD dst_unused:UNUSED_PAD src0_sel:WORD_1
	v_cvt_f32_u32_sdwa v20, v5 dst_sel:DWORD dst_unused:UNUSED_PAD src0_sel:WORD_0
	s_add_u32 s20, s14, s0
	;;#ASMSTART
	v_pk_mul_f32 v[24:25], v[24:25], v[2:3]
	;;#ASMEND
	v_pk_add_f32 v[2:3], v[18:19], 1.0 op_sel_hi:[1,0]
	s_addc_u32 s0, s15, s1
	;;#ASMSTART
	v_pk_mul_f32 v[18:19], v[22:23], v[2:3]
	;;#ASMEND
	v_pk_add_f32 v[2:3], v[20:21], 1.0 op_sel_hi:[1,0]
	s_and_b32 s21, s0, 0xffff
	s_mov_b32 s0, 0x7060302
	;;#ASMSTART
	v_pk_mul_f32 v[6:7], v[6:7], v[2:3]
	;;#ASMEND
	v_perm_b32 v2, v11, v10, s0
	v_perm_b32 v3, v9, v8, s0
	;; [unrolled: 1-line block ×4, first 2 shown]
	buffer_store_dwordx4 v[2:5], v1, s[20:23], 0 offen
	;;#ASMSTART
	s_nop 0
	;;#ASMEND
	s_nop 0
	v_perm_b32 v2, v17, v16, s0
	v_perm_b32 v3, v25, v24, s0
	;; [unrolled: 1-line block ×4, first 2 shown]
	buffer_store_dwordx4 v[2:5], v1, s[20:23], 16 offen
	;;#ASMSTART
	s_nop 0
	;;#ASMEND
	s_endpgm
	.section	.rodata,"a",@progbits
	.p2align	6, 0x0
	.amdhsa_kernel _ZN5aiter35fused_qk_rmsnorm_group_quant_kernelItN4opus5fp4_tELi512ELi16ELi2ELb1ELb1ELb1ELb1ELb0ELb0EEEvPT0_PvPT_S7_S7_PKS6_S9_S9_S9_S9_ffiiiiiiiiiiiii
		.amdhsa_group_segment_fixed_size 64
		.amdhsa_private_segment_fixed_size 0
		.amdhsa_kernarg_size 400
		.amdhsa_user_sgpr_count 6
		.amdhsa_user_sgpr_private_segment_buffer 1
		.amdhsa_user_sgpr_dispatch_ptr 0
		.amdhsa_user_sgpr_queue_ptr 0
		.amdhsa_user_sgpr_kernarg_segment_ptr 1
		.amdhsa_user_sgpr_dispatch_id 0
		.amdhsa_user_sgpr_flat_scratch_init 0
		.amdhsa_user_sgpr_kernarg_preload_length 0
		.amdhsa_user_sgpr_kernarg_preload_offset 0
		.amdhsa_user_sgpr_private_segment_size 0
		.amdhsa_uses_dynamic_stack 0
		.amdhsa_system_sgpr_private_segment_wavefront_offset 0
		.amdhsa_system_sgpr_workgroup_id_x 1
		.amdhsa_system_sgpr_workgroup_id_y 1
		.amdhsa_system_sgpr_workgroup_id_z 0
		.amdhsa_system_sgpr_workgroup_info 0
		.amdhsa_system_vgpr_workitem_id 0
		.amdhsa_next_free_vgpr 76
		.amdhsa_next_free_sgpr 32
		.amdhsa_accum_offset 76
		.amdhsa_reserve_vcc 1
		.amdhsa_reserve_flat_scratch 0
		.amdhsa_float_round_mode_32 0
		.amdhsa_float_round_mode_16_64 0
		.amdhsa_float_denorm_mode_32 3
		.amdhsa_float_denorm_mode_16_64 3
		.amdhsa_dx10_clamp 1
		.amdhsa_ieee_mode 1
		.amdhsa_fp16_overflow 0
		.amdhsa_tg_split 0
		.amdhsa_exception_fp_ieee_invalid_op 0
		.amdhsa_exception_fp_denorm_src 0
		.amdhsa_exception_fp_ieee_div_zero 0
		.amdhsa_exception_fp_ieee_overflow 0
		.amdhsa_exception_fp_ieee_underflow 0
		.amdhsa_exception_fp_ieee_inexact 0
		.amdhsa_exception_int_div_zero 0
	.end_amdhsa_kernel
	.section	.text._ZN5aiter35fused_qk_rmsnorm_group_quant_kernelItN4opus5fp4_tELi512ELi16ELi2ELb1ELb1ELb1ELb1ELb0ELb0EEEvPT0_PvPT_S7_S7_PKS6_S9_S9_S9_S9_ffiiiiiiiiiiiii,"axG",@progbits,_ZN5aiter35fused_qk_rmsnorm_group_quant_kernelItN4opus5fp4_tELi512ELi16ELi2ELb1ELb1ELb1ELb1ELb0ELb0EEEvPT0_PvPT_S7_S7_PKS6_S9_S9_S9_S9_ffiiiiiiiiiiiii,comdat
.Lfunc_end988:
	.size	_ZN5aiter35fused_qk_rmsnorm_group_quant_kernelItN4opus5fp4_tELi512ELi16ELi2ELb1ELb1ELb1ELb1ELb0ELb0EEEvPT0_PvPT_S7_S7_PKS6_S9_S9_S9_S9_ffiiiiiiiiiiiii, .Lfunc_end988-_ZN5aiter35fused_qk_rmsnorm_group_quant_kernelItN4opus5fp4_tELi512ELi16ELi2ELb1ELb1ELb1ELb1ELb0ELb0EEEvPT0_PvPT_S7_S7_PKS6_S9_S9_S9_S9_ffiiiiiiiiiiiii
                                        ; -- End function
	.section	.AMDGPU.csdata,"",@progbits
; Kernel info:
; codeLenInByte = 3600
; NumSgprs: 36
; NumVgprs: 76
; NumAgprs: 0
; TotalNumVgprs: 76
; ScratchSize: 0
; MemoryBound: 0
; FloatMode: 240
; IeeeMode: 1
; LDSByteSize: 64 bytes/workgroup (compile time only)
; SGPRBlocks: 4
; VGPRBlocks: 9
; NumSGPRsForWavesPerEU: 36
; NumVGPRsForWavesPerEU: 76
; AccumOffset: 76
; Occupancy: 6
; WaveLimiterHint : 0
; COMPUTE_PGM_RSRC2:SCRATCH_EN: 0
; COMPUTE_PGM_RSRC2:USER_SGPR: 6
; COMPUTE_PGM_RSRC2:TRAP_HANDLER: 0
; COMPUTE_PGM_RSRC2:TGID_X_EN: 1
; COMPUTE_PGM_RSRC2:TGID_Y_EN: 1
; COMPUTE_PGM_RSRC2:TGID_Z_EN: 0
; COMPUTE_PGM_RSRC2:TIDIG_COMP_CNT: 0
; COMPUTE_PGM_RSRC3_GFX90A:ACCUM_OFFSET: 18
; COMPUTE_PGM_RSRC3_GFX90A:TG_SPLIT: 0
	.section	.text._ZN5aiter35fused_qk_rmsnorm_group_quant_kernelIDF16_DB8_Li512ELi16ELi2ELb1ELb1ELb0ELb1ELb0ELb0EEEvPT0_PvPT_S6_S6_PKS5_S8_S8_S8_S8_ffiiiiiiiiiiiii,"axG",@progbits,_ZN5aiter35fused_qk_rmsnorm_group_quant_kernelIDF16_DB8_Li512ELi16ELi2ELb1ELb1ELb0ELb1ELb0ELb0EEEvPT0_PvPT_S6_S6_PKS5_S8_S8_S8_S8_ffiiiiiiiiiiiii,comdat
	.protected	_ZN5aiter35fused_qk_rmsnorm_group_quant_kernelIDF16_DB8_Li512ELi16ELi2ELb1ELb1ELb0ELb1ELb0ELb0EEEvPT0_PvPT_S6_S6_PKS5_S8_S8_S8_S8_ffiiiiiiiiiiiii ; -- Begin function _ZN5aiter35fused_qk_rmsnorm_group_quant_kernelIDF16_DB8_Li512ELi16ELi2ELb1ELb1ELb0ELb1ELb0ELb0EEEvPT0_PvPT_S6_S6_PKS5_S8_S8_S8_S8_ffiiiiiiiiiiiii
	.globl	_ZN5aiter35fused_qk_rmsnorm_group_quant_kernelIDF16_DB8_Li512ELi16ELi2ELb1ELb1ELb0ELb1ELb0ELb0EEEvPT0_PvPT_S6_S6_PKS5_S8_S8_S8_S8_ffiiiiiiiiiiiii
	.p2align	8
	.type	_ZN5aiter35fused_qk_rmsnorm_group_quant_kernelIDF16_DB8_Li512ELi16ELi2ELb1ELb1ELb0ELb1ELb0ELb0EEEvPT0_PvPT_S6_S6_PKS5_S8_S8_S8_S8_ffiiiiiiiiiiiii,@function
_ZN5aiter35fused_qk_rmsnorm_group_quant_kernelIDF16_DB8_Li512ELi16ELi2ELb1ELb1ELb0ELb1ELb0ELb0EEEvPT0_PvPT_S6_S6_PKS5_S8_S8_S8_S8_ffiiiiiiiiiiiii: ; @_ZN5aiter35fused_qk_rmsnorm_group_quant_kernelIDF16_DB8_Li512ELi16ELi2ELb1ELb1ELb0ELb1ELb0ELb0EEEvPT0_PvPT_S6_S6_PKS5_S8_S8_S8_S8_ffiiiiiiiiiiiii
; %bb.0:
	s_load_dwordx8 s[12:19], s[4:5], 0x50
	s_waitcnt lgkmcnt(0)
	s_cmp_ge_i32 s6, s14
	s_cbranch_scc1 .LBB989_17
; %bb.1:
	s_cmp_lg_u32 s7, 0
	s_cselect_b64 s[22:23], -1, 0
	s_cmp_eq_u32 s7, 0
	s_cselect_b64 s[2:3], -1, 0
	s_and_b64 s[0:1], s[2:3], exec
	s_cselect_b32 s7, s15, s16
	s_load_dwordx2 s[10:11], s[4:5], 0x30
	s_load_dwordx2 s[20:21], s[4:5], 0x48
	s_add_i32 s0, s7, 1
	s_lshr_b32 s1, s0, 31
	s_add_i32 s0, s0, s1
	s_lshl_b32 s0, s0, 1
	v_lshlrev_b32_e32 v1, 4, v0
	s_and_b32 s30, s0, -4
	v_cmp_gt_i32_e64 s[0:1], s7, v1
	v_mov_b32_e32 v6, 0
	v_mov_b32_e32 v7, 0
	;; [unrolled: 1-line block ×16, first 2 shown]
	s_and_saveexec_b64 s[8:9], s[0:1]
	s_cbranch_execz .LBB989_3
; %bb.2:
	s_load_dwordx2 s[14:15], s[4:5], 0x28
	s_load_dwordx2 s[26:27], s[4:5], 0x40
	s_and_b64 s[24:25], s[2:3], exec
	s_cselect_b32 s17, s17, s18
	s_mov_b32 s31, 0x20000
	s_waitcnt lgkmcnt(0)
	s_cselect_b32 s25, s15, s11
	s_cselect_b32 s24, s14, s10
	s_mul_hi_i32 s15, s17, s6
	s_mul_i32 s14, s17, s6
	s_lshl_b64 s[14:15], s[14:15], 1
	s_add_u32 s24, s24, s14
	s_addc_u32 s17, s25, s15
	s_and_b64 s[14:15], s[2:3], exec
	s_cselect_b32 s28, s26, s20
	s_cselect_b32 s14, s27, s21
	s_and_b32 s25, s17, 0xffff
	s_mov_b32 s26, s30
	s_mov_b32 s27, s31
	v_lshlrev_b32_e32 v18, 5, v0
	s_and_b32 s29, s14, 0xffff
	buffer_load_dwordx4 v[10:13], v18, s[24:27], 0 offen
	buffer_load_dwordx4 v[14:17], v18, s[24:27], 16 offen
	;; [unrolled: 1-line block ×4, first 2 shown]
.LBB989_3:
	s_or_b64 exec, exec, s[8:9]
	s_load_dwordx4 s[24:27], s[4:5], 0x7c
	s_and_b64 vcc, exec, s[22:23]
	s_cbranch_vccz .LBB989_7
; %bb.4:
	v_mov_b32_e32 v19, 0
	v_mov_b32_e32 v18, 0
	;; [unrolled: 1-line block ×16, first 2 shown]
	s_and_saveexec_b64 s[8:9], s[0:1]
	s_cbranch_execz .LBB989_6
; %bb.5:
	s_waitcnt vmcnt(3)
	v_cvt_f32_f16_sdwa v33, v10 dst_sel:DWORD dst_unused:UNUSED_PAD src0_sel:WORD_1
	v_cvt_f32_f16_e32 v32, v10
	v_cvt_f32_f16_sdwa v31, v11 dst_sel:DWORD dst_unused:UNUSED_PAD src0_sel:WORD_1
	v_cvt_f32_f16_e32 v30, v11
	;; [unrolled: 2-line block ×4, first 2 shown]
	s_waitcnt vmcnt(2)
	v_cvt_f32_f16_sdwa v25, v14 dst_sel:DWORD dst_unused:UNUSED_PAD src0_sel:WORD_1
	v_cvt_f32_f16_e32 v24, v14
	v_cvt_f32_f16_sdwa v23, v15 dst_sel:DWORD dst_unused:UNUSED_PAD src0_sel:WORD_1
	v_cvt_f32_f16_e32 v22, v15
	v_cvt_f32_f16_sdwa v21, v16 dst_sel:DWORD dst_unused:UNUSED_PAD src0_sel:WORD_1
	v_cvt_f32_f16_e32 v20, v16
	v_cvt_f32_f16_sdwa v19, v17 dst_sel:DWORD dst_unused:UNUSED_PAD src0_sel:WORD_1
	v_cvt_f32_f16_e32 v18, v17
.LBB989_6:
	s_or_b64 exec, exec, s[8:9]
	s_cbranch_execz .LBB989_8
	s_branch .LBB989_11
.LBB989_7:
                                        ; implicit-def: $vgpr19
                                        ; implicit-def: $vgpr21
                                        ; implicit-def: $vgpr23
                                        ; implicit-def: $vgpr25
                                        ; implicit-def: $vgpr29
                                        ; implicit-def: $vgpr27
                                        ; implicit-def: $vgpr31
                                        ; implicit-def: $vgpr33
.LBB989_8:
	v_mov_b32_e32 v19, 0
	v_mov_b32_e32 v18, 0
	;; [unrolled: 1-line block ×16, first 2 shown]
	s_and_saveexec_b64 s[8:9], s[0:1]
	s_cbranch_execz .LBB989_10
; %bb.9:
	s_load_dwordx2 s[14:15], s[4:5], 0x38
	s_mul_hi_i32 s29, s19, s6
	s_mul_i32 s28, s19, s6
	s_lshl_b64 s[28:29], s[28:29], 1
	s_mov_b32 s31, 0x20000
	s_waitcnt lgkmcnt(0)
	s_add_u32 s28, s14, s28
	s_addc_u32 s14, s15, s29
	s_and_b32 s29, s14, 0xffff
	v_lshlrev_b32_e32 v48, 5, v0
	buffer_load_dwordx4 v[18:21], v48, s[28:31], 16 offen
	buffer_load_dwordx4 v[22:25], v48, s[28:31], 0 offen
	s_waitcnt vmcnt(4)
	v_cvt_f32_f16_sdwa v27, v14 dst_sel:DWORD dst_unused:UNUSED_PAD src0_sel:WORD_1
	v_cvt_f32_f16_e32 v26, v14
	v_cvt_f32_f16_sdwa v29, v15 dst_sel:DWORD dst_unused:UNUSED_PAD src0_sel:WORD_1
	v_cvt_f32_f16_e32 v28, v15
	;; [unrolled: 2-line block ×8, first 2 shown]
	s_load_dwordx2 s[14:15], s[4:5], 0x20
	s_mul_hi_i32 s27, s26, s6
	s_mul_i32 s26, s26, s6
	s_lshl_b64 s[26:27], s[26:27], 1
	s_waitcnt lgkmcnt(0)
	s_add_u32 s28, s14, s26
	s_addc_u32 s14, s15, s27
	s_and_b32 s29, s14, 0xffff
	s_waitcnt vmcnt(1)
	v_cvt_f32_f16_e32 v12, v18
	v_cvt_f32_f16_sdwa v13, v18 dst_sel:DWORD dst_unused:UNUSED_PAD src0_sel:WORD_1
	v_cvt_f32_f16_e32 v18, v19
	v_cvt_f32_f16_sdwa v19, v19 dst_sel:DWORD dst_unused:UNUSED_PAD src0_sel:WORD_1
	;; [unrolled: 2-line block ×4, first 2 shown]
	s_waitcnt vmcnt(0)
	v_cvt_f32_f16_e32 v40, v22
	v_cvt_f32_f16_sdwa v41, v22 dst_sel:DWORD dst_unused:UNUSED_PAD src0_sel:WORD_1
	v_cvt_f32_f16_e32 v42, v23
	v_cvt_f32_f16_sdwa v43, v23 dst_sel:DWORD dst_unused:UNUSED_PAD src0_sel:WORD_1
	;; [unrolled: 2-line block ×4, first 2 shown]
	v_pk_add_f32 v[24:25], v[26:27], v[12:13]
	v_pk_add_f32 v[22:23], v[28:29], v[18:19]
	;; [unrolled: 1-line block ×8, first 2 shown]
	v_cvt_f16_f32_e32 v10, v33
	v_cvt_f16_f32_e32 v14, v32
	;; [unrolled: 1-line block ×16, first 2 shown]
	v_pack_b32_f16 v13, v17, v13
	v_pack_b32_f16 v12, v16, v12
	;; [unrolled: 1-line block ×8, first 2 shown]
	buffer_store_dwordx4 v[10:13], v48, s[28:31], 0 offen
	;;#ASMSTART
	s_nop 0
	;;#ASMEND
	buffer_store_dwordx4 v[14:17], v48, s[28:31], 16 offen
	;;#ASMSTART
	s_nop 0
	;;#ASMEND
.LBB989_10:
	s_or_b64 exec, exec, s[8:9]
.LBB989_11:
	s_waitcnt vmcnt(3)
	v_mul_f32_e32 v10, v33, v33
	v_fmac_f32_e32 v10, v32, v32
	v_fmac_f32_e32 v10, v30, v30
	;; [unrolled: 1-line block ×15, first 2 shown]
	v_and_b32_e32 v12, 63, v0
	v_cmp_eq_u32_e64 s[8:9], 63, v12
	v_mov_b32_dpp v11, v10 quad_perm:[1,0,3,2] row_mask:0xf bank_mask:0xf
	v_add_f32_e32 v10, v10, v11
	s_nop 1
	v_mov_b32_dpp v11, v10 quad_perm:[2,3,0,1] row_mask:0xf bank_mask:0xf
	v_add_f32_e32 v10, v10, v11
	s_nop 1
	v_mov_b32_dpp v11, v10 row_half_mirror row_mask:0xf bank_mask:0xf
	v_add_f32_e32 v10, v10, v11
	s_nop 1
	v_mov_b32_dpp v11, v10 row_mirror row_mask:0xf bank_mask:0xf
	v_add_f32_e32 v10, v10, v11
	s_nop 1
	v_mov_b32_dpp v11, v10 row_bcast:15 row_mask:0xf bank_mask:0xf
	v_add_f32_e32 v10, v10, v11
	s_nop 1
	v_mov_b32_dpp v11, v10 row_bcast:31 row_mask:0xf bank_mask:0xf
	s_and_saveexec_b64 s[14:15], s[8:9]
	s_cbranch_execz .LBB989_13
; %bb.12:
	v_add_f32_e32 v10, v10, v11
	v_lshrrev_b32_e32 v11, 4, v0
	v_and_b32_e32 v11, 60, v11
	ds_write_b32 v11, v10 offset:32
.LBB989_13:
	s_or_b64 exec, exec, s[14:15]
	v_and_b32_e32 v10, 7, v0
	v_lshlrev_b32_e32 v34, 2, v10
	s_waitcnt lgkmcnt(0)
	s_barrier
	ds_read_b32 v10, v34 offset:32
	s_load_dwordx2 s[14:15], s[4:5], 0x18
	s_waitcnt lgkmcnt(0)
	v_mov_b32_dpp v11, v10 quad_perm:[1,0,3,2] row_mask:0xf bank_mask:0xf
	v_add_f32_e32 v10, v10, v11
	s_nop 1
	v_mov_b32_dpp v11, v10 quad_perm:[2,3,0,1] row_mask:0xf bank_mask:0xf
	v_add_f32_e32 v10, v10, v11
	s_nop 1
	v_mov_b32_dpp v11, v10 row_half_mirror row_mask:0xf bank_mask:0xf
	s_and_saveexec_b64 s[26:27], s[0:1]
	s_cbranch_execnz .LBB989_18
; %bb.14:
	s_or_b64 exec, exec, s[26:27]
	s_mov_b64 s[2:3], -1
	s_and_b64 vcc, exec, s[22:23]
	s_cbranch_vccnz .LBB989_19
.LBB989_15:
	s_andn2_b64 vcc, exec, s[2:3]
	s_cbranch_vccz .LBB989_22
.LBB989_16:
	s_cmp_lt_i32 s16, 1
	s_cbranch_scc0 .LBB989_25
.LBB989_17:
	s_endpgm
.LBB989_18:
	v_cvt_f32_u32_e32 v12, s7
	v_add_f32_e32 v10, v10, v11
	s_waitcnt vmcnt(2)
	v_mov_b32_e32 v14, s13
	v_mov_b32_e32 v15, s12
	v_div_scale_f32 v11, s[28:29], v12, v12, v10
	v_rcp_f32_e32 v13, v11
	v_cndmask_b32_e64 v14, v14, v15, s[2:3]
	s_mov_b32 s2, 0x800000
	s_waitcnt vmcnt(1)
	v_cvt_f32_f16_sdwa v37, v9 dst_sel:DWORD dst_unused:UNUSED_PAD src0_sel:WORD_1
	v_fma_f32 v15, -v11, v13, 1.0
	v_fmac_f32_e32 v13, v15, v13
	v_div_scale_f32 v15, vcc, v10, v12, v10
	v_mul_f32_e32 v16, v15, v13
	v_fma_f32 v17, -v11, v16, v15
	v_fmac_f32_e32 v16, v17, v13
	v_fma_f32 v11, -v11, v16, v15
	v_div_fmas_f32 v11, v11, v13, v16
	v_div_fixup_f32 v10, v11, v12, v10
	v_add_f32_e32 v10, v14, v10
	v_mul_f32_e32 v11, 0x4b800000, v10
	v_cmp_gt_f32_e32 vcc, s2, v10
	v_cndmask_b32_e32 v10, v10, v11, vcc
	v_rsq_f32_e32 v10, v10
	v_cvt_f32_f16_e32 v36, v9
	s_waitcnt vmcnt(0)
	v_cvt_f32_f16_sdwa v9, v3 dst_sel:DWORD dst_unused:UNUSED_PAD src0_sel:WORD_1
	v_mul_f32_e32 v11, 0x45800000, v10
	v_cndmask_b32_e32 v10, v10, v11, vcc
	v_mov_b32_e32 v11, v10
	;;#ASMSTART
	v_pk_mul_f32 v[12:13], v[32:33], v[10:11]
	;;#ASMEND
	;;#ASMSTART
	v_pk_mul_f32 v[14:15], v[30:31], v[10:11]
	;;#ASMEND
	;; [unrolled: 3-line block ×8, first 2 shown]
	v_cvt_f32_f16_sdwa v19, v6 dst_sel:DWORD dst_unused:UNUSED_PAD src0_sel:WORD_1
	v_cvt_f32_f16_e32 v18, v6
	v_cvt_f32_f16_sdwa v27, v7 dst_sel:DWORD dst_unused:UNUSED_PAD src0_sel:WORD_1
	v_cvt_f32_f16_e32 v26, v7
	;; [unrolled: 2-line block ×3, first 2 shown]
	;;#ASMSTART
	v_pk_mul_f32 v[32:33], v[12:13], v[18:19]
	;;#ASMEND
	;;#ASMSTART
	v_pk_mul_f32 v[30:31], v[14:15], v[26:27]
	;;#ASMEND
	;; [unrolled: 3-line block ×4, first 2 shown]
	v_cvt_f32_f16_sdwa v7, v2 dst_sel:DWORD dst_unused:UNUSED_PAD src0_sel:WORD_1
	v_cvt_f32_f16_e32 v6, v2
	v_cvt_f32_f16_e32 v8, v3
	v_cvt_f32_f16_sdwa v3, v4 dst_sel:DWORD dst_unused:UNUSED_PAD src0_sel:WORD_1
	v_cvt_f32_f16_e32 v2, v4
	v_cvt_f32_f16_sdwa v13, v5 dst_sel:DWORD dst_unused:UNUSED_PAD src0_sel:WORD_1
	v_cvt_f32_f16_e32 v12, v5
	;;#ASMSTART
	v_pk_mul_f32 v[24:25], v[24:25], v[6:7]
	;;#ASMEND
	;;#ASMSTART
	v_pk_mul_f32 v[22:23], v[22:23], v[8:9]
	;;#ASMEND
	;; [unrolled: 3-line block ×4, first 2 shown]
	s_or_b64 exec, exec, s[26:27]
	s_mov_b64 s[2:3], -1
	s_and_b64 vcc, exec, s[22:23]
	s_cbranch_vccz .LBB989_15
.LBB989_19:
	s_and_saveexec_b64 s[2:3], s[0:1]
	s_cbranch_execz .LBB989_21
; %bb.20:
	s_mul_hi_i32 s23, s25, s6
	s_mul_i32 s22, s25, s6
	s_waitcnt vmcnt(0)
	v_cvt_f16_f32_e32 v2, v32
	v_cvt_f16_f32_e32 v3, v30
	;; [unrolled: 1-line block ×8, first 2 shown]
	s_lshl_b64 s[22:23], s[22:23], 1
	s_add_u32 s28, s14, s22
	s_addc_u32 s7, s15, s23
	s_and_b32 s29, s7, 0xffff
	s_mov_b32 s31, 0x20000
	v_pack_b32_f16 v5, v5, v6
	v_pack_b32_f16 v4, v4, v7
	;; [unrolled: 1-line block ×4, first 2 shown]
	v_lshlrev_b32_e32 v6, 5, v0
	buffer_store_dwordx4 v[2:5], v6, s[28:31], 0 offen
	v_cvt_f16_f32_e32 v7, v19
	v_cvt_f16_f32_e32 v2, v24
	;; [unrolled: 1-line block ×8, first 2 shown]
	v_pack_b32_f16 v5, v5, v7
	v_pack_b32_f16 v4, v4, v8
	;; [unrolled: 1-line block ×4, first 2 shown]
	;;#ASMSTART
	s_nop 0
	;;#ASMEND
	buffer_store_dwordx4 v[2:5], v6, s[28:31], 16 offen
	;;#ASMSTART
	s_nop 0
	;;#ASMEND
.LBB989_21:
	s_or_b64 exec, exec, s[2:3]
	s_cbranch_execnz .LBB989_16
.LBB989_22:
	s_and_saveexec_b64 s[2:3], s[0:1]
	s_cbranch_execz .LBB989_24
; %bb.23:
	s_load_dwordx2 s[0:1], s[4:5], 0x10
	s_mul_hi_i32 s23, s24, s6
	s_mul_i32 s22, s24, s6
	s_waitcnt vmcnt(0)
	v_cvt_f16_f32_e32 v2, v32
	v_cvt_f16_f32_e32 v3, v30
	;; [unrolled: 1-line block ×8, first 2 shown]
	s_lshl_b64 s[22:23], s[22:23], 1
	s_waitcnt lgkmcnt(0)
	s_add_u32 s28, s0, s22
	s_addc_u32 s0, s1, s23
	s_mov_b32 s31, 0x20000
	s_and_b32 s29, s0, 0xffff
	v_pack_b32_f16 v5, v5, v6
	v_pack_b32_f16 v4, v4, v7
	;; [unrolled: 1-line block ×4, first 2 shown]
	v_lshlrev_b32_e32 v6, 5, v0
	buffer_store_dwordx4 v[2:5], v6, s[28:31], 0 offen
	v_cvt_f16_f32_e32 v7, v19
	v_cvt_f16_f32_e32 v2, v24
	;; [unrolled: 1-line block ×8, first 2 shown]
	v_pack_b32_f16 v5, v5, v7
	v_pack_b32_f16 v4, v4, v8
	;; [unrolled: 1-line block ×4, first 2 shown]
	;;#ASMSTART
	s_nop 0
	;;#ASMEND
	buffer_store_dwordx4 v[2:5], v6, s[28:31], 16 offen
	;;#ASMSTART
	s_nop 0
	;;#ASMEND
.LBB989_24:
	s_or_b64 exec, exec, s[2:3]
	s_cmp_lt_i32 s16, 1
	s_cbranch_scc1 .LBB989_17
.LBB989_25:
	s_load_dword s0, s[4:5], 0x94
	s_waitcnt lgkmcnt(0)
	s_cmp_lg_u32 s0, 1
	s_cbranch_scc1 .LBB989_17
; %bb.26:
	s_lshl_b32 s0, s16, 1
	s_add_i32 s0, s0, 2
	v_cmp_gt_u32_e32 vcc, s16, v1
	s_and_b32 s22, s0, -4
	v_mov_b32_e32 v18, 0
	v_lshlrev_b32_e32 v1, 5, v0
	s_waitcnt vmcnt(2)
	v_mov_b32_e32 v14, 0
	v_mov_b32_e32 v15, 0
	;; [unrolled: 1-line block ×8, first 2 shown]
	s_waitcnt vmcnt(1)
	v_mov_b32_e32 v6, 0
	v_mov_b32_e32 v7, 0
	;; [unrolled: 1-line block ×4, first 2 shown]
	s_waitcnt vmcnt(0)
	v_mov_b32_e32 v2, 0
	v_mov_b32_e32 v3, 0
	;; [unrolled: 1-line block ×4, first 2 shown]
	s_barrier
	s_and_saveexec_b64 s[0:1], vcc
	s_cbranch_execz .LBB989_28
; %bb.27:
	s_mul_hi_i32 s3, s18, s6
	s_mul_i32 s2, s18, s6
	s_and_b32 s21, s21, 0xffff
	s_lshl_b64 s[2:3], s[2:3], 1
	s_add_u32 s28, s10, s2
	s_mov_b32 s23, 0x20000
	s_addc_u32 s2, s11, s3
	s_and_b32 s29, s2, 0xffff
	s_mov_b32 s30, s22
	s_mov_b32 s31, s23
	buffer_load_dwordx4 v[14:17], v1, s[28:31], 0 offen
	buffer_load_dwordx4 v[10:13], v1, s[28:31], 16 offen
	;; [unrolled: 1-line block ×4, first 2 shown]
.LBB989_28:
	s_or_b64 exec, exec, s[0:1]
	v_mov_b32_e32 v19, 0
	v_mov_b32_e32 v32, 0
	;; [unrolled: 1-line block ×15, first 2 shown]
	s_and_saveexec_b64 s[0:1], vcc
	s_cbranch_execz .LBB989_30
; %bb.29:
	s_waitcnt vmcnt(3)
	v_cvt_f32_f16_sdwa v19, v14 dst_sel:DWORD dst_unused:UNUSED_PAD src0_sel:WORD_1
	v_cvt_f32_f16_e32 v18, v14
	v_cvt_f32_f16_sdwa v33, v15 dst_sel:DWORD dst_unused:UNUSED_PAD src0_sel:WORD_1
	v_cvt_f32_f16_e32 v32, v15
	;; [unrolled: 2-line block ×4, first 2 shown]
	s_waitcnt vmcnt(2)
	v_cvt_f32_f16_sdwa v27, v10 dst_sel:DWORD dst_unused:UNUSED_PAD src0_sel:WORD_1
	v_cvt_f32_f16_e32 v26, v10
	v_cvt_f32_f16_sdwa v25, v11 dst_sel:DWORD dst_unused:UNUSED_PAD src0_sel:WORD_1
	v_cvt_f32_f16_e32 v24, v11
	;; [unrolled: 2-line block ×4, first 2 shown]
.LBB989_30:
	s_or_b64 exec, exec, s[0:1]
	s_waitcnt vmcnt(2)
	v_mul_f32_e32 v10, v19, v19
	v_fmac_f32_e32 v10, v18, v18
	v_fmac_f32_e32 v10, v32, v32
	;; [unrolled: 1-line block ×15, first 2 shown]
	s_nop 1
	v_mov_b32_dpp v11, v10 quad_perm:[1,0,3,2] row_mask:0xf bank_mask:0xf
	v_add_f32_e32 v10, v10, v11
	s_nop 1
	v_mov_b32_dpp v11, v10 quad_perm:[2,3,0,1] row_mask:0xf bank_mask:0xf
	v_add_f32_e32 v10, v10, v11
	s_nop 1
	v_mov_b32_dpp v11, v10 row_half_mirror row_mask:0xf bank_mask:0xf
	v_add_f32_e32 v10, v10, v11
	s_nop 1
	v_mov_b32_dpp v11, v10 row_mirror row_mask:0xf bank_mask:0xf
	v_add_f32_e32 v10, v10, v11
	s_nop 1
	v_mov_b32_dpp v11, v10 row_bcast:15 row_mask:0xf bank_mask:0xf
	v_add_f32_e32 v10, v10, v11
	s_nop 1
	v_mov_b32_dpp v11, v10 row_bcast:31 row_mask:0xf bank_mask:0xf
	s_and_saveexec_b64 s[0:1], s[8:9]
	s_cbranch_execz .LBB989_32
; %bb.31:
	v_lshrrev_b32_e32 v0, 4, v0
	v_add_f32_e32 v10, v10, v11
	v_and_b32_e32 v0, 60, v0
	ds_write_b32 v0, v10
.LBB989_32:
	s_or_b64 exec, exec, s[0:1]
	s_waitcnt lgkmcnt(0)
	s_barrier
	ds_read_b32 v0, v34
	s_waitcnt lgkmcnt(0)
	s_nop 0
	v_mov_b32_dpp v10, v0 quad_perm:[1,0,3,2] row_mask:0xf bank_mask:0xf
	v_add_f32_e32 v0, v0, v10
	s_nop 1
	v_mov_b32_dpp v10, v0 quad_perm:[2,3,0,1] row_mask:0xf bank_mask:0xf
	v_add_f32_e32 v0, v0, v10
	s_nop 1
	v_mov_b32_dpp v10, v0 row_half_mirror row_mask:0xf bank_mask:0xf
	s_and_saveexec_b64 s[0:1], vcc
	s_cbranch_execz .LBB989_17
; %bb.33:
	v_cvt_f32_u32_e32 v11, s16
	v_add_f32_e32 v0, v0, v10
	s_mov_b32 s23, 0x20000
	v_div_scale_f32 v10, s[0:1], v11, v11, v0
	v_rcp_f32_e32 v12, v10
	v_div_scale_f32 v13, vcc, v0, v11, v0
	s_mov_b32 s0, 0x800000
	v_fma_f32 v14, -v10, v12, 1.0
	v_fmac_f32_e32 v12, v14, v12
	v_mul_f32_e32 v14, v13, v12
	v_fma_f32 v15, -v10, v14, v13
	v_fmac_f32_e32 v14, v15, v12
	v_fma_f32 v10, -v10, v14, v13
	v_div_fmas_f32 v10, v10, v12, v14
	v_div_fixup_f32 v0, v10, v11, v0
	v_add_f32_e32 v0, s13, v0
	v_mul_f32_e32 v10, 0x4b800000, v0
	v_cmp_gt_f32_e32 vcc, s0, v0
	v_cndmask_b32_e32 v0, v0, v10, vcc
	v_rsq_f32_e32 v0, v0
	s_mul_hi_i32 s1, s25, s6
	s_mul_i32 s0, s25, s6
	s_lshl_b64 s[0:1], s[0:1], 1
	v_mul_f32_e32 v10, 0x45800000, v0
	v_cndmask_b32_e32 v10, v0, v10, vcc
	v_mov_b32_e32 v11, v10
	;;#ASMSTART
	v_pk_mul_f32 v[12:13], v[18:19], v[10:11]
	;;#ASMEND
	;;#ASMSTART
	v_pk_mul_f32 v[14:15], v[32:33], v[10:11]
	;;#ASMEND
	;; [unrolled: 3-line block ×8, first 2 shown]
	s_waitcnt vmcnt(1)
	v_cvt_f32_f16_sdwa v21, v6 dst_sel:DWORD dst_unused:UNUSED_PAD src0_sel:WORD_1
	v_cvt_f32_f16_e32 v20, v6
	v_cvt_f32_f16_sdwa v29, v7 dst_sel:DWORD dst_unused:UNUSED_PAD src0_sel:WORD_1
	v_cvt_f32_f16_e32 v28, v7
	;; [unrolled: 2-line block ×4, first 2 shown]
	;;#ASMSTART
	v_pk_mul_f32 v[8:9], v[12:13], v[20:21]
	;;#ASMEND
	;;#ASMSTART
	v_pk_mul_f32 v[12:13], v[14:15], v[28:29]
	;;#ASMEND
	;; [unrolled: 3-line block ×4, first 2 shown]
	s_waitcnt vmcnt(0)
	v_cvt_f32_f16_sdwa v17, v2 dst_sel:DWORD dst_unused:UNUSED_PAD src0_sel:WORD_1
	v_cvt_f32_f16_e32 v16, v2
	v_cvt_f32_f16_sdwa v19, v3 dst_sel:DWORD dst_unused:UNUSED_PAD src0_sel:WORD_1
	v_cvt_f32_f16_e32 v18, v3
	v_cvt_f32_f16_sdwa v3, v4 dst_sel:DWORD dst_unused:UNUSED_PAD src0_sel:WORD_1
	v_cvt_f32_f16_e32 v2, v4
	v_cvt_f32_f16_sdwa v21, v5 dst_sel:DWORD dst_unused:UNUSED_PAD src0_sel:WORD_1
	v_cvt_f32_f16_e32 v20, v5
	;;#ASMSTART
	v_pk_mul_f32 v[16:17], v[26:27], v[16:17]
	;;#ASMEND
	;;#ASMSTART
	v_pk_mul_f32 v[18:19], v[24:25], v[18:19]
	;;#ASMEND
	;; [unrolled: 3-line block ×3, first 2 shown]
	v_cvt_f16_f32_e32 v0, v8
	v_cvt_f16_f32_e32 v2, v9
	;; [unrolled: 1-line block ×8, first 2 shown]
	s_add_u32 s20, s14, s0
	s_addc_u32 s0, s15, s1
	s_and_b32 s21, s0, 0xffff
	v_pack_b32_f16 v2, v0, v2
	v_pack_b32_f16 v3, v3, v4
	;; [unrolled: 1-line block ×4, first 2 shown]
	;;#ASMSTART
	v_pk_mul_f32 v[10:11], v[10:11], v[20:21]
	;;#ASMEND
	buffer_store_dwordx4 v[2:5], v1, s[20:23], 0 offen
	v_cvt_f16_f32_e32 v0, v16
	v_cvt_f16_f32_e32 v2, v17
	;; [unrolled: 1-line block ×8, first 2 shown]
	v_pack_b32_f16 v2, v0, v2
	v_pack_b32_f16 v3, v3, v4
	;; [unrolled: 1-line block ×4, first 2 shown]
	;;#ASMSTART
	s_nop 0
	;;#ASMEND
	buffer_store_dwordx4 v[2:5], v1, s[20:23], 16 offen
	;;#ASMSTART
	s_nop 0
	;;#ASMEND
	s_endpgm
	.section	.rodata,"a",@progbits
	.p2align	6, 0x0
	.amdhsa_kernel _ZN5aiter35fused_qk_rmsnorm_group_quant_kernelIDF16_DB8_Li512ELi16ELi2ELb1ELb1ELb0ELb1ELb0ELb0EEEvPT0_PvPT_S6_S6_PKS5_S8_S8_S8_S8_ffiiiiiiiiiiiii
		.amdhsa_group_segment_fixed_size 64
		.amdhsa_private_segment_fixed_size 0
		.amdhsa_kernarg_size 400
		.amdhsa_user_sgpr_count 6
		.amdhsa_user_sgpr_private_segment_buffer 1
		.amdhsa_user_sgpr_dispatch_ptr 0
		.amdhsa_user_sgpr_queue_ptr 0
		.amdhsa_user_sgpr_kernarg_segment_ptr 1
		.amdhsa_user_sgpr_dispatch_id 0
		.amdhsa_user_sgpr_flat_scratch_init 0
		.amdhsa_user_sgpr_kernarg_preload_length 0
		.amdhsa_user_sgpr_kernarg_preload_offset 0
		.amdhsa_user_sgpr_private_segment_size 0
		.amdhsa_uses_dynamic_stack 0
		.amdhsa_system_sgpr_private_segment_wavefront_offset 0
		.amdhsa_system_sgpr_workgroup_id_x 1
		.amdhsa_system_sgpr_workgroup_id_y 1
		.amdhsa_system_sgpr_workgroup_id_z 0
		.amdhsa_system_sgpr_workgroup_info 0
		.amdhsa_system_vgpr_workitem_id 0
		.amdhsa_next_free_vgpr 49
		.amdhsa_next_free_sgpr 32
		.amdhsa_accum_offset 52
		.amdhsa_reserve_vcc 1
		.amdhsa_reserve_flat_scratch 0
		.amdhsa_float_round_mode_32 0
		.amdhsa_float_round_mode_16_64 0
		.amdhsa_float_denorm_mode_32 3
		.amdhsa_float_denorm_mode_16_64 3
		.amdhsa_dx10_clamp 1
		.amdhsa_ieee_mode 1
		.amdhsa_fp16_overflow 0
		.amdhsa_tg_split 0
		.amdhsa_exception_fp_ieee_invalid_op 0
		.amdhsa_exception_fp_denorm_src 0
		.amdhsa_exception_fp_ieee_div_zero 0
		.amdhsa_exception_fp_ieee_overflow 0
		.amdhsa_exception_fp_ieee_underflow 0
		.amdhsa_exception_fp_ieee_inexact 0
		.amdhsa_exception_int_div_zero 0
	.end_amdhsa_kernel
	.section	.text._ZN5aiter35fused_qk_rmsnorm_group_quant_kernelIDF16_DB8_Li512ELi16ELi2ELb1ELb1ELb0ELb1ELb0ELb0EEEvPT0_PvPT_S6_S6_PKS5_S8_S8_S8_S8_ffiiiiiiiiiiiii,"axG",@progbits,_ZN5aiter35fused_qk_rmsnorm_group_quant_kernelIDF16_DB8_Li512ELi16ELi2ELb1ELb1ELb0ELb1ELb0ELb0EEEvPT0_PvPT_S6_S6_PKS5_S8_S8_S8_S8_ffiiiiiiiiiiiii,comdat
.Lfunc_end989:
	.size	_ZN5aiter35fused_qk_rmsnorm_group_quant_kernelIDF16_DB8_Li512ELi16ELi2ELb1ELb1ELb0ELb1ELb0ELb0EEEvPT0_PvPT_S6_S6_PKS5_S8_S8_S8_S8_ffiiiiiiiiiiiii, .Lfunc_end989-_ZN5aiter35fused_qk_rmsnorm_group_quant_kernelIDF16_DB8_Li512ELi16ELi2ELb1ELb1ELb0ELb1ELb0ELb0EEEvPT0_PvPT_S6_S6_PKS5_S8_S8_S8_S8_ffiiiiiiiiiiiii
                                        ; -- End function
	.section	.AMDGPU.csdata,"",@progbits
; Kernel info:
; codeLenInByte = 3512
; NumSgprs: 36
; NumVgprs: 49
; NumAgprs: 0
; TotalNumVgprs: 49
; ScratchSize: 0
; MemoryBound: 0
; FloatMode: 240
; IeeeMode: 1
; LDSByteSize: 64 bytes/workgroup (compile time only)
; SGPRBlocks: 4
; VGPRBlocks: 6
; NumSGPRsForWavesPerEU: 36
; NumVGPRsForWavesPerEU: 49
; AccumOffset: 52
; Occupancy: 8
; WaveLimiterHint : 0
; COMPUTE_PGM_RSRC2:SCRATCH_EN: 0
; COMPUTE_PGM_RSRC2:USER_SGPR: 6
; COMPUTE_PGM_RSRC2:TRAP_HANDLER: 0
; COMPUTE_PGM_RSRC2:TGID_X_EN: 1
; COMPUTE_PGM_RSRC2:TGID_Y_EN: 1
; COMPUTE_PGM_RSRC2:TGID_Z_EN: 0
; COMPUTE_PGM_RSRC2:TIDIG_COMP_CNT: 0
; COMPUTE_PGM_RSRC3_GFX90A:ACCUM_OFFSET: 12
; COMPUTE_PGM_RSRC3_GFX90A:TG_SPLIT: 0
	.section	.text._ZN5aiter35fused_qk_rmsnorm_group_quant_kernelItDB8_Li512ELi16ELi2ELb1ELb1ELb0ELb1ELb0ELb0EEEvPT0_PvPT_S6_S6_PKS5_S8_S8_S8_S8_ffiiiiiiiiiiiii,"axG",@progbits,_ZN5aiter35fused_qk_rmsnorm_group_quant_kernelItDB8_Li512ELi16ELi2ELb1ELb1ELb0ELb1ELb0ELb0EEEvPT0_PvPT_S6_S6_PKS5_S8_S8_S8_S8_ffiiiiiiiiiiiii,comdat
	.protected	_ZN5aiter35fused_qk_rmsnorm_group_quant_kernelItDB8_Li512ELi16ELi2ELb1ELb1ELb0ELb1ELb0ELb0EEEvPT0_PvPT_S6_S6_PKS5_S8_S8_S8_S8_ffiiiiiiiiiiiii ; -- Begin function _ZN5aiter35fused_qk_rmsnorm_group_quant_kernelItDB8_Li512ELi16ELi2ELb1ELb1ELb0ELb1ELb0ELb0EEEvPT0_PvPT_S6_S6_PKS5_S8_S8_S8_S8_ffiiiiiiiiiiiii
	.globl	_ZN5aiter35fused_qk_rmsnorm_group_quant_kernelItDB8_Li512ELi16ELi2ELb1ELb1ELb0ELb1ELb0ELb0EEEvPT0_PvPT_S6_S6_PKS5_S8_S8_S8_S8_ffiiiiiiiiiiiii
	.p2align	8
	.type	_ZN5aiter35fused_qk_rmsnorm_group_quant_kernelItDB8_Li512ELi16ELi2ELb1ELb1ELb0ELb1ELb0ELb0EEEvPT0_PvPT_S6_S6_PKS5_S8_S8_S8_S8_ffiiiiiiiiiiiii,@function
_ZN5aiter35fused_qk_rmsnorm_group_quant_kernelItDB8_Li512ELi16ELi2ELb1ELb1ELb0ELb1ELb0ELb0EEEvPT0_PvPT_S6_S6_PKS5_S8_S8_S8_S8_ffiiiiiiiiiiiii: ; @_ZN5aiter35fused_qk_rmsnorm_group_quant_kernelItDB8_Li512ELi16ELi2ELb1ELb1ELb0ELb1ELb0ELb0EEEvPT0_PvPT_S6_S6_PKS5_S8_S8_S8_S8_ffiiiiiiiiiiiii
; %bb.0:
	s_load_dwordx8 s[12:19], s[4:5], 0x50
	s_waitcnt lgkmcnt(0)
	s_cmp_ge_i32 s6, s14
	s_cbranch_scc1 .LBB990_17
; %bb.1:
	s_cmp_lg_u32 s7, 0
	s_cselect_b64 s[22:23], -1, 0
	s_cmp_eq_u32 s7, 0
	s_cselect_b64 s[2:3], -1, 0
	s_and_b64 s[0:1], s[2:3], exec
	s_cselect_b32 s7, s15, s16
	s_load_dwordx2 s[10:11], s[4:5], 0x30
	s_load_dwordx2 s[20:21], s[4:5], 0x48
	s_add_i32 s0, s7, 1
	s_lshr_b32 s1, s0, 31
	s_add_i32 s0, s0, s1
	s_lshl_b32 s0, s0, 1
	v_lshlrev_b32_e32 v1, 4, v0
	s_and_b32 s30, s0, -4
	v_cmp_gt_i32_e64 s[0:1], s7, v1
	v_mov_b32_e32 v76, 0
	v_mov_b32_e32 v77, 0
	;; [unrolled: 1-line block ×16, first 2 shown]
	s_and_saveexec_b64 s[8:9], s[0:1]
	s_cbranch_execz .LBB990_3
; %bb.2:
	s_load_dwordx2 s[14:15], s[4:5], 0x28
	s_load_dwordx2 s[26:27], s[4:5], 0x40
	s_and_b64 s[24:25], s[2:3], exec
	s_cselect_b32 s17, s17, s18
	s_mov_b32 s31, 0x20000
	s_waitcnt lgkmcnt(0)
	s_cselect_b32 s25, s15, s11
	s_cselect_b32 s24, s14, s10
	s_mul_hi_i32 s15, s17, s6
	s_mul_i32 s14, s17, s6
	s_lshl_b64 s[14:15], s[14:15], 1
	s_add_u32 s24, s24, s14
	s_addc_u32 s17, s25, s15
	s_and_b64 s[14:15], s[2:3], exec
	s_cselect_b32 s28, s26, s20
	s_cselect_b32 s14, s27, s21
	s_and_b32 s25, s17, 0xffff
	s_mov_b32 s26, s30
	s_mov_b32 s27, s31
	v_lshlrev_b32_e32 v2, 5, v0
	s_and_b32 s29, s14, 0xffff
	buffer_load_dwordx4 v[80:83], v2, s[24:27], 0 offen
	buffer_load_dwordx4 v[84:87], v2, s[24:27], 16 offen
	;; [unrolled: 1-line block ×4, first 2 shown]
.LBB990_3:
	s_or_b64 exec, exec, s[8:9]
	s_load_dwordx4 s[24:27], s[4:5], 0x7c
	s_and_b64 vcc, exec, s[22:23]
	s_cbranch_vccz .LBB990_7
; %bb.4:
	v_mov_b32_e32 v89, 0
	v_mov_b32_e32 v88, 0
	;; [unrolled: 1-line block ×16, first 2 shown]
	s_and_saveexec_b64 s[8:9], s[0:1]
	s_cbranch_execz .LBB990_6
; %bb.5:
	s_waitcnt vmcnt(3)
	v_cvt_f32_u32_sdwa v18, v80 dst_sel:DWORD dst_unused:UNUSED_PAD src0_sel:WORD_0
	v_cvt_f32_u32_sdwa v19, v80 dst_sel:DWORD dst_unused:UNUSED_PAD src0_sel:WORD_1
	v_cvt_f32_u32_sdwa v4, v81 dst_sel:DWORD dst_unused:UNUSED_PAD src0_sel:WORD_0
	v_cvt_f32_u32_sdwa v5, v81 dst_sel:DWORD dst_unused:UNUSED_PAD src0_sel:WORD_1
	;; [unrolled: 2-line block ×4, first 2 shown]
	s_waitcnt vmcnt(2)
	v_cvt_f32_u32_sdwa v64, v84 dst_sel:DWORD dst_unused:UNUSED_PAD src0_sel:WORD_0
	v_cvt_f32_u32_sdwa v65, v84 dst_sel:DWORD dst_unused:UNUSED_PAD src0_sel:WORD_1
	v_cvt_f32_u32_sdwa v48, v85 dst_sel:DWORD dst_unused:UNUSED_PAD src0_sel:WORD_0
	v_cvt_f32_u32_sdwa v49, v85 dst_sel:DWORD dst_unused:UNUSED_PAD src0_sel:WORD_1
	v_cvt_f32_u32_sdwa v32, v86 dst_sel:DWORD dst_unused:UNUSED_PAD src0_sel:WORD_0
	v_cvt_f32_u32_sdwa v33, v86 dst_sel:DWORD dst_unused:UNUSED_PAD src0_sel:WORD_1
	v_cvt_f32_u32_sdwa v88, v87 dst_sel:DWORD dst_unused:UNUSED_PAD src0_sel:WORD_0
	v_cvt_f32_u32_sdwa v89, v87 dst_sel:DWORD dst_unused:UNUSED_PAD src0_sel:WORD_1
.LBB990_6:
	s_or_b64 exec, exec, s[8:9]
	s_cbranch_execz .LBB990_8
	s_branch .LBB990_11
.LBB990_7:
                                        ; implicit-def: $vgpr18_vgpr19_vgpr20_vgpr21_vgpr22_vgpr23_vgpr24_vgpr25_vgpr26_vgpr27_vgpr28_vgpr29_vgpr30_vgpr31_vgpr32_vgpr33
                                        ; implicit-def: $vgpr50_vgpr51_vgpr52_vgpr53_vgpr54_vgpr55_vgpr56_vgpr57_vgpr58_vgpr59_vgpr60_vgpr61_vgpr62_vgpr63_vgpr64_vgpr65
                                        ; implicit-def: $vgpr30_vgpr31_vgpr32_vgpr33_vgpr34_vgpr35_vgpr36_vgpr37_vgpr38_vgpr39_vgpr40_vgpr41_vgpr42_vgpr43_vgpr44_vgpr45
                                        ; implicit-def: $vgpr89
                                        ; implicit-def: $vgpr2_vgpr3_vgpr4_vgpr5_vgpr6_vgpr7_vgpr8_vgpr9_vgpr10_vgpr11_vgpr12_vgpr13_vgpr14_vgpr15_vgpr16_vgpr17
                                        ; implicit-def: $vgpr56_vgpr57_vgpr58_vgpr59_vgpr60_vgpr61_vgpr62_vgpr63_vgpr64_vgpr65_vgpr66_vgpr67_vgpr68_vgpr69_vgpr70_vgpr71
                                        ; implicit-def: $vgpr38_vgpr39_vgpr40_vgpr41_vgpr42_vgpr43_vgpr44_vgpr45_vgpr46_vgpr47_vgpr48_vgpr49_vgpr50_vgpr51_vgpr52_vgpr53
                                        ; implicit-def: $vgpr20_vgpr21_vgpr22_vgpr23_vgpr24_vgpr25_vgpr26_vgpr27_vgpr28_vgpr29_vgpr30_vgpr31_vgpr32_vgpr33_vgpr34_vgpr35
.LBB990_8:
	v_mov_b32_e32 v89, 0
	v_mov_b32_e32 v88, 0
	;; [unrolled: 1-line block ×16, first 2 shown]
	s_and_saveexec_b64 s[8:9], s[0:1]
	s_cbranch_execz .LBB990_10
; %bb.9:
	s_load_dwordx2 s[14:15], s[4:5], 0x38
	s_mul_hi_i32 s29, s19, s6
	s_mul_i32 s28, s19, s6
	s_lshl_b64 s[28:29], s[28:29], 1
	s_mov_b32 s31, 0x20000
	s_waitcnt lgkmcnt(0)
	s_add_u32 s28, s14, s28
	s_addc_u32 s14, s15, s29
	s_and_b32 s29, s14, 0xffff
	v_lshlrev_b32_e32 v38, 5, v0
	buffer_load_dwordx4 v[4:7], v38, s[28:31], 16 offen
	buffer_load_dwordx4 v[8:11], v38, s[28:31], 0 offen
	s_load_dwordx2 s[14:15], s[4:5], 0x20
	s_waitcnt vmcnt(5)
	v_cvt_f32_u32_sdwa v19, v80 dst_sel:DWORD dst_unused:UNUSED_PAD src0_sel:WORD_1
	v_cvt_f32_u32_sdwa v18, v80 dst_sel:DWORD dst_unused:UNUSED_PAD src0_sel:WORD_0
	v_cvt_f32_u32_sdwa v21, v81 dst_sel:DWORD dst_unused:UNUSED_PAD src0_sel:WORD_1
	v_cvt_f32_u32_sdwa v20, v81 dst_sel:DWORD dst_unused:UNUSED_PAD src0_sel:WORD_0
	;; [unrolled: 2-line block ×4, first 2 shown]
	s_waitcnt vmcnt(4)
	v_cvt_f32_u32_sdwa v3, v84 dst_sel:DWORD dst_unused:UNUSED_PAD src0_sel:WORD_1
	v_cvt_f32_u32_sdwa v2, v84 dst_sel:DWORD dst_unused:UNUSED_PAD src0_sel:WORD_0
	v_cvt_f32_u32_sdwa v13, v85 dst_sel:DWORD dst_unused:UNUSED_PAD src0_sel:WORD_1
	v_cvt_f32_u32_sdwa v12, v85 dst_sel:DWORD dst_unused:UNUSED_PAD src0_sel:WORD_0
	v_cvt_f32_u32_sdwa v15, v86 dst_sel:DWORD dst_unused:UNUSED_PAD src0_sel:WORD_1
	v_cvt_f32_u32_sdwa v14, v86 dst_sel:DWORD dst_unused:UNUSED_PAD src0_sel:WORD_0
	v_cvt_f32_u32_sdwa v16, v87 dst_sel:DWORD dst_unused:UNUSED_PAD src0_sel:WORD_0
	v_cvt_f32_u32_sdwa v17, v87 dst_sel:DWORD dst_unused:UNUSED_PAD src0_sel:WORD_1
	s_mul_hi_i32 s27, s26, s6
	s_mul_i32 s26, s26, s6
	s_lshl_b64 s[26:27], s[26:27], 1
	s_waitcnt lgkmcnt(0)
	s_add_u32 s28, s14, s26
	s_mov_b32 s17, 0x7060302
	s_addc_u32 s14, s15, s27
	s_and_b32 s29, s14, 0xffff
	s_waitcnt vmcnt(1)
	v_cvt_f32_u32_sdwa v27, v4 dst_sel:DWORD dst_unused:UNUSED_PAD src0_sel:WORD_1
	v_cvt_f32_u32_sdwa v26, v4 dst_sel:DWORD dst_unused:UNUSED_PAD src0_sel:WORD_0
	v_cvt_f32_u32_sdwa v29, v5 dst_sel:DWORD dst_unused:UNUSED_PAD src0_sel:WORD_1
	v_cvt_f32_u32_sdwa v28, v5 dst_sel:DWORD dst_unused:UNUSED_PAD src0_sel:WORD_0
	;; [unrolled: 2-line block ×3, first 2 shown]
	v_cvt_f32_u32_sdwa v32, v7 dst_sel:DWORD dst_unused:UNUSED_PAD src0_sel:WORD_0
	v_cvt_f32_u32_sdwa v33, v7 dst_sel:DWORD dst_unused:UNUSED_PAD src0_sel:WORD_1
	s_waitcnt vmcnt(0)
	v_cvt_f32_u32_sdwa v35, v8 dst_sel:DWORD dst_unused:UNUSED_PAD src0_sel:WORD_1
	v_cvt_f32_u32_sdwa v34, v8 dst_sel:DWORD dst_unused:UNUSED_PAD src0_sel:WORD_0
	v_cvt_f32_u32_sdwa v5, v10 dst_sel:DWORD dst_unused:UNUSED_PAD src0_sel:WORD_1
	v_cvt_f32_u32_sdwa v4, v10 dst_sel:DWORD dst_unused:UNUSED_PAD src0_sel:WORD_0
	;; [unrolled: 2-line block ×4, first 2 shown]
	v_pk_add_f32 v[54:55], v[22:23], v[4:5]
	v_pk_add_f32 v[36:37], v[24:25], v[6:7]
	;; [unrolled: 1-line block ×4, first 2 shown]
	v_perm_b32 v9, v37, v36, s17
	v_perm_b32 v8, v55, v54, s17
	;; [unrolled: 1-line block ×4, first 2 shown]
	v_pk_add_f32 v[88:89], v[16:17], v[32:33]
	v_pk_add_f32 v[32:33], v[14:15], v[30:31]
	;; [unrolled: 1-line block ×4, first 2 shown]
	buffer_store_dwordx4 v[6:9], v38, s[28:31], 0 offen
	;;#ASMSTART
	s_nop 0
	;;#ASMEND
	s_nop 0
	v_perm_b32 v9, v89, v88, s17
	v_perm_b32 v8, v33, v32, s17
	;; [unrolled: 1-line block ×4, first 2 shown]
	buffer_store_dwordx4 v[6:9], v38, s[28:31], 16 offen
	;;#ASMSTART
	s_nop 0
	;;#ASMEND
.LBB990_10:
	s_or_b64 exec, exec, s[8:9]
.LBB990_11:
	v_mul_f32_e32 v2, v19, v19
	v_fmac_f32_e32 v2, v18, v18
	v_fmac_f32_e32 v2, v4, v4
	;; [unrolled: 1-line block ×15, first 2 shown]
	s_nop 1
	v_mov_b32_dpp v3, v2 quad_perm:[1,0,3,2] row_mask:0xf bank_mask:0xf
	v_add_f32_e32 v2, v2, v3
	s_nop 1
	v_mov_b32_dpp v3, v2 quad_perm:[2,3,0,1] row_mask:0xf bank_mask:0xf
	v_add_f32_e32 v2, v2, v3
	s_nop 1
	v_mov_b32_dpp v3, v2 row_half_mirror row_mask:0xf bank_mask:0xf
	v_add_f32_e32 v2, v2, v3
	s_nop 1
	v_mov_b32_dpp v3, v2 row_mirror row_mask:0xf bank_mask:0xf
	v_add_f32_e32 v2, v2, v3
	s_nop 1
	v_mov_b32_dpp v3, v2 row_bcast:15 row_mask:0xf bank_mask:0xf
	v_add_f32_e32 v2, v2, v3
	v_and_b32_e32 v3, 63, v0
	v_cmp_eq_u32_e64 s[8:9], 63, v3
	s_nop 0
	v_mov_b32_dpp v3, v2 row_bcast:31 row_mask:0xf bank_mask:0xf
	s_and_saveexec_b64 s[14:15], s[8:9]
	s_cbranch_execz .LBB990_13
; %bb.12:
	v_add_f32_e32 v2, v2, v3
	v_lshrrev_b32_e32 v3, 4, v0
	v_and_b32_e32 v3, 60, v3
	ds_write_b32 v3, v2 offset:32
.LBB990_13:
	s_or_b64 exec, exec, s[14:15]
	v_and_b32_e32 v2, 7, v0
	v_lshlrev_b32_e32 v34, 2, v2
	s_waitcnt lgkmcnt(0)
	s_barrier
	ds_read_b32 v2, v34 offset:32
	s_load_dwordx2 s[14:15], s[4:5], 0x18
	s_waitcnt lgkmcnt(0)
	v_mov_b32_dpp v3, v2 quad_perm:[1,0,3,2] row_mask:0xf bank_mask:0xf
	v_add_f32_e32 v2, v2, v3
	s_nop 1
	v_mov_b32_dpp v3, v2 quad_perm:[2,3,0,1] row_mask:0xf bank_mask:0xf
	v_add_f32_e32 v2, v2, v3
	s_nop 1
	v_mov_b32_dpp v3, v2 row_half_mirror row_mask:0xf bank_mask:0xf
	s_and_saveexec_b64 s[26:27], s[0:1]
	s_cbranch_execnz .LBB990_18
; %bb.14:
	s_or_b64 exec, exec, s[26:27]
	s_mov_b64 s[2:3], -1
	s_and_b64 vcc, exec, s[22:23]
	s_cbranch_vccnz .LBB990_19
.LBB990_15:
	s_andn2_b64 vcc, exec, s[2:3]
	s_cbranch_vccz .LBB990_22
.LBB990_16:
	s_cmp_lt_i32 s16, 1
	s_cbranch_scc0 .LBB990_25
.LBB990_17:
	s_endpgm
.LBB990_18:
	v_add_f32_e32 v2, v2, v3
	v_cvt_f32_u32_e32 v3, s7
	s_waitcnt vmcnt(1)
	v_cvt_f32_u32_sdwa v17, v76 dst_sel:DWORD dst_unused:UNUSED_PAD src0_sel:WORD_1
	v_cvt_f32_u32_sdwa v16, v76 dst_sel:DWORD dst_unused:UNUSED_PAD src0_sel:WORD_0
	v_cvt_f32_u32_sdwa v21, v77 dst_sel:DWORD dst_unused:UNUSED_PAD src0_sel:WORD_1
	v_div_scale_f32 v6, s[28:29], v3, v3, v2
	v_rcp_f32_e32 v7, v6
	v_cvt_f32_u32_sdwa v20, v77 dst_sel:DWORD dst_unused:UNUSED_PAD src0_sel:WORD_0
	s_waitcnt vmcnt(0)
	v_cvt_f32_u32_sdwa v25, v73 dst_sel:DWORD dst_unused:UNUSED_PAD src0_sel:WORD_1
	v_cvt_f32_u32_sdwa v24, v73 dst_sel:DWORD dst_unused:UNUSED_PAD src0_sel:WORD_0
	v_fma_f32 v8, -v6, v7, 1.0
	v_fmac_f32_e32 v7, v8, v7
	v_div_scale_f32 v8, vcc, v2, v3, v2
	v_mul_f32_e32 v9, v8, v7
	v_fma_f32 v10, -v6, v9, v8
	v_fmac_f32_e32 v9, v10, v7
	v_fma_f32 v6, -v6, v9, v8
	v_div_fmas_f32 v6, v6, v7, v9
	v_div_fixup_f32 v2, v6, v3, v2
	v_mov_b32_e32 v3, s13
	v_mov_b32_e32 v6, s12
	v_cndmask_b32_e64 v3, v3, v6, s[2:3]
	v_add_f32_e32 v2, v3, v2
	s_mov_b32 s2, 0x800000
	v_mul_f32_e32 v3, 0x4b800000, v2
	v_cmp_gt_f32_e32 vcc, s2, v2
	v_cndmask_b32_e32 v2, v2, v3, vcc
	v_rsq_f32_e32 v2, v2
	v_cvt_f32_u32_sdwa v27, v74 dst_sel:DWORD dst_unused:UNUSED_PAD src0_sel:WORD_1
	v_cvt_f32_u32_sdwa v26, v74 dst_sel:DWORD dst_unused:UNUSED_PAD src0_sel:WORD_0
	v_cvt_f32_u32_sdwa v29, v75 dst_sel:DWORD dst_unused:UNUSED_PAD src0_sel:WORD_1
	v_mul_f32_e32 v3, 0x45800000, v2
	v_cndmask_b32_e32 v2, v2, v3, vcc
	v_mov_b32_e32 v3, v2
	;;#ASMSTART
	v_pk_mul_f32 v[6:7], v[18:19], v[2:3]
	;;#ASMEND
	;;#ASMSTART
	v_pk_mul_f32 v[4:5], v[4:5], v[2:3]
	;;#ASMEND
	;;#ASMSTART
	v_pk_mul_f32 v[8:9], v[54:55], v[2:3]
	;;#ASMEND
	;;#ASMSTART
	v_pk_mul_f32 v[10:11], v[36:37], v[2:3]
	;;#ASMEND
	;;#ASMSTART
	v_pk_mul_f32 v[12:13], v[64:65], v[2:3]
	;;#ASMEND
	;;#ASMSTART
	v_pk_mul_f32 v[14:15], v[48:49], v[2:3]
	;;#ASMEND
	;;#ASMSTART
	v_pk_mul_f32 v[22:23], v[32:33], v[2:3]
	;;#ASMEND
	;;#ASMSTART
	v_pk_mul_f32 v[2:3], v[88:89], v[2:3]
	;;#ASMEND
	;;#ASMSTART
	v_pk_mul_f32 v[18:19], v[6:7], v[16:17]
	;;#ASMEND
	;;#ASMSTART
	v_pk_mul_f32 v[4:5], v[4:5], v[20:21]
	;;#ASMEND
	v_cvt_f32_u32_sdwa v7, v78 dst_sel:DWORD dst_unused:UNUSED_PAD src0_sel:WORD_1
	v_cvt_f32_u32_sdwa v6, v78 dst_sel:DWORD dst_unused:UNUSED_PAD src0_sel:WORD_0
	v_cvt_f32_u32_sdwa v17, v79 dst_sel:DWORD dst_unused:UNUSED_PAD src0_sel:WORD_1
	v_cvt_f32_u32_sdwa v16, v79 dst_sel:DWORD dst_unused:UNUSED_PAD src0_sel:WORD_0
	;; [unrolled: 2-line block ×3, first 2 shown]
	v_cvt_f32_u32_sdwa v28, v75 dst_sel:DWORD dst_unused:UNUSED_PAD src0_sel:WORD_0
	;;#ASMSTART
	v_pk_mul_f32 v[54:55], v[8:9], v[6:7]
	;;#ASMEND
	;;#ASMSTART
	v_pk_mul_f32 v[36:37], v[10:11], v[16:17]
	;;#ASMEND
	;; [unrolled: 3-line block ×6, first 2 shown]
	s_or_b64 exec, exec, s[26:27]
	s_mov_b64 s[2:3], -1
	s_and_b64 vcc, exec, s[22:23]
	s_cbranch_vccz .LBB990_15
.LBB990_19:
	s_and_saveexec_b64 s[2:3], s[0:1]
	s_cbranch_execz .LBB990_21
; %bb.20:
	s_mul_hi_i32 s23, s25, s6
	s_mul_i32 s22, s25, s6
	s_lshl_b64 s[22:23], s[22:23], 1
	s_add_u32 s28, s14, s22
	s_addc_u32 s7, s15, s23
	s_and_b32 s29, s7, 0xffff
	s_mov_b32 s7, 0x7060302
	s_mov_b32 s31, 0x20000
	v_perm_b32 v9, v37, v36, s7
	v_perm_b32 v8, v55, v54, s7
	;; [unrolled: 1-line block ×4, first 2 shown]
	v_lshlrev_b32_e32 v2, 5, v0
	buffer_store_dwordx4 v[6:9], v2, s[28:31], 0 offen
	;;#ASMSTART
	s_nop 0
	;;#ASMEND
	s_nop 0
	v_perm_b32 v9, v89, v88, s7
	v_perm_b32 v8, v33, v32, s7
	;; [unrolled: 1-line block ×4, first 2 shown]
	buffer_store_dwordx4 v[6:9], v2, s[28:31], 16 offen
	;;#ASMSTART
	s_nop 0
	;;#ASMEND
.LBB990_21:
	s_or_b64 exec, exec, s[2:3]
	s_cbranch_execnz .LBB990_16
.LBB990_22:
	s_and_saveexec_b64 s[2:3], s[0:1]
	s_cbranch_execz .LBB990_24
; %bb.23:
	s_load_dwordx2 s[0:1], s[4:5], 0x10
	s_mul_hi_i32 s23, s24, s6
	s_mul_i32 s22, s24, s6
	s_lshl_b64 s[22:23], s[22:23], 1
	s_mov_b32 s7, 0x7060302
	s_waitcnt lgkmcnt(0)
	s_add_u32 s28, s0, s22
	s_addc_u32 s0, s1, s23
	v_perm_b32 v7, v37, v36, s7
	v_perm_b32 v6, v55, v54, s7
	;; [unrolled: 1-line block ×4, first 2 shown]
	s_and_b32 s29, s0, 0xffff
	s_mov_b32 s31, 0x20000
	v_lshlrev_b32_e32 v8, 5, v0
	buffer_store_dwordx4 v[4:7], v8, s[28:31], 0 offen
	v_perm_b32 v3, v49, v48, s7
	v_perm_b32 v5, v89, v88, s7
	;; [unrolled: 1-line block ×4, first 2 shown]
	;;#ASMSTART
	s_nop 0
	;;#ASMEND
	buffer_store_dwordx4 v[2:5], v8, s[28:31], 16 offen
	;;#ASMSTART
	s_nop 0
	;;#ASMEND
.LBB990_24:
	s_or_b64 exec, exec, s[2:3]
	s_cmp_lt_i32 s16, 1
	s_cbranch_scc1 .LBB990_17
.LBB990_25:
	s_load_dword s0, s[4:5], 0x94
	s_waitcnt lgkmcnt(0)
	s_cmp_lg_u32 s0, 1
	s_cbranch_scc1 .LBB990_17
; %bb.26:
	s_lshl_b32 s0, s16, 1
	s_add_i32 s0, s0, 2
	v_cmp_gt_u32_e32 vcc, s16, v1
	s_and_b32 s22, s0, -4
	v_mov_b32_e32 v18, 0
	v_lshlrev_b32_e32 v1, 5, v0
	v_mov_b32_e32 v14, 0
	v_mov_b32_e32 v15, 0
	;; [unrolled: 1-line block ×16, first 2 shown]
	s_barrier
	s_and_saveexec_b64 s[0:1], vcc
	s_cbranch_execz .LBB990_28
; %bb.27:
	s_mul_hi_i32 s3, s18, s6
	s_mul_i32 s2, s18, s6
	s_and_b32 s21, s21, 0xffff
	s_lshl_b64 s[2:3], s[2:3], 1
	s_add_u32 s28, s10, s2
	s_mov_b32 s23, 0x20000
	s_addc_u32 s2, s11, s3
	s_and_b32 s29, s2, 0xffff
	s_mov_b32 s30, s22
	s_mov_b32 s31, s23
	buffer_load_dwordx4 v[14:17], v1, s[28:31], 0 offen
	buffer_load_dwordx4 v[10:13], v1, s[28:31], 16 offen
	;; [unrolled: 1-line block ×4, first 2 shown]
.LBB990_28:
	s_or_b64 exec, exec, s[0:1]
	v_mov_b32_e32 v19, 0
	v_mov_b32_e32 v32, 0
	;; [unrolled: 1-line block ×15, first 2 shown]
	s_and_saveexec_b64 s[0:1], vcc
	s_cbranch_execz .LBB990_30
; %bb.29:
	s_waitcnt vmcnt(3)
	v_cvt_f32_u32_sdwa v18, v14 dst_sel:DWORD dst_unused:UNUSED_PAD src0_sel:WORD_0
	v_cvt_f32_u32_sdwa v19, v14 dst_sel:DWORD dst_unused:UNUSED_PAD src0_sel:WORD_1
	v_cvt_f32_u32_sdwa v32, v15 dst_sel:DWORD dst_unused:UNUSED_PAD src0_sel:WORD_0
	v_cvt_f32_u32_sdwa v33, v15 dst_sel:DWORD dst_unused:UNUSED_PAD src0_sel:WORD_1
	;; [unrolled: 2-line block ×4, first 2 shown]
	s_waitcnt vmcnt(2)
	v_cvt_f32_u32_sdwa v26, v10 dst_sel:DWORD dst_unused:UNUSED_PAD src0_sel:WORD_0
	v_cvt_f32_u32_sdwa v27, v10 dst_sel:DWORD dst_unused:UNUSED_PAD src0_sel:WORD_1
	v_cvt_f32_u32_sdwa v24, v11 dst_sel:DWORD dst_unused:UNUSED_PAD src0_sel:WORD_0
	v_cvt_f32_u32_sdwa v25, v11 dst_sel:DWORD dst_unused:UNUSED_PAD src0_sel:WORD_1
	;; [unrolled: 2-line block ×4, first 2 shown]
.LBB990_30:
	s_or_b64 exec, exec, s[0:1]
	s_waitcnt vmcnt(2)
	v_mul_f32_e32 v10, v19, v19
	v_fmac_f32_e32 v10, v18, v18
	v_fmac_f32_e32 v10, v32, v32
	;; [unrolled: 1-line block ×15, first 2 shown]
	s_nop 1
	v_mov_b32_dpp v11, v10 quad_perm:[1,0,3,2] row_mask:0xf bank_mask:0xf
	v_add_f32_e32 v10, v10, v11
	s_nop 1
	v_mov_b32_dpp v11, v10 quad_perm:[2,3,0,1] row_mask:0xf bank_mask:0xf
	v_add_f32_e32 v10, v10, v11
	s_nop 1
	v_mov_b32_dpp v11, v10 row_half_mirror row_mask:0xf bank_mask:0xf
	v_add_f32_e32 v10, v10, v11
	s_nop 1
	v_mov_b32_dpp v11, v10 row_mirror row_mask:0xf bank_mask:0xf
	v_add_f32_e32 v10, v10, v11
	s_nop 1
	v_mov_b32_dpp v11, v10 row_bcast:15 row_mask:0xf bank_mask:0xf
	v_add_f32_e32 v10, v10, v11
	s_nop 1
	v_mov_b32_dpp v11, v10 row_bcast:31 row_mask:0xf bank_mask:0xf
	s_and_saveexec_b64 s[0:1], s[8:9]
	s_cbranch_execz .LBB990_32
; %bb.31:
	v_lshrrev_b32_e32 v0, 4, v0
	v_add_f32_e32 v10, v10, v11
	v_and_b32_e32 v0, 60, v0
	ds_write_b32 v0, v10
.LBB990_32:
	s_or_b64 exec, exec, s[0:1]
	s_waitcnt lgkmcnt(0)
	s_barrier
	ds_read_b32 v0, v34
	s_waitcnt lgkmcnt(0)
	s_nop 0
	v_mov_b32_dpp v10, v0 quad_perm:[1,0,3,2] row_mask:0xf bank_mask:0xf
	v_add_f32_e32 v0, v0, v10
	s_nop 1
	v_mov_b32_dpp v10, v0 quad_perm:[2,3,0,1] row_mask:0xf bank_mask:0xf
	v_add_f32_e32 v0, v0, v10
	s_nop 1
	v_mov_b32_dpp v10, v0 row_half_mirror row_mask:0xf bank_mask:0xf
	s_and_saveexec_b64 s[0:1], vcc
	s_cbranch_execz .LBB990_17
; %bb.33:
	v_cvt_f32_u32_e32 v11, s16
	v_add_f32_e32 v0, v0, v10
	s_mov_b32 s23, 0x20000
	v_div_scale_f32 v10, s[0:1], v11, v11, v0
	v_rcp_f32_e32 v12, v10
	v_div_scale_f32 v13, vcc, v0, v11, v0
	s_mov_b32 s0, 0x800000
	v_fma_f32 v14, -v10, v12, 1.0
	v_fmac_f32_e32 v12, v14, v12
	v_mul_f32_e32 v14, v13, v12
	v_fma_f32 v15, -v10, v14, v13
	v_fmac_f32_e32 v14, v15, v12
	v_fma_f32 v10, -v10, v14, v13
	v_div_fmas_f32 v10, v10, v12, v14
	v_div_fixup_f32 v0, v10, v11, v0
	v_add_f32_e32 v0, s13, v0
	v_mul_f32_e32 v10, 0x4b800000, v0
	v_cmp_gt_f32_e32 vcc, s0, v0
	v_cndmask_b32_e32 v0, v0, v10, vcc
	v_rsq_f32_e32 v0, v0
	s_mul_hi_i32 s1, s25, s6
	s_mul_i32 s0, s25, s6
	s_lshl_b64 s[0:1], s[0:1], 1
	v_mul_f32_e32 v10, 0x45800000, v0
	v_cndmask_b32_e32 v10, v0, v10, vcc
	v_mov_b32_e32 v11, v10
	s_add_u32 s20, s14, s0
	;;#ASMSTART
	v_pk_mul_f32 v[12:13], v[18:19], v[10:11]
	;;#ASMEND
	;;#ASMSTART
	v_pk_mul_f32 v[14:15], v[32:33], v[10:11]
	;;#ASMEND
	;; [unrolled: 3-line block ×8, first 2 shown]
	s_waitcnt vmcnt(1)
	v_cvt_f32_u32_sdwa v21, v6 dst_sel:DWORD dst_unused:UNUSED_PAD src0_sel:WORD_1
	v_cvt_f32_u32_sdwa v20, v6 dst_sel:DWORD dst_unused:UNUSED_PAD src0_sel:WORD_0
	v_cvt_f32_u32_sdwa v29, v7 dst_sel:DWORD dst_unused:UNUSED_PAD src0_sel:WORD_1
	v_cvt_f32_u32_sdwa v28, v7 dst_sel:DWORD dst_unused:UNUSED_PAD src0_sel:WORD_0
	;; [unrolled: 2-line block ×3, first 2 shown]
	s_addc_u32 s0, s15, s1
	v_cvt_f32_u32_sdwa v31, v9 dst_sel:DWORD dst_unused:UNUSED_PAD src0_sel:WORD_1
	v_cvt_f32_u32_sdwa v30, v9 dst_sel:DWORD dst_unused:UNUSED_PAD src0_sel:WORD_0
	;;#ASMSTART
	v_pk_mul_f32 v[8:9], v[12:13], v[20:21]
	;;#ASMEND
	;;#ASMSTART
	v_pk_mul_f32 v[12:13], v[14:15], v[28:29]
	;;#ASMEND
	;; [unrolled: 3-line block ×4, first 2 shown]
	s_waitcnt vmcnt(0)
	v_cvt_f32_u32_sdwa v17, v2 dst_sel:DWORD dst_unused:UNUSED_PAD src0_sel:WORD_1
	v_cvt_f32_u32_sdwa v16, v2 dst_sel:DWORD dst_unused:UNUSED_PAD src0_sel:WORD_0
	v_cvt_f32_u32_sdwa v19, v3 dst_sel:DWORD dst_unused:UNUSED_PAD src0_sel:WORD_1
	v_cvt_f32_u32_sdwa v18, v3 dst_sel:DWORD dst_unused:UNUSED_PAD src0_sel:WORD_0
	;; [unrolled: 2-line block ×3, first 2 shown]
	s_and_b32 s21, s0, 0xffff
	s_mov_b32 s0, 0x7060302
	v_cvt_f32_u32_sdwa v21, v5 dst_sel:DWORD dst_unused:UNUSED_PAD src0_sel:WORD_1
	v_cvt_f32_u32_sdwa v20, v5 dst_sel:DWORD dst_unused:UNUSED_PAD src0_sel:WORD_0
	;;#ASMSTART
	v_pk_mul_f32 v[16:17], v[26:27], v[16:17]
	;;#ASMEND
	;;#ASMSTART
	v_pk_mul_f32 v[18:19], v[24:25], v[18:19]
	;;#ASMEND
	;; [unrolled: 3-line block ×3, first 2 shown]
	v_perm_b32 v2, v9, v8, s0
	v_perm_b32 v3, v13, v12, s0
	;; [unrolled: 1-line block ×4, first 2 shown]
	;;#ASMSTART
	v_pk_mul_f32 v[10:11], v[10:11], v[20:21]
	;;#ASMEND
	buffer_store_dwordx4 v[2:5], v1, s[20:23], 0 offen
	;;#ASMSTART
	s_nop 0
	;;#ASMEND
	s_nop 0
	v_perm_b32 v2, v17, v16, s0
	v_perm_b32 v3, v19, v18, s0
	;; [unrolled: 1-line block ×4, first 2 shown]
	buffer_store_dwordx4 v[2:5], v1, s[20:23], 16 offen
	;;#ASMSTART
	s_nop 0
	;;#ASMEND
	s_endpgm
	.section	.rodata,"a",@progbits
	.p2align	6, 0x0
	.amdhsa_kernel _ZN5aiter35fused_qk_rmsnorm_group_quant_kernelItDB8_Li512ELi16ELi2ELb1ELb1ELb0ELb1ELb0ELb0EEEvPT0_PvPT_S6_S6_PKS5_S8_S8_S8_S8_ffiiiiiiiiiiiii
		.amdhsa_group_segment_fixed_size 64
		.amdhsa_private_segment_fixed_size 0
		.amdhsa_kernarg_size 400
		.amdhsa_user_sgpr_count 6
		.amdhsa_user_sgpr_private_segment_buffer 1
		.amdhsa_user_sgpr_dispatch_ptr 0
		.amdhsa_user_sgpr_queue_ptr 0
		.amdhsa_user_sgpr_kernarg_segment_ptr 1
		.amdhsa_user_sgpr_dispatch_id 0
		.amdhsa_user_sgpr_flat_scratch_init 0
		.amdhsa_user_sgpr_kernarg_preload_length 0
		.amdhsa_user_sgpr_kernarg_preload_offset 0
		.amdhsa_user_sgpr_private_segment_size 0
		.amdhsa_uses_dynamic_stack 0
		.amdhsa_system_sgpr_private_segment_wavefront_offset 0
		.amdhsa_system_sgpr_workgroup_id_x 1
		.amdhsa_system_sgpr_workgroup_id_y 1
		.amdhsa_system_sgpr_workgroup_id_z 0
		.amdhsa_system_sgpr_workgroup_info 0
		.amdhsa_system_vgpr_workitem_id 0
		.amdhsa_next_free_vgpr 90
		.amdhsa_next_free_sgpr 32
		.amdhsa_accum_offset 92
		.amdhsa_reserve_vcc 1
		.amdhsa_reserve_flat_scratch 0
		.amdhsa_float_round_mode_32 0
		.amdhsa_float_round_mode_16_64 0
		.amdhsa_float_denorm_mode_32 3
		.amdhsa_float_denorm_mode_16_64 3
		.amdhsa_dx10_clamp 1
		.amdhsa_ieee_mode 1
		.amdhsa_fp16_overflow 0
		.amdhsa_tg_split 0
		.amdhsa_exception_fp_ieee_invalid_op 0
		.amdhsa_exception_fp_denorm_src 0
		.amdhsa_exception_fp_ieee_div_zero 0
		.amdhsa_exception_fp_ieee_overflow 0
		.amdhsa_exception_fp_ieee_underflow 0
		.amdhsa_exception_fp_ieee_inexact 0
		.amdhsa_exception_int_div_zero 0
	.end_amdhsa_kernel
	.section	.text._ZN5aiter35fused_qk_rmsnorm_group_quant_kernelItDB8_Li512ELi16ELi2ELb1ELb1ELb0ELb1ELb0ELb0EEEvPT0_PvPT_S6_S6_PKS5_S8_S8_S8_S8_ffiiiiiiiiiiiii,"axG",@progbits,_ZN5aiter35fused_qk_rmsnorm_group_quant_kernelItDB8_Li512ELi16ELi2ELb1ELb1ELb0ELb1ELb0ELb0EEEvPT0_PvPT_S6_S6_PKS5_S8_S8_S8_S8_ffiiiiiiiiiiiii,comdat
.Lfunc_end990:
	.size	_ZN5aiter35fused_qk_rmsnorm_group_quant_kernelItDB8_Li512ELi16ELi2ELb1ELb1ELb0ELb1ELb0ELb0EEEvPT0_PvPT_S6_S6_PKS5_S8_S8_S8_S8_ffiiiiiiiiiiiii, .Lfunc_end990-_ZN5aiter35fused_qk_rmsnorm_group_quant_kernelItDB8_Li512ELi16ELi2ELb1ELb1ELb0ELb1ELb0ELb0EEEvPT0_PvPT_S6_S6_PKS5_S8_S8_S8_S8_ffiiiiiiiiiiiii
                                        ; -- End function
	.section	.AMDGPU.csdata,"",@progbits
; Kernel info:
; codeLenInByte = 3472
; NumSgprs: 36
; NumVgprs: 90
; NumAgprs: 0
; TotalNumVgprs: 90
; ScratchSize: 0
; MemoryBound: 0
; FloatMode: 240
; IeeeMode: 1
; LDSByteSize: 64 bytes/workgroup (compile time only)
; SGPRBlocks: 4
; VGPRBlocks: 11
; NumSGPRsForWavesPerEU: 36
; NumVGPRsForWavesPerEU: 90
; AccumOffset: 92
; Occupancy: 5
; WaveLimiterHint : 0
; COMPUTE_PGM_RSRC2:SCRATCH_EN: 0
; COMPUTE_PGM_RSRC2:USER_SGPR: 6
; COMPUTE_PGM_RSRC2:TRAP_HANDLER: 0
; COMPUTE_PGM_RSRC2:TGID_X_EN: 1
; COMPUTE_PGM_RSRC2:TGID_Y_EN: 1
; COMPUTE_PGM_RSRC2:TGID_Z_EN: 0
; COMPUTE_PGM_RSRC2:TIDIG_COMP_CNT: 0
; COMPUTE_PGM_RSRC3_GFX90A:ACCUM_OFFSET: 22
; COMPUTE_PGM_RSRC3_GFX90A:TG_SPLIT: 0
	.section	.text._ZN5aiter35fused_qk_rmsnorm_group_quant_kernelIDF16_N4opus5fp4_tELi512ELi16ELi2ELb1ELb1ELb0ELb1ELb0ELb0EEEvPT0_PvPT_S7_S7_PKS6_S9_S9_S9_S9_ffiiiiiiiiiiiii,"axG",@progbits,_ZN5aiter35fused_qk_rmsnorm_group_quant_kernelIDF16_N4opus5fp4_tELi512ELi16ELi2ELb1ELb1ELb0ELb1ELb0ELb0EEEvPT0_PvPT_S7_S7_PKS6_S9_S9_S9_S9_ffiiiiiiiiiiiii,comdat
	.protected	_ZN5aiter35fused_qk_rmsnorm_group_quant_kernelIDF16_N4opus5fp4_tELi512ELi16ELi2ELb1ELb1ELb0ELb1ELb0ELb0EEEvPT0_PvPT_S7_S7_PKS6_S9_S9_S9_S9_ffiiiiiiiiiiiii ; -- Begin function _ZN5aiter35fused_qk_rmsnorm_group_quant_kernelIDF16_N4opus5fp4_tELi512ELi16ELi2ELb1ELb1ELb0ELb1ELb0ELb0EEEvPT0_PvPT_S7_S7_PKS6_S9_S9_S9_S9_ffiiiiiiiiiiiii
	.globl	_ZN5aiter35fused_qk_rmsnorm_group_quant_kernelIDF16_N4opus5fp4_tELi512ELi16ELi2ELb1ELb1ELb0ELb1ELb0ELb0EEEvPT0_PvPT_S7_S7_PKS6_S9_S9_S9_S9_ffiiiiiiiiiiiii
	.p2align	8
	.type	_ZN5aiter35fused_qk_rmsnorm_group_quant_kernelIDF16_N4opus5fp4_tELi512ELi16ELi2ELb1ELb1ELb0ELb1ELb0ELb0EEEvPT0_PvPT_S7_S7_PKS6_S9_S9_S9_S9_ffiiiiiiiiiiiii,@function
_ZN5aiter35fused_qk_rmsnorm_group_quant_kernelIDF16_N4opus5fp4_tELi512ELi16ELi2ELb1ELb1ELb0ELb1ELb0ELb0EEEvPT0_PvPT_S7_S7_PKS6_S9_S9_S9_S9_ffiiiiiiiiiiiii: ; @_ZN5aiter35fused_qk_rmsnorm_group_quant_kernelIDF16_N4opus5fp4_tELi512ELi16ELi2ELb1ELb1ELb0ELb1ELb0ELb0EEEvPT0_PvPT_S7_S7_PKS6_S9_S9_S9_S9_ffiiiiiiiiiiiii
; %bb.0:
	s_load_dwordx8 s[12:19], s[4:5], 0x50
	s_waitcnt lgkmcnt(0)
	s_cmp_ge_i32 s6, s14
	s_cbranch_scc1 .LBB991_17
; %bb.1:
	s_cmp_lg_u32 s7, 0
	s_cselect_b64 s[22:23], -1, 0
	s_cmp_eq_u32 s7, 0
	s_cselect_b64 s[2:3], -1, 0
	s_and_b64 s[0:1], s[2:3], exec
	s_cselect_b32 s7, s15, s16
	s_load_dwordx2 s[10:11], s[4:5], 0x30
	s_load_dwordx2 s[20:21], s[4:5], 0x48
	s_add_i32 s0, s7, 1
	s_lshr_b32 s1, s0, 31
	s_add_i32 s0, s0, s1
	s_lshl_b32 s0, s0, 1
	v_lshlrev_b32_e32 v1, 4, v0
	s_and_b32 s30, s0, -4
	v_cmp_gt_i32_e64 s[0:1], s7, v1
	v_mov_b32_e32 v6, 0
	v_mov_b32_e32 v7, 0
	;; [unrolled: 1-line block ×16, first 2 shown]
	s_and_saveexec_b64 s[8:9], s[0:1]
	s_cbranch_execz .LBB991_3
; %bb.2:
	s_load_dwordx2 s[14:15], s[4:5], 0x28
	s_load_dwordx2 s[26:27], s[4:5], 0x40
	s_and_b64 s[24:25], s[2:3], exec
	s_cselect_b32 s17, s17, s18
	s_mov_b32 s31, 0x20000
	s_waitcnt lgkmcnt(0)
	s_cselect_b32 s25, s15, s11
	s_cselect_b32 s24, s14, s10
	s_mul_hi_i32 s15, s17, s6
	s_mul_i32 s14, s17, s6
	s_lshl_b64 s[14:15], s[14:15], 1
	s_add_u32 s24, s24, s14
	s_addc_u32 s17, s25, s15
	s_and_b64 s[14:15], s[2:3], exec
	s_cselect_b32 s28, s26, s20
	s_cselect_b32 s14, s27, s21
	s_and_b32 s25, s17, 0xffff
	s_mov_b32 s26, s30
	s_mov_b32 s27, s31
	v_lshlrev_b32_e32 v18, 5, v0
	s_and_b32 s29, s14, 0xffff
	buffer_load_dwordx4 v[10:13], v18, s[24:27], 0 offen
	buffer_load_dwordx4 v[14:17], v18, s[24:27], 16 offen
	;; [unrolled: 1-line block ×4, first 2 shown]
.LBB991_3:
	s_or_b64 exec, exec, s[8:9]
	s_load_dwordx4 s[24:27], s[4:5], 0x7c
	s_and_b64 vcc, exec, s[22:23]
	s_cbranch_vccz .LBB991_7
; %bb.4:
	v_mov_b32_e32 v19, 0
	v_mov_b32_e32 v18, 0
	;; [unrolled: 1-line block ×16, first 2 shown]
	s_and_saveexec_b64 s[8:9], s[0:1]
	s_cbranch_execz .LBB991_6
; %bb.5:
	s_waitcnt vmcnt(3)
	v_cvt_f32_f16_sdwa v33, v10 dst_sel:DWORD dst_unused:UNUSED_PAD src0_sel:WORD_1
	v_cvt_f32_f16_e32 v32, v10
	v_cvt_f32_f16_sdwa v31, v11 dst_sel:DWORD dst_unused:UNUSED_PAD src0_sel:WORD_1
	v_cvt_f32_f16_e32 v30, v11
	;; [unrolled: 2-line block ×4, first 2 shown]
	s_waitcnt vmcnt(2)
	v_cvt_f32_f16_sdwa v25, v14 dst_sel:DWORD dst_unused:UNUSED_PAD src0_sel:WORD_1
	v_cvt_f32_f16_e32 v24, v14
	v_cvt_f32_f16_sdwa v23, v15 dst_sel:DWORD dst_unused:UNUSED_PAD src0_sel:WORD_1
	v_cvt_f32_f16_e32 v22, v15
	;; [unrolled: 2-line block ×4, first 2 shown]
.LBB991_6:
	s_or_b64 exec, exec, s[8:9]
	s_cbranch_execz .LBB991_8
	s_branch .LBB991_11
.LBB991_7:
                                        ; implicit-def: $vgpr19
                                        ; implicit-def: $vgpr21
                                        ; implicit-def: $vgpr23
                                        ; implicit-def: $vgpr25
                                        ; implicit-def: $vgpr29
                                        ; implicit-def: $vgpr27
                                        ; implicit-def: $vgpr31
                                        ; implicit-def: $vgpr33
.LBB991_8:
	v_mov_b32_e32 v19, 0
	v_mov_b32_e32 v18, 0
	v_mov_b32_e32 v21, 0
	v_mov_b32_e32 v20, 0
	v_mov_b32_e32 v23, 0
	v_mov_b32_e32 v22, 0
	v_mov_b32_e32 v25, 0
	v_mov_b32_e32 v24, 0
	v_mov_b32_e32 v29, 0
	v_mov_b32_e32 v28, 0
	v_mov_b32_e32 v27, 0
	v_mov_b32_e32 v26, 0
	v_mov_b32_e32 v31, 0
	v_mov_b32_e32 v30, 0
	v_mov_b32_e32 v33, 0
	v_mov_b32_e32 v32, 0
	s_and_saveexec_b64 s[8:9], s[0:1]
	s_cbranch_execz .LBB991_10
; %bb.9:
	s_load_dwordx2 s[14:15], s[4:5], 0x38
	s_mul_hi_i32 s29, s19, s6
	s_mul_i32 s28, s19, s6
	s_lshl_b64 s[28:29], s[28:29], 1
	s_mov_b32 s31, 0x20000
	s_waitcnt lgkmcnt(0)
	s_add_u32 s28, s14, s28
	s_addc_u32 s14, s15, s29
	s_and_b32 s29, s14, 0xffff
	v_lshlrev_b32_e32 v48, 5, v0
	buffer_load_dwordx4 v[18:21], v48, s[28:31], 16 offen
	buffer_load_dwordx4 v[22:25], v48, s[28:31], 0 offen
	s_waitcnt vmcnt(4)
	v_cvt_f32_f16_sdwa v27, v14 dst_sel:DWORD dst_unused:UNUSED_PAD src0_sel:WORD_1
	v_cvt_f32_f16_e32 v26, v14
	v_cvt_f32_f16_sdwa v29, v15 dst_sel:DWORD dst_unused:UNUSED_PAD src0_sel:WORD_1
	v_cvt_f32_f16_e32 v28, v15
	;; [unrolled: 2-line block ×8, first 2 shown]
	s_load_dwordx2 s[14:15], s[4:5], 0x20
	s_mul_hi_i32 s27, s26, s6
	s_mul_i32 s26, s26, s6
	s_lshl_b64 s[26:27], s[26:27], 1
	s_waitcnt lgkmcnt(0)
	s_add_u32 s28, s14, s26
	s_addc_u32 s14, s15, s27
	s_and_b32 s29, s14, 0xffff
	s_waitcnt vmcnt(1)
	v_cvt_f32_f16_e32 v12, v18
	v_cvt_f32_f16_sdwa v13, v18 dst_sel:DWORD dst_unused:UNUSED_PAD src0_sel:WORD_1
	v_cvt_f32_f16_e32 v18, v19
	v_cvt_f32_f16_sdwa v19, v19 dst_sel:DWORD dst_unused:UNUSED_PAD src0_sel:WORD_1
	;; [unrolled: 2-line block ×4, first 2 shown]
	s_waitcnt vmcnt(0)
	v_cvt_f32_f16_e32 v40, v22
	v_cvt_f32_f16_sdwa v41, v22 dst_sel:DWORD dst_unused:UNUSED_PAD src0_sel:WORD_1
	v_cvt_f32_f16_e32 v42, v23
	v_cvt_f32_f16_sdwa v43, v23 dst_sel:DWORD dst_unused:UNUSED_PAD src0_sel:WORD_1
	;; [unrolled: 2-line block ×4, first 2 shown]
	v_pk_add_f32 v[24:25], v[26:27], v[12:13]
	v_pk_add_f32 v[22:23], v[28:29], v[18:19]
	;; [unrolled: 1-line block ×8, first 2 shown]
	v_cvt_f16_f32_e32 v10, v33
	v_cvt_f16_f32_e32 v14, v32
	v_cvt_f16_f32_e32 v11, v31
	v_cvt_f16_f32_e32 v15, v30
	v_cvt_f16_f32_e32 v12, v27
	v_cvt_f16_f32_e32 v16, v26
	v_cvt_f16_f32_e32 v13, v29
	v_cvt_f16_f32_e32 v17, v28
	v_cvt_f16_f32_e32 v34, v24
	v_cvt_f16_f32_e32 v35, v25
	v_cvt_f16_f32_e32 v36, v22
	v_cvt_f16_f32_e32 v37, v23
	v_cvt_f16_f32_e32 v38, v20
	v_cvt_f16_f32_e32 v39, v21
	v_cvt_f16_f32_e32 v40, v18
	v_cvt_f16_f32_e32 v41, v19
	v_pack_b32_f16 v13, v17, v13
	v_pack_b32_f16 v12, v16, v12
	v_pack_b32_f16 v11, v15, v11
	v_pack_b32_f16 v10, v14, v10
	v_pack_b32_f16 v17, v40, v41
	v_pack_b32_f16 v16, v38, v39
	v_pack_b32_f16 v15, v36, v37
	v_pack_b32_f16 v14, v34, v35
	buffer_store_dwordx4 v[10:13], v48, s[28:31], 0 offen
	;;#ASMSTART
	s_nop 0
	;;#ASMEND
	buffer_store_dwordx4 v[14:17], v48, s[28:31], 16 offen
	;;#ASMSTART
	s_nop 0
	;;#ASMEND
.LBB991_10:
	s_or_b64 exec, exec, s[8:9]
.LBB991_11:
	s_waitcnt vmcnt(3)
	v_mul_f32_e32 v10, v33, v33
	v_fmac_f32_e32 v10, v32, v32
	v_fmac_f32_e32 v10, v30, v30
	;; [unrolled: 1-line block ×15, first 2 shown]
	v_and_b32_e32 v12, 63, v0
	v_cmp_eq_u32_e64 s[8:9], 63, v12
	v_mov_b32_dpp v11, v10 quad_perm:[1,0,3,2] row_mask:0xf bank_mask:0xf
	v_add_f32_e32 v10, v10, v11
	s_nop 1
	v_mov_b32_dpp v11, v10 quad_perm:[2,3,0,1] row_mask:0xf bank_mask:0xf
	v_add_f32_e32 v10, v10, v11
	s_nop 1
	v_mov_b32_dpp v11, v10 row_half_mirror row_mask:0xf bank_mask:0xf
	v_add_f32_e32 v10, v10, v11
	s_nop 1
	v_mov_b32_dpp v11, v10 row_mirror row_mask:0xf bank_mask:0xf
	v_add_f32_e32 v10, v10, v11
	s_nop 1
	v_mov_b32_dpp v11, v10 row_bcast:15 row_mask:0xf bank_mask:0xf
	v_add_f32_e32 v10, v10, v11
	s_nop 1
	v_mov_b32_dpp v11, v10 row_bcast:31 row_mask:0xf bank_mask:0xf
	s_and_saveexec_b64 s[14:15], s[8:9]
	s_cbranch_execz .LBB991_13
; %bb.12:
	v_add_f32_e32 v10, v10, v11
	v_lshrrev_b32_e32 v11, 4, v0
	v_and_b32_e32 v11, 60, v11
	ds_write_b32 v11, v10 offset:32
.LBB991_13:
	s_or_b64 exec, exec, s[14:15]
	v_and_b32_e32 v10, 7, v0
	v_lshlrev_b32_e32 v34, 2, v10
	s_waitcnt lgkmcnt(0)
	s_barrier
	ds_read_b32 v10, v34 offset:32
	s_load_dwordx2 s[14:15], s[4:5], 0x18
	s_waitcnt lgkmcnt(0)
	v_mov_b32_dpp v11, v10 quad_perm:[1,0,3,2] row_mask:0xf bank_mask:0xf
	v_add_f32_e32 v10, v10, v11
	s_nop 1
	v_mov_b32_dpp v11, v10 quad_perm:[2,3,0,1] row_mask:0xf bank_mask:0xf
	v_add_f32_e32 v10, v10, v11
	s_nop 1
	v_mov_b32_dpp v11, v10 row_half_mirror row_mask:0xf bank_mask:0xf
	s_and_saveexec_b64 s[26:27], s[0:1]
	s_cbranch_execnz .LBB991_18
; %bb.14:
	s_or_b64 exec, exec, s[26:27]
	s_mov_b64 s[2:3], -1
	s_and_b64 vcc, exec, s[22:23]
	s_cbranch_vccnz .LBB991_19
.LBB991_15:
	s_andn2_b64 vcc, exec, s[2:3]
	s_cbranch_vccz .LBB991_22
.LBB991_16:
	s_cmp_lt_i32 s16, 1
	s_cbranch_scc0 .LBB991_25
.LBB991_17:
	s_endpgm
.LBB991_18:
	v_cvt_f32_u32_e32 v12, s7
	v_add_f32_e32 v10, v10, v11
	s_waitcnt vmcnt(2)
	v_mov_b32_e32 v14, s13
	v_mov_b32_e32 v15, s12
	v_div_scale_f32 v11, s[28:29], v12, v12, v10
	v_rcp_f32_e32 v13, v11
	v_cndmask_b32_e64 v14, v14, v15, s[2:3]
	s_mov_b32 s2, 0x800000
	s_waitcnt vmcnt(1)
	v_cvt_f32_f16_sdwa v37, v9 dst_sel:DWORD dst_unused:UNUSED_PAD src0_sel:WORD_1
	v_fma_f32 v15, -v11, v13, 1.0
	v_fmac_f32_e32 v13, v15, v13
	v_div_scale_f32 v15, vcc, v10, v12, v10
	v_mul_f32_e32 v16, v15, v13
	v_fma_f32 v17, -v11, v16, v15
	v_fmac_f32_e32 v16, v17, v13
	v_fma_f32 v11, -v11, v16, v15
	v_div_fmas_f32 v11, v11, v13, v16
	v_div_fixup_f32 v10, v11, v12, v10
	v_add_f32_e32 v10, v14, v10
	v_mul_f32_e32 v11, 0x4b800000, v10
	v_cmp_gt_f32_e32 vcc, s2, v10
	v_cndmask_b32_e32 v10, v10, v11, vcc
	v_rsq_f32_e32 v10, v10
	v_cvt_f32_f16_e32 v36, v9
	s_waitcnt vmcnt(0)
	v_cvt_f32_f16_sdwa v9, v3 dst_sel:DWORD dst_unused:UNUSED_PAD src0_sel:WORD_1
	v_mul_f32_e32 v11, 0x45800000, v10
	v_cndmask_b32_e32 v10, v10, v11, vcc
	v_mov_b32_e32 v11, v10
	;;#ASMSTART
	v_pk_mul_f32 v[12:13], v[32:33], v[10:11]
	;;#ASMEND
	;;#ASMSTART
	v_pk_mul_f32 v[14:15], v[30:31], v[10:11]
	;;#ASMEND
	;; [unrolled: 3-line block ×8, first 2 shown]
	v_cvt_f32_f16_sdwa v19, v6 dst_sel:DWORD dst_unused:UNUSED_PAD src0_sel:WORD_1
	v_cvt_f32_f16_e32 v18, v6
	v_cvt_f32_f16_sdwa v27, v7 dst_sel:DWORD dst_unused:UNUSED_PAD src0_sel:WORD_1
	v_cvt_f32_f16_e32 v26, v7
	;; [unrolled: 2-line block ×3, first 2 shown]
	;;#ASMSTART
	v_pk_mul_f32 v[32:33], v[12:13], v[18:19]
	;;#ASMEND
	;;#ASMSTART
	v_pk_mul_f32 v[30:31], v[14:15], v[26:27]
	;;#ASMEND
	;; [unrolled: 3-line block ×4, first 2 shown]
	v_cvt_f32_f16_sdwa v7, v2 dst_sel:DWORD dst_unused:UNUSED_PAD src0_sel:WORD_1
	v_cvt_f32_f16_e32 v6, v2
	v_cvt_f32_f16_e32 v8, v3
	v_cvt_f32_f16_sdwa v3, v4 dst_sel:DWORD dst_unused:UNUSED_PAD src0_sel:WORD_1
	v_cvt_f32_f16_e32 v2, v4
	v_cvt_f32_f16_sdwa v13, v5 dst_sel:DWORD dst_unused:UNUSED_PAD src0_sel:WORD_1
	v_cvt_f32_f16_e32 v12, v5
	;;#ASMSTART
	v_pk_mul_f32 v[24:25], v[24:25], v[6:7]
	;;#ASMEND
	;;#ASMSTART
	v_pk_mul_f32 v[22:23], v[22:23], v[8:9]
	;;#ASMEND
	;;#ASMSTART
	v_pk_mul_f32 v[20:21], v[20:21], v[2:3]
	;;#ASMEND
	;;#ASMSTART
	v_pk_mul_f32 v[18:19], v[10:11], v[12:13]
	;;#ASMEND
	s_or_b64 exec, exec, s[26:27]
	s_mov_b64 s[2:3], -1
	s_and_b64 vcc, exec, s[22:23]
	s_cbranch_vccz .LBB991_15
.LBB991_19:
	s_and_saveexec_b64 s[2:3], s[0:1]
	s_cbranch_execz .LBB991_21
; %bb.20:
	s_mul_hi_i32 s23, s25, s6
	s_mul_i32 s22, s25, s6
	s_waitcnt vmcnt(0)
	v_cvt_f16_f32_e32 v2, v32
	v_cvt_f16_f32_e32 v3, v30
	;; [unrolled: 1-line block ×8, first 2 shown]
	s_lshl_b64 s[22:23], s[22:23], 1
	s_add_u32 s28, s14, s22
	s_addc_u32 s7, s15, s23
	s_and_b32 s29, s7, 0xffff
	s_mov_b32 s31, 0x20000
	v_pack_b32_f16 v5, v5, v6
	v_pack_b32_f16 v4, v4, v7
	;; [unrolled: 1-line block ×4, first 2 shown]
	v_lshlrev_b32_e32 v6, 5, v0
	buffer_store_dwordx4 v[2:5], v6, s[28:31], 0 offen
	v_cvt_f16_f32_e32 v7, v19
	v_cvt_f16_f32_e32 v2, v24
	;; [unrolled: 1-line block ×8, first 2 shown]
	v_pack_b32_f16 v5, v5, v7
	v_pack_b32_f16 v4, v4, v8
	;; [unrolled: 1-line block ×4, first 2 shown]
	;;#ASMSTART
	s_nop 0
	;;#ASMEND
	buffer_store_dwordx4 v[2:5], v6, s[28:31], 16 offen
	;;#ASMSTART
	s_nop 0
	;;#ASMEND
.LBB991_21:
	s_or_b64 exec, exec, s[2:3]
	s_cbranch_execnz .LBB991_16
.LBB991_22:
	s_and_saveexec_b64 s[2:3], s[0:1]
	s_cbranch_execz .LBB991_24
; %bb.23:
	s_load_dwordx2 s[0:1], s[4:5], 0x10
	s_mul_hi_i32 s23, s24, s6
	s_mul_i32 s22, s24, s6
	s_waitcnt vmcnt(0)
	v_cvt_f16_f32_e32 v2, v32
	v_cvt_f16_f32_e32 v3, v30
	;; [unrolled: 1-line block ×8, first 2 shown]
	s_lshl_b64 s[22:23], s[22:23], 1
	s_waitcnt lgkmcnt(0)
	s_add_u32 s28, s0, s22
	s_addc_u32 s0, s1, s23
	s_mov_b32 s31, 0x20000
	s_and_b32 s29, s0, 0xffff
	v_pack_b32_f16 v5, v5, v6
	v_pack_b32_f16 v4, v4, v7
	;; [unrolled: 1-line block ×4, first 2 shown]
	v_lshlrev_b32_e32 v6, 5, v0
	buffer_store_dwordx4 v[2:5], v6, s[28:31], 0 offen
	v_cvt_f16_f32_e32 v7, v19
	v_cvt_f16_f32_e32 v2, v24
	;; [unrolled: 1-line block ×8, first 2 shown]
	v_pack_b32_f16 v5, v5, v7
	v_pack_b32_f16 v4, v4, v8
	;; [unrolled: 1-line block ×4, first 2 shown]
	;;#ASMSTART
	s_nop 0
	;;#ASMEND
	buffer_store_dwordx4 v[2:5], v6, s[28:31], 16 offen
	;;#ASMSTART
	s_nop 0
	;;#ASMEND
.LBB991_24:
	s_or_b64 exec, exec, s[2:3]
	s_cmp_lt_i32 s16, 1
	s_cbranch_scc1 .LBB991_17
.LBB991_25:
	s_load_dword s0, s[4:5], 0x94
	s_waitcnt lgkmcnt(0)
	s_cmp_lg_u32 s0, 1
	s_cbranch_scc1 .LBB991_17
; %bb.26:
	s_lshl_b32 s0, s16, 1
	s_add_i32 s0, s0, 2
	v_cmp_gt_u32_e32 vcc, s16, v1
	s_and_b32 s22, s0, -4
	v_mov_b32_e32 v18, 0
	v_lshlrev_b32_e32 v1, 5, v0
	s_waitcnt vmcnt(2)
	v_mov_b32_e32 v14, 0
	v_mov_b32_e32 v15, 0
	;; [unrolled: 1-line block ×8, first 2 shown]
	s_waitcnt vmcnt(1)
	v_mov_b32_e32 v6, 0
	v_mov_b32_e32 v7, 0
	;; [unrolled: 1-line block ×4, first 2 shown]
	s_waitcnt vmcnt(0)
	v_mov_b32_e32 v2, 0
	v_mov_b32_e32 v3, 0
	;; [unrolled: 1-line block ×4, first 2 shown]
	s_barrier
	s_and_saveexec_b64 s[0:1], vcc
	s_cbranch_execz .LBB991_28
; %bb.27:
	s_mul_hi_i32 s3, s18, s6
	s_mul_i32 s2, s18, s6
	s_and_b32 s21, s21, 0xffff
	s_lshl_b64 s[2:3], s[2:3], 1
	s_add_u32 s28, s10, s2
	s_mov_b32 s23, 0x20000
	s_addc_u32 s2, s11, s3
	s_and_b32 s29, s2, 0xffff
	s_mov_b32 s30, s22
	s_mov_b32 s31, s23
	buffer_load_dwordx4 v[14:17], v1, s[28:31], 0 offen
	buffer_load_dwordx4 v[10:13], v1, s[28:31], 16 offen
	;; [unrolled: 1-line block ×4, first 2 shown]
.LBB991_28:
	s_or_b64 exec, exec, s[0:1]
	v_mov_b32_e32 v19, 0
	v_mov_b32_e32 v32, 0
	;; [unrolled: 1-line block ×15, first 2 shown]
	s_and_saveexec_b64 s[0:1], vcc
	s_cbranch_execz .LBB991_30
; %bb.29:
	s_waitcnt vmcnt(3)
	v_cvt_f32_f16_sdwa v19, v14 dst_sel:DWORD dst_unused:UNUSED_PAD src0_sel:WORD_1
	v_cvt_f32_f16_e32 v18, v14
	v_cvt_f32_f16_sdwa v33, v15 dst_sel:DWORD dst_unused:UNUSED_PAD src0_sel:WORD_1
	v_cvt_f32_f16_e32 v32, v15
	;; [unrolled: 2-line block ×4, first 2 shown]
	s_waitcnt vmcnt(2)
	v_cvt_f32_f16_sdwa v27, v10 dst_sel:DWORD dst_unused:UNUSED_PAD src0_sel:WORD_1
	v_cvt_f32_f16_e32 v26, v10
	v_cvt_f32_f16_sdwa v25, v11 dst_sel:DWORD dst_unused:UNUSED_PAD src0_sel:WORD_1
	v_cvt_f32_f16_e32 v24, v11
	;; [unrolled: 2-line block ×4, first 2 shown]
.LBB991_30:
	s_or_b64 exec, exec, s[0:1]
	s_waitcnt vmcnt(2)
	v_mul_f32_e32 v10, v19, v19
	v_fmac_f32_e32 v10, v18, v18
	v_fmac_f32_e32 v10, v32, v32
	;; [unrolled: 1-line block ×15, first 2 shown]
	s_nop 1
	v_mov_b32_dpp v11, v10 quad_perm:[1,0,3,2] row_mask:0xf bank_mask:0xf
	v_add_f32_e32 v10, v10, v11
	s_nop 1
	v_mov_b32_dpp v11, v10 quad_perm:[2,3,0,1] row_mask:0xf bank_mask:0xf
	v_add_f32_e32 v10, v10, v11
	s_nop 1
	v_mov_b32_dpp v11, v10 row_half_mirror row_mask:0xf bank_mask:0xf
	v_add_f32_e32 v10, v10, v11
	s_nop 1
	v_mov_b32_dpp v11, v10 row_mirror row_mask:0xf bank_mask:0xf
	v_add_f32_e32 v10, v10, v11
	s_nop 1
	v_mov_b32_dpp v11, v10 row_bcast:15 row_mask:0xf bank_mask:0xf
	v_add_f32_e32 v10, v10, v11
	s_nop 1
	v_mov_b32_dpp v11, v10 row_bcast:31 row_mask:0xf bank_mask:0xf
	s_and_saveexec_b64 s[0:1], s[8:9]
	s_cbranch_execz .LBB991_32
; %bb.31:
	v_lshrrev_b32_e32 v0, 4, v0
	v_add_f32_e32 v10, v10, v11
	v_and_b32_e32 v0, 60, v0
	ds_write_b32 v0, v10
.LBB991_32:
	s_or_b64 exec, exec, s[0:1]
	s_waitcnt lgkmcnt(0)
	s_barrier
	ds_read_b32 v0, v34
	s_waitcnt lgkmcnt(0)
	s_nop 0
	v_mov_b32_dpp v10, v0 quad_perm:[1,0,3,2] row_mask:0xf bank_mask:0xf
	v_add_f32_e32 v0, v0, v10
	s_nop 1
	v_mov_b32_dpp v10, v0 quad_perm:[2,3,0,1] row_mask:0xf bank_mask:0xf
	v_add_f32_e32 v0, v0, v10
	s_nop 1
	v_mov_b32_dpp v10, v0 row_half_mirror row_mask:0xf bank_mask:0xf
	s_and_saveexec_b64 s[0:1], vcc
	s_cbranch_execz .LBB991_17
; %bb.33:
	v_cvt_f32_u32_e32 v11, s16
	v_add_f32_e32 v0, v0, v10
	s_mov_b32 s23, 0x20000
	v_div_scale_f32 v10, s[0:1], v11, v11, v0
	v_rcp_f32_e32 v12, v10
	v_div_scale_f32 v13, vcc, v0, v11, v0
	s_mov_b32 s0, 0x800000
	v_fma_f32 v14, -v10, v12, 1.0
	v_fmac_f32_e32 v12, v14, v12
	v_mul_f32_e32 v14, v13, v12
	v_fma_f32 v15, -v10, v14, v13
	v_fmac_f32_e32 v14, v15, v12
	v_fma_f32 v10, -v10, v14, v13
	v_div_fmas_f32 v10, v10, v12, v14
	v_div_fixup_f32 v0, v10, v11, v0
	v_add_f32_e32 v0, s13, v0
	v_mul_f32_e32 v10, 0x4b800000, v0
	v_cmp_gt_f32_e32 vcc, s0, v0
	v_cndmask_b32_e32 v0, v0, v10, vcc
	v_rsq_f32_e32 v0, v0
	s_mul_hi_i32 s1, s25, s6
	s_mul_i32 s0, s25, s6
	s_lshl_b64 s[0:1], s[0:1], 1
	v_mul_f32_e32 v10, 0x45800000, v0
	v_cndmask_b32_e32 v10, v0, v10, vcc
	v_mov_b32_e32 v11, v10
	;;#ASMSTART
	v_pk_mul_f32 v[12:13], v[18:19], v[10:11]
	;;#ASMEND
	;;#ASMSTART
	v_pk_mul_f32 v[14:15], v[32:33], v[10:11]
	;;#ASMEND
	;; [unrolled: 3-line block ×8, first 2 shown]
	s_waitcnt vmcnt(1)
	v_cvt_f32_f16_sdwa v21, v6 dst_sel:DWORD dst_unused:UNUSED_PAD src0_sel:WORD_1
	v_cvt_f32_f16_e32 v20, v6
	v_cvt_f32_f16_sdwa v29, v7 dst_sel:DWORD dst_unused:UNUSED_PAD src0_sel:WORD_1
	v_cvt_f32_f16_e32 v28, v7
	;; [unrolled: 2-line block ×4, first 2 shown]
	;;#ASMSTART
	v_pk_mul_f32 v[8:9], v[12:13], v[20:21]
	;;#ASMEND
	;;#ASMSTART
	v_pk_mul_f32 v[12:13], v[14:15], v[28:29]
	;;#ASMEND
	;;#ASMSTART
	v_pk_mul_f32 v[6:7], v[16:17], v[6:7]
	;;#ASMEND
	;;#ASMSTART
	v_pk_mul_f32 v[14:15], v[18:19], v[30:31]
	;;#ASMEND
	s_waitcnt vmcnt(0)
	v_cvt_f32_f16_sdwa v17, v2 dst_sel:DWORD dst_unused:UNUSED_PAD src0_sel:WORD_1
	v_cvt_f32_f16_e32 v16, v2
	v_cvt_f32_f16_sdwa v19, v3 dst_sel:DWORD dst_unused:UNUSED_PAD src0_sel:WORD_1
	v_cvt_f32_f16_e32 v18, v3
	;; [unrolled: 2-line block ×4, first 2 shown]
	;;#ASMSTART
	v_pk_mul_f32 v[16:17], v[26:27], v[16:17]
	;;#ASMEND
	;;#ASMSTART
	v_pk_mul_f32 v[18:19], v[24:25], v[18:19]
	;;#ASMEND
	;; [unrolled: 3-line block ×3, first 2 shown]
	v_cvt_f16_f32_e32 v0, v8
	v_cvt_f16_f32_e32 v2, v9
	;; [unrolled: 1-line block ×8, first 2 shown]
	s_add_u32 s20, s14, s0
	s_addc_u32 s0, s15, s1
	s_and_b32 s21, s0, 0xffff
	v_pack_b32_f16 v2, v0, v2
	v_pack_b32_f16 v3, v3, v4
	;; [unrolled: 1-line block ×4, first 2 shown]
	;;#ASMSTART
	v_pk_mul_f32 v[10:11], v[10:11], v[20:21]
	;;#ASMEND
	buffer_store_dwordx4 v[2:5], v1, s[20:23], 0 offen
	v_cvt_f16_f32_e32 v0, v16
	v_cvt_f16_f32_e32 v2, v17
	v_cvt_f16_f32_e32 v3, v18
	v_cvt_f16_f32_e32 v4, v19
	v_cvt_f16_f32_e32 v5, v22
	v_cvt_f16_f32_e32 v6, v23
	v_cvt_f16_f32_e32 v7, v10
	v_cvt_f16_f32_e32 v8, v11
	v_pack_b32_f16 v2, v0, v2
	v_pack_b32_f16 v3, v3, v4
	;; [unrolled: 1-line block ×4, first 2 shown]
	;;#ASMSTART
	s_nop 0
	;;#ASMEND
	buffer_store_dwordx4 v[2:5], v1, s[20:23], 16 offen
	;;#ASMSTART
	s_nop 0
	;;#ASMEND
	s_endpgm
	.section	.rodata,"a",@progbits
	.p2align	6, 0x0
	.amdhsa_kernel _ZN5aiter35fused_qk_rmsnorm_group_quant_kernelIDF16_N4opus5fp4_tELi512ELi16ELi2ELb1ELb1ELb0ELb1ELb0ELb0EEEvPT0_PvPT_S7_S7_PKS6_S9_S9_S9_S9_ffiiiiiiiiiiiii
		.amdhsa_group_segment_fixed_size 64
		.amdhsa_private_segment_fixed_size 0
		.amdhsa_kernarg_size 400
		.amdhsa_user_sgpr_count 6
		.amdhsa_user_sgpr_private_segment_buffer 1
		.amdhsa_user_sgpr_dispatch_ptr 0
		.amdhsa_user_sgpr_queue_ptr 0
		.amdhsa_user_sgpr_kernarg_segment_ptr 1
		.amdhsa_user_sgpr_dispatch_id 0
		.amdhsa_user_sgpr_flat_scratch_init 0
		.amdhsa_user_sgpr_kernarg_preload_length 0
		.amdhsa_user_sgpr_kernarg_preload_offset 0
		.amdhsa_user_sgpr_private_segment_size 0
		.amdhsa_uses_dynamic_stack 0
		.amdhsa_system_sgpr_private_segment_wavefront_offset 0
		.amdhsa_system_sgpr_workgroup_id_x 1
		.amdhsa_system_sgpr_workgroup_id_y 1
		.amdhsa_system_sgpr_workgroup_id_z 0
		.amdhsa_system_sgpr_workgroup_info 0
		.amdhsa_system_vgpr_workitem_id 0
		.amdhsa_next_free_vgpr 49
		.amdhsa_next_free_sgpr 32
		.amdhsa_accum_offset 52
		.amdhsa_reserve_vcc 1
		.amdhsa_reserve_flat_scratch 0
		.amdhsa_float_round_mode_32 0
		.amdhsa_float_round_mode_16_64 0
		.amdhsa_float_denorm_mode_32 3
		.amdhsa_float_denorm_mode_16_64 3
		.amdhsa_dx10_clamp 1
		.amdhsa_ieee_mode 1
		.amdhsa_fp16_overflow 0
		.amdhsa_tg_split 0
		.amdhsa_exception_fp_ieee_invalid_op 0
		.amdhsa_exception_fp_denorm_src 0
		.amdhsa_exception_fp_ieee_div_zero 0
		.amdhsa_exception_fp_ieee_overflow 0
		.amdhsa_exception_fp_ieee_underflow 0
		.amdhsa_exception_fp_ieee_inexact 0
		.amdhsa_exception_int_div_zero 0
	.end_amdhsa_kernel
	.section	.text._ZN5aiter35fused_qk_rmsnorm_group_quant_kernelIDF16_N4opus5fp4_tELi512ELi16ELi2ELb1ELb1ELb0ELb1ELb0ELb0EEEvPT0_PvPT_S7_S7_PKS6_S9_S9_S9_S9_ffiiiiiiiiiiiii,"axG",@progbits,_ZN5aiter35fused_qk_rmsnorm_group_quant_kernelIDF16_N4opus5fp4_tELi512ELi16ELi2ELb1ELb1ELb0ELb1ELb0ELb0EEEvPT0_PvPT_S7_S7_PKS6_S9_S9_S9_S9_ffiiiiiiiiiiiii,comdat
.Lfunc_end991:
	.size	_ZN5aiter35fused_qk_rmsnorm_group_quant_kernelIDF16_N4opus5fp4_tELi512ELi16ELi2ELb1ELb1ELb0ELb1ELb0ELb0EEEvPT0_PvPT_S7_S7_PKS6_S9_S9_S9_S9_ffiiiiiiiiiiiii, .Lfunc_end991-_ZN5aiter35fused_qk_rmsnorm_group_quant_kernelIDF16_N4opus5fp4_tELi512ELi16ELi2ELb1ELb1ELb0ELb1ELb0ELb0EEEvPT0_PvPT_S7_S7_PKS6_S9_S9_S9_S9_ffiiiiiiiiiiiii
                                        ; -- End function
	.section	.AMDGPU.csdata,"",@progbits
; Kernel info:
; codeLenInByte = 3512
; NumSgprs: 36
; NumVgprs: 49
; NumAgprs: 0
; TotalNumVgprs: 49
; ScratchSize: 0
; MemoryBound: 0
; FloatMode: 240
; IeeeMode: 1
; LDSByteSize: 64 bytes/workgroup (compile time only)
; SGPRBlocks: 4
; VGPRBlocks: 6
; NumSGPRsForWavesPerEU: 36
; NumVGPRsForWavesPerEU: 49
; AccumOffset: 52
; Occupancy: 8
; WaveLimiterHint : 0
; COMPUTE_PGM_RSRC2:SCRATCH_EN: 0
; COMPUTE_PGM_RSRC2:USER_SGPR: 6
; COMPUTE_PGM_RSRC2:TRAP_HANDLER: 0
; COMPUTE_PGM_RSRC2:TGID_X_EN: 1
; COMPUTE_PGM_RSRC2:TGID_Y_EN: 1
; COMPUTE_PGM_RSRC2:TGID_Z_EN: 0
; COMPUTE_PGM_RSRC2:TIDIG_COMP_CNT: 0
; COMPUTE_PGM_RSRC3_GFX90A:ACCUM_OFFSET: 12
; COMPUTE_PGM_RSRC3_GFX90A:TG_SPLIT: 0
	.section	.text._ZN5aiter35fused_qk_rmsnorm_group_quant_kernelItN4opus5fp4_tELi512ELi16ELi2ELb1ELb1ELb0ELb1ELb0ELb0EEEvPT0_PvPT_S7_S7_PKS6_S9_S9_S9_S9_ffiiiiiiiiiiiii,"axG",@progbits,_ZN5aiter35fused_qk_rmsnorm_group_quant_kernelItN4opus5fp4_tELi512ELi16ELi2ELb1ELb1ELb0ELb1ELb0ELb0EEEvPT0_PvPT_S7_S7_PKS6_S9_S9_S9_S9_ffiiiiiiiiiiiii,comdat
	.protected	_ZN5aiter35fused_qk_rmsnorm_group_quant_kernelItN4opus5fp4_tELi512ELi16ELi2ELb1ELb1ELb0ELb1ELb0ELb0EEEvPT0_PvPT_S7_S7_PKS6_S9_S9_S9_S9_ffiiiiiiiiiiiii ; -- Begin function _ZN5aiter35fused_qk_rmsnorm_group_quant_kernelItN4opus5fp4_tELi512ELi16ELi2ELb1ELb1ELb0ELb1ELb0ELb0EEEvPT0_PvPT_S7_S7_PKS6_S9_S9_S9_S9_ffiiiiiiiiiiiii
	.globl	_ZN5aiter35fused_qk_rmsnorm_group_quant_kernelItN4opus5fp4_tELi512ELi16ELi2ELb1ELb1ELb0ELb1ELb0ELb0EEEvPT0_PvPT_S7_S7_PKS6_S9_S9_S9_S9_ffiiiiiiiiiiiii
	.p2align	8
	.type	_ZN5aiter35fused_qk_rmsnorm_group_quant_kernelItN4opus5fp4_tELi512ELi16ELi2ELb1ELb1ELb0ELb1ELb0ELb0EEEvPT0_PvPT_S7_S7_PKS6_S9_S9_S9_S9_ffiiiiiiiiiiiii,@function
_ZN5aiter35fused_qk_rmsnorm_group_quant_kernelItN4opus5fp4_tELi512ELi16ELi2ELb1ELb1ELb0ELb1ELb0ELb0EEEvPT0_PvPT_S7_S7_PKS6_S9_S9_S9_S9_ffiiiiiiiiiiiii: ; @_ZN5aiter35fused_qk_rmsnorm_group_quant_kernelItN4opus5fp4_tELi512ELi16ELi2ELb1ELb1ELb0ELb1ELb0ELb0EEEvPT0_PvPT_S7_S7_PKS6_S9_S9_S9_S9_ffiiiiiiiiiiiii
; %bb.0:
	s_load_dwordx8 s[12:19], s[4:5], 0x50
	s_waitcnt lgkmcnt(0)
	s_cmp_ge_i32 s6, s14
	s_cbranch_scc1 .LBB992_17
; %bb.1:
	s_cmp_lg_u32 s7, 0
	s_cselect_b64 s[22:23], -1, 0
	s_cmp_eq_u32 s7, 0
	s_cselect_b64 s[2:3], -1, 0
	s_and_b64 s[0:1], s[2:3], exec
	s_cselect_b32 s7, s15, s16
	s_load_dwordx2 s[10:11], s[4:5], 0x30
	s_load_dwordx2 s[20:21], s[4:5], 0x48
	s_add_i32 s0, s7, 1
	s_lshr_b32 s1, s0, 31
	s_add_i32 s0, s0, s1
	s_lshl_b32 s0, s0, 1
	v_lshlrev_b32_e32 v1, 4, v0
	s_and_b32 s30, s0, -4
	v_cmp_gt_i32_e64 s[0:1], s7, v1
	v_mov_b32_e32 v76, 0
	v_mov_b32_e32 v77, 0
	;; [unrolled: 1-line block ×16, first 2 shown]
	s_and_saveexec_b64 s[8:9], s[0:1]
	s_cbranch_execz .LBB992_3
; %bb.2:
	s_load_dwordx2 s[14:15], s[4:5], 0x28
	s_load_dwordx2 s[26:27], s[4:5], 0x40
	s_and_b64 s[24:25], s[2:3], exec
	s_cselect_b32 s17, s17, s18
	s_mov_b32 s31, 0x20000
	s_waitcnt lgkmcnt(0)
	s_cselect_b32 s25, s15, s11
	s_cselect_b32 s24, s14, s10
	s_mul_hi_i32 s15, s17, s6
	s_mul_i32 s14, s17, s6
	s_lshl_b64 s[14:15], s[14:15], 1
	s_add_u32 s24, s24, s14
	s_addc_u32 s17, s25, s15
	s_and_b64 s[14:15], s[2:3], exec
	s_cselect_b32 s28, s26, s20
	s_cselect_b32 s14, s27, s21
	s_and_b32 s25, s17, 0xffff
	s_mov_b32 s26, s30
	s_mov_b32 s27, s31
	v_lshlrev_b32_e32 v2, 5, v0
	s_and_b32 s29, s14, 0xffff
	buffer_load_dwordx4 v[80:83], v2, s[24:27], 0 offen
	buffer_load_dwordx4 v[84:87], v2, s[24:27], 16 offen
	;; [unrolled: 1-line block ×4, first 2 shown]
.LBB992_3:
	s_or_b64 exec, exec, s[8:9]
	s_load_dwordx4 s[24:27], s[4:5], 0x7c
	s_and_b64 vcc, exec, s[22:23]
	s_cbranch_vccz .LBB992_7
; %bb.4:
	v_mov_b32_e32 v89, 0
	v_mov_b32_e32 v88, 0
	;; [unrolled: 1-line block ×16, first 2 shown]
	s_and_saveexec_b64 s[8:9], s[0:1]
	s_cbranch_execz .LBB992_6
; %bb.5:
	s_waitcnt vmcnt(3)
	v_cvt_f32_u32_sdwa v18, v80 dst_sel:DWORD dst_unused:UNUSED_PAD src0_sel:WORD_0
	v_cvt_f32_u32_sdwa v19, v80 dst_sel:DWORD dst_unused:UNUSED_PAD src0_sel:WORD_1
	v_cvt_f32_u32_sdwa v4, v81 dst_sel:DWORD dst_unused:UNUSED_PAD src0_sel:WORD_0
	v_cvt_f32_u32_sdwa v5, v81 dst_sel:DWORD dst_unused:UNUSED_PAD src0_sel:WORD_1
	;; [unrolled: 2-line block ×4, first 2 shown]
	s_waitcnt vmcnt(2)
	v_cvt_f32_u32_sdwa v64, v84 dst_sel:DWORD dst_unused:UNUSED_PAD src0_sel:WORD_0
	v_cvt_f32_u32_sdwa v65, v84 dst_sel:DWORD dst_unused:UNUSED_PAD src0_sel:WORD_1
	v_cvt_f32_u32_sdwa v48, v85 dst_sel:DWORD dst_unused:UNUSED_PAD src0_sel:WORD_0
	v_cvt_f32_u32_sdwa v49, v85 dst_sel:DWORD dst_unused:UNUSED_PAD src0_sel:WORD_1
	;; [unrolled: 2-line block ×4, first 2 shown]
.LBB992_6:
	s_or_b64 exec, exec, s[8:9]
	s_cbranch_execz .LBB992_8
	s_branch .LBB992_11
.LBB992_7:
                                        ; implicit-def: $vgpr18_vgpr19_vgpr20_vgpr21_vgpr22_vgpr23_vgpr24_vgpr25_vgpr26_vgpr27_vgpr28_vgpr29_vgpr30_vgpr31_vgpr32_vgpr33
                                        ; implicit-def: $vgpr50_vgpr51_vgpr52_vgpr53_vgpr54_vgpr55_vgpr56_vgpr57_vgpr58_vgpr59_vgpr60_vgpr61_vgpr62_vgpr63_vgpr64_vgpr65
                                        ; implicit-def: $vgpr30_vgpr31_vgpr32_vgpr33_vgpr34_vgpr35_vgpr36_vgpr37_vgpr38_vgpr39_vgpr40_vgpr41_vgpr42_vgpr43_vgpr44_vgpr45
                                        ; implicit-def: $vgpr89
                                        ; implicit-def: $vgpr2_vgpr3_vgpr4_vgpr5_vgpr6_vgpr7_vgpr8_vgpr9_vgpr10_vgpr11_vgpr12_vgpr13_vgpr14_vgpr15_vgpr16_vgpr17
                                        ; implicit-def: $vgpr56_vgpr57_vgpr58_vgpr59_vgpr60_vgpr61_vgpr62_vgpr63_vgpr64_vgpr65_vgpr66_vgpr67_vgpr68_vgpr69_vgpr70_vgpr71
                                        ; implicit-def: $vgpr38_vgpr39_vgpr40_vgpr41_vgpr42_vgpr43_vgpr44_vgpr45_vgpr46_vgpr47_vgpr48_vgpr49_vgpr50_vgpr51_vgpr52_vgpr53
                                        ; implicit-def: $vgpr20_vgpr21_vgpr22_vgpr23_vgpr24_vgpr25_vgpr26_vgpr27_vgpr28_vgpr29_vgpr30_vgpr31_vgpr32_vgpr33_vgpr34_vgpr35
.LBB992_8:
	v_mov_b32_e32 v89, 0
	v_mov_b32_e32 v88, 0
	;; [unrolled: 1-line block ×16, first 2 shown]
	s_and_saveexec_b64 s[8:9], s[0:1]
	s_cbranch_execz .LBB992_10
; %bb.9:
	s_load_dwordx2 s[14:15], s[4:5], 0x38
	s_mul_hi_i32 s29, s19, s6
	s_mul_i32 s28, s19, s6
	s_lshl_b64 s[28:29], s[28:29], 1
	s_mov_b32 s31, 0x20000
	s_waitcnt lgkmcnt(0)
	s_add_u32 s28, s14, s28
	s_addc_u32 s14, s15, s29
	s_and_b32 s29, s14, 0xffff
	v_lshlrev_b32_e32 v38, 5, v0
	buffer_load_dwordx4 v[4:7], v38, s[28:31], 16 offen
	buffer_load_dwordx4 v[8:11], v38, s[28:31], 0 offen
	s_load_dwordx2 s[14:15], s[4:5], 0x20
	s_waitcnt vmcnt(5)
	v_cvt_f32_u32_sdwa v19, v80 dst_sel:DWORD dst_unused:UNUSED_PAD src0_sel:WORD_1
	v_cvt_f32_u32_sdwa v18, v80 dst_sel:DWORD dst_unused:UNUSED_PAD src0_sel:WORD_0
	v_cvt_f32_u32_sdwa v21, v81 dst_sel:DWORD dst_unused:UNUSED_PAD src0_sel:WORD_1
	v_cvt_f32_u32_sdwa v20, v81 dst_sel:DWORD dst_unused:UNUSED_PAD src0_sel:WORD_0
	;; [unrolled: 2-line block ×4, first 2 shown]
	s_waitcnt vmcnt(4)
	v_cvt_f32_u32_sdwa v3, v84 dst_sel:DWORD dst_unused:UNUSED_PAD src0_sel:WORD_1
	v_cvt_f32_u32_sdwa v2, v84 dst_sel:DWORD dst_unused:UNUSED_PAD src0_sel:WORD_0
	v_cvt_f32_u32_sdwa v13, v85 dst_sel:DWORD dst_unused:UNUSED_PAD src0_sel:WORD_1
	v_cvt_f32_u32_sdwa v12, v85 dst_sel:DWORD dst_unused:UNUSED_PAD src0_sel:WORD_0
	;; [unrolled: 2-line block ×3, first 2 shown]
	v_cvt_f32_u32_sdwa v16, v87 dst_sel:DWORD dst_unused:UNUSED_PAD src0_sel:WORD_0
	v_cvt_f32_u32_sdwa v17, v87 dst_sel:DWORD dst_unused:UNUSED_PAD src0_sel:WORD_1
	s_mul_hi_i32 s27, s26, s6
	s_mul_i32 s26, s26, s6
	s_lshl_b64 s[26:27], s[26:27], 1
	s_waitcnt lgkmcnt(0)
	s_add_u32 s28, s14, s26
	s_mov_b32 s17, 0x7060302
	s_addc_u32 s14, s15, s27
	s_and_b32 s29, s14, 0xffff
	s_waitcnt vmcnt(1)
	v_cvt_f32_u32_sdwa v27, v4 dst_sel:DWORD dst_unused:UNUSED_PAD src0_sel:WORD_1
	v_cvt_f32_u32_sdwa v26, v4 dst_sel:DWORD dst_unused:UNUSED_PAD src0_sel:WORD_0
	v_cvt_f32_u32_sdwa v29, v5 dst_sel:DWORD dst_unused:UNUSED_PAD src0_sel:WORD_1
	v_cvt_f32_u32_sdwa v28, v5 dst_sel:DWORD dst_unused:UNUSED_PAD src0_sel:WORD_0
	;; [unrolled: 2-line block ×3, first 2 shown]
	v_cvt_f32_u32_sdwa v32, v7 dst_sel:DWORD dst_unused:UNUSED_PAD src0_sel:WORD_0
	v_cvt_f32_u32_sdwa v33, v7 dst_sel:DWORD dst_unused:UNUSED_PAD src0_sel:WORD_1
	s_waitcnt vmcnt(0)
	v_cvt_f32_u32_sdwa v35, v8 dst_sel:DWORD dst_unused:UNUSED_PAD src0_sel:WORD_1
	v_cvt_f32_u32_sdwa v34, v8 dst_sel:DWORD dst_unused:UNUSED_PAD src0_sel:WORD_0
	v_cvt_f32_u32_sdwa v5, v10 dst_sel:DWORD dst_unused:UNUSED_PAD src0_sel:WORD_1
	v_cvt_f32_u32_sdwa v4, v10 dst_sel:DWORD dst_unused:UNUSED_PAD src0_sel:WORD_0
	;; [unrolled: 2-line block ×4, first 2 shown]
	v_pk_add_f32 v[54:55], v[22:23], v[4:5]
	v_pk_add_f32 v[36:37], v[24:25], v[6:7]
	;; [unrolled: 1-line block ×4, first 2 shown]
	v_perm_b32 v9, v37, v36, s17
	v_perm_b32 v8, v55, v54, s17
	;; [unrolled: 1-line block ×4, first 2 shown]
	v_pk_add_f32 v[88:89], v[16:17], v[32:33]
	v_pk_add_f32 v[32:33], v[14:15], v[30:31]
	;; [unrolled: 1-line block ×4, first 2 shown]
	buffer_store_dwordx4 v[6:9], v38, s[28:31], 0 offen
	;;#ASMSTART
	s_nop 0
	;;#ASMEND
	s_nop 0
	v_perm_b32 v9, v89, v88, s17
	v_perm_b32 v8, v33, v32, s17
	v_perm_b32 v7, v49, v48, s17
	v_perm_b32 v6, v65, v64, s17
	buffer_store_dwordx4 v[6:9], v38, s[28:31], 16 offen
	;;#ASMSTART
	s_nop 0
	;;#ASMEND
.LBB992_10:
	s_or_b64 exec, exec, s[8:9]
.LBB992_11:
	v_mul_f32_e32 v2, v19, v19
	v_fmac_f32_e32 v2, v18, v18
	v_fmac_f32_e32 v2, v4, v4
	;; [unrolled: 1-line block ×15, first 2 shown]
	s_nop 1
	v_mov_b32_dpp v3, v2 quad_perm:[1,0,3,2] row_mask:0xf bank_mask:0xf
	v_add_f32_e32 v2, v2, v3
	s_nop 1
	v_mov_b32_dpp v3, v2 quad_perm:[2,3,0,1] row_mask:0xf bank_mask:0xf
	v_add_f32_e32 v2, v2, v3
	s_nop 1
	v_mov_b32_dpp v3, v2 row_half_mirror row_mask:0xf bank_mask:0xf
	v_add_f32_e32 v2, v2, v3
	s_nop 1
	v_mov_b32_dpp v3, v2 row_mirror row_mask:0xf bank_mask:0xf
	v_add_f32_e32 v2, v2, v3
	s_nop 1
	v_mov_b32_dpp v3, v2 row_bcast:15 row_mask:0xf bank_mask:0xf
	v_add_f32_e32 v2, v2, v3
	v_and_b32_e32 v3, 63, v0
	v_cmp_eq_u32_e64 s[8:9], 63, v3
	s_nop 0
	v_mov_b32_dpp v3, v2 row_bcast:31 row_mask:0xf bank_mask:0xf
	s_and_saveexec_b64 s[14:15], s[8:9]
	s_cbranch_execz .LBB992_13
; %bb.12:
	v_add_f32_e32 v2, v2, v3
	v_lshrrev_b32_e32 v3, 4, v0
	v_and_b32_e32 v3, 60, v3
	ds_write_b32 v3, v2 offset:32
.LBB992_13:
	s_or_b64 exec, exec, s[14:15]
	v_and_b32_e32 v2, 7, v0
	v_lshlrev_b32_e32 v34, 2, v2
	s_waitcnt lgkmcnt(0)
	s_barrier
	ds_read_b32 v2, v34 offset:32
	s_load_dwordx2 s[14:15], s[4:5], 0x18
	s_waitcnt lgkmcnt(0)
	v_mov_b32_dpp v3, v2 quad_perm:[1,0,3,2] row_mask:0xf bank_mask:0xf
	v_add_f32_e32 v2, v2, v3
	s_nop 1
	v_mov_b32_dpp v3, v2 quad_perm:[2,3,0,1] row_mask:0xf bank_mask:0xf
	v_add_f32_e32 v2, v2, v3
	s_nop 1
	v_mov_b32_dpp v3, v2 row_half_mirror row_mask:0xf bank_mask:0xf
	s_and_saveexec_b64 s[26:27], s[0:1]
	s_cbranch_execnz .LBB992_18
; %bb.14:
	s_or_b64 exec, exec, s[26:27]
	s_mov_b64 s[2:3], -1
	s_and_b64 vcc, exec, s[22:23]
	s_cbranch_vccnz .LBB992_19
.LBB992_15:
	s_andn2_b64 vcc, exec, s[2:3]
	s_cbranch_vccz .LBB992_22
.LBB992_16:
	s_cmp_lt_i32 s16, 1
	s_cbranch_scc0 .LBB992_25
.LBB992_17:
	s_endpgm
.LBB992_18:
	v_add_f32_e32 v2, v2, v3
	v_cvt_f32_u32_e32 v3, s7
	s_waitcnt vmcnt(1)
	v_cvt_f32_u32_sdwa v17, v76 dst_sel:DWORD dst_unused:UNUSED_PAD src0_sel:WORD_1
	v_cvt_f32_u32_sdwa v16, v76 dst_sel:DWORD dst_unused:UNUSED_PAD src0_sel:WORD_0
	v_cvt_f32_u32_sdwa v21, v77 dst_sel:DWORD dst_unused:UNUSED_PAD src0_sel:WORD_1
	v_div_scale_f32 v6, s[28:29], v3, v3, v2
	v_rcp_f32_e32 v7, v6
	v_cvt_f32_u32_sdwa v20, v77 dst_sel:DWORD dst_unused:UNUSED_PAD src0_sel:WORD_0
	s_waitcnt vmcnt(0)
	v_cvt_f32_u32_sdwa v25, v73 dst_sel:DWORD dst_unused:UNUSED_PAD src0_sel:WORD_1
	v_cvt_f32_u32_sdwa v24, v73 dst_sel:DWORD dst_unused:UNUSED_PAD src0_sel:WORD_0
	v_fma_f32 v8, -v6, v7, 1.0
	v_fmac_f32_e32 v7, v8, v7
	v_div_scale_f32 v8, vcc, v2, v3, v2
	v_mul_f32_e32 v9, v8, v7
	v_fma_f32 v10, -v6, v9, v8
	v_fmac_f32_e32 v9, v10, v7
	v_fma_f32 v6, -v6, v9, v8
	v_div_fmas_f32 v6, v6, v7, v9
	v_div_fixup_f32 v2, v6, v3, v2
	v_mov_b32_e32 v3, s13
	v_mov_b32_e32 v6, s12
	v_cndmask_b32_e64 v3, v3, v6, s[2:3]
	v_add_f32_e32 v2, v3, v2
	s_mov_b32 s2, 0x800000
	v_mul_f32_e32 v3, 0x4b800000, v2
	v_cmp_gt_f32_e32 vcc, s2, v2
	v_cndmask_b32_e32 v2, v2, v3, vcc
	v_rsq_f32_e32 v2, v2
	v_cvt_f32_u32_sdwa v27, v74 dst_sel:DWORD dst_unused:UNUSED_PAD src0_sel:WORD_1
	v_cvt_f32_u32_sdwa v26, v74 dst_sel:DWORD dst_unused:UNUSED_PAD src0_sel:WORD_0
	v_cvt_f32_u32_sdwa v29, v75 dst_sel:DWORD dst_unused:UNUSED_PAD src0_sel:WORD_1
	v_mul_f32_e32 v3, 0x45800000, v2
	v_cndmask_b32_e32 v2, v2, v3, vcc
	v_mov_b32_e32 v3, v2
	;;#ASMSTART
	v_pk_mul_f32 v[6:7], v[18:19], v[2:3]
	;;#ASMEND
	;;#ASMSTART
	v_pk_mul_f32 v[4:5], v[4:5], v[2:3]
	;;#ASMEND
	;; [unrolled: 3-line block ×10, first 2 shown]
	v_cvt_f32_u32_sdwa v7, v78 dst_sel:DWORD dst_unused:UNUSED_PAD src0_sel:WORD_1
	v_cvt_f32_u32_sdwa v6, v78 dst_sel:DWORD dst_unused:UNUSED_PAD src0_sel:WORD_0
	v_cvt_f32_u32_sdwa v17, v79 dst_sel:DWORD dst_unused:UNUSED_PAD src0_sel:WORD_1
	v_cvt_f32_u32_sdwa v16, v79 dst_sel:DWORD dst_unused:UNUSED_PAD src0_sel:WORD_0
	;; [unrolled: 2-line block ×3, first 2 shown]
	v_cvt_f32_u32_sdwa v28, v75 dst_sel:DWORD dst_unused:UNUSED_PAD src0_sel:WORD_0
	;;#ASMSTART
	v_pk_mul_f32 v[54:55], v[8:9], v[6:7]
	;;#ASMEND
	;;#ASMSTART
	v_pk_mul_f32 v[36:37], v[10:11], v[16:17]
	;;#ASMEND
	;; [unrolled: 3-line block ×6, first 2 shown]
	s_or_b64 exec, exec, s[26:27]
	s_mov_b64 s[2:3], -1
	s_and_b64 vcc, exec, s[22:23]
	s_cbranch_vccz .LBB992_15
.LBB992_19:
	s_and_saveexec_b64 s[2:3], s[0:1]
	s_cbranch_execz .LBB992_21
; %bb.20:
	s_mul_hi_i32 s23, s25, s6
	s_mul_i32 s22, s25, s6
	s_lshl_b64 s[22:23], s[22:23], 1
	s_add_u32 s28, s14, s22
	s_addc_u32 s7, s15, s23
	s_and_b32 s29, s7, 0xffff
	s_mov_b32 s7, 0x7060302
	s_mov_b32 s31, 0x20000
	v_perm_b32 v9, v37, v36, s7
	v_perm_b32 v8, v55, v54, s7
	;; [unrolled: 1-line block ×4, first 2 shown]
	v_lshlrev_b32_e32 v2, 5, v0
	buffer_store_dwordx4 v[6:9], v2, s[28:31], 0 offen
	;;#ASMSTART
	s_nop 0
	;;#ASMEND
	s_nop 0
	v_perm_b32 v9, v89, v88, s7
	v_perm_b32 v8, v33, v32, s7
	;; [unrolled: 1-line block ×4, first 2 shown]
	buffer_store_dwordx4 v[6:9], v2, s[28:31], 16 offen
	;;#ASMSTART
	s_nop 0
	;;#ASMEND
.LBB992_21:
	s_or_b64 exec, exec, s[2:3]
	s_cbranch_execnz .LBB992_16
.LBB992_22:
	s_and_saveexec_b64 s[2:3], s[0:1]
	s_cbranch_execz .LBB992_24
; %bb.23:
	s_load_dwordx2 s[0:1], s[4:5], 0x10
	s_mul_hi_i32 s23, s24, s6
	s_mul_i32 s22, s24, s6
	s_lshl_b64 s[22:23], s[22:23], 1
	s_mov_b32 s7, 0x7060302
	s_waitcnt lgkmcnt(0)
	s_add_u32 s28, s0, s22
	s_addc_u32 s0, s1, s23
	v_perm_b32 v7, v37, v36, s7
	v_perm_b32 v6, v55, v54, s7
	;; [unrolled: 1-line block ×4, first 2 shown]
	s_and_b32 s29, s0, 0xffff
	s_mov_b32 s31, 0x20000
	v_lshlrev_b32_e32 v8, 5, v0
	buffer_store_dwordx4 v[4:7], v8, s[28:31], 0 offen
	v_perm_b32 v3, v49, v48, s7
	v_perm_b32 v5, v89, v88, s7
	;; [unrolled: 1-line block ×4, first 2 shown]
	;;#ASMSTART
	s_nop 0
	;;#ASMEND
	buffer_store_dwordx4 v[2:5], v8, s[28:31], 16 offen
	;;#ASMSTART
	s_nop 0
	;;#ASMEND
.LBB992_24:
	s_or_b64 exec, exec, s[2:3]
	s_cmp_lt_i32 s16, 1
	s_cbranch_scc1 .LBB992_17
.LBB992_25:
	s_load_dword s0, s[4:5], 0x94
	s_waitcnt lgkmcnt(0)
	s_cmp_lg_u32 s0, 1
	s_cbranch_scc1 .LBB992_17
; %bb.26:
	s_lshl_b32 s0, s16, 1
	s_add_i32 s0, s0, 2
	v_cmp_gt_u32_e32 vcc, s16, v1
	s_and_b32 s22, s0, -4
	v_mov_b32_e32 v18, 0
	v_lshlrev_b32_e32 v1, 5, v0
	v_mov_b32_e32 v14, 0
	v_mov_b32_e32 v15, 0
	;; [unrolled: 1-line block ×16, first 2 shown]
	s_barrier
	s_and_saveexec_b64 s[0:1], vcc
	s_cbranch_execz .LBB992_28
; %bb.27:
	s_mul_hi_i32 s3, s18, s6
	s_mul_i32 s2, s18, s6
	s_and_b32 s21, s21, 0xffff
	s_lshl_b64 s[2:3], s[2:3], 1
	s_add_u32 s28, s10, s2
	s_mov_b32 s23, 0x20000
	s_addc_u32 s2, s11, s3
	s_and_b32 s29, s2, 0xffff
	s_mov_b32 s30, s22
	s_mov_b32 s31, s23
	buffer_load_dwordx4 v[14:17], v1, s[28:31], 0 offen
	buffer_load_dwordx4 v[10:13], v1, s[28:31], 16 offen
	;; [unrolled: 1-line block ×4, first 2 shown]
.LBB992_28:
	s_or_b64 exec, exec, s[0:1]
	v_mov_b32_e32 v19, 0
	v_mov_b32_e32 v32, 0
	;; [unrolled: 1-line block ×15, first 2 shown]
	s_and_saveexec_b64 s[0:1], vcc
	s_cbranch_execz .LBB992_30
; %bb.29:
	s_waitcnt vmcnt(3)
	v_cvt_f32_u32_sdwa v18, v14 dst_sel:DWORD dst_unused:UNUSED_PAD src0_sel:WORD_0
	v_cvt_f32_u32_sdwa v19, v14 dst_sel:DWORD dst_unused:UNUSED_PAD src0_sel:WORD_1
	v_cvt_f32_u32_sdwa v32, v15 dst_sel:DWORD dst_unused:UNUSED_PAD src0_sel:WORD_0
	v_cvt_f32_u32_sdwa v33, v15 dst_sel:DWORD dst_unused:UNUSED_PAD src0_sel:WORD_1
	;; [unrolled: 2-line block ×4, first 2 shown]
	s_waitcnt vmcnt(2)
	v_cvt_f32_u32_sdwa v26, v10 dst_sel:DWORD dst_unused:UNUSED_PAD src0_sel:WORD_0
	v_cvt_f32_u32_sdwa v27, v10 dst_sel:DWORD dst_unused:UNUSED_PAD src0_sel:WORD_1
	v_cvt_f32_u32_sdwa v24, v11 dst_sel:DWORD dst_unused:UNUSED_PAD src0_sel:WORD_0
	v_cvt_f32_u32_sdwa v25, v11 dst_sel:DWORD dst_unused:UNUSED_PAD src0_sel:WORD_1
	;; [unrolled: 2-line block ×4, first 2 shown]
.LBB992_30:
	s_or_b64 exec, exec, s[0:1]
	s_waitcnt vmcnt(2)
	v_mul_f32_e32 v10, v19, v19
	v_fmac_f32_e32 v10, v18, v18
	v_fmac_f32_e32 v10, v32, v32
	;; [unrolled: 1-line block ×15, first 2 shown]
	s_nop 1
	v_mov_b32_dpp v11, v10 quad_perm:[1,0,3,2] row_mask:0xf bank_mask:0xf
	v_add_f32_e32 v10, v10, v11
	s_nop 1
	v_mov_b32_dpp v11, v10 quad_perm:[2,3,0,1] row_mask:0xf bank_mask:0xf
	v_add_f32_e32 v10, v10, v11
	s_nop 1
	v_mov_b32_dpp v11, v10 row_half_mirror row_mask:0xf bank_mask:0xf
	v_add_f32_e32 v10, v10, v11
	s_nop 1
	v_mov_b32_dpp v11, v10 row_mirror row_mask:0xf bank_mask:0xf
	v_add_f32_e32 v10, v10, v11
	s_nop 1
	v_mov_b32_dpp v11, v10 row_bcast:15 row_mask:0xf bank_mask:0xf
	v_add_f32_e32 v10, v10, v11
	s_nop 1
	v_mov_b32_dpp v11, v10 row_bcast:31 row_mask:0xf bank_mask:0xf
	s_and_saveexec_b64 s[0:1], s[8:9]
	s_cbranch_execz .LBB992_32
; %bb.31:
	v_lshrrev_b32_e32 v0, 4, v0
	v_add_f32_e32 v10, v10, v11
	v_and_b32_e32 v0, 60, v0
	ds_write_b32 v0, v10
.LBB992_32:
	s_or_b64 exec, exec, s[0:1]
	s_waitcnt lgkmcnt(0)
	s_barrier
	ds_read_b32 v0, v34
	s_waitcnt lgkmcnt(0)
	s_nop 0
	v_mov_b32_dpp v10, v0 quad_perm:[1,0,3,2] row_mask:0xf bank_mask:0xf
	v_add_f32_e32 v0, v0, v10
	s_nop 1
	v_mov_b32_dpp v10, v0 quad_perm:[2,3,0,1] row_mask:0xf bank_mask:0xf
	v_add_f32_e32 v0, v0, v10
	s_nop 1
	v_mov_b32_dpp v10, v0 row_half_mirror row_mask:0xf bank_mask:0xf
	s_and_saveexec_b64 s[0:1], vcc
	s_cbranch_execz .LBB992_17
; %bb.33:
	v_cvt_f32_u32_e32 v11, s16
	v_add_f32_e32 v0, v0, v10
	s_mov_b32 s23, 0x20000
	v_div_scale_f32 v10, s[0:1], v11, v11, v0
	v_rcp_f32_e32 v12, v10
	v_div_scale_f32 v13, vcc, v0, v11, v0
	s_mov_b32 s0, 0x800000
	v_fma_f32 v14, -v10, v12, 1.0
	v_fmac_f32_e32 v12, v14, v12
	v_mul_f32_e32 v14, v13, v12
	v_fma_f32 v15, -v10, v14, v13
	v_fmac_f32_e32 v14, v15, v12
	v_fma_f32 v10, -v10, v14, v13
	v_div_fmas_f32 v10, v10, v12, v14
	v_div_fixup_f32 v0, v10, v11, v0
	v_add_f32_e32 v0, s13, v0
	v_mul_f32_e32 v10, 0x4b800000, v0
	v_cmp_gt_f32_e32 vcc, s0, v0
	v_cndmask_b32_e32 v0, v0, v10, vcc
	v_rsq_f32_e32 v0, v0
	s_mul_hi_i32 s1, s25, s6
	s_mul_i32 s0, s25, s6
	s_lshl_b64 s[0:1], s[0:1], 1
	v_mul_f32_e32 v10, 0x45800000, v0
	v_cndmask_b32_e32 v10, v0, v10, vcc
	v_mov_b32_e32 v11, v10
	s_add_u32 s20, s14, s0
	;;#ASMSTART
	v_pk_mul_f32 v[12:13], v[18:19], v[10:11]
	;;#ASMEND
	;;#ASMSTART
	v_pk_mul_f32 v[14:15], v[32:33], v[10:11]
	;;#ASMEND
	;; [unrolled: 3-line block ×8, first 2 shown]
	s_waitcnt vmcnt(1)
	v_cvt_f32_u32_sdwa v21, v6 dst_sel:DWORD dst_unused:UNUSED_PAD src0_sel:WORD_1
	v_cvt_f32_u32_sdwa v20, v6 dst_sel:DWORD dst_unused:UNUSED_PAD src0_sel:WORD_0
	v_cvt_f32_u32_sdwa v29, v7 dst_sel:DWORD dst_unused:UNUSED_PAD src0_sel:WORD_1
	v_cvt_f32_u32_sdwa v28, v7 dst_sel:DWORD dst_unused:UNUSED_PAD src0_sel:WORD_0
	;; [unrolled: 2-line block ×3, first 2 shown]
	s_addc_u32 s0, s15, s1
	v_cvt_f32_u32_sdwa v31, v9 dst_sel:DWORD dst_unused:UNUSED_PAD src0_sel:WORD_1
	v_cvt_f32_u32_sdwa v30, v9 dst_sel:DWORD dst_unused:UNUSED_PAD src0_sel:WORD_0
	;;#ASMSTART
	v_pk_mul_f32 v[8:9], v[12:13], v[20:21]
	;;#ASMEND
	;;#ASMSTART
	v_pk_mul_f32 v[12:13], v[14:15], v[28:29]
	;;#ASMEND
	;; [unrolled: 3-line block ×4, first 2 shown]
	s_waitcnt vmcnt(0)
	v_cvt_f32_u32_sdwa v17, v2 dst_sel:DWORD dst_unused:UNUSED_PAD src0_sel:WORD_1
	v_cvt_f32_u32_sdwa v16, v2 dst_sel:DWORD dst_unused:UNUSED_PAD src0_sel:WORD_0
	v_cvt_f32_u32_sdwa v19, v3 dst_sel:DWORD dst_unused:UNUSED_PAD src0_sel:WORD_1
	v_cvt_f32_u32_sdwa v18, v3 dst_sel:DWORD dst_unused:UNUSED_PAD src0_sel:WORD_0
	;; [unrolled: 2-line block ×3, first 2 shown]
	s_and_b32 s21, s0, 0xffff
	s_mov_b32 s0, 0x7060302
	v_cvt_f32_u32_sdwa v21, v5 dst_sel:DWORD dst_unused:UNUSED_PAD src0_sel:WORD_1
	v_cvt_f32_u32_sdwa v20, v5 dst_sel:DWORD dst_unused:UNUSED_PAD src0_sel:WORD_0
	;;#ASMSTART
	v_pk_mul_f32 v[16:17], v[26:27], v[16:17]
	;;#ASMEND
	;;#ASMSTART
	v_pk_mul_f32 v[18:19], v[24:25], v[18:19]
	;;#ASMEND
	;; [unrolled: 3-line block ×3, first 2 shown]
	v_perm_b32 v2, v9, v8, s0
	v_perm_b32 v3, v13, v12, s0
	;; [unrolled: 1-line block ×4, first 2 shown]
	;;#ASMSTART
	v_pk_mul_f32 v[10:11], v[10:11], v[20:21]
	;;#ASMEND
	buffer_store_dwordx4 v[2:5], v1, s[20:23], 0 offen
	;;#ASMSTART
	s_nop 0
	;;#ASMEND
	s_nop 0
	v_perm_b32 v2, v17, v16, s0
	v_perm_b32 v3, v19, v18, s0
	;; [unrolled: 1-line block ×4, first 2 shown]
	buffer_store_dwordx4 v[2:5], v1, s[20:23], 16 offen
	;;#ASMSTART
	s_nop 0
	;;#ASMEND
	s_endpgm
	.section	.rodata,"a",@progbits
	.p2align	6, 0x0
	.amdhsa_kernel _ZN5aiter35fused_qk_rmsnorm_group_quant_kernelItN4opus5fp4_tELi512ELi16ELi2ELb1ELb1ELb0ELb1ELb0ELb0EEEvPT0_PvPT_S7_S7_PKS6_S9_S9_S9_S9_ffiiiiiiiiiiiii
		.amdhsa_group_segment_fixed_size 64
		.amdhsa_private_segment_fixed_size 0
		.amdhsa_kernarg_size 400
		.amdhsa_user_sgpr_count 6
		.amdhsa_user_sgpr_private_segment_buffer 1
		.amdhsa_user_sgpr_dispatch_ptr 0
		.amdhsa_user_sgpr_queue_ptr 0
		.amdhsa_user_sgpr_kernarg_segment_ptr 1
		.amdhsa_user_sgpr_dispatch_id 0
		.amdhsa_user_sgpr_flat_scratch_init 0
		.amdhsa_user_sgpr_kernarg_preload_length 0
		.amdhsa_user_sgpr_kernarg_preload_offset 0
		.amdhsa_user_sgpr_private_segment_size 0
		.amdhsa_uses_dynamic_stack 0
		.amdhsa_system_sgpr_private_segment_wavefront_offset 0
		.amdhsa_system_sgpr_workgroup_id_x 1
		.amdhsa_system_sgpr_workgroup_id_y 1
		.amdhsa_system_sgpr_workgroup_id_z 0
		.amdhsa_system_sgpr_workgroup_info 0
		.amdhsa_system_vgpr_workitem_id 0
		.amdhsa_next_free_vgpr 90
		.amdhsa_next_free_sgpr 32
		.amdhsa_accum_offset 92
		.amdhsa_reserve_vcc 1
		.amdhsa_reserve_flat_scratch 0
		.amdhsa_float_round_mode_32 0
		.amdhsa_float_round_mode_16_64 0
		.amdhsa_float_denorm_mode_32 3
		.amdhsa_float_denorm_mode_16_64 3
		.amdhsa_dx10_clamp 1
		.amdhsa_ieee_mode 1
		.amdhsa_fp16_overflow 0
		.amdhsa_tg_split 0
		.amdhsa_exception_fp_ieee_invalid_op 0
		.amdhsa_exception_fp_denorm_src 0
		.amdhsa_exception_fp_ieee_div_zero 0
		.amdhsa_exception_fp_ieee_overflow 0
		.amdhsa_exception_fp_ieee_underflow 0
		.amdhsa_exception_fp_ieee_inexact 0
		.amdhsa_exception_int_div_zero 0
	.end_amdhsa_kernel
	.section	.text._ZN5aiter35fused_qk_rmsnorm_group_quant_kernelItN4opus5fp4_tELi512ELi16ELi2ELb1ELb1ELb0ELb1ELb0ELb0EEEvPT0_PvPT_S7_S7_PKS6_S9_S9_S9_S9_ffiiiiiiiiiiiii,"axG",@progbits,_ZN5aiter35fused_qk_rmsnorm_group_quant_kernelItN4opus5fp4_tELi512ELi16ELi2ELb1ELb1ELb0ELb1ELb0ELb0EEEvPT0_PvPT_S7_S7_PKS6_S9_S9_S9_S9_ffiiiiiiiiiiiii,comdat
.Lfunc_end992:
	.size	_ZN5aiter35fused_qk_rmsnorm_group_quant_kernelItN4opus5fp4_tELi512ELi16ELi2ELb1ELb1ELb0ELb1ELb0ELb0EEEvPT0_PvPT_S7_S7_PKS6_S9_S9_S9_S9_ffiiiiiiiiiiiii, .Lfunc_end992-_ZN5aiter35fused_qk_rmsnorm_group_quant_kernelItN4opus5fp4_tELi512ELi16ELi2ELb1ELb1ELb0ELb1ELb0ELb0EEEvPT0_PvPT_S7_S7_PKS6_S9_S9_S9_S9_ffiiiiiiiiiiiii
                                        ; -- End function
	.section	.AMDGPU.csdata,"",@progbits
; Kernel info:
; codeLenInByte = 3472
; NumSgprs: 36
; NumVgprs: 90
; NumAgprs: 0
; TotalNumVgprs: 90
; ScratchSize: 0
; MemoryBound: 0
; FloatMode: 240
; IeeeMode: 1
; LDSByteSize: 64 bytes/workgroup (compile time only)
; SGPRBlocks: 4
; VGPRBlocks: 11
; NumSGPRsForWavesPerEU: 36
; NumVGPRsForWavesPerEU: 90
; AccumOffset: 92
; Occupancy: 5
; WaveLimiterHint : 0
; COMPUTE_PGM_RSRC2:SCRATCH_EN: 0
; COMPUTE_PGM_RSRC2:USER_SGPR: 6
; COMPUTE_PGM_RSRC2:TRAP_HANDLER: 0
; COMPUTE_PGM_RSRC2:TGID_X_EN: 1
; COMPUTE_PGM_RSRC2:TGID_Y_EN: 1
; COMPUTE_PGM_RSRC2:TGID_Z_EN: 0
; COMPUTE_PGM_RSRC2:TIDIG_COMP_CNT: 0
; COMPUTE_PGM_RSRC3_GFX90A:ACCUM_OFFSET: 22
; COMPUTE_PGM_RSRC3_GFX90A:TG_SPLIT: 0
	.section	.text._ZN5aiter35fused_qk_rmsnorm_group_quant_kernelIDF16_DB8_Li512ELi16ELi2ELb0ELb1ELb1ELb1ELb0ELb0EEEvPT0_PvPT_S6_S6_PKS5_S8_S8_S8_S8_ffiiiiiiiiiiiii,"axG",@progbits,_ZN5aiter35fused_qk_rmsnorm_group_quant_kernelIDF16_DB8_Li512ELi16ELi2ELb0ELb1ELb1ELb1ELb0ELb0EEEvPT0_PvPT_S6_S6_PKS5_S8_S8_S8_S8_ffiiiiiiiiiiiii,comdat
	.protected	_ZN5aiter35fused_qk_rmsnorm_group_quant_kernelIDF16_DB8_Li512ELi16ELi2ELb0ELb1ELb1ELb1ELb0ELb0EEEvPT0_PvPT_S6_S6_PKS5_S8_S8_S8_S8_ffiiiiiiiiiiiii ; -- Begin function _ZN5aiter35fused_qk_rmsnorm_group_quant_kernelIDF16_DB8_Li512ELi16ELi2ELb0ELb1ELb1ELb1ELb0ELb0EEEvPT0_PvPT_S6_S6_PKS5_S8_S8_S8_S8_ffiiiiiiiiiiiii
	.globl	_ZN5aiter35fused_qk_rmsnorm_group_quant_kernelIDF16_DB8_Li512ELi16ELi2ELb0ELb1ELb1ELb1ELb0ELb0EEEvPT0_PvPT_S6_S6_PKS5_S8_S8_S8_S8_ffiiiiiiiiiiiii
	.p2align	8
	.type	_ZN5aiter35fused_qk_rmsnorm_group_quant_kernelIDF16_DB8_Li512ELi16ELi2ELb0ELb1ELb1ELb1ELb0ELb0EEEvPT0_PvPT_S6_S6_PKS5_S8_S8_S8_S8_ffiiiiiiiiiiiii,@function
_ZN5aiter35fused_qk_rmsnorm_group_quant_kernelIDF16_DB8_Li512ELi16ELi2ELb0ELb1ELb1ELb1ELb0ELb0EEEvPT0_PvPT_S6_S6_PKS5_S8_S8_S8_S8_ffiiiiiiiiiiiii: ; @_ZN5aiter35fused_qk_rmsnorm_group_quant_kernelIDF16_DB8_Li512ELi16ELi2ELb0ELb1ELb1ELb1ELb0ELb0EEEvPT0_PvPT_S6_S6_PKS5_S8_S8_S8_S8_ffiiiiiiiiiiiii
; %bb.0:
	s_load_dwordx4 s[12:15], s[4:5], 0x50
	s_waitcnt lgkmcnt(0)
	s_cmp_ge_i32 s6, s14
	s_cbranch_scc1 .LBB993_12
; %bb.1:
	s_load_dwordx2 s[24:25], s[4:5], 0x30
	s_load_dwordx2 s[8:9], s[4:5], 0x48
	s_load_dwordx4 s[16:19], s[4:5], 0x60
	s_cmp_lg_u32 s7, 0
	s_cselect_b64 s[10:11], -1, 0
	s_cmp_eq_u32 s7, 0
	s_cselect_b64 vcc, -1, 0
	s_and_b64 s[0:1], vcc, exec
	s_waitcnt lgkmcnt(0)
	s_cselect_b32 s7, s15, s16
	s_add_i32 s0, s7, 1
	s_lshr_b32 s1, s0, 31
	s_add_i32 s0, s0, s1
	s_lshl_b32 s0, s0, 1
	v_lshlrev_b32_e32 v1, 4, v0
	s_and_b32 s22, s0, -4
	v_cmp_gt_i32_e64 s[2:3], s7, v1
	v_mov_b32_e32 v18, 0
	v_mov_b32_e32 v6, 0
	v_mov_b32_e32 v7, 0
	v_mov_b32_e32 v8, 0
	v_mov_b32_e32 v9, 0
	v_mov_b32_e32 v2, 0
	v_mov_b32_e32 v3, 0
	v_mov_b32_e32 v4, 0
	v_mov_b32_e32 v5, 0
	v_mov_b32_e32 v14, 0
	v_mov_b32_e32 v15, 0
	v_mov_b32_e32 v16, 0
	v_mov_b32_e32 v17, 0
	v_mov_b32_e32 v10, 0
	v_mov_b32_e32 v11, 0
	v_mov_b32_e32 v12, 0
	v_mov_b32_e32 v13, 0
	s_and_saveexec_b64 s[0:1], s[2:3]
	s_cbranch_execz .LBB993_3
; %bb.2:
	s_load_dwordx2 s[14:15], s[4:5], 0x28
	s_load_dwordx2 s[20:21], s[4:5], 0x40
	s_and_b64 s[26:27], vcc, exec
	s_cselect_b32 s17, s17, s18
	s_mov_b32 s30, s22
	s_waitcnt lgkmcnt(0)
	s_cselect_b32 s19, s15, s25
	s_cselect_b32 s23, s14, s24
	s_mul_hi_i32 s15, s17, s6
	s_mul_i32 s14, s17, s6
	s_lshl_b64 s[14:15], s[14:15], 1
	s_add_u32 s28, s23, s14
	s_addc_u32 s17, s19, s15
	s_and_b64 s[14:15], vcc, exec
	s_mov_b32 s23, 0x20000
	s_cselect_b32 s20, s20, s8
	s_cselect_b32 s14, s21, s9
	s_and_b32 s29, s17, 0xffff
	s_mov_b32 s31, s23
	v_lshlrev_b32_e32 v19, 5, v0
	s_and_b32 s21, s14, 0xffff
	buffer_load_dwordx4 v[14:17], v19, s[28:31], 0 offen
	buffer_load_dwordx4 v[10:13], v19, s[28:31], 16 offen
	;; [unrolled: 1-line block ×4, first 2 shown]
.LBB993_3:
	s_or_b64 exec, exec, s[0:1]
	v_mov_b32_e32 v19, 0
	v_mov_b32_e32 v22, 0
	;; [unrolled: 1-line block ×15, first 2 shown]
	s_and_saveexec_b64 s[0:1], s[2:3]
	s_cbranch_execz .LBB993_5
; %bb.4:
	s_waitcnt vmcnt(3)
	v_cvt_f32_f16_sdwa v19, v14 dst_sel:DWORD dst_unused:UNUSED_PAD src0_sel:WORD_1
	v_cvt_f32_f16_e32 v18, v14
	v_cvt_f32_f16_sdwa v23, v15 dst_sel:DWORD dst_unused:UNUSED_PAD src0_sel:WORD_1
	v_cvt_f32_f16_e32 v22, v15
	v_cvt_f32_f16_sdwa v25, v16 dst_sel:DWORD dst_unused:UNUSED_PAD src0_sel:WORD_1
	v_cvt_f32_f16_e32 v24, v16
	v_cvt_f32_f16_sdwa v33, v17 dst_sel:DWORD dst_unused:UNUSED_PAD src0_sel:WORD_1
	v_cvt_f32_f16_e32 v32, v17
	s_waitcnt vmcnt(2)
	v_cvt_f32_f16_sdwa v21, v10 dst_sel:DWORD dst_unused:UNUSED_PAD src0_sel:WORD_1
	v_cvt_f32_f16_e32 v20, v10
	v_cvt_f32_f16_sdwa v29, v11 dst_sel:DWORD dst_unused:UNUSED_PAD src0_sel:WORD_1
	v_cvt_f32_f16_e32 v28, v11
	;; [unrolled: 2-line block ×4, first 2 shown]
.LBB993_5:
	s_or_b64 exec, exec, s[0:1]
	s_waitcnt vmcnt(2)
	v_mul_f32_e32 v10, v19, v19
	v_fmac_f32_e32 v10, v18, v18
	v_fmac_f32_e32 v10, v22, v22
	v_fmac_f32_e32 v10, v23, v23
	v_fmac_f32_e32 v10, v24, v24
	v_fmac_f32_e32 v10, v25, v25
	v_fmac_f32_e32 v10, v32, v32
	v_fmac_f32_e32 v10, v33, v33
	v_fmac_f32_e32 v10, v20, v20
	v_fmac_f32_e32 v10, v21, v21
	v_fmac_f32_e32 v10, v28, v28
	v_fmac_f32_e32 v10, v29, v29
	v_fmac_f32_e32 v10, v30, v30
	v_fmac_f32_e32 v10, v31, v31
	v_fmac_f32_e32 v10, v26, v26
	v_fmac_f32_e32 v10, v27, v27
	v_and_b32_e32 v12, 63, v0
	v_cmp_eq_u32_e64 s[0:1], 63, v12
	v_mov_b32_dpp v11, v10 quad_perm:[1,0,3,2] row_mask:0xf bank_mask:0xf
	v_add_f32_e32 v10, v10, v11
	s_nop 1
	v_mov_b32_dpp v11, v10 quad_perm:[2,3,0,1] row_mask:0xf bank_mask:0xf
	v_add_f32_e32 v10, v10, v11
	s_nop 1
	v_mov_b32_dpp v11, v10 row_half_mirror row_mask:0xf bank_mask:0xf
	v_add_f32_e32 v10, v10, v11
	s_nop 1
	v_mov_b32_dpp v11, v10 row_mirror row_mask:0xf bank_mask:0xf
	v_add_f32_e32 v10, v10, v11
	s_nop 1
	v_mov_b32_dpp v11, v10 row_bcast:15 row_mask:0xf bank_mask:0xf
	v_add_f32_e32 v10, v10, v11
	s_nop 1
	v_mov_b32_dpp v11, v10 row_bcast:31 row_mask:0xf bank_mask:0xf
	s_and_saveexec_b64 s[14:15], s[0:1]
	s_cbranch_execz .LBB993_7
; %bb.6:
	v_add_f32_e32 v10, v10, v11
	v_lshrrev_b32_e32 v11, 4, v0
	v_and_b32_e32 v11, 60, v11
	ds_write_b32 v11, v10 offset:32
.LBB993_7:
	s_or_b64 exec, exec, s[14:15]
	v_and_b32_e32 v10, 7, v0
	v_lshlrev_b32_e32 v34, 2, v10
	s_waitcnt lgkmcnt(0)
	s_barrier
	ds_read_b32 v10, v34 offset:32
	s_load_dwordx2 s[14:15], s[4:5], 0x18
	s_waitcnt lgkmcnt(0)
	v_mov_b32_dpp v11, v10 quad_perm:[1,0,3,2] row_mask:0xf bank_mask:0xf
	v_add_f32_e32 v10, v10, v11
	s_nop 1
	v_mov_b32_dpp v11, v10 quad_perm:[2,3,0,1] row_mask:0xf bank_mask:0xf
	v_add_f32_e32 v10, v10, v11
	s_nop 1
	v_mov_b32_dpp v11, v10 row_half_mirror row_mask:0xf bank_mask:0xf
	s_and_saveexec_b64 s[20:21], s[2:3]
	s_cbranch_execz .LBB993_9
; %bb.8:
	v_cvt_f32_u32_e32 v12, s7
	v_add_f32_e32 v10, v10, v11
	v_mov_b32_e32 v14, s13
	v_mov_b32_e32 v15, s12
	v_div_scale_f32 v11, s[26:27], v12, v12, v10
	v_rcp_f32_e32 v13, v11
	v_cndmask_b32_e32 v14, v14, v15, vcc
	s_mov_b32 s7, 0x800000
	v_fma_f32 v15, -v11, v13, 1.0
	v_fmac_f32_e32 v13, v15, v13
	v_div_scale_f32 v15, vcc, v10, v12, v10
	v_mul_f32_e32 v16, v15, v13
	v_fma_f32 v17, -v11, v16, v15
	v_fmac_f32_e32 v16, v17, v13
	v_fma_f32 v11, -v11, v16, v15
	v_div_fmas_f32 v11, v11, v13, v16
	v_div_fixup_f32 v10, v11, v12, v10
	v_add_f32_e32 v10, v14, v10
	v_mul_f32_e32 v11, 0x4b800000, v10
	v_cmp_gt_f32_e32 vcc, s7, v10
	v_cndmask_b32_e32 v10, v10, v11, vcc
	v_rsq_f32_e32 v10, v10
	v_mul_f32_e32 v11, 0x45800000, v10
	v_cndmask_b32_e32 v10, v10, v11, vcc
	v_mov_b32_e32 v11, v10
	;;#ASMSTART
	v_pk_mul_f32 v[12:13], v[18:19], v[10:11]
	;;#ASMEND
	s_waitcnt vmcnt(1)
	v_cvt_f32_f16_sdwa v19, v6 dst_sel:DWORD dst_unused:UNUSED_PAD src0_sel:WORD_1
	v_cvt_f32_f16_e32 v18, v6
	;;#ASMSTART
	v_pk_mul_f32 v[14:15], v[22:23], v[10:11]
	;;#ASMEND
	v_cvt_f32_f16_sdwa v23, v7 dst_sel:DWORD dst_unused:UNUSED_PAD src0_sel:WORD_1
	v_cvt_f32_f16_e32 v22, v7
	;;#ASMSTART
	v_pk_mul_f32 v[16:17], v[24:25], v[10:11]
	;;#ASMEND
	;;#ASMSTART
	v_pk_mul_f32 v[32:33], v[32:33], v[10:11]
	;;#ASMEND
	;; [unrolled: 3-line block ×6, first 2 shown]
	v_pk_add_f32 v[10:11], v[18:19], 1.0 op_sel_hi:[1,0]
	;;#ASMSTART
	v_pk_mul_f32 v[18:19], v[12:13], v[10:11]
	;;#ASMEND
	v_cvt_f32_f16_sdwa v13, v8 dst_sel:DWORD dst_unused:UNUSED_PAD src0_sel:WORD_1
	v_cvt_f32_f16_e32 v12, v8
	v_cvt_f32_f16_sdwa v27, v9 dst_sel:DWORD dst_unused:UNUSED_PAD src0_sel:WORD_1
	v_cvt_f32_f16_e32 v26, v9
	v_pk_add_f32 v[10:11], v[22:23], 1.0 op_sel_hi:[1,0]
	;;#ASMSTART
	v_pk_mul_f32 v[22:23], v[14:15], v[10:11]
	;;#ASMEND
	s_waitcnt vmcnt(0)
	v_cvt_f32_f16_sdwa v11, v2 dst_sel:DWORD dst_unused:UNUSED_PAD src0_sel:WORD_1
	v_cvt_f32_f16_e32 v10, v2
	v_pk_add_f32 v[8:9], v[12:13], 1.0 op_sel_hi:[1,0]
	;;#ASMSTART
	v_pk_mul_f32 v[24:25], v[16:17], v[8:9]
	;;#ASMEND
	v_pk_add_f32 v[8:9], v[26:27], 1.0 op_sel_hi:[1,0]
	v_cvt_f32_f16_sdwa v13, v3 dst_sel:DWORD dst_unused:UNUSED_PAD src0_sel:WORD_1
	v_cvt_f32_f16_e32 v12, v3
	;;#ASMSTART
	v_pk_mul_f32 v[32:33], v[32:33], v[8:9]
	;;#ASMEND
	v_cvt_f32_f16_sdwa v9, v4 dst_sel:DWORD dst_unused:UNUSED_PAD src0_sel:WORD_1
	v_cvt_f32_f16_e32 v8, v4
	v_pk_add_f32 v[2:3], v[10:11], 1.0 op_sel_hi:[1,0]
	v_cvt_f32_f16_sdwa v11, v5 dst_sel:DWORD dst_unused:UNUSED_PAD src0_sel:WORD_1
	v_cvt_f32_f16_e32 v10, v5
	;;#ASMSTART
	v_pk_mul_f32 v[20:21], v[20:21], v[2:3]
	;;#ASMEND
	v_pk_add_f32 v[2:3], v[12:13], 1.0 op_sel_hi:[1,0]
	;;#ASMSTART
	v_pk_mul_f32 v[28:29], v[28:29], v[2:3]
	;;#ASMEND
	v_pk_add_f32 v[2:3], v[8:9], 1.0 op_sel_hi:[1,0]
	;; [unrolled: 4-line block ×3, first 2 shown]
	;;#ASMSTART
	v_pk_mul_f32 v[26:27], v[6:7], v[2:3]
	;;#ASMEND
.LBB993_9:
	s_or_b64 exec, exec, s[20:21]
	s_load_dwordx2 s[26:27], s[4:5], 0x7c
	s_mov_b64 s[20:21], -1
	s_and_b64 vcc, exec, s[10:11]
	s_cbranch_vccnz .LBB993_13
; %bb.10:
	s_andn2_b64 vcc, exec, s[20:21]
	s_cbranch_vccz .LBB993_16
.LBB993_11:
	s_cmp_lt_i32 s16, 1
	s_cbranch_scc0 .LBB993_19
.LBB993_12:
	s_endpgm
.LBB993_13:
	s_and_saveexec_b64 s[10:11], s[2:3]
	s_cbranch_execz .LBB993_15
; %bb.14:
	s_waitcnt lgkmcnt(0)
	s_mul_hi_i32 s21, s27, s6
	s_mul_i32 s20, s27, s6
	s_waitcnt vmcnt(0)
	v_cvt_f16_f32_e32 v2, v18
	v_cvt_f16_f32_e32 v3, v22
	;; [unrolled: 1-line block ×8, first 2 shown]
	s_lshl_b64 s[20:21], s[20:21], 1
	s_add_u32 s20, s14, s20
	s_addc_u32 s7, s15, s21
	s_and_b32 s21, s7, 0xffff
	s_mov_b32 s23, 0x20000
	v_pack_b32_f16 v5, v5, v6
	v_pack_b32_f16 v4, v4, v7
	;; [unrolled: 1-line block ×4, first 2 shown]
	v_lshlrev_b32_e32 v6, 5, v0
	buffer_store_dwordx4 v[2:5], v6, s[20:23], 0 offen
	v_cvt_f16_f32_e32 v7, v27
	v_cvt_f16_f32_e32 v2, v20
	;; [unrolled: 1-line block ×8, first 2 shown]
	v_pack_b32_f16 v5, v5, v7
	v_pack_b32_f16 v4, v4, v8
	;; [unrolled: 1-line block ×4, first 2 shown]
	;;#ASMSTART
	s_nop 0
	;;#ASMEND
	buffer_store_dwordx4 v[2:5], v6, s[20:23], 16 offen
	;;#ASMSTART
	s_nop 0
	;;#ASMEND
.LBB993_15:
	s_or_b64 exec, exec, s[10:11]
	s_cbranch_execnz .LBB993_11
.LBB993_16:
	s_and_saveexec_b64 s[10:11], s[2:3]
	s_cbranch_execz .LBB993_18
; %bb.17:
	s_load_dwordx2 s[2:3], s[4:5], 0x10
	s_waitcnt lgkmcnt(0)
	s_mul_hi_i32 s21, s26, s6
	s_mul_i32 s20, s26, s6
	s_waitcnt vmcnt(0)
	v_cvt_f16_f32_e32 v2, v18
	v_cvt_f16_f32_e32 v3, v22
	;; [unrolled: 1-line block ×8, first 2 shown]
	s_lshl_b64 s[20:21], s[20:21], 1
	s_add_u32 s20, s2, s20
	s_addc_u32 s2, s3, s21
	s_mov_b32 s23, 0x20000
	s_and_b32 s21, s2, 0xffff
	v_pack_b32_f16 v5, v5, v6
	v_pack_b32_f16 v4, v4, v7
	;; [unrolled: 1-line block ×4, first 2 shown]
	v_lshlrev_b32_e32 v6, 5, v0
	buffer_store_dwordx4 v[2:5], v6, s[20:23], 0 offen
	v_cvt_f16_f32_e32 v7, v27
	v_cvt_f16_f32_e32 v2, v20
	;; [unrolled: 1-line block ×8, first 2 shown]
	v_pack_b32_f16 v5, v5, v7
	v_pack_b32_f16 v4, v4, v8
	;; [unrolled: 1-line block ×4, first 2 shown]
	;;#ASMSTART
	s_nop 0
	;;#ASMEND
	buffer_store_dwordx4 v[2:5], v6, s[20:23], 16 offen
	;;#ASMSTART
	s_nop 0
	;;#ASMEND
.LBB993_18:
	s_or_b64 exec, exec, s[10:11]
	s_cmp_lt_i32 s16, 1
	s_cbranch_scc1 .LBB993_12
.LBB993_19:
	s_load_dword s2, s[4:5], 0x94
	s_waitcnt lgkmcnt(0)
	s_cmp_lg_u32 s2, 1
	s_cbranch_scc1 .LBB993_12
; %bb.20:
	s_lshl_b32 s2, s16, 1
	s_add_i32 s2, s2, 2
	v_cmp_gt_u32_e32 vcc, s16, v1
	s_and_b32 s10, s2, -4
	v_mov_b32_e32 v18, 0
	v_lshlrev_b32_e32 v1, 5, v0
	v_mov_b32_e32 v14, 0
	v_mov_b32_e32 v15, 0
	;; [unrolled: 1-line block ×8, first 2 shown]
	s_waitcnt vmcnt(1)
	v_mov_b32_e32 v6, 0
	v_mov_b32_e32 v7, 0
	;; [unrolled: 1-line block ×4, first 2 shown]
	s_waitcnt vmcnt(0)
	v_mov_b32_e32 v2, 0
	v_mov_b32_e32 v3, 0
	;; [unrolled: 1-line block ×4, first 2 shown]
	s_barrier
	s_and_saveexec_b64 s[2:3], vcc
	s_cbranch_execz .LBB993_22
; %bb.21:
	s_mul_hi_i32 s5, s18, s6
	s_mul_i32 s4, s18, s6
	s_and_b32 s9, s9, 0xffff
	s_lshl_b64 s[4:5], s[4:5], 1
	s_add_u32 s20, s24, s4
	s_mov_b32 s11, 0x20000
	s_addc_u32 s4, s25, s5
	s_and_b32 s21, s4, 0xffff
	s_mov_b32 s22, s10
	s_mov_b32 s23, s11
	buffer_load_dwordx4 v[14:17], v1, s[20:23], 0 offen
	buffer_load_dwordx4 v[10:13], v1, s[20:23], 16 offen
	;; [unrolled: 1-line block ×4, first 2 shown]
.LBB993_22:
	s_or_b64 exec, exec, s[2:3]
	v_mov_b32_e32 v19, 0
	v_mov_b32_e32 v32, 0
	;; [unrolled: 1-line block ×15, first 2 shown]
	s_and_saveexec_b64 s[2:3], vcc
	s_cbranch_execz .LBB993_24
; %bb.23:
	s_waitcnt vmcnt(3)
	v_cvt_f32_f16_sdwa v19, v14 dst_sel:DWORD dst_unused:UNUSED_PAD src0_sel:WORD_1
	v_cvt_f32_f16_e32 v18, v14
	v_cvt_f32_f16_sdwa v33, v15 dst_sel:DWORD dst_unused:UNUSED_PAD src0_sel:WORD_1
	v_cvt_f32_f16_e32 v32, v15
	;; [unrolled: 2-line block ×4, first 2 shown]
	s_waitcnt vmcnt(2)
	v_cvt_f32_f16_sdwa v27, v10 dst_sel:DWORD dst_unused:UNUSED_PAD src0_sel:WORD_1
	v_cvt_f32_f16_e32 v26, v10
	v_cvt_f32_f16_sdwa v25, v11 dst_sel:DWORD dst_unused:UNUSED_PAD src0_sel:WORD_1
	v_cvt_f32_f16_e32 v24, v11
	;; [unrolled: 2-line block ×4, first 2 shown]
.LBB993_24:
	s_or_b64 exec, exec, s[2:3]
	s_waitcnt vmcnt(2)
	v_mul_f32_e32 v10, v19, v19
	v_fmac_f32_e32 v10, v18, v18
	v_fmac_f32_e32 v10, v32, v32
	;; [unrolled: 1-line block ×15, first 2 shown]
	s_nop 1
	v_mov_b32_dpp v11, v10 quad_perm:[1,0,3,2] row_mask:0xf bank_mask:0xf
	v_add_f32_e32 v10, v10, v11
	s_nop 1
	v_mov_b32_dpp v11, v10 quad_perm:[2,3,0,1] row_mask:0xf bank_mask:0xf
	v_add_f32_e32 v10, v10, v11
	s_nop 1
	v_mov_b32_dpp v11, v10 row_half_mirror row_mask:0xf bank_mask:0xf
	v_add_f32_e32 v10, v10, v11
	s_nop 1
	v_mov_b32_dpp v11, v10 row_mirror row_mask:0xf bank_mask:0xf
	v_add_f32_e32 v10, v10, v11
	s_nop 1
	v_mov_b32_dpp v11, v10 row_bcast:15 row_mask:0xf bank_mask:0xf
	v_add_f32_e32 v10, v10, v11
	s_nop 1
	v_mov_b32_dpp v11, v10 row_bcast:31 row_mask:0xf bank_mask:0xf
	s_and_saveexec_b64 s[2:3], s[0:1]
	s_cbranch_execz .LBB993_26
; %bb.25:
	v_lshrrev_b32_e32 v0, 4, v0
	v_add_f32_e32 v10, v10, v11
	v_and_b32_e32 v0, 60, v0
	ds_write_b32 v0, v10
.LBB993_26:
	s_or_b64 exec, exec, s[2:3]
	s_waitcnt lgkmcnt(0)
	s_barrier
	ds_read_b32 v0, v34
	s_waitcnt lgkmcnt(0)
	s_nop 0
	v_mov_b32_dpp v10, v0 quad_perm:[1,0,3,2] row_mask:0xf bank_mask:0xf
	v_add_f32_e32 v0, v0, v10
	s_nop 1
	v_mov_b32_dpp v10, v0 quad_perm:[2,3,0,1] row_mask:0xf bank_mask:0xf
	v_add_f32_e32 v0, v0, v10
	s_nop 1
	v_mov_b32_dpp v10, v0 row_half_mirror row_mask:0xf bank_mask:0xf
	s_and_saveexec_b64 s[0:1], vcc
	s_cbranch_execz .LBB993_12
; %bb.27:
	v_cvt_f32_u32_e32 v11, s16
	v_add_f32_e32 v0, v0, v10
	s_mov_b32 s11, 0x20000
	v_div_scale_f32 v10, s[0:1], v11, v11, v0
	v_rcp_f32_e32 v12, v10
	v_div_scale_f32 v13, vcc, v0, v11, v0
	s_mov_b32 s0, 0x800000
	v_fma_f32 v14, -v10, v12, 1.0
	v_fmac_f32_e32 v12, v14, v12
	v_mul_f32_e32 v14, v13, v12
	v_fma_f32 v15, -v10, v14, v13
	v_fmac_f32_e32 v14, v15, v12
	v_fma_f32 v10, -v10, v14, v13
	v_div_fmas_f32 v10, v10, v12, v14
	v_div_fixup_f32 v0, v10, v11, v0
	v_add_f32_e32 v0, s13, v0
	v_mul_f32_e32 v10, 0x4b800000, v0
	v_cmp_gt_f32_e32 vcc, s0, v0
	v_cndmask_b32_e32 v0, v0, v10, vcc
	v_rsq_f32_e32 v0, v0
	s_mul_hi_i32 s1, s27, s6
	s_mul_i32 s0, s27, s6
	s_lshl_b64 s[0:1], s[0:1], 1
	v_mul_f32_e32 v10, 0x45800000, v0
	v_cndmask_b32_e32 v10, v0, v10, vcc
	v_mov_b32_e32 v11, v10
	;;#ASMSTART
	v_pk_mul_f32 v[12:13], v[18:19], v[10:11]
	;;#ASMEND
	;;#ASMSTART
	v_pk_mul_f32 v[14:15], v[32:33], v[10:11]
	;;#ASMEND
	;; [unrolled: 3-line block ×4, first 2 shown]
	s_waitcnt vmcnt(1)
	v_cvt_f32_f16_sdwa v29, v6 dst_sel:DWORD dst_unused:UNUSED_PAD src0_sel:WORD_1
	v_cvt_f32_f16_e32 v28, v6
	v_cvt_f32_f16_sdwa v31, v7 dst_sel:DWORD dst_unused:UNUSED_PAD src0_sel:WORD_1
	v_cvt_f32_f16_e32 v30, v7
	;;#ASMSTART
	v_pk_mul_f32 v[26:27], v[26:27], v[10:11]
	;;#ASMEND
	;;#ASMSTART
	v_pk_mul_f32 v[24:25], v[24:25], v[10:11]
	;;#ASMEND
	;; [unrolled: 3-line block ×4, first 2 shown]
	v_cvt_f32_f16_sdwa v21, v8 dst_sel:DWORD dst_unused:UNUSED_PAD src0_sel:WORD_1
	v_cvt_f32_f16_e32 v20, v8
	v_pk_add_f32 v[10:11], v[28:29], 1.0 op_sel_hi:[1,0]
	;;#ASMSTART
	v_pk_mul_f32 v[10:11], v[12:13], v[10:11]
	;;#ASMEND
	v_pk_add_f32 v[12:13], v[30:31], 1.0 op_sel_hi:[1,0]
	v_cvt_f32_f16_sdwa v29, v9 dst_sel:DWORD dst_unused:UNUSED_PAD src0_sel:WORD_1
	v_cvt_f32_f16_e32 v28, v9
	;;#ASMSTART
	v_pk_mul_f32 v[8:9], v[14:15], v[12:13]
	;;#ASMEND
	v_pk_add_f32 v[12:13], v[20:21], 1.0 op_sel_hi:[1,0]
	;;#ASMSTART
	v_pk_mul_f32 v[12:13], v[16:17], v[12:13]
	;;#ASMEND
	s_waitcnt vmcnt(0)
	v_cvt_f32_f16_sdwa v17, v2 dst_sel:DWORD dst_unused:UNUSED_PAD src0_sel:WORD_1
	v_cvt_f32_f16_e32 v16, v2
	v_cvt_f32_f16_sdwa v21, v3 dst_sel:DWORD dst_unused:UNUSED_PAD src0_sel:WORD_1
	v_cvt_f32_f16_e32 v20, v3
	v_pk_add_f32 v[14:15], v[28:29], 1.0 op_sel_hi:[1,0]
	;;#ASMSTART
	v_pk_mul_f32 v[2:3], v[18:19], v[14:15]
	;;#ASMEND
	v_cvt_f32_f16_sdwa v19, v4 dst_sel:DWORD dst_unused:UNUSED_PAD src0_sel:WORD_1
	v_cvt_f32_f16_e32 v18, v4
	v_pk_add_f32 v[14:15], v[16:17], 1.0 op_sel_hi:[1,0]
	v_pk_add_f32 v[16:17], v[20:21], 1.0 op_sel_hi:[1,0]
	v_cvt_f32_f16_sdwa v21, v5 dst_sel:DWORD dst_unused:UNUSED_PAD src0_sel:WORD_1
	v_cvt_f32_f16_e32 v20, v5
	v_pk_add_f32 v[4:5], v[18:19], 1.0 op_sel_hi:[1,0]
	;;#ASMSTART
	v_pk_mul_f32 v[14:15], v[26:27], v[14:15]
	;;#ASMEND
	;;#ASMSTART
	v_pk_mul_f32 v[16:17], v[24:25], v[16:17]
	;;#ASMEND
	;; [unrolled: 3-line block ×3, first 2 shown]
	v_pk_add_f32 v[4:5], v[20:21], 1.0 op_sel_hi:[1,0]
	;;#ASMSTART
	v_pk_mul_f32 v[6:7], v[6:7], v[4:5]
	;;#ASMEND
	v_cvt_f16_f32_e32 v0, v10
	v_cvt_f16_f32_e32 v4, v11
	;; [unrolled: 1-line block ×8, first 2 shown]
	s_add_u32 s8, s14, s0
	s_addc_u32 s0, s15, s1
	s_and_b32 s9, s0, 0xffff
	v_pack_b32_f16 v2, v0, v4
	v_pack_b32_f16 v3, v5, v8
	;; [unrolled: 1-line block ×4, first 2 shown]
	buffer_store_dwordx4 v[2:5], v1, s[8:11], 0 offen
	v_cvt_f16_f32_e32 v0, v14
	v_cvt_f16_f32_e32 v2, v15
	;; [unrolled: 1-line block ×8, first 2 shown]
	v_pack_b32_f16 v2, v0, v2
	v_pack_b32_f16 v3, v3, v4
	;; [unrolled: 1-line block ×4, first 2 shown]
	;;#ASMSTART
	s_nop 0
	;;#ASMEND
	buffer_store_dwordx4 v[2:5], v1, s[8:11], 16 offen
	;;#ASMSTART
	s_nop 0
	;;#ASMEND
	s_endpgm
	.section	.rodata,"a",@progbits
	.p2align	6, 0x0
	.amdhsa_kernel _ZN5aiter35fused_qk_rmsnorm_group_quant_kernelIDF16_DB8_Li512ELi16ELi2ELb0ELb1ELb1ELb1ELb0ELb0EEEvPT0_PvPT_S6_S6_PKS5_S8_S8_S8_S8_ffiiiiiiiiiiiii
		.amdhsa_group_segment_fixed_size 64
		.amdhsa_private_segment_fixed_size 0
		.amdhsa_kernarg_size 400
		.amdhsa_user_sgpr_count 6
		.amdhsa_user_sgpr_private_segment_buffer 1
		.amdhsa_user_sgpr_dispatch_ptr 0
		.amdhsa_user_sgpr_queue_ptr 0
		.amdhsa_user_sgpr_kernarg_segment_ptr 1
		.amdhsa_user_sgpr_dispatch_id 0
		.amdhsa_user_sgpr_flat_scratch_init 0
		.amdhsa_user_sgpr_kernarg_preload_length 0
		.amdhsa_user_sgpr_kernarg_preload_offset 0
		.amdhsa_user_sgpr_private_segment_size 0
		.amdhsa_uses_dynamic_stack 0
		.amdhsa_system_sgpr_private_segment_wavefront_offset 0
		.amdhsa_system_sgpr_workgroup_id_x 1
		.amdhsa_system_sgpr_workgroup_id_y 1
		.amdhsa_system_sgpr_workgroup_id_z 0
		.amdhsa_system_sgpr_workgroup_info 0
		.amdhsa_system_vgpr_workitem_id 0
		.amdhsa_next_free_vgpr 35
		.amdhsa_next_free_sgpr 32
		.amdhsa_accum_offset 36
		.amdhsa_reserve_vcc 1
		.amdhsa_reserve_flat_scratch 0
		.amdhsa_float_round_mode_32 0
		.amdhsa_float_round_mode_16_64 0
		.amdhsa_float_denorm_mode_32 3
		.amdhsa_float_denorm_mode_16_64 3
		.amdhsa_dx10_clamp 1
		.amdhsa_ieee_mode 1
		.amdhsa_fp16_overflow 0
		.amdhsa_tg_split 0
		.amdhsa_exception_fp_ieee_invalid_op 0
		.amdhsa_exception_fp_denorm_src 0
		.amdhsa_exception_fp_ieee_div_zero 0
		.amdhsa_exception_fp_ieee_overflow 0
		.amdhsa_exception_fp_ieee_underflow 0
		.amdhsa_exception_fp_ieee_inexact 0
		.amdhsa_exception_int_div_zero 0
	.end_amdhsa_kernel
	.section	.text._ZN5aiter35fused_qk_rmsnorm_group_quant_kernelIDF16_DB8_Li512ELi16ELi2ELb0ELb1ELb1ELb1ELb0ELb0EEEvPT0_PvPT_S6_S6_PKS5_S8_S8_S8_S8_ffiiiiiiiiiiiii,"axG",@progbits,_ZN5aiter35fused_qk_rmsnorm_group_quant_kernelIDF16_DB8_Li512ELi16ELi2ELb0ELb1ELb1ELb1ELb0ELb0EEEvPT0_PvPT_S6_S6_PKS5_S8_S8_S8_S8_ffiiiiiiiiiiiii,comdat
.Lfunc_end993:
	.size	_ZN5aiter35fused_qk_rmsnorm_group_quant_kernelIDF16_DB8_Li512ELi16ELi2ELb0ELb1ELb1ELb1ELb0ELb0EEEvPT0_PvPT_S6_S6_PKS5_S8_S8_S8_S8_ffiiiiiiiiiiiii, .Lfunc_end993-_ZN5aiter35fused_qk_rmsnorm_group_quant_kernelIDF16_DB8_Li512ELi16ELi2ELb0ELb1ELb1ELb1ELb0ELb0EEEvPT0_PvPT_S6_S6_PKS5_S8_S8_S8_S8_ffiiiiiiiiiiiii
                                        ; -- End function
	.section	.AMDGPU.csdata,"",@progbits
; Kernel info:
; codeLenInByte = 3000
; NumSgprs: 36
; NumVgprs: 35
; NumAgprs: 0
; TotalNumVgprs: 35
; ScratchSize: 0
; MemoryBound: 0
; FloatMode: 240
; IeeeMode: 1
; LDSByteSize: 64 bytes/workgroup (compile time only)
; SGPRBlocks: 4
; VGPRBlocks: 4
; NumSGPRsForWavesPerEU: 36
; NumVGPRsForWavesPerEU: 35
; AccumOffset: 36
; Occupancy: 8
; WaveLimiterHint : 0
; COMPUTE_PGM_RSRC2:SCRATCH_EN: 0
; COMPUTE_PGM_RSRC2:USER_SGPR: 6
; COMPUTE_PGM_RSRC2:TRAP_HANDLER: 0
; COMPUTE_PGM_RSRC2:TGID_X_EN: 1
; COMPUTE_PGM_RSRC2:TGID_Y_EN: 1
; COMPUTE_PGM_RSRC2:TGID_Z_EN: 0
; COMPUTE_PGM_RSRC2:TIDIG_COMP_CNT: 0
; COMPUTE_PGM_RSRC3_GFX90A:ACCUM_OFFSET: 8
; COMPUTE_PGM_RSRC3_GFX90A:TG_SPLIT: 0
	.section	.text._ZN5aiter35fused_qk_rmsnorm_group_quant_kernelItDB8_Li512ELi16ELi2ELb0ELb1ELb1ELb1ELb0ELb0EEEvPT0_PvPT_S6_S6_PKS5_S8_S8_S8_S8_ffiiiiiiiiiiiii,"axG",@progbits,_ZN5aiter35fused_qk_rmsnorm_group_quant_kernelItDB8_Li512ELi16ELi2ELb0ELb1ELb1ELb1ELb0ELb0EEEvPT0_PvPT_S6_S6_PKS5_S8_S8_S8_S8_ffiiiiiiiiiiiii,comdat
	.protected	_ZN5aiter35fused_qk_rmsnorm_group_quant_kernelItDB8_Li512ELi16ELi2ELb0ELb1ELb1ELb1ELb0ELb0EEEvPT0_PvPT_S6_S6_PKS5_S8_S8_S8_S8_ffiiiiiiiiiiiii ; -- Begin function _ZN5aiter35fused_qk_rmsnorm_group_quant_kernelItDB8_Li512ELi16ELi2ELb0ELb1ELb1ELb1ELb0ELb0EEEvPT0_PvPT_S6_S6_PKS5_S8_S8_S8_S8_ffiiiiiiiiiiiii
	.globl	_ZN5aiter35fused_qk_rmsnorm_group_quant_kernelItDB8_Li512ELi16ELi2ELb0ELb1ELb1ELb1ELb0ELb0EEEvPT0_PvPT_S6_S6_PKS5_S8_S8_S8_S8_ffiiiiiiiiiiiii
	.p2align	8
	.type	_ZN5aiter35fused_qk_rmsnorm_group_quant_kernelItDB8_Li512ELi16ELi2ELb0ELb1ELb1ELb1ELb0ELb0EEEvPT0_PvPT_S6_S6_PKS5_S8_S8_S8_S8_ffiiiiiiiiiiiii,@function
_ZN5aiter35fused_qk_rmsnorm_group_quant_kernelItDB8_Li512ELi16ELi2ELb0ELb1ELb1ELb1ELb0ELb0EEEvPT0_PvPT_S6_S6_PKS5_S8_S8_S8_S8_ffiiiiiiiiiiiii: ; @_ZN5aiter35fused_qk_rmsnorm_group_quant_kernelItDB8_Li512ELi16ELi2ELb0ELb1ELb1ELb1ELb0ELb0EEEvPT0_PvPT_S6_S6_PKS5_S8_S8_S8_S8_ffiiiiiiiiiiiii
; %bb.0:
	s_load_dwordx4 s[12:15], s[4:5], 0x50
	s_waitcnt lgkmcnt(0)
	s_cmp_ge_i32 s6, s14
	s_cbranch_scc1 .LBB994_12
; %bb.1:
	s_load_dwordx2 s[24:25], s[4:5], 0x30
	s_load_dwordx2 s[8:9], s[4:5], 0x48
	s_load_dwordx4 s[16:19], s[4:5], 0x60
	s_cmp_lg_u32 s7, 0
	s_cselect_b64 s[10:11], -1, 0
	s_cmp_eq_u32 s7, 0
	s_cselect_b64 vcc, -1, 0
	s_and_b64 s[0:1], vcc, exec
	s_waitcnt lgkmcnt(0)
	s_cselect_b32 s7, s15, s16
	s_add_i32 s0, s7, 1
	s_lshr_b32 s1, s0, 31
	s_add_i32 s0, s0, s1
	s_lshl_b32 s0, s0, 1
	v_lshlrev_b32_e32 v1, 4, v0
	s_and_b32 s22, s0, -4
	v_cmp_gt_i32_e64 s[2:3], s7, v1
	v_mov_b32_e32 v18, 0
	v_mov_b32_e32 v6, 0
	;; [unrolled: 1-line block ×17, first 2 shown]
	s_and_saveexec_b64 s[0:1], s[2:3]
	s_cbranch_execz .LBB994_3
; %bb.2:
	s_load_dwordx2 s[14:15], s[4:5], 0x28
	s_load_dwordx2 s[20:21], s[4:5], 0x40
	s_and_b64 s[26:27], vcc, exec
	s_cselect_b32 s17, s17, s18
	s_mov_b32 s30, s22
	s_waitcnt lgkmcnt(0)
	s_cselect_b32 s19, s15, s25
	s_cselect_b32 s23, s14, s24
	s_mul_hi_i32 s15, s17, s6
	s_mul_i32 s14, s17, s6
	s_lshl_b64 s[14:15], s[14:15], 1
	s_add_u32 s28, s23, s14
	s_addc_u32 s17, s19, s15
	s_and_b64 s[14:15], vcc, exec
	s_mov_b32 s23, 0x20000
	s_cselect_b32 s20, s20, s8
	s_cselect_b32 s14, s21, s9
	s_and_b32 s29, s17, 0xffff
	s_mov_b32 s31, s23
	v_lshlrev_b32_e32 v19, 5, v0
	s_and_b32 s21, s14, 0xffff
	buffer_load_dwordx4 v[14:17], v19, s[28:31], 0 offen
	buffer_load_dwordx4 v[10:13], v19, s[28:31], 16 offen
	;; [unrolled: 1-line block ×4, first 2 shown]
.LBB994_3:
	s_or_b64 exec, exec, s[0:1]
	v_mov_b32_e32 v19, 0
	v_mov_b32_e32 v20, 0
	;; [unrolled: 1-line block ×15, first 2 shown]
	s_and_saveexec_b64 s[0:1], s[2:3]
	s_cbranch_execz .LBB994_5
; %bb.4:
	s_waitcnt vmcnt(3)
	v_cvt_f32_u32_sdwa v18, v14 dst_sel:DWORD dst_unused:UNUSED_PAD src0_sel:WORD_0
	v_cvt_f32_u32_sdwa v19, v14 dst_sel:DWORD dst_unused:UNUSED_PAD src0_sel:WORD_1
	v_cvt_f32_u32_sdwa v20, v15 dst_sel:DWORD dst_unused:UNUSED_PAD src0_sel:WORD_0
	v_cvt_f32_u32_sdwa v21, v15 dst_sel:DWORD dst_unused:UNUSED_PAD src0_sel:WORD_1
	;; [unrolled: 2-line block ×4, first 2 shown]
	s_waitcnt vmcnt(2)
	v_cvt_f32_u32_sdwa v24, v10 dst_sel:DWORD dst_unused:UNUSED_PAD src0_sel:WORD_0
	v_cvt_f32_u32_sdwa v25, v10 dst_sel:DWORD dst_unused:UNUSED_PAD src0_sel:WORD_1
	v_cvt_f32_u32_sdwa v30, v11 dst_sel:DWORD dst_unused:UNUSED_PAD src0_sel:WORD_0
	v_cvt_f32_u32_sdwa v31, v11 dst_sel:DWORD dst_unused:UNUSED_PAD src0_sel:WORD_1
	;; [unrolled: 2-line block ×4, first 2 shown]
.LBB994_5:
	s_or_b64 exec, exec, s[0:1]
	s_waitcnt vmcnt(2)
	v_mul_f32_e32 v10, v19, v19
	v_fmac_f32_e32 v10, v18, v18
	v_fmac_f32_e32 v10, v20, v20
	;; [unrolled: 1-line block ×15, first 2 shown]
	v_and_b32_e32 v12, 63, v0
	v_cmp_eq_u32_e64 s[0:1], 63, v12
	v_mov_b32_dpp v11, v10 quad_perm:[1,0,3,2] row_mask:0xf bank_mask:0xf
	v_add_f32_e32 v10, v10, v11
	s_nop 1
	v_mov_b32_dpp v11, v10 quad_perm:[2,3,0,1] row_mask:0xf bank_mask:0xf
	v_add_f32_e32 v10, v10, v11
	s_nop 1
	v_mov_b32_dpp v11, v10 row_half_mirror row_mask:0xf bank_mask:0xf
	v_add_f32_e32 v10, v10, v11
	s_nop 1
	v_mov_b32_dpp v11, v10 row_mirror row_mask:0xf bank_mask:0xf
	v_add_f32_e32 v10, v10, v11
	s_nop 1
	v_mov_b32_dpp v11, v10 row_bcast:15 row_mask:0xf bank_mask:0xf
	v_add_f32_e32 v10, v10, v11
	s_nop 1
	v_mov_b32_dpp v11, v10 row_bcast:31 row_mask:0xf bank_mask:0xf
	s_and_saveexec_b64 s[14:15], s[0:1]
	s_cbranch_execz .LBB994_7
; %bb.6:
	v_add_f32_e32 v10, v10, v11
	v_lshrrev_b32_e32 v11, 4, v0
	v_and_b32_e32 v11, 60, v11
	ds_write_b32 v11, v10 offset:32
.LBB994_7:
	s_or_b64 exec, exec, s[14:15]
	v_and_b32_e32 v10, 7, v0
	v_lshlrev_b32_e32 v34, 2, v10
	s_waitcnt lgkmcnt(0)
	s_barrier
	ds_read_b32 v10, v34 offset:32
	s_load_dwordx2 s[14:15], s[4:5], 0x18
	s_waitcnt lgkmcnt(0)
	v_mov_b32_dpp v11, v10 quad_perm:[1,0,3,2] row_mask:0xf bank_mask:0xf
	v_add_f32_e32 v10, v10, v11
	s_nop 1
	v_mov_b32_dpp v11, v10 quad_perm:[2,3,0,1] row_mask:0xf bank_mask:0xf
	v_add_f32_e32 v10, v10, v11
	s_nop 1
	v_mov_b32_dpp v11, v10 row_half_mirror row_mask:0xf bank_mask:0xf
	s_and_saveexec_b64 s[20:21], s[2:3]
	s_cbranch_execz .LBB994_9
; %bb.8:
	v_cvt_f32_u32_e32 v12, s7
	v_add_f32_e32 v10, v10, v11
	v_mov_b32_e32 v14, s13
	v_mov_b32_e32 v15, s12
	v_div_scale_f32 v11, s[26:27], v12, v12, v10
	v_rcp_f32_e32 v13, v11
	v_cndmask_b32_e32 v14, v14, v15, vcc
	s_mov_b32 s7, 0x800000
	v_fma_f32 v15, -v11, v13, 1.0
	v_fmac_f32_e32 v13, v15, v13
	v_div_scale_f32 v15, vcc, v10, v12, v10
	v_mul_f32_e32 v16, v15, v13
	v_fma_f32 v17, -v11, v16, v15
	v_fmac_f32_e32 v16, v17, v13
	v_fma_f32 v11, -v11, v16, v15
	v_div_fmas_f32 v11, v11, v13, v16
	v_div_fixup_f32 v10, v11, v12, v10
	v_add_f32_e32 v10, v14, v10
	v_mul_f32_e32 v11, 0x4b800000, v10
	v_cmp_gt_f32_e32 vcc, s7, v10
	v_cndmask_b32_e32 v10, v10, v11, vcc
	v_rsq_f32_e32 v10, v10
	v_mul_f32_e32 v11, 0x45800000, v10
	v_cndmask_b32_e32 v10, v10, v11, vcc
	v_mov_b32_e32 v11, v10
	;;#ASMSTART
	v_pk_mul_f32 v[12:13], v[18:19], v[10:11]
	;;#ASMEND
	s_waitcnt vmcnt(1)
	v_cvt_f32_u32_sdwa v19, v6 dst_sel:DWORD dst_unused:UNUSED_PAD src0_sel:WORD_1
	v_cvt_f32_u32_sdwa v18, v6 dst_sel:DWORD dst_unused:UNUSED_PAD src0_sel:WORD_0
	;;#ASMSTART
	v_pk_mul_f32 v[14:15], v[20:21], v[10:11]
	;;#ASMEND
	v_cvt_f32_u32_sdwa v21, v7 dst_sel:DWORD dst_unused:UNUSED_PAD src0_sel:WORD_1
	v_cvt_f32_u32_sdwa v20, v7 dst_sel:DWORD dst_unused:UNUSED_PAD src0_sel:WORD_0
	;;#ASMSTART
	v_pk_mul_f32 v[16:17], v[22:23], v[10:11]
	;;#ASMEND
	;;#ASMSTART
	v_pk_mul_f32 v[26:27], v[26:27], v[10:11]
	;;#ASMEND
	;; [unrolled: 3-line block ×6, first 2 shown]
	v_pk_add_f32 v[10:11], v[18:19], 1.0 op_sel_hi:[1,0]
	;;#ASMSTART
	v_pk_mul_f32 v[18:19], v[12:13], v[10:11]
	;;#ASMEND
	v_cvt_f32_u32_sdwa v13, v8 dst_sel:DWORD dst_unused:UNUSED_PAD src0_sel:WORD_1
	v_cvt_f32_u32_sdwa v12, v8 dst_sel:DWORD dst_unused:UNUSED_PAD src0_sel:WORD_0
	v_cvt_f32_u32_sdwa v29, v9 dst_sel:DWORD dst_unused:UNUSED_PAD src0_sel:WORD_1
	v_cvt_f32_u32_sdwa v28, v9 dst_sel:DWORD dst_unused:UNUSED_PAD src0_sel:WORD_0
	v_pk_add_f32 v[10:11], v[20:21], 1.0 op_sel_hi:[1,0]
	;;#ASMSTART
	v_pk_mul_f32 v[20:21], v[14:15], v[10:11]
	;;#ASMEND
	s_waitcnt vmcnt(0)
	v_cvt_f32_u32_sdwa v11, v2 dst_sel:DWORD dst_unused:UNUSED_PAD src0_sel:WORD_1
	v_cvt_f32_u32_sdwa v10, v2 dst_sel:DWORD dst_unused:UNUSED_PAD src0_sel:WORD_0
	v_pk_add_f32 v[8:9], v[12:13], 1.0 op_sel_hi:[1,0]
	;;#ASMSTART
	v_pk_mul_f32 v[22:23], v[16:17], v[8:9]
	;;#ASMEND
	v_pk_add_f32 v[8:9], v[28:29], 1.0 op_sel_hi:[1,0]
	v_cvt_f32_u32_sdwa v13, v3 dst_sel:DWORD dst_unused:UNUSED_PAD src0_sel:WORD_1
	v_cvt_f32_u32_sdwa v12, v3 dst_sel:DWORD dst_unused:UNUSED_PAD src0_sel:WORD_0
	;;#ASMSTART
	v_pk_mul_f32 v[26:27], v[26:27], v[8:9]
	;;#ASMEND
	v_cvt_f32_u32_sdwa v9, v4 dst_sel:DWORD dst_unused:UNUSED_PAD src0_sel:WORD_1
	v_cvt_f32_u32_sdwa v8, v4 dst_sel:DWORD dst_unused:UNUSED_PAD src0_sel:WORD_0
	v_pk_add_f32 v[2:3], v[10:11], 1.0 op_sel_hi:[1,0]
	v_cvt_f32_u32_sdwa v11, v5 dst_sel:DWORD dst_unused:UNUSED_PAD src0_sel:WORD_1
	v_cvt_f32_u32_sdwa v10, v5 dst_sel:DWORD dst_unused:UNUSED_PAD src0_sel:WORD_0
	;;#ASMSTART
	v_pk_mul_f32 v[24:25], v[24:25], v[2:3]
	;;#ASMEND
	v_pk_add_f32 v[2:3], v[12:13], 1.0 op_sel_hi:[1,0]
	;;#ASMSTART
	v_pk_mul_f32 v[30:31], v[30:31], v[2:3]
	;;#ASMEND
	v_pk_add_f32 v[2:3], v[8:9], 1.0 op_sel_hi:[1,0]
	;; [unrolled: 4-line block ×3, first 2 shown]
	;;#ASMSTART
	v_pk_mul_f32 v[28:29], v[6:7], v[2:3]
	;;#ASMEND
.LBB994_9:
	s_or_b64 exec, exec, s[20:21]
	s_load_dwordx2 s[26:27], s[4:5], 0x7c
	s_mov_b64 s[20:21], -1
	s_and_b64 vcc, exec, s[10:11]
	s_cbranch_vccnz .LBB994_13
; %bb.10:
	s_andn2_b64 vcc, exec, s[20:21]
	s_cbranch_vccz .LBB994_16
.LBB994_11:
	s_cmp_lt_i32 s16, 1
	s_cbranch_scc0 .LBB994_19
.LBB994_12:
	s_endpgm
.LBB994_13:
	s_and_saveexec_b64 s[10:11], s[2:3]
	s_cbranch_execz .LBB994_15
; %bb.14:
	s_waitcnt lgkmcnt(0)
	s_mul_hi_i32 s21, s27, s6
	s_mul_i32 s20, s27, s6
	s_lshl_b64 s[20:21], s[20:21], 1
	s_add_u32 s20, s14, s20
	s_addc_u32 s7, s15, s21
	s_and_b32 s21, s7, 0xffff
	s_mov_b32 s7, 0x7060302
	s_mov_b32 s23, 0x20000
	s_waitcnt vmcnt(0)
	v_perm_b32 v5, v27, v26, s7
	v_perm_b32 v4, v23, v22, s7
	;; [unrolled: 1-line block ×4, first 2 shown]
	v_lshlrev_b32_e32 v6, 5, v0
	buffer_store_dwordx4 v[2:5], v6, s[20:23], 0 offen
	;;#ASMSTART
	s_nop 0
	;;#ASMEND
	s_nop 0
	v_perm_b32 v5, v29, v28, s7
	v_perm_b32 v4, v33, v32, s7
	;; [unrolled: 1-line block ×4, first 2 shown]
	buffer_store_dwordx4 v[2:5], v6, s[20:23], 16 offen
	;;#ASMSTART
	s_nop 0
	;;#ASMEND
.LBB994_15:
	s_or_b64 exec, exec, s[10:11]
	s_cbranch_execnz .LBB994_11
.LBB994_16:
	s_and_saveexec_b64 s[10:11], s[2:3]
	s_cbranch_execz .LBB994_18
; %bb.17:
	s_load_dwordx2 s[2:3], s[4:5], 0x10
	s_waitcnt lgkmcnt(0)
	s_mul_hi_i32 s21, s26, s6
	s_mul_i32 s20, s26, s6
	s_lshl_b64 s[20:21], s[20:21], 1
	s_mov_b32 s23, 0x20000
	s_add_u32 s20, s2, s20
	s_addc_u32 s2, s3, s21
	s_and_b32 s21, s2, 0xffff
	s_mov_b32 s2, 0x7060302
	s_waitcnt vmcnt(0)
	v_perm_b32 v5, v27, v26, s2
	v_perm_b32 v4, v23, v22, s2
	;; [unrolled: 1-line block ×4, first 2 shown]
	v_lshlrev_b32_e32 v6, 5, v0
	buffer_store_dwordx4 v[2:5], v6, s[20:23], 0 offen
	;;#ASMSTART
	s_nop 0
	;;#ASMEND
	s_nop 0
	v_perm_b32 v5, v29, v28, s2
	v_perm_b32 v4, v33, v32, s2
	;; [unrolled: 1-line block ×4, first 2 shown]
	buffer_store_dwordx4 v[2:5], v6, s[20:23], 16 offen
	;;#ASMSTART
	s_nop 0
	;;#ASMEND
.LBB994_18:
	s_or_b64 exec, exec, s[10:11]
	s_cmp_lt_i32 s16, 1
	s_cbranch_scc1 .LBB994_12
.LBB994_19:
	s_load_dword s2, s[4:5], 0x94
	s_waitcnt lgkmcnt(0)
	s_cmp_lg_u32 s2, 1
	s_cbranch_scc1 .LBB994_12
; %bb.20:
	s_lshl_b32 s2, s16, 1
	s_add_i32 s2, s2, 2
	v_cmp_gt_u32_e32 vcc, s16, v1
	s_and_b32 s10, s2, -4
	v_mov_b32_e32 v18, 0
	v_lshlrev_b32_e32 v1, 5, v0
	v_mov_b32_e32 v14, 0
	v_mov_b32_e32 v15, 0
	v_mov_b32_e32 v16, 0
	v_mov_b32_e32 v17, 0
	v_mov_b32_e32 v10, 0
	v_mov_b32_e32 v11, 0
	v_mov_b32_e32 v12, 0
	v_mov_b32_e32 v13, 0
	s_waitcnt vmcnt(1)
	v_mov_b32_e32 v6, 0
	v_mov_b32_e32 v7, 0
	;; [unrolled: 1-line block ×4, first 2 shown]
	s_waitcnt vmcnt(0)
	v_mov_b32_e32 v2, 0
	v_mov_b32_e32 v3, 0
	;; [unrolled: 1-line block ×4, first 2 shown]
	s_barrier
	s_and_saveexec_b64 s[2:3], vcc
	s_cbranch_execz .LBB994_22
; %bb.21:
	s_mul_hi_i32 s5, s18, s6
	s_mul_i32 s4, s18, s6
	s_and_b32 s9, s9, 0xffff
	s_lshl_b64 s[4:5], s[4:5], 1
	s_add_u32 s20, s24, s4
	s_mov_b32 s11, 0x20000
	s_addc_u32 s4, s25, s5
	s_and_b32 s21, s4, 0xffff
	s_mov_b32 s22, s10
	s_mov_b32 s23, s11
	buffer_load_dwordx4 v[14:17], v1, s[20:23], 0 offen
	buffer_load_dwordx4 v[10:13], v1, s[20:23], 16 offen
	;; [unrolled: 1-line block ×4, first 2 shown]
.LBB994_22:
	s_or_b64 exec, exec, s[2:3]
	v_mov_b32_e32 v19, 0
	v_mov_b32_e32 v32, 0
	;; [unrolled: 1-line block ×15, first 2 shown]
	s_and_saveexec_b64 s[2:3], vcc
	s_cbranch_execz .LBB994_24
; %bb.23:
	s_waitcnt vmcnt(3)
	v_cvt_f32_u32_sdwa v18, v14 dst_sel:DWORD dst_unused:UNUSED_PAD src0_sel:WORD_0
	v_cvt_f32_u32_sdwa v19, v14 dst_sel:DWORD dst_unused:UNUSED_PAD src0_sel:WORD_1
	v_cvt_f32_u32_sdwa v32, v15 dst_sel:DWORD dst_unused:UNUSED_PAD src0_sel:WORD_0
	v_cvt_f32_u32_sdwa v33, v15 dst_sel:DWORD dst_unused:UNUSED_PAD src0_sel:WORD_1
	;; [unrolled: 2-line block ×4, first 2 shown]
	s_waitcnt vmcnt(2)
	v_cvt_f32_u32_sdwa v26, v10 dst_sel:DWORD dst_unused:UNUSED_PAD src0_sel:WORD_0
	v_cvt_f32_u32_sdwa v27, v10 dst_sel:DWORD dst_unused:UNUSED_PAD src0_sel:WORD_1
	v_cvt_f32_u32_sdwa v24, v11 dst_sel:DWORD dst_unused:UNUSED_PAD src0_sel:WORD_0
	v_cvt_f32_u32_sdwa v25, v11 dst_sel:DWORD dst_unused:UNUSED_PAD src0_sel:WORD_1
	;; [unrolled: 2-line block ×4, first 2 shown]
.LBB994_24:
	s_or_b64 exec, exec, s[2:3]
	s_waitcnt vmcnt(2)
	v_mul_f32_e32 v10, v19, v19
	v_fmac_f32_e32 v10, v18, v18
	v_fmac_f32_e32 v10, v32, v32
	;; [unrolled: 1-line block ×15, first 2 shown]
	s_nop 1
	v_mov_b32_dpp v11, v10 quad_perm:[1,0,3,2] row_mask:0xf bank_mask:0xf
	v_add_f32_e32 v10, v10, v11
	s_nop 1
	v_mov_b32_dpp v11, v10 quad_perm:[2,3,0,1] row_mask:0xf bank_mask:0xf
	v_add_f32_e32 v10, v10, v11
	s_nop 1
	v_mov_b32_dpp v11, v10 row_half_mirror row_mask:0xf bank_mask:0xf
	v_add_f32_e32 v10, v10, v11
	s_nop 1
	v_mov_b32_dpp v11, v10 row_mirror row_mask:0xf bank_mask:0xf
	v_add_f32_e32 v10, v10, v11
	s_nop 1
	v_mov_b32_dpp v11, v10 row_bcast:15 row_mask:0xf bank_mask:0xf
	v_add_f32_e32 v10, v10, v11
	s_nop 1
	v_mov_b32_dpp v11, v10 row_bcast:31 row_mask:0xf bank_mask:0xf
	s_and_saveexec_b64 s[2:3], s[0:1]
	s_cbranch_execz .LBB994_26
; %bb.25:
	v_lshrrev_b32_e32 v0, 4, v0
	v_add_f32_e32 v10, v10, v11
	v_and_b32_e32 v0, 60, v0
	ds_write_b32 v0, v10
.LBB994_26:
	s_or_b64 exec, exec, s[2:3]
	s_waitcnt lgkmcnt(0)
	s_barrier
	ds_read_b32 v0, v34
	s_waitcnt lgkmcnt(0)
	s_nop 0
	v_mov_b32_dpp v10, v0 quad_perm:[1,0,3,2] row_mask:0xf bank_mask:0xf
	v_add_f32_e32 v0, v0, v10
	s_nop 1
	v_mov_b32_dpp v10, v0 quad_perm:[2,3,0,1] row_mask:0xf bank_mask:0xf
	v_add_f32_e32 v0, v0, v10
	s_nop 1
	v_mov_b32_dpp v10, v0 row_half_mirror row_mask:0xf bank_mask:0xf
	s_and_saveexec_b64 s[0:1], vcc
	s_cbranch_execz .LBB994_12
; %bb.27:
	v_cvt_f32_u32_e32 v11, s16
	v_add_f32_e32 v0, v0, v10
	s_mov_b32 s11, 0x20000
	v_div_scale_f32 v10, s[0:1], v11, v11, v0
	v_rcp_f32_e32 v12, v10
	v_div_scale_f32 v13, vcc, v0, v11, v0
	s_mov_b32 s0, 0x800000
	v_fma_f32 v14, -v10, v12, 1.0
	v_fmac_f32_e32 v12, v14, v12
	v_mul_f32_e32 v14, v13, v12
	v_fma_f32 v15, -v10, v14, v13
	v_fmac_f32_e32 v14, v15, v12
	v_fma_f32 v10, -v10, v14, v13
	v_div_fmas_f32 v10, v10, v12, v14
	v_div_fixup_f32 v0, v10, v11, v0
	v_add_f32_e32 v0, s13, v0
	v_mul_f32_e32 v10, 0x4b800000, v0
	v_cmp_gt_f32_e32 vcc, s0, v0
	v_cndmask_b32_e32 v0, v0, v10, vcc
	v_rsq_f32_e32 v0, v0
	s_mul_hi_i32 s1, s27, s6
	s_mul_i32 s0, s27, s6
	s_lshl_b64 s[0:1], s[0:1], 1
	v_mul_f32_e32 v10, 0x45800000, v0
	v_cndmask_b32_e32 v10, v0, v10, vcc
	v_mov_b32_e32 v11, v10
	;;#ASMSTART
	v_pk_mul_f32 v[12:13], v[18:19], v[10:11]
	;;#ASMEND
	;;#ASMSTART
	v_pk_mul_f32 v[14:15], v[32:33], v[10:11]
	;;#ASMEND
	;; [unrolled: 3-line block ×4, first 2 shown]
	s_waitcnt vmcnt(1)
	v_cvt_f32_u32_sdwa v29, v6 dst_sel:DWORD dst_unused:UNUSED_PAD src0_sel:WORD_1
	v_cvt_f32_u32_sdwa v28, v6 dst_sel:DWORD dst_unused:UNUSED_PAD src0_sel:WORD_0
	v_cvt_f32_u32_sdwa v31, v7 dst_sel:DWORD dst_unused:UNUSED_PAD src0_sel:WORD_1
	v_cvt_f32_u32_sdwa v30, v7 dst_sel:DWORD dst_unused:UNUSED_PAD src0_sel:WORD_0
	;;#ASMSTART
	v_pk_mul_f32 v[26:27], v[26:27], v[10:11]
	;;#ASMEND
	;;#ASMSTART
	v_pk_mul_f32 v[24:25], v[24:25], v[10:11]
	;;#ASMEND
	;; [unrolled: 3-line block ×4, first 2 shown]
	v_cvt_f32_u32_sdwa v21, v8 dst_sel:DWORD dst_unused:UNUSED_PAD src0_sel:WORD_1
	v_cvt_f32_u32_sdwa v20, v8 dst_sel:DWORD dst_unused:UNUSED_PAD src0_sel:WORD_0
	v_pk_add_f32 v[10:11], v[28:29], 1.0 op_sel_hi:[1,0]
	;;#ASMSTART
	v_pk_mul_f32 v[10:11], v[12:13], v[10:11]
	;;#ASMEND
	v_pk_add_f32 v[12:13], v[30:31], 1.0 op_sel_hi:[1,0]
	v_cvt_f32_u32_sdwa v29, v9 dst_sel:DWORD dst_unused:UNUSED_PAD src0_sel:WORD_1
	v_cvt_f32_u32_sdwa v28, v9 dst_sel:DWORD dst_unused:UNUSED_PAD src0_sel:WORD_0
	;;#ASMSTART
	v_pk_mul_f32 v[8:9], v[14:15], v[12:13]
	;;#ASMEND
	v_pk_add_f32 v[12:13], v[20:21], 1.0 op_sel_hi:[1,0]
	;;#ASMSTART
	v_pk_mul_f32 v[12:13], v[16:17], v[12:13]
	;;#ASMEND
	s_waitcnt vmcnt(0)
	v_cvt_f32_u32_sdwa v17, v2 dst_sel:DWORD dst_unused:UNUSED_PAD src0_sel:WORD_1
	v_cvt_f32_u32_sdwa v16, v2 dst_sel:DWORD dst_unused:UNUSED_PAD src0_sel:WORD_0
	v_cvt_f32_u32_sdwa v21, v3 dst_sel:DWORD dst_unused:UNUSED_PAD src0_sel:WORD_1
	v_cvt_f32_u32_sdwa v20, v3 dst_sel:DWORD dst_unused:UNUSED_PAD src0_sel:WORD_0
	v_pk_add_f32 v[14:15], v[28:29], 1.0 op_sel_hi:[1,0]
	;;#ASMSTART
	v_pk_mul_f32 v[14:15], v[18:19], v[14:15]
	;;#ASMEND
	v_pk_add_f32 v[2:3], v[16:17], 1.0 op_sel_hi:[1,0]
	v_cvt_f32_u32_sdwa v19, v4 dst_sel:DWORD dst_unused:UNUSED_PAD src0_sel:WORD_1
	v_cvt_f32_u32_sdwa v18, v4 dst_sel:DWORD dst_unused:UNUSED_PAD src0_sel:WORD_0
	;;#ASMSTART
	v_pk_mul_f32 v[16:17], v[26:27], v[2:3]
	;;#ASMEND
	v_pk_add_f32 v[2:3], v[20:21], 1.0 op_sel_hi:[1,0]
	v_cvt_f32_u32_sdwa v21, v5 dst_sel:DWORD dst_unused:UNUSED_PAD src0_sel:WORD_1
	v_cvt_f32_u32_sdwa v20, v5 dst_sel:DWORD dst_unused:UNUSED_PAD src0_sel:WORD_0
	s_add_u32 s8, s14, s0
	;;#ASMSTART
	v_pk_mul_f32 v[24:25], v[24:25], v[2:3]
	;;#ASMEND
	v_pk_add_f32 v[2:3], v[18:19], 1.0 op_sel_hi:[1,0]
	s_addc_u32 s0, s15, s1
	;;#ASMSTART
	v_pk_mul_f32 v[18:19], v[22:23], v[2:3]
	;;#ASMEND
	v_pk_add_f32 v[2:3], v[20:21], 1.0 op_sel_hi:[1,0]
	s_and_b32 s9, s0, 0xffff
	s_mov_b32 s0, 0x7060302
	;;#ASMSTART
	v_pk_mul_f32 v[6:7], v[6:7], v[2:3]
	;;#ASMEND
	v_perm_b32 v2, v11, v10, s0
	v_perm_b32 v3, v9, v8, s0
	;; [unrolled: 1-line block ×4, first 2 shown]
	buffer_store_dwordx4 v[2:5], v1, s[8:11], 0 offen
	;;#ASMSTART
	s_nop 0
	;;#ASMEND
	s_nop 0
	v_perm_b32 v2, v17, v16, s0
	v_perm_b32 v3, v25, v24, s0
	;; [unrolled: 1-line block ×4, first 2 shown]
	buffer_store_dwordx4 v[2:5], v1, s[8:11], 16 offen
	;;#ASMSTART
	s_nop 0
	;;#ASMEND
	s_endpgm
	.section	.rodata,"a",@progbits
	.p2align	6, 0x0
	.amdhsa_kernel _ZN5aiter35fused_qk_rmsnorm_group_quant_kernelItDB8_Li512ELi16ELi2ELb0ELb1ELb1ELb1ELb0ELb0EEEvPT0_PvPT_S6_S6_PKS5_S8_S8_S8_S8_ffiiiiiiiiiiiii
		.amdhsa_group_segment_fixed_size 64
		.amdhsa_private_segment_fixed_size 0
		.amdhsa_kernarg_size 400
		.amdhsa_user_sgpr_count 6
		.amdhsa_user_sgpr_private_segment_buffer 1
		.amdhsa_user_sgpr_dispatch_ptr 0
		.amdhsa_user_sgpr_queue_ptr 0
		.amdhsa_user_sgpr_kernarg_segment_ptr 1
		.amdhsa_user_sgpr_dispatch_id 0
		.amdhsa_user_sgpr_flat_scratch_init 0
		.amdhsa_user_sgpr_kernarg_preload_length 0
		.amdhsa_user_sgpr_kernarg_preload_offset 0
		.amdhsa_user_sgpr_private_segment_size 0
		.amdhsa_uses_dynamic_stack 0
		.amdhsa_system_sgpr_private_segment_wavefront_offset 0
		.amdhsa_system_sgpr_workgroup_id_x 1
		.amdhsa_system_sgpr_workgroup_id_y 1
		.amdhsa_system_sgpr_workgroup_id_z 0
		.amdhsa_system_sgpr_workgroup_info 0
		.amdhsa_system_vgpr_workitem_id 0
		.amdhsa_next_free_vgpr 35
		.amdhsa_next_free_sgpr 32
		.amdhsa_accum_offset 36
		.amdhsa_reserve_vcc 1
		.amdhsa_reserve_flat_scratch 0
		.amdhsa_float_round_mode_32 0
		.amdhsa_float_round_mode_16_64 0
		.amdhsa_float_denorm_mode_32 3
		.amdhsa_float_denorm_mode_16_64 3
		.amdhsa_dx10_clamp 1
		.amdhsa_ieee_mode 1
		.amdhsa_fp16_overflow 0
		.amdhsa_tg_split 0
		.amdhsa_exception_fp_ieee_invalid_op 0
		.amdhsa_exception_fp_denorm_src 0
		.amdhsa_exception_fp_ieee_div_zero 0
		.amdhsa_exception_fp_ieee_overflow 0
		.amdhsa_exception_fp_ieee_underflow 0
		.amdhsa_exception_fp_ieee_inexact 0
		.amdhsa_exception_int_div_zero 0
	.end_amdhsa_kernel
	.section	.text._ZN5aiter35fused_qk_rmsnorm_group_quant_kernelItDB8_Li512ELi16ELi2ELb0ELb1ELb1ELb1ELb0ELb0EEEvPT0_PvPT_S6_S6_PKS5_S8_S8_S8_S8_ffiiiiiiiiiiiii,"axG",@progbits,_ZN5aiter35fused_qk_rmsnorm_group_quant_kernelItDB8_Li512ELi16ELi2ELb0ELb1ELb1ELb1ELb0ELb0EEEvPT0_PvPT_S6_S6_PKS5_S8_S8_S8_S8_ffiiiiiiiiiiiii,comdat
.Lfunc_end994:
	.size	_ZN5aiter35fused_qk_rmsnorm_group_quant_kernelItDB8_Li512ELi16ELi2ELb0ELb1ELb1ELb1ELb0ELb0EEEvPT0_PvPT_S6_S6_PKS5_S8_S8_S8_S8_ffiiiiiiiiiiiii, .Lfunc_end994-_ZN5aiter35fused_qk_rmsnorm_group_quant_kernelItDB8_Li512ELi16ELi2ELb0ELb1ELb1ELb1ELb0ELb0EEEvPT0_PvPT_S6_S6_PKS5_S8_S8_S8_S8_ffiiiiiiiiiiiii
                                        ; -- End function
	.section	.AMDGPU.csdata,"",@progbits
; Kernel info:
; codeLenInByte = 2972
; NumSgprs: 36
; NumVgprs: 35
; NumAgprs: 0
; TotalNumVgprs: 35
; ScratchSize: 0
; MemoryBound: 0
; FloatMode: 240
; IeeeMode: 1
; LDSByteSize: 64 bytes/workgroup (compile time only)
; SGPRBlocks: 4
; VGPRBlocks: 4
; NumSGPRsForWavesPerEU: 36
; NumVGPRsForWavesPerEU: 35
; AccumOffset: 36
; Occupancy: 8
; WaveLimiterHint : 0
; COMPUTE_PGM_RSRC2:SCRATCH_EN: 0
; COMPUTE_PGM_RSRC2:USER_SGPR: 6
; COMPUTE_PGM_RSRC2:TRAP_HANDLER: 0
; COMPUTE_PGM_RSRC2:TGID_X_EN: 1
; COMPUTE_PGM_RSRC2:TGID_Y_EN: 1
; COMPUTE_PGM_RSRC2:TGID_Z_EN: 0
; COMPUTE_PGM_RSRC2:TIDIG_COMP_CNT: 0
; COMPUTE_PGM_RSRC3_GFX90A:ACCUM_OFFSET: 8
; COMPUTE_PGM_RSRC3_GFX90A:TG_SPLIT: 0
	.section	.text._ZN5aiter35fused_qk_rmsnorm_group_quant_kernelIDF16_N4opus5fp4_tELi512ELi16ELi2ELb0ELb1ELb1ELb1ELb0ELb0EEEvPT0_PvPT_S7_S7_PKS6_S9_S9_S9_S9_ffiiiiiiiiiiiii,"axG",@progbits,_ZN5aiter35fused_qk_rmsnorm_group_quant_kernelIDF16_N4opus5fp4_tELi512ELi16ELi2ELb0ELb1ELb1ELb1ELb0ELb0EEEvPT0_PvPT_S7_S7_PKS6_S9_S9_S9_S9_ffiiiiiiiiiiiii,comdat
	.protected	_ZN5aiter35fused_qk_rmsnorm_group_quant_kernelIDF16_N4opus5fp4_tELi512ELi16ELi2ELb0ELb1ELb1ELb1ELb0ELb0EEEvPT0_PvPT_S7_S7_PKS6_S9_S9_S9_S9_ffiiiiiiiiiiiii ; -- Begin function _ZN5aiter35fused_qk_rmsnorm_group_quant_kernelIDF16_N4opus5fp4_tELi512ELi16ELi2ELb0ELb1ELb1ELb1ELb0ELb0EEEvPT0_PvPT_S7_S7_PKS6_S9_S9_S9_S9_ffiiiiiiiiiiiii
	.globl	_ZN5aiter35fused_qk_rmsnorm_group_quant_kernelIDF16_N4opus5fp4_tELi512ELi16ELi2ELb0ELb1ELb1ELb1ELb0ELb0EEEvPT0_PvPT_S7_S7_PKS6_S9_S9_S9_S9_ffiiiiiiiiiiiii
	.p2align	8
	.type	_ZN5aiter35fused_qk_rmsnorm_group_quant_kernelIDF16_N4opus5fp4_tELi512ELi16ELi2ELb0ELb1ELb1ELb1ELb0ELb0EEEvPT0_PvPT_S7_S7_PKS6_S9_S9_S9_S9_ffiiiiiiiiiiiii,@function
_ZN5aiter35fused_qk_rmsnorm_group_quant_kernelIDF16_N4opus5fp4_tELi512ELi16ELi2ELb0ELb1ELb1ELb1ELb0ELb0EEEvPT0_PvPT_S7_S7_PKS6_S9_S9_S9_S9_ffiiiiiiiiiiiii: ; @_ZN5aiter35fused_qk_rmsnorm_group_quant_kernelIDF16_N4opus5fp4_tELi512ELi16ELi2ELb0ELb1ELb1ELb1ELb0ELb0EEEvPT0_PvPT_S7_S7_PKS6_S9_S9_S9_S9_ffiiiiiiiiiiiii
; %bb.0:
	s_load_dwordx4 s[12:15], s[4:5], 0x50
	s_waitcnt lgkmcnt(0)
	s_cmp_ge_i32 s6, s14
	s_cbranch_scc1 .LBB995_12
; %bb.1:
	s_load_dwordx2 s[24:25], s[4:5], 0x30
	s_load_dwordx2 s[8:9], s[4:5], 0x48
	s_load_dwordx4 s[16:19], s[4:5], 0x60
	s_cmp_lg_u32 s7, 0
	s_cselect_b64 s[10:11], -1, 0
	s_cmp_eq_u32 s7, 0
	s_cselect_b64 vcc, -1, 0
	s_and_b64 s[0:1], vcc, exec
	s_waitcnt lgkmcnt(0)
	s_cselect_b32 s7, s15, s16
	s_add_i32 s0, s7, 1
	s_lshr_b32 s1, s0, 31
	s_add_i32 s0, s0, s1
	s_lshl_b32 s0, s0, 1
	v_lshlrev_b32_e32 v1, 4, v0
	s_and_b32 s22, s0, -4
	v_cmp_gt_i32_e64 s[2:3], s7, v1
	v_mov_b32_e32 v18, 0
	v_mov_b32_e32 v6, 0
	;; [unrolled: 1-line block ×17, first 2 shown]
	s_and_saveexec_b64 s[0:1], s[2:3]
	s_cbranch_execz .LBB995_3
; %bb.2:
	s_load_dwordx2 s[14:15], s[4:5], 0x28
	s_load_dwordx2 s[20:21], s[4:5], 0x40
	s_and_b64 s[26:27], vcc, exec
	s_cselect_b32 s17, s17, s18
	s_mov_b32 s30, s22
	s_waitcnt lgkmcnt(0)
	s_cselect_b32 s19, s15, s25
	s_cselect_b32 s23, s14, s24
	s_mul_hi_i32 s15, s17, s6
	s_mul_i32 s14, s17, s6
	s_lshl_b64 s[14:15], s[14:15], 1
	s_add_u32 s28, s23, s14
	s_addc_u32 s17, s19, s15
	s_and_b64 s[14:15], vcc, exec
	s_mov_b32 s23, 0x20000
	s_cselect_b32 s20, s20, s8
	s_cselect_b32 s14, s21, s9
	s_and_b32 s29, s17, 0xffff
	s_mov_b32 s31, s23
	v_lshlrev_b32_e32 v19, 5, v0
	s_and_b32 s21, s14, 0xffff
	buffer_load_dwordx4 v[14:17], v19, s[28:31], 0 offen
	buffer_load_dwordx4 v[10:13], v19, s[28:31], 16 offen
	;; [unrolled: 1-line block ×4, first 2 shown]
.LBB995_3:
	s_or_b64 exec, exec, s[0:1]
	v_mov_b32_e32 v19, 0
	v_mov_b32_e32 v22, 0
	;; [unrolled: 1-line block ×15, first 2 shown]
	s_and_saveexec_b64 s[0:1], s[2:3]
	s_cbranch_execz .LBB995_5
; %bb.4:
	s_waitcnt vmcnt(3)
	v_cvt_f32_f16_sdwa v19, v14 dst_sel:DWORD dst_unused:UNUSED_PAD src0_sel:WORD_1
	v_cvt_f32_f16_e32 v18, v14
	v_cvt_f32_f16_sdwa v23, v15 dst_sel:DWORD dst_unused:UNUSED_PAD src0_sel:WORD_1
	v_cvt_f32_f16_e32 v22, v15
	;; [unrolled: 2-line block ×4, first 2 shown]
	s_waitcnt vmcnt(2)
	v_cvt_f32_f16_sdwa v21, v10 dst_sel:DWORD dst_unused:UNUSED_PAD src0_sel:WORD_1
	v_cvt_f32_f16_e32 v20, v10
	v_cvt_f32_f16_sdwa v29, v11 dst_sel:DWORD dst_unused:UNUSED_PAD src0_sel:WORD_1
	v_cvt_f32_f16_e32 v28, v11
	;; [unrolled: 2-line block ×4, first 2 shown]
.LBB995_5:
	s_or_b64 exec, exec, s[0:1]
	s_waitcnt vmcnt(2)
	v_mul_f32_e32 v10, v19, v19
	v_fmac_f32_e32 v10, v18, v18
	v_fmac_f32_e32 v10, v22, v22
	;; [unrolled: 1-line block ×15, first 2 shown]
	v_and_b32_e32 v12, 63, v0
	v_cmp_eq_u32_e64 s[0:1], 63, v12
	v_mov_b32_dpp v11, v10 quad_perm:[1,0,3,2] row_mask:0xf bank_mask:0xf
	v_add_f32_e32 v10, v10, v11
	s_nop 1
	v_mov_b32_dpp v11, v10 quad_perm:[2,3,0,1] row_mask:0xf bank_mask:0xf
	v_add_f32_e32 v10, v10, v11
	s_nop 1
	v_mov_b32_dpp v11, v10 row_half_mirror row_mask:0xf bank_mask:0xf
	v_add_f32_e32 v10, v10, v11
	s_nop 1
	v_mov_b32_dpp v11, v10 row_mirror row_mask:0xf bank_mask:0xf
	v_add_f32_e32 v10, v10, v11
	s_nop 1
	v_mov_b32_dpp v11, v10 row_bcast:15 row_mask:0xf bank_mask:0xf
	v_add_f32_e32 v10, v10, v11
	s_nop 1
	v_mov_b32_dpp v11, v10 row_bcast:31 row_mask:0xf bank_mask:0xf
	s_and_saveexec_b64 s[14:15], s[0:1]
	s_cbranch_execz .LBB995_7
; %bb.6:
	v_add_f32_e32 v10, v10, v11
	v_lshrrev_b32_e32 v11, 4, v0
	v_and_b32_e32 v11, 60, v11
	ds_write_b32 v11, v10 offset:32
.LBB995_7:
	s_or_b64 exec, exec, s[14:15]
	v_and_b32_e32 v10, 7, v0
	v_lshlrev_b32_e32 v34, 2, v10
	s_waitcnt lgkmcnt(0)
	s_barrier
	ds_read_b32 v10, v34 offset:32
	s_load_dwordx2 s[14:15], s[4:5], 0x18
	s_waitcnt lgkmcnt(0)
	v_mov_b32_dpp v11, v10 quad_perm:[1,0,3,2] row_mask:0xf bank_mask:0xf
	v_add_f32_e32 v10, v10, v11
	s_nop 1
	v_mov_b32_dpp v11, v10 quad_perm:[2,3,0,1] row_mask:0xf bank_mask:0xf
	v_add_f32_e32 v10, v10, v11
	s_nop 1
	v_mov_b32_dpp v11, v10 row_half_mirror row_mask:0xf bank_mask:0xf
	s_and_saveexec_b64 s[20:21], s[2:3]
	s_cbranch_execz .LBB995_9
; %bb.8:
	v_cvt_f32_u32_e32 v12, s7
	v_add_f32_e32 v10, v10, v11
	v_mov_b32_e32 v14, s13
	v_mov_b32_e32 v15, s12
	v_div_scale_f32 v11, s[26:27], v12, v12, v10
	v_rcp_f32_e32 v13, v11
	v_cndmask_b32_e32 v14, v14, v15, vcc
	s_mov_b32 s7, 0x800000
	v_fma_f32 v15, -v11, v13, 1.0
	v_fmac_f32_e32 v13, v15, v13
	v_div_scale_f32 v15, vcc, v10, v12, v10
	v_mul_f32_e32 v16, v15, v13
	v_fma_f32 v17, -v11, v16, v15
	v_fmac_f32_e32 v16, v17, v13
	v_fma_f32 v11, -v11, v16, v15
	v_div_fmas_f32 v11, v11, v13, v16
	v_div_fixup_f32 v10, v11, v12, v10
	v_add_f32_e32 v10, v14, v10
	v_mul_f32_e32 v11, 0x4b800000, v10
	v_cmp_gt_f32_e32 vcc, s7, v10
	v_cndmask_b32_e32 v10, v10, v11, vcc
	v_rsq_f32_e32 v10, v10
	v_mul_f32_e32 v11, 0x45800000, v10
	v_cndmask_b32_e32 v10, v10, v11, vcc
	v_mov_b32_e32 v11, v10
	;;#ASMSTART
	v_pk_mul_f32 v[12:13], v[18:19], v[10:11]
	;;#ASMEND
	s_waitcnt vmcnt(1)
	v_cvt_f32_f16_sdwa v19, v6 dst_sel:DWORD dst_unused:UNUSED_PAD src0_sel:WORD_1
	v_cvt_f32_f16_e32 v18, v6
	;;#ASMSTART
	v_pk_mul_f32 v[14:15], v[22:23], v[10:11]
	;;#ASMEND
	v_cvt_f32_f16_sdwa v23, v7 dst_sel:DWORD dst_unused:UNUSED_PAD src0_sel:WORD_1
	v_cvt_f32_f16_e32 v22, v7
	;;#ASMSTART
	v_pk_mul_f32 v[16:17], v[24:25], v[10:11]
	;;#ASMEND
	;;#ASMSTART
	v_pk_mul_f32 v[32:33], v[32:33], v[10:11]
	;;#ASMEND
	;;#ASMSTART
	v_pk_mul_f32 v[20:21], v[20:21], v[10:11]
	;;#ASMEND
	;;#ASMSTART
	v_pk_mul_f32 v[28:29], v[28:29], v[10:11]
	;;#ASMEND
	;;#ASMSTART
	v_pk_mul_f32 v[30:31], v[30:31], v[10:11]
	;;#ASMEND
	;;#ASMSTART
	v_pk_mul_f32 v[6:7], v[26:27], v[10:11]
	;;#ASMEND
	v_pk_add_f32 v[10:11], v[18:19], 1.0 op_sel_hi:[1,0]
	;;#ASMSTART
	v_pk_mul_f32 v[18:19], v[12:13], v[10:11]
	;;#ASMEND
	v_cvt_f32_f16_sdwa v13, v8 dst_sel:DWORD dst_unused:UNUSED_PAD src0_sel:WORD_1
	v_cvt_f32_f16_e32 v12, v8
	v_cvt_f32_f16_sdwa v27, v9 dst_sel:DWORD dst_unused:UNUSED_PAD src0_sel:WORD_1
	v_cvt_f32_f16_e32 v26, v9
	v_pk_add_f32 v[10:11], v[22:23], 1.0 op_sel_hi:[1,0]
	;;#ASMSTART
	v_pk_mul_f32 v[22:23], v[14:15], v[10:11]
	;;#ASMEND
	s_waitcnt vmcnt(0)
	v_cvt_f32_f16_sdwa v11, v2 dst_sel:DWORD dst_unused:UNUSED_PAD src0_sel:WORD_1
	v_cvt_f32_f16_e32 v10, v2
	v_pk_add_f32 v[8:9], v[12:13], 1.0 op_sel_hi:[1,0]
	;;#ASMSTART
	v_pk_mul_f32 v[24:25], v[16:17], v[8:9]
	;;#ASMEND
	v_pk_add_f32 v[8:9], v[26:27], 1.0 op_sel_hi:[1,0]
	v_cvt_f32_f16_sdwa v13, v3 dst_sel:DWORD dst_unused:UNUSED_PAD src0_sel:WORD_1
	v_cvt_f32_f16_e32 v12, v3
	;;#ASMSTART
	v_pk_mul_f32 v[32:33], v[32:33], v[8:9]
	;;#ASMEND
	v_cvt_f32_f16_sdwa v9, v4 dst_sel:DWORD dst_unused:UNUSED_PAD src0_sel:WORD_1
	v_cvt_f32_f16_e32 v8, v4
	v_pk_add_f32 v[2:3], v[10:11], 1.0 op_sel_hi:[1,0]
	v_cvt_f32_f16_sdwa v11, v5 dst_sel:DWORD dst_unused:UNUSED_PAD src0_sel:WORD_1
	v_cvt_f32_f16_e32 v10, v5
	;;#ASMSTART
	v_pk_mul_f32 v[20:21], v[20:21], v[2:3]
	;;#ASMEND
	v_pk_add_f32 v[2:3], v[12:13], 1.0 op_sel_hi:[1,0]
	;;#ASMSTART
	v_pk_mul_f32 v[28:29], v[28:29], v[2:3]
	;;#ASMEND
	v_pk_add_f32 v[2:3], v[8:9], 1.0 op_sel_hi:[1,0]
	;; [unrolled: 4-line block ×3, first 2 shown]
	;;#ASMSTART
	v_pk_mul_f32 v[26:27], v[6:7], v[2:3]
	;;#ASMEND
.LBB995_9:
	s_or_b64 exec, exec, s[20:21]
	s_load_dwordx2 s[26:27], s[4:5], 0x7c
	s_mov_b64 s[20:21], -1
	s_and_b64 vcc, exec, s[10:11]
	s_cbranch_vccnz .LBB995_13
; %bb.10:
	s_andn2_b64 vcc, exec, s[20:21]
	s_cbranch_vccz .LBB995_16
.LBB995_11:
	s_cmp_lt_i32 s16, 1
	s_cbranch_scc0 .LBB995_19
.LBB995_12:
	s_endpgm
.LBB995_13:
	s_and_saveexec_b64 s[10:11], s[2:3]
	s_cbranch_execz .LBB995_15
; %bb.14:
	s_waitcnt lgkmcnt(0)
	s_mul_hi_i32 s21, s27, s6
	s_mul_i32 s20, s27, s6
	s_waitcnt vmcnt(0)
	v_cvt_f16_f32_e32 v2, v18
	v_cvt_f16_f32_e32 v3, v22
	;; [unrolled: 1-line block ×8, first 2 shown]
	s_lshl_b64 s[20:21], s[20:21], 1
	s_add_u32 s20, s14, s20
	s_addc_u32 s7, s15, s21
	s_and_b32 s21, s7, 0xffff
	s_mov_b32 s23, 0x20000
	v_pack_b32_f16 v5, v5, v6
	v_pack_b32_f16 v4, v4, v7
	;; [unrolled: 1-line block ×4, first 2 shown]
	v_lshlrev_b32_e32 v6, 5, v0
	buffer_store_dwordx4 v[2:5], v6, s[20:23], 0 offen
	v_cvt_f16_f32_e32 v7, v27
	v_cvt_f16_f32_e32 v2, v20
	;; [unrolled: 1-line block ×8, first 2 shown]
	v_pack_b32_f16 v5, v5, v7
	v_pack_b32_f16 v4, v4, v8
	;; [unrolled: 1-line block ×4, first 2 shown]
	;;#ASMSTART
	s_nop 0
	;;#ASMEND
	buffer_store_dwordx4 v[2:5], v6, s[20:23], 16 offen
	;;#ASMSTART
	s_nop 0
	;;#ASMEND
.LBB995_15:
	s_or_b64 exec, exec, s[10:11]
	s_cbranch_execnz .LBB995_11
.LBB995_16:
	s_and_saveexec_b64 s[10:11], s[2:3]
	s_cbranch_execz .LBB995_18
; %bb.17:
	s_load_dwordx2 s[2:3], s[4:5], 0x10
	s_waitcnt lgkmcnt(0)
	s_mul_hi_i32 s21, s26, s6
	s_mul_i32 s20, s26, s6
	s_waitcnt vmcnt(0)
	v_cvt_f16_f32_e32 v2, v18
	v_cvt_f16_f32_e32 v3, v22
	;; [unrolled: 1-line block ×8, first 2 shown]
	s_lshl_b64 s[20:21], s[20:21], 1
	s_add_u32 s20, s2, s20
	s_addc_u32 s2, s3, s21
	s_mov_b32 s23, 0x20000
	s_and_b32 s21, s2, 0xffff
	v_pack_b32_f16 v5, v5, v6
	v_pack_b32_f16 v4, v4, v7
	;; [unrolled: 1-line block ×4, first 2 shown]
	v_lshlrev_b32_e32 v6, 5, v0
	buffer_store_dwordx4 v[2:5], v6, s[20:23], 0 offen
	v_cvt_f16_f32_e32 v7, v27
	v_cvt_f16_f32_e32 v2, v20
	v_cvt_f16_f32_e32 v3, v28
	v_cvt_f16_f32_e32 v4, v30
	v_cvt_f16_f32_e32 v5, v26
	v_cvt_f16_f32_e32 v8, v31
	v_cvt_f16_f32_e32 v9, v29
	v_cvt_f16_f32_e32 v10, v21
	v_pack_b32_f16 v5, v5, v7
	v_pack_b32_f16 v4, v4, v8
	;; [unrolled: 1-line block ×4, first 2 shown]
	;;#ASMSTART
	s_nop 0
	;;#ASMEND
	buffer_store_dwordx4 v[2:5], v6, s[20:23], 16 offen
	;;#ASMSTART
	s_nop 0
	;;#ASMEND
.LBB995_18:
	s_or_b64 exec, exec, s[10:11]
	s_cmp_lt_i32 s16, 1
	s_cbranch_scc1 .LBB995_12
.LBB995_19:
	s_load_dword s2, s[4:5], 0x94
	s_waitcnt lgkmcnt(0)
	s_cmp_lg_u32 s2, 1
	s_cbranch_scc1 .LBB995_12
; %bb.20:
	s_lshl_b32 s2, s16, 1
	s_add_i32 s2, s2, 2
	v_cmp_gt_u32_e32 vcc, s16, v1
	s_and_b32 s10, s2, -4
	v_mov_b32_e32 v18, 0
	v_lshlrev_b32_e32 v1, 5, v0
	v_mov_b32_e32 v14, 0
	v_mov_b32_e32 v15, 0
	;; [unrolled: 1-line block ×8, first 2 shown]
	s_waitcnt vmcnt(1)
	v_mov_b32_e32 v6, 0
	v_mov_b32_e32 v7, 0
	;; [unrolled: 1-line block ×4, first 2 shown]
	s_waitcnt vmcnt(0)
	v_mov_b32_e32 v2, 0
	v_mov_b32_e32 v3, 0
	;; [unrolled: 1-line block ×4, first 2 shown]
	s_barrier
	s_and_saveexec_b64 s[2:3], vcc
	s_cbranch_execz .LBB995_22
; %bb.21:
	s_mul_hi_i32 s5, s18, s6
	s_mul_i32 s4, s18, s6
	s_and_b32 s9, s9, 0xffff
	s_lshl_b64 s[4:5], s[4:5], 1
	s_add_u32 s20, s24, s4
	s_mov_b32 s11, 0x20000
	s_addc_u32 s4, s25, s5
	s_and_b32 s21, s4, 0xffff
	s_mov_b32 s22, s10
	s_mov_b32 s23, s11
	buffer_load_dwordx4 v[14:17], v1, s[20:23], 0 offen
	buffer_load_dwordx4 v[10:13], v1, s[20:23], 16 offen
	;; [unrolled: 1-line block ×4, first 2 shown]
.LBB995_22:
	s_or_b64 exec, exec, s[2:3]
	v_mov_b32_e32 v19, 0
	v_mov_b32_e32 v32, 0
	;; [unrolled: 1-line block ×15, first 2 shown]
	s_and_saveexec_b64 s[2:3], vcc
	s_cbranch_execz .LBB995_24
; %bb.23:
	s_waitcnt vmcnt(3)
	v_cvt_f32_f16_sdwa v19, v14 dst_sel:DWORD dst_unused:UNUSED_PAD src0_sel:WORD_1
	v_cvt_f32_f16_e32 v18, v14
	v_cvt_f32_f16_sdwa v33, v15 dst_sel:DWORD dst_unused:UNUSED_PAD src0_sel:WORD_1
	v_cvt_f32_f16_e32 v32, v15
	;; [unrolled: 2-line block ×4, first 2 shown]
	s_waitcnt vmcnt(2)
	v_cvt_f32_f16_sdwa v27, v10 dst_sel:DWORD dst_unused:UNUSED_PAD src0_sel:WORD_1
	v_cvt_f32_f16_e32 v26, v10
	v_cvt_f32_f16_sdwa v25, v11 dst_sel:DWORD dst_unused:UNUSED_PAD src0_sel:WORD_1
	v_cvt_f32_f16_e32 v24, v11
	;; [unrolled: 2-line block ×4, first 2 shown]
.LBB995_24:
	s_or_b64 exec, exec, s[2:3]
	s_waitcnt vmcnt(2)
	v_mul_f32_e32 v10, v19, v19
	v_fmac_f32_e32 v10, v18, v18
	v_fmac_f32_e32 v10, v32, v32
	;; [unrolled: 1-line block ×15, first 2 shown]
	s_nop 1
	v_mov_b32_dpp v11, v10 quad_perm:[1,0,3,2] row_mask:0xf bank_mask:0xf
	v_add_f32_e32 v10, v10, v11
	s_nop 1
	v_mov_b32_dpp v11, v10 quad_perm:[2,3,0,1] row_mask:0xf bank_mask:0xf
	v_add_f32_e32 v10, v10, v11
	s_nop 1
	v_mov_b32_dpp v11, v10 row_half_mirror row_mask:0xf bank_mask:0xf
	v_add_f32_e32 v10, v10, v11
	s_nop 1
	v_mov_b32_dpp v11, v10 row_mirror row_mask:0xf bank_mask:0xf
	v_add_f32_e32 v10, v10, v11
	s_nop 1
	v_mov_b32_dpp v11, v10 row_bcast:15 row_mask:0xf bank_mask:0xf
	v_add_f32_e32 v10, v10, v11
	s_nop 1
	v_mov_b32_dpp v11, v10 row_bcast:31 row_mask:0xf bank_mask:0xf
	s_and_saveexec_b64 s[2:3], s[0:1]
	s_cbranch_execz .LBB995_26
; %bb.25:
	v_lshrrev_b32_e32 v0, 4, v0
	v_add_f32_e32 v10, v10, v11
	v_and_b32_e32 v0, 60, v0
	ds_write_b32 v0, v10
.LBB995_26:
	s_or_b64 exec, exec, s[2:3]
	s_waitcnt lgkmcnt(0)
	s_barrier
	ds_read_b32 v0, v34
	s_waitcnt lgkmcnt(0)
	s_nop 0
	v_mov_b32_dpp v10, v0 quad_perm:[1,0,3,2] row_mask:0xf bank_mask:0xf
	v_add_f32_e32 v0, v0, v10
	s_nop 1
	v_mov_b32_dpp v10, v0 quad_perm:[2,3,0,1] row_mask:0xf bank_mask:0xf
	v_add_f32_e32 v0, v0, v10
	s_nop 1
	v_mov_b32_dpp v10, v0 row_half_mirror row_mask:0xf bank_mask:0xf
	s_and_saveexec_b64 s[0:1], vcc
	s_cbranch_execz .LBB995_12
; %bb.27:
	v_cvt_f32_u32_e32 v11, s16
	v_add_f32_e32 v0, v0, v10
	s_mov_b32 s11, 0x20000
	v_div_scale_f32 v10, s[0:1], v11, v11, v0
	v_rcp_f32_e32 v12, v10
	v_div_scale_f32 v13, vcc, v0, v11, v0
	s_mov_b32 s0, 0x800000
	v_fma_f32 v14, -v10, v12, 1.0
	v_fmac_f32_e32 v12, v14, v12
	v_mul_f32_e32 v14, v13, v12
	v_fma_f32 v15, -v10, v14, v13
	v_fmac_f32_e32 v14, v15, v12
	v_fma_f32 v10, -v10, v14, v13
	v_div_fmas_f32 v10, v10, v12, v14
	v_div_fixup_f32 v0, v10, v11, v0
	v_add_f32_e32 v0, s13, v0
	v_mul_f32_e32 v10, 0x4b800000, v0
	v_cmp_gt_f32_e32 vcc, s0, v0
	v_cndmask_b32_e32 v0, v0, v10, vcc
	v_rsq_f32_e32 v0, v0
	s_mul_hi_i32 s1, s27, s6
	s_mul_i32 s0, s27, s6
	s_lshl_b64 s[0:1], s[0:1], 1
	v_mul_f32_e32 v10, 0x45800000, v0
	v_cndmask_b32_e32 v10, v0, v10, vcc
	v_mov_b32_e32 v11, v10
	;;#ASMSTART
	v_pk_mul_f32 v[12:13], v[18:19], v[10:11]
	;;#ASMEND
	;;#ASMSTART
	v_pk_mul_f32 v[14:15], v[32:33], v[10:11]
	;;#ASMEND
	;; [unrolled: 3-line block ×4, first 2 shown]
	s_waitcnt vmcnt(1)
	v_cvt_f32_f16_sdwa v29, v6 dst_sel:DWORD dst_unused:UNUSED_PAD src0_sel:WORD_1
	v_cvt_f32_f16_e32 v28, v6
	v_cvt_f32_f16_sdwa v31, v7 dst_sel:DWORD dst_unused:UNUSED_PAD src0_sel:WORD_1
	v_cvt_f32_f16_e32 v30, v7
	;;#ASMSTART
	v_pk_mul_f32 v[26:27], v[26:27], v[10:11]
	;;#ASMEND
	;;#ASMSTART
	v_pk_mul_f32 v[24:25], v[24:25], v[10:11]
	;;#ASMEND
	;; [unrolled: 3-line block ×4, first 2 shown]
	v_cvt_f32_f16_sdwa v21, v8 dst_sel:DWORD dst_unused:UNUSED_PAD src0_sel:WORD_1
	v_cvt_f32_f16_e32 v20, v8
	v_pk_add_f32 v[10:11], v[28:29], 1.0 op_sel_hi:[1,0]
	;;#ASMSTART
	v_pk_mul_f32 v[10:11], v[12:13], v[10:11]
	;;#ASMEND
	v_pk_add_f32 v[12:13], v[30:31], 1.0 op_sel_hi:[1,0]
	v_cvt_f32_f16_sdwa v29, v9 dst_sel:DWORD dst_unused:UNUSED_PAD src0_sel:WORD_1
	v_cvt_f32_f16_e32 v28, v9
	;;#ASMSTART
	v_pk_mul_f32 v[8:9], v[14:15], v[12:13]
	;;#ASMEND
	v_pk_add_f32 v[12:13], v[20:21], 1.0 op_sel_hi:[1,0]
	;;#ASMSTART
	v_pk_mul_f32 v[12:13], v[16:17], v[12:13]
	;;#ASMEND
	s_waitcnt vmcnt(0)
	v_cvt_f32_f16_sdwa v17, v2 dst_sel:DWORD dst_unused:UNUSED_PAD src0_sel:WORD_1
	v_cvt_f32_f16_e32 v16, v2
	v_cvt_f32_f16_sdwa v21, v3 dst_sel:DWORD dst_unused:UNUSED_PAD src0_sel:WORD_1
	v_cvt_f32_f16_e32 v20, v3
	v_pk_add_f32 v[14:15], v[28:29], 1.0 op_sel_hi:[1,0]
	;;#ASMSTART
	v_pk_mul_f32 v[2:3], v[18:19], v[14:15]
	;;#ASMEND
	v_cvt_f32_f16_sdwa v19, v4 dst_sel:DWORD dst_unused:UNUSED_PAD src0_sel:WORD_1
	v_cvt_f32_f16_e32 v18, v4
	v_pk_add_f32 v[14:15], v[16:17], 1.0 op_sel_hi:[1,0]
	v_pk_add_f32 v[16:17], v[20:21], 1.0 op_sel_hi:[1,0]
	v_cvt_f32_f16_sdwa v21, v5 dst_sel:DWORD dst_unused:UNUSED_PAD src0_sel:WORD_1
	v_cvt_f32_f16_e32 v20, v5
	v_pk_add_f32 v[4:5], v[18:19], 1.0 op_sel_hi:[1,0]
	;;#ASMSTART
	v_pk_mul_f32 v[14:15], v[26:27], v[14:15]
	;;#ASMEND
	;;#ASMSTART
	v_pk_mul_f32 v[16:17], v[24:25], v[16:17]
	;;#ASMEND
	;; [unrolled: 3-line block ×3, first 2 shown]
	v_pk_add_f32 v[4:5], v[20:21], 1.0 op_sel_hi:[1,0]
	;;#ASMSTART
	v_pk_mul_f32 v[6:7], v[6:7], v[4:5]
	;;#ASMEND
	v_cvt_f16_f32_e32 v0, v10
	v_cvt_f16_f32_e32 v4, v11
	;; [unrolled: 1-line block ×8, first 2 shown]
	s_add_u32 s8, s14, s0
	s_addc_u32 s0, s15, s1
	s_and_b32 s9, s0, 0xffff
	v_pack_b32_f16 v2, v0, v4
	v_pack_b32_f16 v3, v5, v8
	;; [unrolled: 1-line block ×4, first 2 shown]
	buffer_store_dwordx4 v[2:5], v1, s[8:11], 0 offen
	v_cvt_f16_f32_e32 v0, v14
	v_cvt_f16_f32_e32 v2, v15
	;; [unrolled: 1-line block ×8, first 2 shown]
	v_pack_b32_f16 v2, v0, v2
	v_pack_b32_f16 v3, v3, v4
	;; [unrolled: 1-line block ×4, first 2 shown]
	;;#ASMSTART
	s_nop 0
	;;#ASMEND
	buffer_store_dwordx4 v[2:5], v1, s[8:11], 16 offen
	;;#ASMSTART
	s_nop 0
	;;#ASMEND
	s_endpgm
	.section	.rodata,"a",@progbits
	.p2align	6, 0x0
	.amdhsa_kernel _ZN5aiter35fused_qk_rmsnorm_group_quant_kernelIDF16_N4opus5fp4_tELi512ELi16ELi2ELb0ELb1ELb1ELb1ELb0ELb0EEEvPT0_PvPT_S7_S7_PKS6_S9_S9_S9_S9_ffiiiiiiiiiiiii
		.amdhsa_group_segment_fixed_size 64
		.amdhsa_private_segment_fixed_size 0
		.amdhsa_kernarg_size 400
		.amdhsa_user_sgpr_count 6
		.amdhsa_user_sgpr_private_segment_buffer 1
		.amdhsa_user_sgpr_dispatch_ptr 0
		.amdhsa_user_sgpr_queue_ptr 0
		.amdhsa_user_sgpr_kernarg_segment_ptr 1
		.amdhsa_user_sgpr_dispatch_id 0
		.amdhsa_user_sgpr_flat_scratch_init 0
		.amdhsa_user_sgpr_kernarg_preload_length 0
		.amdhsa_user_sgpr_kernarg_preload_offset 0
		.amdhsa_user_sgpr_private_segment_size 0
		.amdhsa_uses_dynamic_stack 0
		.amdhsa_system_sgpr_private_segment_wavefront_offset 0
		.amdhsa_system_sgpr_workgroup_id_x 1
		.amdhsa_system_sgpr_workgroup_id_y 1
		.amdhsa_system_sgpr_workgroup_id_z 0
		.amdhsa_system_sgpr_workgroup_info 0
		.amdhsa_system_vgpr_workitem_id 0
		.amdhsa_next_free_vgpr 35
		.amdhsa_next_free_sgpr 32
		.amdhsa_accum_offset 36
		.amdhsa_reserve_vcc 1
		.amdhsa_reserve_flat_scratch 0
		.amdhsa_float_round_mode_32 0
		.amdhsa_float_round_mode_16_64 0
		.amdhsa_float_denorm_mode_32 3
		.amdhsa_float_denorm_mode_16_64 3
		.amdhsa_dx10_clamp 1
		.amdhsa_ieee_mode 1
		.amdhsa_fp16_overflow 0
		.amdhsa_tg_split 0
		.amdhsa_exception_fp_ieee_invalid_op 0
		.amdhsa_exception_fp_denorm_src 0
		.amdhsa_exception_fp_ieee_div_zero 0
		.amdhsa_exception_fp_ieee_overflow 0
		.amdhsa_exception_fp_ieee_underflow 0
		.amdhsa_exception_fp_ieee_inexact 0
		.amdhsa_exception_int_div_zero 0
	.end_amdhsa_kernel
	.section	.text._ZN5aiter35fused_qk_rmsnorm_group_quant_kernelIDF16_N4opus5fp4_tELi512ELi16ELi2ELb0ELb1ELb1ELb1ELb0ELb0EEEvPT0_PvPT_S7_S7_PKS6_S9_S9_S9_S9_ffiiiiiiiiiiiii,"axG",@progbits,_ZN5aiter35fused_qk_rmsnorm_group_quant_kernelIDF16_N4opus5fp4_tELi512ELi16ELi2ELb0ELb1ELb1ELb1ELb0ELb0EEEvPT0_PvPT_S7_S7_PKS6_S9_S9_S9_S9_ffiiiiiiiiiiiii,comdat
.Lfunc_end995:
	.size	_ZN5aiter35fused_qk_rmsnorm_group_quant_kernelIDF16_N4opus5fp4_tELi512ELi16ELi2ELb0ELb1ELb1ELb1ELb0ELb0EEEvPT0_PvPT_S7_S7_PKS6_S9_S9_S9_S9_ffiiiiiiiiiiiii, .Lfunc_end995-_ZN5aiter35fused_qk_rmsnorm_group_quant_kernelIDF16_N4opus5fp4_tELi512ELi16ELi2ELb0ELb1ELb1ELb1ELb0ELb0EEEvPT0_PvPT_S7_S7_PKS6_S9_S9_S9_S9_ffiiiiiiiiiiiii
                                        ; -- End function
	.section	.AMDGPU.csdata,"",@progbits
; Kernel info:
; codeLenInByte = 3000
; NumSgprs: 36
; NumVgprs: 35
; NumAgprs: 0
; TotalNumVgprs: 35
; ScratchSize: 0
; MemoryBound: 0
; FloatMode: 240
; IeeeMode: 1
; LDSByteSize: 64 bytes/workgroup (compile time only)
; SGPRBlocks: 4
; VGPRBlocks: 4
; NumSGPRsForWavesPerEU: 36
; NumVGPRsForWavesPerEU: 35
; AccumOffset: 36
; Occupancy: 8
; WaveLimiterHint : 0
; COMPUTE_PGM_RSRC2:SCRATCH_EN: 0
; COMPUTE_PGM_RSRC2:USER_SGPR: 6
; COMPUTE_PGM_RSRC2:TRAP_HANDLER: 0
; COMPUTE_PGM_RSRC2:TGID_X_EN: 1
; COMPUTE_PGM_RSRC2:TGID_Y_EN: 1
; COMPUTE_PGM_RSRC2:TGID_Z_EN: 0
; COMPUTE_PGM_RSRC2:TIDIG_COMP_CNT: 0
; COMPUTE_PGM_RSRC3_GFX90A:ACCUM_OFFSET: 8
; COMPUTE_PGM_RSRC3_GFX90A:TG_SPLIT: 0
	.section	.text._ZN5aiter35fused_qk_rmsnorm_group_quant_kernelItN4opus5fp4_tELi512ELi16ELi2ELb0ELb1ELb1ELb1ELb0ELb0EEEvPT0_PvPT_S7_S7_PKS6_S9_S9_S9_S9_ffiiiiiiiiiiiii,"axG",@progbits,_ZN5aiter35fused_qk_rmsnorm_group_quant_kernelItN4opus5fp4_tELi512ELi16ELi2ELb0ELb1ELb1ELb1ELb0ELb0EEEvPT0_PvPT_S7_S7_PKS6_S9_S9_S9_S9_ffiiiiiiiiiiiii,comdat
	.protected	_ZN5aiter35fused_qk_rmsnorm_group_quant_kernelItN4opus5fp4_tELi512ELi16ELi2ELb0ELb1ELb1ELb1ELb0ELb0EEEvPT0_PvPT_S7_S7_PKS6_S9_S9_S9_S9_ffiiiiiiiiiiiii ; -- Begin function _ZN5aiter35fused_qk_rmsnorm_group_quant_kernelItN4opus5fp4_tELi512ELi16ELi2ELb0ELb1ELb1ELb1ELb0ELb0EEEvPT0_PvPT_S7_S7_PKS6_S9_S9_S9_S9_ffiiiiiiiiiiiii
	.globl	_ZN5aiter35fused_qk_rmsnorm_group_quant_kernelItN4opus5fp4_tELi512ELi16ELi2ELb0ELb1ELb1ELb1ELb0ELb0EEEvPT0_PvPT_S7_S7_PKS6_S9_S9_S9_S9_ffiiiiiiiiiiiii
	.p2align	8
	.type	_ZN5aiter35fused_qk_rmsnorm_group_quant_kernelItN4opus5fp4_tELi512ELi16ELi2ELb0ELb1ELb1ELb1ELb0ELb0EEEvPT0_PvPT_S7_S7_PKS6_S9_S9_S9_S9_ffiiiiiiiiiiiii,@function
_ZN5aiter35fused_qk_rmsnorm_group_quant_kernelItN4opus5fp4_tELi512ELi16ELi2ELb0ELb1ELb1ELb1ELb0ELb0EEEvPT0_PvPT_S7_S7_PKS6_S9_S9_S9_S9_ffiiiiiiiiiiiii: ; @_ZN5aiter35fused_qk_rmsnorm_group_quant_kernelItN4opus5fp4_tELi512ELi16ELi2ELb0ELb1ELb1ELb1ELb0ELb0EEEvPT0_PvPT_S7_S7_PKS6_S9_S9_S9_S9_ffiiiiiiiiiiiii
; %bb.0:
	s_load_dwordx4 s[12:15], s[4:5], 0x50
	s_waitcnt lgkmcnt(0)
	s_cmp_ge_i32 s6, s14
	s_cbranch_scc1 .LBB996_12
; %bb.1:
	s_load_dwordx2 s[24:25], s[4:5], 0x30
	s_load_dwordx2 s[8:9], s[4:5], 0x48
	s_load_dwordx4 s[16:19], s[4:5], 0x60
	s_cmp_lg_u32 s7, 0
	s_cselect_b64 s[10:11], -1, 0
	s_cmp_eq_u32 s7, 0
	s_cselect_b64 vcc, -1, 0
	s_and_b64 s[0:1], vcc, exec
	s_waitcnt lgkmcnt(0)
	s_cselect_b32 s7, s15, s16
	s_add_i32 s0, s7, 1
	s_lshr_b32 s1, s0, 31
	s_add_i32 s0, s0, s1
	s_lshl_b32 s0, s0, 1
	v_lshlrev_b32_e32 v1, 4, v0
	s_and_b32 s22, s0, -4
	v_cmp_gt_i32_e64 s[2:3], s7, v1
	v_mov_b32_e32 v18, 0
	v_mov_b32_e32 v6, 0
	;; [unrolled: 1-line block ×17, first 2 shown]
	s_and_saveexec_b64 s[0:1], s[2:3]
	s_cbranch_execz .LBB996_3
; %bb.2:
	s_load_dwordx2 s[14:15], s[4:5], 0x28
	s_load_dwordx2 s[20:21], s[4:5], 0x40
	s_and_b64 s[26:27], vcc, exec
	s_cselect_b32 s17, s17, s18
	s_mov_b32 s30, s22
	s_waitcnt lgkmcnt(0)
	s_cselect_b32 s19, s15, s25
	s_cselect_b32 s23, s14, s24
	s_mul_hi_i32 s15, s17, s6
	s_mul_i32 s14, s17, s6
	s_lshl_b64 s[14:15], s[14:15], 1
	s_add_u32 s28, s23, s14
	s_addc_u32 s17, s19, s15
	s_and_b64 s[14:15], vcc, exec
	s_mov_b32 s23, 0x20000
	s_cselect_b32 s20, s20, s8
	s_cselect_b32 s14, s21, s9
	s_and_b32 s29, s17, 0xffff
	s_mov_b32 s31, s23
	v_lshlrev_b32_e32 v19, 5, v0
	s_and_b32 s21, s14, 0xffff
	buffer_load_dwordx4 v[14:17], v19, s[28:31], 0 offen
	buffer_load_dwordx4 v[10:13], v19, s[28:31], 16 offen
	;; [unrolled: 1-line block ×4, first 2 shown]
.LBB996_3:
	s_or_b64 exec, exec, s[0:1]
	v_mov_b32_e32 v19, 0
	v_mov_b32_e32 v20, 0
	;; [unrolled: 1-line block ×15, first 2 shown]
	s_and_saveexec_b64 s[0:1], s[2:3]
	s_cbranch_execz .LBB996_5
; %bb.4:
	s_waitcnt vmcnt(3)
	v_cvt_f32_u32_sdwa v18, v14 dst_sel:DWORD dst_unused:UNUSED_PAD src0_sel:WORD_0
	v_cvt_f32_u32_sdwa v19, v14 dst_sel:DWORD dst_unused:UNUSED_PAD src0_sel:WORD_1
	v_cvt_f32_u32_sdwa v20, v15 dst_sel:DWORD dst_unused:UNUSED_PAD src0_sel:WORD_0
	v_cvt_f32_u32_sdwa v21, v15 dst_sel:DWORD dst_unused:UNUSED_PAD src0_sel:WORD_1
	;; [unrolled: 2-line block ×4, first 2 shown]
	s_waitcnt vmcnt(2)
	v_cvt_f32_u32_sdwa v24, v10 dst_sel:DWORD dst_unused:UNUSED_PAD src0_sel:WORD_0
	v_cvt_f32_u32_sdwa v25, v10 dst_sel:DWORD dst_unused:UNUSED_PAD src0_sel:WORD_1
	v_cvt_f32_u32_sdwa v30, v11 dst_sel:DWORD dst_unused:UNUSED_PAD src0_sel:WORD_0
	v_cvt_f32_u32_sdwa v31, v11 dst_sel:DWORD dst_unused:UNUSED_PAD src0_sel:WORD_1
	;; [unrolled: 2-line block ×4, first 2 shown]
.LBB996_5:
	s_or_b64 exec, exec, s[0:1]
	s_waitcnt vmcnt(2)
	v_mul_f32_e32 v10, v19, v19
	v_fmac_f32_e32 v10, v18, v18
	v_fmac_f32_e32 v10, v20, v20
	;; [unrolled: 1-line block ×15, first 2 shown]
	v_and_b32_e32 v12, 63, v0
	v_cmp_eq_u32_e64 s[0:1], 63, v12
	v_mov_b32_dpp v11, v10 quad_perm:[1,0,3,2] row_mask:0xf bank_mask:0xf
	v_add_f32_e32 v10, v10, v11
	s_nop 1
	v_mov_b32_dpp v11, v10 quad_perm:[2,3,0,1] row_mask:0xf bank_mask:0xf
	v_add_f32_e32 v10, v10, v11
	s_nop 1
	v_mov_b32_dpp v11, v10 row_half_mirror row_mask:0xf bank_mask:0xf
	v_add_f32_e32 v10, v10, v11
	s_nop 1
	v_mov_b32_dpp v11, v10 row_mirror row_mask:0xf bank_mask:0xf
	v_add_f32_e32 v10, v10, v11
	s_nop 1
	v_mov_b32_dpp v11, v10 row_bcast:15 row_mask:0xf bank_mask:0xf
	v_add_f32_e32 v10, v10, v11
	s_nop 1
	v_mov_b32_dpp v11, v10 row_bcast:31 row_mask:0xf bank_mask:0xf
	s_and_saveexec_b64 s[14:15], s[0:1]
	s_cbranch_execz .LBB996_7
; %bb.6:
	v_add_f32_e32 v10, v10, v11
	v_lshrrev_b32_e32 v11, 4, v0
	v_and_b32_e32 v11, 60, v11
	ds_write_b32 v11, v10 offset:32
.LBB996_7:
	s_or_b64 exec, exec, s[14:15]
	v_and_b32_e32 v10, 7, v0
	v_lshlrev_b32_e32 v34, 2, v10
	s_waitcnt lgkmcnt(0)
	s_barrier
	ds_read_b32 v10, v34 offset:32
	s_load_dwordx2 s[14:15], s[4:5], 0x18
	s_waitcnt lgkmcnt(0)
	v_mov_b32_dpp v11, v10 quad_perm:[1,0,3,2] row_mask:0xf bank_mask:0xf
	v_add_f32_e32 v10, v10, v11
	s_nop 1
	v_mov_b32_dpp v11, v10 quad_perm:[2,3,0,1] row_mask:0xf bank_mask:0xf
	v_add_f32_e32 v10, v10, v11
	s_nop 1
	v_mov_b32_dpp v11, v10 row_half_mirror row_mask:0xf bank_mask:0xf
	s_and_saveexec_b64 s[20:21], s[2:3]
	s_cbranch_execz .LBB996_9
; %bb.8:
	v_cvt_f32_u32_e32 v12, s7
	v_add_f32_e32 v10, v10, v11
	v_mov_b32_e32 v14, s13
	v_mov_b32_e32 v15, s12
	v_div_scale_f32 v11, s[26:27], v12, v12, v10
	v_rcp_f32_e32 v13, v11
	v_cndmask_b32_e32 v14, v14, v15, vcc
	s_mov_b32 s7, 0x800000
	v_fma_f32 v15, -v11, v13, 1.0
	v_fmac_f32_e32 v13, v15, v13
	v_div_scale_f32 v15, vcc, v10, v12, v10
	v_mul_f32_e32 v16, v15, v13
	v_fma_f32 v17, -v11, v16, v15
	v_fmac_f32_e32 v16, v17, v13
	v_fma_f32 v11, -v11, v16, v15
	v_div_fmas_f32 v11, v11, v13, v16
	v_div_fixup_f32 v10, v11, v12, v10
	v_add_f32_e32 v10, v14, v10
	v_mul_f32_e32 v11, 0x4b800000, v10
	v_cmp_gt_f32_e32 vcc, s7, v10
	v_cndmask_b32_e32 v10, v10, v11, vcc
	v_rsq_f32_e32 v10, v10
	v_mul_f32_e32 v11, 0x45800000, v10
	v_cndmask_b32_e32 v10, v10, v11, vcc
	v_mov_b32_e32 v11, v10
	;;#ASMSTART
	v_pk_mul_f32 v[12:13], v[18:19], v[10:11]
	;;#ASMEND
	s_waitcnt vmcnt(1)
	v_cvt_f32_u32_sdwa v19, v6 dst_sel:DWORD dst_unused:UNUSED_PAD src0_sel:WORD_1
	v_cvt_f32_u32_sdwa v18, v6 dst_sel:DWORD dst_unused:UNUSED_PAD src0_sel:WORD_0
	;;#ASMSTART
	v_pk_mul_f32 v[14:15], v[20:21], v[10:11]
	;;#ASMEND
	v_cvt_f32_u32_sdwa v21, v7 dst_sel:DWORD dst_unused:UNUSED_PAD src0_sel:WORD_1
	v_cvt_f32_u32_sdwa v20, v7 dst_sel:DWORD dst_unused:UNUSED_PAD src0_sel:WORD_0
	;;#ASMSTART
	v_pk_mul_f32 v[16:17], v[22:23], v[10:11]
	;;#ASMEND
	;;#ASMSTART
	v_pk_mul_f32 v[26:27], v[26:27], v[10:11]
	;;#ASMEND
	;; [unrolled: 3-line block ×6, first 2 shown]
	v_pk_add_f32 v[10:11], v[18:19], 1.0 op_sel_hi:[1,0]
	;;#ASMSTART
	v_pk_mul_f32 v[18:19], v[12:13], v[10:11]
	;;#ASMEND
	v_cvt_f32_u32_sdwa v13, v8 dst_sel:DWORD dst_unused:UNUSED_PAD src0_sel:WORD_1
	v_cvt_f32_u32_sdwa v12, v8 dst_sel:DWORD dst_unused:UNUSED_PAD src0_sel:WORD_0
	v_cvt_f32_u32_sdwa v29, v9 dst_sel:DWORD dst_unused:UNUSED_PAD src0_sel:WORD_1
	v_cvt_f32_u32_sdwa v28, v9 dst_sel:DWORD dst_unused:UNUSED_PAD src0_sel:WORD_0
	v_pk_add_f32 v[10:11], v[20:21], 1.0 op_sel_hi:[1,0]
	;;#ASMSTART
	v_pk_mul_f32 v[20:21], v[14:15], v[10:11]
	;;#ASMEND
	s_waitcnt vmcnt(0)
	v_cvt_f32_u32_sdwa v11, v2 dst_sel:DWORD dst_unused:UNUSED_PAD src0_sel:WORD_1
	v_cvt_f32_u32_sdwa v10, v2 dst_sel:DWORD dst_unused:UNUSED_PAD src0_sel:WORD_0
	v_pk_add_f32 v[8:9], v[12:13], 1.0 op_sel_hi:[1,0]
	;;#ASMSTART
	v_pk_mul_f32 v[22:23], v[16:17], v[8:9]
	;;#ASMEND
	v_pk_add_f32 v[8:9], v[28:29], 1.0 op_sel_hi:[1,0]
	v_cvt_f32_u32_sdwa v13, v3 dst_sel:DWORD dst_unused:UNUSED_PAD src0_sel:WORD_1
	v_cvt_f32_u32_sdwa v12, v3 dst_sel:DWORD dst_unused:UNUSED_PAD src0_sel:WORD_0
	;;#ASMSTART
	v_pk_mul_f32 v[26:27], v[26:27], v[8:9]
	;;#ASMEND
	v_cvt_f32_u32_sdwa v9, v4 dst_sel:DWORD dst_unused:UNUSED_PAD src0_sel:WORD_1
	v_cvt_f32_u32_sdwa v8, v4 dst_sel:DWORD dst_unused:UNUSED_PAD src0_sel:WORD_0
	v_pk_add_f32 v[2:3], v[10:11], 1.0 op_sel_hi:[1,0]
	v_cvt_f32_u32_sdwa v11, v5 dst_sel:DWORD dst_unused:UNUSED_PAD src0_sel:WORD_1
	v_cvt_f32_u32_sdwa v10, v5 dst_sel:DWORD dst_unused:UNUSED_PAD src0_sel:WORD_0
	;;#ASMSTART
	v_pk_mul_f32 v[24:25], v[24:25], v[2:3]
	;;#ASMEND
	v_pk_add_f32 v[2:3], v[12:13], 1.0 op_sel_hi:[1,0]
	;;#ASMSTART
	v_pk_mul_f32 v[30:31], v[30:31], v[2:3]
	;;#ASMEND
	v_pk_add_f32 v[2:3], v[8:9], 1.0 op_sel_hi:[1,0]
	;; [unrolled: 4-line block ×3, first 2 shown]
	;;#ASMSTART
	v_pk_mul_f32 v[28:29], v[6:7], v[2:3]
	;;#ASMEND
.LBB996_9:
	s_or_b64 exec, exec, s[20:21]
	s_load_dwordx2 s[26:27], s[4:5], 0x7c
	s_mov_b64 s[20:21], -1
	s_and_b64 vcc, exec, s[10:11]
	s_cbranch_vccnz .LBB996_13
; %bb.10:
	s_andn2_b64 vcc, exec, s[20:21]
	s_cbranch_vccz .LBB996_16
.LBB996_11:
	s_cmp_lt_i32 s16, 1
	s_cbranch_scc0 .LBB996_19
.LBB996_12:
	s_endpgm
.LBB996_13:
	s_and_saveexec_b64 s[10:11], s[2:3]
	s_cbranch_execz .LBB996_15
; %bb.14:
	s_waitcnt lgkmcnt(0)
	s_mul_hi_i32 s21, s27, s6
	s_mul_i32 s20, s27, s6
	s_lshl_b64 s[20:21], s[20:21], 1
	s_add_u32 s20, s14, s20
	s_addc_u32 s7, s15, s21
	s_and_b32 s21, s7, 0xffff
	s_mov_b32 s7, 0x7060302
	s_mov_b32 s23, 0x20000
	s_waitcnt vmcnt(0)
	v_perm_b32 v5, v27, v26, s7
	v_perm_b32 v4, v23, v22, s7
	;; [unrolled: 1-line block ×4, first 2 shown]
	v_lshlrev_b32_e32 v6, 5, v0
	buffer_store_dwordx4 v[2:5], v6, s[20:23], 0 offen
	;;#ASMSTART
	s_nop 0
	;;#ASMEND
	s_nop 0
	v_perm_b32 v5, v29, v28, s7
	v_perm_b32 v4, v33, v32, s7
	;; [unrolled: 1-line block ×4, first 2 shown]
	buffer_store_dwordx4 v[2:5], v6, s[20:23], 16 offen
	;;#ASMSTART
	s_nop 0
	;;#ASMEND
.LBB996_15:
	s_or_b64 exec, exec, s[10:11]
	s_cbranch_execnz .LBB996_11
.LBB996_16:
	s_and_saveexec_b64 s[10:11], s[2:3]
	s_cbranch_execz .LBB996_18
; %bb.17:
	s_load_dwordx2 s[2:3], s[4:5], 0x10
	s_waitcnt lgkmcnt(0)
	s_mul_hi_i32 s21, s26, s6
	s_mul_i32 s20, s26, s6
	s_lshl_b64 s[20:21], s[20:21], 1
	s_mov_b32 s23, 0x20000
	s_add_u32 s20, s2, s20
	s_addc_u32 s2, s3, s21
	s_and_b32 s21, s2, 0xffff
	s_mov_b32 s2, 0x7060302
	s_waitcnt vmcnt(0)
	v_perm_b32 v5, v27, v26, s2
	v_perm_b32 v4, v23, v22, s2
	;; [unrolled: 1-line block ×4, first 2 shown]
	v_lshlrev_b32_e32 v6, 5, v0
	buffer_store_dwordx4 v[2:5], v6, s[20:23], 0 offen
	;;#ASMSTART
	s_nop 0
	;;#ASMEND
	s_nop 0
	v_perm_b32 v5, v29, v28, s2
	v_perm_b32 v4, v33, v32, s2
	;; [unrolled: 1-line block ×4, first 2 shown]
	buffer_store_dwordx4 v[2:5], v6, s[20:23], 16 offen
	;;#ASMSTART
	s_nop 0
	;;#ASMEND
.LBB996_18:
	s_or_b64 exec, exec, s[10:11]
	s_cmp_lt_i32 s16, 1
	s_cbranch_scc1 .LBB996_12
.LBB996_19:
	s_load_dword s2, s[4:5], 0x94
	s_waitcnt lgkmcnt(0)
	s_cmp_lg_u32 s2, 1
	s_cbranch_scc1 .LBB996_12
; %bb.20:
	s_lshl_b32 s2, s16, 1
	s_add_i32 s2, s2, 2
	v_cmp_gt_u32_e32 vcc, s16, v1
	s_and_b32 s10, s2, -4
	v_mov_b32_e32 v18, 0
	v_lshlrev_b32_e32 v1, 5, v0
	v_mov_b32_e32 v14, 0
	v_mov_b32_e32 v15, 0
	;; [unrolled: 1-line block ×8, first 2 shown]
	s_waitcnt vmcnt(1)
	v_mov_b32_e32 v6, 0
	v_mov_b32_e32 v7, 0
	;; [unrolled: 1-line block ×4, first 2 shown]
	s_waitcnt vmcnt(0)
	v_mov_b32_e32 v2, 0
	v_mov_b32_e32 v3, 0
	;; [unrolled: 1-line block ×4, first 2 shown]
	s_barrier
	s_and_saveexec_b64 s[2:3], vcc
	s_cbranch_execz .LBB996_22
; %bb.21:
	s_mul_hi_i32 s5, s18, s6
	s_mul_i32 s4, s18, s6
	s_and_b32 s9, s9, 0xffff
	s_lshl_b64 s[4:5], s[4:5], 1
	s_add_u32 s20, s24, s4
	s_mov_b32 s11, 0x20000
	s_addc_u32 s4, s25, s5
	s_and_b32 s21, s4, 0xffff
	s_mov_b32 s22, s10
	s_mov_b32 s23, s11
	buffer_load_dwordx4 v[14:17], v1, s[20:23], 0 offen
	buffer_load_dwordx4 v[10:13], v1, s[20:23], 16 offen
	;; [unrolled: 1-line block ×4, first 2 shown]
.LBB996_22:
	s_or_b64 exec, exec, s[2:3]
	v_mov_b32_e32 v19, 0
	v_mov_b32_e32 v32, 0
	;; [unrolled: 1-line block ×15, first 2 shown]
	s_and_saveexec_b64 s[2:3], vcc
	s_cbranch_execz .LBB996_24
; %bb.23:
	s_waitcnt vmcnt(3)
	v_cvt_f32_u32_sdwa v18, v14 dst_sel:DWORD dst_unused:UNUSED_PAD src0_sel:WORD_0
	v_cvt_f32_u32_sdwa v19, v14 dst_sel:DWORD dst_unused:UNUSED_PAD src0_sel:WORD_1
	v_cvt_f32_u32_sdwa v32, v15 dst_sel:DWORD dst_unused:UNUSED_PAD src0_sel:WORD_0
	v_cvt_f32_u32_sdwa v33, v15 dst_sel:DWORD dst_unused:UNUSED_PAD src0_sel:WORD_1
	;; [unrolled: 2-line block ×4, first 2 shown]
	s_waitcnt vmcnt(2)
	v_cvt_f32_u32_sdwa v26, v10 dst_sel:DWORD dst_unused:UNUSED_PAD src0_sel:WORD_0
	v_cvt_f32_u32_sdwa v27, v10 dst_sel:DWORD dst_unused:UNUSED_PAD src0_sel:WORD_1
	v_cvt_f32_u32_sdwa v24, v11 dst_sel:DWORD dst_unused:UNUSED_PAD src0_sel:WORD_0
	v_cvt_f32_u32_sdwa v25, v11 dst_sel:DWORD dst_unused:UNUSED_PAD src0_sel:WORD_1
	;; [unrolled: 2-line block ×4, first 2 shown]
.LBB996_24:
	s_or_b64 exec, exec, s[2:3]
	s_waitcnt vmcnt(2)
	v_mul_f32_e32 v10, v19, v19
	v_fmac_f32_e32 v10, v18, v18
	v_fmac_f32_e32 v10, v32, v32
	;; [unrolled: 1-line block ×15, first 2 shown]
	s_nop 1
	v_mov_b32_dpp v11, v10 quad_perm:[1,0,3,2] row_mask:0xf bank_mask:0xf
	v_add_f32_e32 v10, v10, v11
	s_nop 1
	v_mov_b32_dpp v11, v10 quad_perm:[2,3,0,1] row_mask:0xf bank_mask:0xf
	v_add_f32_e32 v10, v10, v11
	s_nop 1
	v_mov_b32_dpp v11, v10 row_half_mirror row_mask:0xf bank_mask:0xf
	v_add_f32_e32 v10, v10, v11
	s_nop 1
	v_mov_b32_dpp v11, v10 row_mirror row_mask:0xf bank_mask:0xf
	v_add_f32_e32 v10, v10, v11
	s_nop 1
	v_mov_b32_dpp v11, v10 row_bcast:15 row_mask:0xf bank_mask:0xf
	v_add_f32_e32 v10, v10, v11
	s_nop 1
	v_mov_b32_dpp v11, v10 row_bcast:31 row_mask:0xf bank_mask:0xf
	s_and_saveexec_b64 s[2:3], s[0:1]
	s_cbranch_execz .LBB996_26
; %bb.25:
	v_lshrrev_b32_e32 v0, 4, v0
	v_add_f32_e32 v10, v10, v11
	v_and_b32_e32 v0, 60, v0
	ds_write_b32 v0, v10
.LBB996_26:
	s_or_b64 exec, exec, s[2:3]
	s_waitcnt lgkmcnt(0)
	s_barrier
	ds_read_b32 v0, v34
	s_waitcnt lgkmcnt(0)
	s_nop 0
	v_mov_b32_dpp v10, v0 quad_perm:[1,0,3,2] row_mask:0xf bank_mask:0xf
	v_add_f32_e32 v0, v0, v10
	s_nop 1
	v_mov_b32_dpp v10, v0 quad_perm:[2,3,0,1] row_mask:0xf bank_mask:0xf
	v_add_f32_e32 v0, v0, v10
	s_nop 1
	v_mov_b32_dpp v10, v0 row_half_mirror row_mask:0xf bank_mask:0xf
	s_and_saveexec_b64 s[0:1], vcc
	s_cbranch_execz .LBB996_12
; %bb.27:
	v_cvt_f32_u32_e32 v11, s16
	v_add_f32_e32 v0, v0, v10
	s_mov_b32 s11, 0x20000
	v_div_scale_f32 v10, s[0:1], v11, v11, v0
	v_rcp_f32_e32 v12, v10
	v_div_scale_f32 v13, vcc, v0, v11, v0
	s_mov_b32 s0, 0x800000
	v_fma_f32 v14, -v10, v12, 1.0
	v_fmac_f32_e32 v12, v14, v12
	v_mul_f32_e32 v14, v13, v12
	v_fma_f32 v15, -v10, v14, v13
	v_fmac_f32_e32 v14, v15, v12
	v_fma_f32 v10, -v10, v14, v13
	v_div_fmas_f32 v10, v10, v12, v14
	v_div_fixup_f32 v0, v10, v11, v0
	v_add_f32_e32 v0, s13, v0
	v_mul_f32_e32 v10, 0x4b800000, v0
	v_cmp_gt_f32_e32 vcc, s0, v0
	v_cndmask_b32_e32 v0, v0, v10, vcc
	v_rsq_f32_e32 v0, v0
	s_mul_hi_i32 s1, s27, s6
	s_mul_i32 s0, s27, s6
	s_lshl_b64 s[0:1], s[0:1], 1
	v_mul_f32_e32 v10, 0x45800000, v0
	v_cndmask_b32_e32 v10, v0, v10, vcc
	v_mov_b32_e32 v11, v10
	;;#ASMSTART
	v_pk_mul_f32 v[12:13], v[18:19], v[10:11]
	;;#ASMEND
	;;#ASMSTART
	v_pk_mul_f32 v[14:15], v[32:33], v[10:11]
	;;#ASMEND
	;; [unrolled: 3-line block ×4, first 2 shown]
	s_waitcnt vmcnt(1)
	v_cvt_f32_u32_sdwa v29, v6 dst_sel:DWORD dst_unused:UNUSED_PAD src0_sel:WORD_1
	v_cvt_f32_u32_sdwa v28, v6 dst_sel:DWORD dst_unused:UNUSED_PAD src0_sel:WORD_0
	v_cvt_f32_u32_sdwa v31, v7 dst_sel:DWORD dst_unused:UNUSED_PAD src0_sel:WORD_1
	v_cvt_f32_u32_sdwa v30, v7 dst_sel:DWORD dst_unused:UNUSED_PAD src0_sel:WORD_0
	;;#ASMSTART
	v_pk_mul_f32 v[26:27], v[26:27], v[10:11]
	;;#ASMEND
	;;#ASMSTART
	v_pk_mul_f32 v[24:25], v[24:25], v[10:11]
	;;#ASMEND
	;; [unrolled: 3-line block ×4, first 2 shown]
	v_cvt_f32_u32_sdwa v21, v8 dst_sel:DWORD dst_unused:UNUSED_PAD src0_sel:WORD_1
	v_cvt_f32_u32_sdwa v20, v8 dst_sel:DWORD dst_unused:UNUSED_PAD src0_sel:WORD_0
	v_pk_add_f32 v[10:11], v[28:29], 1.0 op_sel_hi:[1,0]
	;;#ASMSTART
	v_pk_mul_f32 v[10:11], v[12:13], v[10:11]
	;;#ASMEND
	v_pk_add_f32 v[12:13], v[30:31], 1.0 op_sel_hi:[1,0]
	v_cvt_f32_u32_sdwa v29, v9 dst_sel:DWORD dst_unused:UNUSED_PAD src0_sel:WORD_1
	v_cvt_f32_u32_sdwa v28, v9 dst_sel:DWORD dst_unused:UNUSED_PAD src0_sel:WORD_0
	;;#ASMSTART
	v_pk_mul_f32 v[8:9], v[14:15], v[12:13]
	;;#ASMEND
	v_pk_add_f32 v[12:13], v[20:21], 1.0 op_sel_hi:[1,0]
	;;#ASMSTART
	v_pk_mul_f32 v[12:13], v[16:17], v[12:13]
	;;#ASMEND
	s_waitcnt vmcnt(0)
	v_cvt_f32_u32_sdwa v17, v2 dst_sel:DWORD dst_unused:UNUSED_PAD src0_sel:WORD_1
	v_cvt_f32_u32_sdwa v16, v2 dst_sel:DWORD dst_unused:UNUSED_PAD src0_sel:WORD_0
	v_cvt_f32_u32_sdwa v21, v3 dst_sel:DWORD dst_unused:UNUSED_PAD src0_sel:WORD_1
	v_cvt_f32_u32_sdwa v20, v3 dst_sel:DWORD dst_unused:UNUSED_PAD src0_sel:WORD_0
	v_pk_add_f32 v[14:15], v[28:29], 1.0 op_sel_hi:[1,0]
	;;#ASMSTART
	v_pk_mul_f32 v[14:15], v[18:19], v[14:15]
	;;#ASMEND
	v_pk_add_f32 v[2:3], v[16:17], 1.0 op_sel_hi:[1,0]
	v_cvt_f32_u32_sdwa v19, v4 dst_sel:DWORD dst_unused:UNUSED_PAD src0_sel:WORD_1
	v_cvt_f32_u32_sdwa v18, v4 dst_sel:DWORD dst_unused:UNUSED_PAD src0_sel:WORD_0
	;;#ASMSTART
	v_pk_mul_f32 v[16:17], v[26:27], v[2:3]
	;;#ASMEND
	v_pk_add_f32 v[2:3], v[20:21], 1.0 op_sel_hi:[1,0]
	v_cvt_f32_u32_sdwa v21, v5 dst_sel:DWORD dst_unused:UNUSED_PAD src0_sel:WORD_1
	v_cvt_f32_u32_sdwa v20, v5 dst_sel:DWORD dst_unused:UNUSED_PAD src0_sel:WORD_0
	s_add_u32 s8, s14, s0
	;;#ASMSTART
	v_pk_mul_f32 v[24:25], v[24:25], v[2:3]
	;;#ASMEND
	v_pk_add_f32 v[2:3], v[18:19], 1.0 op_sel_hi:[1,0]
	s_addc_u32 s0, s15, s1
	;;#ASMSTART
	v_pk_mul_f32 v[18:19], v[22:23], v[2:3]
	;;#ASMEND
	v_pk_add_f32 v[2:3], v[20:21], 1.0 op_sel_hi:[1,0]
	s_and_b32 s9, s0, 0xffff
	s_mov_b32 s0, 0x7060302
	;;#ASMSTART
	v_pk_mul_f32 v[6:7], v[6:7], v[2:3]
	;;#ASMEND
	v_perm_b32 v2, v11, v10, s0
	v_perm_b32 v3, v9, v8, s0
	;; [unrolled: 1-line block ×4, first 2 shown]
	buffer_store_dwordx4 v[2:5], v1, s[8:11], 0 offen
	;;#ASMSTART
	s_nop 0
	;;#ASMEND
	s_nop 0
	v_perm_b32 v2, v17, v16, s0
	v_perm_b32 v3, v25, v24, s0
	v_perm_b32 v4, v19, v18, s0
	v_perm_b32 v5, v7, v6, s0
	buffer_store_dwordx4 v[2:5], v1, s[8:11], 16 offen
	;;#ASMSTART
	s_nop 0
	;;#ASMEND
	s_endpgm
	.section	.rodata,"a",@progbits
	.p2align	6, 0x0
	.amdhsa_kernel _ZN5aiter35fused_qk_rmsnorm_group_quant_kernelItN4opus5fp4_tELi512ELi16ELi2ELb0ELb1ELb1ELb1ELb0ELb0EEEvPT0_PvPT_S7_S7_PKS6_S9_S9_S9_S9_ffiiiiiiiiiiiii
		.amdhsa_group_segment_fixed_size 64
		.amdhsa_private_segment_fixed_size 0
		.amdhsa_kernarg_size 400
		.amdhsa_user_sgpr_count 6
		.amdhsa_user_sgpr_private_segment_buffer 1
		.amdhsa_user_sgpr_dispatch_ptr 0
		.amdhsa_user_sgpr_queue_ptr 0
		.amdhsa_user_sgpr_kernarg_segment_ptr 1
		.amdhsa_user_sgpr_dispatch_id 0
		.amdhsa_user_sgpr_flat_scratch_init 0
		.amdhsa_user_sgpr_kernarg_preload_length 0
		.amdhsa_user_sgpr_kernarg_preload_offset 0
		.amdhsa_user_sgpr_private_segment_size 0
		.amdhsa_uses_dynamic_stack 0
		.amdhsa_system_sgpr_private_segment_wavefront_offset 0
		.amdhsa_system_sgpr_workgroup_id_x 1
		.amdhsa_system_sgpr_workgroup_id_y 1
		.amdhsa_system_sgpr_workgroup_id_z 0
		.amdhsa_system_sgpr_workgroup_info 0
		.amdhsa_system_vgpr_workitem_id 0
		.amdhsa_next_free_vgpr 35
		.amdhsa_next_free_sgpr 32
		.amdhsa_accum_offset 36
		.amdhsa_reserve_vcc 1
		.amdhsa_reserve_flat_scratch 0
		.amdhsa_float_round_mode_32 0
		.amdhsa_float_round_mode_16_64 0
		.amdhsa_float_denorm_mode_32 3
		.amdhsa_float_denorm_mode_16_64 3
		.amdhsa_dx10_clamp 1
		.amdhsa_ieee_mode 1
		.amdhsa_fp16_overflow 0
		.amdhsa_tg_split 0
		.amdhsa_exception_fp_ieee_invalid_op 0
		.amdhsa_exception_fp_denorm_src 0
		.amdhsa_exception_fp_ieee_div_zero 0
		.amdhsa_exception_fp_ieee_overflow 0
		.amdhsa_exception_fp_ieee_underflow 0
		.amdhsa_exception_fp_ieee_inexact 0
		.amdhsa_exception_int_div_zero 0
	.end_amdhsa_kernel
	.section	.text._ZN5aiter35fused_qk_rmsnorm_group_quant_kernelItN4opus5fp4_tELi512ELi16ELi2ELb0ELb1ELb1ELb1ELb0ELb0EEEvPT0_PvPT_S7_S7_PKS6_S9_S9_S9_S9_ffiiiiiiiiiiiii,"axG",@progbits,_ZN5aiter35fused_qk_rmsnorm_group_quant_kernelItN4opus5fp4_tELi512ELi16ELi2ELb0ELb1ELb1ELb1ELb0ELb0EEEvPT0_PvPT_S7_S7_PKS6_S9_S9_S9_S9_ffiiiiiiiiiiiii,comdat
.Lfunc_end996:
	.size	_ZN5aiter35fused_qk_rmsnorm_group_quant_kernelItN4opus5fp4_tELi512ELi16ELi2ELb0ELb1ELb1ELb1ELb0ELb0EEEvPT0_PvPT_S7_S7_PKS6_S9_S9_S9_S9_ffiiiiiiiiiiiii, .Lfunc_end996-_ZN5aiter35fused_qk_rmsnorm_group_quant_kernelItN4opus5fp4_tELi512ELi16ELi2ELb0ELb1ELb1ELb1ELb0ELb0EEEvPT0_PvPT_S7_S7_PKS6_S9_S9_S9_S9_ffiiiiiiiiiiiii
                                        ; -- End function
	.section	.AMDGPU.csdata,"",@progbits
; Kernel info:
; codeLenInByte = 2972
; NumSgprs: 36
; NumVgprs: 35
; NumAgprs: 0
; TotalNumVgprs: 35
; ScratchSize: 0
; MemoryBound: 0
; FloatMode: 240
; IeeeMode: 1
; LDSByteSize: 64 bytes/workgroup (compile time only)
; SGPRBlocks: 4
; VGPRBlocks: 4
; NumSGPRsForWavesPerEU: 36
; NumVGPRsForWavesPerEU: 35
; AccumOffset: 36
; Occupancy: 8
; WaveLimiterHint : 0
; COMPUTE_PGM_RSRC2:SCRATCH_EN: 0
; COMPUTE_PGM_RSRC2:USER_SGPR: 6
; COMPUTE_PGM_RSRC2:TRAP_HANDLER: 0
; COMPUTE_PGM_RSRC2:TGID_X_EN: 1
; COMPUTE_PGM_RSRC2:TGID_Y_EN: 1
; COMPUTE_PGM_RSRC2:TGID_Z_EN: 0
; COMPUTE_PGM_RSRC2:TIDIG_COMP_CNT: 0
; COMPUTE_PGM_RSRC3_GFX90A:ACCUM_OFFSET: 8
; COMPUTE_PGM_RSRC3_GFX90A:TG_SPLIT: 0
	.section	.text._ZN5aiter35fused_qk_rmsnorm_group_quant_kernelIDF16_DB8_Li512ELi16ELi2ELb0ELb1ELb0ELb1ELb0ELb0EEEvPT0_PvPT_S6_S6_PKS5_S8_S8_S8_S8_ffiiiiiiiiiiiii,"axG",@progbits,_ZN5aiter35fused_qk_rmsnorm_group_quant_kernelIDF16_DB8_Li512ELi16ELi2ELb0ELb1ELb0ELb1ELb0ELb0EEEvPT0_PvPT_S6_S6_PKS5_S8_S8_S8_S8_ffiiiiiiiiiiiii,comdat
	.protected	_ZN5aiter35fused_qk_rmsnorm_group_quant_kernelIDF16_DB8_Li512ELi16ELi2ELb0ELb1ELb0ELb1ELb0ELb0EEEvPT0_PvPT_S6_S6_PKS5_S8_S8_S8_S8_ffiiiiiiiiiiiii ; -- Begin function _ZN5aiter35fused_qk_rmsnorm_group_quant_kernelIDF16_DB8_Li512ELi16ELi2ELb0ELb1ELb0ELb1ELb0ELb0EEEvPT0_PvPT_S6_S6_PKS5_S8_S8_S8_S8_ffiiiiiiiiiiiii
	.globl	_ZN5aiter35fused_qk_rmsnorm_group_quant_kernelIDF16_DB8_Li512ELi16ELi2ELb0ELb1ELb0ELb1ELb0ELb0EEEvPT0_PvPT_S6_S6_PKS5_S8_S8_S8_S8_ffiiiiiiiiiiiii
	.p2align	8
	.type	_ZN5aiter35fused_qk_rmsnorm_group_quant_kernelIDF16_DB8_Li512ELi16ELi2ELb0ELb1ELb0ELb1ELb0ELb0EEEvPT0_PvPT_S6_S6_PKS5_S8_S8_S8_S8_ffiiiiiiiiiiiii,@function
_ZN5aiter35fused_qk_rmsnorm_group_quant_kernelIDF16_DB8_Li512ELi16ELi2ELb0ELb1ELb0ELb1ELb0ELb0EEEvPT0_PvPT_S6_S6_PKS5_S8_S8_S8_S8_ffiiiiiiiiiiiii: ; @_ZN5aiter35fused_qk_rmsnorm_group_quant_kernelIDF16_DB8_Li512ELi16ELi2ELb0ELb1ELb0ELb1ELb0ELb0EEEvPT0_PvPT_S6_S6_PKS5_S8_S8_S8_S8_ffiiiiiiiiiiiii
; %bb.0:
	s_load_dwordx4 s[12:15], s[4:5], 0x50
	s_waitcnt lgkmcnt(0)
	s_cmp_ge_i32 s6, s14
	s_cbranch_scc1 .LBB997_12
; %bb.1:
	s_load_dwordx2 s[24:25], s[4:5], 0x30
	s_load_dwordx2 s[8:9], s[4:5], 0x48
	s_load_dwordx4 s[16:19], s[4:5], 0x60
	s_cmp_lg_u32 s7, 0
	s_cselect_b64 s[10:11], -1, 0
	s_cmp_eq_u32 s7, 0
	s_cselect_b64 vcc, -1, 0
	s_and_b64 s[0:1], vcc, exec
	s_waitcnt lgkmcnt(0)
	s_cselect_b32 s7, s15, s16
	s_add_i32 s0, s7, 1
	s_lshr_b32 s1, s0, 31
	s_add_i32 s0, s0, s1
	s_lshl_b32 s0, s0, 1
	v_lshlrev_b32_e32 v1, 4, v0
	s_and_b32 s22, s0, -4
	v_cmp_gt_i32_e64 s[2:3], s7, v1
	v_mov_b32_e32 v18, 0
	v_mov_b32_e32 v6, 0
	;; [unrolled: 1-line block ×17, first 2 shown]
	s_and_saveexec_b64 s[0:1], s[2:3]
	s_cbranch_execz .LBB997_3
; %bb.2:
	s_load_dwordx2 s[14:15], s[4:5], 0x28
	s_load_dwordx2 s[20:21], s[4:5], 0x40
	s_and_b64 s[26:27], vcc, exec
	s_cselect_b32 s17, s17, s18
	s_mov_b32 s30, s22
	s_waitcnt lgkmcnt(0)
	s_cselect_b32 s19, s15, s25
	s_cselect_b32 s23, s14, s24
	s_mul_hi_i32 s15, s17, s6
	s_mul_i32 s14, s17, s6
	s_lshl_b64 s[14:15], s[14:15], 1
	s_add_u32 s28, s23, s14
	s_addc_u32 s17, s19, s15
	s_and_b64 s[14:15], vcc, exec
	s_mov_b32 s23, 0x20000
	s_cselect_b32 s20, s20, s8
	s_cselect_b32 s14, s21, s9
	s_and_b32 s29, s17, 0xffff
	s_mov_b32 s31, s23
	v_lshlrev_b32_e32 v19, 5, v0
	s_and_b32 s21, s14, 0xffff
	buffer_load_dwordx4 v[14:17], v19, s[28:31], 0 offen
	buffer_load_dwordx4 v[10:13], v19, s[28:31], 16 offen
	;; [unrolled: 1-line block ×4, first 2 shown]
.LBB997_3:
	s_or_b64 exec, exec, s[0:1]
	v_mov_b32_e32 v19, 0
	v_mov_b32_e32 v20, 0
	;; [unrolled: 1-line block ×15, first 2 shown]
	s_and_saveexec_b64 s[0:1], s[2:3]
	s_cbranch_execz .LBB997_5
; %bb.4:
	s_waitcnt vmcnt(3)
	v_cvt_f32_f16_sdwa v19, v14 dst_sel:DWORD dst_unused:UNUSED_PAD src0_sel:WORD_1
	v_cvt_f32_f16_e32 v18, v14
	v_cvt_f32_f16_sdwa v21, v15 dst_sel:DWORD dst_unused:UNUSED_PAD src0_sel:WORD_1
	v_cvt_f32_f16_e32 v20, v15
	;; [unrolled: 2-line block ×4, first 2 shown]
	s_waitcnt vmcnt(2)
	v_cvt_f32_f16_sdwa v25, v10 dst_sel:DWORD dst_unused:UNUSED_PAD src0_sel:WORD_1
	v_cvt_f32_f16_e32 v24, v10
	v_cvt_f32_f16_sdwa v29, v11 dst_sel:DWORD dst_unused:UNUSED_PAD src0_sel:WORD_1
	v_cvt_f32_f16_e32 v28, v11
	;; [unrolled: 2-line block ×4, first 2 shown]
.LBB997_5:
	s_or_b64 exec, exec, s[0:1]
	s_waitcnt vmcnt(2)
	v_mul_f32_e32 v10, v19, v19
	v_fmac_f32_e32 v10, v18, v18
	v_fmac_f32_e32 v10, v20, v20
	;; [unrolled: 1-line block ×15, first 2 shown]
	v_and_b32_e32 v12, 63, v0
	v_cmp_eq_u32_e64 s[0:1], 63, v12
	v_mov_b32_dpp v11, v10 quad_perm:[1,0,3,2] row_mask:0xf bank_mask:0xf
	v_add_f32_e32 v10, v10, v11
	s_nop 1
	v_mov_b32_dpp v11, v10 quad_perm:[2,3,0,1] row_mask:0xf bank_mask:0xf
	v_add_f32_e32 v10, v10, v11
	s_nop 1
	v_mov_b32_dpp v11, v10 row_half_mirror row_mask:0xf bank_mask:0xf
	v_add_f32_e32 v10, v10, v11
	s_nop 1
	v_mov_b32_dpp v11, v10 row_mirror row_mask:0xf bank_mask:0xf
	v_add_f32_e32 v10, v10, v11
	s_nop 1
	v_mov_b32_dpp v11, v10 row_bcast:15 row_mask:0xf bank_mask:0xf
	v_add_f32_e32 v10, v10, v11
	s_nop 1
	v_mov_b32_dpp v11, v10 row_bcast:31 row_mask:0xf bank_mask:0xf
	s_and_saveexec_b64 s[14:15], s[0:1]
	s_cbranch_execz .LBB997_7
; %bb.6:
	v_add_f32_e32 v10, v10, v11
	v_lshrrev_b32_e32 v11, 4, v0
	v_and_b32_e32 v11, 60, v11
	ds_write_b32 v11, v10 offset:32
.LBB997_7:
	s_or_b64 exec, exec, s[14:15]
	v_and_b32_e32 v10, 7, v0
	v_lshlrev_b32_e32 v34, 2, v10
	s_waitcnt lgkmcnt(0)
	s_barrier
	ds_read_b32 v10, v34 offset:32
	s_load_dwordx2 s[14:15], s[4:5], 0x18
	s_waitcnt lgkmcnt(0)
	v_mov_b32_dpp v11, v10 quad_perm:[1,0,3,2] row_mask:0xf bank_mask:0xf
	v_add_f32_e32 v10, v10, v11
	s_nop 1
	v_mov_b32_dpp v11, v10 quad_perm:[2,3,0,1] row_mask:0xf bank_mask:0xf
	v_add_f32_e32 v10, v10, v11
	s_nop 1
	v_mov_b32_dpp v11, v10 row_half_mirror row_mask:0xf bank_mask:0xf
	s_and_saveexec_b64 s[20:21], s[2:3]
	s_cbranch_execz .LBB997_9
; %bb.8:
	v_cvt_f32_u32_e32 v12, s7
	v_add_f32_e32 v10, v10, v11
	v_mov_b32_e32 v14, s13
	v_mov_b32_e32 v15, s12
	v_div_scale_f32 v11, s[26:27], v12, v12, v10
	v_rcp_f32_e32 v13, v11
	v_cndmask_b32_e32 v14, v14, v15, vcc
	s_mov_b32 s7, 0x800000
	v_fma_f32 v15, -v11, v13, 1.0
	v_fmac_f32_e32 v13, v15, v13
	v_div_scale_f32 v15, vcc, v10, v12, v10
	v_mul_f32_e32 v16, v15, v13
	v_fma_f32 v17, -v11, v16, v15
	v_fmac_f32_e32 v16, v17, v13
	v_fma_f32 v11, -v11, v16, v15
	v_div_fmas_f32 v11, v11, v13, v16
	v_div_fixup_f32 v10, v11, v12, v10
	v_add_f32_e32 v10, v14, v10
	v_mul_f32_e32 v11, 0x4b800000, v10
	v_cmp_gt_f32_e32 vcc, s7, v10
	v_cndmask_b32_e32 v10, v10, v11, vcc
	v_rsq_f32_e32 v10, v10
	v_mul_f32_e32 v11, 0x45800000, v10
	v_cndmask_b32_e32 v10, v10, v11, vcc
	v_mov_b32_e32 v11, v10
	;;#ASMSTART
	v_pk_mul_f32 v[12:13], v[18:19], v[10:11]
	;;#ASMEND
	;;#ASMSTART
	v_pk_mul_f32 v[14:15], v[20:21], v[10:11]
	;;#ASMEND
	;; [unrolled: 3-line block ×8, first 2 shown]
	s_waitcnt vmcnt(1)
	v_cvt_f32_f16_sdwa v19, v6 dst_sel:DWORD dst_unused:UNUSED_PAD src0_sel:WORD_1
	v_cvt_f32_f16_e32 v18, v6
	v_cvt_f32_f16_sdwa v21, v7 dst_sel:DWORD dst_unused:UNUSED_PAD src0_sel:WORD_1
	v_cvt_f32_f16_e32 v20, v7
	;; [unrolled: 2-line block ×4, first 2 shown]
	;;#ASMSTART
	v_pk_mul_f32 v[18:19], v[12:13], v[18:19]
	;;#ASMEND
	;;#ASMSTART
	v_pk_mul_f32 v[20:21], v[14:15], v[20:21]
	;;#ASMEND
	;; [unrolled: 3-line block ×4, first 2 shown]
	s_waitcnt vmcnt(0)
	v_cvt_f32_f16_sdwa v7, v2 dst_sel:DWORD dst_unused:UNUSED_PAD src0_sel:WORD_1
	v_cvt_f32_f16_e32 v6, v2
	v_cvt_f32_f16_sdwa v9, v3 dst_sel:DWORD dst_unused:UNUSED_PAD src0_sel:WORD_1
	v_cvt_f32_f16_e32 v8, v3
	;; [unrolled: 2-line block ×4, first 2 shown]
	;;#ASMSTART
	v_pk_mul_f32 v[24:25], v[24:25], v[6:7]
	;;#ASMEND
	;;#ASMSTART
	v_pk_mul_f32 v[28:29], v[28:29], v[8:9]
	;;#ASMEND
	;; [unrolled: 3-line block ×4, first 2 shown]
.LBB997_9:
	s_or_b64 exec, exec, s[20:21]
	s_load_dwordx2 s[26:27], s[4:5], 0x7c
	s_mov_b64 s[20:21], -1
	s_and_b64 vcc, exec, s[10:11]
	s_cbranch_vccnz .LBB997_13
; %bb.10:
	s_andn2_b64 vcc, exec, s[20:21]
	s_cbranch_vccz .LBB997_16
.LBB997_11:
	s_cmp_lt_i32 s16, 1
	s_cbranch_scc0 .LBB997_19
.LBB997_12:
	s_endpgm
.LBB997_13:
	s_and_saveexec_b64 s[10:11], s[2:3]
	s_cbranch_execz .LBB997_15
; %bb.14:
	s_waitcnt lgkmcnt(0)
	s_mul_hi_i32 s21, s27, s6
	s_mul_i32 s20, s27, s6
	s_waitcnt vmcnt(0)
	v_cvt_f16_f32_e32 v2, v18
	v_cvt_f16_f32_e32 v3, v20
	;; [unrolled: 1-line block ×8, first 2 shown]
	s_lshl_b64 s[20:21], s[20:21], 1
	s_add_u32 s20, s14, s20
	s_addc_u32 s7, s15, s21
	s_and_b32 s21, s7, 0xffff
	s_mov_b32 s23, 0x20000
	v_pack_b32_f16 v5, v5, v6
	v_pack_b32_f16 v4, v4, v7
	;; [unrolled: 1-line block ×4, first 2 shown]
	v_lshlrev_b32_e32 v6, 5, v0
	buffer_store_dwordx4 v[2:5], v6, s[20:23], 0 offen
	v_cvt_f16_f32_e32 v7, v33
	v_cvt_f16_f32_e32 v2, v24
	;; [unrolled: 1-line block ×8, first 2 shown]
	v_pack_b32_f16 v5, v5, v7
	v_pack_b32_f16 v4, v4, v8
	;; [unrolled: 1-line block ×4, first 2 shown]
	;;#ASMSTART
	s_nop 0
	;;#ASMEND
	buffer_store_dwordx4 v[2:5], v6, s[20:23], 16 offen
	;;#ASMSTART
	s_nop 0
	;;#ASMEND
.LBB997_15:
	s_or_b64 exec, exec, s[10:11]
	s_cbranch_execnz .LBB997_11
.LBB997_16:
	s_and_saveexec_b64 s[10:11], s[2:3]
	s_cbranch_execz .LBB997_18
; %bb.17:
	s_load_dwordx2 s[2:3], s[4:5], 0x10
	s_waitcnt lgkmcnt(0)
	s_mul_hi_i32 s21, s26, s6
	s_mul_i32 s20, s26, s6
	s_waitcnt vmcnt(0)
	v_cvt_f16_f32_e32 v2, v18
	v_cvt_f16_f32_e32 v3, v20
	;; [unrolled: 1-line block ×8, first 2 shown]
	s_lshl_b64 s[20:21], s[20:21], 1
	s_add_u32 s20, s2, s20
	s_addc_u32 s2, s3, s21
	s_mov_b32 s23, 0x20000
	s_and_b32 s21, s2, 0xffff
	v_pack_b32_f16 v5, v5, v6
	v_pack_b32_f16 v4, v4, v7
	;; [unrolled: 1-line block ×4, first 2 shown]
	v_lshlrev_b32_e32 v6, 5, v0
	buffer_store_dwordx4 v[2:5], v6, s[20:23], 0 offen
	v_cvt_f16_f32_e32 v7, v33
	v_cvt_f16_f32_e32 v2, v24
	;; [unrolled: 1-line block ×8, first 2 shown]
	v_pack_b32_f16 v5, v5, v7
	v_pack_b32_f16 v4, v4, v8
	;; [unrolled: 1-line block ×4, first 2 shown]
	;;#ASMSTART
	s_nop 0
	;;#ASMEND
	buffer_store_dwordx4 v[2:5], v6, s[20:23], 16 offen
	;;#ASMSTART
	s_nop 0
	;;#ASMEND
.LBB997_18:
	s_or_b64 exec, exec, s[10:11]
	s_cmp_lt_i32 s16, 1
	s_cbranch_scc1 .LBB997_12
.LBB997_19:
	s_load_dword s2, s[4:5], 0x94
	s_waitcnt lgkmcnt(0)
	s_cmp_lg_u32 s2, 1
	s_cbranch_scc1 .LBB997_12
; %bb.20:
	s_lshl_b32 s2, s16, 1
	s_add_i32 s2, s2, 2
	v_cmp_gt_u32_e32 vcc, s16, v1
	s_and_b32 s10, s2, -4
	v_mov_b32_e32 v18, 0
	v_lshlrev_b32_e32 v1, 5, v0
	v_mov_b32_e32 v14, 0
	v_mov_b32_e32 v15, 0
	v_mov_b32_e32 v16, 0
	v_mov_b32_e32 v17, 0
	v_mov_b32_e32 v10, 0
	v_mov_b32_e32 v11, 0
	v_mov_b32_e32 v12, 0
	v_mov_b32_e32 v13, 0
	s_waitcnt vmcnt(1)
	v_mov_b32_e32 v6, 0
	v_mov_b32_e32 v7, 0
	;; [unrolled: 1-line block ×4, first 2 shown]
	s_waitcnt vmcnt(0)
	v_mov_b32_e32 v2, 0
	v_mov_b32_e32 v3, 0
	;; [unrolled: 1-line block ×4, first 2 shown]
	s_barrier
	s_and_saveexec_b64 s[2:3], vcc
	s_cbranch_execz .LBB997_22
; %bb.21:
	s_mul_hi_i32 s5, s18, s6
	s_mul_i32 s4, s18, s6
	s_and_b32 s9, s9, 0xffff
	s_lshl_b64 s[4:5], s[4:5], 1
	s_add_u32 s20, s24, s4
	s_mov_b32 s11, 0x20000
	s_addc_u32 s4, s25, s5
	s_and_b32 s21, s4, 0xffff
	s_mov_b32 s22, s10
	s_mov_b32 s23, s11
	buffer_load_dwordx4 v[14:17], v1, s[20:23], 0 offen
	buffer_load_dwordx4 v[10:13], v1, s[20:23], 16 offen
	;; [unrolled: 1-line block ×4, first 2 shown]
.LBB997_22:
	s_or_b64 exec, exec, s[2:3]
	v_mov_b32_e32 v19, 0
	v_mov_b32_e32 v32, 0
	;; [unrolled: 1-line block ×15, first 2 shown]
	s_and_saveexec_b64 s[2:3], vcc
	s_cbranch_execz .LBB997_24
; %bb.23:
	s_waitcnt vmcnt(3)
	v_cvt_f32_f16_sdwa v19, v14 dst_sel:DWORD dst_unused:UNUSED_PAD src0_sel:WORD_1
	v_cvt_f32_f16_e32 v18, v14
	v_cvt_f32_f16_sdwa v33, v15 dst_sel:DWORD dst_unused:UNUSED_PAD src0_sel:WORD_1
	v_cvt_f32_f16_e32 v32, v15
	;; [unrolled: 2-line block ×4, first 2 shown]
	s_waitcnt vmcnt(2)
	v_cvt_f32_f16_sdwa v27, v10 dst_sel:DWORD dst_unused:UNUSED_PAD src0_sel:WORD_1
	v_cvt_f32_f16_e32 v26, v10
	v_cvt_f32_f16_sdwa v25, v11 dst_sel:DWORD dst_unused:UNUSED_PAD src0_sel:WORD_1
	v_cvt_f32_f16_e32 v24, v11
	;; [unrolled: 2-line block ×4, first 2 shown]
.LBB997_24:
	s_or_b64 exec, exec, s[2:3]
	s_waitcnt vmcnt(2)
	v_mul_f32_e32 v10, v19, v19
	v_fmac_f32_e32 v10, v18, v18
	v_fmac_f32_e32 v10, v32, v32
	;; [unrolled: 1-line block ×15, first 2 shown]
	s_nop 1
	v_mov_b32_dpp v11, v10 quad_perm:[1,0,3,2] row_mask:0xf bank_mask:0xf
	v_add_f32_e32 v10, v10, v11
	s_nop 1
	v_mov_b32_dpp v11, v10 quad_perm:[2,3,0,1] row_mask:0xf bank_mask:0xf
	v_add_f32_e32 v10, v10, v11
	s_nop 1
	v_mov_b32_dpp v11, v10 row_half_mirror row_mask:0xf bank_mask:0xf
	v_add_f32_e32 v10, v10, v11
	s_nop 1
	v_mov_b32_dpp v11, v10 row_mirror row_mask:0xf bank_mask:0xf
	v_add_f32_e32 v10, v10, v11
	s_nop 1
	v_mov_b32_dpp v11, v10 row_bcast:15 row_mask:0xf bank_mask:0xf
	v_add_f32_e32 v10, v10, v11
	s_nop 1
	v_mov_b32_dpp v11, v10 row_bcast:31 row_mask:0xf bank_mask:0xf
	s_and_saveexec_b64 s[2:3], s[0:1]
	s_cbranch_execz .LBB997_26
; %bb.25:
	v_lshrrev_b32_e32 v0, 4, v0
	v_add_f32_e32 v10, v10, v11
	v_and_b32_e32 v0, 60, v0
	ds_write_b32 v0, v10
.LBB997_26:
	s_or_b64 exec, exec, s[2:3]
	s_waitcnt lgkmcnt(0)
	s_barrier
	ds_read_b32 v0, v34
	s_waitcnt lgkmcnt(0)
	s_nop 0
	v_mov_b32_dpp v10, v0 quad_perm:[1,0,3,2] row_mask:0xf bank_mask:0xf
	v_add_f32_e32 v0, v0, v10
	s_nop 1
	v_mov_b32_dpp v10, v0 quad_perm:[2,3,0,1] row_mask:0xf bank_mask:0xf
	v_add_f32_e32 v0, v0, v10
	s_nop 1
	v_mov_b32_dpp v10, v0 row_half_mirror row_mask:0xf bank_mask:0xf
	s_and_saveexec_b64 s[0:1], vcc
	s_cbranch_execz .LBB997_12
; %bb.27:
	v_cvt_f32_u32_e32 v11, s16
	v_add_f32_e32 v0, v0, v10
	s_mov_b32 s11, 0x20000
	v_div_scale_f32 v10, s[0:1], v11, v11, v0
	v_rcp_f32_e32 v12, v10
	v_div_scale_f32 v13, vcc, v0, v11, v0
	s_mov_b32 s0, 0x800000
	v_fma_f32 v14, -v10, v12, 1.0
	v_fmac_f32_e32 v12, v14, v12
	v_mul_f32_e32 v14, v13, v12
	v_fma_f32 v15, -v10, v14, v13
	v_fmac_f32_e32 v14, v15, v12
	v_fma_f32 v10, -v10, v14, v13
	v_div_fmas_f32 v10, v10, v12, v14
	v_div_fixup_f32 v0, v10, v11, v0
	v_add_f32_e32 v0, s13, v0
	v_mul_f32_e32 v10, 0x4b800000, v0
	v_cmp_gt_f32_e32 vcc, s0, v0
	v_cndmask_b32_e32 v0, v0, v10, vcc
	v_rsq_f32_e32 v0, v0
	s_mul_hi_i32 s1, s27, s6
	s_mul_i32 s0, s27, s6
	s_lshl_b64 s[0:1], s[0:1], 1
	v_mul_f32_e32 v10, 0x45800000, v0
	v_cndmask_b32_e32 v10, v0, v10, vcc
	v_mov_b32_e32 v11, v10
	;;#ASMSTART
	v_pk_mul_f32 v[12:13], v[18:19], v[10:11]
	;;#ASMEND
	;;#ASMSTART
	v_pk_mul_f32 v[14:15], v[32:33], v[10:11]
	;;#ASMEND
	;; [unrolled: 3-line block ×8, first 2 shown]
	s_waitcnt vmcnt(1)
	v_cvt_f32_f16_sdwa v21, v6 dst_sel:DWORD dst_unused:UNUSED_PAD src0_sel:WORD_1
	v_cvt_f32_f16_e32 v20, v6
	v_cvt_f32_f16_sdwa v29, v7 dst_sel:DWORD dst_unused:UNUSED_PAD src0_sel:WORD_1
	v_cvt_f32_f16_e32 v28, v7
	;; [unrolled: 2-line block ×4, first 2 shown]
	;;#ASMSTART
	v_pk_mul_f32 v[8:9], v[12:13], v[20:21]
	;;#ASMEND
	;;#ASMSTART
	v_pk_mul_f32 v[12:13], v[14:15], v[28:29]
	;;#ASMEND
	;; [unrolled: 3-line block ×4, first 2 shown]
	s_waitcnt vmcnt(0)
	v_cvt_f32_f16_sdwa v17, v2 dst_sel:DWORD dst_unused:UNUSED_PAD src0_sel:WORD_1
	v_cvt_f32_f16_e32 v16, v2
	v_cvt_f32_f16_sdwa v19, v3 dst_sel:DWORD dst_unused:UNUSED_PAD src0_sel:WORD_1
	v_cvt_f32_f16_e32 v18, v3
	;; [unrolled: 2-line block ×4, first 2 shown]
	;;#ASMSTART
	v_pk_mul_f32 v[16:17], v[26:27], v[16:17]
	;;#ASMEND
	;;#ASMSTART
	v_pk_mul_f32 v[18:19], v[24:25], v[18:19]
	;;#ASMEND
	;; [unrolled: 3-line block ×3, first 2 shown]
	v_cvt_f16_f32_e32 v0, v8
	v_cvt_f16_f32_e32 v2, v9
	;; [unrolled: 1-line block ×8, first 2 shown]
	s_add_u32 s8, s14, s0
	s_addc_u32 s0, s15, s1
	s_and_b32 s9, s0, 0xffff
	v_pack_b32_f16 v2, v0, v2
	v_pack_b32_f16 v3, v3, v4
	v_pack_b32_f16 v4, v5, v6
	v_pack_b32_f16 v5, v7, v8
	;;#ASMSTART
	v_pk_mul_f32 v[10:11], v[10:11], v[20:21]
	;;#ASMEND
	buffer_store_dwordx4 v[2:5], v1, s[8:11], 0 offen
	v_cvt_f16_f32_e32 v0, v16
	v_cvt_f16_f32_e32 v2, v17
	;; [unrolled: 1-line block ×8, first 2 shown]
	v_pack_b32_f16 v2, v0, v2
	v_pack_b32_f16 v3, v3, v4
	;; [unrolled: 1-line block ×4, first 2 shown]
	;;#ASMSTART
	s_nop 0
	;;#ASMEND
	buffer_store_dwordx4 v[2:5], v1, s[8:11], 16 offen
	;;#ASMSTART
	s_nop 0
	;;#ASMEND
	s_endpgm
	.section	.rodata,"a",@progbits
	.p2align	6, 0x0
	.amdhsa_kernel _ZN5aiter35fused_qk_rmsnorm_group_quant_kernelIDF16_DB8_Li512ELi16ELi2ELb0ELb1ELb0ELb1ELb0ELb0EEEvPT0_PvPT_S6_S6_PKS5_S8_S8_S8_S8_ffiiiiiiiiiiiii
		.amdhsa_group_segment_fixed_size 64
		.amdhsa_private_segment_fixed_size 0
		.amdhsa_kernarg_size 400
		.amdhsa_user_sgpr_count 6
		.amdhsa_user_sgpr_private_segment_buffer 1
		.amdhsa_user_sgpr_dispatch_ptr 0
		.amdhsa_user_sgpr_queue_ptr 0
		.amdhsa_user_sgpr_kernarg_segment_ptr 1
		.amdhsa_user_sgpr_dispatch_id 0
		.amdhsa_user_sgpr_flat_scratch_init 0
		.amdhsa_user_sgpr_kernarg_preload_length 0
		.amdhsa_user_sgpr_kernarg_preload_offset 0
		.amdhsa_user_sgpr_private_segment_size 0
		.amdhsa_uses_dynamic_stack 0
		.amdhsa_system_sgpr_private_segment_wavefront_offset 0
		.amdhsa_system_sgpr_workgroup_id_x 1
		.amdhsa_system_sgpr_workgroup_id_y 1
		.amdhsa_system_sgpr_workgroup_id_z 0
		.amdhsa_system_sgpr_workgroup_info 0
		.amdhsa_system_vgpr_workitem_id 0
		.amdhsa_next_free_vgpr 35
		.amdhsa_next_free_sgpr 32
		.amdhsa_accum_offset 36
		.amdhsa_reserve_vcc 1
		.amdhsa_reserve_flat_scratch 0
		.amdhsa_float_round_mode_32 0
		.amdhsa_float_round_mode_16_64 0
		.amdhsa_float_denorm_mode_32 3
		.amdhsa_float_denorm_mode_16_64 3
		.amdhsa_dx10_clamp 1
		.amdhsa_ieee_mode 1
		.amdhsa_fp16_overflow 0
		.amdhsa_tg_split 0
		.amdhsa_exception_fp_ieee_invalid_op 0
		.amdhsa_exception_fp_denorm_src 0
		.amdhsa_exception_fp_ieee_div_zero 0
		.amdhsa_exception_fp_ieee_overflow 0
		.amdhsa_exception_fp_ieee_underflow 0
		.amdhsa_exception_fp_ieee_inexact 0
		.amdhsa_exception_int_div_zero 0
	.end_amdhsa_kernel
	.section	.text._ZN5aiter35fused_qk_rmsnorm_group_quant_kernelIDF16_DB8_Li512ELi16ELi2ELb0ELb1ELb0ELb1ELb0ELb0EEEvPT0_PvPT_S6_S6_PKS5_S8_S8_S8_S8_ffiiiiiiiiiiiii,"axG",@progbits,_ZN5aiter35fused_qk_rmsnorm_group_quant_kernelIDF16_DB8_Li512ELi16ELi2ELb0ELb1ELb0ELb1ELb0ELb0EEEvPT0_PvPT_S6_S6_PKS5_S8_S8_S8_S8_ffiiiiiiiiiiiii,comdat
.Lfunc_end997:
	.size	_ZN5aiter35fused_qk_rmsnorm_group_quant_kernelIDF16_DB8_Li512ELi16ELi2ELb0ELb1ELb0ELb1ELb0ELb0EEEvPT0_PvPT_S6_S6_PKS5_S8_S8_S8_S8_ffiiiiiiiiiiiii, .Lfunc_end997-_ZN5aiter35fused_qk_rmsnorm_group_quant_kernelIDF16_DB8_Li512ELi16ELi2ELb0ELb1ELb0ELb1ELb0ELb0EEEvPT0_PvPT_S6_S6_PKS5_S8_S8_S8_S8_ffiiiiiiiiiiiii
                                        ; -- End function
	.section	.AMDGPU.csdata,"",@progbits
; Kernel info:
; codeLenInByte = 2872
; NumSgprs: 36
; NumVgprs: 35
; NumAgprs: 0
; TotalNumVgprs: 35
; ScratchSize: 0
; MemoryBound: 0
; FloatMode: 240
; IeeeMode: 1
; LDSByteSize: 64 bytes/workgroup (compile time only)
; SGPRBlocks: 4
; VGPRBlocks: 4
; NumSGPRsForWavesPerEU: 36
; NumVGPRsForWavesPerEU: 35
; AccumOffset: 36
; Occupancy: 8
; WaveLimiterHint : 0
; COMPUTE_PGM_RSRC2:SCRATCH_EN: 0
; COMPUTE_PGM_RSRC2:USER_SGPR: 6
; COMPUTE_PGM_RSRC2:TRAP_HANDLER: 0
; COMPUTE_PGM_RSRC2:TGID_X_EN: 1
; COMPUTE_PGM_RSRC2:TGID_Y_EN: 1
; COMPUTE_PGM_RSRC2:TGID_Z_EN: 0
; COMPUTE_PGM_RSRC2:TIDIG_COMP_CNT: 0
; COMPUTE_PGM_RSRC3_GFX90A:ACCUM_OFFSET: 8
; COMPUTE_PGM_RSRC3_GFX90A:TG_SPLIT: 0
	.section	.text._ZN5aiter35fused_qk_rmsnorm_group_quant_kernelItDB8_Li512ELi16ELi2ELb0ELb1ELb0ELb1ELb0ELb0EEEvPT0_PvPT_S6_S6_PKS5_S8_S8_S8_S8_ffiiiiiiiiiiiii,"axG",@progbits,_ZN5aiter35fused_qk_rmsnorm_group_quant_kernelItDB8_Li512ELi16ELi2ELb0ELb1ELb0ELb1ELb0ELb0EEEvPT0_PvPT_S6_S6_PKS5_S8_S8_S8_S8_ffiiiiiiiiiiiii,comdat
	.protected	_ZN5aiter35fused_qk_rmsnorm_group_quant_kernelItDB8_Li512ELi16ELi2ELb0ELb1ELb0ELb1ELb0ELb0EEEvPT0_PvPT_S6_S6_PKS5_S8_S8_S8_S8_ffiiiiiiiiiiiii ; -- Begin function _ZN5aiter35fused_qk_rmsnorm_group_quant_kernelItDB8_Li512ELi16ELi2ELb0ELb1ELb0ELb1ELb0ELb0EEEvPT0_PvPT_S6_S6_PKS5_S8_S8_S8_S8_ffiiiiiiiiiiiii
	.globl	_ZN5aiter35fused_qk_rmsnorm_group_quant_kernelItDB8_Li512ELi16ELi2ELb0ELb1ELb0ELb1ELb0ELb0EEEvPT0_PvPT_S6_S6_PKS5_S8_S8_S8_S8_ffiiiiiiiiiiiii
	.p2align	8
	.type	_ZN5aiter35fused_qk_rmsnorm_group_quant_kernelItDB8_Li512ELi16ELi2ELb0ELb1ELb0ELb1ELb0ELb0EEEvPT0_PvPT_S6_S6_PKS5_S8_S8_S8_S8_ffiiiiiiiiiiiii,@function
_ZN5aiter35fused_qk_rmsnorm_group_quant_kernelItDB8_Li512ELi16ELi2ELb0ELb1ELb0ELb1ELb0ELb0EEEvPT0_PvPT_S6_S6_PKS5_S8_S8_S8_S8_ffiiiiiiiiiiiii: ; @_ZN5aiter35fused_qk_rmsnorm_group_quant_kernelItDB8_Li512ELi16ELi2ELb0ELb1ELb0ELb1ELb0ELb0EEEvPT0_PvPT_S6_S6_PKS5_S8_S8_S8_S8_ffiiiiiiiiiiiii
; %bb.0:
	s_load_dwordx4 s[12:15], s[4:5], 0x50
	s_waitcnt lgkmcnt(0)
	s_cmp_ge_i32 s6, s14
	s_cbranch_scc1 .LBB998_12
; %bb.1:
	s_load_dwordx2 s[24:25], s[4:5], 0x30
	s_load_dwordx2 s[8:9], s[4:5], 0x48
	s_load_dwordx4 s[16:19], s[4:5], 0x60
	s_cmp_lg_u32 s7, 0
	s_cselect_b64 s[10:11], -1, 0
	s_cmp_eq_u32 s7, 0
	s_cselect_b64 vcc, -1, 0
	s_and_b64 s[0:1], vcc, exec
	s_waitcnt lgkmcnt(0)
	s_cselect_b32 s7, s15, s16
	s_add_i32 s0, s7, 1
	s_lshr_b32 s1, s0, 31
	s_add_i32 s0, s0, s1
	s_lshl_b32 s0, s0, 1
	v_lshlrev_b32_e32 v1, 4, v0
	s_and_b32 s22, s0, -4
	v_cmp_gt_i32_e64 s[2:3], s7, v1
	v_mov_b32_e32 v18, 0
	v_mov_b32_e32 v6, 0
	;; [unrolled: 1-line block ×17, first 2 shown]
	s_and_saveexec_b64 s[0:1], s[2:3]
	s_cbranch_execz .LBB998_3
; %bb.2:
	s_load_dwordx2 s[14:15], s[4:5], 0x28
	s_load_dwordx2 s[20:21], s[4:5], 0x40
	s_and_b64 s[26:27], vcc, exec
	s_cselect_b32 s17, s17, s18
	s_mov_b32 s30, s22
	s_waitcnt lgkmcnt(0)
	s_cselect_b32 s19, s15, s25
	s_cselect_b32 s23, s14, s24
	s_mul_hi_i32 s15, s17, s6
	s_mul_i32 s14, s17, s6
	s_lshl_b64 s[14:15], s[14:15], 1
	s_add_u32 s28, s23, s14
	s_addc_u32 s17, s19, s15
	s_and_b64 s[14:15], vcc, exec
	s_mov_b32 s23, 0x20000
	s_cselect_b32 s20, s20, s8
	s_cselect_b32 s14, s21, s9
	s_and_b32 s29, s17, 0xffff
	s_mov_b32 s31, s23
	v_lshlrev_b32_e32 v19, 5, v0
	s_and_b32 s21, s14, 0xffff
	buffer_load_dwordx4 v[14:17], v19, s[28:31], 0 offen
	buffer_load_dwordx4 v[10:13], v19, s[28:31], 16 offen
	;; [unrolled: 1-line block ×4, first 2 shown]
.LBB998_3:
	s_or_b64 exec, exec, s[0:1]
	v_mov_b32_e32 v19, 0
	v_mov_b32_e32 v20, 0
	;; [unrolled: 1-line block ×15, first 2 shown]
	s_and_saveexec_b64 s[0:1], s[2:3]
	s_cbranch_execz .LBB998_5
; %bb.4:
	s_waitcnt vmcnt(3)
	v_cvt_f32_u32_sdwa v18, v14 dst_sel:DWORD dst_unused:UNUSED_PAD src0_sel:WORD_0
	v_cvt_f32_u32_sdwa v19, v14 dst_sel:DWORD dst_unused:UNUSED_PAD src0_sel:WORD_1
	v_cvt_f32_u32_sdwa v20, v15 dst_sel:DWORD dst_unused:UNUSED_PAD src0_sel:WORD_0
	v_cvt_f32_u32_sdwa v21, v15 dst_sel:DWORD dst_unused:UNUSED_PAD src0_sel:WORD_1
	;; [unrolled: 2-line block ×4, first 2 shown]
	s_waitcnt vmcnt(2)
	v_cvt_f32_u32_sdwa v26, v10 dst_sel:DWORD dst_unused:UNUSED_PAD src0_sel:WORD_0
	v_cvt_f32_u32_sdwa v27, v10 dst_sel:DWORD dst_unused:UNUSED_PAD src0_sel:WORD_1
	v_cvt_f32_u32_sdwa v28, v11 dst_sel:DWORD dst_unused:UNUSED_PAD src0_sel:WORD_0
	v_cvt_f32_u32_sdwa v29, v11 dst_sel:DWORD dst_unused:UNUSED_PAD src0_sel:WORD_1
	;; [unrolled: 2-line block ×4, first 2 shown]
.LBB998_5:
	s_or_b64 exec, exec, s[0:1]
	s_waitcnt vmcnt(2)
	v_mul_f32_e32 v10, v19, v19
	v_fmac_f32_e32 v10, v18, v18
	v_fmac_f32_e32 v10, v20, v20
	;; [unrolled: 1-line block ×15, first 2 shown]
	v_and_b32_e32 v12, 63, v0
	v_cmp_eq_u32_e64 s[0:1], 63, v12
	v_mov_b32_dpp v11, v10 quad_perm:[1,0,3,2] row_mask:0xf bank_mask:0xf
	v_add_f32_e32 v10, v10, v11
	s_nop 1
	v_mov_b32_dpp v11, v10 quad_perm:[2,3,0,1] row_mask:0xf bank_mask:0xf
	v_add_f32_e32 v10, v10, v11
	s_nop 1
	v_mov_b32_dpp v11, v10 row_half_mirror row_mask:0xf bank_mask:0xf
	v_add_f32_e32 v10, v10, v11
	s_nop 1
	v_mov_b32_dpp v11, v10 row_mirror row_mask:0xf bank_mask:0xf
	v_add_f32_e32 v10, v10, v11
	s_nop 1
	v_mov_b32_dpp v11, v10 row_bcast:15 row_mask:0xf bank_mask:0xf
	v_add_f32_e32 v10, v10, v11
	s_nop 1
	v_mov_b32_dpp v11, v10 row_bcast:31 row_mask:0xf bank_mask:0xf
	s_and_saveexec_b64 s[14:15], s[0:1]
	s_cbranch_execz .LBB998_7
; %bb.6:
	v_add_f32_e32 v10, v10, v11
	v_lshrrev_b32_e32 v11, 4, v0
	v_and_b32_e32 v11, 60, v11
	ds_write_b32 v11, v10 offset:32
.LBB998_7:
	s_or_b64 exec, exec, s[14:15]
	v_and_b32_e32 v10, 7, v0
	v_lshlrev_b32_e32 v34, 2, v10
	s_waitcnt lgkmcnt(0)
	s_barrier
	ds_read_b32 v10, v34 offset:32
	s_load_dwordx2 s[14:15], s[4:5], 0x18
	s_waitcnt lgkmcnt(0)
	v_mov_b32_dpp v11, v10 quad_perm:[1,0,3,2] row_mask:0xf bank_mask:0xf
	v_add_f32_e32 v10, v10, v11
	s_nop 1
	v_mov_b32_dpp v11, v10 quad_perm:[2,3,0,1] row_mask:0xf bank_mask:0xf
	v_add_f32_e32 v10, v10, v11
	s_nop 1
	v_mov_b32_dpp v11, v10 row_half_mirror row_mask:0xf bank_mask:0xf
	s_and_saveexec_b64 s[20:21], s[2:3]
	s_cbranch_execz .LBB998_9
; %bb.8:
	v_cvt_f32_u32_e32 v12, s7
	v_add_f32_e32 v10, v10, v11
	v_mov_b32_e32 v14, s13
	v_mov_b32_e32 v15, s12
	v_div_scale_f32 v11, s[26:27], v12, v12, v10
	v_rcp_f32_e32 v13, v11
	v_cndmask_b32_e32 v14, v14, v15, vcc
	s_mov_b32 s7, 0x800000
	v_fma_f32 v15, -v11, v13, 1.0
	v_fmac_f32_e32 v13, v15, v13
	v_div_scale_f32 v15, vcc, v10, v12, v10
	v_mul_f32_e32 v16, v15, v13
	v_fma_f32 v17, -v11, v16, v15
	v_fmac_f32_e32 v16, v17, v13
	v_fma_f32 v11, -v11, v16, v15
	v_div_fmas_f32 v11, v11, v13, v16
	v_div_fixup_f32 v10, v11, v12, v10
	v_add_f32_e32 v10, v14, v10
	v_mul_f32_e32 v11, 0x4b800000, v10
	v_cmp_gt_f32_e32 vcc, s7, v10
	v_cndmask_b32_e32 v10, v10, v11, vcc
	v_rsq_f32_e32 v10, v10
	v_mul_f32_e32 v11, 0x45800000, v10
	v_cndmask_b32_e32 v10, v10, v11, vcc
	v_mov_b32_e32 v11, v10
	;;#ASMSTART
	v_pk_mul_f32 v[12:13], v[18:19], v[10:11]
	;;#ASMEND
	;;#ASMSTART
	v_pk_mul_f32 v[14:15], v[20:21], v[10:11]
	;;#ASMEND
	;; [unrolled: 3-line block ×8, first 2 shown]
	s_waitcnt vmcnt(1)
	v_cvt_f32_u32_sdwa v19, v6 dst_sel:DWORD dst_unused:UNUSED_PAD src0_sel:WORD_1
	v_cvt_f32_u32_sdwa v18, v6 dst_sel:DWORD dst_unused:UNUSED_PAD src0_sel:WORD_0
	v_cvt_f32_u32_sdwa v21, v7 dst_sel:DWORD dst_unused:UNUSED_PAD src0_sel:WORD_1
	v_cvt_f32_u32_sdwa v20, v7 dst_sel:DWORD dst_unused:UNUSED_PAD src0_sel:WORD_0
	v_cvt_f32_u32_sdwa v7, v8 dst_sel:DWORD dst_unused:UNUSED_PAD src0_sel:WORD_1
	v_cvt_f32_u32_sdwa v6, v8 dst_sel:DWORD dst_unused:UNUSED_PAD src0_sel:WORD_0
	v_cvt_f32_u32_sdwa v33, v9 dst_sel:DWORD dst_unused:UNUSED_PAD src0_sel:WORD_1
	v_cvt_f32_u32_sdwa v32, v9 dst_sel:DWORD dst_unused:UNUSED_PAD src0_sel:WORD_0
	;;#ASMSTART
	v_pk_mul_f32 v[18:19], v[12:13], v[18:19]
	;;#ASMEND
	;;#ASMSTART
	v_pk_mul_f32 v[20:21], v[14:15], v[20:21]
	;;#ASMEND
	;; [unrolled: 3-line block ×4, first 2 shown]
	s_waitcnt vmcnt(0)
	v_cvt_f32_u32_sdwa v7, v2 dst_sel:DWORD dst_unused:UNUSED_PAD src0_sel:WORD_1
	v_cvt_f32_u32_sdwa v6, v2 dst_sel:DWORD dst_unused:UNUSED_PAD src0_sel:WORD_0
	v_cvt_f32_u32_sdwa v9, v3 dst_sel:DWORD dst_unused:UNUSED_PAD src0_sel:WORD_1
	v_cvt_f32_u32_sdwa v8, v3 dst_sel:DWORD dst_unused:UNUSED_PAD src0_sel:WORD_0
	;; [unrolled: 2-line block ×4, first 2 shown]
	;;#ASMSTART
	v_pk_mul_f32 v[26:27], v[26:27], v[6:7]
	;;#ASMEND
	;;#ASMSTART
	v_pk_mul_f32 v[28:29], v[28:29], v[8:9]
	;;#ASMEND
	;; [unrolled: 3-line block ×4, first 2 shown]
.LBB998_9:
	s_or_b64 exec, exec, s[20:21]
	s_load_dwordx2 s[26:27], s[4:5], 0x7c
	s_mov_b64 s[20:21], -1
	s_and_b64 vcc, exec, s[10:11]
	s_cbranch_vccnz .LBB998_13
; %bb.10:
	s_andn2_b64 vcc, exec, s[20:21]
	s_cbranch_vccz .LBB998_16
.LBB998_11:
	s_cmp_lt_i32 s16, 1
	s_cbranch_scc0 .LBB998_19
.LBB998_12:
	s_endpgm
.LBB998_13:
	s_and_saveexec_b64 s[10:11], s[2:3]
	s_cbranch_execz .LBB998_15
; %bb.14:
	s_waitcnt lgkmcnt(0)
	s_mul_hi_i32 s21, s27, s6
	s_mul_i32 s20, s27, s6
	s_lshl_b64 s[20:21], s[20:21], 1
	s_add_u32 s20, s14, s20
	s_addc_u32 s7, s15, s21
	s_and_b32 s21, s7, 0xffff
	s_mov_b32 s7, 0x7060302
	s_mov_b32 s23, 0x20000
	s_waitcnt vmcnt(0)
	v_perm_b32 v5, v25, v24, s7
	v_perm_b32 v4, v23, v22, s7
	;; [unrolled: 1-line block ×4, first 2 shown]
	v_lshlrev_b32_e32 v6, 5, v0
	buffer_store_dwordx4 v[2:5], v6, s[20:23], 0 offen
	;;#ASMSTART
	s_nop 0
	;;#ASMEND
	s_nop 0
	v_perm_b32 v5, v33, v32, s7
	v_perm_b32 v4, v31, v30, s7
	;; [unrolled: 1-line block ×4, first 2 shown]
	buffer_store_dwordx4 v[2:5], v6, s[20:23], 16 offen
	;;#ASMSTART
	s_nop 0
	;;#ASMEND
.LBB998_15:
	s_or_b64 exec, exec, s[10:11]
	s_cbranch_execnz .LBB998_11
.LBB998_16:
	s_and_saveexec_b64 s[10:11], s[2:3]
	s_cbranch_execz .LBB998_18
; %bb.17:
	s_load_dwordx2 s[2:3], s[4:5], 0x10
	s_waitcnt lgkmcnt(0)
	s_mul_hi_i32 s21, s26, s6
	s_mul_i32 s20, s26, s6
	s_lshl_b64 s[20:21], s[20:21], 1
	s_mov_b32 s23, 0x20000
	s_add_u32 s20, s2, s20
	s_addc_u32 s2, s3, s21
	s_and_b32 s21, s2, 0xffff
	s_mov_b32 s2, 0x7060302
	s_waitcnt vmcnt(0)
	v_perm_b32 v5, v25, v24, s2
	v_perm_b32 v4, v23, v22, s2
	;; [unrolled: 1-line block ×4, first 2 shown]
	v_lshlrev_b32_e32 v6, 5, v0
	buffer_store_dwordx4 v[2:5], v6, s[20:23], 0 offen
	;;#ASMSTART
	s_nop 0
	;;#ASMEND
	s_nop 0
	v_perm_b32 v5, v33, v32, s2
	v_perm_b32 v4, v31, v30, s2
	;; [unrolled: 1-line block ×4, first 2 shown]
	buffer_store_dwordx4 v[2:5], v6, s[20:23], 16 offen
	;;#ASMSTART
	s_nop 0
	;;#ASMEND
.LBB998_18:
	s_or_b64 exec, exec, s[10:11]
	s_cmp_lt_i32 s16, 1
	s_cbranch_scc1 .LBB998_12
.LBB998_19:
	s_load_dword s2, s[4:5], 0x94
	s_waitcnt lgkmcnt(0)
	s_cmp_lg_u32 s2, 1
	s_cbranch_scc1 .LBB998_12
; %bb.20:
	s_lshl_b32 s2, s16, 1
	s_add_i32 s2, s2, 2
	v_cmp_gt_u32_e32 vcc, s16, v1
	s_and_b32 s10, s2, -4
	v_mov_b32_e32 v18, 0
	v_lshlrev_b32_e32 v1, 5, v0
	v_mov_b32_e32 v14, 0
	v_mov_b32_e32 v15, 0
	v_mov_b32_e32 v16, 0
	v_mov_b32_e32 v17, 0
	v_mov_b32_e32 v10, 0
	v_mov_b32_e32 v11, 0
	v_mov_b32_e32 v12, 0
	v_mov_b32_e32 v13, 0
	s_waitcnt vmcnt(1)
	v_mov_b32_e32 v6, 0
	v_mov_b32_e32 v7, 0
	;; [unrolled: 1-line block ×4, first 2 shown]
	s_waitcnt vmcnt(0)
	v_mov_b32_e32 v2, 0
	v_mov_b32_e32 v3, 0
	;; [unrolled: 1-line block ×4, first 2 shown]
	s_barrier
	s_and_saveexec_b64 s[2:3], vcc
	s_cbranch_execz .LBB998_22
; %bb.21:
	s_mul_hi_i32 s5, s18, s6
	s_mul_i32 s4, s18, s6
	s_and_b32 s9, s9, 0xffff
	s_lshl_b64 s[4:5], s[4:5], 1
	s_add_u32 s20, s24, s4
	s_mov_b32 s11, 0x20000
	s_addc_u32 s4, s25, s5
	s_and_b32 s21, s4, 0xffff
	s_mov_b32 s22, s10
	s_mov_b32 s23, s11
	buffer_load_dwordx4 v[14:17], v1, s[20:23], 0 offen
	buffer_load_dwordx4 v[10:13], v1, s[20:23], 16 offen
	;; [unrolled: 1-line block ×4, first 2 shown]
.LBB998_22:
	s_or_b64 exec, exec, s[2:3]
	v_mov_b32_e32 v19, 0
	v_mov_b32_e32 v32, 0
	;; [unrolled: 1-line block ×15, first 2 shown]
	s_and_saveexec_b64 s[2:3], vcc
	s_cbranch_execz .LBB998_24
; %bb.23:
	s_waitcnt vmcnt(3)
	v_cvt_f32_u32_sdwa v18, v14 dst_sel:DWORD dst_unused:UNUSED_PAD src0_sel:WORD_0
	v_cvt_f32_u32_sdwa v19, v14 dst_sel:DWORD dst_unused:UNUSED_PAD src0_sel:WORD_1
	v_cvt_f32_u32_sdwa v32, v15 dst_sel:DWORD dst_unused:UNUSED_PAD src0_sel:WORD_0
	v_cvt_f32_u32_sdwa v33, v15 dst_sel:DWORD dst_unused:UNUSED_PAD src0_sel:WORD_1
	;; [unrolled: 2-line block ×4, first 2 shown]
	s_waitcnt vmcnt(2)
	v_cvt_f32_u32_sdwa v26, v10 dst_sel:DWORD dst_unused:UNUSED_PAD src0_sel:WORD_0
	v_cvt_f32_u32_sdwa v27, v10 dst_sel:DWORD dst_unused:UNUSED_PAD src0_sel:WORD_1
	v_cvt_f32_u32_sdwa v24, v11 dst_sel:DWORD dst_unused:UNUSED_PAD src0_sel:WORD_0
	v_cvt_f32_u32_sdwa v25, v11 dst_sel:DWORD dst_unused:UNUSED_PAD src0_sel:WORD_1
	;; [unrolled: 2-line block ×4, first 2 shown]
.LBB998_24:
	s_or_b64 exec, exec, s[2:3]
	s_waitcnt vmcnt(2)
	v_mul_f32_e32 v10, v19, v19
	v_fmac_f32_e32 v10, v18, v18
	v_fmac_f32_e32 v10, v32, v32
	;; [unrolled: 1-line block ×15, first 2 shown]
	s_nop 1
	v_mov_b32_dpp v11, v10 quad_perm:[1,0,3,2] row_mask:0xf bank_mask:0xf
	v_add_f32_e32 v10, v10, v11
	s_nop 1
	v_mov_b32_dpp v11, v10 quad_perm:[2,3,0,1] row_mask:0xf bank_mask:0xf
	v_add_f32_e32 v10, v10, v11
	s_nop 1
	v_mov_b32_dpp v11, v10 row_half_mirror row_mask:0xf bank_mask:0xf
	v_add_f32_e32 v10, v10, v11
	s_nop 1
	v_mov_b32_dpp v11, v10 row_mirror row_mask:0xf bank_mask:0xf
	v_add_f32_e32 v10, v10, v11
	s_nop 1
	v_mov_b32_dpp v11, v10 row_bcast:15 row_mask:0xf bank_mask:0xf
	v_add_f32_e32 v10, v10, v11
	s_nop 1
	v_mov_b32_dpp v11, v10 row_bcast:31 row_mask:0xf bank_mask:0xf
	s_and_saveexec_b64 s[2:3], s[0:1]
	s_cbranch_execz .LBB998_26
; %bb.25:
	v_lshrrev_b32_e32 v0, 4, v0
	v_add_f32_e32 v10, v10, v11
	v_and_b32_e32 v0, 60, v0
	ds_write_b32 v0, v10
.LBB998_26:
	s_or_b64 exec, exec, s[2:3]
	s_waitcnt lgkmcnt(0)
	s_barrier
	ds_read_b32 v0, v34
	s_waitcnt lgkmcnt(0)
	s_nop 0
	v_mov_b32_dpp v10, v0 quad_perm:[1,0,3,2] row_mask:0xf bank_mask:0xf
	v_add_f32_e32 v0, v0, v10
	s_nop 1
	v_mov_b32_dpp v10, v0 quad_perm:[2,3,0,1] row_mask:0xf bank_mask:0xf
	v_add_f32_e32 v0, v0, v10
	s_nop 1
	v_mov_b32_dpp v10, v0 row_half_mirror row_mask:0xf bank_mask:0xf
	s_and_saveexec_b64 s[0:1], vcc
	s_cbranch_execz .LBB998_12
; %bb.27:
	v_cvt_f32_u32_e32 v11, s16
	v_add_f32_e32 v0, v0, v10
	s_mov_b32 s11, 0x20000
	v_div_scale_f32 v10, s[0:1], v11, v11, v0
	v_rcp_f32_e32 v12, v10
	v_div_scale_f32 v13, vcc, v0, v11, v0
	s_mov_b32 s0, 0x800000
	v_fma_f32 v14, -v10, v12, 1.0
	v_fmac_f32_e32 v12, v14, v12
	v_mul_f32_e32 v14, v13, v12
	v_fma_f32 v15, -v10, v14, v13
	v_fmac_f32_e32 v14, v15, v12
	v_fma_f32 v10, -v10, v14, v13
	v_div_fmas_f32 v10, v10, v12, v14
	v_div_fixup_f32 v0, v10, v11, v0
	v_add_f32_e32 v0, s13, v0
	v_mul_f32_e32 v10, 0x4b800000, v0
	v_cmp_gt_f32_e32 vcc, s0, v0
	v_cndmask_b32_e32 v0, v0, v10, vcc
	v_rsq_f32_e32 v0, v0
	s_mul_hi_i32 s1, s27, s6
	s_mul_i32 s0, s27, s6
	s_lshl_b64 s[0:1], s[0:1], 1
	v_mul_f32_e32 v10, 0x45800000, v0
	v_cndmask_b32_e32 v10, v0, v10, vcc
	v_mov_b32_e32 v11, v10
	s_add_u32 s8, s14, s0
	;;#ASMSTART
	v_pk_mul_f32 v[12:13], v[18:19], v[10:11]
	;;#ASMEND
	;;#ASMSTART
	v_pk_mul_f32 v[14:15], v[32:33], v[10:11]
	;;#ASMEND
	;; [unrolled: 3-line block ×8, first 2 shown]
	s_waitcnt vmcnt(1)
	v_cvt_f32_u32_sdwa v21, v6 dst_sel:DWORD dst_unused:UNUSED_PAD src0_sel:WORD_1
	v_cvt_f32_u32_sdwa v20, v6 dst_sel:DWORD dst_unused:UNUSED_PAD src0_sel:WORD_0
	v_cvt_f32_u32_sdwa v29, v7 dst_sel:DWORD dst_unused:UNUSED_PAD src0_sel:WORD_1
	v_cvt_f32_u32_sdwa v28, v7 dst_sel:DWORD dst_unused:UNUSED_PAD src0_sel:WORD_0
	;; [unrolled: 2-line block ×3, first 2 shown]
	s_addc_u32 s0, s15, s1
	v_cvt_f32_u32_sdwa v31, v9 dst_sel:DWORD dst_unused:UNUSED_PAD src0_sel:WORD_1
	v_cvt_f32_u32_sdwa v30, v9 dst_sel:DWORD dst_unused:UNUSED_PAD src0_sel:WORD_0
	;;#ASMSTART
	v_pk_mul_f32 v[8:9], v[12:13], v[20:21]
	;;#ASMEND
	;;#ASMSTART
	v_pk_mul_f32 v[12:13], v[14:15], v[28:29]
	;;#ASMEND
	;; [unrolled: 3-line block ×4, first 2 shown]
	s_waitcnt vmcnt(0)
	v_cvt_f32_u32_sdwa v17, v2 dst_sel:DWORD dst_unused:UNUSED_PAD src0_sel:WORD_1
	v_cvt_f32_u32_sdwa v16, v2 dst_sel:DWORD dst_unused:UNUSED_PAD src0_sel:WORD_0
	v_cvt_f32_u32_sdwa v19, v3 dst_sel:DWORD dst_unused:UNUSED_PAD src0_sel:WORD_1
	v_cvt_f32_u32_sdwa v18, v3 dst_sel:DWORD dst_unused:UNUSED_PAD src0_sel:WORD_0
	;; [unrolled: 2-line block ×3, first 2 shown]
	s_and_b32 s9, s0, 0xffff
	s_mov_b32 s0, 0x7060302
	v_cvt_f32_u32_sdwa v21, v5 dst_sel:DWORD dst_unused:UNUSED_PAD src0_sel:WORD_1
	v_cvt_f32_u32_sdwa v20, v5 dst_sel:DWORD dst_unused:UNUSED_PAD src0_sel:WORD_0
	;;#ASMSTART
	v_pk_mul_f32 v[16:17], v[26:27], v[16:17]
	;;#ASMEND
	;;#ASMSTART
	v_pk_mul_f32 v[18:19], v[24:25], v[18:19]
	;;#ASMEND
	;; [unrolled: 3-line block ×3, first 2 shown]
	v_perm_b32 v2, v9, v8, s0
	v_perm_b32 v3, v13, v12, s0
	;; [unrolled: 1-line block ×4, first 2 shown]
	;;#ASMSTART
	v_pk_mul_f32 v[10:11], v[10:11], v[20:21]
	;;#ASMEND
	buffer_store_dwordx4 v[2:5], v1, s[8:11], 0 offen
	;;#ASMSTART
	s_nop 0
	;;#ASMEND
	s_nop 0
	v_perm_b32 v2, v17, v16, s0
	v_perm_b32 v3, v19, v18, s0
	;; [unrolled: 1-line block ×4, first 2 shown]
	buffer_store_dwordx4 v[2:5], v1, s[8:11], 16 offen
	;;#ASMSTART
	s_nop 0
	;;#ASMEND
	s_endpgm
	.section	.rodata,"a",@progbits
	.p2align	6, 0x0
	.amdhsa_kernel _ZN5aiter35fused_qk_rmsnorm_group_quant_kernelItDB8_Li512ELi16ELi2ELb0ELb1ELb0ELb1ELb0ELb0EEEvPT0_PvPT_S6_S6_PKS5_S8_S8_S8_S8_ffiiiiiiiiiiiii
		.amdhsa_group_segment_fixed_size 64
		.amdhsa_private_segment_fixed_size 0
		.amdhsa_kernarg_size 400
		.amdhsa_user_sgpr_count 6
		.amdhsa_user_sgpr_private_segment_buffer 1
		.amdhsa_user_sgpr_dispatch_ptr 0
		.amdhsa_user_sgpr_queue_ptr 0
		.amdhsa_user_sgpr_kernarg_segment_ptr 1
		.amdhsa_user_sgpr_dispatch_id 0
		.amdhsa_user_sgpr_flat_scratch_init 0
		.amdhsa_user_sgpr_kernarg_preload_length 0
		.amdhsa_user_sgpr_kernarg_preload_offset 0
		.amdhsa_user_sgpr_private_segment_size 0
		.amdhsa_uses_dynamic_stack 0
		.amdhsa_system_sgpr_private_segment_wavefront_offset 0
		.amdhsa_system_sgpr_workgroup_id_x 1
		.amdhsa_system_sgpr_workgroup_id_y 1
		.amdhsa_system_sgpr_workgroup_id_z 0
		.amdhsa_system_sgpr_workgroup_info 0
		.amdhsa_system_vgpr_workitem_id 0
		.amdhsa_next_free_vgpr 35
		.amdhsa_next_free_sgpr 32
		.amdhsa_accum_offset 36
		.amdhsa_reserve_vcc 1
		.amdhsa_reserve_flat_scratch 0
		.amdhsa_float_round_mode_32 0
		.amdhsa_float_round_mode_16_64 0
		.amdhsa_float_denorm_mode_32 3
		.amdhsa_float_denorm_mode_16_64 3
		.amdhsa_dx10_clamp 1
		.amdhsa_ieee_mode 1
		.amdhsa_fp16_overflow 0
		.amdhsa_tg_split 0
		.amdhsa_exception_fp_ieee_invalid_op 0
		.amdhsa_exception_fp_denorm_src 0
		.amdhsa_exception_fp_ieee_div_zero 0
		.amdhsa_exception_fp_ieee_overflow 0
		.amdhsa_exception_fp_ieee_underflow 0
		.amdhsa_exception_fp_ieee_inexact 0
		.amdhsa_exception_int_div_zero 0
	.end_amdhsa_kernel
	.section	.text._ZN5aiter35fused_qk_rmsnorm_group_quant_kernelItDB8_Li512ELi16ELi2ELb0ELb1ELb0ELb1ELb0ELb0EEEvPT0_PvPT_S6_S6_PKS5_S8_S8_S8_S8_ffiiiiiiiiiiiii,"axG",@progbits,_ZN5aiter35fused_qk_rmsnorm_group_quant_kernelItDB8_Li512ELi16ELi2ELb0ELb1ELb0ELb1ELb0ELb0EEEvPT0_PvPT_S6_S6_PKS5_S8_S8_S8_S8_ffiiiiiiiiiiiii,comdat
.Lfunc_end998:
	.size	_ZN5aiter35fused_qk_rmsnorm_group_quant_kernelItDB8_Li512ELi16ELi2ELb0ELb1ELb0ELb1ELb0ELb0EEEvPT0_PvPT_S6_S6_PKS5_S8_S8_S8_S8_ffiiiiiiiiiiiii, .Lfunc_end998-_ZN5aiter35fused_qk_rmsnorm_group_quant_kernelItDB8_Li512ELi16ELi2ELb0ELb1ELb0ELb1ELb0ELb0EEEvPT0_PvPT_S6_S6_PKS5_S8_S8_S8_S8_ffiiiiiiiiiiiii
                                        ; -- End function
	.section	.AMDGPU.csdata,"",@progbits
; Kernel info:
; codeLenInByte = 2844
; NumSgprs: 36
; NumVgprs: 35
; NumAgprs: 0
; TotalNumVgprs: 35
; ScratchSize: 0
; MemoryBound: 0
; FloatMode: 240
; IeeeMode: 1
; LDSByteSize: 64 bytes/workgroup (compile time only)
; SGPRBlocks: 4
; VGPRBlocks: 4
; NumSGPRsForWavesPerEU: 36
; NumVGPRsForWavesPerEU: 35
; AccumOffset: 36
; Occupancy: 8
; WaveLimiterHint : 0
; COMPUTE_PGM_RSRC2:SCRATCH_EN: 0
; COMPUTE_PGM_RSRC2:USER_SGPR: 6
; COMPUTE_PGM_RSRC2:TRAP_HANDLER: 0
; COMPUTE_PGM_RSRC2:TGID_X_EN: 1
; COMPUTE_PGM_RSRC2:TGID_Y_EN: 1
; COMPUTE_PGM_RSRC2:TGID_Z_EN: 0
; COMPUTE_PGM_RSRC2:TIDIG_COMP_CNT: 0
; COMPUTE_PGM_RSRC3_GFX90A:ACCUM_OFFSET: 8
; COMPUTE_PGM_RSRC3_GFX90A:TG_SPLIT: 0
	.section	.text._ZN5aiter35fused_qk_rmsnorm_group_quant_kernelIDF16_N4opus5fp4_tELi512ELi16ELi2ELb0ELb1ELb0ELb1ELb0ELb0EEEvPT0_PvPT_S7_S7_PKS6_S9_S9_S9_S9_ffiiiiiiiiiiiii,"axG",@progbits,_ZN5aiter35fused_qk_rmsnorm_group_quant_kernelIDF16_N4opus5fp4_tELi512ELi16ELi2ELb0ELb1ELb0ELb1ELb0ELb0EEEvPT0_PvPT_S7_S7_PKS6_S9_S9_S9_S9_ffiiiiiiiiiiiii,comdat
	.protected	_ZN5aiter35fused_qk_rmsnorm_group_quant_kernelIDF16_N4opus5fp4_tELi512ELi16ELi2ELb0ELb1ELb0ELb1ELb0ELb0EEEvPT0_PvPT_S7_S7_PKS6_S9_S9_S9_S9_ffiiiiiiiiiiiii ; -- Begin function _ZN5aiter35fused_qk_rmsnorm_group_quant_kernelIDF16_N4opus5fp4_tELi512ELi16ELi2ELb0ELb1ELb0ELb1ELb0ELb0EEEvPT0_PvPT_S7_S7_PKS6_S9_S9_S9_S9_ffiiiiiiiiiiiii
	.globl	_ZN5aiter35fused_qk_rmsnorm_group_quant_kernelIDF16_N4opus5fp4_tELi512ELi16ELi2ELb0ELb1ELb0ELb1ELb0ELb0EEEvPT0_PvPT_S7_S7_PKS6_S9_S9_S9_S9_ffiiiiiiiiiiiii
	.p2align	8
	.type	_ZN5aiter35fused_qk_rmsnorm_group_quant_kernelIDF16_N4opus5fp4_tELi512ELi16ELi2ELb0ELb1ELb0ELb1ELb0ELb0EEEvPT0_PvPT_S7_S7_PKS6_S9_S9_S9_S9_ffiiiiiiiiiiiii,@function
_ZN5aiter35fused_qk_rmsnorm_group_quant_kernelIDF16_N4opus5fp4_tELi512ELi16ELi2ELb0ELb1ELb0ELb1ELb0ELb0EEEvPT0_PvPT_S7_S7_PKS6_S9_S9_S9_S9_ffiiiiiiiiiiiii: ; @_ZN5aiter35fused_qk_rmsnorm_group_quant_kernelIDF16_N4opus5fp4_tELi512ELi16ELi2ELb0ELb1ELb0ELb1ELb0ELb0EEEvPT0_PvPT_S7_S7_PKS6_S9_S9_S9_S9_ffiiiiiiiiiiiii
; %bb.0:
	s_load_dwordx4 s[12:15], s[4:5], 0x50
	s_waitcnt lgkmcnt(0)
	s_cmp_ge_i32 s6, s14
	s_cbranch_scc1 .LBB999_12
; %bb.1:
	s_load_dwordx2 s[24:25], s[4:5], 0x30
	s_load_dwordx2 s[8:9], s[4:5], 0x48
	s_load_dwordx4 s[16:19], s[4:5], 0x60
	s_cmp_lg_u32 s7, 0
	s_cselect_b64 s[10:11], -1, 0
	s_cmp_eq_u32 s7, 0
	s_cselect_b64 vcc, -1, 0
	s_and_b64 s[0:1], vcc, exec
	s_waitcnt lgkmcnt(0)
	s_cselect_b32 s7, s15, s16
	s_add_i32 s0, s7, 1
	s_lshr_b32 s1, s0, 31
	s_add_i32 s0, s0, s1
	s_lshl_b32 s0, s0, 1
	v_lshlrev_b32_e32 v1, 4, v0
	s_and_b32 s22, s0, -4
	v_cmp_gt_i32_e64 s[2:3], s7, v1
	v_mov_b32_e32 v18, 0
	v_mov_b32_e32 v6, 0
	;; [unrolled: 1-line block ×17, first 2 shown]
	s_and_saveexec_b64 s[0:1], s[2:3]
	s_cbranch_execz .LBB999_3
; %bb.2:
	s_load_dwordx2 s[14:15], s[4:5], 0x28
	s_load_dwordx2 s[20:21], s[4:5], 0x40
	s_and_b64 s[26:27], vcc, exec
	s_cselect_b32 s17, s17, s18
	s_mov_b32 s30, s22
	s_waitcnt lgkmcnt(0)
	s_cselect_b32 s19, s15, s25
	s_cselect_b32 s23, s14, s24
	s_mul_hi_i32 s15, s17, s6
	s_mul_i32 s14, s17, s6
	s_lshl_b64 s[14:15], s[14:15], 1
	s_add_u32 s28, s23, s14
	s_addc_u32 s17, s19, s15
	s_and_b64 s[14:15], vcc, exec
	s_mov_b32 s23, 0x20000
	s_cselect_b32 s20, s20, s8
	s_cselect_b32 s14, s21, s9
	s_and_b32 s29, s17, 0xffff
	s_mov_b32 s31, s23
	v_lshlrev_b32_e32 v19, 5, v0
	s_and_b32 s21, s14, 0xffff
	buffer_load_dwordx4 v[14:17], v19, s[28:31], 0 offen
	buffer_load_dwordx4 v[10:13], v19, s[28:31], 16 offen
	buffer_load_dwordx4 v[6:9], v19, s[20:23], 0 offen
	buffer_load_dwordx4 v[2:5], v19, s[20:23], 16 offen
.LBB999_3:
	s_or_b64 exec, exec, s[0:1]
	v_mov_b32_e32 v19, 0
	v_mov_b32_e32 v20, 0
	;; [unrolled: 1-line block ×15, first 2 shown]
	s_and_saveexec_b64 s[0:1], s[2:3]
	s_cbranch_execz .LBB999_5
; %bb.4:
	s_waitcnt vmcnt(3)
	v_cvt_f32_f16_sdwa v19, v14 dst_sel:DWORD dst_unused:UNUSED_PAD src0_sel:WORD_1
	v_cvt_f32_f16_e32 v18, v14
	v_cvt_f32_f16_sdwa v21, v15 dst_sel:DWORD dst_unused:UNUSED_PAD src0_sel:WORD_1
	v_cvt_f32_f16_e32 v20, v15
	;; [unrolled: 2-line block ×4, first 2 shown]
	s_waitcnt vmcnt(2)
	v_cvt_f32_f16_sdwa v25, v10 dst_sel:DWORD dst_unused:UNUSED_PAD src0_sel:WORD_1
	v_cvt_f32_f16_e32 v24, v10
	v_cvt_f32_f16_sdwa v29, v11 dst_sel:DWORD dst_unused:UNUSED_PAD src0_sel:WORD_1
	v_cvt_f32_f16_e32 v28, v11
	;; [unrolled: 2-line block ×4, first 2 shown]
.LBB999_5:
	s_or_b64 exec, exec, s[0:1]
	s_waitcnt vmcnt(2)
	v_mul_f32_e32 v10, v19, v19
	v_fmac_f32_e32 v10, v18, v18
	v_fmac_f32_e32 v10, v20, v20
	;; [unrolled: 1-line block ×15, first 2 shown]
	v_and_b32_e32 v12, 63, v0
	v_cmp_eq_u32_e64 s[0:1], 63, v12
	v_mov_b32_dpp v11, v10 quad_perm:[1,0,3,2] row_mask:0xf bank_mask:0xf
	v_add_f32_e32 v10, v10, v11
	s_nop 1
	v_mov_b32_dpp v11, v10 quad_perm:[2,3,0,1] row_mask:0xf bank_mask:0xf
	v_add_f32_e32 v10, v10, v11
	s_nop 1
	v_mov_b32_dpp v11, v10 row_half_mirror row_mask:0xf bank_mask:0xf
	v_add_f32_e32 v10, v10, v11
	s_nop 1
	v_mov_b32_dpp v11, v10 row_mirror row_mask:0xf bank_mask:0xf
	v_add_f32_e32 v10, v10, v11
	s_nop 1
	v_mov_b32_dpp v11, v10 row_bcast:15 row_mask:0xf bank_mask:0xf
	v_add_f32_e32 v10, v10, v11
	s_nop 1
	v_mov_b32_dpp v11, v10 row_bcast:31 row_mask:0xf bank_mask:0xf
	s_and_saveexec_b64 s[14:15], s[0:1]
	s_cbranch_execz .LBB999_7
; %bb.6:
	v_add_f32_e32 v10, v10, v11
	v_lshrrev_b32_e32 v11, 4, v0
	v_and_b32_e32 v11, 60, v11
	ds_write_b32 v11, v10 offset:32
.LBB999_7:
	s_or_b64 exec, exec, s[14:15]
	v_and_b32_e32 v10, 7, v0
	v_lshlrev_b32_e32 v34, 2, v10
	s_waitcnt lgkmcnt(0)
	s_barrier
	ds_read_b32 v10, v34 offset:32
	s_load_dwordx2 s[14:15], s[4:5], 0x18
	s_waitcnt lgkmcnt(0)
	v_mov_b32_dpp v11, v10 quad_perm:[1,0,3,2] row_mask:0xf bank_mask:0xf
	v_add_f32_e32 v10, v10, v11
	s_nop 1
	v_mov_b32_dpp v11, v10 quad_perm:[2,3,0,1] row_mask:0xf bank_mask:0xf
	v_add_f32_e32 v10, v10, v11
	s_nop 1
	v_mov_b32_dpp v11, v10 row_half_mirror row_mask:0xf bank_mask:0xf
	s_and_saveexec_b64 s[20:21], s[2:3]
	s_cbranch_execz .LBB999_9
; %bb.8:
	v_cvt_f32_u32_e32 v12, s7
	v_add_f32_e32 v10, v10, v11
	v_mov_b32_e32 v14, s13
	v_mov_b32_e32 v15, s12
	v_div_scale_f32 v11, s[26:27], v12, v12, v10
	v_rcp_f32_e32 v13, v11
	v_cndmask_b32_e32 v14, v14, v15, vcc
	s_mov_b32 s7, 0x800000
	v_fma_f32 v15, -v11, v13, 1.0
	v_fmac_f32_e32 v13, v15, v13
	v_div_scale_f32 v15, vcc, v10, v12, v10
	v_mul_f32_e32 v16, v15, v13
	v_fma_f32 v17, -v11, v16, v15
	v_fmac_f32_e32 v16, v17, v13
	v_fma_f32 v11, -v11, v16, v15
	v_div_fmas_f32 v11, v11, v13, v16
	v_div_fixup_f32 v10, v11, v12, v10
	v_add_f32_e32 v10, v14, v10
	v_mul_f32_e32 v11, 0x4b800000, v10
	v_cmp_gt_f32_e32 vcc, s7, v10
	v_cndmask_b32_e32 v10, v10, v11, vcc
	v_rsq_f32_e32 v10, v10
	v_mul_f32_e32 v11, 0x45800000, v10
	v_cndmask_b32_e32 v10, v10, v11, vcc
	v_mov_b32_e32 v11, v10
	;;#ASMSTART
	v_pk_mul_f32 v[12:13], v[18:19], v[10:11]
	;;#ASMEND
	;;#ASMSTART
	v_pk_mul_f32 v[14:15], v[20:21], v[10:11]
	;;#ASMEND
	;; [unrolled: 3-line block ×8, first 2 shown]
	s_waitcnt vmcnt(1)
	v_cvt_f32_f16_sdwa v19, v6 dst_sel:DWORD dst_unused:UNUSED_PAD src0_sel:WORD_1
	v_cvt_f32_f16_e32 v18, v6
	v_cvt_f32_f16_sdwa v21, v7 dst_sel:DWORD dst_unused:UNUSED_PAD src0_sel:WORD_1
	v_cvt_f32_f16_e32 v20, v7
	;; [unrolled: 2-line block ×4, first 2 shown]
	;;#ASMSTART
	v_pk_mul_f32 v[18:19], v[12:13], v[18:19]
	;;#ASMEND
	;;#ASMSTART
	v_pk_mul_f32 v[20:21], v[14:15], v[20:21]
	;;#ASMEND
	;; [unrolled: 3-line block ×4, first 2 shown]
	s_waitcnt vmcnt(0)
	v_cvt_f32_f16_sdwa v7, v2 dst_sel:DWORD dst_unused:UNUSED_PAD src0_sel:WORD_1
	v_cvt_f32_f16_e32 v6, v2
	v_cvt_f32_f16_sdwa v9, v3 dst_sel:DWORD dst_unused:UNUSED_PAD src0_sel:WORD_1
	v_cvt_f32_f16_e32 v8, v3
	;; [unrolled: 2-line block ×4, first 2 shown]
	;;#ASMSTART
	v_pk_mul_f32 v[24:25], v[24:25], v[6:7]
	;;#ASMEND
	;;#ASMSTART
	v_pk_mul_f32 v[28:29], v[28:29], v[8:9]
	;;#ASMEND
	;; [unrolled: 3-line block ×4, first 2 shown]
.LBB999_9:
	s_or_b64 exec, exec, s[20:21]
	s_load_dwordx2 s[26:27], s[4:5], 0x7c
	s_mov_b64 s[20:21], -1
	s_and_b64 vcc, exec, s[10:11]
	s_cbranch_vccnz .LBB999_13
; %bb.10:
	s_andn2_b64 vcc, exec, s[20:21]
	s_cbranch_vccz .LBB999_16
.LBB999_11:
	s_cmp_lt_i32 s16, 1
	s_cbranch_scc0 .LBB999_19
.LBB999_12:
	s_endpgm
.LBB999_13:
	s_and_saveexec_b64 s[10:11], s[2:3]
	s_cbranch_execz .LBB999_15
; %bb.14:
	s_waitcnt lgkmcnt(0)
	s_mul_hi_i32 s21, s27, s6
	s_mul_i32 s20, s27, s6
	s_waitcnt vmcnt(0)
	v_cvt_f16_f32_e32 v2, v18
	v_cvt_f16_f32_e32 v3, v20
	;; [unrolled: 1-line block ×8, first 2 shown]
	s_lshl_b64 s[20:21], s[20:21], 1
	s_add_u32 s20, s14, s20
	s_addc_u32 s7, s15, s21
	s_and_b32 s21, s7, 0xffff
	s_mov_b32 s23, 0x20000
	v_pack_b32_f16 v5, v5, v6
	v_pack_b32_f16 v4, v4, v7
	;; [unrolled: 1-line block ×4, first 2 shown]
	v_lshlrev_b32_e32 v6, 5, v0
	buffer_store_dwordx4 v[2:5], v6, s[20:23], 0 offen
	v_cvt_f16_f32_e32 v7, v33
	v_cvt_f16_f32_e32 v2, v24
	;; [unrolled: 1-line block ×8, first 2 shown]
	v_pack_b32_f16 v5, v5, v7
	v_pack_b32_f16 v4, v4, v8
	;; [unrolled: 1-line block ×4, first 2 shown]
	;;#ASMSTART
	s_nop 0
	;;#ASMEND
	buffer_store_dwordx4 v[2:5], v6, s[20:23], 16 offen
	;;#ASMSTART
	s_nop 0
	;;#ASMEND
.LBB999_15:
	s_or_b64 exec, exec, s[10:11]
	s_cbranch_execnz .LBB999_11
.LBB999_16:
	s_and_saveexec_b64 s[10:11], s[2:3]
	s_cbranch_execz .LBB999_18
; %bb.17:
	s_load_dwordx2 s[2:3], s[4:5], 0x10
	s_waitcnt lgkmcnt(0)
	s_mul_hi_i32 s21, s26, s6
	s_mul_i32 s20, s26, s6
	s_waitcnt vmcnt(0)
	v_cvt_f16_f32_e32 v2, v18
	v_cvt_f16_f32_e32 v3, v20
	;; [unrolled: 1-line block ×8, first 2 shown]
	s_lshl_b64 s[20:21], s[20:21], 1
	s_add_u32 s20, s2, s20
	s_addc_u32 s2, s3, s21
	s_mov_b32 s23, 0x20000
	s_and_b32 s21, s2, 0xffff
	v_pack_b32_f16 v5, v5, v6
	v_pack_b32_f16 v4, v4, v7
	;; [unrolled: 1-line block ×4, first 2 shown]
	v_lshlrev_b32_e32 v6, 5, v0
	buffer_store_dwordx4 v[2:5], v6, s[20:23], 0 offen
	v_cvt_f16_f32_e32 v7, v33
	v_cvt_f16_f32_e32 v2, v24
	;; [unrolled: 1-line block ×8, first 2 shown]
	v_pack_b32_f16 v5, v5, v7
	v_pack_b32_f16 v4, v4, v8
	;; [unrolled: 1-line block ×4, first 2 shown]
	;;#ASMSTART
	s_nop 0
	;;#ASMEND
	buffer_store_dwordx4 v[2:5], v6, s[20:23], 16 offen
	;;#ASMSTART
	s_nop 0
	;;#ASMEND
.LBB999_18:
	s_or_b64 exec, exec, s[10:11]
	s_cmp_lt_i32 s16, 1
	s_cbranch_scc1 .LBB999_12
.LBB999_19:
	s_load_dword s2, s[4:5], 0x94
	s_waitcnt lgkmcnt(0)
	s_cmp_lg_u32 s2, 1
	s_cbranch_scc1 .LBB999_12
; %bb.20:
	s_lshl_b32 s2, s16, 1
	s_add_i32 s2, s2, 2
	v_cmp_gt_u32_e32 vcc, s16, v1
	s_and_b32 s10, s2, -4
	v_mov_b32_e32 v18, 0
	v_lshlrev_b32_e32 v1, 5, v0
	v_mov_b32_e32 v14, 0
	v_mov_b32_e32 v15, 0
	;; [unrolled: 1-line block ×8, first 2 shown]
	s_waitcnt vmcnt(1)
	v_mov_b32_e32 v6, 0
	v_mov_b32_e32 v7, 0
	;; [unrolled: 1-line block ×4, first 2 shown]
	s_waitcnt vmcnt(0)
	v_mov_b32_e32 v2, 0
	v_mov_b32_e32 v3, 0
	;; [unrolled: 1-line block ×4, first 2 shown]
	s_barrier
	s_and_saveexec_b64 s[2:3], vcc
	s_cbranch_execz .LBB999_22
; %bb.21:
	s_mul_hi_i32 s5, s18, s6
	s_mul_i32 s4, s18, s6
	s_and_b32 s9, s9, 0xffff
	s_lshl_b64 s[4:5], s[4:5], 1
	s_add_u32 s20, s24, s4
	s_mov_b32 s11, 0x20000
	s_addc_u32 s4, s25, s5
	s_and_b32 s21, s4, 0xffff
	s_mov_b32 s22, s10
	s_mov_b32 s23, s11
	buffer_load_dwordx4 v[14:17], v1, s[20:23], 0 offen
	buffer_load_dwordx4 v[10:13], v1, s[20:23], 16 offen
	;; [unrolled: 1-line block ×4, first 2 shown]
.LBB999_22:
	s_or_b64 exec, exec, s[2:3]
	v_mov_b32_e32 v19, 0
	v_mov_b32_e32 v32, 0
	;; [unrolled: 1-line block ×15, first 2 shown]
	s_and_saveexec_b64 s[2:3], vcc
	s_cbranch_execz .LBB999_24
; %bb.23:
	s_waitcnt vmcnt(3)
	v_cvt_f32_f16_sdwa v19, v14 dst_sel:DWORD dst_unused:UNUSED_PAD src0_sel:WORD_1
	v_cvt_f32_f16_e32 v18, v14
	v_cvt_f32_f16_sdwa v33, v15 dst_sel:DWORD dst_unused:UNUSED_PAD src0_sel:WORD_1
	v_cvt_f32_f16_e32 v32, v15
	;; [unrolled: 2-line block ×4, first 2 shown]
	s_waitcnt vmcnt(2)
	v_cvt_f32_f16_sdwa v27, v10 dst_sel:DWORD dst_unused:UNUSED_PAD src0_sel:WORD_1
	v_cvt_f32_f16_e32 v26, v10
	v_cvt_f32_f16_sdwa v25, v11 dst_sel:DWORD dst_unused:UNUSED_PAD src0_sel:WORD_1
	v_cvt_f32_f16_e32 v24, v11
	;; [unrolled: 2-line block ×4, first 2 shown]
.LBB999_24:
	s_or_b64 exec, exec, s[2:3]
	s_waitcnt vmcnt(2)
	v_mul_f32_e32 v10, v19, v19
	v_fmac_f32_e32 v10, v18, v18
	v_fmac_f32_e32 v10, v32, v32
	;; [unrolled: 1-line block ×15, first 2 shown]
	s_nop 1
	v_mov_b32_dpp v11, v10 quad_perm:[1,0,3,2] row_mask:0xf bank_mask:0xf
	v_add_f32_e32 v10, v10, v11
	s_nop 1
	v_mov_b32_dpp v11, v10 quad_perm:[2,3,0,1] row_mask:0xf bank_mask:0xf
	v_add_f32_e32 v10, v10, v11
	s_nop 1
	v_mov_b32_dpp v11, v10 row_half_mirror row_mask:0xf bank_mask:0xf
	v_add_f32_e32 v10, v10, v11
	s_nop 1
	v_mov_b32_dpp v11, v10 row_mirror row_mask:0xf bank_mask:0xf
	v_add_f32_e32 v10, v10, v11
	s_nop 1
	v_mov_b32_dpp v11, v10 row_bcast:15 row_mask:0xf bank_mask:0xf
	v_add_f32_e32 v10, v10, v11
	s_nop 1
	v_mov_b32_dpp v11, v10 row_bcast:31 row_mask:0xf bank_mask:0xf
	s_and_saveexec_b64 s[2:3], s[0:1]
	s_cbranch_execz .LBB999_26
; %bb.25:
	v_lshrrev_b32_e32 v0, 4, v0
	v_add_f32_e32 v10, v10, v11
	v_and_b32_e32 v0, 60, v0
	ds_write_b32 v0, v10
.LBB999_26:
	s_or_b64 exec, exec, s[2:3]
	s_waitcnt lgkmcnt(0)
	s_barrier
	ds_read_b32 v0, v34
	s_waitcnt lgkmcnt(0)
	s_nop 0
	v_mov_b32_dpp v10, v0 quad_perm:[1,0,3,2] row_mask:0xf bank_mask:0xf
	v_add_f32_e32 v0, v0, v10
	s_nop 1
	v_mov_b32_dpp v10, v0 quad_perm:[2,3,0,1] row_mask:0xf bank_mask:0xf
	v_add_f32_e32 v0, v0, v10
	s_nop 1
	v_mov_b32_dpp v10, v0 row_half_mirror row_mask:0xf bank_mask:0xf
	s_and_saveexec_b64 s[0:1], vcc
	s_cbranch_execz .LBB999_12
; %bb.27:
	v_cvt_f32_u32_e32 v11, s16
	v_add_f32_e32 v0, v0, v10
	s_mov_b32 s11, 0x20000
	v_div_scale_f32 v10, s[0:1], v11, v11, v0
	v_rcp_f32_e32 v12, v10
	v_div_scale_f32 v13, vcc, v0, v11, v0
	s_mov_b32 s0, 0x800000
	v_fma_f32 v14, -v10, v12, 1.0
	v_fmac_f32_e32 v12, v14, v12
	v_mul_f32_e32 v14, v13, v12
	v_fma_f32 v15, -v10, v14, v13
	v_fmac_f32_e32 v14, v15, v12
	v_fma_f32 v10, -v10, v14, v13
	v_div_fmas_f32 v10, v10, v12, v14
	v_div_fixup_f32 v0, v10, v11, v0
	v_add_f32_e32 v0, s13, v0
	v_mul_f32_e32 v10, 0x4b800000, v0
	v_cmp_gt_f32_e32 vcc, s0, v0
	v_cndmask_b32_e32 v0, v0, v10, vcc
	v_rsq_f32_e32 v0, v0
	s_mul_hi_i32 s1, s27, s6
	s_mul_i32 s0, s27, s6
	s_lshl_b64 s[0:1], s[0:1], 1
	v_mul_f32_e32 v10, 0x45800000, v0
	v_cndmask_b32_e32 v10, v0, v10, vcc
	v_mov_b32_e32 v11, v10
	;;#ASMSTART
	v_pk_mul_f32 v[12:13], v[18:19], v[10:11]
	;;#ASMEND
	;;#ASMSTART
	v_pk_mul_f32 v[14:15], v[32:33], v[10:11]
	;;#ASMEND
	;; [unrolled: 3-line block ×8, first 2 shown]
	s_waitcnt vmcnt(1)
	v_cvt_f32_f16_sdwa v21, v6 dst_sel:DWORD dst_unused:UNUSED_PAD src0_sel:WORD_1
	v_cvt_f32_f16_e32 v20, v6
	v_cvt_f32_f16_sdwa v29, v7 dst_sel:DWORD dst_unused:UNUSED_PAD src0_sel:WORD_1
	v_cvt_f32_f16_e32 v28, v7
	;; [unrolled: 2-line block ×4, first 2 shown]
	;;#ASMSTART
	v_pk_mul_f32 v[8:9], v[12:13], v[20:21]
	;;#ASMEND
	;;#ASMSTART
	v_pk_mul_f32 v[12:13], v[14:15], v[28:29]
	;;#ASMEND
	;; [unrolled: 3-line block ×4, first 2 shown]
	s_waitcnt vmcnt(0)
	v_cvt_f32_f16_sdwa v17, v2 dst_sel:DWORD dst_unused:UNUSED_PAD src0_sel:WORD_1
	v_cvt_f32_f16_e32 v16, v2
	v_cvt_f32_f16_sdwa v19, v3 dst_sel:DWORD dst_unused:UNUSED_PAD src0_sel:WORD_1
	v_cvt_f32_f16_e32 v18, v3
	;; [unrolled: 2-line block ×4, first 2 shown]
	;;#ASMSTART
	v_pk_mul_f32 v[16:17], v[26:27], v[16:17]
	;;#ASMEND
	;;#ASMSTART
	v_pk_mul_f32 v[18:19], v[24:25], v[18:19]
	;;#ASMEND
	;; [unrolled: 3-line block ×3, first 2 shown]
	v_cvt_f16_f32_e32 v0, v8
	v_cvt_f16_f32_e32 v2, v9
	;; [unrolled: 1-line block ×8, first 2 shown]
	s_add_u32 s8, s14, s0
	s_addc_u32 s0, s15, s1
	s_and_b32 s9, s0, 0xffff
	v_pack_b32_f16 v2, v0, v2
	v_pack_b32_f16 v3, v3, v4
	;; [unrolled: 1-line block ×4, first 2 shown]
	;;#ASMSTART
	v_pk_mul_f32 v[10:11], v[10:11], v[20:21]
	;;#ASMEND
	buffer_store_dwordx4 v[2:5], v1, s[8:11], 0 offen
	v_cvt_f16_f32_e32 v0, v16
	v_cvt_f16_f32_e32 v2, v17
	;; [unrolled: 1-line block ×8, first 2 shown]
	v_pack_b32_f16 v2, v0, v2
	v_pack_b32_f16 v3, v3, v4
	v_pack_b32_f16 v4, v5, v6
	v_pack_b32_f16 v5, v7, v8
	;;#ASMSTART
	s_nop 0
	;;#ASMEND
	buffer_store_dwordx4 v[2:5], v1, s[8:11], 16 offen
	;;#ASMSTART
	s_nop 0
	;;#ASMEND
	s_endpgm
	.section	.rodata,"a",@progbits
	.p2align	6, 0x0
	.amdhsa_kernel _ZN5aiter35fused_qk_rmsnorm_group_quant_kernelIDF16_N4opus5fp4_tELi512ELi16ELi2ELb0ELb1ELb0ELb1ELb0ELb0EEEvPT0_PvPT_S7_S7_PKS6_S9_S9_S9_S9_ffiiiiiiiiiiiii
		.amdhsa_group_segment_fixed_size 64
		.amdhsa_private_segment_fixed_size 0
		.amdhsa_kernarg_size 400
		.amdhsa_user_sgpr_count 6
		.amdhsa_user_sgpr_private_segment_buffer 1
		.amdhsa_user_sgpr_dispatch_ptr 0
		.amdhsa_user_sgpr_queue_ptr 0
		.amdhsa_user_sgpr_kernarg_segment_ptr 1
		.amdhsa_user_sgpr_dispatch_id 0
		.amdhsa_user_sgpr_flat_scratch_init 0
		.amdhsa_user_sgpr_kernarg_preload_length 0
		.amdhsa_user_sgpr_kernarg_preload_offset 0
		.amdhsa_user_sgpr_private_segment_size 0
		.amdhsa_uses_dynamic_stack 0
		.amdhsa_system_sgpr_private_segment_wavefront_offset 0
		.amdhsa_system_sgpr_workgroup_id_x 1
		.amdhsa_system_sgpr_workgroup_id_y 1
		.amdhsa_system_sgpr_workgroup_id_z 0
		.amdhsa_system_sgpr_workgroup_info 0
		.amdhsa_system_vgpr_workitem_id 0
		.amdhsa_next_free_vgpr 35
		.amdhsa_next_free_sgpr 32
		.amdhsa_accum_offset 36
		.amdhsa_reserve_vcc 1
		.amdhsa_reserve_flat_scratch 0
		.amdhsa_float_round_mode_32 0
		.amdhsa_float_round_mode_16_64 0
		.amdhsa_float_denorm_mode_32 3
		.amdhsa_float_denorm_mode_16_64 3
		.amdhsa_dx10_clamp 1
		.amdhsa_ieee_mode 1
		.amdhsa_fp16_overflow 0
		.amdhsa_tg_split 0
		.amdhsa_exception_fp_ieee_invalid_op 0
		.amdhsa_exception_fp_denorm_src 0
		.amdhsa_exception_fp_ieee_div_zero 0
		.amdhsa_exception_fp_ieee_overflow 0
		.amdhsa_exception_fp_ieee_underflow 0
		.amdhsa_exception_fp_ieee_inexact 0
		.amdhsa_exception_int_div_zero 0
	.end_amdhsa_kernel
	.section	.text._ZN5aiter35fused_qk_rmsnorm_group_quant_kernelIDF16_N4opus5fp4_tELi512ELi16ELi2ELb0ELb1ELb0ELb1ELb0ELb0EEEvPT0_PvPT_S7_S7_PKS6_S9_S9_S9_S9_ffiiiiiiiiiiiii,"axG",@progbits,_ZN5aiter35fused_qk_rmsnorm_group_quant_kernelIDF16_N4opus5fp4_tELi512ELi16ELi2ELb0ELb1ELb0ELb1ELb0ELb0EEEvPT0_PvPT_S7_S7_PKS6_S9_S9_S9_S9_ffiiiiiiiiiiiii,comdat
.Lfunc_end999:
	.size	_ZN5aiter35fused_qk_rmsnorm_group_quant_kernelIDF16_N4opus5fp4_tELi512ELi16ELi2ELb0ELb1ELb0ELb1ELb0ELb0EEEvPT0_PvPT_S7_S7_PKS6_S9_S9_S9_S9_ffiiiiiiiiiiiii, .Lfunc_end999-_ZN5aiter35fused_qk_rmsnorm_group_quant_kernelIDF16_N4opus5fp4_tELi512ELi16ELi2ELb0ELb1ELb0ELb1ELb0ELb0EEEvPT0_PvPT_S7_S7_PKS6_S9_S9_S9_S9_ffiiiiiiiiiiiii
                                        ; -- End function
	.section	.AMDGPU.csdata,"",@progbits
; Kernel info:
; codeLenInByte = 2872
; NumSgprs: 36
; NumVgprs: 35
; NumAgprs: 0
; TotalNumVgprs: 35
; ScratchSize: 0
; MemoryBound: 0
; FloatMode: 240
; IeeeMode: 1
; LDSByteSize: 64 bytes/workgroup (compile time only)
; SGPRBlocks: 4
; VGPRBlocks: 4
; NumSGPRsForWavesPerEU: 36
; NumVGPRsForWavesPerEU: 35
; AccumOffset: 36
; Occupancy: 8
; WaveLimiterHint : 0
; COMPUTE_PGM_RSRC2:SCRATCH_EN: 0
; COMPUTE_PGM_RSRC2:USER_SGPR: 6
; COMPUTE_PGM_RSRC2:TRAP_HANDLER: 0
; COMPUTE_PGM_RSRC2:TGID_X_EN: 1
; COMPUTE_PGM_RSRC2:TGID_Y_EN: 1
; COMPUTE_PGM_RSRC2:TGID_Z_EN: 0
; COMPUTE_PGM_RSRC2:TIDIG_COMP_CNT: 0
; COMPUTE_PGM_RSRC3_GFX90A:ACCUM_OFFSET: 8
; COMPUTE_PGM_RSRC3_GFX90A:TG_SPLIT: 0
	.section	.text._ZN5aiter35fused_qk_rmsnorm_group_quant_kernelItN4opus5fp4_tELi512ELi16ELi2ELb0ELb1ELb0ELb1ELb0ELb0EEEvPT0_PvPT_S7_S7_PKS6_S9_S9_S9_S9_ffiiiiiiiiiiiii,"axG",@progbits,_ZN5aiter35fused_qk_rmsnorm_group_quant_kernelItN4opus5fp4_tELi512ELi16ELi2ELb0ELb1ELb0ELb1ELb0ELb0EEEvPT0_PvPT_S7_S7_PKS6_S9_S9_S9_S9_ffiiiiiiiiiiiii,comdat
	.protected	_ZN5aiter35fused_qk_rmsnorm_group_quant_kernelItN4opus5fp4_tELi512ELi16ELi2ELb0ELb1ELb0ELb1ELb0ELb0EEEvPT0_PvPT_S7_S7_PKS6_S9_S9_S9_S9_ffiiiiiiiiiiiii ; -- Begin function _ZN5aiter35fused_qk_rmsnorm_group_quant_kernelItN4opus5fp4_tELi512ELi16ELi2ELb0ELb1ELb0ELb1ELb0ELb0EEEvPT0_PvPT_S7_S7_PKS6_S9_S9_S9_S9_ffiiiiiiiiiiiii
	.globl	_ZN5aiter35fused_qk_rmsnorm_group_quant_kernelItN4opus5fp4_tELi512ELi16ELi2ELb0ELb1ELb0ELb1ELb0ELb0EEEvPT0_PvPT_S7_S7_PKS6_S9_S9_S9_S9_ffiiiiiiiiiiiii
	.p2align	8
	.type	_ZN5aiter35fused_qk_rmsnorm_group_quant_kernelItN4opus5fp4_tELi512ELi16ELi2ELb0ELb1ELb0ELb1ELb0ELb0EEEvPT0_PvPT_S7_S7_PKS6_S9_S9_S9_S9_ffiiiiiiiiiiiii,@function
_ZN5aiter35fused_qk_rmsnorm_group_quant_kernelItN4opus5fp4_tELi512ELi16ELi2ELb0ELb1ELb0ELb1ELb0ELb0EEEvPT0_PvPT_S7_S7_PKS6_S9_S9_S9_S9_ffiiiiiiiiiiiii: ; @_ZN5aiter35fused_qk_rmsnorm_group_quant_kernelItN4opus5fp4_tELi512ELi16ELi2ELb0ELb1ELb0ELb1ELb0ELb0EEEvPT0_PvPT_S7_S7_PKS6_S9_S9_S9_S9_ffiiiiiiiiiiiii
; %bb.0:
	s_load_dwordx4 s[12:15], s[4:5], 0x50
	s_waitcnt lgkmcnt(0)
	s_cmp_ge_i32 s6, s14
	s_cbranch_scc1 .LBB1000_12
; %bb.1:
	s_load_dwordx2 s[24:25], s[4:5], 0x30
	s_load_dwordx2 s[8:9], s[4:5], 0x48
	s_load_dwordx4 s[16:19], s[4:5], 0x60
	s_cmp_lg_u32 s7, 0
	s_cselect_b64 s[10:11], -1, 0
	s_cmp_eq_u32 s7, 0
	s_cselect_b64 vcc, -1, 0
	s_and_b64 s[0:1], vcc, exec
	s_waitcnt lgkmcnt(0)
	s_cselect_b32 s7, s15, s16
	s_add_i32 s0, s7, 1
	s_lshr_b32 s1, s0, 31
	s_add_i32 s0, s0, s1
	s_lshl_b32 s0, s0, 1
	v_lshlrev_b32_e32 v1, 4, v0
	s_and_b32 s22, s0, -4
	v_cmp_gt_i32_e64 s[2:3], s7, v1
	v_mov_b32_e32 v18, 0
	v_mov_b32_e32 v6, 0
	v_mov_b32_e32 v7, 0
	v_mov_b32_e32 v8, 0
	v_mov_b32_e32 v9, 0
	v_mov_b32_e32 v2, 0
	v_mov_b32_e32 v3, 0
	v_mov_b32_e32 v4, 0
	v_mov_b32_e32 v5, 0
	v_mov_b32_e32 v14, 0
	v_mov_b32_e32 v15, 0
	v_mov_b32_e32 v16, 0
	v_mov_b32_e32 v17, 0
	v_mov_b32_e32 v10, 0
	v_mov_b32_e32 v11, 0
	v_mov_b32_e32 v12, 0
	v_mov_b32_e32 v13, 0
	s_and_saveexec_b64 s[0:1], s[2:3]
	s_cbranch_execz .LBB1000_3
; %bb.2:
	s_load_dwordx2 s[14:15], s[4:5], 0x28
	s_load_dwordx2 s[20:21], s[4:5], 0x40
	s_and_b64 s[26:27], vcc, exec
	s_cselect_b32 s17, s17, s18
	s_mov_b32 s30, s22
	s_waitcnt lgkmcnt(0)
	s_cselect_b32 s19, s15, s25
	s_cselect_b32 s23, s14, s24
	s_mul_hi_i32 s15, s17, s6
	s_mul_i32 s14, s17, s6
	s_lshl_b64 s[14:15], s[14:15], 1
	s_add_u32 s28, s23, s14
	s_addc_u32 s17, s19, s15
	s_and_b64 s[14:15], vcc, exec
	s_mov_b32 s23, 0x20000
	s_cselect_b32 s20, s20, s8
	s_cselect_b32 s14, s21, s9
	s_and_b32 s29, s17, 0xffff
	s_mov_b32 s31, s23
	v_lshlrev_b32_e32 v19, 5, v0
	s_and_b32 s21, s14, 0xffff
	buffer_load_dwordx4 v[14:17], v19, s[28:31], 0 offen
	buffer_load_dwordx4 v[10:13], v19, s[28:31], 16 offen
	;; [unrolled: 1-line block ×4, first 2 shown]
.LBB1000_3:
	s_or_b64 exec, exec, s[0:1]
	v_mov_b32_e32 v19, 0
	v_mov_b32_e32 v20, 0
	;; [unrolled: 1-line block ×15, first 2 shown]
	s_and_saveexec_b64 s[0:1], s[2:3]
	s_cbranch_execz .LBB1000_5
; %bb.4:
	s_waitcnt vmcnt(3)
	v_cvt_f32_u32_sdwa v18, v14 dst_sel:DWORD dst_unused:UNUSED_PAD src0_sel:WORD_0
	v_cvt_f32_u32_sdwa v19, v14 dst_sel:DWORD dst_unused:UNUSED_PAD src0_sel:WORD_1
	v_cvt_f32_u32_sdwa v20, v15 dst_sel:DWORD dst_unused:UNUSED_PAD src0_sel:WORD_0
	v_cvt_f32_u32_sdwa v21, v15 dst_sel:DWORD dst_unused:UNUSED_PAD src0_sel:WORD_1
	;; [unrolled: 2-line block ×4, first 2 shown]
	s_waitcnt vmcnt(2)
	v_cvt_f32_u32_sdwa v26, v10 dst_sel:DWORD dst_unused:UNUSED_PAD src0_sel:WORD_0
	v_cvt_f32_u32_sdwa v27, v10 dst_sel:DWORD dst_unused:UNUSED_PAD src0_sel:WORD_1
	v_cvt_f32_u32_sdwa v28, v11 dst_sel:DWORD dst_unused:UNUSED_PAD src0_sel:WORD_0
	v_cvt_f32_u32_sdwa v29, v11 dst_sel:DWORD dst_unused:UNUSED_PAD src0_sel:WORD_1
	v_cvt_f32_u32_sdwa v30, v12 dst_sel:DWORD dst_unused:UNUSED_PAD src0_sel:WORD_0
	v_cvt_f32_u32_sdwa v31, v12 dst_sel:DWORD dst_unused:UNUSED_PAD src0_sel:WORD_1
	v_cvt_f32_u32_sdwa v32, v13 dst_sel:DWORD dst_unused:UNUSED_PAD src0_sel:WORD_0
	v_cvt_f32_u32_sdwa v33, v13 dst_sel:DWORD dst_unused:UNUSED_PAD src0_sel:WORD_1
.LBB1000_5:
	s_or_b64 exec, exec, s[0:1]
	s_waitcnt vmcnt(2)
	v_mul_f32_e32 v10, v19, v19
	v_fmac_f32_e32 v10, v18, v18
	v_fmac_f32_e32 v10, v20, v20
	;; [unrolled: 1-line block ×15, first 2 shown]
	v_and_b32_e32 v12, 63, v0
	v_cmp_eq_u32_e64 s[0:1], 63, v12
	v_mov_b32_dpp v11, v10 quad_perm:[1,0,3,2] row_mask:0xf bank_mask:0xf
	v_add_f32_e32 v10, v10, v11
	s_nop 1
	v_mov_b32_dpp v11, v10 quad_perm:[2,3,0,1] row_mask:0xf bank_mask:0xf
	v_add_f32_e32 v10, v10, v11
	s_nop 1
	v_mov_b32_dpp v11, v10 row_half_mirror row_mask:0xf bank_mask:0xf
	v_add_f32_e32 v10, v10, v11
	s_nop 1
	v_mov_b32_dpp v11, v10 row_mirror row_mask:0xf bank_mask:0xf
	v_add_f32_e32 v10, v10, v11
	s_nop 1
	v_mov_b32_dpp v11, v10 row_bcast:15 row_mask:0xf bank_mask:0xf
	v_add_f32_e32 v10, v10, v11
	s_nop 1
	v_mov_b32_dpp v11, v10 row_bcast:31 row_mask:0xf bank_mask:0xf
	s_and_saveexec_b64 s[14:15], s[0:1]
	s_cbranch_execz .LBB1000_7
; %bb.6:
	v_add_f32_e32 v10, v10, v11
	v_lshrrev_b32_e32 v11, 4, v0
	v_and_b32_e32 v11, 60, v11
	ds_write_b32 v11, v10 offset:32
.LBB1000_7:
	s_or_b64 exec, exec, s[14:15]
	v_and_b32_e32 v10, 7, v0
	v_lshlrev_b32_e32 v34, 2, v10
	s_waitcnt lgkmcnt(0)
	s_barrier
	ds_read_b32 v10, v34 offset:32
	s_load_dwordx2 s[14:15], s[4:5], 0x18
	s_waitcnt lgkmcnt(0)
	v_mov_b32_dpp v11, v10 quad_perm:[1,0,3,2] row_mask:0xf bank_mask:0xf
	v_add_f32_e32 v10, v10, v11
	s_nop 1
	v_mov_b32_dpp v11, v10 quad_perm:[2,3,0,1] row_mask:0xf bank_mask:0xf
	v_add_f32_e32 v10, v10, v11
	s_nop 1
	v_mov_b32_dpp v11, v10 row_half_mirror row_mask:0xf bank_mask:0xf
	s_and_saveexec_b64 s[20:21], s[2:3]
	s_cbranch_execz .LBB1000_9
; %bb.8:
	v_cvt_f32_u32_e32 v12, s7
	v_add_f32_e32 v10, v10, v11
	v_mov_b32_e32 v14, s13
	v_mov_b32_e32 v15, s12
	v_div_scale_f32 v11, s[26:27], v12, v12, v10
	v_rcp_f32_e32 v13, v11
	v_cndmask_b32_e32 v14, v14, v15, vcc
	s_mov_b32 s7, 0x800000
	v_fma_f32 v15, -v11, v13, 1.0
	v_fmac_f32_e32 v13, v15, v13
	v_div_scale_f32 v15, vcc, v10, v12, v10
	v_mul_f32_e32 v16, v15, v13
	v_fma_f32 v17, -v11, v16, v15
	v_fmac_f32_e32 v16, v17, v13
	v_fma_f32 v11, -v11, v16, v15
	v_div_fmas_f32 v11, v11, v13, v16
	v_div_fixup_f32 v10, v11, v12, v10
	v_add_f32_e32 v10, v14, v10
	v_mul_f32_e32 v11, 0x4b800000, v10
	v_cmp_gt_f32_e32 vcc, s7, v10
	v_cndmask_b32_e32 v10, v10, v11, vcc
	v_rsq_f32_e32 v10, v10
	v_mul_f32_e32 v11, 0x45800000, v10
	v_cndmask_b32_e32 v10, v10, v11, vcc
	v_mov_b32_e32 v11, v10
	;;#ASMSTART
	v_pk_mul_f32 v[12:13], v[18:19], v[10:11]
	;;#ASMEND
	;;#ASMSTART
	v_pk_mul_f32 v[14:15], v[20:21], v[10:11]
	;;#ASMEND
	;; [unrolled: 3-line block ×8, first 2 shown]
	s_waitcnt vmcnt(1)
	v_cvt_f32_u32_sdwa v19, v6 dst_sel:DWORD dst_unused:UNUSED_PAD src0_sel:WORD_1
	v_cvt_f32_u32_sdwa v18, v6 dst_sel:DWORD dst_unused:UNUSED_PAD src0_sel:WORD_0
	v_cvt_f32_u32_sdwa v21, v7 dst_sel:DWORD dst_unused:UNUSED_PAD src0_sel:WORD_1
	v_cvt_f32_u32_sdwa v20, v7 dst_sel:DWORD dst_unused:UNUSED_PAD src0_sel:WORD_0
	;; [unrolled: 2-line block ×4, first 2 shown]
	;;#ASMSTART
	v_pk_mul_f32 v[18:19], v[12:13], v[18:19]
	;;#ASMEND
	;;#ASMSTART
	v_pk_mul_f32 v[20:21], v[14:15], v[20:21]
	;;#ASMEND
	;; [unrolled: 3-line block ×4, first 2 shown]
	s_waitcnt vmcnt(0)
	v_cvt_f32_u32_sdwa v7, v2 dst_sel:DWORD dst_unused:UNUSED_PAD src0_sel:WORD_1
	v_cvt_f32_u32_sdwa v6, v2 dst_sel:DWORD dst_unused:UNUSED_PAD src0_sel:WORD_0
	v_cvt_f32_u32_sdwa v9, v3 dst_sel:DWORD dst_unused:UNUSED_PAD src0_sel:WORD_1
	v_cvt_f32_u32_sdwa v8, v3 dst_sel:DWORD dst_unused:UNUSED_PAD src0_sel:WORD_0
	;; [unrolled: 2-line block ×4, first 2 shown]
	;;#ASMSTART
	v_pk_mul_f32 v[26:27], v[26:27], v[6:7]
	;;#ASMEND
	;;#ASMSTART
	v_pk_mul_f32 v[28:29], v[28:29], v[8:9]
	;;#ASMEND
	;; [unrolled: 3-line block ×4, first 2 shown]
.LBB1000_9:
	s_or_b64 exec, exec, s[20:21]
	s_load_dwordx2 s[26:27], s[4:5], 0x7c
	s_mov_b64 s[20:21], -1
	s_and_b64 vcc, exec, s[10:11]
	s_cbranch_vccnz .LBB1000_13
; %bb.10:
	s_andn2_b64 vcc, exec, s[20:21]
	s_cbranch_vccz .LBB1000_16
.LBB1000_11:
	s_cmp_lt_i32 s16, 1
	s_cbranch_scc0 .LBB1000_19
.LBB1000_12:
	s_endpgm
.LBB1000_13:
	s_and_saveexec_b64 s[10:11], s[2:3]
	s_cbranch_execz .LBB1000_15
; %bb.14:
	s_waitcnt lgkmcnt(0)
	s_mul_hi_i32 s21, s27, s6
	s_mul_i32 s20, s27, s6
	s_lshl_b64 s[20:21], s[20:21], 1
	s_add_u32 s20, s14, s20
	s_addc_u32 s7, s15, s21
	s_and_b32 s21, s7, 0xffff
	s_mov_b32 s7, 0x7060302
	s_mov_b32 s23, 0x20000
	s_waitcnt vmcnt(0)
	v_perm_b32 v5, v25, v24, s7
	v_perm_b32 v4, v23, v22, s7
	;; [unrolled: 1-line block ×4, first 2 shown]
	v_lshlrev_b32_e32 v6, 5, v0
	buffer_store_dwordx4 v[2:5], v6, s[20:23], 0 offen
	;;#ASMSTART
	s_nop 0
	;;#ASMEND
	s_nop 0
	v_perm_b32 v5, v33, v32, s7
	v_perm_b32 v4, v31, v30, s7
	;; [unrolled: 1-line block ×4, first 2 shown]
	buffer_store_dwordx4 v[2:5], v6, s[20:23], 16 offen
	;;#ASMSTART
	s_nop 0
	;;#ASMEND
.LBB1000_15:
	s_or_b64 exec, exec, s[10:11]
	s_cbranch_execnz .LBB1000_11
.LBB1000_16:
	s_and_saveexec_b64 s[10:11], s[2:3]
	s_cbranch_execz .LBB1000_18
; %bb.17:
	s_load_dwordx2 s[2:3], s[4:5], 0x10
	s_waitcnt lgkmcnt(0)
	s_mul_hi_i32 s21, s26, s6
	s_mul_i32 s20, s26, s6
	s_lshl_b64 s[20:21], s[20:21], 1
	s_mov_b32 s23, 0x20000
	s_add_u32 s20, s2, s20
	s_addc_u32 s2, s3, s21
	s_and_b32 s21, s2, 0xffff
	s_mov_b32 s2, 0x7060302
	s_waitcnt vmcnt(0)
	v_perm_b32 v5, v25, v24, s2
	v_perm_b32 v4, v23, v22, s2
	;; [unrolled: 1-line block ×4, first 2 shown]
	v_lshlrev_b32_e32 v6, 5, v0
	buffer_store_dwordx4 v[2:5], v6, s[20:23], 0 offen
	;;#ASMSTART
	s_nop 0
	;;#ASMEND
	s_nop 0
	v_perm_b32 v5, v33, v32, s2
	v_perm_b32 v4, v31, v30, s2
	v_perm_b32 v3, v29, v28, s2
	v_perm_b32 v2, v27, v26, s2
	buffer_store_dwordx4 v[2:5], v6, s[20:23], 16 offen
	;;#ASMSTART
	s_nop 0
	;;#ASMEND
.LBB1000_18:
	s_or_b64 exec, exec, s[10:11]
	s_cmp_lt_i32 s16, 1
	s_cbranch_scc1 .LBB1000_12
.LBB1000_19:
	s_load_dword s2, s[4:5], 0x94
	s_waitcnt lgkmcnt(0)
	s_cmp_lg_u32 s2, 1
	s_cbranch_scc1 .LBB1000_12
; %bb.20:
	s_lshl_b32 s2, s16, 1
	s_add_i32 s2, s2, 2
	v_cmp_gt_u32_e32 vcc, s16, v1
	s_and_b32 s10, s2, -4
	v_mov_b32_e32 v18, 0
	v_lshlrev_b32_e32 v1, 5, v0
	v_mov_b32_e32 v14, 0
	v_mov_b32_e32 v15, 0
	;; [unrolled: 1-line block ×8, first 2 shown]
	s_waitcnt vmcnt(1)
	v_mov_b32_e32 v6, 0
	v_mov_b32_e32 v7, 0
	;; [unrolled: 1-line block ×4, first 2 shown]
	s_waitcnt vmcnt(0)
	v_mov_b32_e32 v2, 0
	v_mov_b32_e32 v3, 0
	;; [unrolled: 1-line block ×4, first 2 shown]
	s_barrier
	s_and_saveexec_b64 s[2:3], vcc
	s_cbranch_execz .LBB1000_22
; %bb.21:
	s_mul_hi_i32 s5, s18, s6
	s_mul_i32 s4, s18, s6
	s_and_b32 s9, s9, 0xffff
	s_lshl_b64 s[4:5], s[4:5], 1
	s_add_u32 s20, s24, s4
	s_mov_b32 s11, 0x20000
	s_addc_u32 s4, s25, s5
	s_and_b32 s21, s4, 0xffff
	s_mov_b32 s22, s10
	s_mov_b32 s23, s11
	buffer_load_dwordx4 v[14:17], v1, s[20:23], 0 offen
	buffer_load_dwordx4 v[10:13], v1, s[20:23], 16 offen
	;; [unrolled: 1-line block ×4, first 2 shown]
.LBB1000_22:
	s_or_b64 exec, exec, s[2:3]
	v_mov_b32_e32 v19, 0
	v_mov_b32_e32 v32, 0
	;; [unrolled: 1-line block ×15, first 2 shown]
	s_and_saveexec_b64 s[2:3], vcc
	s_cbranch_execz .LBB1000_24
; %bb.23:
	s_waitcnt vmcnt(3)
	v_cvt_f32_u32_sdwa v18, v14 dst_sel:DWORD dst_unused:UNUSED_PAD src0_sel:WORD_0
	v_cvt_f32_u32_sdwa v19, v14 dst_sel:DWORD dst_unused:UNUSED_PAD src0_sel:WORD_1
	v_cvt_f32_u32_sdwa v32, v15 dst_sel:DWORD dst_unused:UNUSED_PAD src0_sel:WORD_0
	v_cvt_f32_u32_sdwa v33, v15 dst_sel:DWORD dst_unused:UNUSED_PAD src0_sel:WORD_1
	;; [unrolled: 2-line block ×4, first 2 shown]
	s_waitcnt vmcnt(2)
	v_cvt_f32_u32_sdwa v26, v10 dst_sel:DWORD dst_unused:UNUSED_PAD src0_sel:WORD_0
	v_cvt_f32_u32_sdwa v27, v10 dst_sel:DWORD dst_unused:UNUSED_PAD src0_sel:WORD_1
	v_cvt_f32_u32_sdwa v24, v11 dst_sel:DWORD dst_unused:UNUSED_PAD src0_sel:WORD_0
	v_cvt_f32_u32_sdwa v25, v11 dst_sel:DWORD dst_unused:UNUSED_PAD src0_sel:WORD_1
	;; [unrolled: 2-line block ×4, first 2 shown]
.LBB1000_24:
	s_or_b64 exec, exec, s[2:3]
	s_waitcnt vmcnt(2)
	v_mul_f32_e32 v10, v19, v19
	v_fmac_f32_e32 v10, v18, v18
	v_fmac_f32_e32 v10, v32, v32
	;; [unrolled: 1-line block ×15, first 2 shown]
	s_nop 1
	v_mov_b32_dpp v11, v10 quad_perm:[1,0,3,2] row_mask:0xf bank_mask:0xf
	v_add_f32_e32 v10, v10, v11
	s_nop 1
	v_mov_b32_dpp v11, v10 quad_perm:[2,3,0,1] row_mask:0xf bank_mask:0xf
	v_add_f32_e32 v10, v10, v11
	s_nop 1
	v_mov_b32_dpp v11, v10 row_half_mirror row_mask:0xf bank_mask:0xf
	v_add_f32_e32 v10, v10, v11
	s_nop 1
	v_mov_b32_dpp v11, v10 row_mirror row_mask:0xf bank_mask:0xf
	v_add_f32_e32 v10, v10, v11
	s_nop 1
	v_mov_b32_dpp v11, v10 row_bcast:15 row_mask:0xf bank_mask:0xf
	v_add_f32_e32 v10, v10, v11
	s_nop 1
	v_mov_b32_dpp v11, v10 row_bcast:31 row_mask:0xf bank_mask:0xf
	s_and_saveexec_b64 s[2:3], s[0:1]
	s_cbranch_execz .LBB1000_26
; %bb.25:
	v_lshrrev_b32_e32 v0, 4, v0
	v_add_f32_e32 v10, v10, v11
	v_and_b32_e32 v0, 60, v0
	ds_write_b32 v0, v10
.LBB1000_26:
	s_or_b64 exec, exec, s[2:3]
	s_waitcnt lgkmcnt(0)
	s_barrier
	ds_read_b32 v0, v34
	s_waitcnt lgkmcnt(0)
	s_nop 0
	v_mov_b32_dpp v10, v0 quad_perm:[1,0,3,2] row_mask:0xf bank_mask:0xf
	v_add_f32_e32 v0, v0, v10
	s_nop 1
	v_mov_b32_dpp v10, v0 quad_perm:[2,3,0,1] row_mask:0xf bank_mask:0xf
	v_add_f32_e32 v0, v0, v10
	s_nop 1
	v_mov_b32_dpp v10, v0 row_half_mirror row_mask:0xf bank_mask:0xf
	s_and_saveexec_b64 s[0:1], vcc
	s_cbranch_execz .LBB1000_12
; %bb.27:
	v_cvt_f32_u32_e32 v11, s16
	v_add_f32_e32 v0, v0, v10
	s_mov_b32 s11, 0x20000
	v_div_scale_f32 v10, s[0:1], v11, v11, v0
	v_rcp_f32_e32 v12, v10
	v_div_scale_f32 v13, vcc, v0, v11, v0
	s_mov_b32 s0, 0x800000
	v_fma_f32 v14, -v10, v12, 1.0
	v_fmac_f32_e32 v12, v14, v12
	v_mul_f32_e32 v14, v13, v12
	v_fma_f32 v15, -v10, v14, v13
	v_fmac_f32_e32 v14, v15, v12
	v_fma_f32 v10, -v10, v14, v13
	v_div_fmas_f32 v10, v10, v12, v14
	v_div_fixup_f32 v0, v10, v11, v0
	v_add_f32_e32 v0, s13, v0
	v_mul_f32_e32 v10, 0x4b800000, v0
	v_cmp_gt_f32_e32 vcc, s0, v0
	v_cndmask_b32_e32 v0, v0, v10, vcc
	v_rsq_f32_e32 v0, v0
	s_mul_hi_i32 s1, s27, s6
	s_mul_i32 s0, s27, s6
	s_lshl_b64 s[0:1], s[0:1], 1
	v_mul_f32_e32 v10, 0x45800000, v0
	v_cndmask_b32_e32 v10, v0, v10, vcc
	v_mov_b32_e32 v11, v10
	s_add_u32 s8, s14, s0
	;;#ASMSTART
	v_pk_mul_f32 v[12:13], v[18:19], v[10:11]
	;;#ASMEND
	;;#ASMSTART
	v_pk_mul_f32 v[14:15], v[32:33], v[10:11]
	;;#ASMEND
	;;#ASMSTART
	v_pk_mul_f32 v[16:17], v[30:31], v[10:11]
	;;#ASMEND
	;;#ASMSTART
	v_pk_mul_f32 v[18:19], v[28:29], v[10:11]
	;;#ASMEND
	;;#ASMSTART
	v_pk_mul_f32 v[26:27], v[26:27], v[10:11]
	;;#ASMEND
	;;#ASMSTART
	v_pk_mul_f32 v[24:25], v[24:25], v[10:11]
	;;#ASMEND
	;;#ASMSTART
	v_pk_mul_f32 v[22:23], v[22:23], v[10:11]
	;;#ASMEND
	;;#ASMSTART
	v_pk_mul_f32 v[10:11], v[20:21], v[10:11]
	;;#ASMEND
	s_waitcnt vmcnt(1)
	v_cvt_f32_u32_sdwa v21, v6 dst_sel:DWORD dst_unused:UNUSED_PAD src0_sel:WORD_1
	v_cvt_f32_u32_sdwa v20, v6 dst_sel:DWORD dst_unused:UNUSED_PAD src0_sel:WORD_0
	v_cvt_f32_u32_sdwa v29, v7 dst_sel:DWORD dst_unused:UNUSED_PAD src0_sel:WORD_1
	v_cvt_f32_u32_sdwa v28, v7 dst_sel:DWORD dst_unused:UNUSED_PAD src0_sel:WORD_0
	v_cvt_f32_u32_sdwa v7, v8 dst_sel:DWORD dst_unused:UNUSED_PAD src0_sel:WORD_1
	v_cvt_f32_u32_sdwa v6, v8 dst_sel:DWORD dst_unused:UNUSED_PAD src0_sel:WORD_0
	s_addc_u32 s0, s15, s1
	v_cvt_f32_u32_sdwa v31, v9 dst_sel:DWORD dst_unused:UNUSED_PAD src0_sel:WORD_1
	v_cvt_f32_u32_sdwa v30, v9 dst_sel:DWORD dst_unused:UNUSED_PAD src0_sel:WORD_0
	;;#ASMSTART
	v_pk_mul_f32 v[8:9], v[12:13], v[20:21]
	;;#ASMEND
	;;#ASMSTART
	v_pk_mul_f32 v[12:13], v[14:15], v[28:29]
	;;#ASMEND
	;; [unrolled: 3-line block ×4, first 2 shown]
	s_waitcnt vmcnt(0)
	v_cvt_f32_u32_sdwa v17, v2 dst_sel:DWORD dst_unused:UNUSED_PAD src0_sel:WORD_1
	v_cvt_f32_u32_sdwa v16, v2 dst_sel:DWORD dst_unused:UNUSED_PAD src0_sel:WORD_0
	v_cvt_f32_u32_sdwa v19, v3 dst_sel:DWORD dst_unused:UNUSED_PAD src0_sel:WORD_1
	v_cvt_f32_u32_sdwa v18, v3 dst_sel:DWORD dst_unused:UNUSED_PAD src0_sel:WORD_0
	;; [unrolled: 2-line block ×3, first 2 shown]
	s_and_b32 s9, s0, 0xffff
	s_mov_b32 s0, 0x7060302
	v_cvt_f32_u32_sdwa v21, v5 dst_sel:DWORD dst_unused:UNUSED_PAD src0_sel:WORD_1
	v_cvt_f32_u32_sdwa v20, v5 dst_sel:DWORD dst_unused:UNUSED_PAD src0_sel:WORD_0
	;;#ASMSTART
	v_pk_mul_f32 v[16:17], v[26:27], v[16:17]
	;;#ASMEND
	;;#ASMSTART
	v_pk_mul_f32 v[18:19], v[24:25], v[18:19]
	;;#ASMEND
	;;#ASMSTART
	v_pk_mul_f32 v[22:23], v[22:23], v[2:3]
	;;#ASMEND
	v_perm_b32 v2, v9, v8, s0
	v_perm_b32 v3, v13, v12, s0
	;; [unrolled: 1-line block ×4, first 2 shown]
	;;#ASMSTART
	v_pk_mul_f32 v[10:11], v[10:11], v[20:21]
	;;#ASMEND
	buffer_store_dwordx4 v[2:5], v1, s[8:11], 0 offen
	;;#ASMSTART
	s_nop 0
	;;#ASMEND
	s_nop 0
	v_perm_b32 v2, v17, v16, s0
	v_perm_b32 v3, v19, v18, s0
	;; [unrolled: 1-line block ×4, first 2 shown]
	buffer_store_dwordx4 v[2:5], v1, s[8:11], 16 offen
	;;#ASMSTART
	s_nop 0
	;;#ASMEND
	s_endpgm
	.section	.rodata,"a",@progbits
	.p2align	6, 0x0
	.amdhsa_kernel _ZN5aiter35fused_qk_rmsnorm_group_quant_kernelItN4opus5fp4_tELi512ELi16ELi2ELb0ELb1ELb0ELb1ELb0ELb0EEEvPT0_PvPT_S7_S7_PKS6_S9_S9_S9_S9_ffiiiiiiiiiiiii
		.amdhsa_group_segment_fixed_size 64
		.amdhsa_private_segment_fixed_size 0
		.amdhsa_kernarg_size 400
		.amdhsa_user_sgpr_count 6
		.amdhsa_user_sgpr_private_segment_buffer 1
		.amdhsa_user_sgpr_dispatch_ptr 0
		.amdhsa_user_sgpr_queue_ptr 0
		.amdhsa_user_sgpr_kernarg_segment_ptr 1
		.amdhsa_user_sgpr_dispatch_id 0
		.amdhsa_user_sgpr_flat_scratch_init 0
		.amdhsa_user_sgpr_kernarg_preload_length 0
		.amdhsa_user_sgpr_kernarg_preload_offset 0
		.amdhsa_user_sgpr_private_segment_size 0
		.amdhsa_uses_dynamic_stack 0
		.amdhsa_system_sgpr_private_segment_wavefront_offset 0
		.amdhsa_system_sgpr_workgroup_id_x 1
		.amdhsa_system_sgpr_workgroup_id_y 1
		.amdhsa_system_sgpr_workgroup_id_z 0
		.amdhsa_system_sgpr_workgroup_info 0
		.amdhsa_system_vgpr_workitem_id 0
		.amdhsa_next_free_vgpr 35
		.amdhsa_next_free_sgpr 32
		.amdhsa_accum_offset 36
		.amdhsa_reserve_vcc 1
		.amdhsa_reserve_flat_scratch 0
		.amdhsa_float_round_mode_32 0
		.amdhsa_float_round_mode_16_64 0
		.amdhsa_float_denorm_mode_32 3
		.amdhsa_float_denorm_mode_16_64 3
		.amdhsa_dx10_clamp 1
		.amdhsa_ieee_mode 1
		.amdhsa_fp16_overflow 0
		.amdhsa_tg_split 0
		.amdhsa_exception_fp_ieee_invalid_op 0
		.amdhsa_exception_fp_denorm_src 0
		.amdhsa_exception_fp_ieee_div_zero 0
		.amdhsa_exception_fp_ieee_overflow 0
		.amdhsa_exception_fp_ieee_underflow 0
		.amdhsa_exception_fp_ieee_inexact 0
		.amdhsa_exception_int_div_zero 0
	.end_amdhsa_kernel
	.section	.text._ZN5aiter35fused_qk_rmsnorm_group_quant_kernelItN4opus5fp4_tELi512ELi16ELi2ELb0ELb1ELb0ELb1ELb0ELb0EEEvPT0_PvPT_S7_S7_PKS6_S9_S9_S9_S9_ffiiiiiiiiiiiii,"axG",@progbits,_ZN5aiter35fused_qk_rmsnorm_group_quant_kernelItN4opus5fp4_tELi512ELi16ELi2ELb0ELb1ELb0ELb1ELb0ELb0EEEvPT0_PvPT_S7_S7_PKS6_S9_S9_S9_S9_ffiiiiiiiiiiiii,comdat
.Lfunc_end1000:
	.size	_ZN5aiter35fused_qk_rmsnorm_group_quant_kernelItN4opus5fp4_tELi512ELi16ELi2ELb0ELb1ELb0ELb1ELb0ELb0EEEvPT0_PvPT_S7_S7_PKS6_S9_S9_S9_S9_ffiiiiiiiiiiiii, .Lfunc_end1000-_ZN5aiter35fused_qk_rmsnorm_group_quant_kernelItN4opus5fp4_tELi512ELi16ELi2ELb0ELb1ELb0ELb1ELb0ELb0EEEvPT0_PvPT_S7_S7_PKS6_S9_S9_S9_S9_ffiiiiiiiiiiiii
                                        ; -- End function
	.section	.AMDGPU.csdata,"",@progbits
; Kernel info:
; codeLenInByte = 2844
; NumSgprs: 36
; NumVgprs: 35
; NumAgprs: 0
; TotalNumVgprs: 35
; ScratchSize: 0
; MemoryBound: 0
; FloatMode: 240
; IeeeMode: 1
; LDSByteSize: 64 bytes/workgroup (compile time only)
; SGPRBlocks: 4
; VGPRBlocks: 4
; NumSGPRsForWavesPerEU: 36
; NumVGPRsForWavesPerEU: 35
; AccumOffset: 36
; Occupancy: 8
; WaveLimiterHint : 0
; COMPUTE_PGM_RSRC2:SCRATCH_EN: 0
; COMPUTE_PGM_RSRC2:USER_SGPR: 6
; COMPUTE_PGM_RSRC2:TRAP_HANDLER: 0
; COMPUTE_PGM_RSRC2:TGID_X_EN: 1
; COMPUTE_PGM_RSRC2:TGID_Y_EN: 1
; COMPUTE_PGM_RSRC2:TGID_Z_EN: 0
; COMPUTE_PGM_RSRC2:TIDIG_COMP_CNT: 0
; COMPUTE_PGM_RSRC3_GFX90A:ACCUM_OFFSET: 8
; COMPUTE_PGM_RSRC3_GFX90A:TG_SPLIT: 0
	.section	.text._ZN5aiter35fused_qk_rmsnorm_group_quant_kernelIDF16_DB8_Li512ELi16ELi2ELb1ELb1ELb1ELb0ELb0ELb0EEEvPT0_PvPT_S6_S6_PKS5_S8_S8_S8_S8_ffiiiiiiiiiiiii,"axG",@progbits,_ZN5aiter35fused_qk_rmsnorm_group_quant_kernelIDF16_DB8_Li512ELi16ELi2ELb1ELb1ELb1ELb0ELb0ELb0EEEvPT0_PvPT_S6_S6_PKS5_S8_S8_S8_S8_ffiiiiiiiiiiiii,comdat
	.protected	_ZN5aiter35fused_qk_rmsnorm_group_quant_kernelIDF16_DB8_Li512ELi16ELi2ELb1ELb1ELb1ELb0ELb0ELb0EEEvPT0_PvPT_S6_S6_PKS5_S8_S8_S8_S8_ffiiiiiiiiiiiii ; -- Begin function _ZN5aiter35fused_qk_rmsnorm_group_quant_kernelIDF16_DB8_Li512ELi16ELi2ELb1ELb1ELb1ELb0ELb0ELb0EEEvPT0_PvPT_S6_S6_PKS5_S8_S8_S8_S8_ffiiiiiiiiiiiii
	.globl	_ZN5aiter35fused_qk_rmsnorm_group_quant_kernelIDF16_DB8_Li512ELi16ELi2ELb1ELb1ELb1ELb0ELb0ELb0EEEvPT0_PvPT_S6_S6_PKS5_S8_S8_S8_S8_ffiiiiiiiiiiiii
	.p2align	8
	.type	_ZN5aiter35fused_qk_rmsnorm_group_quant_kernelIDF16_DB8_Li512ELi16ELi2ELb1ELb1ELb1ELb0ELb0ELb0EEEvPT0_PvPT_S6_S6_PKS5_S8_S8_S8_S8_ffiiiiiiiiiiiii,@function
_ZN5aiter35fused_qk_rmsnorm_group_quant_kernelIDF16_DB8_Li512ELi16ELi2ELb1ELb1ELb1ELb0ELb0ELb0EEEvPT0_PvPT_S6_S6_PKS5_S8_S8_S8_S8_ffiiiiiiiiiiiii: ; @_ZN5aiter35fused_qk_rmsnorm_group_quant_kernelIDF16_DB8_Li512ELi16ELi2ELb1ELb1ELb1ELb0ELb0ELb0EEEvPT0_PvPT_S6_S6_PKS5_S8_S8_S8_S8_ffiiiiiiiiiiiii
; %bb.0:
	s_load_dwordx8 s[20:27], s[4:5], 0x50
	s_waitcnt lgkmcnt(0)
	s_cmp_ge_i32 s6, s22
	s_cbranch_scc1 .LBB1001_17
; %bb.1:
	s_cmp_lg_u32 s7, 0
	s_cselect_b64 s[10:11], -1, 0
	s_cmp_eq_u32 s7, 0
	s_cselect_b64 s[8:9], -1, 0
	s_and_b64 s[0:1], s[8:9], exec
	s_load_dwordx2 s[28:29], s[4:5], 0x48
	s_load_dwordx2 s[34:35], s[4:5], 0x30
	s_load_dwordx8 s[12:19], s[4:5], 0x70
	s_cselect_b32 s7, s23, s24
	s_add_i32 s0, s7, 1
	s_lshr_b32 s1, s0, 31
	s_add_i32 s0, s0, s1
	s_lshl_b32 s0, s0, 1
	v_lshlrev_b32_e32 v1, 4, v0
	s_and_b32 s38, s0, -4
	v_cmp_gt_i32_e64 s[0:1], s7, v1
	v_mov_b32_e32 v76, 0
	v_mov_b32_e32 v77, 0
	;; [unrolled: 1-line block ×16, first 2 shown]
	s_and_saveexec_b64 s[2:3], s[0:1]
	s_cbranch_execz .LBB1001_3
; %bb.2:
	s_waitcnt lgkmcnt(0)
	s_load_dwordx2 s[18:19], s[4:5], 0x28
	s_load_dwordx2 s[30:31], s[4:5], 0x40
	s_and_b64 s[36:37], s[8:9], exec
	s_cselect_b32 s22, s25, s26
	s_mov_b32 s39, 0x20000
	s_waitcnt lgkmcnt(0)
	s_cselect_b32 s25, s19, s35
	s_cselect_b32 s33, s18, s34
	s_mul_hi_i32 s19, s22, s6
	s_mul_i32 s18, s22, s6
	s_lshl_b64 s[18:19], s[18:19], 1
	s_add_u32 s40, s33, s18
	s_addc_u32 s22, s25, s19
	s_and_b64 s[18:19], s[8:9], exec
	s_cselect_b32 s36, s30, s28
	s_cselect_b32 s18, s31, s29
	s_and_b32 s41, s22, 0xffff
	s_mov_b32 s42, s38
	s_mov_b32 s43, s39
	v_lshlrev_b32_e32 v2, 5, v0
	s_and_b32 s37, s18, 0xffff
	buffer_load_dwordx4 v[80:83], v2, s[40:43], 0 offen
	buffer_load_dwordx4 v[84:87], v2, s[40:43], 16 offen
	;; [unrolled: 1-line block ×4, first 2 shown]
.LBB1001_3:
	s_or_b64 exec, exec, s[2:3]
	s_and_b64 vcc, exec, s[10:11]
	s_cbranch_vccz .LBB1001_7
; %bb.4:
	v_mov_b32_e32 v89, 0
	v_mov_b32_e32 v88, 0
	;; [unrolled: 1-line block ×16, first 2 shown]
	s_and_saveexec_b64 s[2:3], s[0:1]
	s_cbranch_execz .LBB1001_6
; %bb.5:
	s_waitcnt vmcnt(3)
	v_cvt_f32_f16_sdwa v49, v80 dst_sel:DWORD dst_unused:UNUSED_PAD src0_sel:WORD_1
	v_cvt_f32_f16_e32 v48, v80
	v_cvt_f32_f16_sdwa v35, v81 dst_sel:DWORD dst_unused:UNUSED_PAD src0_sel:WORD_1
	v_cvt_f32_f16_e32 v34, v81
	;; [unrolled: 2-line block ×4, first 2 shown]
	s_waitcnt vmcnt(2)
	v_cvt_f32_f16_sdwa v65, v84 dst_sel:DWORD dst_unused:UNUSED_PAD src0_sel:WORD_1
	v_cvt_f32_f16_e32 v64, v84
	v_cvt_f32_f16_sdwa v19, v85 dst_sel:DWORD dst_unused:UNUSED_PAD src0_sel:WORD_1
	v_cvt_f32_f16_e32 v18, v85
	;; [unrolled: 2-line block ×4, first 2 shown]
.LBB1001_6:
	s_or_b64 exec, exec, s[2:3]
	s_cbranch_execz .LBB1001_8
	s_branch .LBB1001_11
.LBB1001_7:
                                        ; implicit-def: $vgpr32_vgpr33_vgpr34_vgpr35_vgpr36_vgpr37_vgpr38_vgpr39_vgpr40_vgpr41_vgpr42_vgpr43_vgpr44_vgpr45_vgpr46_vgpr47
                                        ; implicit-def: $vgpr48_vgpr49_vgpr50_vgpr51_vgpr52_vgpr53_vgpr54_vgpr55_vgpr56_vgpr57_vgpr58_vgpr59_vgpr60_vgpr61_vgpr62_vgpr63
                                        ; implicit-def: $vgpr18_vgpr19_vgpr20_vgpr21_vgpr22_vgpr23_vgpr24_vgpr25_vgpr26_vgpr27_vgpr28_vgpr29_vgpr30_vgpr31_vgpr32_vgpr33
                                        ; implicit-def: $vgpr50_vgpr51_vgpr52_vgpr53_vgpr54_vgpr55_vgpr56_vgpr57_vgpr58_vgpr59_vgpr60_vgpr61_vgpr62_vgpr63_vgpr64_vgpr65
                                        ; implicit-def: $vgpr89
                                        ; implicit-def: $vgpr8_vgpr9_vgpr10_vgpr11_vgpr12_vgpr13_vgpr14_vgpr15_vgpr16_vgpr17_vgpr18_vgpr19_vgpr20_vgpr21_vgpr22_vgpr23
                                        ; implicit-def: $vgpr56_vgpr57_vgpr58_vgpr59_vgpr60_vgpr61_vgpr62_vgpr63_vgpr64_vgpr65_vgpr66_vgpr67_vgpr68_vgpr69_vgpr70_vgpr71
                                        ; implicit-def: $vgpr2_vgpr3_vgpr4_vgpr5_vgpr6_vgpr7_vgpr8_vgpr9_vgpr10_vgpr11_vgpr12_vgpr13_vgpr14_vgpr15_vgpr16_vgpr17
.LBB1001_8:
	v_mov_b32_e32 v89, 0
	v_mov_b32_e32 v88, 0
	;; [unrolled: 1-line block ×16, first 2 shown]
	s_and_saveexec_b64 s[2:3], s[0:1]
	s_cbranch_execz .LBB1001_10
; %bb.9:
	s_waitcnt lgkmcnt(0)
	s_load_dwordx2 s[18:19], s[4:5], 0x38
	s_mul_hi_i32 s31, s27, s6
	s_mul_i32 s30, s27, s6
	s_lshl_b64 s[30:31], s[30:31], 1
	s_mov_b32 s39, 0x20000
	s_waitcnt lgkmcnt(0)
	s_add_u32 s36, s18, s30
	s_addc_u32 s18, s19, s31
	s_and_b32 s37, s18, 0xffff
	v_lshlrev_b32_e32 v38, 5, v0
	buffer_load_dwordx4 v[6:9], v38, s[36:39], 16 offen
	buffer_load_dwordx4 v[10:13], v38, s[36:39], 0 offen
	s_waitcnt vmcnt(5)
	v_cvt_f32_f16_sdwa v23, v82 dst_sel:DWORD dst_unused:UNUSED_PAD src0_sel:WORD_1
	v_cvt_f32_f16_e32 v22, v82
	v_cvt_f32_f16_sdwa v25, v83 dst_sel:DWORD dst_unused:UNUSED_PAD src0_sel:WORD_1
	v_cvt_f32_f16_e32 v24, v83
	;; [unrolled: 2-line block ×4, first 2 shown]
	s_load_dwordx2 s[18:19], s[4:5], 0x20
	s_waitcnt vmcnt(4)
	v_cvt_f32_f16_sdwa v3, v84 dst_sel:DWORD dst_unused:UNUSED_PAD src0_sel:WORD_1
	v_cvt_f32_f16_e32 v2, v84
	v_cvt_f32_f16_sdwa v5, v85 dst_sel:DWORD dst_unused:UNUSED_PAD src0_sel:WORD_1
	v_cvt_f32_f16_e32 v4, v85
	;; [unrolled: 2-line block ×4, first 2 shown]
	s_mul_hi_i32 s31, s17, s6
	s_mul_i32 s30, s17, s6
	s_lshl_b64 s[30:31], s[30:31], 1
	s_waitcnt lgkmcnt(0)
	s_add_u32 s36, s18, s30
	s_addc_u32 s17, s19, s31
	s_and_b32 s37, s17, 0xffff
	s_waitcnt vmcnt(1)
	v_cvt_f32_f16_e32 v26, v6
	v_cvt_f32_f16_sdwa v27, v6 dst_sel:DWORD dst_unused:UNUSED_PAD src0_sel:WORD_1
	v_cvt_f32_f16_e32 v28, v7
	v_cvt_f32_f16_sdwa v29, v7 dst_sel:DWORD dst_unused:UNUSED_PAD src0_sel:WORD_1
	;; [unrolled: 2-line block ×4, first 2 shown]
	s_waitcnt vmcnt(0)
	v_cvt_f32_f16_e32 v6, v12
	v_cvt_f32_f16_sdwa v7, v12 dst_sel:DWORD dst_unused:UNUSED_PAD src0_sel:WORD_1
	v_cvt_f32_f16_e32 v8, v13
	v_cvt_f32_f16_sdwa v9, v13 dst_sel:DWORD dst_unused:UNUSED_PAD src0_sel:WORD_1
	;; [unrolled: 2-line block ×4, first 2 shown]
	v_pk_add_f32 v[54:55], v[22:23], v[6:7]
	v_pk_add_f32 v[24:25], v[24:25], v[8:9]
	v_cvt_f16_f32_e32 v6, v55
	v_cvt_f16_f32_e32 v7, v25
	;; [unrolled: 1-line block ×4, first 2 shown]
	v_pk_add_f32 v[34:35], v[20:21], v[10:11]
	v_pk_add_f32 v[48:49], v[18:19], v[36:37]
	v_pack_b32_f16 v9, v8, v7
	v_pack_b32_f16 v8, v12, v6
	v_cvt_f16_f32_e32 v6, v35
	v_cvt_f16_f32_e32 v7, v34
	;; [unrolled: 1-line block ×3, first 2 shown]
	v_pk_add_f32 v[88:89], v[16:17], v[32:33]
	v_pk_add_f32 v[14:15], v[14:15], v[30:31]
	v_pack_b32_f16 v7, v7, v6
	v_cvt_f16_f32_e32 v6, v49
	v_pk_add_f32 v[18:19], v[4:5], v[28:29]
	v_pk_add_f32 v[64:65], v[2:3], v[26:27]
	v_cvt_f16_f32_e32 v4, v18
	v_pack_b32_f16 v6, v10, v6
	buffer_store_dwordx4 v[6:9], v38, s[36:39], 0 offen
	v_cvt_f16_f32_e32 v5, v19
	v_cvt_f16_f32_e32 v6, v14
	v_cvt_f16_f32_e32 v7, v88
	v_cvt_f16_f32_e32 v8, v89
	v_cvt_f16_f32_e32 v9, v15
	v_cvt_f16_f32_e32 v2, v64
	v_cvt_f16_f32_e32 v3, v65
	v_pack_b32_f16 v7, v7, v8
	v_pack_b32_f16 v6, v6, v9
	;; [unrolled: 1-line block ×4, first 2 shown]
	;;#ASMSTART
	s_nop 0
	;;#ASMEND
	buffer_store_dwordx4 v[4:7], v38, s[36:39], 16 offen
	;;#ASMSTART
	s_nop 0
	;;#ASMEND
.LBB1001_10:
	s_or_b64 exec, exec, s[2:3]
.LBB1001_11:
	v_mul_f32_e32 v2, v49, v49
	v_fmac_f32_e32 v2, v48, v48
	v_fmac_f32_e32 v2, v34, v34
	;; [unrolled: 1-line block ×15, first 2 shown]
	s_nop 1
	v_mov_b32_dpp v3, v2 quad_perm:[1,0,3,2] row_mask:0xf bank_mask:0xf
	v_add_f32_e32 v2, v2, v3
	s_nop 1
	v_mov_b32_dpp v3, v2 quad_perm:[2,3,0,1] row_mask:0xf bank_mask:0xf
	v_add_f32_e32 v2, v2, v3
	s_nop 1
	v_mov_b32_dpp v3, v2 row_half_mirror row_mask:0xf bank_mask:0xf
	v_add_f32_e32 v2, v2, v3
	s_nop 1
	v_mov_b32_dpp v3, v2 row_mirror row_mask:0xf bank_mask:0xf
	v_add_f32_e32 v2, v2, v3
	s_nop 1
	v_mov_b32_dpp v3, v2 row_bcast:15 row_mask:0xf bank_mask:0xf
	v_add_f32_e32 v2, v2, v3
	v_and_b32_e32 v3, 63, v0
	v_cmp_eq_u32_e64 s[2:3], 63, v3
	s_nop 0
	v_mov_b32_dpp v3, v2 row_bcast:31 row_mask:0xf bank_mask:0xf
	s_waitcnt lgkmcnt(0)
	s_and_saveexec_b64 s[18:19], s[2:3]
	s_cbranch_execz .LBB1001_13
; %bb.12:
	v_add_f32_e32 v2, v2, v3
	v_lshrrev_b32_e32 v3, 4, v0
	v_and_b32_e32 v3, 60, v3
	ds_write_b32 v3, v2 offset:32
.LBB1001_13:
	s_or_b64 exec, exec, s[18:19]
	v_and_b32_e32 v2, 7, v0
	v_lshlrev_b32_e32 v36, 2, v2
	s_waitcnt lgkmcnt(0)
	s_barrier
	ds_read_b32 v2, v36 offset:32
	s_load_dwordx2 s[18:19], s[4:5], 0x18
	s_waitcnt lgkmcnt(0)
	v_mov_b32_dpp v3, v2 quad_perm:[1,0,3,2] row_mask:0xf bank_mask:0xf
	v_add_f32_e32 v2, v2, v3
	s_nop 1
	v_mov_b32_dpp v3, v2 quad_perm:[2,3,0,1] row_mask:0xf bank_mask:0xf
	v_add_f32_e32 v2, v2, v3
	s_nop 1
	v_mov_b32_dpp v3, v2 row_half_mirror row_mask:0xf bank_mask:0xf
	s_and_saveexec_b64 s[30:31], s[0:1]
	s_cbranch_execnz .LBB1001_18
; %bb.14:
	s_or_b64 exec, exec, s[30:31]
	s_mov_b64 s[8:9], -1
	s_and_b64 vcc, exec, s[10:11]
	s_cbranch_vccnz .LBB1001_19
.LBB1001_15:
	s_andn2_b64 vcc, exec, s[8:9]
	s_cbranch_vccz .LBB1001_22
.LBB1001_16:
	s_cmp_lt_i32 s24, 1
	s_cbranch_scc0 .LBB1001_31
.LBB1001_17:
	s_endpgm
.LBB1001_18:
	v_add_f32_e32 v2, v2, v3
	v_cvt_f32_u32_e32 v3, s7
	s_mov_b32 s7, 0x800000
	s_waitcnt vmcnt(1)
	v_cvt_f32_f16_sdwa v17, v76 dst_sel:DWORD dst_unused:UNUSED_PAD src0_sel:WORD_1
	v_cvt_f32_f16_e32 v16, v76
	v_div_scale_f32 v4, s[36:37], v3, v3, v2
	v_rcp_f32_e32 v5, v4
	v_pk_add_f32 v[16:17], v[16:17], 1.0 op_sel_hi:[1,0]
	v_cvt_f32_f16_sdwa v21, v79 dst_sel:DWORD dst_unused:UNUSED_PAD src0_sel:WORD_1
	v_cvt_f32_f16_e32 v20, v79
	v_fma_f32 v6, -v4, v5, 1.0
	v_fmac_f32_e32 v5, v6, v5
	v_div_scale_f32 v6, vcc, v2, v3, v2
	v_mul_f32_e32 v7, v6, v5
	v_fma_f32 v8, -v4, v7, v6
	v_fmac_f32_e32 v7, v8, v5
	v_fma_f32 v4, -v4, v7, v6
	v_div_fmas_f32 v4, v4, v5, v7
	v_div_fixup_f32 v2, v4, v3, v2
	v_mov_b32_e32 v3, s21
	v_mov_b32_e32 v4, s20
	v_cndmask_b32_e64 v3, v3, v4, s[8:9]
	v_add_f32_e32 v2, v3, v2
	v_mul_f32_e32 v3, 0x4b800000, v2
	v_cmp_gt_f32_e32 vcc, s7, v2
	v_cndmask_b32_e32 v2, v2, v3, vcc
	v_rsq_f32_e32 v2, v2
	s_waitcnt vmcnt(0)
	v_cvt_f32_f16_sdwa v23, v74 dst_sel:DWORD dst_unused:UNUSED_PAD src0_sel:WORD_1
	v_cvt_f32_f16_e32 v22, v74
	v_mul_f32_e32 v3, 0x45800000, v2
	v_cndmask_b32_e32 v2, v2, v3, vcc
	v_mov_b32_e32 v3, v2
	;;#ASMSTART
	v_pk_mul_f32 v[4:5], v[48:49], v[2:3]
	;;#ASMEND
	;;#ASMSTART
	v_pk_mul_f32 v[6:7], v[34:35], v[2:3]
	;;#ASMEND
	;; [unrolled: 3-line block ×9, first 2 shown]
	v_cvt_f32_f16_sdwa v5, v77 dst_sel:DWORD dst_unused:UNUSED_PAD src0_sel:WORD_1
	v_cvt_f32_f16_e32 v4, v77
	v_cvt_f32_f16_sdwa v17, v78 dst_sel:DWORD dst_unused:UNUSED_PAD src0_sel:WORD_1
	v_cvt_f32_f16_e32 v16, v78
	v_cvt_f32_f16_sdwa v25, v75 dst_sel:DWORD dst_unused:UNUSED_PAD src0_sel:WORD_1
	v_pk_add_f32 v[4:5], v[4:5], 1.0 op_sel_hi:[1,0]
	;;#ASMSTART
	v_pk_mul_f32 v[34:35], v[6:7], v[4:5]
	;;#ASMEND
	v_pk_add_f32 v[4:5], v[16:17], 1.0 op_sel_hi:[1,0]
	v_pk_add_f32 v[6:7], v[20:21], 1.0 op_sel_hi:[1,0]
	v_cvt_f32_f16_sdwa v17, v72 dst_sel:DWORD dst_unused:UNUSED_PAD src0_sel:WORD_1
	v_cvt_f32_f16_e32 v16, v72
	v_cvt_f32_f16_sdwa v21, v73 dst_sel:DWORD dst_unused:UNUSED_PAD src0_sel:WORD_1
	v_cvt_f32_f16_e32 v20, v73
	v_cvt_f32_f16_e32 v24, v75
	v_pk_add_f32 v[16:17], v[16:17], 1.0 op_sel_hi:[1,0]
	v_pk_add_f32 v[22:23], v[22:23], 1.0 op_sel_hi:[1,0]
	;; [unrolled: 1-line block ×4, first 2 shown]
	;;#ASMSTART
	v_pk_mul_f32 v[54:55], v[8:9], v[4:5]
	;;#ASMEND
	;;#ASMSTART
	v_pk_mul_f32 v[24:25], v[10:11], v[6:7]
	;;#ASMEND
	;; [unrolled: 3-line block ×6, first 2 shown]
	s_or_b64 exec, exec, s[30:31]
	s_mov_b64 s[8:9], -1
	s_and_b64 vcc, exec, s[10:11]
	s_cbranch_vccz .LBB1001_15
.LBB1001_19:
	s_and_saveexec_b64 s[8:9], s[0:1]
	s_cbranch_execz .LBB1001_21
; %bb.20:
	v_cvt_f16_f32_e32 v2, v54
	v_cvt_f16_f32_e32 v3, v24
	;; [unrolled: 1-line block ×4, first 2 shown]
	s_mul_hi_i32 s11, s16, s6
	s_mul_i32 s10, s16, s6
	v_pack_b32_f16 v5, v3, v4
	v_pack_b32_f16 v4, v2, v6
	v_cvt_f16_f32_e32 v2, v34
	v_cvt_f16_f32_e32 v3, v35
	;; [unrolled: 1-line block ×3, first 2 shown]
	s_lshl_b64 s[10:11], s[10:11], 1
	s_add_u32 s36, s18, s10
	v_pack_b32_f16 v3, v2, v3
	v_cvt_f16_f32_e32 v2, v48
	s_addc_u32 s7, s19, s11
	s_and_b32 s37, s7, 0xffff
	s_mov_b32 s39, 0x20000
	v_pack_b32_f16 v2, v2, v6
	v_lshlrev_b32_e32 v6, 5, v0
	buffer_store_dwordx4 v[2:5], v6, s[36:39], 0 offen
	v_cvt_f16_f32_e32 v7, v15
	v_cvt_f16_f32_e32 v2, v14
	;; [unrolled: 1-line block ×4, first 2 shown]
	;;#ASMSTART
	s_nop 0
	;;#ASMEND
	v_pack_b32_f16 v5, v3, v4
	v_pack_b32_f16 v4, v2, v7
	v_cvt_f16_f32_e32 v2, v18
	v_cvt_f16_f32_e32 v3, v19
	;; [unrolled: 1-line block ×3, first 2 shown]
	v_pack_b32_f16 v3, v2, v3
	v_cvt_f16_f32_e32 v2, v64
	v_pack_b32_f16 v2, v2, v7
	buffer_store_dwordx4 v[2:5], v6, s[36:39], 16 offen
	;;#ASMSTART
	s_nop 0
	;;#ASMEND
.LBB1001_21:
	s_or_b64 exec, exec, s[8:9]
	s_cbranch_execnz .LBB1001_16
.LBB1001_22:
	v_mov_b32_e32 v2, 0
	s_and_saveexec_b64 s[8:9], s[0:1]
	s_cbranch_execz .LBB1001_24
; %bb.23:
	v_cvt_f16_f32_e32 v2, v54
	v_cvt_f16_f32_e32 v3, v24
	;; [unrolled: 1-line block ×4, first 2 shown]
	s_load_dwordx2 s[10:11], s[4:5], 0x10
	s_mul_hi_i32 s31, s15, s6
	v_pack_b32_f16 v5, v3, v4
	v_pack_b32_f16 v4, v2, v6
	v_cvt_f16_f32_e32 v2, v34
	v_cvt_f16_f32_e32 v3, v35
	;; [unrolled: 1-line block ×3, first 2 shown]
	s_mul_i32 s30, s15, s6
	s_lshl_b64 s[30:31], s[30:31], 1
	v_pack_b32_f16 v3, v2, v3
	v_cvt_f16_f32_e32 v2, v48
	s_waitcnt lgkmcnt(0)
	s_add_u32 s36, s10, s30
	s_addc_u32 s7, s11, s31
	s_and_b32 s37, s7, 0xffff
	v_pack_b32_f16 v2, v2, v6
	s_mov_b32 s39, 0x20000
	v_lshlrev_b32_e32 v6, 5, v0
	buffer_store_dwordx4 v[2:5], v6, s[36:39], 0 offen
	v_cvt_f16_f32_e32 v7, v15
	v_cvt_f16_f32_e32 v2, v14
	;; [unrolled: 1-line block ×4, first 2 shown]
	;;#ASMSTART
	s_nop 0
	;;#ASMEND
	v_pack_b32_f16 v5, v3, v4
	v_pack_b32_f16 v4, v2, v7
	v_cvt_f16_f32_e32 v2, v18
	v_cvt_f16_f32_e32 v3, v19
	;; [unrolled: 1-line block ×3, first 2 shown]
	v_pack_b32_f16 v3, v2, v3
	v_cvt_f16_f32_e32 v2, v64
	v_pack_b32_f16 v2, v2, v7
	buffer_store_dwordx4 v[2:5], v6, s[36:39], 16 offen
	;;#ASMSTART
	s_nop 0
	;;#ASMEND
	s_nop 0
	v_mov_b32_e32 v2, 0x2edbe6ff
.LBB1001_24:
	s_or_b64 exec, exec, s[8:9]
	s_and_saveexec_b64 s[8:9], s[0:1]
	s_cbranch_execz .LBB1001_26
; %bb.25:
	v_and_b32_e32 v3, 0x7fffffff, v48
	v_and_b32_e32 v4, 0x7fffffff, v49
	;;#ASMSTART
	v_max3_f32 v2, v2, v3, v4

	;;#ASMEND
	v_and_b32_e32 v3, 0x7fffffff, v34
	v_and_b32_e32 v4, 0x7fffffff, v35
	;;#ASMSTART
	v_max3_f32 v2, v2, v3, v4

	;;#ASMEND
	;; [unrolled: 6-line block ×8, first 2 shown]
.LBB1001_26:
	s_or_b64 exec, exec, s[8:9]
	;;#ASMSTART
	v_max_f32 v3, v2, v2 quad_perm:[1,0,3,2] row_mask:0xf bank_mask:0xf bound_ctrl:1
	;;#ASMEND
	v_mul_f32_e32 v2, 0x3b124925, v3
	v_and_b32_e32 v3, 1, v0
	v_cmp_eq_u32_e32 vcc, 0, v3
	v_cmp_gt_i32_e64 s[8:9], s23, v1
	s_and_b64 s[10:11], vcc, s[8:9]
	s_and_saveexec_b64 s[8:9], s[10:11]
	s_cbranch_execz .LBB1001_28
; %bb.27:
	s_load_dwordx2 s[10:11], s[4:5], 0x8
	v_lshrrev_b32_e32 v3, 1, v0
	s_mul_hi_i32 s31, s13, s6
	s_mul_i32 s30, s13, s6
	v_mad_i64_i32 v[4:5], s[14:15], s14, v3, 0
	s_lshl_b64 s[14:15], s[30:31], 2
	s_waitcnt lgkmcnt(0)
	s_add_u32 s7, s10, s14
	s_addc_u32 s10, s11, s15
	v_lshlrev_b64 v[4:5], 2, v[4:5]
	v_mov_b32_e32 v3, s10
	v_add_co_u32_e32 v4, vcc, s7, v4
	v_addc_co_u32_e32 v5, vcc, v3, v5, vcc
	global_store_dword v[4:5], v2, off
.LBB1001_28:
	s_or_b64 exec, exec, s[8:9]
	;;#ASMSTART
	v_rcp_f32 v2, v2
	;;#ASMEND
	s_and_saveexec_b64 s[14:15], s[0:1]
	s_cbranch_execz .LBB1001_30
; %bb.29:
	v_mov_b32_e32 v3, v2
	;;#ASMSTART
	v_pk_mul_f32 v[4:5], v[48:49], v[2:3]
	;;#ASMEND
	v_mov_b32_e32 v10, 0xc3e00000
	v_mov_b32_e32 v11, 0x43e00000
	;;#ASMSTART
	v_med3_f32 v4, v4, v10, v11
v_med3_f32 v5, v5, v10, v11
v_cvt_pk_fp8_f32 v6, v4, v5
	;;#ASMEND
	;;#ASMSTART
	v_pk_mul_f32 v[4:5], v[34:35], v[2:3]
	;;#ASMEND
	;;#ASMSTART
	v_med3_f32 v4, v4, v10, v11
v_med3_f32 v5, v5, v10, v11
v_cvt_pk_fp8_f32 v7, v4, v5
	;;#ASMEND
	;;#ASMSTART
	v_pk_mul_f32 v[4:5], v[54:55], v[2:3]
	;;#ASMEND
	;; [unrolled: 8-line block ×3, first 2 shown]
	;;#ASMSTART
	v_med3_f32 v4, v4, v10, v11
v_med3_f32 v5, v5, v10, v11
v_cvt_pk_fp8_f32 v9, v4, v5
	;;#ASMEND
	s_mov_b32 s0, 0x5040100
	v_perm_b32 v4, v7, v6, s0
	s_mov_b32 s0, 0x1060504
	v_perm_b32 v4, v4, v7, s0
	s_load_dwordx2 s[0:1], s[4:5], 0x0
	s_mov_b32 s7, 0x1000504
	;;#ASMSTART
	v_pk_mul_f32 v[6:7], v[64:65], v[2:3]
	;;#ASMEND
	v_perm_b32 v5, v8, v9, s7
	s_mul_i32 s8, s12, s6
	;;#ASMSTART
	v_med3_f32 v6, v6, v10, v11
v_med3_f32 v7, v7, v10, v11
v_cvt_pk_fp8_f32 v8, v6, v7
	;;#ASMEND
	s_mul_hi_i32 s9, s12, s6
	s_waitcnt lgkmcnt(0)
	s_add_u32 s8, s0, s8
	;;#ASMSTART
	v_pk_mul_f32 v[6:7], v[18:19], v[2:3]
	;;#ASMEND
	s_addc_u32 s0, s1, s9
	s_add_i32 s1, s23, 3
	;;#ASMSTART
	v_med3_f32 v6, v6, v10, v11
v_med3_f32 v7, v7, v10, v11
v_cvt_pk_fp8_f32 v9, v6, v7
	;;#ASMEND
	s_ashr_i32 s9, s1, 31
	v_perm_b32 v6, v8, v9, s7
	;;#ASMSTART
	v_pk_mul_f32 v[8:9], v[14:15], v[2:3]
	;;#ASMEND
	v_mov_b32_e32 v7, v9
	s_lshr_b32 s9, s9, 30
	;;#ASMSTART
	v_med3_f32 v8, v8, v10, v11
v_med3_f32 v7, v7, v10, v11
v_cvt_pk_fp8_f32 v9, v8, v7
	;;#ASMEND
	;;#ASMSTART
	v_pk_mul_f32 v[2:3], v[88:89], v[2:3]
	;;#ASMEND
	s_add_i32 s1, s1, s9
	;;#ASMSTART
	v_med3_f32 v2, v2, v10, v11
v_med3_f32 v3, v3, v10, v11
v_cvt_pk_fp8_f32 v7, v2, v3
	;;#ASMEND
	s_and_b32 s10, s1, -4
	s_and_b32 s9, s0, 0xffff
	s_mov_b32 s11, 0x20000
	v_perm_b32 v7, v9, v7, s7
	buffer_store_dwordx4 v[4:7], v1, s[8:11], 0 offen
	;;#ASMSTART
	s_nop 0
	;;#ASMEND
.LBB1001_30:
	s_or_b64 exec, exec, s[14:15]
	s_cmp_lt_i32 s24, 1
	s_cbranch_scc1 .LBB1001_17
.LBB1001_31:
	s_load_dword s0, s[4:5], 0x94
	s_waitcnt lgkmcnt(0)
	s_cmp_lg_u32 s0, 1
	s_cbranch_scc1 .LBB1001_17
; %bb.32:
	s_lshl_b32 s0, s24, 1
	s_add_i32 s0, s0, 2
	v_cmp_gt_u32_e32 vcc, s24, v1
	s_and_b32 s30, s0, -4
	v_mov_b32_e32 v18, 0
	v_lshlrev_b32_e32 v1, 5, v0
	v_mov_b32_e32 v14, 0
	v_mov_b32_e32 v15, 0
	;; [unrolled: 1-line block ×16, first 2 shown]
	s_barrier
	s_and_saveexec_b64 s[0:1], vcc
	s_cbranch_execz .LBB1001_34
; %bb.33:
	s_mul_hi_i32 s5, s26, s6
	s_mul_i32 s4, s26, s6
	s_and_b32 s29, s29, 0xffff
	s_lshl_b64 s[4:5], s[4:5], 1
	s_add_u32 s8, s34, s4
	s_mov_b32 s31, 0x20000
	s_addc_u32 s4, s35, s5
	s_and_b32 s9, s4, 0xffff
	s_mov_b32 s10, s30
	s_mov_b32 s11, s31
	buffer_load_dwordx4 v[14:17], v1, s[8:11], 0 offen
	buffer_load_dwordx4 v[10:13], v1, s[8:11], 16 offen
	;; [unrolled: 1-line block ×4, first 2 shown]
.LBB1001_34:
	s_or_b64 exec, exec, s[0:1]
	v_mov_b32_e32 v19, 0
	v_mov_b32_e32 v32, 0
	v_mov_b32_e32 v33, 0
	v_mov_b32_e32 v30, 0
	v_mov_b32_e32 v31, 0
	v_mov_b32_e32 v28, 0
	v_mov_b32_e32 v29, 0
	v_mov_b32_e32 v26, 0
	v_mov_b32_e32 v27, 0
	v_mov_b32_e32 v24, 0
	v_mov_b32_e32 v25, 0
	v_mov_b32_e32 v22, 0
	v_mov_b32_e32 v23, 0
	v_mov_b32_e32 v20, 0
	v_mov_b32_e32 v21, 0
	s_and_saveexec_b64 s[0:1], vcc
	s_cbranch_execz .LBB1001_36
; %bb.35:
	s_waitcnt vmcnt(3)
	v_cvt_f32_f16_sdwa v19, v14 dst_sel:DWORD dst_unused:UNUSED_PAD src0_sel:WORD_1
	v_cvt_f32_f16_e32 v18, v14
	v_cvt_f32_f16_sdwa v33, v15 dst_sel:DWORD dst_unused:UNUSED_PAD src0_sel:WORD_1
	v_cvt_f32_f16_e32 v32, v15
	;; [unrolled: 2-line block ×4, first 2 shown]
	s_waitcnt vmcnt(2)
	v_cvt_f32_f16_sdwa v27, v10 dst_sel:DWORD dst_unused:UNUSED_PAD src0_sel:WORD_1
	v_cvt_f32_f16_e32 v26, v10
	v_cvt_f32_f16_sdwa v25, v11 dst_sel:DWORD dst_unused:UNUSED_PAD src0_sel:WORD_1
	v_cvt_f32_f16_e32 v24, v11
	;; [unrolled: 2-line block ×4, first 2 shown]
.LBB1001_36:
	s_or_b64 exec, exec, s[0:1]
	s_waitcnt vmcnt(2)
	v_mul_f32_e32 v10, v19, v19
	v_fmac_f32_e32 v10, v18, v18
	v_fmac_f32_e32 v10, v32, v32
	;; [unrolled: 1-line block ×15, first 2 shown]
	s_nop 1
	v_mov_b32_dpp v11, v10 quad_perm:[1,0,3,2] row_mask:0xf bank_mask:0xf
	v_add_f32_e32 v10, v10, v11
	s_nop 1
	v_mov_b32_dpp v11, v10 quad_perm:[2,3,0,1] row_mask:0xf bank_mask:0xf
	v_add_f32_e32 v10, v10, v11
	s_nop 1
	v_mov_b32_dpp v11, v10 row_half_mirror row_mask:0xf bank_mask:0xf
	v_add_f32_e32 v10, v10, v11
	s_nop 1
	v_mov_b32_dpp v11, v10 row_mirror row_mask:0xf bank_mask:0xf
	v_add_f32_e32 v10, v10, v11
	s_nop 1
	v_mov_b32_dpp v11, v10 row_bcast:15 row_mask:0xf bank_mask:0xf
	v_add_f32_e32 v10, v10, v11
	s_nop 1
	v_mov_b32_dpp v11, v10 row_bcast:31 row_mask:0xf bank_mask:0xf
	s_and_saveexec_b64 s[0:1], s[2:3]
	s_cbranch_execz .LBB1001_38
; %bb.37:
	v_lshrrev_b32_e32 v0, 4, v0
	v_add_f32_e32 v10, v10, v11
	v_and_b32_e32 v0, 60, v0
	ds_write_b32 v0, v10
.LBB1001_38:
	s_or_b64 exec, exec, s[0:1]
	s_waitcnt lgkmcnt(0)
	s_barrier
	ds_read_b32 v0, v36
	s_waitcnt lgkmcnt(0)
	s_nop 0
	v_mov_b32_dpp v10, v0 quad_perm:[1,0,3,2] row_mask:0xf bank_mask:0xf
	v_add_f32_e32 v0, v0, v10
	s_nop 1
	v_mov_b32_dpp v10, v0 quad_perm:[2,3,0,1] row_mask:0xf bank_mask:0xf
	v_add_f32_e32 v0, v0, v10
	s_nop 1
	v_mov_b32_dpp v10, v0 row_half_mirror row_mask:0xf bank_mask:0xf
	s_and_saveexec_b64 s[0:1], vcc
	s_cbranch_execz .LBB1001_17
; %bb.39:
	v_cvt_f32_u32_e32 v11, s24
	v_add_f32_e32 v0, v0, v10
	s_mov_b32 s31, 0x20000
	v_div_scale_f32 v10, s[0:1], v11, v11, v0
	v_rcp_f32_e32 v12, v10
	v_div_scale_f32 v13, vcc, v0, v11, v0
	s_mov_b32 s0, 0x800000
	v_fma_f32 v14, -v10, v12, 1.0
	v_fmac_f32_e32 v12, v14, v12
	v_mul_f32_e32 v14, v13, v12
	v_fma_f32 v15, -v10, v14, v13
	v_fmac_f32_e32 v14, v15, v12
	v_fma_f32 v10, -v10, v14, v13
	v_div_fmas_f32 v10, v10, v12, v14
	v_div_fixup_f32 v0, v10, v11, v0
	v_add_f32_e32 v0, s21, v0
	v_mul_f32_e32 v10, 0x4b800000, v0
	v_cmp_gt_f32_e32 vcc, s0, v0
	v_cndmask_b32_e32 v0, v0, v10, vcc
	v_rsq_f32_e32 v0, v0
	s_mul_hi_i32 s1, s16, s6
	s_mul_i32 s0, s16, s6
	s_lshl_b64 s[0:1], s[0:1], 1
	v_mul_f32_e32 v10, 0x45800000, v0
	v_cndmask_b32_e32 v10, v0, v10, vcc
	v_mov_b32_e32 v11, v10
	;;#ASMSTART
	v_pk_mul_f32 v[12:13], v[18:19], v[10:11]
	;;#ASMEND
	;;#ASMSTART
	v_pk_mul_f32 v[14:15], v[32:33], v[10:11]
	;;#ASMEND
	;;#ASMSTART
	v_pk_mul_f32 v[16:17], v[30:31], v[10:11]
	;;#ASMEND
	;;#ASMSTART
	v_pk_mul_f32 v[18:19], v[28:29], v[10:11]
	;;#ASMEND
	s_waitcnt vmcnt(1)
	v_cvt_f32_f16_sdwa v29, v6 dst_sel:DWORD dst_unused:UNUSED_PAD src0_sel:WORD_1
	v_cvt_f32_f16_e32 v28, v6
	v_cvt_f32_f16_sdwa v31, v7 dst_sel:DWORD dst_unused:UNUSED_PAD src0_sel:WORD_1
	v_cvt_f32_f16_e32 v30, v7
	;;#ASMSTART
	v_pk_mul_f32 v[26:27], v[26:27], v[10:11]
	;;#ASMEND
	;;#ASMSTART
	v_pk_mul_f32 v[24:25], v[24:25], v[10:11]
	;;#ASMEND
	;; [unrolled: 3-line block ×4, first 2 shown]
	v_cvt_f32_f16_sdwa v21, v8 dst_sel:DWORD dst_unused:UNUSED_PAD src0_sel:WORD_1
	v_cvt_f32_f16_e32 v20, v8
	v_pk_add_f32 v[10:11], v[28:29], 1.0 op_sel_hi:[1,0]
	;;#ASMSTART
	v_pk_mul_f32 v[10:11], v[12:13], v[10:11]
	;;#ASMEND
	v_pk_add_f32 v[12:13], v[30:31], 1.0 op_sel_hi:[1,0]
	v_cvt_f32_f16_sdwa v29, v9 dst_sel:DWORD dst_unused:UNUSED_PAD src0_sel:WORD_1
	v_cvt_f32_f16_e32 v28, v9
	;;#ASMSTART
	v_pk_mul_f32 v[8:9], v[14:15], v[12:13]
	;;#ASMEND
	v_pk_add_f32 v[12:13], v[20:21], 1.0 op_sel_hi:[1,0]
	;;#ASMSTART
	v_pk_mul_f32 v[12:13], v[16:17], v[12:13]
	;;#ASMEND
	s_waitcnt vmcnt(0)
	v_cvt_f32_f16_sdwa v17, v2 dst_sel:DWORD dst_unused:UNUSED_PAD src0_sel:WORD_1
	v_cvt_f32_f16_e32 v16, v2
	v_cvt_f32_f16_sdwa v21, v3 dst_sel:DWORD dst_unused:UNUSED_PAD src0_sel:WORD_1
	v_cvt_f32_f16_e32 v20, v3
	v_pk_add_f32 v[14:15], v[28:29], 1.0 op_sel_hi:[1,0]
	;;#ASMSTART
	v_pk_mul_f32 v[2:3], v[18:19], v[14:15]
	;;#ASMEND
	v_cvt_f32_f16_sdwa v19, v4 dst_sel:DWORD dst_unused:UNUSED_PAD src0_sel:WORD_1
	v_cvt_f32_f16_e32 v18, v4
	v_pk_add_f32 v[14:15], v[16:17], 1.0 op_sel_hi:[1,0]
	v_pk_add_f32 v[16:17], v[20:21], 1.0 op_sel_hi:[1,0]
	v_cvt_f32_f16_sdwa v21, v5 dst_sel:DWORD dst_unused:UNUSED_PAD src0_sel:WORD_1
	v_cvt_f32_f16_e32 v20, v5
	v_pk_add_f32 v[4:5], v[18:19], 1.0 op_sel_hi:[1,0]
	;;#ASMSTART
	v_pk_mul_f32 v[14:15], v[26:27], v[14:15]
	;;#ASMEND
	;;#ASMSTART
	v_pk_mul_f32 v[16:17], v[24:25], v[16:17]
	;;#ASMEND
	;; [unrolled: 3-line block ×3, first 2 shown]
	v_pk_add_f32 v[4:5], v[20:21], 1.0 op_sel_hi:[1,0]
	;;#ASMSTART
	v_pk_mul_f32 v[6:7], v[6:7], v[4:5]
	;;#ASMEND
	v_cvt_f16_f32_e32 v0, v10
	v_cvt_f16_f32_e32 v4, v11
	;; [unrolled: 1-line block ×8, first 2 shown]
	s_add_u32 s28, s18, s0
	s_addc_u32 s0, s19, s1
	s_and_b32 s29, s0, 0xffff
	v_pack_b32_f16 v2, v0, v4
	v_pack_b32_f16 v3, v5, v8
	;; [unrolled: 1-line block ×4, first 2 shown]
	buffer_store_dwordx4 v[2:5], v1, s[28:31], 0 offen
	v_cvt_f16_f32_e32 v0, v14
	v_cvt_f16_f32_e32 v2, v15
	;; [unrolled: 1-line block ×8, first 2 shown]
	v_pack_b32_f16 v2, v0, v2
	v_pack_b32_f16 v3, v3, v4
	;; [unrolled: 1-line block ×4, first 2 shown]
	;;#ASMSTART
	s_nop 0
	;;#ASMEND
	buffer_store_dwordx4 v[2:5], v1, s[28:31], 16 offen
	;;#ASMSTART
	s_nop 0
	;;#ASMEND
	s_endpgm
	.section	.rodata,"a",@progbits
	.p2align	6, 0x0
	.amdhsa_kernel _ZN5aiter35fused_qk_rmsnorm_group_quant_kernelIDF16_DB8_Li512ELi16ELi2ELb1ELb1ELb1ELb0ELb0ELb0EEEvPT0_PvPT_S6_S6_PKS5_S8_S8_S8_S8_ffiiiiiiiiiiiii
		.amdhsa_group_segment_fixed_size 64
		.amdhsa_private_segment_fixed_size 0
		.amdhsa_kernarg_size 400
		.amdhsa_user_sgpr_count 6
		.amdhsa_user_sgpr_private_segment_buffer 1
		.amdhsa_user_sgpr_dispatch_ptr 0
		.amdhsa_user_sgpr_queue_ptr 0
		.amdhsa_user_sgpr_kernarg_segment_ptr 1
		.amdhsa_user_sgpr_dispatch_id 0
		.amdhsa_user_sgpr_flat_scratch_init 0
		.amdhsa_user_sgpr_kernarg_preload_length 0
		.amdhsa_user_sgpr_kernarg_preload_offset 0
		.amdhsa_user_sgpr_private_segment_size 0
		.amdhsa_uses_dynamic_stack 0
		.amdhsa_system_sgpr_private_segment_wavefront_offset 0
		.amdhsa_system_sgpr_workgroup_id_x 1
		.amdhsa_system_sgpr_workgroup_id_y 1
		.amdhsa_system_sgpr_workgroup_id_z 0
		.amdhsa_system_sgpr_workgroup_info 0
		.amdhsa_system_vgpr_workitem_id 0
		.amdhsa_next_free_vgpr 90
		.amdhsa_next_free_sgpr 44
		.amdhsa_accum_offset 92
		.amdhsa_reserve_vcc 1
		.amdhsa_reserve_flat_scratch 0
		.amdhsa_float_round_mode_32 0
		.amdhsa_float_round_mode_16_64 0
		.amdhsa_float_denorm_mode_32 3
		.amdhsa_float_denorm_mode_16_64 3
		.amdhsa_dx10_clamp 1
		.amdhsa_ieee_mode 1
		.amdhsa_fp16_overflow 0
		.amdhsa_tg_split 0
		.amdhsa_exception_fp_ieee_invalid_op 0
		.amdhsa_exception_fp_denorm_src 0
		.amdhsa_exception_fp_ieee_div_zero 0
		.amdhsa_exception_fp_ieee_overflow 0
		.amdhsa_exception_fp_ieee_underflow 0
		.amdhsa_exception_fp_ieee_inexact 0
		.amdhsa_exception_int_div_zero 0
	.end_amdhsa_kernel
	.section	.text._ZN5aiter35fused_qk_rmsnorm_group_quant_kernelIDF16_DB8_Li512ELi16ELi2ELb1ELb1ELb1ELb0ELb0ELb0EEEvPT0_PvPT_S6_S6_PKS5_S8_S8_S8_S8_ffiiiiiiiiiiiii,"axG",@progbits,_ZN5aiter35fused_qk_rmsnorm_group_quant_kernelIDF16_DB8_Li512ELi16ELi2ELb1ELb1ELb1ELb0ELb0ELb0EEEvPT0_PvPT_S6_S6_PKS5_S8_S8_S8_S8_ffiiiiiiiiiiiii,comdat
.Lfunc_end1001:
	.size	_ZN5aiter35fused_qk_rmsnorm_group_quant_kernelIDF16_DB8_Li512ELi16ELi2ELb1ELb1ELb1ELb0ELb0ELb0EEEvPT0_PvPT_S6_S6_PKS5_S8_S8_S8_S8_ffiiiiiiiiiiiii, .Lfunc_end1001-_ZN5aiter35fused_qk_rmsnorm_group_quant_kernelIDF16_DB8_Li512ELi16ELi2ELb1ELb1ELb1ELb0ELb0ELb0EEEvPT0_PvPT_S6_S6_PKS5_S8_S8_S8_S8_ffiiiiiiiiiiiii
                                        ; -- End function
	.section	.AMDGPU.csdata,"",@progbits
; Kernel info:
; codeLenInByte = 4416
; NumSgprs: 48
; NumVgprs: 90
; NumAgprs: 0
; TotalNumVgprs: 90
; ScratchSize: 0
; MemoryBound: 0
; FloatMode: 240
; IeeeMode: 1
; LDSByteSize: 64 bytes/workgroup (compile time only)
; SGPRBlocks: 5
; VGPRBlocks: 11
; NumSGPRsForWavesPerEU: 48
; NumVGPRsForWavesPerEU: 90
; AccumOffset: 92
; Occupancy: 5
; WaveLimiterHint : 0
; COMPUTE_PGM_RSRC2:SCRATCH_EN: 0
; COMPUTE_PGM_RSRC2:USER_SGPR: 6
; COMPUTE_PGM_RSRC2:TRAP_HANDLER: 0
; COMPUTE_PGM_RSRC2:TGID_X_EN: 1
; COMPUTE_PGM_RSRC2:TGID_Y_EN: 1
; COMPUTE_PGM_RSRC2:TGID_Z_EN: 0
; COMPUTE_PGM_RSRC2:TIDIG_COMP_CNT: 0
; COMPUTE_PGM_RSRC3_GFX90A:ACCUM_OFFSET: 22
; COMPUTE_PGM_RSRC3_GFX90A:TG_SPLIT: 0
	.section	.text._ZN5aiter35fused_qk_rmsnorm_group_quant_kernelItDB8_Li512ELi16ELi2ELb1ELb1ELb1ELb0ELb0ELb0EEEvPT0_PvPT_S6_S6_PKS5_S8_S8_S8_S8_ffiiiiiiiiiiiii,"axG",@progbits,_ZN5aiter35fused_qk_rmsnorm_group_quant_kernelItDB8_Li512ELi16ELi2ELb1ELb1ELb1ELb0ELb0ELb0EEEvPT0_PvPT_S6_S6_PKS5_S8_S8_S8_S8_ffiiiiiiiiiiiii,comdat
	.protected	_ZN5aiter35fused_qk_rmsnorm_group_quant_kernelItDB8_Li512ELi16ELi2ELb1ELb1ELb1ELb0ELb0ELb0EEEvPT0_PvPT_S6_S6_PKS5_S8_S8_S8_S8_ffiiiiiiiiiiiii ; -- Begin function _ZN5aiter35fused_qk_rmsnorm_group_quant_kernelItDB8_Li512ELi16ELi2ELb1ELb1ELb1ELb0ELb0ELb0EEEvPT0_PvPT_S6_S6_PKS5_S8_S8_S8_S8_ffiiiiiiiiiiiii
	.globl	_ZN5aiter35fused_qk_rmsnorm_group_quant_kernelItDB8_Li512ELi16ELi2ELb1ELb1ELb1ELb0ELb0ELb0EEEvPT0_PvPT_S6_S6_PKS5_S8_S8_S8_S8_ffiiiiiiiiiiiii
	.p2align	8
	.type	_ZN5aiter35fused_qk_rmsnorm_group_quant_kernelItDB8_Li512ELi16ELi2ELb1ELb1ELb1ELb0ELb0ELb0EEEvPT0_PvPT_S6_S6_PKS5_S8_S8_S8_S8_ffiiiiiiiiiiiii,@function
_ZN5aiter35fused_qk_rmsnorm_group_quant_kernelItDB8_Li512ELi16ELi2ELb1ELb1ELb1ELb0ELb0ELb0EEEvPT0_PvPT_S6_S6_PKS5_S8_S8_S8_S8_ffiiiiiiiiiiiii: ; @_ZN5aiter35fused_qk_rmsnorm_group_quant_kernelItDB8_Li512ELi16ELi2ELb1ELb1ELb1ELb0ELb0ELb0EEEvPT0_PvPT_S6_S6_PKS5_S8_S8_S8_S8_ffiiiiiiiiiiiii
; %bb.0:
	s_load_dwordx8 s[20:27], s[4:5], 0x50
	s_waitcnt lgkmcnt(0)
	s_cmp_ge_i32 s6, s22
	s_cbranch_scc1 .LBB1002_17
; %bb.1:
	s_cmp_lg_u32 s7, 0
	s_cselect_b64 s[10:11], -1, 0
	s_cmp_eq_u32 s7, 0
	s_cselect_b64 s[8:9], -1, 0
	s_and_b64 s[0:1], s[8:9], exec
	s_load_dwordx2 s[28:29], s[4:5], 0x48
	s_load_dwordx2 s[34:35], s[4:5], 0x30
	s_load_dwordx8 s[12:19], s[4:5], 0x70
	s_cselect_b32 s7, s23, s24
	s_add_i32 s0, s7, 1
	s_lshr_b32 s1, s0, 31
	s_add_i32 s0, s0, s1
	s_lshl_b32 s0, s0, 1
	v_lshlrev_b32_e32 v1, 4, v0
	s_and_b32 s38, s0, -4
	v_cmp_gt_i32_e64 s[0:1], s7, v1
	v_mov_b32_e32 v74, 0
	v_mov_b32_e32 v75, 0
	v_mov_b32_e32 v76, 0
	v_mov_b32_e32 v77, 0
	v_mov_b32_e32 v70, 0
	v_mov_b32_e32 v71, 0
	v_mov_b32_e32 v72, 0
	v_mov_b32_e32 v73, 0
	v_mov_b32_e32 v78, 0
	v_mov_b32_e32 v79, 0
	v_mov_b32_e32 v80, 0
	v_mov_b32_e32 v81, 0
	v_mov_b32_e32 v82, 0
	v_mov_b32_e32 v83, 0
	v_mov_b32_e32 v84, 0
	v_mov_b32_e32 v85, 0
	s_and_saveexec_b64 s[2:3], s[0:1]
	s_cbranch_execz .LBB1002_3
; %bb.2:
	s_waitcnt lgkmcnt(0)
	s_load_dwordx2 s[18:19], s[4:5], 0x28
	s_load_dwordx2 s[30:31], s[4:5], 0x40
	s_and_b64 s[36:37], s[8:9], exec
	s_cselect_b32 s22, s25, s26
	s_mov_b32 s39, 0x20000
	s_waitcnt lgkmcnt(0)
	s_cselect_b32 s25, s19, s35
	s_cselect_b32 s33, s18, s34
	s_mul_hi_i32 s19, s22, s6
	s_mul_i32 s18, s22, s6
	s_lshl_b64 s[18:19], s[18:19], 1
	s_add_u32 s40, s33, s18
	s_addc_u32 s22, s25, s19
	s_and_b64 s[18:19], s[8:9], exec
	s_cselect_b32 s36, s30, s28
	s_cselect_b32 s18, s31, s29
	s_and_b32 s41, s22, 0xffff
	s_mov_b32 s42, s38
	s_mov_b32 s43, s39
	v_lshlrev_b32_e32 v2, 5, v0
	s_and_b32 s37, s18, 0xffff
	buffer_load_dwordx4 v[78:81], v2, s[40:43], 0 offen
	buffer_load_dwordx4 v[82:85], v2, s[40:43], 16 offen
	;; [unrolled: 1-line block ×4, first 2 shown]
.LBB1002_3:
	s_or_b64 exec, exec, s[2:3]
	s_and_b64 vcc, exec, s[10:11]
	s_cbranch_vccz .LBB1002_7
; %bb.4:
	v_mov_b32_e32 v87, 0
	v_mov_b32_e32 v86, 0
	;; [unrolled: 1-line block ×16, first 2 shown]
	s_and_saveexec_b64 s[2:3], s[0:1]
	s_cbranch_execz .LBB1002_6
; %bb.5:
	s_waitcnt vmcnt(3)
	v_cvt_f32_u32_sdwa v52, v78 dst_sel:DWORD dst_unused:UNUSED_PAD src0_sel:WORD_0
	v_cvt_f32_u32_sdwa v53, v78 dst_sel:DWORD dst_unused:UNUSED_PAD src0_sel:WORD_1
	v_cvt_f32_u32_sdwa v34, v79 dst_sel:DWORD dst_unused:UNUSED_PAD src0_sel:WORD_0
	v_cvt_f32_u32_sdwa v35, v79 dst_sel:DWORD dst_unused:UNUSED_PAD src0_sel:WORD_1
	;; [unrolled: 2-line block ×4, first 2 shown]
	s_waitcnt vmcnt(2)
	v_cvt_f32_u32_sdwa v44, v82 dst_sel:DWORD dst_unused:UNUSED_PAD src0_sel:WORD_0
	v_cvt_f32_u32_sdwa v45, v82 dst_sel:DWORD dst_unused:UNUSED_PAD src0_sel:WORD_1
	v_cvt_f32_u32_sdwa v18, v83 dst_sel:DWORD dst_unused:UNUSED_PAD src0_sel:WORD_0
	v_cvt_f32_u32_sdwa v19, v83 dst_sel:DWORD dst_unused:UNUSED_PAD src0_sel:WORD_1
	;; [unrolled: 2-line block ×4, first 2 shown]
.LBB1002_6:
	s_or_b64 exec, exec, s[2:3]
	s_cbranch_execz .LBB1002_8
	s_branch .LBB1002_11
.LBB1002_7:
                                        ; implicit-def: $vgpr32_vgpr33_vgpr34_vgpr35_vgpr36_vgpr37_vgpr38_vgpr39_vgpr40_vgpr41_vgpr42_vgpr43_vgpr44_vgpr45_vgpr46_vgpr47
                                        ; implicit-def: $vgpr18_vgpr19_vgpr20_vgpr21_vgpr22_vgpr23_vgpr24_vgpr25_vgpr26_vgpr27_vgpr28_vgpr29_vgpr30_vgpr31_vgpr32_vgpr33
                                        ; implicit-def: $vgpr52_vgpr53_vgpr54_vgpr55_vgpr56_vgpr57_vgpr58_vgpr59_vgpr60_vgpr61_vgpr62_vgpr63_vgpr64_vgpr65_vgpr66_vgpr67
                                        ; implicit-def: $vgpr87
                                        ; implicit-def: $vgpr54_vgpr55_vgpr56_vgpr57_vgpr58_vgpr59_vgpr60_vgpr61_vgpr62_vgpr63_vgpr64_vgpr65_vgpr66_vgpr67_vgpr68_vgpr69
                                        ; implicit-def: $vgpr8_vgpr9_vgpr10_vgpr11_vgpr12_vgpr13_vgpr14_vgpr15_vgpr16_vgpr17_vgpr18_vgpr19_vgpr20_vgpr21_vgpr22_vgpr23
                                        ; implicit-def: $vgpr36_vgpr37_vgpr38_vgpr39_vgpr40_vgpr41_vgpr42_vgpr43_vgpr44_vgpr45_vgpr46_vgpr47_vgpr48_vgpr49_vgpr50_vgpr51
                                        ; implicit-def: $vgpr2_vgpr3_vgpr4_vgpr5_vgpr6_vgpr7_vgpr8_vgpr9_vgpr10_vgpr11_vgpr12_vgpr13_vgpr14_vgpr15_vgpr16_vgpr17
.LBB1002_8:
	v_mov_b32_e32 v87, 0
	v_mov_b32_e32 v86, 0
	v_mov_b32_e32 v15, 0
	v_mov_b32_e32 v14, 0
	v_mov_b32_e32 v19, 0
	v_mov_b32_e32 v18, 0
	v_mov_b32_e32 v45, 0
	v_mov_b32_e32 v44, 0
	v_mov_b32_e32 v25, 0
	v_mov_b32_e32 v24, 0
	v_mov_b32_e32 v59, 0
	v_mov_b32_e32 v58, 0
	v_mov_b32_e32 v35, 0
	v_mov_b32_e32 v34, 0
	v_mov_b32_e32 v53, 0
	v_mov_b32_e32 v52, 0
	s_and_saveexec_b64 s[2:3], s[0:1]
	s_cbranch_execz .LBB1002_10
; %bb.9:
	s_waitcnt lgkmcnt(0)
	s_load_dwordx2 s[18:19], s[4:5], 0x38
	s_mul_hi_i32 s31, s27, s6
	s_mul_i32 s30, s27, s6
	s_lshl_b64 s[30:31], s[30:31], 1
	s_mov_b32 s39, 0x20000
	s_waitcnt lgkmcnt(0)
	s_add_u32 s36, s18, s30
	s_addc_u32 s18, s19, s31
	s_and_b32 s37, s18, 0xffff
	v_lshlrev_b32_e32 v38, 5, v0
	buffer_load_dwordx4 v[4:7], v38, s[36:39], 16 offen
	buffer_load_dwordx4 v[8:11], v38, s[36:39], 0 offen
	s_load_dwordx2 s[18:19], s[4:5], 0x20
	s_waitcnt vmcnt(5)
	v_cvt_f32_u32_sdwa v19, v78 dst_sel:DWORD dst_unused:UNUSED_PAD src0_sel:WORD_1
	v_cvt_f32_u32_sdwa v18, v78 dst_sel:DWORD dst_unused:UNUSED_PAD src0_sel:WORD_0
	v_cvt_f32_u32_sdwa v21, v79 dst_sel:DWORD dst_unused:UNUSED_PAD src0_sel:WORD_1
	v_cvt_f32_u32_sdwa v20, v79 dst_sel:DWORD dst_unused:UNUSED_PAD src0_sel:WORD_0
	;; [unrolled: 2-line block ×4, first 2 shown]
	s_waitcnt vmcnt(4)
	v_cvt_f32_u32_sdwa v3, v82 dst_sel:DWORD dst_unused:UNUSED_PAD src0_sel:WORD_1
	v_cvt_f32_u32_sdwa v2, v82 dst_sel:DWORD dst_unused:UNUSED_PAD src0_sel:WORD_0
	v_cvt_f32_u32_sdwa v13, v83 dst_sel:DWORD dst_unused:UNUSED_PAD src0_sel:WORD_1
	v_cvt_f32_u32_sdwa v12, v83 dst_sel:DWORD dst_unused:UNUSED_PAD src0_sel:WORD_0
	;; [unrolled: 2-line block ×3, first 2 shown]
	v_cvt_f32_u32_sdwa v16, v85 dst_sel:DWORD dst_unused:UNUSED_PAD src0_sel:WORD_0
	v_cvt_f32_u32_sdwa v17, v85 dst_sel:DWORD dst_unused:UNUSED_PAD src0_sel:WORD_1
	s_mul_hi_i32 s31, s17, s6
	s_mul_i32 s30, s17, s6
	s_lshl_b64 s[30:31], s[30:31], 1
	s_waitcnt lgkmcnt(0)
	s_add_u32 s36, s18, s30
	s_mov_b32 s17, 0x7060302
	s_addc_u32 s18, s19, s31
	s_and_b32 s37, s18, 0xffff
	s_waitcnt vmcnt(1)
	v_cvt_f32_u32_sdwa v27, v4 dst_sel:DWORD dst_unused:UNUSED_PAD src0_sel:WORD_1
	v_cvt_f32_u32_sdwa v26, v4 dst_sel:DWORD dst_unused:UNUSED_PAD src0_sel:WORD_0
	v_cvt_f32_u32_sdwa v29, v5 dst_sel:DWORD dst_unused:UNUSED_PAD src0_sel:WORD_1
	v_cvt_f32_u32_sdwa v28, v5 dst_sel:DWORD dst_unused:UNUSED_PAD src0_sel:WORD_0
	;; [unrolled: 2-line block ×3, first 2 shown]
	v_cvt_f32_u32_sdwa v32, v7 dst_sel:DWORD dst_unused:UNUSED_PAD src0_sel:WORD_0
	v_cvt_f32_u32_sdwa v33, v7 dst_sel:DWORD dst_unused:UNUSED_PAD src0_sel:WORD_1
	s_waitcnt vmcnt(0)
	v_cvt_f32_u32_sdwa v37, v8 dst_sel:DWORD dst_unused:UNUSED_PAD src0_sel:WORD_1
	v_cvt_f32_u32_sdwa v36, v8 dst_sel:DWORD dst_unused:UNUSED_PAD src0_sel:WORD_0
	v_cvt_f32_u32_sdwa v5, v10 dst_sel:DWORD dst_unused:UNUSED_PAD src0_sel:WORD_1
	v_cvt_f32_u32_sdwa v4, v10 dst_sel:DWORD dst_unused:UNUSED_PAD src0_sel:WORD_0
	;; [unrolled: 2-line block ×4, first 2 shown]
	v_pk_add_f32 v[58:59], v[22:23], v[4:5]
	v_pk_add_f32 v[24:25], v[24:25], v[6:7]
	;; [unrolled: 1-line block ×4, first 2 shown]
	v_perm_b32 v7, v25, v24, s17
	v_perm_b32 v6, v59, v58, s17
	;; [unrolled: 1-line block ×4, first 2 shown]
	v_pk_add_f32 v[86:87], v[16:17], v[32:33]
	v_pk_add_f32 v[14:15], v[14:15], v[30:31]
	;; [unrolled: 1-line block ×4, first 2 shown]
	buffer_store_dwordx4 v[4:7], v38, s[36:39], 0 offen
	;;#ASMSTART
	s_nop 0
	;;#ASMEND
	s_nop 0
	v_perm_b32 v7, v87, v86, s17
	v_perm_b32 v6, v15, v14, s17
	;; [unrolled: 1-line block ×4, first 2 shown]
	buffer_store_dwordx4 v[4:7], v38, s[36:39], 16 offen
	;;#ASMSTART
	s_nop 0
	;;#ASMEND
.LBB1002_10:
	s_or_b64 exec, exec, s[2:3]
.LBB1002_11:
	v_mul_f32_e32 v2, v53, v53
	v_fmac_f32_e32 v2, v52, v52
	v_fmac_f32_e32 v2, v34, v34
	;; [unrolled: 1-line block ×15, first 2 shown]
	s_nop 1
	v_mov_b32_dpp v3, v2 quad_perm:[1,0,3,2] row_mask:0xf bank_mask:0xf
	v_add_f32_e32 v2, v2, v3
	s_nop 1
	v_mov_b32_dpp v3, v2 quad_perm:[2,3,0,1] row_mask:0xf bank_mask:0xf
	v_add_f32_e32 v2, v2, v3
	s_nop 1
	v_mov_b32_dpp v3, v2 row_half_mirror row_mask:0xf bank_mask:0xf
	v_add_f32_e32 v2, v2, v3
	s_nop 1
	v_mov_b32_dpp v3, v2 row_mirror row_mask:0xf bank_mask:0xf
	v_add_f32_e32 v2, v2, v3
	s_nop 1
	v_mov_b32_dpp v3, v2 row_bcast:15 row_mask:0xf bank_mask:0xf
	v_add_f32_e32 v2, v2, v3
	v_and_b32_e32 v3, 63, v0
	v_cmp_eq_u32_e64 s[2:3], 63, v3
	s_nop 0
	v_mov_b32_dpp v3, v2 row_bcast:31 row_mask:0xf bank_mask:0xf
	s_waitcnt lgkmcnt(0)
	s_and_saveexec_b64 s[18:19], s[2:3]
	s_cbranch_execz .LBB1002_13
; %bb.12:
	v_add_f32_e32 v2, v2, v3
	v_lshrrev_b32_e32 v3, 4, v0
	v_and_b32_e32 v3, 60, v3
	ds_write_b32 v3, v2 offset:32
.LBB1002_13:
	s_or_b64 exec, exec, s[18:19]
	v_and_b32_e32 v2, 7, v0
	v_lshlrev_b32_e32 v36, 2, v2
	s_waitcnt lgkmcnt(0)
	s_barrier
	ds_read_b32 v2, v36 offset:32
	s_load_dwordx2 s[18:19], s[4:5], 0x18
	s_waitcnt lgkmcnt(0)
	v_mov_b32_dpp v3, v2 quad_perm:[1,0,3,2] row_mask:0xf bank_mask:0xf
	v_add_f32_e32 v2, v2, v3
	s_nop 1
	v_mov_b32_dpp v3, v2 quad_perm:[2,3,0,1] row_mask:0xf bank_mask:0xf
	v_add_f32_e32 v2, v2, v3
	s_nop 1
	v_mov_b32_dpp v3, v2 row_half_mirror row_mask:0xf bank_mask:0xf
	s_and_saveexec_b64 s[30:31], s[0:1]
	s_cbranch_execnz .LBB1002_18
; %bb.14:
	s_or_b64 exec, exec, s[30:31]
	s_mov_b64 s[8:9], -1
	s_and_b64 vcc, exec, s[10:11]
	s_cbranch_vccnz .LBB1002_19
.LBB1002_15:
	s_andn2_b64 vcc, exec, s[8:9]
	s_cbranch_vccz .LBB1002_22
.LBB1002_16:
	s_cmp_lt_i32 s24, 1
	s_cbranch_scc0 .LBB1002_31
.LBB1002_17:
	s_endpgm
.LBB1002_18:
	v_add_f32_e32 v2, v2, v3
	v_cvt_f32_u32_e32 v3, s7
	s_mov_b32 s7, 0x800000
	s_waitcnt vmcnt(1)
	v_cvt_f32_u32_sdwa v17, v74 dst_sel:DWORD dst_unused:UNUSED_PAD src0_sel:WORD_1
	v_cvt_f32_u32_sdwa v16, v74 dst_sel:DWORD dst_unused:UNUSED_PAD src0_sel:WORD_0
	v_div_scale_f32 v4, s[36:37], v3, v3, v2
	v_rcp_f32_e32 v5, v4
	v_pk_add_f32 v[16:17], v[16:17], 1.0 op_sel_hi:[1,0]
	v_cvt_f32_u32_sdwa v21, v77 dst_sel:DWORD dst_unused:UNUSED_PAD src0_sel:WORD_1
	v_cvt_f32_u32_sdwa v20, v77 dst_sel:DWORD dst_unused:UNUSED_PAD src0_sel:WORD_0
	v_fma_f32 v6, -v4, v5, 1.0
	v_fmac_f32_e32 v5, v6, v5
	v_div_scale_f32 v6, vcc, v2, v3, v2
	v_mul_f32_e32 v7, v6, v5
	v_fma_f32 v8, -v4, v7, v6
	v_fmac_f32_e32 v7, v8, v5
	v_fma_f32 v4, -v4, v7, v6
	v_div_fmas_f32 v4, v4, v5, v7
	v_div_fixup_f32 v2, v4, v3, v2
	v_mov_b32_e32 v3, s21
	v_mov_b32_e32 v4, s20
	v_cndmask_b32_e64 v3, v3, v4, s[8:9]
	v_add_f32_e32 v2, v3, v2
	v_mul_f32_e32 v3, 0x4b800000, v2
	v_cmp_gt_f32_e32 vcc, s7, v2
	v_cndmask_b32_e32 v2, v2, v3, vcc
	v_rsq_f32_e32 v2, v2
	s_waitcnt vmcnt(0)
	v_cvt_f32_u32_sdwa v23, v72 dst_sel:DWORD dst_unused:UNUSED_PAD src0_sel:WORD_1
	v_cvt_f32_u32_sdwa v22, v72 dst_sel:DWORD dst_unused:UNUSED_PAD src0_sel:WORD_0
	v_mul_f32_e32 v3, 0x45800000, v2
	v_cndmask_b32_e32 v2, v2, v3, vcc
	v_mov_b32_e32 v3, v2
	;;#ASMSTART
	v_pk_mul_f32 v[4:5], v[52:53], v[2:3]
	;;#ASMEND
	;;#ASMSTART
	v_pk_mul_f32 v[6:7], v[34:35], v[2:3]
	;;#ASMEND
	;; [unrolled: 3-line block ×9, first 2 shown]
	v_cvt_f32_u32_sdwa v5, v75 dst_sel:DWORD dst_unused:UNUSED_PAD src0_sel:WORD_1
	v_cvt_f32_u32_sdwa v4, v75 dst_sel:DWORD dst_unused:UNUSED_PAD src0_sel:WORD_0
	v_cvt_f32_u32_sdwa v17, v76 dst_sel:DWORD dst_unused:UNUSED_PAD src0_sel:WORD_1
	v_cvt_f32_u32_sdwa v16, v76 dst_sel:DWORD dst_unused:UNUSED_PAD src0_sel:WORD_0
	v_cvt_f32_u32_sdwa v25, v73 dst_sel:DWORD dst_unused:UNUSED_PAD src0_sel:WORD_1
	v_pk_add_f32 v[4:5], v[4:5], 1.0 op_sel_hi:[1,0]
	;;#ASMSTART
	v_pk_mul_f32 v[34:35], v[6:7], v[4:5]
	;;#ASMEND
	v_pk_add_f32 v[4:5], v[16:17], 1.0 op_sel_hi:[1,0]
	v_pk_add_f32 v[6:7], v[20:21], 1.0 op_sel_hi:[1,0]
	v_cvt_f32_u32_sdwa v17, v70 dst_sel:DWORD dst_unused:UNUSED_PAD src0_sel:WORD_1
	v_cvt_f32_u32_sdwa v16, v70 dst_sel:DWORD dst_unused:UNUSED_PAD src0_sel:WORD_0
	v_cvt_f32_u32_sdwa v21, v71 dst_sel:DWORD dst_unused:UNUSED_PAD src0_sel:WORD_1
	v_cvt_f32_u32_sdwa v20, v71 dst_sel:DWORD dst_unused:UNUSED_PAD src0_sel:WORD_0
	v_cvt_f32_u32_sdwa v24, v73 dst_sel:DWORD dst_unused:UNUSED_PAD src0_sel:WORD_0
	v_pk_add_f32 v[16:17], v[16:17], 1.0 op_sel_hi:[1,0]
	v_pk_add_f32 v[22:23], v[22:23], 1.0 op_sel_hi:[1,0]
	v_pk_add_f32 v[20:21], v[20:21], 1.0 op_sel_hi:[1,0]
	v_pk_add_f32 v[26:27], v[24:25], 1.0 op_sel_hi:[1,0]
	;;#ASMSTART
	v_pk_mul_f32 v[58:59], v[8:9], v[4:5]
	;;#ASMEND
	;;#ASMSTART
	v_pk_mul_f32 v[24:25], v[10:11], v[6:7]
	;;#ASMEND
	;; [unrolled: 3-line block ×6, first 2 shown]
	s_or_b64 exec, exec, s[30:31]
	s_mov_b64 s[8:9], -1
	s_and_b64 vcc, exec, s[10:11]
	s_cbranch_vccz .LBB1002_15
.LBB1002_19:
	s_and_saveexec_b64 s[8:9], s[0:1]
	s_cbranch_execz .LBB1002_21
; %bb.20:
	s_mul_hi_i32 s11, s16, s6
	s_mul_i32 s10, s16, s6
	s_lshl_b64 s[10:11], s[10:11], 1
	s_add_u32 s36, s18, s10
	s_addc_u32 s7, s19, s11
	s_and_b32 s37, s7, 0xffff
	s_mov_b32 s7, 0x7060302
	s_mov_b32 s39, 0x20000
	v_perm_b32 v5, v25, v24, s7
	v_perm_b32 v4, v59, v58, s7
	;; [unrolled: 1-line block ×4, first 2 shown]
	v_lshlrev_b32_e32 v6, 5, v0
	buffer_store_dwordx4 v[2:5], v6, s[36:39], 0 offen
	;;#ASMSTART
	s_nop 0
	;;#ASMEND
	s_nop 0
	v_perm_b32 v5, v87, v86, s7
	v_perm_b32 v4, v15, v14, s7
	;; [unrolled: 1-line block ×4, first 2 shown]
	buffer_store_dwordx4 v[2:5], v6, s[36:39], 16 offen
	;;#ASMSTART
	s_nop 0
	;;#ASMEND
.LBB1002_21:
	s_or_b64 exec, exec, s[8:9]
	s_cbranch_execnz .LBB1002_16
.LBB1002_22:
	v_mov_b32_e32 v2, 0
	s_and_saveexec_b64 s[8:9], s[0:1]
	s_cbranch_execz .LBB1002_24
; %bb.23:
	s_load_dwordx2 s[10:11], s[4:5], 0x10
	s_mul_hi_i32 s31, s15, s6
	s_mul_i32 s30, s15, s6
	s_lshl_b64 s[30:31], s[30:31], 1
	s_mov_b32 s39, 0x20000
	s_waitcnt lgkmcnt(0)
	s_add_u32 s36, s10, s30
	s_addc_u32 s7, s11, s31
	s_and_b32 s37, s7, 0xffff
	s_mov_b32 s7, 0x7060302
	v_perm_b32 v5, v25, v24, s7
	v_perm_b32 v4, v59, v58, s7
	;; [unrolled: 1-line block ×4, first 2 shown]
	v_lshlrev_b32_e32 v6, 5, v0
	buffer_store_dwordx4 v[2:5], v6, s[36:39], 0 offen
	;;#ASMSTART
	s_nop 0
	;;#ASMEND
	s_nop 0
	v_perm_b32 v5, v87, v86, s7
	v_perm_b32 v4, v15, v14, s7
	v_perm_b32 v3, v19, v18, s7
	v_perm_b32 v2, v45, v44, s7
	buffer_store_dwordx4 v[2:5], v6, s[36:39], 16 offen
	;;#ASMSTART
	s_nop 0
	;;#ASMEND
	s_nop 0
	v_mov_b32_e32 v2, 0x2edbe6ff
.LBB1002_24:
	s_or_b64 exec, exec, s[8:9]
	s_and_saveexec_b64 s[8:9], s[0:1]
	s_cbranch_execz .LBB1002_26
; %bb.25:
	v_and_b32_e32 v3, 0x7fffffff, v52
	v_and_b32_e32 v4, 0x7fffffff, v53
	;;#ASMSTART
	v_max3_f32 v2, v2, v3, v4

	;;#ASMEND
	v_and_b32_e32 v3, 0x7fffffff, v34
	v_and_b32_e32 v4, 0x7fffffff, v35
	;;#ASMSTART
	v_max3_f32 v2, v2, v3, v4

	;;#ASMEND
	;; [unrolled: 6-line block ×8, first 2 shown]
.LBB1002_26:
	s_or_b64 exec, exec, s[8:9]
	;;#ASMSTART
	v_max_f32 v3, v2, v2 quad_perm:[1,0,3,2] row_mask:0xf bank_mask:0xf bound_ctrl:1
	;;#ASMEND
	v_mul_f32_e32 v2, 0x3b124925, v3
	v_and_b32_e32 v3, 1, v0
	v_cmp_eq_u32_e32 vcc, 0, v3
	v_cmp_gt_i32_e64 s[8:9], s23, v1
	s_and_b64 s[10:11], vcc, s[8:9]
	s_and_saveexec_b64 s[8:9], s[10:11]
	s_cbranch_execz .LBB1002_28
; %bb.27:
	s_load_dwordx2 s[10:11], s[4:5], 0x8
	v_lshrrev_b32_e32 v3, 1, v0
	s_mul_hi_i32 s31, s13, s6
	s_mul_i32 s30, s13, s6
	v_mad_i64_i32 v[4:5], s[14:15], s14, v3, 0
	s_lshl_b64 s[14:15], s[30:31], 2
	s_waitcnt lgkmcnt(0)
	s_add_u32 s7, s10, s14
	s_addc_u32 s10, s11, s15
	v_lshlrev_b64 v[4:5], 2, v[4:5]
	v_mov_b32_e32 v3, s10
	v_add_co_u32_e32 v4, vcc, s7, v4
	v_addc_co_u32_e32 v5, vcc, v3, v5, vcc
	global_store_dword v[4:5], v2, off
.LBB1002_28:
	s_or_b64 exec, exec, s[8:9]
	;;#ASMSTART
	v_rcp_f32 v2, v2
	;;#ASMEND
	s_and_saveexec_b64 s[14:15], s[0:1]
	s_cbranch_execz .LBB1002_30
; %bb.29:
	v_mov_b32_e32 v3, v2
	;;#ASMSTART
	v_pk_mul_f32 v[4:5], v[52:53], v[2:3]
	;;#ASMEND
	v_mov_b32_e32 v10, 0xc3e00000
	v_mov_b32_e32 v11, 0x43e00000
	;;#ASMSTART
	v_med3_f32 v4, v4, v10, v11
v_med3_f32 v5, v5, v10, v11
v_cvt_pk_fp8_f32 v6, v4, v5
	;;#ASMEND
	;;#ASMSTART
	v_pk_mul_f32 v[4:5], v[34:35], v[2:3]
	;;#ASMEND
	;;#ASMSTART
	v_med3_f32 v4, v4, v10, v11
v_med3_f32 v5, v5, v10, v11
v_cvt_pk_fp8_f32 v7, v4, v5
	;;#ASMEND
	;;#ASMSTART
	v_pk_mul_f32 v[4:5], v[58:59], v[2:3]
	;;#ASMEND
	;; [unrolled: 8-line block ×3, first 2 shown]
	;;#ASMSTART
	v_med3_f32 v4, v4, v10, v11
v_med3_f32 v5, v5, v10, v11
v_cvt_pk_fp8_f32 v9, v4, v5
	;;#ASMEND
	s_mov_b32 s0, 0x5040100
	v_perm_b32 v4, v7, v6, s0
	s_mov_b32 s0, 0x1060504
	v_perm_b32 v4, v4, v7, s0
	s_load_dwordx2 s[0:1], s[4:5], 0x0
	s_mov_b32 s7, 0x1000504
	;;#ASMSTART
	v_pk_mul_f32 v[6:7], v[44:45], v[2:3]
	;;#ASMEND
	v_perm_b32 v5, v8, v9, s7
	s_mul_i32 s8, s12, s6
	;;#ASMSTART
	v_med3_f32 v6, v6, v10, v11
v_med3_f32 v7, v7, v10, v11
v_cvt_pk_fp8_f32 v8, v6, v7
	;;#ASMEND
	s_mul_hi_i32 s9, s12, s6
	s_waitcnt lgkmcnt(0)
	s_add_u32 s8, s0, s8
	;;#ASMSTART
	v_pk_mul_f32 v[6:7], v[18:19], v[2:3]
	;;#ASMEND
	s_addc_u32 s0, s1, s9
	s_add_i32 s1, s23, 3
	;;#ASMSTART
	v_med3_f32 v6, v6, v10, v11
v_med3_f32 v7, v7, v10, v11
v_cvt_pk_fp8_f32 v9, v6, v7
	;;#ASMEND
	s_ashr_i32 s9, s1, 31
	v_perm_b32 v6, v8, v9, s7
	;;#ASMSTART
	v_pk_mul_f32 v[8:9], v[14:15], v[2:3]
	;;#ASMEND
	v_mov_b32_e32 v7, v9
	s_lshr_b32 s9, s9, 30
	;;#ASMSTART
	v_med3_f32 v8, v8, v10, v11
v_med3_f32 v7, v7, v10, v11
v_cvt_pk_fp8_f32 v9, v8, v7
	;;#ASMEND
	;;#ASMSTART
	v_pk_mul_f32 v[2:3], v[86:87], v[2:3]
	;;#ASMEND
	s_add_i32 s1, s1, s9
	;;#ASMSTART
	v_med3_f32 v2, v2, v10, v11
v_med3_f32 v3, v3, v10, v11
v_cvt_pk_fp8_f32 v7, v2, v3
	;;#ASMEND
	s_and_b32 s10, s1, -4
	s_and_b32 s9, s0, 0xffff
	s_mov_b32 s11, 0x20000
	v_perm_b32 v7, v9, v7, s7
	buffer_store_dwordx4 v[4:7], v1, s[8:11], 0 offen
	;;#ASMSTART
	s_nop 0
	;;#ASMEND
.LBB1002_30:
	s_or_b64 exec, exec, s[14:15]
	s_cmp_lt_i32 s24, 1
	s_cbranch_scc1 .LBB1002_17
.LBB1002_31:
	s_load_dword s0, s[4:5], 0x94
	s_waitcnt lgkmcnt(0)
	s_cmp_lg_u32 s0, 1
	s_cbranch_scc1 .LBB1002_17
; %bb.32:
	s_lshl_b32 s0, s24, 1
	s_add_i32 s0, s0, 2
	v_cmp_gt_u32_e32 vcc, s24, v1
	s_and_b32 s30, s0, -4
	v_mov_b32_e32 v18, 0
	v_lshlrev_b32_e32 v1, 5, v0
	v_mov_b32_e32 v14, 0
	v_mov_b32_e32 v15, 0
	;; [unrolled: 1-line block ×16, first 2 shown]
	s_barrier
	s_and_saveexec_b64 s[0:1], vcc
	s_cbranch_execz .LBB1002_34
; %bb.33:
	s_mul_hi_i32 s5, s26, s6
	s_mul_i32 s4, s26, s6
	s_and_b32 s29, s29, 0xffff
	s_lshl_b64 s[4:5], s[4:5], 1
	s_add_u32 s8, s34, s4
	s_mov_b32 s31, 0x20000
	s_addc_u32 s4, s35, s5
	s_and_b32 s9, s4, 0xffff
	s_mov_b32 s10, s30
	s_mov_b32 s11, s31
	buffer_load_dwordx4 v[14:17], v1, s[8:11], 0 offen
	buffer_load_dwordx4 v[10:13], v1, s[8:11], 16 offen
	;; [unrolled: 1-line block ×4, first 2 shown]
.LBB1002_34:
	s_or_b64 exec, exec, s[0:1]
	v_mov_b32_e32 v19, 0
	v_mov_b32_e32 v32, 0
	;; [unrolled: 1-line block ×15, first 2 shown]
	s_and_saveexec_b64 s[0:1], vcc
	s_cbranch_execz .LBB1002_36
; %bb.35:
	s_waitcnt vmcnt(3)
	v_cvt_f32_u32_sdwa v18, v14 dst_sel:DWORD dst_unused:UNUSED_PAD src0_sel:WORD_0
	v_cvt_f32_u32_sdwa v19, v14 dst_sel:DWORD dst_unused:UNUSED_PAD src0_sel:WORD_1
	v_cvt_f32_u32_sdwa v32, v15 dst_sel:DWORD dst_unused:UNUSED_PAD src0_sel:WORD_0
	v_cvt_f32_u32_sdwa v33, v15 dst_sel:DWORD dst_unused:UNUSED_PAD src0_sel:WORD_1
	;; [unrolled: 2-line block ×4, first 2 shown]
	s_waitcnt vmcnt(2)
	v_cvt_f32_u32_sdwa v26, v10 dst_sel:DWORD dst_unused:UNUSED_PAD src0_sel:WORD_0
	v_cvt_f32_u32_sdwa v27, v10 dst_sel:DWORD dst_unused:UNUSED_PAD src0_sel:WORD_1
	v_cvt_f32_u32_sdwa v24, v11 dst_sel:DWORD dst_unused:UNUSED_PAD src0_sel:WORD_0
	v_cvt_f32_u32_sdwa v25, v11 dst_sel:DWORD dst_unused:UNUSED_PAD src0_sel:WORD_1
	;; [unrolled: 2-line block ×4, first 2 shown]
.LBB1002_36:
	s_or_b64 exec, exec, s[0:1]
	s_waitcnt vmcnt(2)
	v_mul_f32_e32 v10, v19, v19
	v_fmac_f32_e32 v10, v18, v18
	v_fmac_f32_e32 v10, v32, v32
	v_fmac_f32_e32 v10, v33, v33
	v_fmac_f32_e32 v10, v30, v30
	v_fmac_f32_e32 v10, v31, v31
	v_fmac_f32_e32 v10, v28, v28
	v_fmac_f32_e32 v10, v29, v29
	v_fmac_f32_e32 v10, v26, v26
	v_fmac_f32_e32 v10, v27, v27
	v_fmac_f32_e32 v10, v24, v24
	v_fmac_f32_e32 v10, v25, v25
	v_fmac_f32_e32 v10, v22, v22
	v_fmac_f32_e32 v10, v23, v23
	v_fmac_f32_e32 v10, v20, v20
	v_fmac_f32_e32 v10, v21, v21
	s_nop 1
	v_mov_b32_dpp v11, v10 quad_perm:[1,0,3,2] row_mask:0xf bank_mask:0xf
	v_add_f32_e32 v10, v10, v11
	s_nop 1
	v_mov_b32_dpp v11, v10 quad_perm:[2,3,0,1] row_mask:0xf bank_mask:0xf
	v_add_f32_e32 v10, v10, v11
	s_nop 1
	v_mov_b32_dpp v11, v10 row_half_mirror row_mask:0xf bank_mask:0xf
	v_add_f32_e32 v10, v10, v11
	s_nop 1
	v_mov_b32_dpp v11, v10 row_mirror row_mask:0xf bank_mask:0xf
	v_add_f32_e32 v10, v10, v11
	s_nop 1
	v_mov_b32_dpp v11, v10 row_bcast:15 row_mask:0xf bank_mask:0xf
	v_add_f32_e32 v10, v10, v11
	s_nop 1
	v_mov_b32_dpp v11, v10 row_bcast:31 row_mask:0xf bank_mask:0xf
	s_and_saveexec_b64 s[0:1], s[2:3]
	s_cbranch_execz .LBB1002_38
; %bb.37:
	v_lshrrev_b32_e32 v0, 4, v0
	v_add_f32_e32 v10, v10, v11
	v_and_b32_e32 v0, 60, v0
	ds_write_b32 v0, v10
.LBB1002_38:
	s_or_b64 exec, exec, s[0:1]
	s_waitcnt lgkmcnt(0)
	s_barrier
	ds_read_b32 v0, v36
	s_waitcnt lgkmcnt(0)
	s_nop 0
	v_mov_b32_dpp v10, v0 quad_perm:[1,0,3,2] row_mask:0xf bank_mask:0xf
	v_add_f32_e32 v0, v0, v10
	s_nop 1
	v_mov_b32_dpp v10, v0 quad_perm:[2,3,0,1] row_mask:0xf bank_mask:0xf
	v_add_f32_e32 v0, v0, v10
	s_nop 1
	v_mov_b32_dpp v10, v0 row_half_mirror row_mask:0xf bank_mask:0xf
	s_and_saveexec_b64 s[0:1], vcc
	s_cbranch_execz .LBB1002_17
; %bb.39:
	v_cvt_f32_u32_e32 v11, s24
	v_add_f32_e32 v0, v0, v10
	s_mov_b32 s31, 0x20000
	v_div_scale_f32 v10, s[0:1], v11, v11, v0
	v_rcp_f32_e32 v12, v10
	v_div_scale_f32 v13, vcc, v0, v11, v0
	s_mov_b32 s0, 0x800000
	v_fma_f32 v14, -v10, v12, 1.0
	v_fmac_f32_e32 v12, v14, v12
	v_mul_f32_e32 v14, v13, v12
	v_fma_f32 v15, -v10, v14, v13
	v_fmac_f32_e32 v14, v15, v12
	v_fma_f32 v10, -v10, v14, v13
	v_div_fmas_f32 v10, v10, v12, v14
	v_div_fixup_f32 v0, v10, v11, v0
	v_add_f32_e32 v0, s21, v0
	v_mul_f32_e32 v10, 0x4b800000, v0
	v_cmp_gt_f32_e32 vcc, s0, v0
	v_cndmask_b32_e32 v0, v0, v10, vcc
	v_rsq_f32_e32 v0, v0
	s_mul_hi_i32 s1, s16, s6
	s_mul_i32 s0, s16, s6
	s_lshl_b64 s[0:1], s[0:1], 1
	v_mul_f32_e32 v10, 0x45800000, v0
	v_cndmask_b32_e32 v10, v0, v10, vcc
	v_mov_b32_e32 v11, v10
	;;#ASMSTART
	v_pk_mul_f32 v[12:13], v[18:19], v[10:11]
	;;#ASMEND
	;;#ASMSTART
	v_pk_mul_f32 v[14:15], v[32:33], v[10:11]
	;;#ASMEND
	;; [unrolled: 3-line block ×4, first 2 shown]
	s_waitcnt vmcnt(1)
	v_cvt_f32_u32_sdwa v29, v6 dst_sel:DWORD dst_unused:UNUSED_PAD src0_sel:WORD_1
	v_cvt_f32_u32_sdwa v28, v6 dst_sel:DWORD dst_unused:UNUSED_PAD src0_sel:WORD_0
	v_cvt_f32_u32_sdwa v31, v7 dst_sel:DWORD dst_unused:UNUSED_PAD src0_sel:WORD_1
	v_cvt_f32_u32_sdwa v30, v7 dst_sel:DWORD dst_unused:UNUSED_PAD src0_sel:WORD_0
	;;#ASMSTART
	v_pk_mul_f32 v[26:27], v[26:27], v[10:11]
	;;#ASMEND
	;;#ASMSTART
	v_pk_mul_f32 v[24:25], v[24:25], v[10:11]
	;;#ASMEND
	;; [unrolled: 3-line block ×4, first 2 shown]
	v_cvt_f32_u32_sdwa v21, v8 dst_sel:DWORD dst_unused:UNUSED_PAD src0_sel:WORD_1
	v_cvt_f32_u32_sdwa v20, v8 dst_sel:DWORD dst_unused:UNUSED_PAD src0_sel:WORD_0
	v_pk_add_f32 v[10:11], v[28:29], 1.0 op_sel_hi:[1,0]
	;;#ASMSTART
	v_pk_mul_f32 v[10:11], v[12:13], v[10:11]
	;;#ASMEND
	v_pk_add_f32 v[12:13], v[30:31], 1.0 op_sel_hi:[1,0]
	v_cvt_f32_u32_sdwa v29, v9 dst_sel:DWORD dst_unused:UNUSED_PAD src0_sel:WORD_1
	v_cvt_f32_u32_sdwa v28, v9 dst_sel:DWORD dst_unused:UNUSED_PAD src0_sel:WORD_0
	;;#ASMSTART
	v_pk_mul_f32 v[8:9], v[14:15], v[12:13]
	;;#ASMEND
	v_pk_add_f32 v[12:13], v[20:21], 1.0 op_sel_hi:[1,0]
	;;#ASMSTART
	v_pk_mul_f32 v[12:13], v[16:17], v[12:13]
	;;#ASMEND
	s_waitcnt vmcnt(0)
	v_cvt_f32_u32_sdwa v17, v2 dst_sel:DWORD dst_unused:UNUSED_PAD src0_sel:WORD_1
	v_cvt_f32_u32_sdwa v16, v2 dst_sel:DWORD dst_unused:UNUSED_PAD src0_sel:WORD_0
	v_cvt_f32_u32_sdwa v21, v3 dst_sel:DWORD dst_unused:UNUSED_PAD src0_sel:WORD_1
	v_cvt_f32_u32_sdwa v20, v3 dst_sel:DWORD dst_unused:UNUSED_PAD src0_sel:WORD_0
	v_pk_add_f32 v[14:15], v[28:29], 1.0 op_sel_hi:[1,0]
	;;#ASMSTART
	v_pk_mul_f32 v[14:15], v[18:19], v[14:15]
	;;#ASMEND
	v_pk_add_f32 v[2:3], v[16:17], 1.0 op_sel_hi:[1,0]
	v_cvt_f32_u32_sdwa v19, v4 dst_sel:DWORD dst_unused:UNUSED_PAD src0_sel:WORD_1
	v_cvt_f32_u32_sdwa v18, v4 dst_sel:DWORD dst_unused:UNUSED_PAD src0_sel:WORD_0
	;;#ASMSTART
	v_pk_mul_f32 v[16:17], v[26:27], v[2:3]
	;;#ASMEND
	v_pk_add_f32 v[2:3], v[20:21], 1.0 op_sel_hi:[1,0]
	v_cvt_f32_u32_sdwa v21, v5 dst_sel:DWORD dst_unused:UNUSED_PAD src0_sel:WORD_1
	v_cvt_f32_u32_sdwa v20, v5 dst_sel:DWORD dst_unused:UNUSED_PAD src0_sel:WORD_0
	s_add_u32 s28, s18, s0
	;;#ASMSTART
	v_pk_mul_f32 v[24:25], v[24:25], v[2:3]
	;;#ASMEND
	v_pk_add_f32 v[2:3], v[18:19], 1.0 op_sel_hi:[1,0]
	s_addc_u32 s0, s19, s1
	;;#ASMSTART
	v_pk_mul_f32 v[18:19], v[22:23], v[2:3]
	;;#ASMEND
	v_pk_add_f32 v[2:3], v[20:21], 1.0 op_sel_hi:[1,0]
	s_and_b32 s29, s0, 0xffff
	s_mov_b32 s0, 0x7060302
	;;#ASMSTART
	v_pk_mul_f32 v[6:7], v[6:7], v[2:3]
	;;#ASMEND
	v_perm_b32 v2, v11, v10, s0
	v_perm_b32 v3, v9, v8, s0
	;; [unrolled: 1-line block ×4, first 2 shown]
	buffer_store_dwordx4 v[2:5], v1, s[28:31], 0 offen
	;;#ASMSTART
	s_nop 0
	;;#ASMEND
	s_nop 0
	v_perm_b32 v2, v17, v16, s0
	v_perm_b32 v3, v25, v24, s0
	;; [unrolled: 1-line block ×4, first 2 shown]
	buffer_store_dwordx4 v[2:5], v1, s[28:31], 16 offen
	;;#ASMSTART
	s_nop 0
	;;#ASMEND
	s_endpgm
	.section	.rodata,"a",@progbits
	.p2align	6, 0x0
	.amdhsa_kernel _ZN5aiter35fused_qk_rmsnorm_group_quant_kernelItDB8_Li512ELi16ELi2ELb1ELb1ELb1ELb0ELb0ELb0EEEvPT0_PvPT_S6_S6_PKS5_S8_S8_S8_S8_ffiiiiiiiiiiiii
		.amdhsa_group_segment_fixed_size 64
		.amdhsa_private_segment_fixed_size 0
		.amdhsa_kernarg_size 400
		.amdhsa_user_sgpr_count 6
		.amdhsa_user_sgpr_private_segment_buffer 1
		.amdhsa_user_sgpr_dispatch_ptr 0
		.amdhsa_user_sgpr_queue_ptr 0
		.amdhsa_user_sgpr_kernarg_segment_ptr 1
		.amdhsa_user_sgpr_dispatch_id 0
		.amdhsa_user_sgpr_flat_scratch_init 0
		.amdhsa_user_sgpr_kernarg_preload_length 0
		.amdhsa_user_sgpr_kernarg_preload_offset 0
		.amdhsa_user_sgpr_private_segment_size 0
		.amdhsa_uses_dynamic_stack 0
		.amdhsa_system_sgpr_private_segment_wavefront_offset 0
		.amdhsa_system_sgpr_workgroup_id_x 1
		.amdhsa_system_sgpr_workgroup_id_y 1
		.amdhsa_system_sgpr_workgroup_id_z 0
		.amdhsa_system_sgpr_workgroup_info 0
		.amdhsa_system_vgpr_workitem_id 0
		.amdhsa_next_free_vgpr 88
		.amdhsa_next_free_sgpr 44
		.amdhsa_accum_offset 88
		.amdhsa_reserve_vcc 1
		.amdhsa_reserve_flat_scratch 0
		.amdhsa_float_round_mode_32 0
		.amdhsa_float_round_mode_16_64 0
		.amdhsa_float_denorm_mode_32 3
		.amdhsa_float_denorm_mode_16_64 3
		.amdhsa_dx10_clamp 1
		.amdhsa_ieee_mode 1
		.amdhsa_fp16_overflow 0
		.amdhsa_tg_split 0
		.amdhsa_exception_fp_ieee_invalid_op 0
		.amdhsa_exception_fp_denorm_src 0
		.amdhsa_exception_fp_ieee_div_zero 0
		.amdhsa_exception_fp_ieee_overflow 0
		.amdhsa_exception_fp_ieee_underflow 0
		.amdhsa_exception_fp_ieee_inexact 0
		.amdhsa_exception_int_div_zero 0
	.end_amdhsa_kernel
	.section	.text._ZN5aiter35fused_qk_rmsnorm_group_quant_kernelItDB8_Li512ELi16ELi2ELb1ELb1ELb1ELb0ELb0ELb0EEEvPT0_PvPT_S6_S6_PKS5_S8_S8_S8_S8_ffiiiiiiiiiiiii,"axG",@progbits,_ZN5aiter35fused_qk_rmsnorm_group_quant_kernelItDB8_Li512ELi16ELi2ELb1ELb1ELb1ELb0ELb0ELb0EEEvPT0_PvPT_S6_S6_PKS5_S8_S8_S8_S8_ffiiiiiiiiiiiii,comdat
.Lfunc_end1002:
	.size	_ZN5aiter35fused_qk_rmsnorm_group_quant_kernelItDB8_Li512ELi16ELi2ELb1ELb1ELb1ELb0ELb0ELb0EEEvPT0_PvPT_S6_S6_PKS5_S8_S8_S8_S8_ffiiiiiiiiiiiii, .Lfunc_end1002-_ZN5aiter35fused_qk_rmsnorm_group_quant_kernelItDB8_Li512ELi16ELi2ELb1ELb1ELb1ELb0ELb0ELb0EEEvPT0_PvPT_S6_S6_PKS5_S8_S8_S8_S8_ffiiiiiiiiiiiii
                                        ; -- End function
	.section	.AMDGPU.csdata,"",@progbits
; Kernel info:
; codeLenInByte = 4400
; NumSgprs: 48
; NumVgprs: 88
; NumAgprs: 0
; TotalNumVgprs: 88
; ScratchSize: 0
; MemoryBound: 0
; FloatMode: 240
; IeeeMode: 1
; LDSByteSize: 64 bytes/workgroup (compile time only)
; SGPRBlocks: 5
; VGPRBlocks: 10
; NumSGPRsForWavesPerEU: 48
; NumVGPRsForWavesPerEU: 88
; AccumOffset: 88
; Occupancy: 5
; WaveLimiterHint : 0
; COMPUTE_PGM_RSRC2:SCRATCH_EN: 0
; COMPUTE_PGM_RSRC2:USER_SGPR: 6
; COMPUTE_PGM_RSRC2:TRAP_HANDLER: 0
; COMPUTE_PGM_RSRC2:TGID_X_EN: 1
; COMPUTE_PGM_RSRC2:TGID_Y_EN: 1
; COMPUTE_PGM_RSRC2:TGID_Z_EN: 0
; COMPUTE_PGM_RSRC2:TIDIG_COMP_CNT: 0
; COMPUTE_PGM_RSRC3_GFX90A:ACCUM_OFFSET: 21
; COMPUTE_PGM_RSRC3_GFX90A:TG_SPLIT: 0
	.section	.text._ZN5aiter35fused_qk_rmsnorm_group_quant_kernelIDF16_N4opus5fp4_tELi512ELi16ELi2ELb1ELb1ELb1ELb0ELb0ELb0EEEvPT0_PvPT_S7_S7_PKS6_S9_S9_S9_S9_ffiiiiiiiiiiiii,"axG",@progbits,_ZN5aiter35fused_qk_rmsnorm_group_quant_kernelIDF16_N4opus5fp4_tELi512ELi16ELi2ELb1ELb1ELb1ELb0ELb0ELb0EEEvPT0_PvPT_S7_S7_PKS6_S9_S9_S9_S9_ffiiiiiiiiiiiii,comdat
	.protected	_ZN5aiter35fused_qk_rmsnorm_group_quant_kernelIDF16_N4opus5fp4_tELi512ELi16ELi2ELb1ELb1ELb1ELb0ELb0ELb0EEEvPT0_PvPT_S7_S7_PKS6_S9_S9_S9_S9_ffiiiiiiiiiiiii ; -- Begin function _ZN5aiter35fused_qk_rmsnorm_group_quant_kernelIDF16_N4opus5fp4_tELi512ELi16ELi2ELb1ELb1ELb1ELb0ELb0ELb0EEEvPT0_PvPT_S7_S7_PKS6_S9_S9_S9_S9_ffiiiiiiiiiiiii
	.globl	_ZN5aiter35fused_qk_rmsnorm_group_quant_kernelIDF16_N4opus5fp4_tELi512ELi16ELi2ELb1ELb1ELb1ELb0ELb0ELb0EEEvPT0_PvPT_S7_S7_PKS6_S9_S9_S9_S9_ffiiiiiiiiiiiii
	.p2align	8
	.type	_ZN5aiter35fused_qk_rmsnorm_group_quant_kernelIDF16_N4opus5fp4_tELi512ELi16ELi2ELb1ELb1ELb1ELb0ELb0ELb0EEEvPT0_PvPT_S7_S7_PKS6_S9_S9_S9_S9_ffiiiiiiiiiiiii,@function
_ZN5aiter35fused_qk_rmsnorm_group_quant_kernelIDF16_N4opus5fp4_tELi512ELi16ELi2ELb1ELb1ELb1ELb0ELb0ELb0EEEvPT0_PvPT_S7_S7_PKS6_S9_S9_S9_S9_ffiiiiiiiiiiiii: ; @_ZN5aiter35fused_qk_rmsnorm_group_quant_kernelIDF16_N4opus5fp4_tELi512ELi16ELi2ELb1ELb1ELb1ELb0ELb0ELb0EEEvPT0_PvPT_S7_S7_PKS6_S9_S9_S9_S9_ffiiiiiiiiiiiii
; %bb.0:
	s_load_dwordx8 s[20:27], s[4:5], 0x50
	s_waitcnt lgkmcnt(0)
	s_cmp_ge_i32 s6, s22
	s_cbranch_scc1 .LBB1003_17
; %bb.1:
	s_cmp_lg_u32 s7, 0
	s_cselect_b64 s[30:31], -1, 0
	s_cmp_eq_u32 s7, 0
	s_cselect_b64 s[8:9], -1, 0
	s_and_b64 s[0:1], s[8:9], exec
	s_load_dwordx2 s[28:29], s[4:5], 0x48
	s_load_dwordx2 s[10:11], s[4:5], 0x30
	s_load_dwordx8 s[12:19], s[4:5], 0x70
	s_cselect_b32 s7, s23, s24
	s_add_i32 s0, s7, 1
	s_lshr_b32 s1, s0, 31
	s_add_i32 s0, s0, s1
	s_lshl_b32 s0, s0, 1
	v_lshlrev_b32_e32 v1, 4, v0
	s_and_b32 s38, s0, -4
	v_cmp_gt_i32_e64 s[0:1], s7, v1
	v_mov_b32_e32 v6, 0
	v_mov_b32_e32 v7, 0
	;; [unrolled: 1-line block ×16, first 2 shown]
	s_and_saveexec_b64 s[2:3], s[0:1]
	s_cbranch_execz .LBB1003_3
; %bb.2:
	s_waitcnt lgkmcnt(0)
	s_load_dwordx2 s[18:19], s[4:5], 0x28
	s_load_dwordx2 s[34:35], s[4:5], 0x40
	s_and_b64 s[36:37], s[8:9], exec
	s_cselect_b32 s22, s25, s26
	s_mov_b32 s39, 0x20000
	s_waitcnt lgkmcnt(0)
	s_cselect_b32 s25, s19, s11
	s_cselect_b32 s33, s18, s10
	s_mul_hi_i32 s19, s22, s6
	s_mul_i32 s18, s22, s6
	s_lshl_b64 s[18:19], s[18:19], 1
	s_add_u32 s40, s33, s18
	s_addc_u32 s22, s25, s19
	s_and_b64 s[18:19], s[8:9], exec
	s_cselect_b32 s36, s34, s28
	s_cselect_b32 s18, s35, s29
	s_and_b32 s41, s22, 0xffff
	s_mov_b32 s42, s38
	s_mov_b32 s43, s39
	v_lshlrev_b32_e32 v18, 5, v0
	s_and_b32 s37, s18, 0xffff
	buffer_load_dwordx4 v[10:13], v18, s[40:43], 0 offen
	buffer_load_dwordx4 v[14:17], v18, s[40:43], 16 offen
	;; [unrolled: 1-line block ×4, first 2 shown]
.LBB1003_3:
	s_or_b64 exec, exec, s[2:3]
	s_and_b64 vcc, exec, s[30:31]
	s_cbranch_vccz .LBB1003_7
; %bb.4:
	v_mov_b32_e32 v19, 0
	v_mov_b32_e32 v18, 0
	v_mov_b32_e32 v21, 0
	v_mov_b32_e32 v20, 0
	v_mov_b32_e32 v25, 0
	v_mov_b32_e32 v24, 0
	v_mov_b32_e32 v23, 0
	v_mov_b32_e32 v22, 0
	v_mov_b32_e32 v31, 0
	v_mov_b32_e32 v30, 0
	v_mov_b32_e32 v27, 0
	v_mov_b32_e32 v26, 0
	v_mov_b32_e32 v33, 0
	v_mov_b32_e32 v32, 0
	v_mov_b32_e32 v29, 0
	v_mov_b32_e32 v28, 0
	s_and_saveexec_b64 s[2:3], s[0:1]
	s_cbranch_execz .LBB1003_6
; %bb.5:
	s_waitcnt vmcnt(3)
	v_cvt_f32_f16_sdwa v29, v10 dst_sel:DWORD dst_unused:UNUSED_PAD src0_sel:WORD_1
	v_cvt_f32_f16_e32 v28, v10
	v_cvt_f32_f16_sdwa v33, v11 dst_sel:DWORD dst_unused:UNUSED_PAD src0_sel:WORD_1
	v_cvt_f32_f16_e32 v32, v11
	;; [unrolled: 2-line block ×4, first 2 shown]
	s_waitcnt vmcnt(2)
	v_cvt_f32_f16_sdwa v23, v14 dst_sel:DWORD dst_unused:UNUSED_PAD src0_sel:WORD_1
	v_cvt_f32_f16_e32 v22, v14
	v_cvt_f32_f16_sdwa v25, v15 dst_sel:DWORD dst_unused:UNUSED_PAD src0_sel:WORD_1
	v_cvt_f32_f16_e32 v24, v15
	;; [unrolled: 2-line block ×4, first 2 shown]
.LBB1003_6:
	s_or_b64 exec, exec, s[2:3]
	s_cbranch_execz .LBB1003_8
	s_branch .LBB1003_11
.LBB1003_7:
                                        ; implicit-def: $vgpr19
                                        ; implicit-def: $vgpr21
                                        ; implicit-def: $vgpr25
                                        ; implicit-def: $vgpr23
                                        ; implicit-def: $vgpr31
                                        ; implicit-def: $vgpr27
                                        ; implicit-def: $vgpr33
                                        ; implicit-def: $vgpr29
.LBB1003_8:
	v_mov_b32_e32 v19, 0
	v_mov_b32_e32 v18, 0
	v_mov_b32_e32 v21, 0
	v_mov_b32_e32 v20, 0
	v_mov_b32_e32 v25, 0
	v_mov_b32_e32 v24, 0
	v_mov_b32_e32 v23, 0
	v_mov_b32_e32 v22, 0
	v_mov_b32_e32 v31, 0
	v_mov_b32_e32 v30, 0
	v_mov_b32_e32 v27, 0
	v_mov_b32_e32 v26, 0
	v_mov_b32_e32 v33, 0
	v_mov_b32_e32 v32, 0
	v_mov_b32_e32 v29, 0
	v_mov_b32_e32 v28, 0
	s_and_saveexec_b64 s[2:3], s[0:1]
	s_cbranch_execz .LBB1003_10
; %bb.9:
	s_waitcnt lgkmcnt(0)
	s_load_dwordx2 s[18:19], s[4:5], 0x38
	s_mul_hi_i32 s35, s27, s6
	s_mul_i32 s34, s27, s6
	s_lshl_b64 s[34:35], s[34:35], 1
	s_mov_b32 s39, 0x20000
	s_waitcnt lgkmcnt(0)
	s_add_u32 s36, s18, s34
	s_addc_u32 s18, s19, s35
	s_and_b32 s37, s18, 0xffff
	v_lshlrev_b32_e32 v48, 5, v0
	buffer_load_dwordx4 v[18:21], v48, s[36:39], 16 offen
	buffer_load_dwordx4 v[22:25], v48, s[36:39], 0 offen
	s_waitcnt vmcnt(4)
	v_cvt_f32_f16_sdwa v27, v14 dst_sel:DWORD dst_unused:UNUSED_PAD src0_sel:WORD_1
	v_cvt_f32_f16_e32 v26, v14
	v_cvt_f32_f16_sdwa v29, v15 dst_sel:DWORD dst_unused:UNUSED_PAD src0_sel:WORD_1
	v_cvt_f32_f16_e32 v28, v15
	;; [unrolled: 2-line block ×8, first 2 shown]
	s_load_dwordx2 s[18:19], s[4:5], 0x20
	s_mul_hi_i32 s35, s17, s6
	s_mul_i32 s34, s17, s6
	s_lshl_b64 s[34:35], s[34:35], 1
	s_waitcnt lgkmcnt(0)
	s_add_u32 s36, s18, s34
	s_addc_u32 s17, s19, s35
	s_and_b32 s37, s17, 0xffff
	s_waitcnt vmcnt(1)
	v_cvt_f32_f16_e32 v12, v18
	v_cvt_f32_f16_sdwa v13, v18 dst_sel:DWORD dst_unused:UNUSED_PAD src0_sel:WORD_1
	v_cvt_f32_f16_e32 v18, v19
	v_cvt_f32_f16_sdwa v19, v19 dst_sel:DWORD dst_unused:UNUSED_PAD src0_sel:WORD_1
	;; [unrolled: 2-line block ×4, first 2 shown]
	s_waitcnt vmcnt(0)
	v_cvt_f32_f16_e32 v40, v22
	v_cvt_f32_f16_sdwa v41, v22 dst_sel:DWORD dst_unused:UNUSED_PAD src0_sel:WORD_1
	v_cvt_f32_f16_e32 v42, v23
	v_cvt_f32_f16_sdwa v43, v23 dst_sel:DWORD dst_unused:UNUSED_PAD src0_sel:WORD_1
	v_cvt_f32_f16_e32 v44, v24
	v_cvt_f32_f16_sdwa v45, v24 dst_sel:DWORD dst_unused:UNUSED_PAD src0_sel:WORD_1
	v_cvt_f32_f16_e32 v46, v25
	v_cvt_f32_f16_sdwa v47, v25 dst_sel:DWORD dst_unused:UNUSED_PAD src0_sel:WORD_1
	v_pk_add_f32 v[22:23], v[26:27], v[12:13]
	v_pk_add_f32 v[24:25], v[28:29], v[18:19]
	;; [unrolled: 1-line block ×8, first 2 shown]
	v_cvt_f16_f32_e32 v10, v29
	v_cvt_f16_f32_e32 v14, v28
	;; [unrolled: 1-line block ×16, first 2 shown]
	v_pack_b32_f16 v13, v17, v13
	v_pack_b32_f16 v12, v16, v12
	;; [unrolled: 1-line block ×8, first 2 shown]
	buffer_store_dwordx4 v[10:13], v48, s[36:39], 0 offen
	;;#ASMSTART
	s_nop 0
	;;#ASMEND
	buffer_store_dwordx4 v[14:17], v48, s[36:39], 16 offen
	;;#ASMSTART
	s_nop 0
	;;#ASMEND
.LBB1003_10:
	s_or_b64 exec, exec, s[2:3]
.LBB1003_11:
	s_waitcnt vmcnt(3)
	v_mul_f32_e32 v10, v29, v29
	v_fmac_f32_e32 v10, v28, v28
	v_fmac_f32_e32 v10, v32, v32
	;; [unrolled: 1-line block ×15, first 2 shown]
	v_and_b32_e32 v12, 63, v0
	v_cmp_eq_u32_e64 s[2:3], 63, v12
	v_mov_b32_dpp v11, v10 quad_perm:[1,0,3,2] row_mask:0xf bank_mask:0xf
	v_add_f32_e32 v10, v10, v11
	s_nop 1
	v_mov_b32_dpp v11, v10 quad_perm:[2,3,0,1] row_mask:0xf bank_mask:0xf
	v_add_f32_e32 v10, v10, v11
	s_nop 1
	v_mov_b32_dpp v11, v10 row_half_mirror row_mask:0xf bank_mask:0xf
	v_add_f32_e32 v10, v10, v11
	s_nop 1
	v_mov_b32_dpp v11, v10 row_mirror row_mask:0xf bank_mask:0xf
	v_add_f32_e32 v10, v10, v11
	s_nop 1
	v_mov_b32_dpp v11, v10 row_bcast:15 row_mask:0xf bank_mask:0xf
	v_add_f32_e32 v10, v10, v11
	s_nop 1
	v_mov_b32_dpp v11, v10 row_bcast:31 row_mask:0xf bank_mask:0xf
	s_waitcnt lgkmcnt(0)
	s_and_saveexec_b64 s[18:19], s[2:3]
	s_cbranch_execz .LBB1003_13
; %bb.12:
	v_add_f32_e32 v10, v10, v11
	v_lshrrev_b32_e32 v11, 4, v0
	v_and_b32_e32 v11, 60, v11
	ds_write_b32 v11, v10 offset:32
.LBB1003_13:
	s_or_b64 exec, exec, s[18:19]
	v_and_b32_e32 v10, 7, v0
	v_lshlrev_b32_e32 v34, 2, v10
	s_waitcnt lgkmcnt(0)
	s_barrier
	ds_read_b32 v10, v34 offset:32
	s_load_dwordx2 s[18:19], s[4:5], 0x18
	s_waitcnt lgkmcnt(0)
	v_mov_b32_dpp v11, v10 quad_perm:[1,0,3,2] row_mask:0xf bank_mask:0xf
	v_add_f32_e32 v10, v10, v11
	s_nop 1
	v_mov_b32_dpp v11, v10 quad_perm:[2,3,0,1] row_mask:0xf bank_mask:0xf
	v_add_f32_e32 v10, v10, v11
	s_nop 1
	v_mov_b32_dpp v11, v10 row_half_mirror row_mask:0xf bank_mask:0xf
	s_and_saveexec_b64 s[34:35], s[0:1]
	s_cbranch_execnz .LBB1003_18
; %bb.14:
	s_or_b64 exec, exec, s[34:35]
	s_mov_b64 s[8:9], -1
	s_and_b64 vcc, exec, s[30:31]
	s_cbranch_vccnz .LBB1003_19
.LBB1003_15:
	s_andn2_b64 vcc, exec, s[8:9]
	s_cbranch_vccz .LBB1003_22
.LBB1003_16:
	s_cmp_lt_i32 s24, 1
	s_cbranch_scc0 .LBB1003_31
.LBB1003_17:
	s_endpgm
.LBB1003_18:
	v_cvt_f32_u32_e32 v12, s7
	v_add_f32_e32 v10, v10, v11
	s_waitcnt vmcnt(2)
	v_mov_b32_e32 v14, s21
	v_mov_b32_e32 v15, s20
	v_div_scale_f32 v11, s[36:37], v12, v12, v10
	v_rcp_f32_e32 v13, v11
	v_cndmask_b32_e64 v14, v14, v15, s[8:9]
	s_mov_b32 s7, 0x800000
	v_fma_f32 v15, -v11, v13, 1.0
	v_fmac_f32_e32 v13, v15, v13
	v_div_scale_f32 v15, vcc, v10, v12, v10
	v_mul_f32_e32 v16, v15, v13
	v_fma_f32 v17, -v11, v16, v15
	v_fmac_f32_e32 v16, v17, v13
	v_fma_f32 v11, -v11, v16, v15
	v_div_fmas_f32 v11, v11, v13, v16
	v_div_fixup_f32 v10, v11, v12, v10
	v_add_f32_e32 v10, v14, v10
	v_mul_f32_e32 v11, 0x4b800000, v10
	v_cmp_gt_f32_e32 vcc, s7, v10
	v_cndmask_b32_e32 v10, v10, v11, vcc
	v_rsq_f32_e32 v10, v10
	v_mul_f32_e32 v11, 0x45800000, v10
	v_cndmask_b32_e32 v10, v10, v11, vcc
	v_mov_b32_e32 v11, v10
	;;#ASMSTART
	v_pk_mul_f32 v[12:13], v[28:29], v[10:11]
	;;#ASMEND
	;;#ASMSTART
	v_pk_mul_f32 v[14:15], v[32:33], v[10:11]
	;;#ASMEND
	;;#ASMSTART
	v_pk_mul_f32 v[16:17], v[26:27], v[10:11]
	;;#ASMEND
	s_waitcnt vmcnt(1)
	v_cvt_f32_f16_sdwa v27, v6 dst_sel:DWORD dst_unused:UNUSED_PAD src0_sel:WORD_1
	v_cvt_f32_f16_e32 v26, v6
	v_cvt_f32_f16_sdwa v33, v7 dst_sel:DWORD dst_unused:UNUSED_PAD src0_sel:WORD_1
	v_cvt_f32_f16_e32 v32, v7
	;;#ASMSTART
	v_pk_mul_f32 v[30:31], v[30:31], v[10:11]
	;;#ASMEND
	;;#ASMSTART
	v_pk_mul_f32 v[22:23], v[22:23], v[10:11]
	;;#ASMEND
	;; [unrolled: 3-line block ×5, first 2 shown]
	v_pk_add_f32 v[10:11], v[26:27], 1.0 op_sel_hi:[1,0]
	;;#ASMSTART
	v_pk_mul_f32 v[28:29], v[12:13], v[10:11]
	;;#ASMEND
	v_cvt_f32_f16_sdwa v13, v8 dst_sel:DWORD dst_unused:UNUSED_PAD src0_sel:WORD_1
	v_cvt_f32_f16_e32 v12, v8
	v_cvt_f32_f16_sdwa v19, v9 dst_sel:DWORD dst_unused:UNUSED_PAD src0_sel:WORD_1
	v_cvt_f32_f16_e32 v18, v9
	v_pk_add_f32 v[10:11], v[32:33], 1.0 op_sel_hi:[1,0]
	;;#ASMSTART
	v_pk_mul_f32 v[32:33], v[14:15], v[10:11]
	;;#ASMEND
	s_waitcnt vmcnt(0)
	v_cvt_f32_f16_sdwa v11, v2 dst_sel:DWORD dst_unused:UNUSED_PAD src0_sel:WORD_1
	v_cvt_f32_f16_e32 v10, v2
	v_pk_add_f32 v[8:9], v[12:13], 1.0 op_sel_hi:[1,0]
	;;#ASMSTART
	v_pk_mul_f32 v[26:27], v[16:17], v[8:9]
	;;#ASMEND
	v_pk_add_f32 v[8:9], v[18:19], 1.0 op_sel_hi:[1,0]
	v_cvt_f32_f16_sdwa v13, v3 dst_sel:DWORD dst_unused:UNUSED_PAD src0_sel:WORD_1
	v_cvt_f32_f16_e32 v12, v3
	;;#ASMSTART
	v_pk_mul_f32 v[30:31], v[30:31], v[8:9]
	;;#ASMEND
	v_cvt_f32_f16_sdwa v9, v4 dst_sel:DWORD dst_unused:UNUSED_PAD src0_sel:WORD_1
	v_cvt_f32_f16_e32 v8, v4
	v_pk_add_f32 v[2:3], v[10:11], 1.0 op_sel_hi:[1,0]
	v_cvt_f32_f16_sdwa v11, v5 dst_sel:DWORD dst_unused:UNUSED_PAD src0_sel:WORD_1
	v_cvt_f32_f16_e32 v10, v5
	;;#ASMSTART
	v_pk_mul_f32 v[22:23], v[22:23], v[2:3]
	;;#ASMEND
	v_pk_add_f32 v[2:3], v[12:13], 1.0 op_sel_hi:[1,0]
	;;#ASMSTART
	v_pk_mul_f32 v[24:25], v[24:25], v[2:3]
	;;#ASMEND
	v_pk_add_f32 v[2:3], v[8:9], 1.0 op_sel_hi:[1,0]
	;; [unrolled: 4-line block ×3, first 2 shown]
	;;#ASMSTART
	v_pk_mul_f32 v[18:19], v[6:7], v[2:3]
	;;#ASMEND
	s_or_b64 exec, exec, s[34:35]
	s_mov_b64 s[8:9], -1
	s_and_b64 vcc, exec, s[30:31]
	s_cbranch_vccz .LBB1003_15
.LBB1003_19:
	s_and_saveexec_b64 s[8:9], s[0:1]
	s_cbranch_execz .LBB1003_21
; %bb.20:
	s_mul_hi_i32 s31, s16, s6
	s_mul_i32 s30, s16, s6
	s_waitcnt vmcnt(0)
	v_cvt_f16_f32_e32 v2, v28
	v_cvt_f16_f32_e32 v3, v32
	;; [unrolled: 1-line block ×8, first 2 shown]
	s_lshl_b64 s[30:31], s[30:31], 1
	s_add_u32 s36, s18, s30
	s_addc_u32 s7, s19, s31
	s_and_b32 s37, s7, 0xffff
	s_mov_b32 s39, 0x20000
	v_pack_b32_f16 v5, v5, v6
	v_pack_b32_f16 v4, v4, v7
	;; [unrolled: 1-line block ×4, first 2 shown]
	v_lshlrev_b32_e32 v6, 5, v0
	buffer_store_dwordx4 v[2:5], v6, s[36:39], 0 offen
	v_cvt_f16_f32_e32 v7, v19
	v_cvt_f16_f32_e32 v2, v22
	v_cvt_f16_f32_e32 v3, v24
	v_cvt_f16_f32_e32 v4, v20
	v_cvt_f16_f32_e32 v5, v18
	v_cvt_f16_f32_e32 v8, v21
	v_cvt_f16_f32_e32 v9, v25
	v_cvt_f16_f32_e32 v10, v23
	v_pack_b32_f16 v5, v5, v7
	v_pack_b32_f16 v4, v4, v8
	;; [unrolled: 1-line block ×4, first 2 shown]
	;;#ASMSTART
	s_nop 0
	;;#ASMEND
	buffer_store_dwordx4 v[2:5], v6, s[36:39], 16 offen
	;;#ASMSTART
	s_nop 0
	;;#ASMEND
.LBB1003_21:
	s_or_b64 exec, exec, s[8:9]
	s_cbranch_execnz .LBB1003_16
.LBB1003_22:
	s_waitcnt vmcnt(0)
	v_mov_b32_e32 v2, 0
	s_and_saveexec_b64 s[8:9], s[0:1]
	s_cbranch_execz .LBB1003_24
; %bb.23:
	s_load_dwordx2 s[30:31], s[4:5], 0x10
	s_mul_hi_i32 s35, s15, s6
	s_mul_i32 s34, s15, s6
	v_cvt_f16_f32_e32 v2, v28
	v_cvt_f16_f32_e32 v3, v32
	;; [unrolled: 1-line block ×8, first 2 shown]
	s_lshl_b64 s[34:35], s[34:35], 1
	s_waitcnt lgkmcnt(0)
	s_add_u32 s36, s30, s34
	s_addc_u32 s7, s31, s35
	s_mov_b32 s39, 0x20000
	s_and_b32 s37, s7, 0xffff
	v_pack_b32_f16 v5, v5, v6
	v_pack_b32_f16 v4, v4, v7
	;; [unrolled: 1-line block ×4, first 2 shown]
	v_lshlrev_b32_e32 v6, 5, v0
	buffer_store_dwordx4 v[2:5], v6, s[36:39], 0 offen
	v_cvt_f16_f32_e32 v7, v19
	v_cvt_f16_f32_e32 v2, v22
	;; [unrolled: 1-line block ×8, first 2 shown]
	v_pack_b32_f16 v5, v5, v7
	v_pack_b32_f16 v4, v4, v8
	;; [unrolled: 1-line block ×4, first 2 shown]
	;;#ASMSTART
	s_nop 0
	;;#ASMEND
	buffer_store_dwordx4 v[2:5], v6, s[36:39], 16 offen
	;;#ASMSTART
	s_nop 0
	;;#ASMEND
	s_nop 0
	v_mov_b32_e32 v2, 0x2edbe6ff
.LBB1003_24:
	s_or_b64 exec, exec, s[8:9]
	s_and_saveexec_b64 s[8:9], s[0:1]
	s_cbranch_execz .LBB1003_26
; %bb.25:
	v_and_b32_e32 v3, 0x7fffffff, v28
	v_and_b32_e32 v4, 0x7fffffff, v29
	;;#ASMSTART
	v_max3_f32 v2, v2, v3, v4

	;;#ASMEND
	v_and_b32_e32 v3, 0x7fffffff, v32
	v_and_b32_e32 v4, 0x7fffffff, v33
	;;#ASMSTART
	v_max3_f32 v2, v2, v3, v4

	;;#ASMEND
	;; [unrolled: 6-line block ×8, first 2 shown]
.LBB1003_26:
	s_or_b64 exec, exec, s[8:9]
	;;#ASMSTART
	v_max_f32 v3, v2, v2 quad_perm:[1,0,3,2] row_mask:0xf bank_mask:0xf bound_ctrl:1
	;;#ASMEND
	v_and_b32_e32 v2, 1, v0
	v_cmp_eq_u32_e32 vcc, 0, v2
	v_cmp_gt_i32_e64 s[8:9], s23, v1
	s_and_b64 s[30:31], vcc, s[8:9]
	s_and_saveexec_b64 s[8:9], s[30:31]
	s_cbranch_execz .LBB1003_28
; %bb.27:
	s_load_dwordx2 s[30:31], s[4:5], 0x8
	v_mul_f32_e32 v2, 0x3e2aaaab, v3
	v_lshrrev_b32_e32 v3, 23, v2
	v_and_b32_e32 v4, 0x7f800000, v2
	v_and_b32_e32 v2, 0x7fffff, v2
	v_cmp_ne_u32_e32 vcc, 0, v2
	s_mul_hi_i32 s15, s13, s6
	s_mul_i32 s13, s13, s6
	s_mov_b32 s7, 0x7f800000
	v_addc_co_u32_e32 v2, vcc, 0, v3, vcc
	s_waitcnt lgkmcnt(0)
	s_add_u32 s30, s30, s13
	v_cmp_ne_u32_e32 vcc, s7, v4
	s_addc_u32 s31, s31, s15
	v_lshrrev_b32_e32 v5, 1, v0
	v_cndmask_b32_e32 v4, -1, v2, vcc
	v_pk_mov_b32 v[2:3], s[30:31], s[30:31] op_sel:[0,1]
	v_mad_i64_i32 v[2:3], s[14:15], s14, v5, v[2:3]
	global_store_byte v[2:3], v4, off
.LBB1003_28:
	s_or_b64 exec, exec, s[8:9]
	s_and_saveexec_b64 s[8:9], s[0:1]
	s_cbranch_execz .LBB1003_30
; %bb.29:
	s_load_dwordx2 s[0:1], s[4:5], 0x0
	s_mul_hi_i32 s7, s12, s6
	s_mul_i32 s12, s12, s6
	v_mov_b32_e32 v2, 0
	v_lshlrev_b32_e32 v4, 3, v0
	s_waitcnt lgkmcnt(0)
	s_add_u32 s12, s0, s12
	s_addc_u32 s0, s1, s7
	s_lshr_b32 s1, s23, 31
	s_add_i32 s1, s23, s1
	s_ashr_i32 s1, s1, 1
	s_add_i32 s1, s1, 3
	s_ashr_i32 s7, s1, 31
	s_lshr_b32 s7, s7, 30
	s_add_i32 s1, s1, s7
	s_and_b32 s14, s1, -4
	s_and_b32 s13, s0, 0xffff
	s_mov_b32 s15, 0x20000
	v_mov_b32_e32 v3, v2
	buffer_store_dwordx2 v[2:3], v4, s[12:15], 0 offen
	;;#ASMSTART
	s_nop 0
	;;#ASMEND
.LBB1003_30:
	s_or_b64 exec, exec, s[8:9]
	s_cmp_lt_i32 s24, 1
	s_cbranch_scc1 .LBB1003_17
.LBB1003_31:
	s_load_dword s0, s[4:5], 0x94
	s_waitcnt lgkmcnt(0)
	s_cmp_lg_u32 s0, 1
	s_cbranch_scc1 .LBB1003_17
; %bb.32:
	s_lshl_b32 s0, s24, 1
	s_add_i32 s0, s0, 2
	v_cmp_gt_u32_e32 vcc, s24, v1
	s_and_b32 s30, s0, -4
	v_mov_b32_e32 v18, 0
	v_lshlrev_b32_e32 v1, 5, v0
	s_waitcnt vmcnt(2)
	v_mov_b32_e32 v14, 0
	v_mov_b32_e32 v15, 0
	;; [unrolled: 1-line block ×8, first 2 shown]
	s_waitcnt vmcnt(1)
	v_mov_b32_e32 v6, 0
	v_mov_b32_e32 v7, 0
	;; [unrolled: 1-line block ×4, first 2 shown]
	s_waitcnt vmcnt(0)
	v_mov_b32_e32 v2, 0
	v_mov_b32_e32 v3, 0
	;; [unrolled: 1-line block ×4, first 2 shown]
	s_barrier
	s_and_saveexec_b64 s[0:1], vcc
	s_cbranch_execz .LBB1003_34
; %bb.33:
	s_mul_hi_i32 s5, s26, s6
	s_mul_i32 s4, s26, s6
	s_and_b32 s29, s29, 0xffff
	s_lshl_b64 s[4:5], s[4:5], 1
	s_add_u32 s8, s10, s4
	s_mov_b32 s31, 0x20000
	s_addc_u32 s4, s11, s5
	s_and_b32 s9, s4, 0xffff
	s_mov_b32 s10, s30
	s_mov_b32 s11, s31
	buffer_load_dwordx4 v[14:17], v1, s[8:11], 0 offen
	buffer_load_dwordx4 v[10:13], v1, s[8:11], 16 offen
	;; [unrolled: 1-line block ×4, first 2 shown]
.LBB1003_34:
	s_or_b64 exec, exec, s[0:1]
	v_mov_b32_e32 v19, 0
	v_mov_b32_e32 v32, 0
	;; [unrolled: 1-line block ×15, first 2 shown]
	s_and_saveexec_b64 s[0:1], vcc
	s_cbranch_execz .LBB1003_36
; %bb.35:
	s_waitcnt vmcnt(3)
	v_cvt_f32_f16_sdwa v19, v14 dst_sel:DWORD dst_unused:UNUSED_PAD src0_sel:WORD_1
	v_cvt_f32_f16_e32 v18, v14
	v_cvt_f32_f16_sdwa v33, v15 dst_sel:DWORD dst_unused:UNUSED_PAD src0_sel:WORD_1
	v_cvt_f32_f16_e32 v32, v15
	;; [unrolled: 2-line block ×4, first 2 shown]
	s_waitcnt vmcnt(2)
	v_cvt_f32_f16_sdwa v27, v10 dst_sel:DWORD dst_unused:UNUSED_PAD src0_sel:WORD_1
	v_cvt_f32_f16_e32 v26, v10
	v_cvt_f32_f16_sdwa v25, v11 dst_sel:DWORD dst_unused:UNUSED_PAD src0_sel:WORD_1
	v_cvt_f32_f16_e32 v24, v11
	v_cvt_f32_f16_sdwa v23, v12 dst_sel:DWORD dst_unused:UNUSED_PAD src0_sel:WORD_1
	v_cvt_f32_f16_e32 v22, v12
	v_cvt_f32_f16_sdwa v21, v13 dst_sel:DWORD dst_unused:UNUSED_PAD src0_sel:WORD_1
	v_cvt_f32_f16_e32 v20, v13
.LBB1003_36:
	s_or_b64 exec, exec, s[0:1]
	s_waitcnt vmcnt(2)
	v_mul_f32_e32 v10, v19, v19
	v_fmac_f32_e32 v10, v18, v18
	v_fmac_f32_e32 v10, v32, v32
	;; [unrolled: 1-line block ×15, first 2 shown]
	s_nop 1
	v_mov_b32_dpp v11, v10 quad_perm:[1,0,3,2] row_mask:0xf bank_mask:0xf
	v_add_f32_e32 v10, v10, v11
	s_nop 1
	v_mov_b32_dpp v11, v10 quad_perm:[2,3,0,1] row_mask:0xf bank_mask:0xf
	v_add_f32_e32 v10, v10, v11
	s_nop 1
	v_mov_b32_dpp v11, v10 row_half_mirror row_mask:0xf bank_mask:0xf
	v_add_f32_e32 v10, v10, v11
	s_nop 1
	v_mov_b32_dpp v11, v10 row_mirror row_mask:0xf bank_mask:0xf
	v_add_f32_e32 v10, v10, v11
	s_nop 1
	v_mov_b32_dpp v11, v10 row_bcast:15 row_mask:0xf bank_mask:0xf
	v_add_f32_e32 v10, v10, v11
	s_nop 1
	v_mov_b32_dpp v11, v10 row_bcast:31 row_mask:0xf bank_mask:0xf
	s_and_saveexec_b64 s[0:1], s[2:3]
	s_cbranch_execz .LBB1003_38
; %bb.37:
	v_lshrrev_b32_e32 v0, 4, v0
	v_add_f32_e32 v10, v10, v11
	v_and_b32_e32 v0, 60, v0
	ds_write_b32 v0, v10
.LBB1003_38:
	s_or_b64 exec, exec, s[0:1]
	s_waitcnt lgkmcnt(0)
	s_barrier
	ds_read_b32 v0, v34
	s_waitcnt lgkmcnt(0)
	s_nop 0
	v_mov_b32_dpp v10, v0 quad_perm:[1,0,3,2] row_mask:0xf bank_mask:0xf
	v_add_f32_e32 v0, v0, v10
	s_nop 1
	v_mov_b32_dpp v10, v0 quad_perm:[2,3,0,1] row_mask:0xf bank_mask:0xf
	v_add_f32_e32 v0, v0, v10
	s_nop 1
	v_mov_b32_dpp v10, v0 row_half_mirror row_mask:0xf bank_mask:0xf
	s_and_saveexec_b64 s[0:1], vcc
	s_cbranch_execz .LBB1003_17
; %bb.39:
	v_cvt_f32_u32_e32 v11, s24
	v_add_f32_e32 v0, v0, v10
	s_mov_b32 s31, 0x20000
	v_div_scale_f32 v10, s[0:1], v11, v11, v0
	v_rcp_f32_e32 v12, v10
	v_div_scale_f32 v13, vcc, v0, v11, v0
	s_mov_b32 s0, 0x800000
	v_fma_f32 v14, -v10, v12, 1.0
	v_fmac_f32_e32 v12, v14, v12
	v_mul_f32_e32 v14, v13, v12
	v_fma_f32 v15, -v10, v14, v13
	v_fmac_f32_e32 v14, v15, v12
	v_fma_f32 v10, -v10, v14, v13
	v_div_fmas_f32 v10, v10, v12, v14
	v_div_fixup_f32 v0, v10, v11, v0
	v_add_f32_e32 v0, s21, v0
	v_mul_f32_e32 v10, 0x4b800000, v0
	v_cmp_gt_f32_e32 vcc, s0, v0
	v_cndmask_b32_e32 v0, v0, v10, vcc
	v_rsq_f32_e32 v0, v0
	s_mul_hi_i32 s1, s16, s6
	s_mul_i32 s0, s16, s6
	s_lshl_b64 s[0:1], s[0:1], 1
	v_mul_f32_e32 v10, 0x45800000, v0
	v_cndmask_b32_e32 v10, v0, v10, vcc
	v_mov_b32_e32 v11, v10
	;;#ASMSTART
	v_pk_mul_f32 v[12:13], v[18:19], v[10:11]
	;;#ASMEND
	;;#ASMSTART
	v_pk_mul_f32 v[14:15], v[32:33], v[10:11]
	;;#ASMEND
	;; [unrolled: 3-line block ×4, first 2 shown]
	s_waitcnt vmcnt(1)
	v_cvt_f32_f16_sdwa v29, v6 dst_sel:DWORD dst_unused:UNUSED_PAD src0_sel:WORD_1
	v_cvt_f32_f16_e32 v28, v6
	v_cvt_f32_f16_sdwa v31, v7 dst_sel:DWORD dst_unused:UNUSED_PAD src0_sel:WORD_1
	v_cvt_f32_f16_e32 v30, v7
	;;#ASMSTART
	v_pk_mul_f32 v[26:27], v[26:27], v[10:11]
	;;#ASMEND
	;;#ASMSTART
	v_pk_mul_f32 v[24:25], v[24:25], v[10:11]
	;;#ASMEND
	;;#ASMSTART
	v_pk_mul_f32 v[22:23], v[22:23], v[10:11]
	;;#ASMEND
	;;#ASMSTART
	v_pk_mul_f32 v[6:7], v[20:21], v[10:11]
	;;#ASMEND
	v_cvt_f32_f16_sdwa v21, v8 dst_sel:DWORD dst_unused:UNUSED_PAD src0_sel:WORD_1
	v_cvt_f32_f16_e32 v20, v8
	v_pk_add_f32 v[10:11], v[28:29], 1.0 op_sel_hi:[1,0]
	;;#ASMSTART
	v_pk_mul_f32 v[10:11], v[12:13], v[10:11]
	;;#ASMEND
	v_pk_add_f32 v[12:13], v[30:31], 1.0 op_sel_hi:[1,0]
	v_cvt_f32_f16_sdwa v29, v9 dst_sel:DWORD dst_unused:UNUSED_PAD src0_sel:WORD_1
	v_cvt_f32_f16_e32 v28, v9
	;;#ASMSTART
	v_pk_mul_f32 v[8:9], v[14:15], v[12:13]
	;;#ASMEND
	v_pk_add_f32 v[12:13], v[20:21], 1.0 op_sel_hi:[1,0]
	;;#ASMSTART
	v_pk_mul_f32 v[12:13], v[16:17], v[12:13]
	;;#ASMEND
	s_waitcnt vmcnt(0)
	v_cvt_f32_f16_sdwa v17, v2 dst_sel:DWORD dst_unused:UNUSED_PAD src0_sel:WORD_1
	v_cvt_f32_f16_e32 v16, v2
	v_cvt_f32_f16_sdwa v21, v3 dst_sel:DWORD dst_unused:UNUSED_PAD src0_sel:WORD_1
	v_cvt_f32_f16_e32 v20, v3
	v_pk_add_f32 v[14:15], v[28:29], 1.0 op_sel_hi:[1,0]
	;;#ASMSTART
	v_pk_mul_f32 v[2:3], v[18:19], v[14:15]
	;;#ASMEND
	v_cvt_f32_f16_sdwa v19, v4 dst_sel:DWORD dst_unused:UNUSED_PAD src0_sel:WORD_1
	v_cvt_f32_f16_e32 v18, v4
	v_pk_add_f32 v[14:15], v[16:17], 1.0 op_sel_hi:[1,0]
	v_pk_add_f32 v[16:17], v[20:21], 1.0 op_sel_hi:[1,0]
	v_cvt_f32_f16_sdwa v21, v5 dst_sel:DWORD dst_unused:UNUSED_PAD src0_sel:WORD_1
	v_cvt_f32_f16_e32 v20, v5
	v_pk_add_f32 v[4:5], v[18:19], 1.0 op_sel_hi:[1,0]
	;;#ASMSTART
	v_pk_mul_f32 v[14:15], v[26:27], v[14:15]
	;;#ASMEND
	;;#ASMSTART
	v_pk_mul_f32 v[16:17], v[24:25], v[16:17]
	;;#ASMEND
	;; [unrolled: 3-line block ×3, first 2 shown]
	v_pk_add_f32 v[4:5], v[20:21], 1.0 op_sel_hi:[1,0]
	;;#ASMSTART
	v_pk_mul_f32 v[6:7], v[6:7], v[4:5]
	;;#ASMEND
	v_cvt_f16_f32_e32 v0, v10
	v_cvt_f16_f32_e32 v4, v11
	;; [unrolled: 1-line block ×8, first 2 shown]
	s_add_u32 s28, s18, s0
	s_addc_u32 s0, s19, s1
	s_and_b32 s29, s0, 0xffff
	v_pack_b32_f16 v2, v0, v4
	v_pack_b32_f16 v3, v5, v8
	;; [unrolled: 1-line block ×4, first 2 shown]
	buffer_store_dwordx4 v[2:5], v1, s[28:31], 0 offen
	v_cvt_f16_f32_e32 v0, v14
	v_cvt_f16_f32_e32 v2, v15
	;; [unrolled: 1-line block ×8, first 2 shown]
	v_pack_b32_f16 v2, v0, v2
	v_pack_b32_f16 v3, v3, v4
	;; [unrolled: 1-line block ×4, first 2 shown]
	;;#ASMSTART
	s_nop 0
	;;#ASMEND
	buffer_store_dwordx4 v[2:5], v1, s[28:31], 16 offen
	;;#ASMSTART
	s_nop 0
	;;#ASMEND
	s_endpgm
	.section	.rodata,"a",@progbits
	.p2align	6, 0x0
	.amdhsa_kernel _ZN5aiter35fused_qk_rmsnorm_group_quant_kernelIDF16_N4opus5fp4_tELi512ELi16ELi2ELb1ELb1ELb1ELb0ELb0ELb0EEEvPT0_PvPT_S7_S7_PKS6_S9_S9_S9_S9_ffiiiiiiiiiiiii
		.amdhsa_group_segment_fixed_size 64
		.amdhsa_private_segment_fixed_size 0
		.amdhsa_kernarg_size 400
		.amdhsa_user_sgpr_count 6
		.amdhsa_user_sgpr_private_segment_buffer 1
		.amdhsa_user_sgpr_dispatch_ptr 0
		.amdhsa_user_sgpr_queue_ptr 0
		.amdhsa_user_sgpr_kernarg_segment_ptr 1
		.amdhsa_user_sgpr_dispatch_id 0
		.amdhsa_user_sgpr_flat_scratch_init 0
		.amdhsa_user_sgpr_kernarg_preload_length 0
		.amdhsa_user_sgpr_kernarg_preload_offset 0
		.amdhsa_user_sgpr_private_segment_size 0
		.amdhsa_uses_dynamic_stack 0
		.amdhsa_system_sgpr_private_segment_wavefront_offset 0
		.amdhsa_system_sgpr_workgroup_id_x 1
		.amdhsa_system_sgpr_workgroup_id_y 1
		.amdhsa_system_sgpr_workgroup_id_z 0
		.amdhsa_system_sgpr_workgroup_info 0
		.amdhsa_system_vgpr_workitem_id 0
		.amdhsa_next_free_vgpr 49
		.amdhsa_next_free_sgpr 44
		.amdhsa_accum_offset 52
		.amdhsa_reserve_vcc 1
		.amdhsa_reserve_flat_scratch 0
		.amdhsa_float_round_mode_32 0
		.amdhsa_float_round_mode_16_64 0
		.amdhsa_float_denorm_mode_32 3
		.amdhsa_float_denorm_mode_16_64 3
		.amdhsa_dx10_clamp 1
		.amdhsa_ieee_mode 1
		.amdhsa_fp16_overflow 0
		.amdhsa_tg_split 0
		.amdhsa_exception_fp_ieee_invalid_op 0
		.amdhsa_exception_fp_denorm_src 0
		.amdhsa_exception_fp_ieee_div_zero 0
		.amdhsa_exception_fp_ieee_overflow 0
		.amdhsa_exception_fp_ieee_underflow 0
		.amdhsa_exception_fp_ieee_inexact 0
		.amdhsa_exception_int_div_zero 0
	.end_amdhsa_kernel
	.section	.text._ZN5aiter35fused_qk_rmsnorm_group_quant_kernelIDF16_N4opus5fp4_tELi512ELi16ELi2ELb1ELb1ELb1ELb0ELb0ELb0EEEvPT0_PvPT_S7_S7_PKS6_S9_S9_S9_S9_ffiiiiiiiiiiiii,"axG",@progbits,_ZN5aiter35fused_qk_rmsnorm_group_quant_kernelIDF16_N4opus5fp4_tELi512ELi16ELi2ELb1ELb1ELb1ELb0ELb0ELb0EEEvPT0_PvPT_S7_S7_PKS6_S9_S9_S9_S9_ffiiiiiiiiiiiii,comdat
.Lfunc_end1003:
	.size	_ZN5aiter35fused_qk_rmsnorm_group_quant_kernelIDF16_N4opus5fp4_tELi512ELi16ELi2ELb1ELb1ELb1ELb0ELb0ELb0EEEvPT0_PvPT_S7_S7_PKS6_S9_S9_S9_S9_ffiiiiiiiiiiiii, .Lfunc_end1003-_ZN5aiter35fused_qk_rmsnorm_group_quant_kernelIDF16_N4opus5fp4_tELi512ELi16ELi2ELb1ELb1ELb1ELb0ELb0ELb0EEEvPT0_PvPT_S7_S7_PKS6_S9_S9_S9_S9_ffiiiiiiiiiiiii
                                        ; -- End function
	.section	.AMDGPU.csdata,"",@progbits
; Kernel info:
; codeLenInByte = 4136
; NumSgprs: 48
; NumVgprs: 49
; NumAgprs: 0
; TotalNumVgprs: 49
; ScratchSize: 0
; MemoryBound: 0
; FloatMode: 240
; IeeeMode: 1
; LDSByteSize: 64 bytes/workgroup (compile time only)
; SGPRBlocks: 5
; VGPRBlocks: 6
; NumSGPRsForWavesPerEU: 48
; NumVGPRsForWavesPerEU: 49
; AccumOffset: 52
; Occupancy: 8
; WaveLimiterHint : 0
; COMPUTE_PGM_RSRC2:SCRATCH_EN: 0
; COMPUTE_PGM_RSRC2:USER_SGPR: 6
; COMPUTE_PGM_RSRC2:TRAP_HANDLER: 0
; COMPUTE_PGM_RSRC2:TGID_X_EN: 1
; COMPUTE_PGM_RSRC2:TGID_Y_EN: 1
; COMPUTE_PGM_RSRC2:TGID_Z_EN: 0
; COMPUTE_PGM_RSRC2:TIDIG_COMP_CNT: 0
; COMPUTE_PGM_RSRC3_GFX90A:ACCUM_OFFSET: 12
; COMPUTE_PGM_RSRC3_GFX90A:TG_SPLIT: 0
	.section	.text._ZN5aiter35fused_qk_rmsnorm_group_quant_kernelItN4opus5fp4_tELi512ELi16ELi2ELb1ELb1ELb1ELb0ELb0ELb0EEEvPT0_PvPT_S7_S7_PKS6_S9_S9_S9_S9_ffiiiiiiiiiiiii,"axG",@progbits,_ZN5aiter35fused_qk_rmsnorm_group_quant_kernelItN4opus5fp4_tELi512ELi16ELi2ELb1ELb1ELb1ELb0ELb0ELb0EEEvPT0_PvPT_S7_S7_PKS6_S9_S9_S9_S9_ffiiiiiiiiiiiii,comdat
	.protected	_ZN5aiter35fused_qk_rmsnorm_group_quant_kernelItN4opus5fp4_tELi512ELi16ELi2ELb1ELb1ELb1ELb0ELb0ELb0EEEvPT0_PvPT_S7_S7_PKS6_S9_S9_S9_S9_ffiiiiiiiiiiiii ; -- Begin function _ZN5aiter35fused_qk_rmsnorm_group_quant_kernelItN4opus5fp4_tELi512ELi16ELi2ELb1ELb1ELb1ELb0ELb0ELb0EEEvPT0_PvPT_S7_S7_PKS6_S9_S9_S9_S9_ffiiiiiiiiiiiii
	.globl	_ZN5aiter35fused_qk_rmsnorm_group_quant_kernelItN4opus5fp4_tELi512ELi16ELi2ELb1ELb1ELb1ELb0ELb0ELb0EEEvPT0_PvPT_S7_S7_PKS6_S9_S9_S9_S9_ffiiiiiiiiiiiii
	.p2align	8
	.type	_ZN5aiter35fused_qk_rmsnorm_group_quant_kernelItN4opus5fp4_tELi512ELi16ELi2ELb1ELb1ELb1ELb0ELb0ELb0EEEvPT0_PvPT_S7_S7_PKS6_S9_S9_S9_S9_ffiiiiiiiiiiiii,@function
_ZN5aiter35fused_qk_rmsnorm_group_quant_kernelItN4opus5fp4_tELi512ELi16ELi2ELb1ELb1ELb1ELb0ELb0ELb0EEEvPT0_PvPT_S7_S7_PKS6_S9_S9_S9_S9_ffiiiiiiiiiiiii: ; @_ZN5aiter35fused_qk_rmsnorm_group_quant_kernelItN4opus5fp4_tELi512ELi16ELi2ELb1ELb1ELb1ELb0ELb0ELb0EEEvPT0_PvPT_S7_S7_PKS6_S9_S9_S9_S9_ffiiiiiiiiiiiii
; %bb.0:
	s_load_dwordx8 s[20:27], s[4:5], 0x50
	s_waitcnt lgkmcnt(0)
	s_cmp_ge_i32 s6, s22
	s_cbranch_scc1 .LBB1004_17
; %bb.1:
	s_load_dwordx2 s[28:29], s[4:5], 0x48
	s_load_dwordx2 s[10:11], s[4:5], 0x30
	s_load_dwordx8 s[12:19], s[4:5], 0x70
	s_cmp_lg_u32 s7, 0
	s_waitcnt lgkmcnt(0)
	s_cselect_b64 s[18:19], -1, 0
	s_cmp_eq_u32 s7, 0
	s_cselect_b64 s[8:9], -1, 0
	s_and_b64 s[0:1], s[8:9], exec
	s_cselect_b32 s7, s23, s24
	s_add_i32 s0, s7, 1
	s_lshr_b32 s1, s0, 31
	s_add_i32 s0, s0, s1
	s_lshl_b32 s0, s0, 1
	v_lshlrev_b32_e32 v1, 4, v0
	s_and_b32 s38, s0, -4
	v_cmp_gt_i32_e64 s[0:1], s7, v1
	v_mov_b32_e32 v62, 0
	v_mov_b32_e32 v63, 0
	;; [unrolled: 1-line block ×16, first 2 shown]
	s_and_saveexec_b64 s[2:3], s[0:1]
	s_cbranch_execz .LBB1004_3
; %bb.2:
	s_load_dwordx2 s[30:31], s[4:5], 0x28
	s_load_dwordx2 s[34:35], s[4:5], 0x40
	s_and_b64 s[36:37], s[8:9], exec
	s_cselect_b32 s22, s25, s26
	s_mov_b32 s39, 0x20000
	s_waitcnt lgkmcnt(0)
	s_cselect_b32 s25, s31, s11
	s_cselect_b32 s33, s30, s10
	s_mul_hi_i32 s31, s22, s6
	s_mul_i32 s30, s22, s6
	s_lshl_b64 s[30:31], s[30:31], 1
	s_add_u32 s40, s33, s30
	s_addc_u32 s22, s25, s31
	s_and_b64 s[30:31], s[8:9], exec
	s_cselect_b32 s36, s34, s28
	s_cselect_b32 s25, s35, s29
	s_and_b32 s41, s22, 0xffff
	s_mov_b32 s42, s38
	s_mov_b32 s43, s39
	v_lshlrev_b32_e32 v2, 5, v0
	s_and_b32 s37, s25, 0xffff
	buffer_load_dwordx4 v[66:69], v2, s[40:43], 0 offen
	buffer_load_dwordx4 v[70:73], v2, s[40:43], 16 offen
	;; [unrolled: 1-line block ×4, first 2 shown]
.LBB1004_3:
	s_or_b64 exec, exec, s[2:3]
	s_and_b64 vcc, exec, s[18:19]
	s_cbranch_vccz .LBB1004_7
; %bb.4:
	v_mov_b32_e32 v75, 0
	v_mov_b32_e32 v74, 0
	;; [unrolled: 1-line block ×16, first 2 shown]
	s_and_saveexec_b64 s[2:3], s[0:1]
	s_cbranch_execz .LBB1004_6
; %bb.5:
	s_waitcnt vmcnt(3)
	v_cvt_f32_u32_sdwa v2, v66 dst_sel:DWORD dst_unused:UNUSED_PAD src0_sel:WORD_0
	v_cvt_f32_u32_sdwa v3, v66 dst_sel:DWORD dst_unused:UNUSED_PAD src0_sel:WORD_1
	v_cvt_f32_u32_sdwa v6, v67 dst_sel:DWORD dst_unused:UNUSED_PAD src0_sel:WORD_0
	v_cvt_f32_u32_sdwa v7, v67 dst_sel:DWORD dst_unused:UNUSED_PAD src0_sel:WORD_1
	;; [unrolled: 2-line block ×4, first 2 shown]
	s_waitcnt vmcnt(2)
	v_cvt_f32_u32_sdwa v50, v70 dst_sel:DWORD dst_unused:UNUSED_PAD src0_sel:WORD_0
	v_cvt_f32_u32_sdwa v51, v70 dst_sel:DWORD dst_unused:UNUSED_PAD src0_sel:WORD_1
	v_cvt_f32_u32_sdwa v24, v71 dst_sel:DWORD dst_unused:UNUSED_PAD src0_sel:WORD_0
	v_cvt_f32_u32_sdwa v25, v71 dst_sel:DWORD dst_unused:UNUSED_PAD src0_sel:WORD_1
	v_cvt_f32_u32_sdwa v20, v72 dst_sel:DWORD dst_unused:UNUSED_PAD src0_sel:WORD_0
	v_cvt_f32_u32_sdwa v21, v72 dst_sel:DWORD dst_unused:UNUSED_PAD src0_sel:WORD_1
	v_cvt_f32_u32_sdwa v74, v73 dst_sel:DWORD dst_unused:UNUSED_PAD src0_sel:WORD_0
	v_cvt_f32_u32_sdwa v75, v73 dst_sel:DWORD dst_unused:UNUSED_PAD src0_sel:WORD_1
.LBB1004_6:
	s_or_b64 exec, exec, s[2:3]
	s_cbranch_execz .LBB1004_8
	s_branch .LBB1004_11
.LBB1004_7:
                                        ; implicit-def: $vgpr2_vgpr3_vgpr4_vgpr5_vgpr6_vgpr7_vgpr8_vgpr9_vgpr10_vgpr11_vgpr12_vgpr13_vgpr14_vgpr15_vgpr16_vgpr17
                                        ; implicit-def: $vgpr36_vgpr37_vgpr38_vgpr39_vgpr40_vgpr41_vgpr42_vgpr43_vgpr44_vgpr45_vgpr46_vgpr47_vgpr48_vgpr49_vgpr50_vgpr51
                                        ; implicit-def: $vgpr4_vgpr5_vgpr6_vgpr7_vgpr8_vgpr9_vgpr10_vgpr11_vgpr12_vgpr13_vgpr14_vgpr15_vgpr16_vgpr17_vgpr18_vgpr19
                                        ; implicit-def: $vgpr24_vgpr25_vgpr26_vgpr27_vgpr28_vgpr29_vgpr30_vgpr31_vgpr32_vgpr33_vgpr34_vgpr35_vgpr36_vgpr37_vgpr38_vgpr39
                                        ; implicit-def: $vgpr75
                                        ; implicit-def: $vgpr42_vgpr43_vgpr44_vgpr45_vgpr46_vgpr47_vgpr48_vgpr49_vgpr50_vgpr51_vgpr52_vgpr53_vgpr54_vgpr55_vgpr56_vgpr57
                                        ; implicit-def: $vgpr14_vgpr15_vgpr16_vgpr17_vgpr18_vgpr19_vgpr20_vgpr21_vgpr22_vgpr23_vgpr24_vgpr25_vgpr26_vgpr27_vgpr28_vgpr29
                                        ; implicit-def: $vgpr8_vgpr9_vgpr10_vgpr11_vgpr12_vgpr13_vgpr14_vgpr15_vgpr16_vgpr17_vgpr18_vgpr19_vgpr20_vgpr21_vgpr22_vgpr23
.LBB1004_8:
	v_mov_b32_e32 v75, 0
	v_mov_b32_e32 v74, 0
	;; [unrolled: 1-line block ×16, first 2 shown]
	s_and_saveexec_b64 s[2:3], s[0:1]
	s_cbranch_execz .LBB1004_10
; %bb.9:
	s_load_dwordx2 s[30:31], s[4:5], 0x38
	s_mul_hi_i32 s35, s27, s6
	s_mul_i32 s34, s27, s6
	s_lshl_b64 s[34:35], s[34:35], 1
	s_mov_b32 s39, 0x20000
	s_waitcnt lgkmcnt(0)
	s_add_u32 s36, s30, s34
	s_addc_u32 s22, s31, s35
	s_and_b32 s37, s22, 0xffff
	v_lshlrev_b32_e32 v38, 5, v0
	buffer_load_dwordx4 v[6:9], v38, s[36:39], 16 offen
	buffer_load_dwordx4 v[10:13], v38, s[36:39], 0 offen
	s_load_dwordx2 s[30:31], s[4:5], 0x20
	s_waitcnt vmcnt(5)
	v_cvt_f32_u32_sdwa v3, v66 dst_sel:DWORD dst_unused:UNUSED_PAD src0_sel:WORD_1
	v_cvt_f32_u32_sdwa v2, v66 dst_sel:DWORD dst_unused:UNUSED_PAD src0_sel:WORD_0
	v_cvt_f32_u32_sdwa v21, v67 dst_sel:DWORD dst_unused:UNUSED_PAD src0_sel:WORD_1
	v_cvt_f32_u32_sdwa v20, v67 dst_sel:DWORD dst_unused:UNUSED_PAD src0_sel:WORD_0
	;; [unrolled: 2-line block ×4, first 2 shown]
	s_waitcnt vmcnt(4)
	v_cvt_f32_u32_sdwa v5, v70 dst_sel:DWORD dst_unused:UNUSED_PAD src0_sel:WORD_1
	v_cvt_f32_u32_sdwa v4, v70 dst_sel:DWORD dst_unused:UNUSED_PAD src0_sel:WORD_0
	v_cvt_f32_u32_sdwa v15, v71 dst_sel:DWORD dst_unused:UNUSED_PAD src0_sel:WORD_1
	v_cvt_f32_u32_sdwa v14, v71 dst_sel:DWORD dst_unused:UNUSED_PAD src0_sel:WORD_0
	v_cvt_f32_u32_sdwa v17, v72 dst_sel:DWORD dst_unused:UNUSED_PAD src0_sel:WORD_1
	v_cvt_f32_u32_sdwa v16, v72 dst_sel:DWORD dst_unused:UNUSED_PAD src0_sel:WORD_0
	v_cvt_f32_u32_sdwa v18, v73 dst_sel:DWORD dst_unused:UNUSED_PAD src0_sel:WORD_0
	v_cvt_f32_u32_sdwa v19, v73 dst_sel:DWORD dst_unused:UNUSED_PAD src0_sel:WORD_1
	s_mul_hi_i32 s35, s17, s6
	s_mul_i32 s34, s17, s6
	s_lshl_b64 s[34:35], s[34:35], 1
	s_waitcnt lgkmcnt(0)
	s_add_u32 s36, s30, s34
	s_mov_b32 s17, 0x7060302
	s_addc_u32 s22, s31, s35
	s_and_b32 s37, s22, 0xffff
	s_waitcnt vmcnt(1)
	v_cvt_f32_u32_sdwa v27, v6 dst_sel:DWORD dst_unused:UNUSED_PAD src0_sel:WORD_1
	v_cvt_f32_u32_sdwa v26, v6 dst_sel:DWORD dst_unused:UNUSED_PAD src0_sel:WORD_0
	v_cvt_f32_u32_sdwa v29, v7 dst_sel:DWORD dst_unused:UNUSED_PAD src0_sel:WORD_1
	v_cvt_f32_u32_sdwa v28, v7 dst_sel:DWORD dst_unused:UNUSED_PAD src0_sel:WORD_0
	;; [unrolled: 2-line block ×3, first 2 shown]
	v_cvt_f32_u32_sdwa v34, v9 dst_sel:DWORD dst_unused:UNUSED_PAD src0_sel:WORD_0
	v_cvt_f32_u32_sdwa v35, v9 dst_sel:DWORD dst_unused:UNUSED_PAD src0_sel:WORD_1
	s_waitcnt vmcnt(0)
	v_cvt_f32_u32_sdwa v37, v10 dst_sel:DWORD dst_unused:UNUSED_PAD src0_sel:WORD_1
	v_cvt_f32_u32_sdwa v36, v10 dst_sel:DWORD dst_unused:UNUSED_PAD src0_sel:WORD_0
	v_cvt_f32_u32_sdwa v7, v12 dst_sel:DWORD dst_unused:UNUSED_PAD src0_sel:WORD_1
	v_cvt_f32_u32_sdwa v6, v12 dst_sel:DWORD dst_unused:UNUSED_PAD src0_sel:WORD_0
	;; [unrolled: 2-line block ×4, first 2 shown]
	v_pk_add_f32 v[40:41], v[22:23], v[6:7]
	v_pk_add_f32 v[30:31], v[24:25], v[8:9]
	;; [unrolled: 1-line block ×4, first 2 shown]
	v_perm_b32 v11, v31, v30, s17
	v_perm_b32 v10, v41, v40, s17
	;; [unrolled: 1-line block ×4, first 2 shown]
	v_pk_add_f32 v[74:75], v[18:19], v[34:35]
	v_pk_add_f32 v[20:21], v[16:17], v[32:33]
	v_pk_add_f32 v[24:25], v[14:15], v[28:29]
	v_pk_add_f32 v[50:51], v[4:5], v[26:27]
	buffer_store_dwordx4 v[8:11], v38, s[36:39], 0 offen
	;;#ASMSTART
	s_nop 0
	;;#ASMEND
	s_nop 0
	v_perm_b32 v11, v75, v74, s17
	v_perm_b32 v10, v21, v20, s17
	;; [unrolled: 1-line block ×4, first 2 shown]
	buffer_store_dwordx4 v[8:11], v38, s[36:39], 16 offen
	;;#ASMSTART
	s_nop 0
	;;#ASMEND
.LBB1004_10:
	s_or_b64 exec, exec, s[2:3]
.LBB1004_11:
	v_mul_f32_e32 v4, v3, v3
	v_fmac_f32_e32 v4, v2, v2
	v_fmac_f32_e32 v4, v6, v6
	;; [unrolled: 1-line block ×15, first 2 shown]
	s_nop 1
	v_mov_b32_dpp v5, v4 quad_perm:[1,0,3,2] row_mask:0xf bank_mask:0xf
	v_add_f32_e32 v4, v4, v5
	s_nop 1
	v_mov_b32_dpp v5, v4 quad_perm:[2,3,0,1] row_mask:0xf bank_mask:0xf
	v_add_f32_e32 v4, v4, v5
	s_nop 1
	v_mov_b32_dpp v5, v4 row_half_mirror row_mask:0xf bank_mask:0xf
	v_add_f32_e32 v4, v4, v5
	s_nop 1
	v_mov_b32_dpp v5, v4 row_mirror row_mask:0xf bank_mask:0xf
	v_add_f32_e32 v4, v4, v5
	s_nop 1
	v_mov_b32_dpp v5, v4 row_bcast:15 row_mask:0xf bank_mask:0xf
	v_add_f32_e32 v4, v4, v5
	v_and_b32_e32 v5, 63, v0
	v_cmp_eq_u32_e64 s[2:3], 63, v5
	s_nop 0
	v_mov_b32_dpp v5, v4 row_bcast:31 row_mask:0xf bank_mask:0xf
	s_and_saveexec_b64 s[30:31], s[2:3]
	s_cbranch_execz .LBB1004_13
; %bb.12:
	v_add_f32_e32 v4, v4, v5
	v_lshrrev_b32_e32 v5, 4, v0
	v_and_b32_e32 v5, 60, v5
	ds_write_b32 v5, v4 offset:32
.LBB1004_13:
	s_or_b64 exec, exec, s[30:31]
	v_and_b32_e32 v4, 7, v0
	v_lshlrev_b32_e32 v34, 2, v4
	s_waitcnt lgkmcnt(0)
	s_barrier
	ds_read_b32 v4, v34 offset:32
	s_load_dwordx2 s[34:35], s[4:5], 0x18
	s_waitcnt lgkmcnt(0)
	v_mov_b32_dpp v5, v4 quad_perm:[1,0,3,2] row_mask:0xf bank_mask:0xf
	v_add_f32_e32 v4, v4, v5
	s_nop 1
	v_mov_b32_dpp v5, v4 quad_perm:[2,3,0,1] row_mask:0xf bank_mask:0xf
	v_add_f32_e32 v4, v4, v5
	s_nop 1
	v_mov_b32_dpp v5, v4 row_half_mirror row_mask:0xf bank_mask:0xf
	s_and_saveexec_b64 s[30:31], s[0:1]
	s_cbranch_execnz .LBB1004_18
; %bb.14:
	s_or_b64 exec, exec, s[30:31]
	s_mov_b64 s[8:9], -1
	s_and_b64 vcc, exec, s[18:19]
	s_cbranch_vccnz .LBB1004_19
.LBB1004_15:
	s_andn2_b64 vcc, exec, s[8:9]
	s_cbranch_vccz .LBB1004_22
.LBB1004_16:
	s_cmp_lt_i32 s24, 1
	s_cbranch_scc0 .LBB1004_31
.LBB1004_17:
	s_endpgm
.LBB1004_18:
	v_add_f32_e32 v4, v4, v5
	v_cvt_f32_u32_e32 v5, s7
	s_mov_b32 s7, 0x800000
	s_waitcnt vmcnt(1)
	v_cvt_f32_u32_sdwa v15, v62 dst_sel:DWORD dst_unused:UNUSED_PAD src0_sel:WORD_1
	v_cvt_f32_u32_sdwa v14, v62 dst_sel:DWORD dst_unused:UNUSED_PAD src0_sel:WORD_0
	v_div_scale_f32 v8, s[36:37], v5, v5, v4
	v_rcp_f32_e32 v9, v8
	v_pk_add_f32 v[14:15], v[14:15], 1.0 op_sel_hi:[1,0]
	v_cvt_f32_u32_sdwa v23, v65 dst_sel:DWORD dst_unused:UNUSED_PAD src0_sel:WORD_1
	v_cvt_f32_u32_sdwa v22, v65 dst_sel:DWORD dst_unused:UNUSED_PAD src0_sel:WORD_0
	v_fma_f32 v10, -v8, v9, 1.0
	v_fmac_f32_e32 v9, v10, v9
	v_div_scale_f32 v10, vcc, v4, v5, v4
	v_mul_f32_e32 v11, v10, v9
	v_fma_f32 v12, -v8, v11, v10
	v_fmac_f32_e32 v11, v12, v9
	v_fma_f32 v8, -v8, v11, v10
	v_div_fmas_f32 v8, v8, v9, v11
	v_div_fixup_f32 v4, v8, v5, v4
	v_mov_b32_e32 v5, s21
	v_mov_b32_e32 v8, s20
	v_cndmask_b32_e64 v5, v5, v8, s[8:9]
	v_add_f32_e32 v4, v5, v4
	v_mul_f32_e32 v5, 0x4b800000, v4
	v_cmp_gt_f32_e32 vcc, s7, v4
	v_cndmask_b32_e32 v4, v4, v5, vcc
	v_rsq_f32_e32 v4, v4
	s_waitcnt vmcnt(0)
	v_cvt_f32_u32_sdwa v27, v60 dst_sel:DWORD dst_unused:UNUSED_PAD src0_sel:WORD_1
	v_cvt_f32_u32_sdwa v26, v60 dst_sel:DWORD dst_unused:UNUSED_PAD src0_sel:WORD_0
	v_cvt_f32_u32_sdwa v29, v61 dst_sel:DWORD dst_unused:UNUSED_PAD src0_sel:WORD_1
	v_mul_f32_e32 v5, 0x45800000, v4
	v_cndmask_b32_e32 v4, v4, v5, vcc
	v_mov_b32_e32 v5, v4
	;;#ASMSTART
	v_pk_mul_f32 v[2:3], v[2:3], v[4:5]
	;;#ASMEND
	;;#ASMSTART
	v_pk_mul_f32 v[6:7], v[6:7], v[4:5]
	;;#ASMEND
	;; [unrolled: 3-line block ×9, first 2 shown]
	v_cvt_f32_u32_sdwa v15, v63 dst_sel:DWORD dst_unused:UNUSED_PAD src0_sel:WORD_1
	v_cvt_f32_u32_sdwa v14, v63 dst_sel:DWORD dst_unused:UNUSED_PAD src0_sel:WORD_0
	v_cvt_f32_u32_sdwa v21, v64 dst_sel:DWORD dst_unused:UNUSED_PAD src0_sel:WORD_1
	v_cvt_f32_u32_sdwa v20, v64 dst_sel:DWORD dst_unused:UNUSED_PAD src0_sel:WORD_0
	v_cvt_f32_u32_sdwa v25, v59 dst_sel:DWORD dst_unused:UNUSED_PAD src0_sel:WORD_1
	v_pk_add_f32 v[14:15], v[14:15], 1.0 op_sel_hi:[1,0]
	v_cvt_f32_u32_sdwa v24, v59 dst_sel:DWORD dst_unused:UNUSED_PAD src0_sel:WORD_0
	;;#ASMSTART
	v_pk_mul_f32 v[6:7], v[6:7], v[14:15]
	;;#ASMEND
	v_pk_add_f32 v[14:15], v[20:21], 1.0 op_sel_hi:[1,0]
	v_pk_add_f32 v[20:21], v[22:23], 1.0 op_sel_hi:[1,0]
	v_cvt_f32_u32_sdwa v23, v58 dst_sel:DWORD dst_unused:UNUSED_PAD src0_sel:WORD_1
	v_cvt_f32_u32_sdwa v22, v58 dst_sel:DWORD dst_unused:UNUSED_PAD src0_sel:WORD_0
	v_cvt_f32_u32_sdwa v28, v61 dst_sel:DWORD dst_unused:UNUSED_PAD src0_sel:WORD_0
	v_pk_add_f32 v[24:25], v[24:25], 1.0 op_sel_hi:[1,0]
	v_pk_add_f32 v[26:27], v[26:27], 1.0 op_sel_hi:[1,0]
	;; [unrolled: 1-line block ×4, first 2 shown]
	;;#ASMSTART
	v_pk_mul_f32 v[40:41], v[8:9], v[14:15]
	;;#ASMEND
	;;#ASMSTART
	v_pk_mul_f32 v[30:31], v[10:11], v[20:21]
	;;#ASMEND
	;; [unrolled: 3-line block ×6, first 2 shown]
	s_or_b64 exec, exec, s[30:31]
	s_mov_b64 s[8:9], -1
	s_and_b64 vcc, exec, s[18:19]
	s_cbranch_vccz .LBB1004_15
.LBB1004_19:
	s_and_saveexec_b64 s[8:9], s[0:1]
	s_cbranch_execz .LBB1004_21
; %bb.20:
	s_mul_hi_i32 s19, s16, s6
	s_mul_i32 s18, s16, s6
	s_lshl_b64 s[18:19], s[18:19], 1
	s_add_u32 s36, s34, s18
	s_addc_u32 s7, s35, s19
	s_and_b32 s37, s7, 0xffff
	s_mov_b32 s7, 0x7060302
	s_mov_b32 s39, 0x20000
	v_perm_b32 v11, v31, v30, s7
	v_perm_b32 v10, v41, v40, s7
	;; [unrolled: 1-line block ×4, first 2 shown]
	v_lshlrev_b32_e32 v4, 5, v0
	buffer_store_dwordx4 v[8:11], v4, s[36:39], 0 offen
	;;#ASMSTART
	s_nop 0
	;;#ASMEND
	s_nop 0
	v_perm_b32 v11, v75, v74, s7
	v_perm_b32 v10, v21, v20, s7
	;; [unrolled: 1-line block ×4, first 2 shown]
	buffer_store_dwordx4 v[8:11], v4, s[36:39], 16 offen
	;;#ASMSTART
	s_nop 0
	;;#ASMEND
.LBB1004_21:
	s_or_b64 exec, exec, s[8:9]
	s_cbranch_execnz .LBB1004_16
.LBB1004_22:
	v_mov_b32_e32 v4, 0
	s_and_saveexec_b64 s[8:9], s[0:1]
	s_cbranch_execz .LBB1004_24
; %bb.23:
	s_load_dwordx2 s[18:19], s[4:5], 0x10
	s_mul_hi_i32 s31, s15, s6
	s_mul_i32 s30, s15, s6
	s_lshl_b64 s[30:31], s[30:31], 1
	s_mov_b32 s39, 0x20000
	s_waitcnt lgkmcnt(0)
	s_add_u32 s36, s18, s30
	s_addc_u32 s7, s19, s31
	s_and_b32 s37, s7, 0xffff
	s_mov_b32 s7, 0x7060302
	v_perm_b32 v11, v31, v30, s7
	v_perm_b32 v10, v41, v40, s7
	;; [unrolled: 1-line block ×4, first 2 shown]
	v_lshlrev_b32_e32 v4, 5, v0
	buffer_store_dwordx4 v[8:11], v4, s[36:39], 0 offen
	;;#ASMSTART
	s_nop 0
	;;#ASMEND
	s_nop 0
	v_perm_b32 v11, v75, v74, s7
	v_perm_b32 v10, v21, v20, s7
	;; [unrolled: 1-line block ×4, first 2 shown]
	buffer_store_dwordx4 v[8:11], v4, s[36:39], 16 offen
	v_mov_b32_e32 v4, 0x2edbe6ff
	;;#ASMSTART
	s_nop 0
	;;#ASMEND
.LBB1004_24:
	s_or_b64 exec, exec, s[8:9]
	s_and_saveexec_b64 s[8:9], s[0:1]
	s_cbranch_execz .LBB1004_26
; %bb.25:
	v_and_b32_e32 v2, 0x7fffffff, v2
	v_and_b32_e32 v3, 0x7fffffff, v3
	;;#ASMSTART
	v_max3_f32 v2, v4, v2, v3

	;;#ASMEND
	v_and_b32_e32 v5, 0x7fffffff, v6
	v_and_b32_e32 v6, 0x7fffffff, v7
	;;#ASMSTART
	v_max3_f32 v2, v2, v5, v6

	;;#ASMEND
	;; [unrolled: 6-line block ×8, first 2 shown]
.LBB1004_26:
	s_or_b64 exec, exec, s[8:9]
	v_and_b32_e32 v3, 1, v0
	v_cmp_eq_u32_e32 vcc, 0, v3
	v_cmp_gt_i32_e64 s[8:9], s23, v1
	s_and_b64 s[18:19], vcc, s[8:9]
	;;#ASMSTART
	v_max_f32 v2, v4, v4 quad_perm:[1,0,3,2] row_mask:0xf bank_mask:0xf bound_ctrl:1
	;;#ASMEND
	s_and_saveexec_b64 s[8:9], s[18:19]
	s_cbranch_execz .LBB1004_28
; %bb.27:
	s_load_dwordx2 s[18:19], s[4:5], 0x8
	v_mul_f32_e32 v2, 0x3e2aaaab, v2
	v_lshrrev_b32_e32 v3, 23, v2
	v_and_b32_e32 v4, 0x7f800000, v2
	v_and_b32_e32 v2, 0x7fffff, v2
	v_cmp_ne_u32_e32 vcc, 0, v2
	s_mul_hi_i32 s15, s13, s6
	s_mul_i32 s13, s13, s6
	s_mov_b32 s7, 0x7f800000
	v_addc_co_u32_e32 v2, vcc, 0, v3, vcc
	s_waitcnt lgkmcnt(0)
	s_add_u32 s18, s18, s13
	v_cmp_ne_u32_e32 vcc, s7, v4
	s_addc_u32 s19, s19, s15
	v_lshrrev_b32_e32 v5, 1, v0
	v_cndmask_b32_e32 v4, -1, v2, vcc
	v_pk_mov_b32 v[2:3], s[18:19], s[18:19] op_sel:[0,1]
	v_mad_i64_i32 v[2:3], s[14:15], s14, v5, v[2:3]
	global_store_byte v[2:3], v4, off
.LBB1004_28:
	s_or_b64 exec, exec, s[8:9]
	s_and_saveexec_b64 s[8:9], s[0:1]
	s_cbranch_execz .LBB1004_30
; %bb.29:
	s_load_dwordx2 s[0:1], s[4:5], 0x0
	s_mul_hi_i32 s7, s12, s6
	s_mul_i32 s12, s12, s6
	v_mov_b32_e32 v2, 0
	v_lshlrev_b32_e32 v4, 3, v0
	s_waitcnt lgkmcnt(0)
	s_add_u32 s12, s0, s12
	s_addc_u32 s0, s1, s7
	s_lshr_b32 s1, s23, 31
	s_add_i32 s1, s23, s1
	s_ashr_i32 s1, s1, 1
	s_add_i32 s1, s1, 3
	s_ashr_i32 s7, s1, 31
	s_lshr_b32 s7, s7, 30
	s_add_i32 s1, s1, s7
	s_and_b32 s14, s1, -4
	s_and_b32 s13, s0, 0xffff
	s_mov_b32 s15, 0x20000
	v_mov_b32_e32 v3, v2
	buffer_store_dwordx2 v[2:3], v4, s[12:15], 0 offen
	;;#ASMSTART
	s_nop 0
	;;#ASMEND
.LBB1004_30:
	s_or_b64 exec, exec, s[8:9]
	s_cmp_lt_i32 s24, 1
	s_cbranch_scc1 .LBB1004_17
.LBB1004_31:
	s_load_dword s0, s[4:5], 0x94
	s_waitcnt lgkmcnt(0)
	s_cmp_lg_u32 s0, 1
	s_cbranch_scc1 .LBB1004_17
; %bb.32:
	s_lshl_b32 s0, s24, 1
	s_add_i32 s0, s0, 2
	v_cmp_gt_u32_e32 vcc, s24, v1
	s_and_b32 s30, s0, -4
	v_mov_b32_e32 v18, 0
	v_lshlrev_b32_e32 v1, 5, v0
	v_mov_b32_e32 v14, 0
	v_mov_b32_e32 v15, 0
	;; [unrolled: 1-line block ×16, first 2 shown]
	s_barrier
	s_and_saveexec_b64 s[0:1], vcc
	s_cbranch_execz .LBB1004_34
; %bb.33:
	s_mul_hi_i32 s5, s26, s6
	s_mul_i32 s4, s26, s6
	s_and_b32 s29, s29, 0xffff
	s_lshl_b64 s[4:5], s[4:5], 1
	s_add_u32 s8, s10, s4
	s_mov_b32 s31, 0x20000
	s_addc_u32 s4, s11, s5
	s_and_b32 s9, s4, 0xffff
	s_mov_b32 s10, s30
	s_mov_b32 s11, s31
	buffer_load_dwordx4 v[14:17], v1, s[8:11], 0 offen
	buffer_load_dwordx4 v[10:13], v1, s[8:11], 16 offen
	;; [unrolled: 1-line block ×4, first 2 shown]
.LBB1004_34:
	s_or_b64 exec, exec, s[0:1]
	v_mov_b32_e32 v19, 0
	v_mov_b32_e32 v32, 0
	;; [unrolled: 1-line block ×15, first 2 shown]
	s_and_saveexec_b64 s[0:1], vcc
	s_cbranch_execz .LBB1004_36
; %bb.35:
	s_waitcnt vmcnt(3)
	v_cvt_f32_u32_sdwa v18, v14 dst_sel:DWORD dst_unused:UNUSED_PAD src0_sel:WORD_0
	v_cvt_f32_u32_sdwa v19, v14 dst_sel:DWORD dst_unused:UNUSED_PAD src0_sel:WORD_1
	v_cvt_f32_u32_sdwa v32, v15 dst_sel:DWORD dst_unused:UNUSED_PAD src0_sel:WORD_0
	v_cvt_f32_u32_sdwa v33, v15 dst_sel:DWORD dst_unused:UNUSED_PAD src0_sel:WORD_1
	;; [unrolled: 2-line block ×4, first 2 shown]
	s_waitcnt vmcnt(2)
	v_cvt_f32_u32_sdwa v26, v10 dst_sel:DWORD dst_unused:UNUSED_PAD src0_sel:WORD_0
	v_cvt_f32_u32_sdwa v27, v10 dst_sel:DWORD dst_unused:UNUSED_PAD src0_sel:WORD_1
	v_cvt_f32_u32_sdwa v24, v11 dst_sel:DWORD dst_unused:UNUSED_PAD src0_sel:WORD_0
	v_cvt_f32_u32_sdwa v25, v11 dst_sel:DWORD dst_unused:UNUSED_PAD src0_sel:WORD_1
	;; [unrolled: 2-line block ×4, first 2 shown]
.LBB1004_36:
	s_or_b64 exec, exec, s[0:1]
	s_waitcnt vmcnt(2)
	v_mul_f32_e32 v10, v19, v19
	v_fmac_f32_e32 v10, v18, v18
	v_fmac_f32_e32 v10, v32, v32
	;; [unrolled: 1-line block ×15, first 2 shown]
	s_nop 1
	v_mov_b32_dpp v11, v10 quad_perm:[1,0,3,2] row_mask:0xf bank_mask:0xf
	v_add_f32_e32 v10, v10, v11
	s_nop 1
	v_mov_b32_dpp v11, v10 quad_perm:[2,3,0,1] row_mask:0xf bank_mask:0xf
	v_add_f32_e32 v10, v10, v11
	s_nop 1
	v_mov_b32_dpp v11, v10 row_half_mirror row_mask:0xf bank_mask:0xf
	v_add_f32_e32 v10, v10, v11
	s_nop 1
	v_mov_b32_dpp v11, v10 row_mirror row_mask:0xf bank_mask:0xf
	v_add_f32_e32 v10, v10, v11
	s_nop 1
	v_mov_b32_dpp v11, v10 row_bcast:15 row_mask:0xf bank_mask:0xf
	v_add_f32_e32 v10, v10, v11
	s_nop 1
	v_mov_b32_dpp v11, v10 row_bcast:31 row_mask:0xf bank_mask:0xf
	s_and_saveexec_b64 s[0:1], s[2:3]
	s_cbranch_execz .LBB1004_38
; %bb.37:
	v_lshrrev_b32_e32 v0, 4, v0
	v_add_f32_e32 v10, v10, v11
	v_and_b32_e32 v0, 60, v0
	ds_write_b32 v0, v10
.LBB1004_38:
	s_or_b64 exec, exec, s[0:1]
	s_waitcnt lgkmcnt(0)
	s_barrier
	ds_read_b32 v0, v34
	s_waitcnt lgkmcnt(0)
	s_nop 0
	v_mov_b32_dpp v10, v0 quad_perm:[1,0,3,2] row_mask:0xf bank_mask:0xf
	v_add_f32_e32 v0, v0, v10
	s_nop 1
	v_mov_b32_dpp v10, v0 quad_perm:[2,3,0,1] row_mask:0xf bank_mask:0xf
	v_add_f32_e32 v0, v0, v10
	s_nop 1
	v_mov_b32_dpp v10, v0 row_half_mirror row_mask:0xf bank_mask:0xf
	s_and_saveexec_b64 s[0:1], vcc
	s_cbranch_execz .LBB1004_17
; %bb.39:
	v_cvt_f32_u32_e32 v11, s24
	v_add_f32_e32 v0, v0, v10
	s_mov_b32 s31, 0x20000
	v_div_scale_f32 v10, s[0:1], v11, v11, v0
	v_rcp_f32_e32 v12, v10
	v_div_scale_f32 v13, vcc, v0, v11, v0
	s_mov_b32 s0, 0x800000
	v_fma_f32 v14, -v10, v12, 1.0
	v_fmac_f32_e32 v12, v14, v12
	v_mul_f32_e32 v14, v13, v12
	v_fma_f32 v15, -v10, v14, v13
	v_fmac_f32_e32 v14, v15, v12
	v_fma_f32 v10, -v10, v14, v13
	v_div_fmas_f32 v10, v10, v12, v14
	v_div_fixup_f32 v0, v10, v11, v0
	v_add_f32_e32 v0, s21, v0
	v_mul_f32_e32 v10, 0x4b800000, v0
	v_cmp_gt_f32_e32 vcc, s0, v0
	v_cndmask_b32_e32 v0, v0, v10, vcc
	v_rsq_f32_e32 v0, v0
	s_mul_hi_i32 s1, s16, s6
	s_mul_i32 s0, s16, s6
	s_lshl_b64 s[0:1], s[0:1], 1
	v_mul_f32_e32 v10, 0x45800000, v0
	v_cndmask_b32_e32 v10, v0, v10, vcc
	v_mov_b32_e32 v11, v10
	;;#ASMSTART
	v_pk_mul_f32 v[12:13], v[18:19], v[10:11]
	;;#ASMEND
	;;#ASMSTART
	v_pk_mul_f32 v[14:15], v[32:33], v[10:11]
	;;#ASMEND
	;; [unrolled: 3-line block ×4, first 2 shown]
	s_waitcnt vmcnt(1)
	v_cvt_f32_u32_sdwa v29, v6 dst_sel:DWORD dst_unused:UNUSED_PAD src0_sel:WORD_1
	v_cvt_f32_u32_sdwa v28, v6 dst_sel:DWORD dst_unused:UNUSED_PAD src0_sel:WORD_0
	v_cvt_f32_u32_sdwa v31, v7 dst_sel:DWORD dst_unused:UNUSED_PAD src0_sel:WORD_1
	v_cvt_f32_u32_sdwa v30, v7 dst_sel:DWORD dst_unused:UNUSED_PAD src0_sel:WORD_0
	;;#ASMSTART
	v_pk_mul_f32 v[26:27], v[26:27], v[10:11]
	;;#ASMEND
	;;#ASMSTART
	v_pk_mul_f32 v[24:25], v[24:25], v[10:11]
	;;#ASMEND
	;; [unrolled: 3-line block ×4, first 2 shown]
	v_cvt_f32_u32_sdwa v21, v8 dst_sel:DWORD dst_unused:UNUSED_PAD src0_sel:WORD_1
	v_cvt_f32_u32_sdwa v20, v8 dst_sel:DWORD dst_unused:UNUSED_PAD src0_sel:WORD_0
	v_pk_add_f32 v[10:11], v[28:29], 1.0 op_sel_hi:[1,0]
	;;#ASMSTART
	v_pk_mul_f32 v[10:11], v[12:13], v[10:11]
	;;#ASMEND
	v_pk_add_f32 v[12:13], v[30:31], 1.0 op_sel_hi:[1,0]
	v_cvt_f32_u32_sdwa v29, v9 dst_sel:DWORD dst_unused:UNUSED_PAD src0_sel:WORD_1
	v_cvt_f32_u32_sdwa v28, v9 dst_sel:DWORD dst_unused:UNUSED_PAD src0_sel:WORD_0
	;;#ASMSTART
	v_pk_mul_f32 v[8:9], v[14:15], v[12:13]
	;;#ASMEND
	v_pk_add_f32 v[12:13], v[20:21], 1.0 op_sel_hi:[1,0]
	;;#ASMSTART
	v_pk_mul_f32 v[12:13], v[16:17], v[12:13]
	;;#ASMEND
	s_waitcnt vmcnt(0)
	v_cvt_f32_u32_sdwa v17, v2 dst_sel:DWORD dst_unused:UNUSED_PAD src0_sel:WORD_1
	v_cvt_f32_u32_sdwa v16, v2 dst_sel:DWORD dst_unused:UNUSED_PAD src0_sel:WORD_0
	v_cvt_f32_u32_sdwa v21, v3 dst_sel:DWORD dst_unused:UNUSED_PAD src0_sel:WORD_1
	v_cvt_f32_u32_sdwa v20, v3 dst_sel:DWORD dst_unused:UNUSED_PAD src0_sel:WORD_0
	v_pk_add_f32 v[14:15], v[28:29], 1.0 op_sel_hi:[1,0]
	;;#ASMSTART
	v_pk_mul_f32 v[14:15], v[18:19], v[14:15]
	;;#ASMEND
	v_pk_add_f32 v[2:3], v[16:17], 1.0 op_sel_hi:[1,0]
	v_cvt_f32_u32_sdwa v19, v4 dst_sel:DWORD dst_unused:UNUSED_PAD src0_sel:WORD_1
	v_cvt_f32_u32_sdwa v18, v4 dst_sel:DWORD dst_unused:UNUSED_PAD src0_sel:WORD_0
	;;#ASMSTART
	v_pk_mul_f32 v[16:17], v[26:27], v[2:3]
	;;#ASMEND
	v_pk_add_f32 v[2:3], v[20:21], 1.0 op_sel_hi:[1,0]
	v_cvt_f32_u32_sdwa v21, v5 dst_sel:DWORD dst_unused:UNUSED_PAD src0_sel:WORD_1
	v_cvt_f32_u32_sdwa v20, v5 dst_sel:DWORD dst_unused:UNUSED_PAD src0_sel:WORD_0
	s_add_u32 s28, s34, s0
	;;#ASMSTART
	v_pk_mul_f32 v[24:25], v[24:25], v[2:3]
	;;#ASMEND
	v_pk_add_f32 v[2:3], v[18:19], 1.0 op_sel_hi:[1,0]
	s_addc_u32 s0, s35, s1
	;;#ASMSTART
	v_pk_mul_f32 v[18:19], v[22:23], v[2:3]
	;;#ASMEND
	v_pk_add_f32 v[2:3], v[20:21], 1.0 op_sel_hi:[1,0]
	s_and_b32 s29, s0, 0xffff
	s_mov_b32 s0, 0x7060302
	;;#ASMSTART
	v_pk_mul_f32 v[6:7], v[6:7], v[2:3]
	;;#ASMEND
	v_perm_b32 v2, v11, v10, s0
	v_perm_b32 v3, v9, v8, s0
	;; [unrolled: 1-line block ×4, first 2 shown]
	buffer_store_dwordx4 v[2:5], v1, s[28:31], 0 offen
	;;#ASMSTART
	s_nop 0
	;;#ASMEND
	s_nop 0
	v_perm_b32 v2, v17, v16, s0
	v_perm_b32 v3, v25, v24, s0
	;; [unrolled: 1-line block ×4, first 2 shown]
	buffer_store_dwordx4 v[2:5], v1, s[28:31], 16 offen
	;;#ASMSTART
	s_nop 0
	;;#ASMEND
	s_endpgm
	.section	.rodata,"a",@progbits
	.p2align	6, 0x0
	.amdhsa_kernel _ZN5aiter35fused_qk_rmsnorm_group_quant_kernelItN4opus5fp4_tELi512ELi16ELi2ELb1ELb1ELb1ELb0ELb0ELb0EEEvPT0_PvPT_S7_S7_PKS6_S9_S9_S9_S9_ffiiiiiiiiiiiii
		.amdhsa_group_segment_fixed_size 64
		.amdhsa_private_segment_fixed_size 0
		.amdhsa_kernarg_size 400
		.amdhsa_user_sgpr_count 6
		.amdhsa_user_sgpr_private_segment_buffer 1
		.amdhsa_user_sgpr_dispatch_ptr 0
		.amdhsa_user_sgpr_queue_ptr 0
		.amdhsa_user_sgpr_kernarg_segment_ptr 1
		.amdhsa_user_sgpr_dispatch_id 0
		.amdhsa_user_sgpr_flat_scratch_init 0
		.amdhsa_user_sgpr_kernarg_preload_length 0
		.amdhsa_user_sgpr_kernarg_preload_offset 0
		.amdhsa_user_sgpr_private_segment_size 0
		.amdhsa_uses_dynamic_stack 0
		.amdhsa_system_sgpr_private_segment_wavefront_offset 0
		.amdhsa_system_sgpr_workgroup_id_x 1
		.amdhsa_system_sgpr_workgroup_id_y 1
		.amdhsa_system_sgpr_workgroup_id_z 0
		.amdhsa_system_sgpr_workgroup_info 0
		.amdhsa_system_vgpr_workitem_id 0
		.amdhsa_next_free_vgpr 76
		.amdhsa_next_free_sgpr 44
		.amdhsa_accum_offset 76
		.amdhsa_reserve_vcc 1
		.amdhsa_reserve_flat_scratch 0
		.amdhsa_float_round_mode_32 0
		.amdhsa_float_round_mode_16_64 0
		.amdhsa_float_denorm_mode_32 3
		.amdhsa_float_denorm_mode_16_64 3
		.amdhsa_dx10_clamp 1
		.amdhsa_ieee_mode 1
		.amdhsa_fp16_overflow 0
		.amdhsa_tg_split 0
		.amdhsa_exception_fp_ieee_invalid_op 0
		.amdhsa_exception_fp_denorm_src 0
		.amdhsa_exception_fp_ieee_div_zero 0
		.amdhsa_exception_fp_ieee_overflow 0
		.amdhsa_exception_fp_ieee_underflow 0
		.amdhsa_exception_fp_ieee_inexact 0
		.amdhsa_exception_int_div_zero 0
	.end_amdhsa_kernel
	.section	.text._ZN5aiter35fused_qk_rmsnorm_group_quant_kernelItN4opus5fp4_tELi512ELi16ELi2ELb1ELb1ELb1ELb0ELb0ELb0EEEvPT0_PvPT_S7_S7_PKS6_S9_S9_S9_S9_ffiiiiiiiiiiiii,"axG",@progbits,_ZN5aiter35fused_qk_rmsnorm_group_quant_kernelItN4opus5fp4_tELi512ELi16ELi2ELb1ELb1ELb1ELb0ELb0ELb0EEEvPT0_PvPT_S7_S7_PKS6_S9_S9_S9_S9_ffiiiiiiiiiiiii,comdat
.Lfunc_end1004:
	.size	_ZN5aiter35fused_qk_rmsnorm_group_quant_kernelItN4opus5fp4_tELi512ELi16ELi2ELb1ELb1ELb1ELb0ELb0ELb0EEEvPT0_PvPT_S7_S7_PKS6_S9_S9_S9_S9_ffiiiiiiiiiiiii, .Lfunc_end1004-_ZN5aiter35fused_qk_rmsnorm_group_quant_kernelItN4opus5fp4_tELi512ELi16ELi2ELb1ELb1ELb1ELb0ELb0ELb0EEEvPT0_PvPT_S7_S7_PKS6_S9_S9_S9_S9_ffiiiiiiiiiiiii
                                        ; -- End function
	.section	.AMDGPU.csdata,"",@progbits
; Kernel info:
; codeLenInByte = 4088
; NumSgprs: 48
; NumVgprs: 76
; NumAgprs: 0
; TotalNumVgprs: 76
; ScratchSize: 0
; MemoryBound: 0
; FloatMode: 240
; IeeeMode: 1
; LDSByteSize: 64 bytes/workgroup (compile time only)
; SGPRBlocks: 5
; VGPRBlocks: 9
; NumSGPRsForWavesPerEU: 48
; NumVGPRsForWavesPerEU: 76
; AccumOffset: 76
; Occupancy: 6
; WaveLimiterHint : 0
; COMPUTE_PGM_RSRC2:SCRATCH_EN: 0
; COMPUTE_PGM_RSRC2:USER_SGPR: 6
; COMPUTE_PGM_RSRC2:TRAP_HANDLER: 0
; COMPUTE_PGM_RSRC2:TGID_X_EN: 1
; COMPUTE_PGM_RSRC2:TGID_Y_EN: 1
; COMPUTE_PGM_RSRC2:TGID_Z_EN: 0
; COMPUTE_PGM_RSRC2:TIDIG_COMP_CNT: 0
; COMPUTE_PGM_RSRC3_GFX90A:ACCUM_OFFSET: 18
; COMPUTE_PGM_RSRC3_GFX90A:TG_SPLIT: 0
	.section	.text._ZN5aiter35fused_qk_rmsnorm_group_quant_kernelIDF16_DB8_Li512ELi16ELi2ELb1ELb1ELb0ELb0ELb0ELb0EEEvPT0_PvPT_S6_S6_PKS5_S8_S8_S8_S8_ffiiiiiiiiiiiii,"axG",@progbits,_ZN5aiter35fused_qk_rmsnorm_group_quant_kernelIDF16_DB8_Li512ELi16ELi2ELb1ELb1ELb0ELb0ELb0ELb0EEEvPT0_PvPT_S6_S6_PKS5_S8_S8_S8_S8_ffiiiiiiiiiiiii,comdat
	.protected	_ZN5aiter35fused_qk_rmsnorm_group_quant_kernelIDF16_DB8_Li512ELi16ELi2ELb1ELb1ELb0ELb0ELb0ELb0EEEvPT0_PvPT_S6_S6_PKS5_S8_S8_S8_S8_ffiiiiiiiiiiiii ; -- Begin function _ZN5aiter35fused_qk_rmsnorm_group_quant_kernelIDF16_DB8_Li512ELi16ELi2ELb1ELb1ELb0ELb0ELb0ELb0EEEvPT0_PvPT_S6_S6_PKS5_S8_S8_S8_S8_ffiiiiiiiiiiiii
	.globl	_ZN5aiter35fused_qk_rmsnorm_group_quant_kernelIDF16_DB8_Li512ELi16ELi2ELb1ELb1ELb0ELb0ELb0ELb0EEEvPT0_PvPT_S6_S6_PKS5_S8_S8_S8_S8_ffiiiiiiiiiiiii
	.p2align	8
	.type	_ZN5aiter35fused_qk_rmsnorm_group_quant_kernelIDF16_DB8_Li512ELi16ELi2ELb1ELb1ELb0ELb0ELb0ELb0EEEvPT0_PvPT_S6_S6_PKS5_S8_S8_S8_S8_ffiiiiiiiiiiiii,@function
_ZN5aiter35fused_qk_rmsnorm_group_quant_kernelIDF16_DB8_Li512ELi16ELi2ELb1ELb1ELb0ELb0ELb0ELb0EEEvPT0_PvPT_S6_S6_PKS5_S8_S8_S8_S8_ffiiiiiiiiiiiii: ; @_ZN5aiter35fused_qk_rmsnorm_group_quant_kernelIDF16_DB8_Li512ELi16ELi2ELb1ELb1ELb0ELb0ELb0ELb0EEEvPT0_PvPT_S6_S6_PKS5_S8_S8_S8_S8_ffiiiiiiiiiiiii
; %bb.0:
	s_load_dwordx8 s[20:27], s[4:5], 0x50
	s_waitcnt lgkmcnt(0)
	s_cmp_ge_i32 s6, s22
	s_cbranch_scc1 .LBB1005_17
; %bb.1:
	s_cmp_lg_u32 s7, 0
	s_cselect_b64 s[10:11], -1, 0
	s_cmp_eq_u32 s7, 0
	s_cselect_b64 s[8:9], -1, 0
	s_and_b64 s[0:1], s[8:9], exec
	s_load_dwordx2 s[28:29], s[4:5], 0x48
	s_load_dwordx2 s[34:35], s[4:5], 0x30
	s_load_dwordx8 s[12:19], s[4:5], 0x70
	s_cselect_b32 s7, s23, s24
	s_add_i32 s0, s7, 1
	s_lshr_b32 s1, s0, 31
	s_add_i32 s0, s0, s1
	s_lshl_b32 s0, s0, 1
	v_lshlrev_b32_e32 v1, 4, v0
	s_and_b32 s38, s0, -4
	v_cmp_gt_i32_e64 s[0:1], s7, v1
	v_mov_b32_e32 v80, 0
	v_mov_b32_e32 v81, 0
	;; [unrolled: 1-line block ×16, first 2 shown]
	s_and_saveexec_b64 s[2:3], s[0:1]
	s_cbranch_execz .LBB1005_3
; %bb.2:
	s_waitcnt lgkmcnt(0)
	s_load_dwordx2 s[18:19], s[4:5], 0x28
	s_load_dwordx2 s[30:31], s[4:5], 0x40
	s_and_b64 s[36:37], s[8:9], exec
	s_cselect_b32 s22, s25, s26
	s_mov_b32 s39, 0x20000
	s_waitcnt lgkmcnt(0)
	s_cselect_b32 s25, s19, s35
	s_cselect_b32 s33, s18, s34
	s_mul_hi_i32 s19, s22, s6
	s_mul_i32 s18, s22, s6
	s_lshl_b64 s[18:19], s[18:19], 1
	s_add_u32 s40, s33, s18
	s_addc_u32 s22, s25, s19
	s_and_b64 s[18:19], s[8:9], exec
	s_cselect_b32 s36, s30, s28
	s_cselect_b32 s18, s31, s29
	s_and_b32 s41, s22, 0xffff
	s_mov_b32 s42, s38
	s_mov_b32 s43, s39
	v_lshlrev_b32_e32 v2, 5, v0
	s_and_b32 s37, s18, 0xffff
	buffer_load_dwordx4 v[84:87], v2, s[40:43], 0 offen
	buffer_load_dwordx4 v[88:91], v2, s[40:43], 16 offen
	;; [unrolled: 1-line block ×4, first 2 shown]
.LBB1005_3:
	s_or_b64 exec, exec, s[2:3]
	s_and_b64 vcc, exec, s[10:11]
	s_cbranch_vccz .LBB1005_7
; %bb.4:
	v_mov_b32_e32 v93, 0
	v_mov_b32_e32 v92, 0
	;; [unrolled: 1-line block ×16, first 2 shown]
	s_and_saveexec_b64 s[2:3], s[0:1]
	s_cbranch_execz .LBB1005_6
; %bb.5:
	s_waitcnt vmcnt(3)
	v_cvt_f32_f16_sdwa v59, v84 dst_sel:DWORD dst_unused:UNUSED_PAD src0_sel:WORD_1
	v_cvt_f32_f16_e32 v58, v84
	v_cvt_f32_f16_sdwa v29, v85 dst_sel:DWORD dst_unused:UNUSED_PAD src0_sel:WORD_1
	v_cvt_f32_f16_e32 v28, v85
	;; [unrolled: 2-line block ×4, first 2 shown]
	s_waitcnt vmcnt(2)
	v_cvt_f32_f16_sdwa v69, v88 dst_sel:DWORD dst_unused:UNUSED_PAD src0_sel:WORD_1
	v_cvt_f32_f16_e32 v68, v88
	v_cvt_f32_f16_sdwa v41, v89 dst_sel:DWORD dst_unused:UNUSED_PAD src0_sel:WORD_1
	v_cvt_f32_f16_e32 v40, v89
	;; [unrolled: 2-line block ×4, first 2 shown]
.LBB1005_6:
	s_or_b64 exec, exec, s[2:3]
	s_cbranch_execz .LBB1005_8
	s_branch .LBB1005_11
.LBB1005_7:
                                        ; implicit-def: $vgpr26_vgpr27_vgpr28_vgpr29_vgpr30_vgpr31_vgpr32_vgpr33_vgpr34_vgpr35_vgpr36_vgpr37_vgpr38_vgpr39_vgpr40_vgpr41
                                        ; implicit-def: $vgpr58_vgpr59_vgpr60_vgpr61_vgpr62_vgpr63_vgpr64_vgpr65_vgpr66_vgpr67_vgpr68_vgpr69_vgpr70_vgpr71_vgpr72_vgpr73
                                        ; implicit-def: $vgpr42_vgpr43_vgpr44_vgpr45_vgpr46_vgpr47_vgpr48_vgpr49_vgpr50_vgpr51_vgpr52_vgpr53_vgpr54_vgpr55_vgpr56_vgpr57
                                        ; implicit-def: $vgpr12_vgpr13_vgpr14_vgpr15_vgpr16_vgpr17_vgpr18_vgpr19_vgpr20_vgpr21_vgpr22_vgpr23_vgpr24_vgpr25_vgpr26_vgpr27
                                        ; implicit-def: $vgpr93
                                        ; implicit-def: $vgpr60_vgpr61_vgpr62_vgpr63_vgpr64_vgpr65_vgpr66_vgpr67_vgpr68_vgpr69_vgpr70_vgpr71_vgpr72_vgpr73_vgpr74_vgpr75
                                        ; implicit-def: $vgpr30_vgpr31_vgpr32_vgpr33_vgpr34_vgpr35_vgpr36_vgpr37_vgpr38_vgpr39_vgpr40_vgpr41_vgpr42_vgpr43_vgpr44_vgpr45
                                        ; implicit-def: $vgpr2_vgpr3_vgpr4_vgpr5_vgpr6_vgpr7_vgpr8_vgpr9_vgpr10_vgpr11_vgpr12_vgpr13_vgpr14_vgpr15_vgpr16_vgpr17
.LBB1005_8:
	v_mov_b32_e32 v93, 0
	v_mov_b32_e32 v92, 0
	;; [unrolled: 1-line block ×16, first 2 shown]
	s_and_saveexec_b64 s[2:3], s[0:1]
	s_cbranch_execz .LBB1005_10
; %bb.9:
	s_waitcnt lgkmcnt(0)
	s_load_dwordx2 s[18:19], s[4:5], 0x38
	s_mul_hi_i32 s31, s27, s6
	s_mul_i32 s30, s27, s6
	s_lshl_b64 s[30:31], s[30:31], 1
	s_mov_b32 s39, 0x20000
	s_waitcnt lgkmcnt(0)
	s_add_u32 s36, s18, s30
	s_addc_u32 s18, s19, s31
	s_and_b32 s37, s18, 0xffff
	v_lshlrev_b32_e32 v38, 5, v0
	buffer_load_dwordx4 v[6:9], v38, s[36:39], 16 offen
	buffer_load_dwordx4 v[10:13], v38, s[36:39], 0 offen
	s_waitcnt vmcnt(5)
	v_cvt_f32_f16_sdwa v19, v86 dst_sel:DWORD dst_unused:UNUSED_PAD src0_sel:WORD_1
	v_cvt_f32_f16_e32 v18, v86
	v_cvt_f32_f16_sdwa v25, v87 dst_sel:DWORD dst_unused:UNUSED_PAD src0_sel:WORD_1
	v_cvt_f32_f16_e32 v24, v87
	;; [unrolled: 2-line block ×4, first 2 shown]
	s_load_dwordx2 s[18:19], s[4:5], 0x20
	s_waitcnt vmcnt(4)
	v_cvt_f32_f16_sdwa v3, v88 dst_sel:DWORD dst_unused:UNUSED_PAD src0_sel:WORD_1
	v_cvt_f32_f16_e32 v2, v88
	v_cvt_f32_f16_sdwa v5, v89 dst_sel:DWORD dst_unused:UNUSED_PAD src0_sel:WORD_1
	v_cvt_f32_f16_e32 v4, v89
	;; [unrolled: 2-line block ×4, first 2 shown]
	s_mul_hi_i32 s31, s17, s6
	s_mul_i32 s30, s17, s6
	s_lshl_b64 s[30:31], s[30:31], 1
	s_waitcnt lgkmcnt(0)
	s_add_u32 s36, s18, s30
	s_addc_u32 s17, s19, s31
	s_and_b32 s37, s17, 0xffff
	s_waitcnt vmcnt(1)
	v_cvt_f32_f16_e32 v26, v6
	v_cvt_f32_f16_sdwa v27, v6 dst_sel:DWORD dst_unused:UNUSED_PAD src0_sel:WORD_1
	v_cvt_f32_f16_e32 v30, v7
	v_cvt_f32_f16_sdwa v31, v7 dst_sel:DWORD dst_unused:UNUSED_PAD src0_sel:WORD_1
	;; [unrolled: 2-line block ×4, first 2 shown]
	s_waitcnt vmcnt(0)
	v_cvt_f32_f16_e32 v6, v12
	v_cvt_f32_f16_sdwa v7, v12 dst_sel:DWORD dst_unused:UNUSED_PAD src0_sel:WORD_1
	v_cvt_f32_f16_e32 v8, v13
	v_cvt_f32_f16_sdwa v9, v13 dst_sel:DWORD dst_unused:UNUSED_PAD src0_sel:WORD_1
	;; [unrolled: 2-line block ×4, first 2 shown]
	v_pk_add_f32 v[46:47], v[18:19], v[6:7]
	v_pk_add_f32 v[18:19], v[24:25], v[8:9]
	v_cvt_f16_f32_e32 v6, v47
	v_cvt_f16_f32_e32 v7, v19
	;; [unrolled: 1-line block ×4, first 2 shown]
	v_pk_add_f32 v[28:29], v[22:23], v[10:11]
	v_pk_add_f32 v[58:59], v[20:21], v[36:37]
	v_pack_b32_f16 v9, v8, v7
	v_pack_b32_f16 v8, v12, v6
	v_cvt_f16_f32_e32 v6, v29
	v_cvt_f16_f32_e32 v7, v28
	;; [unrolled: 1-line block ×3, first 2 shown]
	v_pk_add_f32 v[92:93], v[16:17], v[34:35]
	v_pk_add_f32 v[14:15], v[14:15], v[32:33]
	v_pack_b32_f16 v7, v7, v6
	v_cvt_f16_f32_e32 v6, v59
	v_pk_add_f32 v[40:41], v[4:5], v[30:31]
	v_pk_add_f32 v[68:69], v[2:3], v[26:27]
	v_cvt_f16_f32_e32 v4, v40
	v_pack_b32_f16 v6, v10, v6
	buffer_store_dwordx4 v[6:9], v38, s[36:39], 0 offen
	v_cvt_f16_f32_e32 v5, v41
	v_cvt_f16_f32_e32 v6, v14
	;; [unrolled: 1-line block ×7, first 2 shown]
	v_pack_b32_f16 v7, v7, v8
	v_pack_b32_f16 v6, v6, v9
	;; [unrolled: 1-line block ×4, first 2 shown]
	;;#ASMSTART
	s_nop 0
	;;#ASMEND
	buffer_store_dwordx4 v[4:7], v38, s[36:39], 16 offen
	;;#ASMSTART
	s_nop 0
	;;#ASMEND
.LBB1005_10:
	s_or_b64 exec, exec, s[2:3]
.LBB1005_11:
	v_mul_f32_e32 v2, v59, v59
	v_fmac_f32_e32 v2, v58, v58
	v_fmac_f32_e32 v2, v28, v28
	;; [unrolled: 1-line block ×15, first 2 shown]
	s_nop 1
	v_mov_b32_dpp v3, v2 quad_perm:[1,0,3,2] row_mask:0xf bank_mask:0xf
	v_add_f32_e32 v2, v2, v3
	s_nop 1
	v_mov_b32_dpp v3, v2 quad_perm:[2,3,0,1] row_mask:0xf bank_mask:0xf
	v_add_f32_e32 v2, v2, v3
	s_nop 1
	v_mov_b32_dpp v3, v2 row_half_mirror row_mask:0xf bank_mask:0xf
	v_add_f32_e32 v2, v2, v3
	s_nop 1
	v_mov_b32_dpp v3, v2 row_mirror row_mask:0xf bank_mask:0xf
	v_add_f32_e32 v2, v2, v3
	s_nop 1
	v_mov_b32_dpp v3, v2 row_bcast:15 row_mask:0xf bank_mask:0xf
	v_add_f32_e32 v2, v2, v3
	v_and_b32_e32 v3, 63, v0
	v_cmp_eq_u32_e64 s[2:3], 63, v3
	s_nop 0
	v_mov_b32_dpp v3, v2 row_bcast:31 row_mask:0xf bank_mask:0xf
	s_waitcnt lgkmcnt(0)
	s_and_saveexec_b64 s[18:19], s[2:3]
	s_cbranch_execz .LBB1005_13
; %bb.12:
	v_add_f32_e32 v2, v2, v3
	v_lshrrev_b32_e32 v3, 4, v0
	v_and_b32_e32 v3, 60, v3
	ds_write_b32 v3, v2 offset:32
.LBB1005_13:
	s_or_b64 exec, exec, s[18:19]
	v_and_b32_e32 v2, 7, v0
	v_lshlrev_b32_e32 v34, 2, v2
	s_waitcnt lgkmcnt(0)
	s_barrier
	ds_read_b32 v2, v34 offset:32
	s_load_dwordx2 s[18:19], s[4:5], 0x18
	s_waitcnt lgkmcnt(0)
	v_mov_b32_dpp v3, v2 quad_perm:[1,0,3,2] row_mask:0xf bank_mask:0xf
	v_add_f32_e32 v2, v2, v3
	s_nop 1
	v_mov_b32_dpp v3, v2 quad_perm:[2,3,0,1] row_mask:0xf bank_mask:0xf
	v_add_f32_e32 v2, v2, v3
	s_nop 1
	v_mov_b32_dpp v3, v2 row_half_mirror row_mask:0xf bank_mask:0xf
	s_and_saveexec_b64 s[30:31], s[0:1]
	s_cbranch_execnz .LBB1005_18
; %bb.14:
	s_or_b64 exec, exec, s[30:31]
	s_mov_b64 s[8:9], -1
	s_and_b64 vcc, exec, s[10:11]
	s_cbranch_vccnz .LBB1005_19
.LBB1005_15:
	s_andn2_b64 vcc, exec, s[8:9]
	s_cbranch_vccz .LBB1005_22
.LBB1005_16:
	s_cmp_lt_i32 s24, 1
	s_cbranch_scc0 .LBB1005_31
.LBB1005_17:
	s_endpgm
.LBB1005_18:
	v_add_f32_e32 v2, v2, v3
	v_cvt_f32_u32_e32 v3, s7
	s_mov_b32 s7, 0x800000
	s_waitcnt vmcnt(1)
	v_cvt_f32_f16_sdwa v21, v81 dst_sel:DWORD dst_unused:UNUSED_PAD src0_sel:WORD_1
	v_cvt_f32_f16_e32 v20, v81
	v_div_scale_f32 v4, s[36:37], v3, v3, v2
	v_rcp_f32_e32 v5, v4
	s_waitcnt vmcnt(0)
	v_cvt_f32_f16_sdwa v23, v77 dst_sel:DWORD dst_unused:UNUSED_PAD src0_sel:WORD_1
	v_cvt_f32_f16_e32 v22, v77
	v_cvt_f32_f16_sdwa v25, v78 dst_sel:DWORD dst_unused:UNUSED_PAD src0_sel:WORD_1
	v_fma_f32 v6, -v4, v5, 1.0
	v_fmac_f32_e32 v5, v6, v5
	v_div_scale_f32 v6, vcc, v2, v3, v2
	v_mul_f32_e32 v7, v6, v5
	v_fma_f32 v8, -v4, v7, v6
	v_fmac_f32_e32 v7, v8, v5
	v_fma_f32 v4, -v4, v7, v6
	v_div_fmas_f32 v4, v4, v5, v7
	v_div_fixup_f32 v2, v4, v3, v2
	v_mov_b32_e32 v3, s21
	v_mov_b32_e32 v4, s20
	v_cndmask_b32_e64 v3, v3, v4, s[8:9]
	v_add_f32_e32 v2, v3, v2
	v_mul_f32_e32 v3, 0x4b800000, v2
	v_cmp_gt_f32_e32 vcc, s7, v2
	v_cndmask_b32_e32 v2, v2, v3, vcc
	v_rsq_f32_e32 v2, v2
	v_cvt_f32_f16_e32 v24, v78
	v_cvt_f32_f16_sdwa v27, v79 dst_sel:DWORD dst_unused:UNUSED_PAD src0_sel:WORD_1
	v_cvt_f32_f16_e32 v26, v79
	v_mul_f32_e32 v3, 0x45800000, v2
	v_cndmask_b32_e32 v2, v2, v3, vcc
	v_mov_b32_e32 v3, v2
	;;#ASMSTART
	v_pk_mul_f32 v[4:5], v[58:59], v[2:3]
	;;#ASMEND
	;;#ASMSTART
	v_pk_mul_f32 v[6:7], v[28:29], v[2:3]
	;;#ASMEND
	;; [unrolled: 3-line block ×6, first 2 shown]
	v_cvt_f32_f16_sdwa v19, v80 dst_sel:DWORD dst_unused:UNUSED_PAD src0_sel:WORD_1
	v_cvt_f32_f16_e32 v18, v80
	;;#ASMSTART
	v_pk_mul_f32 v[14:15], v[14:15], v[2:3]
	;;#ASMEND
	;;#ASMSTART
	v_pk_mul_f32 v[2:3], v[92:93], v[2:3]
	;;#ASMEND
	;; [unrolled: 3-line block ×4, first 2 shown]
	v_cvt_f32_f16_sdwa v5, v82 dst_sel:DWORD dst_unused:UNUSED_PAD src0_sel:WORD_1
	v_cvt_f32_f16_e32 v4, v82
	v_cvt_f32_f16_sdwa v7, v83 dst_sel:DWORD dst_unused:UNUSED_PAD src0_sel:WORD_1
	v_cvt_f32_f16_e32 v6, v83
	;; [unrolled: 2-line block ×3, first 2 shown]
	;;#ASMSTART
	v_pk_mul_f32 v[46:47], v[8:9], v[4:5]
	;;#ASMEND
	;;#ASMSTART
	v_pk_mul_f32 v[18:19], v[10:11], v[6:7]
	;;#ASMEND
	;; [unrolled: 3-line block ×6, first 2 shown]
	s_or_b64 exec, exec, s[30:31]
	s_mov_b64 s[8:9], -1
	s_and_b64 vcc, exec, s[10:11]
	s_cbranch_vccz .LBB1005_15
.LBB1005_19:
	s_and_saveexec_b64 s[8:9], s[0:1]
	s_cbranch_execz .LBB1005_21
; %bb.20:
	v_cvt_f16_f32_e32 v2, v46
	v_cvt_f16_f32_e32 v3, v18
	;; [unrolled: 1-line block ×4, first 2 shown]
	s_mul_hi_i32 s11, s16, s6
	s_mul_i32 s10, s16, s6
	v_pack_b32_f16 v5, v3, v4
	v_pack_b32_f16 v4, v2, v6
	v_cvt_f16_f32_e32 v2, v28
	v_cvt_f16_f32_e32 v3, v29
	;; [unrolled: 1-line block ×3, first 2 shown]
	s_lshl_b64 s[10:11], s[10:11], 1
	s_add_u32 s36, s18, s10
	v_pack_b32_f16 v3, v2, v3
	v_cvt_f16_f32_e32 v2, v58
	s_addc_u32 s7, s19, s11
	s_and_b32 s37, s7, 0xffff
	s_mov_b32 s39, 0x20000
	v_pack_b32_f16 v2, v2, v6
	v_lshlrev_b32_e32 v6, 5, v0
	buffer_store_dwordx4 v[2:5], v6, s[36:39], 0 offen
	v_cvt_f16_f32_e32 v7, v15
	v_cvt_f16_f32_e32 v2, v14
	;; [unrolled: 1-line block ×4, first 2 shown]
	;;#ASMSTART
	s_nop 0
	;;#ASMEND
	v_pack_b32_f16 v5, v3, v4
	v_pack_b32_f16 v4, v2, v7
	v_cvt_f16_f32_e32 v2, v40
	v_cvt_f16_f32_e32 v3, v41
	;; [unrolled: 1-line block ×3, first 2 shown]
	v_pack_b32_f16 v3, v2, v3
	v_cvt_f16_f32_e32 v2, v68
	v_pack_b32_f16 v2, v2, v7
	buffer_store_dwordx4 v[2:5], v6, s[36:39], 16 offen
	;;#ASMSTART
	s_nop 0
	;;#ASMEND
.LBB1005_21:
	s_or_b64 exec, exec, s[8:9]
	s_cbranch_execnz .LBB1005_16
.LBB1005_22:
	v_mov_b32_e32 v2, 0
	s_and_saveexec_b64 s[8:9], s[0:1]
	s_cbranch_execz .LBB1005_24
; %bb.23:
	v_cvt_f16_f32_e32 v2, v46
	v_cvt_f16_f32_e32 v3, v18
	v_cvt_f16_f32_e32 v4, v19
	v_cvt_f16_f32_e32 v6, v47
	s_load_dwordx2 s[10:11], s[4:5], 0x10
	s_mul_hi_i32 s31, s15, s6
	v_pack_b32_f16 v5, v3, v4
	v_pack_b32_f16 v4, v2, v6
	v_cvt_f16_f32_e32 v2, v28
	v_cvt_f16_f32_e32 v3, v29
	;; [unrolled: 1-line block ×3, first 2 shown]
	s_mul_i32 s30, s15, s6
	s_lshl_b64 s[30:31], s[30:31], 1
	v_pack_b32_f16 v3, v2, v3
	v_cvt_f16_f32_e32 v2, v58
	s_waitcnt lgkmcnt(0)
	s_add_u32 s36, s10, s30
	s_addc_u32 s7, s11, s31
	s_and_b32 s37, s7, 0xffff
	v_pack_b32_f16 v2, v2, v6
	s_mov_b32 s39, 0x20000
	v_lshlrev_b32_e32 v6, 5, v0
	buffer_store_dwordx4 v[2:5], v6, s[36:39], 0 offen
	v_cvt_f16_f32_e32 v7, v15
	v_cvt_f16_f32_e32 v2, v14
	;; [unrolled: 1-line block ×4, first 2 shown]
	;;#ASMSTART
	s_nop 0
	;;#ASMEND
	v_pack_b32_f16 v5, v3, v4
	v_pack_b32_f16 v4, v2, v7
	v_cvt_f16_f32_e32 v2, v40
	v_cvt_f16_f32_e32 v3, v41
	;; [unrolled: 1-line block ×3, first 2 shown]
	v_pack_b32_f16 v3, v2, v3
	v_cvt_f16_f32_e32 v2, v68
	v_pack_b32_f16 v2, v2, v7
	buffer_store_dwordx4 v[2:5], v6, s[36:39], 16 offen
	;;#ASMSTART
	s_nop 0
	;;#ASMEND
	s_nop 0
	v_mov_b32_e32 v2, 0x2edbe6ff
.LBB1005_24:
	s_or_b64 exec, exec, s[8:9]
	s_and_saveexec_b64 s[8:9], s[0:1]
	s_cbranch_execz .LBB1005_26
; %bb.25:
	v_and_b32_e32 v3, 0x7fffffff, v58
	v_and_b32_e32 v4, 0x7fffffff, v59
	;;#ASMSTART
	v_max3_f32 v2, v2, v3, v4

	;;#ASMEND
	v_and_b32_e32 v3, 0x7fffffff, v28
	v_and_b32_e32 v4, 0x7fffffff, v29
	;;#ASMSTART
	v_max3_f32 v2, v2, v3, v4

	;;#ASMEND
	;; [unrolled: 6-line block ×8, first 2 shown]
.LBB1005_26:
	s_or_b64 exec, exec, s[8:9]
	;;#ASMSTART
	v_max_f32 v3, v2, v2 quad_perm:[1,0,3,2] row_mask:0xf bank_mask:0xf bound_ctrl:1
	;;#ASMEND
	v_mul_f32_e32 v2, 0x3b124925, v3
	v_and_b32_e32 v3, 1, v0
	v_cmp_eq_u32_e32 vcc, 0, v3
	v_cmp_gt_i32_e64 s[8:9], s23, v1
	s_and_b64 s[10:11], vcc, s[8:9]
	s_and_saveexec_b64 s[8:9], s[10:11]
	s_cbranch_execz .LBB1005_28
; %bb.27:
	s_load_dwordx2 s[10:11], s[4:5], 0x8
	v_lshrrev_b32_e32 v3, 1, v0
	s_mul_hi_i32 s31, s13, s6
	s_mul_i32 s30, s13, s6
	v_mad_i64_i32 v[4:5], s[14:15], s14, v3, 0
	s_lshl_b64 s[14:15], s[30:31], 2
	s_waitcnt lgkmcnt(0)
	s_add_u32 s7, s10, s14
	s_addc_u32 s10, s11, s15
	v_lshlrev_b64 v[4:5], 2, v[4:5]
	v_mov_b32_e32 v3, s10
	v_add_co_u32_e32 v4, vcc, s7, v4
	v_addc_co_u32_e32 v5, vcc, v3, v5, vcc
	global_store_dword v[4:5], v2, off
.LBB1005_28:
	s_or_b64 exec, exec, s[8:9]
	;;#ASMSTART
	v_rcp_f32 v2, v2
	;;#ASMEND
	s_and_saveexec_b64 s[14:15], s[0:1]
	s_cbranch_execz .LBB1005_30
; %bb.29:
	v_mov_b32_e32 v3, v2
	;;#ASMSTART
	v_pk_mul_f32 v[4:5], v[58:59], v[2:3]
	;;#ASMEND
	v_mov_b32_e32 v10, 0xc3e00000
	v_mov_b32_e32 v11, 0x43e00000
	;;#ASMSTART
	v_med3_f32 v4, v4, v10, v11
v_med3_f32 v5, v5, v10, v11
v_cvt_pk_fp8_f32 v6, v4, v5
	;;#ASMEND
	;;#ASMSTART
	v_pk_mul_f32 v[4:5], v[28:29], v[2:3]
	;;#ASMEND
	;;#ASMSTART
	v_med3_f32 v4, v4, v10, v11
v_med3_f32 v5, v5, v10, v11
v_cvt_pk_fp8_f32 v7, v4, v5
	;;#ASMEND
	;;#ASMSTART
	v_pk_mul_f32 v[4:5], v[46:47], v[2:3]
	;;#ASMEND
	;; [unrolled: 8-line block ×3, first 2 shown]
	;;#ASMSTART
	v_med3_f32 v4, v4, v10, v11
v_med3_f32 v5, v5, v10, v11
v_cvt_pk_fp8_f32 v9, v4, v5
	;;#ASMEND
	s_mov_b32 s0, 0x5040100
	v_perm_b32 v4, v7, v6, s0
	s_mov_b32 s0, 0x1060504
	v_perm_b32 v4, v4, v7, s0
	s_load_dwordx2 s[0:1], s[4:5], 0x0
	s_mov_b32 s7, 0x1000504
	;;#ASMSTART
	v_pk_mul_f32 v[6:7], v[68:69], v[2:3]
	;;#ASMEND
	v_perm_b32 v5, v8, v9, s7
	s_mul_i32 s8, s12, s6
	;;#ASMSTART
	v_med3_f32 v6, v6, v10, v11
v_med3_f32 v7, v7, v10, v11
v_cvt_pk_fp8_f32 v8, v6, v7
	;;#ASMEND
	s_mul_hi_i32 s9, s12, s6
	s_waitcnt lgkmcnt(0)
	s_add_u32 s8, s0, s8
	;;#ASMSTART
	v_pk_mul_f32 v[6:7], v[40:41], v[2:3]
	;;#ASMEND
	s_addc_u32 s0, s1, s9
	s_add_i32 s1, s23, 3
	;;#ASMSTART
	v_med3_f32 v6, v6, v10, v11
v_med3_f32 v7, v7, v10, v11
v_cvt_pk_fp8_f32 v9, v6, v7
	;;#ASMEND
	s_ashr_i32 s9, s1, 31
	v_perm_b32 v6, v8, v9, s7
	;;#ASMSTART
	v_pk_mul_f32 v[8:9], v[14:15], v[2:3]
	;;#ASMEND
	v_mov_b32_e32 v7, v9
	s_lshr_b32 s9, s9, 30
	;;#ASMSTART
	v_med3_f32 v8, v8, v10, v11
v_med3_f32 v7, v7, v10, v11
v_cvt_pk_fp8_f32 v9, v8, v7
	;;#ASMEND
	;;#ASMSTART
	v_pk_mul_f32 v[2:3], v[92:93], v[2:3]
	;;#ASMEND
	s_add_i32 s1, s1, s9
	;;#ASMSTART
	v_med3_f32 v2, v2, v10, v11
v_med3_f32 v3, v3, v10, v11
v_cvt_pk_fp8_f32 v7, v2, v3
	;;#ASMEND
	s_and_b32 s10, s1, -4
	s_and_b32 s9, s0, 0xffff
	s_mov_b32 s11, 0x20000
	v_perm_b32 v7, v9, v7, s7
	buffer_store_dwordx4 v[4:7], v1, s[8:11], 0 offen
	;;#ASMSTART
	s_nop 0
	;;#ASMEND
.LBB1005_30:
	s_or_b64 exec, exec, s[14:15]
	s_cmp_lt_i32 s24, 1
	s_cbranch_scc1 .LBB1005_17
.LBB1005_31:
	s_load_dword s0, s[4:5], 0x94
	s_waitcnt lgkmcnt(0)
	s_cmp_lg_u32 s0, 1
	s_cbranch_scc1 .LBB1005_17
; %bb.32:
	s_lshl_b32 s0, s24, 1
	s_add_i32 s0, s0, 2
	v_cmp_gt_u32_e32 vcc, s24, v1
	s_and_b32 s30, s0, -4
	v_mov_b32_e32 v18, 0
	v_lshlrev_b32_e32 v1, 5, v0
	v_mov_b32_e32 v14, 0
	v_mov_b32_e32 v15, 0
	;; [unrolled: 1-line block ×16, first 2 shown]
	s_barrier
	s_and_saveexec_b64 s[0:1], vcc
	s_cbranch_execz .LBB1005_34
; %bb.33:
	s_mul_hi_i32 s5, s26, s6
	s_mul_i32 s4, s26, s6
	s_and_b32 s29, s29, 0xffff
	s_lshl_b64 s[4:5], s[4:5], 1
	s_add_u32 s8, s34, s4
	s_mov_b32 s31, 0x20000
	s_addc_u32 s4, s35, s5
	s_and_b32 s9, s4, 0xffff
	s_mov_b32 s10, s30
	s_mov_b32 s11, s31
	buffer_load_dwordx4 v[14:17], v1, s[8:11], 0 offen
	buffer_load_dwordx4 v[10:13], v1, s[8:11], 16 offen
	;; [unrolled: 1-line block ×4, first 2 shown]
.LBB1005_34:
	s_or_b64 exec, exec, s[0:1]
	v_mov_b32_e32 v19, 0
	v_mov_b32_e32 v32, 0
	;; [unrolled: 1-line block ×15, first 2 shown]
	s_and_saveexec_b64 s[0:1], vcc
	s_cbranch_execz .LBB1005_36
; %bb.35:
	s_waitcnt vmcnt(3)
	v_cvt_f32_f16_sdwa v19, v14 dst_sel:DWORD dst_unused:UNUSED_PAD src0_sel:WORD_1
	v_cvt_f32_f16_e32 v18, v14
	v_cvt_f32_f16_sdwa v33, v15 dst_sel:DWORD dst_unused:UNUSED_PAD src0_sel:WORD_1
	v_cvt_f32_f16_e32 v32, v15
	;; [unrolled: 2-line block ×4, first 2 shown]
	s_waitcnt vmcnt(2)
	v_cvt_f32_f16_sdwa v27, v10 dst_sel:DWORD dst_unused:UNUSED_PAD src0_sel:WORD_1
	v_cvt_f32_f16_e32 v26, v10
	v_cvt_f32_f16_sdwa v25, v11 dst_sel:DWORD dst_unused:UNUSED_PAD src0_sel:WORD_1
	v_cvt_f32_f16_e32 v24, v11
	;; [unrolled: 2-line block ×4, first 2 shown]
.LBB1005_36:
	s_or_b64 exec, exec, s[0:1]
	s_waitcnt vmcnt(2)
	v_mul_f32_e32 v10, v19, v19
	v_fmac_f32_e32 v10, v18, v18
	v_fmac_f32_e32 v10, v32, v32
	;; [unrolled: 1-line block ×15, first 2 shown]
	s_nop 1
	v_mov_b32_dpp v11, v10 quad_perm:[1,0,3,2] row_mask:0xf bank_mask:0xf
	v_add_f32_e32 v10, v10, v11
	s_nop 1
	v_mov_b32_dpp v11, v10 quad_perm:[2,3,0,1] row_mask:0xf bank_mask:0xf
	v_add_f32_e32 v10, v10, v11
	s_nop 1
	v_mov_b32_dpp v11, v10 row_half_mirror row_mask:0xf bank_mask:0xf
	v_add_f32_e32 v10, v10, v11
	s_nop 1
	v_mov_b32_dpp v11, v10 row_mirror row_mask:0xf bank_mask:0xf
	v_add_f32_e32 v10, v10, v11
	s_nop 1
	v_mov_b32_dpp v11, v10 row_bcast:15 row_mask:0xf bank_mask:0xf
	v_add_f32_e32 v10, v10, v11
	s_nop 1
	v_mov_b32_dpp v11, v10 row_bcast:31 row_mask:0xf bank_mask:0xf
	s_and_saveexec_b64 s[0:1], s[2:3]
	s_cbranch_execz .LBB1005_38
; %bb.37:
	v_lshrrev_b32_e32 v0, 4, v0
	v_add_f32_e32 v10, v10, v11
	v_and_b32_e32 v0, 60, v0
	ds_write_b32 v0, v10
.LBB1005_38:
	s_or_b64 exec, exec, s[0:1]
	s_waitcnt lgkmcnt(0)
	s_barrier
	ds_read_b32 v0, v34
	s_waitcnt lgkmcnt(0)
	s_nop 0
	v_mov_b32_dpp v10, v0 quad_perm:[1,0,3,2] row_mask:0xf bank_mask:0xf
	v_add_f32_e32 v0, v0, v10
	s_nop 1
	v_mov_b32_dpp v10, v0 quad_perm:[2,3,0,1] row_mask:0xf bank_mask:0xf
	v_add_f32_e32 v0, v0, v10
	s_nop 1
	v_mov_b32_dpp v10, v0 row_half_mirror row_mask:0xf bank_mask:0xf
	s_and_saveexec_b64 s[0:1], vcc
	s_cbranch_execz .LBB1005_17
; %bb.39:
	v_cvt_f32_u32_e32 v11, s24
	v_add_f32_e32 v0, v0, v10
	s_mov_b32 s31, 0x20000
	v_div_scale_f32 v10, s[0:1], v11, v11, v0
	v_rcp_f32_e32 v12, v10
	v_div_scale_f32 v13, vcc, v0, v11, v0
	s_mov_b32 s0, 0x800000
	v_fma_f32 v14, -v10, v12, 1.0
	v_fmac_f32_e32 v12, v14, v12
	v_mul_f32_e32 v14, v13, v12
	v_fma_f32 v15, -v10, v14, v13
	v_fmac_f32_e32 v14, v15, v12
	v_fma_f32 v10, -v10, v14, v13
	v_div_fmas_f32 v10, v10, v12, v14
	v_div_fixup_f32 v0, v10, v11, v0
	v_add_f32_e32 v0, s21, v0
	v_mul_f32_e32 v10, 0x4b800000, v0
	v_cmp_gt_f32_e32 vcc, s0, v0
	v_cndmask_b32_e32 v0, v0, v10, vcc
	v_rsq_f32_e32 v0, v0
	s_mul_hi_i32 s1, s16, s6
	s_mul_i32 s0, s16, s6
	s_lshl_b64 s[0:1], s[0:1], 1
	v_mul_f32_e32 v10, 0x45800000, v0
	v_cndmask_b32_e32 v10, v0, v10, vcc
	v_mov_b32_e32 v11, v10
	;;#ASMSTART
	v_pk_mul_f32 v[12:13], v[18:19], v[10:11]
	;;#ASMEND
	;;#ASMSTART
	v_pk_mul_f32 v[14:15], v[32:33], v[10:11]
	;;#ASMEND
	;; [unrolled: 3-line block ×8, first 2 shown]
	s_waitcnt vmcnt(1)
	v_cvt_f32_f16_sdwa v21, v6 dst_sel:DWORD dst_unused:UNUSED_PAD src0_sel:WORD_1
	v_cvt_f32_f16_e32 v20, v6
	v_cvt_f32_f16_sdwa v29, v7 dst_sel:DWORD dst_unused:UNUSED_PAD src0_sel:WORD_1
	v_cvt_f32_f16_e32 v28, v7
	;; [unrolled: 2-line block ×4, first 2 shown]
	;;#ASMSTART
	v_pk_mul_f32 v[8:9], v[12:13], v[20:21]
	;;#ASMEND
	;;#ASMSTART
	v_pk_mul_f32 v[12:13], v[14:15], v[28:29]
	;;#ASMEND
	;; [unrolled: 3-line block ×4, first 2 shown]
	s_waitcnt vmcnt(0)
	v_cvt_f32_f16_sdwa v17, v2 dst_sel:DWORD dst_unused:UNUSED_PAD src0_sel:WORD_1
	v_cvt_f32_f16_e32 v16, v2
	v_cvt_f32_f16_sdwa v19, v3 dst_sel:DWORD dst_unused:UNUSED_PAD src0_sel:WORD_1
	v_cvt_f32_f16_e32 v18, v3
	;; [unrolled: 2-line block ×4, first 2 shown]
	;;#ASMSTART
	v_pk_mul_f32 v[16:17], v[26:27], v[16:17]
	;;#ASMEND
	;;#ASMSTART
	v_pk_mul_f32 v[18:19], v[24:25], v[18:19]
	;;#ASMEND
	;; [unrolled: 3-line block ×3, first 2 shown]
	v_cvt_f16_f32_e32 v0, v8
	v_cvt_f16_f32_e32 v2, v9
	;; [unrolled: 1-line block ×8, first 2 shown]
	s_add_u32 s28, s18, s0
	s_addc_u32 s0, s19, s1
	s_and_b32 s29, s0, 0xffff
	v_pack_b32_f16 v2, v0, v2
	v_pack_b32_f16 v3, v3, v4
	;; [unrolled: 1-line block ×4, first 2 shown]
	;;#ASMSTART
	v_pk_mul_f32 v[10:11], v[10:11], v[20:21]
	;;#ASMEND
	buffer_store_dwordx4 v[2:5], v1, s[28:31], 0 offen
	v_cvt_f16_f32_e32 v0, v16
	v_cvt_f16_f32_e32 v2, v17
	;; [unrolled: 1-line block ×8, first 2 shown]
	v_pack_b32_f16 v2, v0, v2
	v_pack_b32_f16 v3, v3, v4
	;; [unrolled: 1-line block ×4, first 2 shown]
	;;#ASMSTART
	s_nop 0
	;;#ASMEND
	buffer_store_dwordx4 v[2:5], v1, s[28:31], 16 offen
	;;#ASMSTART
	s_nop 0
	;;#ASMEND
	s_endpgm
	.section	.rodata,"a",@progbits
	.p2align	6, 0x0
	.amdhsa_kernel _ZN5aiter35fused_qk_rmsnorm_group_quant_kernelIDF16_DB8_Li512ELi16ELi2ELb1ELb1ELb0ELb0ELb0ELb0EEEvPT0_PvPT_S6_S6_PKS5_S8_S8_S8_S8_ffiiiiiiiiiiiii
		.amdhsa_group_segment_fixed_size 64
		.amdhsa_private_segment_fixed_size 0
		.amdhsa_kernarg_size 400
		.amdhsa_user_sgpr_count 6
		.amdhsa_user_sgpr_private_segment_buffer 1
		.amdhsa_user_sgpr_dispatch_ptr 0
		.amdhsa_user_sgpr_queue_ptr 0
		.amdhsa_user_sgpr_kernarg_segment_ptr 1
		.amdhsa_user_sgpr_dispatch_id 0
		.amdhsa_user_sgpr_flat_scratch_init 0
		.amdhsa_user_sgpr_kernarg_preload_length 0
		.amdhsa_user_sgpr_kernarg_preload_offset 0
		.amdhsa_user_sgpr_private_segment_size 0
		.amdhsa_uses_dynamic_stack 0
		.amdhsa_system_sgpr_private_segment_wavefront_offset 0
		.amdhsa_system_sgpr_workgroup_id_x 1
		.amdhsa_system_sgpr_workgroup_id_y 1
		.amdhsa_system_sgpr_workgroup_id_z 0
		.amdhsa_system_sgpr_workgroup_info 0
		.amdhsa_system_vgpr_workitem_id 0
		.amdhsa_next_free_vgpr 94
		.amdhsa_next_free_sgpr 44
		.amdhsa_accum_offset 96
		.amdhsa_reserve_vcc 1
		.amdhsa_reserve_flat_scratch 0
		.amdhsa_float_round_mode_32 0
		.amdhsa_float_round_mode_16_64 0
		.amdhsa_float_denorm_mode_32 3
		.amdhsa_float_denorm_mode_16_64 3
		.amdhsa_dx10_clamp 1
		.amdhsa_ieee_mode 1
		.amdhsa_fp16_overflow 0
		.amdhsa_tg_split 0
		.amdhsa_exception_fp_ieee_invalid_op 0
		.amdhsa_exception_fp_denorm_src 0
		.amdhsa_exception_fp_ieee_div_zero 0
		.amdhsa_exception_fp_ieee_overflow 0
		.amdhsa_exception_fp_ieee_underflow 0
		.amdhsa_exception_fp_ieee_inexact 0
		.amdhsa_exception_int_div_zero 0
	.end_amdhsa_kernel
	.section	.text._ZN5aiter35fused_qk_rmsnorm_group_quant_kernelIDF16_DB8_Li512ELi16ELi2ELb1ELb1ELb0ELb0ELb0ELb0EEEvPT0_PvPT_S6_S6_PKS5_S8_S8_S8_S8_ffiiiiiiiiiiiii,"axG",@progbits,_ZN5aiter35fused_qk_rmsnorm_group_quant_kernelIDF16_DB8_Li512ELi16ELi2ELb1ELb1ELb0ELb0ELb0ELb0EEEvPT0_PvPT_S6_S6_PKS5_S8_S8_S8_S8_ffiiiiiiiiiiiii,comdat
.Lfunc_end1005:
	.size	_ZN5aiter35fused_qk_rmsnorm_group_quant_kernelIDF16_DB8_Li512ELi16ELi2ELb1ELb1ELb0ELb0ELb0ELb0EEEvPT0_PvPT_S6_S6_PKS5_S8_S8_S8_S8_ffiiiiiiiiiiiii, .Lfunc_end1005-_ZN5aiter35fused_qk_rmsnorm_group_quant_kernelIDF16_DB8_Li512ELi16ELi2ELb1ELb1ELb0ELb0ELb0ELb0EEEvPT0_PvPT_S6_S6_PKS5_S8_S8_S8_S8_ffiiiiiiiiiiiii
                                        ; -- End function
	.section	.AMDGPU.csdata,"",@progbits
; Kernel info:
; codeLenInByte = 4288
; NumSgprs: 48
; NumVgprs: 94
; NumAgprs: 0
; TotalNumVgprs: 94
; ScratchSize: 0
; MemoryBound: 0
; FloatMode: 240
; IeeeMode: 1
; LDSByteSize: 64 bytes/workgroup (compile time only)
; SGPRBlocks: 5
; VGPRBlocks: 11
; NumSGPRsForWavesPerEU: 48
; NumVGPRsForWavesPerEU: 94
; AccumOffset: 96
; Occupancy: 5
; WaveLimiterHint : 0
; COMPUTE_PGM_RSRC2:SCRATCH_EN: 0
; COMPUTE_PGM_RSRC2:USER_SGPR: 6
; COMPUTE_PGM_RSRC2:TRAP_HANDLER: 0
; COMPUTE_PGM_RSRC2:TGID_X_EN: 1
; COMPUTE_PGM_RSRC2:TGID_Y_EN: 1
; COMPUTE_PGM_RSRC2:TGID_Z_EN: 0
; COMPUTE_PGM_RSRC2:TIDIG_COMP_CNT: 0
; COMPUTE_PGM_RSRC3_GFX90A:ACCUM_OFFSET: 23
; COMPUTE_PGM_RSRC3_GFX90A:TG_SPLIT: 0
	.section	.text._ZN5aiter35fused_qk_rmsnorm_group_quant_kernelItDB8_Li512ELi16ELi2ELb1ELb1ELb0ELb0ELb0ELb0EEEvPT0_PvPT_S6_S6_PKS5_S8_S8_S8_S8_ffiiiiiiiiiiiii,"axG",@progbits,_ZN5aiter35fused_qk_rmsnorm_group_quant_kernelItDB8_Li512ELi16ELi2ELb1ELb1ELb0ELb0ELb0ELb0EEEvPT0_PvPT_S6_S6_PKS5_S8_S8_S8_S8_ffiiiiiiiiiiiii,comdat
	.protected	_ZN5aiter35fused_qk_rmsnorm_group_quant_kernelItDB8_Li512ELi16ELi2ELb1ELb1ELb0ELb0ELb0ELb0EEEvPT0_PvPT_S6_S6_PKS5_S8_S8_S8_S8_ffiiiiiiiiiiiii ; -- Begin function _ZN5aiter35fused_qk_rmsnorm_group_quant_kernelItDB8_Li512ELi16ELi2ELb1ELb1ELb0ELb0ELb0ELb0EEEvPT0_PvPT_S6_S6_PKS5_S8_S8_S8_S8_ffiiiiiiiiiiiii
	.globl	_ZN5aiter35fused_qk_rmsnorm_group_quant_kernelItDB8_Li512ELi16ELi2ELb1ELb1ELb0ELb0ELb0ELb0EEEvPT0_PvPT_S6_S6_PKS5_S8_S8_S8_S8_ffiiiiiiiiiiiii
	.p2align	8
	.type	_ZN5aiter35fused_qk_rmsnorm_group_quant_kernelItDB8_Li512ELi16ELi2ELb1ELb1ELb0ELb0ELb0ELb0EEEvPT0_PvPT_S6_S6_PKS5_S8_S8_S8_S8_ffiiiiiiiiiiiii,@function
_ZN5aiter35fused_qk_rmsnorm_group_quant_kernelItDB8_Li512ELi16ELi2ELb1ELb1ELb0ELb0ELb0ELb0EEEvPT0_PvPT_S6_S6_PKS5_S8_S8_S8_S8_ffiiiiiiiiiiiii: ; @_ZN5aiter35fused_qk_rmsnorm_group_quant_kernelItDB8_Li512ELi16ELi2ELb1ELb1ELb0ELb0ELb0ELb0EEEvPT0_PvPT_S6_S6_PKS5_S8_S8_S8_S8_ffiiiiiiiiiiiii
; %bb.0:
	s_load_dwordx8 s[20:27], s[4:5], 0x50
	s_waitcnt lgkmcnt(0)
	s_cmp_ge_i32 s6, s22
	s_cbranch_scc1 .LBB1006_17
; %bb.1:
	s_cmp_lg_u32 s7, 0
	s_cselect_b64 s[10:11], -1, 0
	s_cmp_eq_u32 s7, 0
	s_cselect_b64 s[8:9], -1, 0
	s_and_b64 s[0:1], s[8:9], exec
	s_load_dwordx2 s[28:29], s[4:5], 0x48
	s_load_dwordx2 s[34:35], s[4:5], 0x30
	s_load_dwordx8 s[12:19], s[4:5], 0x70
	s_cselect_b32 s7, s23, s24
	s_add_i32 s0, s7, 1
	s_lshr_b32 s1, s0, 31
	s_add_i32 s0, s0, s1
	s_lshl_b32 s0, s0, 1
	v_lshlrev_b32_e32 v1, 4, v0
	s_and_b32 s38, s0, -4
	v_cmp_gt_i32_e64 s[0:1], s7, v1
	v_mov_b32_e32 v82, 0
	v_mov_b32_e32 v83, 0
	v_mov_b32_e32 v84, 0
	v_mov_b32_e32 v85, 0
	v_mov_b32_e32 v78, 0
	v_mov_b32_e32 v79, 0
	v_mov_b32_e32 v80, 0
	v_mov_b32_e32 v81, 0
	v_mov_b32_e32 v86, 0
	v_mov_b32_e32 v87, 0
	v_mov_b32_e32 v88, 0
	v_mov_b32_e32 v89, 0
	v_mov_b32_e32 v90, 0
	v_mov_b32_e32 v91, 0
	v_mov_b32_e32 v92, 0
	v_mov_b32_e32 v93, 0
	s_and_saveexec_b64 s[2:3], s[0:1]
	s_cbranch_execz .LBB1006_3
; %bb.2:
	s_waitcnt lgkmcnt(0)
	s_load_dwordx2 s[18:19], s[4:5], 0x28
	s_load_dwordx2 s[30:31], s[4:5], 0x40
	s_and_b64 s[36:37], s[8:9], exec
	s_cselect_b32 s22, s25, s26
	s_mov_b32 s39, 0x20000
	s_waitcnt lgkmcnt(0)
	s_cselect_b32 s25, s19, s35
	s_cselect_b32 s33, s18, s34
	s_mul_hi_i32 s19, s22, s6
	s_mul_i32 s18, s22, s6
	s_lshl_b64 s[18:19], s[18:19], 1
	s_add_u32 s40, s33, s18
	s_addc_u32 s22, s25, s19
	s_and_b64 s[18:19], s[8:9], exec
	s_cselect_b32 s36, s30, s28
	s_cselect_b32 s18, s31, s29
	s_and_b32 s41, s22, 0xffff
	s_mov_b32 s42, s38
	s_mov_b32 s43, s39
	v_lshlrev_b32_e32 v2, 5, v0
	s_and_b32 s37, s18, 0xffff
	buffer_load_dwordx4 v[86:89], v2, s[40:43], 0 offen
	buffer_load_dwordx4 v[90:93], v2, s[40:43], 16 offen
	;; [unrolled: 1-line block ×4, first 2 shown]
.LBB1006_3:
	s_or_b64 exec, exec, s[2:3]
	s_and_b64 vcc, exec, s[10:11]
	s_cbranch_vccz .LBB1006_7
; %bb.4:
	v_mov_b32_e32 v95, 0
	v_mov_b32_e32 v94, 0
	v_mov_b32_e32 v15, 0
	v_mov_b32_e32 v14, 0
	v_mov_b32_e32 v19, 0
	v_mov_b32_e32 v18, 0
	v_mov_b32_e32 v43, 0
	v_mov_b32_e32 v42, 0
	v_mov_b32_e32 v33, 0
	v_mov_b32_e32 v32, 0
	v_mov_b32_e32 v51, 0
	v_mov_b32_e32 v50, 0
	v_mov_b32_e32 v25, 0
	v_mov_b32_e32 v24, 0
	v_mov_b32_e32 v63, 0
	v_mov_b32_e32 v62, 0
	s_and_saveexec_b64 s[2:3], s[0:1]
	s_cbranch_execz .LBB1006_6
; %bb.5:
	s_waitcnt vmcnt(3)
	v_cvt_f32_u32_sdwa v62, v86 dst_sel:DWORD dst_unused:UNUSED_PAD src0_sel:WORD_0
	v_cvt_f32_u32_sdwa v63, v86 dst_sel:DWORD dst_unused:UNUSED_PAD src0_sel:WORD_1
	v_cvt_f32_u32_sdwa v24, v87 dst_sel:DWORD dst_unused:UNUSED_PAD src0_sel:WORD_0
	v_cvt_f32_u32_sdwa v25, v87 dst_sel:DWORD dst_unused:UNUSED_PAD src0_sel:WORD_1
	;; [unrolled: 2-line block ×4, first 2 shown]
	s_waitcnt vmcnt(2)
	v_cvt_f32_u32_sdwa v42, v90 dst_sel:DWORD dst_unused:UNUSED_PAD src0_sel:WORD_0
	v_cvt_f32_u32_sdwa v43, v90 dst_sel:DWORD dst_unused:UNUSED_PAD src0_sel:WORD_1
	v_cvt_f32_u32_sdwa v18, v91 dst_sel:DWORD dst_unused:UNUSED_PAD src0_sel:WORD_0
	v_cvt_f32_u32_sdwa v19, v91 dst_sel:DWORD dst_unused:UNUSED_PAD src0_sel:WORD_1
	;; [unrolled: 2-line block ×4, first 2 shown]
.LBB1006_6:
	s_or_b64 exec, exec, s[2:3]
	s_cbranch_execz .LBB1006_8
	s_branch .LBB1006_11
.LBB1006_7:
                                        ; implicit-def: $vgpr22_vgpr23_vgpr24_vgpr25_vgpr26_vgpr27_vgpr28_vgpr29_vgpr30_vgpr31_vgpr32_vgpr33_vgpr34_vgpr35_vgpr36_vgpr37
                                        ; implicit-def: $vgpr46_vgpr47_vgpr48_vgpr49_vgpr50_vgpr51_vgpr52_vgpr53_vgpr54_vgpr55_vgpr56_vgpr57_vgpr58_vgpr59_vgpr60_vgpr61
                                        ; implicit-def: $vgpr26_vgpr27_vgpr28_vgpr29_vgpr30_vgpr31_vgpr32_vgpr33_vgpr34_vgpr35_vgpr36_vgpr37_vgpr38_vgpr39_vgpr40_vgpr41
                                        ; implicit-def: $vgpr8_vgpr9_vgpr10_vgpr11_vgpr12_vgpr13_vgpr14_vgpr15_vgpr16_vgpr17_vgpr18_vgpr19_vgpr20_vgpr21_vgpr22_vgpr23
                                        ; implicit-def: $vgpr95
                                        ; implicit-def: $vgpr62_vgpr63_vgpr64_vgpr65_vgpr66_vgpr67_vgpr68_vgpr69_vgpr70_vgpr71_vgpr72_vgpr73_vgpr74_vgpr75_vgpr76_vgpr77
                                        ; implicit-def: $vgpr34_vgpr35_vgpr36_vgpr37_vgpr38_vgpr39_vgpr40_vgpr41_vgpr42_vgpr43_vgpr44_vgpr45_vgpr46_vgpr47_vgpr48_vgpr49
                                        ; implicit-def: $vgpr2_vgpr3_vgpr4_vgpr5_vgpr6_vgpr7_vgpr8_vgpr9_vgpr10_vgpr11_vgpr12_vgpr13_vgpr14_vgpr15_vgpr16_vgpr17
.LBB1006_8:
	v_mov_b32_e32 v95, 0
	v_mov_b32_e32 v94, 0
	;; [unrolled: 1-line block ×16, first 2 shown]
	s_and_saveexec_b64 s[2:3], s[0:1]
	s_cbranch_execz .LBB1006_10
; %bb.9:
	s_waitcnt lgkmcnt(0)
	s_load_dwordx2 s[18:19], s[4:5], 0x38
	s_mul_hi_i32 s31, s27, s6
	s_mul_i32 s30, s27, s6
	s_lshl_b64 s[30:31], s[30:31], 1
	s_mov_b32 s39, 0x20000
	s_waitcnt lgkmcnt(0)
	s_add_u32 s36, s18, s30
	s_addc_u32 s18, s19, s31
	s_and_b32 s37, s18, 0xffff
	v_lshlrev_b32_e32 v38, 5, v0
	buffer_load_dwordx4 v[4:7], v38, s[36:39], 16 offen
	buffer_load_dwordx4 v[8:11], v38, s[36:39], 0 offen
	s_load_dwordx2 s[18:19], s[4:5], 0x20
	s_waitcnt vmcnt(5)
	v_cvt_f32_u32_sdwa v19, v86 dst_sel:DWORD dst_unused:UNUSED_PAD src0_sel:WORD_1
	v_cvt_f32_u32_sdwa v18, v86 dst_sel:DWORD dst_unused:UNUSED_PAD src0_sel:WORD_0
	v_cvt_f32_u32_sdwa v21, v87 dst_sel:DWORD dst_unused:UNUSED_PAD src0_sel:WORD_1
	v_cvt_f32_u32_sdwa v20, v87 dst_sel:DWORD dst_unused:UNUSED_PAD src0_sel:WORD_0
	;; [unrolled: 2-line block ×4, first 2 shown]
	s_waitcnt vmcnt(4)
	v_cvt_f32_u32_sdwa v3, v90 dst_sel:DWORD dst_unused:UNUSED_PAD src0_sel:WORD_1
	v_cvt_f32_u32_sdwa v2, v90 dst_sel:DWORD dst_unused:UNUSED_PAD src0_sel:WORD_0
	v_cvt_f32_u32_sdwa v13, v91 dst_sel:DWORD dst_unused:UNUSED_PAD src0_sel:WORD_1
	v_cvt_f32_u32_sdwa v12, v91 dst_sel:DWORD dst_unused:UNUSED_PAD src0_sel:WORD_0
	;; [unrolled: 2-line block ×3, first 2 shown]
	v_cvt_f32_u32_sdwa v16, v93 dst_sel:DWORD dst_unused:UNUSED_PAD src0_sel:WORD_0
	v_cvt_f32_u32_sdwa v17, v93 dst_sel:DWORD dst_unused:UNUSED_PAD src0_sel:WORD_1
	s_mul_hi_i32 s31, s17, s6
	s_mul_i32 s30, s17, s6
	s_lshl_b64 s[30:31], s[30:31], 1
	s_waitcnt lgkmcnt(0)
	s_add_u32 s36, s18, s30
	s_mov_b32 s17, 0x7060302
	s_addc_u32 s18, s19, s31
	s_and_b32 s37, s18, 0xffff
	s_waitcnt vmcnt(1)
	v_cvt_f32_u32_sdwa v27, v4 dst_sel:DWORD dst_unused:UNUSED_PAD src0_sel:WORD_1
	v_cvt_f32_u32_sdwa v26, v4 dst_sel:DWORD dst_unused:UNUSED_PAD src0_sel:WORD_0
	v_cvt_f32_u32_sdwa v29, v5 dst_sel:DWORD dst_unused:UNUSED_PAD src0_sel:WORD_1
	v_cvt_f32_u32_sdwa v28, v5 dst_sel:DWORD dst_unused:UNUSED_PAD src0_sel:WORD_0
	;; [unrolled: 2-line block ×3, first 2 shown]
	v_cvt_f32_u32_sdwa v34, v7 dst_sel:DWORD dst_unused:UNUSED_PAD src0_sel:WORD_0
	v_cvt_f32_u32_sdwa v35, v7 dst_sel:DWORD dst_unused:UNUSED_PAD src0_sel:WORD_1
	s_waitcnt vmcnt(0)
	v_cvt_f32_u32_sdwa v37, v8 dst_sel:DWORD dst_unused:UNUSED_PAD src0_sel:WORD_1
	v_cvt_f32_u32_sdwa v36, v8 dst_sel:DWORD dst_unused:UNUSED_PAD src0_sel:WORD_0
	v_cvt_f32_u32_sdwa v5, v10 dst_sel:DWORD dst_unused:UNUSED_PAD src0_sel:WORD_1
	v_cvt_f32_u32_sdwa v4, v10 dst_sel:DWORD dst_unused:UNUSED_PAD src0_sel:WORD_0
	;; [unrolled: 2-line block ×4, first 2 shown]
	v_pk_add_f32 v[50:51], v[22:23], v[4:5]
	v_pk_add_f32 v[32:33], v[24:25], v[6:7]
	;; [unrolled: 1-line block ×4, first 2 shown]
	v_perm_b32 v7, v33, v32, s17
	v_perm_b32 v6, v51, v50, s17
	;; [unrolled: 1-line block ×4, first 2 shown]
	v_pk_add_f32 v[94:95], v[16:17], v[34:35]
	v_pk_add_f32 v[14:15], v[14:15], v[30:31]
	;; [unrolled: 1-line block ×4, first 2 shown]
	buffer_store_dwordx4 v[4:7], v38, s[36:39], 0 offen
	;;#ASMSTART
	s_nop 0
	;;#ASMEND
	s_nop 0
	v_perm_b32 v7, v95, v94, s17
	v_perm_b32 v6, v15, v14, s17
	;; [unrolled: 1-line block ×4, first 2 shown]
	buffer_store_dwordx4 v[4:7], v38, s[36:39], 16 offen
	;;#ASMSTART
	s_nop 0
	;;#ASMEND
.LBB1006_10:
	s_or_b64 exec, exec, s[2:3]
.LBB1006_11:
	v_mul_f32_e32 v2, v63, v63
	v_fmac_f32_e32 v2, v62, v62
	v_fmac_f32_e32 v2, v24, v24
	;; [unrolled: 1-line block ×15, first 2 shown]
	s_nop 1
	v_mov_b32_dpp v3, v2 quad_perm:[1,0,3,2] row_mask:0xf bank_mask:0xf
	v_add_f32_e32 v2, v2, v3
	s_nop 1
	v_mov_b32_dpp v3, v2 quad_perm:[2,3,0,1] row_mask:0xf bank_mask:0xf
	v_add_f32_e32 v2, v2, v3
	s_nop 1
	v_mov_b32_dpp v3, v2 row_half_mirror row_mask:0xf bank_mask:0xf
	v_add_f32_e32 v2, v2, v3
	s_nop 1
	v_mov_b32_dpp v3, v2 row_mirror row_mask:0xf bank_mask:0xf
	v_add_f32_e32 v2, v2, v3
	s_nop 1
	v_mov_b32_dpp v3, v2 row_bcast:15 row_mask:0xf bank_mask:0xf
	v_add_f32_e32 v2, v2, v3
	v_and_b32_e32 v3, 63, v0
	v_cmp_eq_u32_e64 s[2:3], 63, v3
	s_nop 0
	v_mov_b32_dpp v3, v2 row_bcast:31 row_mask:0xf bank_mask:0xf
	s_waitcnt lgkmcnt(0)
	s_and_saveexec_b64 s[18:19], s[2:3]
	s_cbranch_execz .LBB1006_13
; %bb.12:
	v_add_f32_e32 v2, v2, v3
	v_lshrrev_b32_e32 v3, 4, v0
	v_and_b32_e32 v3, 60, v3
	ds_write_b32 v3, v2 offset:32
.LBB1006_13:
	s_or_b64 exec, exec, s[18:19]
	v_and_b32_e32 v2, 7, v0
	v_lshlrev_b32_e32 v34, 2, v2
	s_waitcnt lgkmcnt(0)
	s_barrier
	ds_read_b32 v2, v34 offset:32
	s_load_dwordx2 s[18:19], s[4:5], 0x18
	s_waitcnt lgkmcnt(0)
	v_mov_b32_dpp v3, v2 quad_perm:[1,0,3,2] row_mask:0xf bank_mask:0xf
	v_add_f32_e32 v2, v2, v3
	s_nop 1
	v_mov_b32_dpp v3, v2 quad_perm:[2,3,0,1] row_mask:0xf bank_mask:0xf
	v_add_f32_e32 v2, v2, v3
	s_nop 1
	v_mov_b32_dpp v3, v2 row_half_mirror row_mask:0xf bank_mask:0xf
	s_and_saveexec_b64 s[30:31], s[0:1]
	s_cbranch_execnz .LBB1006_18
; %bb.14:
	s_or_b64 exec, exec, s[30:31]
	s_mov_b64 s[8:9], -1
	s_and_b64 vcc, exec, s[10:11]
	s_cbranch_vccnz .LBB1006_19
.LBB1006_15:
	s_andn2_b64 vcc, exec, s[8:9]
	s_cbranch_vccz .LBB1006_22
.LBB1006_16:
	s_cmp_lt_i32 s24, 1
	s_cbranch_scc0 .LBB1006_31
.LBB1006_17:
	s_endpgm
.LBB1006_18:
	v_add_f32_e32 v2, v2, v3
	v_cvt_f32_u32_e32 v3, s7
	s_mov_b32 s7, 0x800000
	s_waitcnt vmcnt(1)
	v_cvt_f32_u32_sdwa v21, v83 dst_sel:DWORD dst_unused:UNUSED_PAD src0_sel:WORD_1
	v_cvt_f32_u32_sdwa v20, v83 dst_sel:DWORD dst_unused:UNUSED_PAD src0_sel:WORD_0
	v_div_scale_f32 v4, s[36:37], v3, v3, v2
	v_rcp_f32_e32 v5, v4
	s_waitcnt vmcnt(0)
	v_cvt_f32_u32_sdwa v23, v80 dst_sel:DWORD dst_unused:UNUSED_PAD src0_sel:WORD_1
	v_cvt_f32_u32_sdwa v22, v80 dst_sel:DWORD dst_unused:UNUSED_PAD src0_sel:WORD_0
	v_cvt_f32_u32_sdwa v27, v81 dst_sel:DWORD dst_unused:UNUSED_PAD src0_sel:WORD_1
	v_fma_f32 v6, -v4, v5, 1.0
	v_fmac_f32_e32 v5, v6, v5
	v_div_scale_f32 v6, vcc, v2, v3, v2
	v_mul_f32_e32 v7, v6, v5
	v_fma_f32 v8, -v4, v7, v6
	v_fmac_f32_e32 v7, v8, v5
	v_fma_f32 v4, -v4, v7, v6
	v_div_fmas_f32 v4, v4, v5, v7
	v_div_fixup_f32 v2, v4, v3, v2
	v_mov_b32_e32 v3, s21
	v_mov_b32_e32 v4, s20
	v_cndmask_b32_e64 v3, v3, v4, s[8:9]
	v_add_f32_e32 v2, v3, v2
	v_mul_f32_e32 v3, 0x4b800000, v2
	v_cmp_gt_f32_e32 vcc, s7, v2
	v_cndmask_b32_e32 v2, v2, v3, vcc
	v_rsq_f32_e32 v2, v2
	v_cvt_f32_u32_sdwa v26, v81 dst_sel:DWORD dst_unused:UNUSED_PAD src0_sel:WORD_0
	v_mul_f32_e32 v3, 0x45800000, v2
	v_cndmask_b32_e32 v2, v2, v3, vcc
	v_mov_b32_e32 v3, v2
	;;#ASMSTART
	v_pk_mul_f32 v[4:5], v[62:63], v[2:3]
	;;#ASMEND
	;;#ASMSTART
	v_pk_mul_f32 v[6:7], v[24:25], v[2:3]
	;;#ASMEND
	;; [unrolled: 3-line block ×6, first 2 shown]
	v_cvt_f32_u32_sdwa v19, v82 dst_sel:DWORD dst_unused:UNUSED_PAD src0_sel:WORD_1
	v_cvt_f32_u32_sdwa v18, v82 dst_sel:DWORD dst_unused:UNUSED_PAD src0_sel:WORD_0
	;;#ASMSTART
	v_pk_mul_f32 v[14:15], v[14:15], v[2:3]
	;;#ASMEND
	;;#ASMSTART
	v_pk_mul_f32 v[2:3], v[94:95], v[2:3]
	;;#ASMEND
	;; [unrolled: 3-line block ×3, first 2 shown]
	v_cvt_f32_u32_sdwa v19, v78 dst_sel:DWORD dst_unused:UNUSED_PAD src0_sel:WORD_1
	v_cvt_f32_u32_sdwa v18, v78 dst_sel:DWORD dst_unused:UNUSED_PAD src0_sel:WORD_0
	;;#ASMSTART
	v_pk_mul_f32 v[24:25], v[6:7], v[20:21]
	;;#ASMEND
	v_cvt_f32_u32_sdwa v5, v84 dst_sel:DWORD dst_unused:UNUSED_PAD src0_sel:WORD_1
	v_cvt_f32_u32_sdwa v4, v84 dst_sel:DWORD dst_unused:UNUSED_PAD src0_sel:WORD_0
	v_cvt_f32_u32_sdwa v7, v85 dst_sel:DWORD dst_unused:UNUSED_PAD src0_sel:WORD_1
	v_cvt_f32_u32_sdwa v6, v85 dst_sel:DWORD dst_unused:UNUSED_PAD src0_sel:WORD_0
	;; [unrolled: 2-line block ×3, first 2 shown]
	;;#ASMSTART
	v_pk_mul_f32 v[50:51], v[8:9], v[4:5]
	;;#ASMEND
	;;#ASMSTART
	v_pk_mul_f32 v[32:33], v[10:11], v[6:7]
	;;#ASMEND
	;; [unrolled: 3-line block ×6, first 2 shown]
	s_or_b64 exec, exec, s[30:31]
	s_mov_b64 s[8:9], -1
	s_and_b64 vcc, exec, s[10:11]
	s_cbranch_vccz .LBB1006_15
.LBB1006_19:
	s_and_saveexec_b64 s[8:9], s[0:1]
	s_cbranch_execz .LBB1006_21
; %bb.20:
	s_mul_hi_i32 s11, s16, s6
	s_mul_i32 s10, s16, s6
	s_lshl_b64 s[10:11], s[10:11], 1
	s_add_u32 s36, s18, s10
	s_addc_u32 s7, s19, s11
	s_and_b32 s37, s7, 0xffff
	s_mov_b32 s7, 0x7060302
	s_mov_b32 s39, 0x20000
	v_perm_b32 v5, v33, v32, s7
	v_perm_b32 v4, v51, v50, s7
	v_perm_b32 v3, v25, v24, s7
	v_perm_b32 v2, v63, v62, s7
	v_lshlrev_b32_e32 v6, 5, v0
	buffer_store_dwordx4 v[2:5], v6, s[36:39], 0 offen
	;;#ASMSTART
	s_nop 0
	;;#ASMEND
	s_nop 0
	v_perm_b32 v5, v95, v94, s7
	v_perm_b32 v4, v15, v14, s7
	v_perm_b32 v3, v19, v18, s7
	v_perm_b32 v2, v43, v42, s7
	buffer_store_dwordx4 v[2:5], v6, s[36:39], 16 offen
	;;#ASMSTART
	s_nop 0
	;;#ASMEND
.LBB1006_21:
	s_or_b64 exec, exec, s[8:9]
	s_cbranch_execnz .LBB1006_16
.LBB1006_22:
	v_mov_b32_e32 v2, 0
	s_and_saveexec_b64 s[8:9], s[0:1]
	s_cbranch_execz .LBB1006_24
; %bb.23:
	s_load_dwordx2 s[10:11], s[4:5], 0x10
	s_mul_hi_i32 s31, s15, s6
	s_mul_i32 s30, s15, s6
	s_lshl_b64 s[30:31], s[30:31], 1
	s_mov_b32 s39, 0x20000
	s_waitcnt lgkmcnt(0)
	s_add_u32 s36, s10, s30
	s_addc_u32 s7, s11, s31
	s_and_b32 s37, s7, 0xffff
	s_mov_b32 s7, 0x7060302
	v_perm_b32 v5, v33, v32, s7
	v_perm_b32 v4, v51, v50, s7
	;; [unrolled: 1-line block ×4, first 2 shown]
	v_lshlrev_b32_e32 v6, 5, v0
	buffer_store_dwordx4 v[2:5], v6, s[36:39], 0 offen
	;;#ASMSTART
	s_nop 0
	;;#ASMEND
	s_nop 0
	v_perm_b32 v5, v95, v94, s7
	v_perm_b32 v4, v15, v14, s7
	;; [unrolled: 1-line block ×4, first 2 shown]
	buffer_store_dwordx4 v[2:5], v6, s[36:39], 16 offen
	;;#ASMSTART
	s_nop 0
	;;#ASMEND
	s_nop 0
	v_mov_b32_e32 v2, 0x2edbe6ff
.LBB1006_24:
	s_or_b64 exec, exec, s[8:9]
	s_and_saveexec_b64 s[8:9], s[0:1]
	s_cbranch_execz .LBB1006_26
; %bb.25:
	v_and_b32_e32 v3, 0x7fffffff, v62
	v_and_b32_e32 v4, 0x7fffffff, v63
	;;#ASMSTART
	v_max3_f32 v2, v2, v3, v4

	;;#ASMEND
	v_and_b32_e32 v3, 0x7fffffff, v24
	v_and_b32_e32 v4, 0x7fffffff, v25
	;;#ASMSTART
	v_max3_f32 v2, v2, v3, v4

	;;#ASMEND
	;; [unrolled: 6-line block ×8, first 2 shown]
.LBB1006_26:
	s_or_b64 exec, exec, s[8:9]
	;;#ASMSTART
	v_max_f32 v3, v2, v2 quad_perm:[1,0,3,2] row_mask:0xf bank_mask:0xf bound_ctrl:1
	;;#ASMEND
	v_mul_f32_e32 v2, 0x3b124925, v3
	v_and_b32_e32 v3, 1, v0
	v_cmp_eq_u32_e32 vcc, 0, v3
	v_cmp_gt_i32_e64 s[8:9], s23, v1
	s_and_b64 s[10:11], vcc, s[8:9]
	s_and_saveexec_b64 s[8:9], s[10:11]
	s_cbranch_execz .LBB1006_28
; %bb.27:
	s_load_dwordx2 s[10:11], s[4:5], 0x8
	v_lshrrev_b32_e32 v3, 1, v0
	s_mul_hi_i32 s31, s13, s6
	s_mul_i32 s30, s13, s6
	v_mad_i64_i32 v[4:5], s[14:15], s14, v3, 0
	s_lshl_b64 s[14:15], s[30:31], 2
	s_waitcnt lgkmcnt(0)
	s_add_u32 s7, s10, s14
	s_addc_u32 s10, s11, s15
	v_lshlrev_b64 v[4:5], 2, v[4:5]
	v_mov_b32_e32 v3, s10
	v_add_co_u32_e32 v4, vcc, s7, v4
	v_addc_co_u32_e32 v5, vcc, v3, v5, vcc
	global_store_dword v[4:5], v2, off
.LBB1006_28:
	s_or_b64 exec, exec, s[8:9]
	;;#ASMSTART
	v_rcp_f32 v2, v2
	;;#ASMEND
	s_and_saveexec_b64 s[14:15], s[0:1]
	s_cbranch_execz .LBB1006_30
; %bb.29:
	v_mov_b32_e32 v3, v2
	;;#ASMSTART
	v_pk_mul_f32 v[4:5], v[62:63], v[2:3]
	;;#ASMEND
	v_mov_b32_e32 v10, 0xc3e00000
	v_mov_b32_e32 v11, 0x43e00000
	;;#ASMSTART
	v_med3_f32 v4, v4, v10, v11
v_med3_f32 v5, v5, v10, v11
v_cvt_pk_fp8_f32 v6, v4, v5
	;;#ASMEND
	;;#ASMSTART
	v_pk_mul_f32 v[4:5], v[24:25], v[2:3]
	;;#ASMEND
	;;#ASMSTART
	v_med3_f32 v4, v4, v10, v11
v_med3_f32 v5, v5, v10, v11
v_cvt_pk_fp8_f32 v7, v4, v5
	;;#ASMEND
	;;#ASMSTART
	v_pk_mul_f32 v[4:5], v[50:51], v[2:3]
	;;#ASMEND
	;; [unrolled: 8-line block ×3, first 2 shown]
	;;#ASMSTART
	v_med3_f32 v4, v4, v10, v11
v_med3_f32 v5, v5, v10, v11
v_cvt_pk_fp8_f32 v9, v4, v5
	;;#ASMEND
	s_mov_b32 s0, 0x5040100
	v_perm_b32 v4, v7, v6, s0
	s_mov_b32 s0, 0x1060504
	v_perm_b32 v4, v4, v7, s0
	s_load_dwordx2 s[0:1], s[4:5], 0x0
	s_mov_b32 s7, 0x1000504
	;;#ASMSTART
	v_pk_mul_f32 v[6:7], v[42:43], v[2:3]
	;;#ASMEND
	v_perm_b32 v5, v8, v9, s7
	s_mul_i32 s8, s12, s6
	;;#ASMSTART
	v_med3_f32 v6, v6, v10, v11
v_med3_f32 v7, v7, v10, v11
v_cvt_pk_fp8_f32 v8, v6, v7
	;;#ASMEND
	s_mul_hi_i32 s9, s12, s6
	s_waitcnt lgkmcnt(0)
	s_add_u32 s8, s0, s8
	;;#ASMSTART
	v_pk_mul_f32 v[6:7], v[18:19], v[2:3]
	;;#ASMEND
	s_addc_u32 s0, s1, s9
	s_add_i32 s1, s23, 3
	;;#ASMSTART
	v_med3_f32 v6, v6, v10, v11
v_med3_f32 v7, v7, v10, v11
v_cvt_pk_fp8_f32 v9, v6, v7
	;;#ASMEND
	s_ashr_i32 s9, s1, 31
	v_perm_b32 v6, v8, v9, s7
	;;#ASMSTART
	v_pk_mul_f32 v[8:9], v[14:15], v[2:3]
	;;#ASMEND
	v_mov_b32_e32 v7, v9
	s_lshr_b32 s9, s9, 30
	;;#ASMSTART
	v_med3_f32 v8, v8, v10, v11
v_med3_f32 v7, v7, v10, v11
v_cvt_pk_fp8_f32 v9, v8, v7
	;;#ASMEND
	;;#ASMSTART
	v_pk_mul_f32 v[2:3], v[94:95], v[2:3]
	;;#ASMEND
	s_add_i32 s1, s1, s9
	;;#ASMSTART
	v_med3_f32 v2, v2, v10, v11
v_med3_f32 v3, v3, v10, v11
v_cvt_pk_fp8_f32 v7, v2, v3
	;;#ASMEND
	s_and_b32 s10, s1, -4
	s_and_b32 s9, s0, 0xffff
	s_mov_b32 s11, 0x20000
	v_perm_b32 v7, v9, v7, s7
	buffer_store_dwordx4 v[4:7], v1, s[8:11], 0 offen
	;;#ASMSTART
	s_nop 0
	;;#ASMEND
.LBB1006_30:
	s_or_b64 exec, exec, s[14:15]
	s_cmp_lt_i32 s24, 1
	s_cbranch_scc1 .LBB1006_17
.LBB1006_31:
	s_load_dword s0, s[4:5], 0x94
	s_waitcnt lgkmcnt(0)
	s_cmp_lg_u32 s0, 1
	s_cbranch_scc1 .LBB1006_17
; %bb.32:
	s_lshl_b32 s0, s24, 1
	s_add_i32 s0, s0, 2
	v_cmp_gt_u32_e32 vcc, s24, v1
	s_and_b32 s30, s0, -4
	v_mov_b32_e32 v18, 0
	v_lshlrev_b32_e32 v1, 5, v0
	v_mov_b32_e32 v14, 0
	v_mov_b32_e32 v15, 0
	;; [unrolled: 1-line block ×16, first 2 shown]
	s_barrier
	s_and_saveexec_b64 s[0:1], vcc
	s_cbranch_execz .LBB1006_34
; %bb.33:
	s_mul_hi_i32 s5, s26, s6
	s_mul_i32 s4, s26, s6
	s_and_b32 s29, s29, 0xffff
	s_lshl_b64 s[4:5], s[4:5], 1
	s_add_u32 s8, s34, s4
	s_mov_b32 s31, 0x20000
	s_addc_u32 s4, s35, s5
	s_and_b32 s9, s4, 0xffff
	s_mov_b32 s10, s30
	s_mov_b32 s11, s31
	buffer_load_dwordx4 v[14:17], v1, s[8:11], 0 offen
	buffer_load_dwordx4 v[10:13], v1, s[8:11], 16 offen
	;; [unrolled: 1-line block ×4, first 2 shown]
.LBB1006_34:
	s_or_b64 exec, exec, s[0:1]
	v_mov_b32_e32 v19, 0
	v_mov_b32_e32 v32, 0
	;; [unrolled: 1-line block ×15, first 2 shown]
	s_and_saveexec_b64 s[0:1], vcc
	s_cbranch_execz .LBB1006_36
; %bb.35:
	s_waitcnt vmcnt(3)
	v_cvt_f32_u32_sdwa v18, v14 dst_sel:DWORD dst_unused:UNUSED_PAD src0_sel:WORD_0
	v_cvt_f32_u32_sdwa v19, v14 dst_sel:DWORD dst_unused:UNUSED_PAD src0_sel:WORD_1
	v_cvt_f32_u32_sdwa v32, v15 dst_sel:DWORD dst_unused:UNUSED_PAD src0_sel:WORD_0
	v_cvt_f32_u32_sdwa v33, v15 dst_sel:DWORD dst_unused:UNUSED_PAD src0_sel:WORD_1
	;; [unrolled: 2-line block ×4, first 2 shown]
	s_waitcnt vmcnt(2)
	v_cvt_f32_u32_sdwa v26, v10 dst_sel:DWORD dst_unused:UNUSED_PAD src0_sel:WORD_0
	v_cvt_f32_u32_sdwa v27, v10 dst_sel:DWORD dst_unused:UNUSED_PAD src0_sel:WORD_1
	v_cvt_f32_u32_sdwa v24, v11 dst_sel:DWORD dst_unused:UNUSED_PAD src0_sel:WORD_0
	v_cvt_f32_u32_sdwa v25, v11 dst_sel:DWORD dst_unused:UNUSED_PAD src0_sel:WORD_1
	;; [unrolled: 2-line block ×4, first 2 shown]
.LBB1006_36:
	s_or_b64 exec, exec, s[0:1]
	s_waitcnt vmcnt(2)
	v_mul_f32_e32 v10, v19, v19
	v_fmac_f32_e32 v10, v18, v18
	v_fmac_f32_e32 v10, v32, v32
	;; [unrolled: 1-line block ×15, first 2 shown]
	s_nop 1
	v_mov_b32_dpp v11, v10 quad_perm:[1,0,3,2] row_mask:0xf bank_mask:0xf
	v_add_f32_e32 v10, v10, v11
	s_nop 1
	v_mov_b32_dpp v11, v10 quad_perm:[2,3,0,1] row_mask:0xf bank_mask:0xf
	v_add_f32_e32 v10, v10, v11
	s_nop 1
	v_mov_b32_dpp v11, v10 row_half_mirror row_mask:0xf bank_mask:0xf
	v_add_f32_e32 v10, v10, v11
	s_nop 1
	v_mov_b32_dpp v11, v10 row_mirror row_mask:0xf bank_mask:0xf
	v_add_f32_e32 v10, v10, v11
	s_nop 1
	v_mov_b32_dpp v11, v10 row_bcast:15 row_mask:0xf bank_mask:0xf
	v_add_f32_e32 v10, v10, v11
	s_nop 1
	v_mov_b32_dpp v11, v10 row_bcast:31 row_mask:0xf bank_mask:0xf
	s_and_saveexec_b64 s[0:1], s[2:3]
	s_cbranch_execz .LBB1006_38
; %bb.37:
	v_lshrrev_b32_e32 v0, 4, v0
	v_add_f32_e32 v10, v10, v11
	v_and_b32_e32 v0, 60, v0
	ds_write_b32 v0, v10
.LBB1006_38:
	s_or_b64 exec, exec, s[0:1]
	s_waitcnt lgkmcnt(0)
	s_barrier
	ds_read_b32 v0, v34
	s_waitcnt lgkmcnt(0)
	s_nop 0
	v_mov_b32_dpp v10, v0 quad_perm:[1,0,3,2] row_mask:0xf bank_mask:0xf
	v_add_f32_e32 v0, v0, v10
	s_nop 1
	v_mov_b32_dpp v10, v0 quad_perm:[2,3,0,1] row_mask:0xf bank_mask:0xf
	v_add_f32_e32 v0, v0, v10
	s_nop 1
	v_mov_b32_dpp v10, v0 row_half_mirror row_mask:0xf bank_mask:0xf
	s_and_saveexec_b64 s[0:1], vcc
	s_cbranch_execz .LBB1006_17
; %bb.39:
	v_cvt_f32_u32_e32 v11, s24
	v_add_f32_e32 v0, v0, v10
	s_mov_b32 s31, 0x20000
	v_div_scale_f32 v10, s[0:1], v11, v11, v0
	v_rcp_f32_e32 v12, v10
	v_div_scale_f32 v13, vcc, v0, v11, v0
	s_mov_b32 s0, 0x800000
	v_fma_f32 v14, -v10, v12, 1.0
	v_fmac_f32_e32 v12, v14, v12
	v_mul_f32_e32 v14, v13, v12
	v_fma_f32 v15, -v10, v14, v13
	v_fmac_f32_e32 v14, v15, v12
	v_fma_f32 v10, -v10, v14, v13
	v_div_fmas_f32 v10, v10, v12, v14
	v_div_fixup_f32 v0, v10, v11, v0
	v_add_f32_e32 v0, s21, v0
	v_mul_f32_e32 v10, 0x4b800000, v0
	v_cmp_gt_f32_e32 vcc, s0, v0
	v_cndmask_b32_e32 v0, v0, v10, vcc
	v_rsq_f32_e32 v0, v0
	s_mul_hi_i32 s1, s16, s6
	s_mul_i32 s0, s16, s6
	s_lshl_b64 s[0:1], s[0:1], 1
	v_mul_f32_e32 v10, 0x45800000, v0
	v_cndmask_b32_e32 v10, v0, v10, vcc
	v_mov_b32_e32 v11, v10
	s_add_u32 s28, s18, s0
	;;#ASMSTART
	v_pk_mul_f32 v[12:13], v[18:19], v[10:11]
	;;#ASMEND
	;;#ASMSTART
	v_pk_mul_f32 v[14:15], v[32:33], v[10:11]
	;;#ASMEND
	;; [unrolled: 3-line block ×8, first 2 shown]
	s_waitcnt vmcnt(1)
	v_cvt_f32_u32_sdwa v21, v6 dst_sel:DWORD dst_unused:UNUSED_PAD src0_sel:WORD_1
	v_cvt_f32_u32_sdwa v20, v6 dst_sel:DWORD dst_unused:UNUSED_PAD src0_sel:WORD_0
	v_cvt_f32_u32_sdwa v29, v7 dst_sel:DWORD dst_unused:UNUSED_PAD src0_sel:WORD_1
	v_cvt_f32_u32_sdwa v28, v7 dst_sel:DWORD dst_unused:UNUSED_PAD src0_sel:WORD_0
	;; [unrolled: 2-line block ×3, first 2 shown]
	s_addc_u32 s0, s19, s1
	v_cvt_f32_u32_sdwa v31, v9 dst_sel:DWORD dst_unused:UNUSED_PAD src0_sel:WORD_1
	v_cvt_f32_u32_sdwa v30, v9 dst_sel:DWORD dst_unused:UNUSED_PAD src0_sel:WORD_0
	;;#ASMSTART
	v_pk_mul_f32 v[8:9], v[12:13], v[20:21]
	;;#ASMEND
	;;#ASMSTART
	v_pk_mul_f32 v[12:13], v[14:15], v[28:29]
	;;#ASMEND
	;; [unrolled: 3-line block ×4, first 2 shown]
	s_waitcnt vmcnt(0)
	v_cvt_f32_u32_sdwa v17, v2 dst_sel:DWORD dst_unused:UNUSED_PAD src0_sel:WORD_1
	v_cvt_f32_u32_sdwa v16, v2 dst_sel:DWORD dst_unused:UNUSED_PAD src0_sel:WORD_0
	v_cvt_f32_u32_sdwa v19, v3 dst_sel:DWORD dst_unused:UNUSED_PAD src0_sel:WORD_1
	v_cvt_f32_u32_sdwa v18, v3 dst_sel:DWORD dst_unused:UNUSED_PAD src0_sel:WORD_0
	;; [unrolled: 2-line block ×3, first 2 shown]
	s_and_b32 s29, s0, 0xffff
	s_mov_b32 s0, 0x7060302
	v_cvt_f32_u32_sdwa v21, v5 dst_sel:DWORD dst_unused:UNUSED_PAD src0_sel:WORD_1
	v_cvt_f32_u32_sdwa v20, v5 dst_sel:DWORD dst_unused:UNUSED_PAD src0_sel:WORD_0
	;;#ASMSTART
	v_pk_mul_f32 v[16:17], v[26:27], v[16:17]
	;;#ASMEND
	;;#ASMSTART
	v_pk_mul_f32 v[18:19], v[24:25], v[18:19]
	;;#ASMEND
	;; [unrolled: 3-line block ×3, first 2 shown]
	v_perm_b32 v2, v9, v8, s0
	v_perm_b32 v3, v13, v12, s0
	;; [unrolled: 1-line block ×4, first 2 shown]
	;;#ASMSTART
	v_pk_mul_f32 v[10:11], v[10:11], v[20:21]
	;;#ASMEND
	buffer_store_dwordx4 v[2:5], v1, s[28:31], 0 offen
	;;#ASMSTART
	s_nop 0
	;;#ASMEND
	s_nop 0
	v_perm_b32 v2, v17, v16, s0
	v_perm_b32 v3, v19, v18, s0
	;; [unrolled: 1-line block ×4, first 2 shown]
	buffer_store_dwordx4 v[2:5], v1, s[28:31], 16 offen
	;;#ASMSTART
	s_nop 0
	;;#ASMEND
	s_endpgm
	.section	.rodata,"a",@progbits
	.p2align	6, 0x0
	.amdhsa_kernel _ZN5aiter35fused_qk_rmsnorm_group_quant_kernelItDB8_Li512ELi16ELi2ELb1ELb1ELb0ELb0ELb0ELb0EEEvPT0_PvPT_S6_S6_PKS5_S8_S8_S8_S8_ffiiiiiiiiiiiii
		.amdhsa_group_segment_fixed_size 64
		.amdhsa_private_segment_fixed_size 0
		.amdhsa_kernarg_size 400
		.amdhsa_user_sgpr_count 6
		.amdhsa_user_sgpr_private_segment_buffer 1
		.amdhsa_user_sgpr_dispatch_ptr 0
		.amdhsa_user_sgpr_queue_ptr 0
		.amdhsa_user_sgpr_kernarg_segment_ptr 1
		.amdhsa_user_sgpr_dispatch_id 0
		.amdhsa_user_sgpr_flat_scratch_init 0
		.amdhsa_user_sgpr_kernarg_preload_length 0
		.amdhsa_user_sgpr_kernarg_preload_offset 0
		.amdhsa_user_sgpr_private_segment_size 0
		.amdhsa_uses_dynamic_stack 0
		.amdhsa_system_sgpr_private_segment_wavefront_offset 0
		.amdhsa_system_sgpr_workgroup_id_x 1
		.amdhsa_system_sgpr_workgroup_id_y 1
		.amdhsa_system_sgpr_workgroup_id_z 0
		.amdhsa_system_sgpr_workgroup_info 0
		.amdhsa_system_vgpr_workitem_id 0
		.amdhsa_next_free_vgpr 96
		.amdhsa_next_free_sgpr 44
		.amdhsa_accum_offset 96
		.amdhsa_reserve_vcc 1
		.amdhsa_reserve_flat_scratch 0
		.amdhsa_float_round_mode_32 0
		.amdhsa_float_round_mode_16_64 0
		.amdhsa_float_denorm_mode_32 3
		.amdhsa_float_denorm_mode_16_64 3
		.amdhsa_dx10_clamp 1
		.amdhsa_ieee_mode 1
		.amdhsa_fp16_overflow 0
		.amdhsa_tg_split 0
		.amdhsa_exception_fp_ieee_invalid_op 0
		.amdhsa_exception_fp_denorm_src 0
		.amdhsa_exception_fp_ieee_div_zero 0
		.amdhsa_exception_fp_ieee_overflow 0
		.amdhsa_exception_fp_ieee_underflow 0
		.amdhsa_exception_fp_ieee_inexact 0
		.amdhsa_exception_int_div_zero 0
	.end_amdhsa_kernel
	.section	.text._ZN5aiter35fused_qk_rmsnorm_group_quant_kernelItDB8_Li512ELi16ELi2ELb1ELb1ELb0ELb0ELb0ELb0EEEvPT0_PvPT_S6_S6_PKS5_S8_S8_S8_S8_ffiiiiiiiiiiiii,"axG",@progbits,_ZN5aiter35fused_qk_rmsnorm_group_quant_kernelItDB8_Li512ELi16ELi2ELb1ELb1ELb0ELb0ELb0ELb0EEEvPT0_PvPT_S6_S6_PKS5_S8_S8_S8_S8_ffiiiiiiiiiiiii,comdat
.Lfunc_end1006:
	.size	_ZN5aiter35fused_qk_rmsnorm_group_quant_kernelItDB8_Li512ELi16ELi2ELb1ELb1ELb0ELb0ELb0ELb0EEEvPT0_PvPT_S6_S6_PKS5_S8_S8_S8_S8_ffiiiiiiiiiiiii, .Lfunc_end1006-_ZN5aiter35fused_qk_rmsnorm_group_quant_kernelItDB8_Li512ELi16ELi2ELb1ELb1ELb0ELb0ELb0ELb0EEEvPT0_PvPT_S6_S6_PKS5_S8_S8_S8_S8_ffiiiiiiiiiiiii
                                        ; -- End function
	.section	.AMDGPU.csdata,"",@progbits
; Kernel info:
; codeLenInByte = 4272
; NumSgprs: 48
; NumVgprs: 96
; NumAgprs: 0
; TotalNumVgprs: 96
; ScratchSize: 0
; MemoryBound: 0
; FloatMode: 240
; IeeeMode: 1
; LDSByteSize: 64 bytes/workgroup (compile time only)
; SGPRBlocks: 5
; VGPRBlocks: 11
; NumSGPRsForWavesPerEU: 48
; NumVGPRsForWavesPerEU: 96
; AccumOffset: 96
; Occupancy: 5
; WaveLimiterHint : 0
; COMPUTE_PGM_RSRC2:SCRATCH_EN: 0
; COMPUTE_PGM_RSRC2:USER_SGPR: 6
; COMPUTE_PGM_RSRC2:TRAP_HANDLER: 0
; COMPUTE_PGM_RSRC2:TGID_X_EN: 1
; COMPUTE_PGM_RSRC2:TGID_Y_EN: 1
; COMPUTE_PGM_RSRC2:TGID_Z_EN: 0
; COMPUTE_PGM_RSRC2:TIDIG_COMP_CNT: 0
; COMPUTE_PGM_RSRC3_GFX90A:ACCUM_OFFSET: 23
; COMPUTE_PGM_RSRC3_GFX90A:TG_SPLIT: 0
	.section	.text._ZN5aiter35fused_qk_rmsnorm_group_quant_kernelIDF16_N4opus5fp4_tELi512ELi16ELi2ELb1ELb1ELb0ELb0ELb0ELb0EEEvPT0_PvPT_S7_S7_PKS6_S9_S9_S9_S9_ffiiiiiiiiiiiii,"axG",@progbits,_ZN5aiter35fused_qk_rmsnorm_group_quant_kernelIDF16_N4opus5fp4_tELi512ELi16ELi2ELb1ELb1ELb0ELb0ELb0ELb0EEEvPT0_PvPT_S7_S7_PKS6_S9_S9_S9_S9_ffiiiiiiiiiiiii,comdat
	.protected	_ZN5aiter35fused_qk_rmsnorm_group_quant_kernelIDF16_N4opus5fp4_tELi512ELi16ELi2ELb1ELb1ELb0ELb0ELb0ELb0EEEvPT0_PvPT_S7_S7_PKS6_S9_S9_S9_S9_ffiiiiiiiiiiiii ; -- Begin function _ZN5aiter35fused_qk_rmsnorm_group_quant_kernelIDF16_N4opus5fp4_tELi512ELi16ELi2ELb1ELb1ELb0ELb0ELb0ELb0EEEvPT0_PvPT_S7_S7_PKS6_S9_S9_S9_S9_ffiiiiiiiiiiiii
	.globl	_ZN5aiter35fused_qk_rmsnorm_group_quant_kernelIDF16_N4opus5fp4_tELi512ELi16ELi2ELb1ELb1ELb0ELb0ELb0ELb0EEEvPT0_PvPT_S7_S7_PKS6_S9_S9_S9_S9_ffiiiiiiiiiiiii
	.p2align	8
	.type	_ZN5aiter35fused_qk_rmsnorm_group_quant_kernelIDF16_N4opus5fp4_tELi512ELi16ELi2ELb1ELb1ELb0ELb0ELb0ELb0EEEvPT0_PvPT_S7_S7_PKS6_S9_S9_S9_S9_ffiiiiiiiiiiiii,@function
_ZN5aiter35fused_qk_rmsnorm_group_quant_kernelIDF16_N4opus5fp4_tELi512ELi16ELi2ELb1ELb1ELb0ELb0ELb0ELb0EEEvPT0_PvPT_S7_S7_PKS6_S9_S9_S9_S9_ffiiiiiiiiiiiii: ; @_ZN5aiter35fused_qk_rmsnorm_group_quant_kernelIDF16_N4opus5fp4_tELi512ELi16ELi2ELb1ELb1ELb0ELb0ELb0ELb0EEEvPT0_PvPT_S7_S7_PKS6_S9_S9_S9_S9_ffiiiiiiiiiiiii
; %bb.0:
	s_load_dwordx8 s[20:27], s[4:5], 0x50
	s_waitcnt lgkmcnt(0)
	s_cmp_ge_i32 s6, s22
	s_cbranch_scc1 .LBB1007_17
; %bb.1:
	s_cmp_lg_u32 s7, 0
	s_cselect_b64 s[30:31], -1, 0
	s_cmp_eq_u32 s7, 0
	s_cselect_b64 s[8:9], -1, 0
	s_and_b64 s[0:1], s[8:9], exec
	s_load_dwordx2 s[28:29], s[4:5], 0x48
	s_load_dwordx2 s[10:11], s[4:5], 0x30
	s_load_dwordx8 s[12:19], s[4:5], 0x70
	s_cselect_b32 s7, s23, s24
	s_add_i32 s0, s7, 1
	s_lshr_b32 s1, s0, 31
	s_add_i32 s0, s0, s1
	s_lshl_b32 s0, s0, 1
	v_lshlrev_b32_e32 v1, 4, v0
	s_and_b32 s38, s0, -4
	v_cmp_gt_i32_e64 s[0:1], s7, v1
	v_mov_b32_e32 v6, 0
	v_mov_b32_e32 v7, 0
	v_mov_b32_e32 v8, 0
	v_mov_b32_e32 v9, 0
	v_mov_b32_e32 v2, 0
	v_mov_b32_e32 v3, 0
	v_mov_b32_e32 v4, 0
	v_mov_b32_e32 v5, 0
	v_mov_b32_e32 v10, 0
	v_mov_b32_e32 v11, 0
	v_mov_b32_e32 v12, 0
	v_mov_b32_e32 v13, 0
	v_mov_b32_e32 v14, 0
	v_mov_b32_e32 v15, 0
	v_mov_b32_e32 v16, 0
	v_mov_b32_e32 v17, 0
	s_and_saveexec_b64 s[2:3], s[0:1]
	s_cbranch_execz .LBB1007_3
; %bb.2:
	s_waitcnt lgkmcnt(0)
	s_load_dwordx2 s[18:19], s[4:5], 0x28
	s_load_dwordx2 s[34:35], s[4:5], 0x40
	s_and_b64 s[36:37], s[8:9], exec
	s_cselect_b32 s22, s25, s26
	s_mov_b32 s39, 0x20000
	s_waitcnt lgkmcnt(0)
	s_cselect_b32 s25, s19, s11
	s_cselect_b32 s33, s18, s10
	s_mul_hi_i32 s19, s22, s6
	s_mul_i32 s18, s22, s6
	s_lshl_b64 s[18:19], s[18:19], 1
	s_add_u32 s40, s33, s18
	s_addc_u32 s22, s25, s19
	s_and_b64 s[18:19], s[8:9], exec
	s_cselect_b32 s36, s34, s28
	s_cselect_b32 s18, s35, s29
	s_and_b32 s41, s22, 0xffff
	s_mov_b32 s42, s38
	s_mov_b32 s43, s39
	v_lshlrev_b32_e32 v18, 5, v0
	s_and_b32 s37, s18, 0xffff
	buffer_load_dwordx4 v[10:13], v18, s[40:43], 0 offen
	buffer_load_dwordx4 v[14:17], v18, s[40:43], 16 offen
	;; [unrolled: 1-line block ×4, first 2 shown]
.LBB1007_3:
	s_or_b64 exec, exec, s[2:3]
	s_and_b64 vcc, exec, s[30:31]
	s_cbranch_vccz .LBB1007_7
; %bb.4:
	v_mov_b32_e32 v19, 0
	v_mov_b32_e32 v18, 0
	;; [unrolled: 1-line block ×16, first 2 shown]
	s_and_saveexec_b64 s[2:3], s[0:1]
	s_cbranch_execz .LBB1007_6
; %bb.5:
	s_waitcnt vmcnt(3)
	v_cvt_f32_f16_sdwa v33, v10 dst_sel:DWORD dst_unused:UNUSED_PAD src0_sel:WORD_1
	v_cvt_f32_f16_e32 v32, v10
	v_cvt_f32_f16_sdwa v31, v11 dst_sel:DWORD dst_unused:UNUSED_PAD src0_sel:WORD_1
	v_cvt_f32_f16_e32 v30, v11
	;; [unrolled: 2-line block ×4, first 2 shown]
	s_waitcnt vmcnt(2)
	v_cvt_f32_f16_sdwa v27, v14 dst_sel:DWORD dst_unused:UNUSED_PAD src0_sel:WORD_1
	v_cvt_f32_f16_e32 v26, v14
	v_cvt_f32_f16_sdwa v23, v15 dst_sel:DWORD dst_unused:UNUSED_PAD src0_sel:WORD_1
	v_cvt_f32_f16_e32 v22, v15
	;; [unrolled: 2-line block ×4, first 2 shown]
.LBB1007_6:
	s_or_b64 exec, exec, s[2:3]
	s_cbranch_execz .LBB1007_8
	s_branch .LBB1007_11
.LBB1007_7:
                                        ; implicit-def: $vgpr19
                                        ; implicit-def: $vgpr21
                                        ; implicit-def: $vgpr23
                                        ; implicit-def: $vgpr27
                                        ; implicit-def: $vgpr25
                                        ; implicit-def: $vgpr29
                                        ; implicit-def: $vgpr31
                                        ; implicit-def: $vgpr33
.LBB1007_8:
	v_mov_b32_e32 v19, 0
	v_mov_b32_e32 v18, 0
	v_mov_b32_e32 v21, 0
	v_mov_b32_e32 v20, 0
	v_mov_b32_e32 v23, 0
	v_mov_b32_e32 v22, 0
	v_mov_b32_e32 v27, 0
	v_mov_b32_e32 v26, 0
	v_mov_b32_e32 v25, 0
	v_mov_b32_e32 v24, 0
	v_mov_b32_e32 v29, 0
	v_mov_b32_e32 v28, 0
	v_mov_b32_e32 v31, 0
	v_mov_b32_e32 v30, 0
	v_mov_b32_e32 v33, 0
	v_mov_b32_e32 v32, 0
	s_and_saveexec_b64 s[2:3], s[0:1]
	s_cbranch_execz .LBB1007_10
; %bb.9:
	s_waitcnt lgkmcnt(0)
	s_load_dwordx2 s[18:19], s[4:5], 0x38
	s_mul_hi_i32 s35, s27, s6
	s_mul_i32 s34, s27, s6
	s_lshl_b64 s[34:35], s[34:35], 1
	s_mov_b32 s39, 0x20000
	s_waitcnt lgkmcnt(0)
	s_add_u32 s36, s18, s34
	s_addc_u32 s18, s19, s35
	s_and_b32 s37, s18, 0xffff
	v_lshlrev_b32_e32 v46, 5, v0
	buffer_load_dwordx4 v[18:21], v46, s[36:39], 16 offen
	buffer_load_dwordx4 v[22:25], v46, s[36:39], 0 offen
	s_waitcnt vmcnt(4)
	v_cvt_f32_f16_sdwa v27, v14 dst_sel:DWORD dst_unused:UNUSED_PAD src0_sel:WORD_1
	v_cvt_f32_f16_e32 v26, v14
	v_cvt_f32_f16_sdwa v29, v15 dst_sel:DWORD dst_unused:UNUSED_PAD src0_sel:WORD_1
	v_cvt_f32_f16_e32 v28, v15
	;; [unrolled: 2-line block ×8, first 2 shown]
	s_load_dwordx2 s[18:19], s[4:5], 0x20
	s_mul_hi_i32 s35, s17, s6
	s_mul_i32 s34, s17, s6
	s_lshl_b64 s[34:35], s[34:35], 1
	s_waitcnt lgkmcnt(0)
	s_add_u32 s36, s18, s34
	s_addc_u32 s17, s19, s35
	s_and_b32 s37, s17, 0xffff
	s_waitcnt vmcnt(1)
	v_cvt_f32_f16_e32 v12, v18
	v_cvt_f32_f16_sdwa v13, v18 dst_sel:DWORD dst_unused:UNUSED_PAD src0_sel:WORD_1
	v_cvt_f32_f16_e32 v18, v19
	v_cvt_f32_f16_sdwa v19, v19 dst_sel:DWORD dst_unused:UNUSED_PAD src0_sel:WORD_1
	;; [unrolled: 2-line block ×4, first 2 shown]
	s_waitcnt vmcnt(0)
	v_cvt_f32_f16_e32 v40, v22
	v_cvt_f32_f16_sdwa v41, v22 dst_sel:DWORD dst_unused:UNUSED_PAD src0_sel:WORD_1
	v_cvt_f32_f16_e32 v42, v23
	v_cvt_f32_f16_sdwa v43, v23 dst_sel:DWORD dst_unused:UNUSED_PAD src0_sel:WORD_1
	;; [unrolled: 2-line block ×4, first 2 shown]
	v_pk_add_f32 v[26:27], v[26:27], v[12:13]
	v_pk_add_f32 v[22:23], v[28:29], v[18:19]
	;; [unrolled: 1-line block ×8, first 2 shown]
	v_cvt_f16_f32_e32 v10, v33
	v_cvt_f16_f32_e32 v14, v32
	;; [unrolled: 1-line block ×16, first 2 shown]
	v_pack_b32_f16 v13, v17, v13
	v_pack_b32_f16 v12, v16, v12
	;; [unrolled: 1-line block ×8, first 2 shown]
	buffer_store_dwordx4 v[10:13], v46, s[36:39], 0 offen
	;;#ASMSTART
	s_nop 0
	;;#ASMEND
	buffer_store_dwordx4 v[14:17], v46, s[36:39], 16 offen
	;;#ASMSTART
	s_nop 0
	;;#ASMEND
.LBB1007_10:
	s_or_b64 exec, exec, s[2:3]
.LBB1007_11:
	s_waitcnt vmcnt(3)
	v_mul_f32_e32 v10, v33, v33
	v_fmac_f32_e32 v10, v32, v32
	v_fmac_f32_e32 v10, v30, v30
	v_fmac_f32_e32 v10, v31, v31
	v_fmac_f32_e32 v10, v28, v28
	v_fmac_f32_e32 v10, v29, v29
	v_fmac_f32_e32 v10, v24, v24
	v_fmac_f32_e32 v10, v25, v25
	v_fmac_f32_e32 v10, v26, v26
	v_fmac_f32_e32 v10, v27, v27
	v_fmac_f32_e32 v10, v22, v22
	v_fmac_f32_e32 v10, v23, v23
	v_fmac_f32_e32 v10, v20, v20
	v_fmac_f32_e32 v10, v21, v21
	v_fmac_f32_e32 v10, v18, v18
	v_fmac_f32_e32 v10, v19, v19
	v_and_b32_e32 v12, 63, v0
	v_cmp_eq_u32_e64 s[2:3], 63, v12
	v_mov_b32_dpp v11, v10 quad_perm:[1,0,3,2] row_mask:0xf bank_mask:0xf
	v_add_f32_e32 v10, v10, v11
	s_nop 1
	v_mov_b32_dpp v11, v10 quad_perm:[2,3,0,1] row_mask:0xf bank_mask:0xf
	v_add_f32_e32 v10, v10, v11
	s_nop 1
	v_mov_b32_dpp v11, v10 row_half_mirror row_mask:0xf bank_mask:0xf
	v_add_f32_e32 v10, v10, v11
	s_nop 1
	v_mov_b32_dpp v11, v10 row_mirror row_mask:0xf bank_mask:0xf
	v_add_f32_e32 v10, v10, v11
	s_nop 1
	v_mov_b32_dpp v11, v10 row_bcast:15 row_mask:0xf bank_mask:0xf
	v_add_f32_e32 v10, v10, v11
	s_nop 1
	v_mov_b32_dpp v11, v10 row_bcast:31 row_mask:0xf bank_mask:0xf
	s_waitcnt lgkmcnt(0)
	s_and_saveexec_b64 s[18:19], s[2:3]
	s_cbranch_execz .LBB1007_13
; %bb.12:
	v_add_f32_e32 v10, v10, v11
	v_lshrrev_b32_e32 v11, 4, v0
	v_and_b32_e32 v11, 60, v11
	ds_write_b32 v11, v10 offset:32
.LBB1007_13:
	s_or_b64 exec, exec, s[18:19]
	v_and_b32_e32 v10, 7, v0
	v_lshlrev_b32_e32 v34, 2, v10
	s_waitcnt lgkmcnt(0)
	s_barrier
	ds_read_b32 v10, v34 offset:32
	s_load_dwordx2 s[18:19], s[4:5], 0x18
	s_waitcnt lgkmcnt(0)
	v_mov_b32_dpp v11, v10 quad_perm:[1,0,3,2] row_mask:0xf bank_mask:0xf
	v_add_f32_e32 v10, v10, v11
	s_nop 1
	v_mov_b32_dpp v11, v10 quad_perm:[2,3,0,1] row_mask:0xf bank_mask:0xf
	v_add_f32_e32 v10, v10, v11
	s_nop 1
	v_mov_b32_dpp v11, v10 row_half_mirror row_mask:0xf bank_mask:0xf
	s_and_saveexec_b64 s[34:35], s[0:1]
	s_cbranch_execnz .LBB1007_18
; %bb.14:
	s_or_b64 exec, exec, s[34:35]
	s_mov_b64 s[8:9], -1
	s_and_b64 vcc, exec, s[30:31]
	s_cbranch_vccnz .LBB1007_19
.LBB1007_15:
	s_andn2_b64 vcc, exec, s[8:9]
	s_cbranch_vccz .LBB1007_22
.LBB1007_16:
	s_cmp_lt_i32 s24, 1
	s_cbranch_scc0 .LBB1007_31
.LBB1007_17:
	s_endpgm
.LBB1007_18:
	v_cvt_f32_u32_e32 v12, s7
	v_add_f32_e32 v10, v10, v11
	s_waitcnt vmcnt(2)
	v_mov_b32_e32 v14, s21
	v_mov_b32_e32 v15, s20
	v_div_scale_f32 v11, s[36:37], v12, v12, v10
	v_rcp_f32_e32 v13, v11
	v_cndmask_b32_e64 v14, v14, v15, s[8:9]
	s_mov_b32 s7, 0x800000
	s_waitcnt vmcnt(1)
	v_cvt_f32_f16_sdwa v37, v9 dst_sel:DWORD dst_unused:UNUSED_PAD src0_sel:WORD_1
	v_fma_f32 v15, -v11, v13, 1.0
	v_fmac_f32_e32 v13, v15, v13
	v_div_scale_f32 v15, vcc, v10, v12, v10
	v_mul_f32_e32 v16, v15, v13
	v_fma_f32 v17, -v11, v16, v15
	v_fmac_f32_e32 v16, v17, v13
	v_fma_f32 v11, -v11, v16, v15
	v_div_fmas_f32 v11, v11, v13, v16
	v_div_fixup_f32 v10, v11, v12, v10
	v_add_f32_e32 v10, v14, v10
	v_mul_f32_e32 v11, 0x4b800000, v10
	v_cmp_gt_f32_e32 vcc, s7, v10
	v_cndmask_b32_e32 v10, v10, v11, vcc
	v_rsq_f32_e32 v10, v10
	v_cvt_f32_f16_e32 v36, v9
	s_waitcnt vmcnt(0)
	v_cvt_f32_f16_sdwa v9, v3 dst_sel:DWORD dst_unused:UNUSED_PAD src0_sel:WORD_1
	v_mul_f32_e32 v11, 0x45800000, v10
	v_cndmask_b32_e32 v10, v10, v11, vcc
	v_mov_b32_e32 v11, v10
	;;#ASMSTART
	v_pk_mul_f32 v[12:13], v[32:33], v[10:11]
	;;#ASMEND
	;;#ASMSTART
	v_pk_mul_f32 v[14:15], v[30:31], v[10:11]
	;;#ASMEND
	;; [unrolled: 3-line block ×8, first 2 shown]
	v_cvt_f32_f16_sdwa v19, v6 dst_sel:DWORD dst_unused:UNUSED_PAD src0_sel:WORD_1
	v_cvt_f32_f16_e32 v18, v6
	v_cvt_f32_f16_sdwa v29, v7 dst_sel:DWORD dst_unused:UNUSED_PAD src0_sel:WORD_1
	v_cvt_f32_f16_e32 v28, v7
	;; [unrolled: 2-line block ×3, first 2 shown]
	;;#ASMSTART
	v_pk_mul_f32 v[32:33], v[12:13], v[18:19]
	;;#ASMEND
	;;#ASMSTART
	v_pk_mul_f32 v[30:31], v[14:15], v[28:29]
	;;#ASMEND
	;; [unrolled: 3-line block ×4, first 2 shown]
	v_cvt_f32_f16_sdwa v7, v2 dst_sel:DWORD dst_unused:UNUSED_PAD src0_sel:WORD_1
	v_cvt_f32_f16_e32 v6, v2
	v_cvt_f32_f16_e32 v8, v3
	v_cvt_f32_f16_sdwa v3, v4 dst_sel:DWORD dst_unused:UNUSED_PAD src0_sel:WORD_1
	v_cvt_f32_f16_e32 v2, v4
	v_cvt_f32_f16_sdwa v13, v5 dst_sel:DWORD dst_unused:UNUSED_PAD src0_sel:WORD_1
	v_cvt_f32_f16_e32 v12, v5
	;;#ASMSTART
	v_pk_mul_f32 v[26:27], v[26:27], v[6:7]
	;;#ASMEND
	;;#ASMSTART
	v_pk_mul_f32 v[22:23], v[22:23], v[8:9]
	;;#ASMEND
	;; [unrolled: 3-line block ×4, first 2 shown]
	s_or_b64 exec, exec, s[34:35]
	s_mov_b64 s[8:9], -1
	s_and_b64 vcc, exec, s[30:31]
	s_cbranch_vccz .LBB1007_15
.LBB1007_19:
	s_and_saveexec_b64 s[8:9], s[0:1]
	s_cbranch_execz .LBB1007_21
; %bb.20:
	s_mul_hi_i32 s31, s16, s6
	s_mul_i32 s30, s16, s6
	s_waitcnt vmcnt(0)
	v_cvt_f16_f32_e32 v2, v32
	v_cvt_f16_f32_e32 v3, v30
	;; [unrolled: 1-line block ×8, first 2 shown]
	s_lshl_b64 s[30:31], s[30:31], 1
	s_add_u32 s36, s18, s30
	s_addc_u32 s7, s19, s31
	s_and_b32 s37, s7, 0xffff
	s_mov_b32 s39, 0x20000
	v_pack_b32_f16 v5, v5, v6
	v_pack_b32_f16 v4, v4, v7
	;; [unrolled: 1-line block ×4, first 2 shown]
	v_lshlrev_b32_e32 v6, 5, v0
	buffer_store_dwordx4 v[2:5], v6, s[36:39], 0 offen
	v_cvt_f16_f32_e32 v7, v19
	v_cvt_f16_f32_e32 v2, v26
	v_cvt_f16_f32_e32 v3, v22
	v_cvt_f16_f32_e32 v4, v20
	v_cvt_f16_f32_e32 v5, v18
	v_cvt_f16_f32_e32 v8, v21
	v_cvt_f16_f32_e32 v9, v23
	v_cvt_f16_f32_e32 v10, v27
	v_pack_b32_f16 v5, v5, v7
	v_pack_b32_f16 v4, v4, v8
	;; [unrolled: 1-line block ×4, first 2 shown]
	;;#ASMSTART
	s_nop 0
	;;#ASMEND
	buffer_store_dwordx4 v[2:5], v6, s[36:39], 16 offen
	;;#ASMSTART
	s_nop 0
	;;#ASMEND
.LBB1007_21:
	s_or_b64 exec, exec, s[8:9]
	s_cbranch_execnz .LBB1007_16
.LBB1007_22:
	s_waitcnt vmcnt(0)
	v_mov_b32_e32 v2, 0
	s_and_saveexec_b64 s[8:9], s[0:1]
	s_cbranch_execz .LBB1007_24
; %bb.23:
	s_load_dwordx2 s[30:31], s[4:5], 0x10
	s_mul_hi_i32 s35, s15, s6
	s_mul_i32 s34, s15, s6
	v_cvt_f16_f32_e32 v2, v32
	v_cvt_f16_f32_e32 v3, v30
	;; [unrolled: 1-line block ×8, first 2 shown]
	s_lshl_b64 s[34:35], s[34:35], 1
	s_waitcnt lgkmcnt(0)
	s_add_u32 s36, s30, s34
	s_addc_u32 s7, s31, s35
	s_mov_b32 s39, 0x20000
	s_and_b32 s37, s7, 0xffff
	v_pack_b32_f16 v5, v5, v6
	v_pack_b32_f16 v4, v4, v7
	;; [unrolled: 1-line block ×4, first 2 shown]
	v_lshlrev_b32_e32 v6, 5, v0
	buffer_store_dwordx4 v[2:5], v6, s[36:39], 0 offen
	v_cvt_f16_f32_e32 v7, v19
	v_cvt_f16_f32_e32 v2, v26
	;; [unrolled: 1-line block ×8, first 2 shown]
	v_pack_b32_f16 v5, v5, v7
	v_pack_b32_f16 v4, v4, v8
	;; [unrolled: 1-line block ×4, first 2 shown]
	;;#ASMSTART
	s_nop 0
	;;#ASMEND
	buffer_store_dwordx4 v[2:5], v6, s[36:39], 16 offen
	;;#ASMSTART
	s_nop 0
	;;#ASMEND
	s_nop 0
	v_mov_b32_e32 v2, 0x2edbe6ff
.LBB1007_24:
	s_or_b64 exec, exec, s[8:9]
	s_and_saveexec_b64 s[8:9], s[0:1]
	s_cbranch_execz .LBB1007_26
; %bb.25:
	v_and_b32_e32 v3, 0x7fffffff, v32
	v_and_b32_e32 v4, 0x7fffffff, v33
	;;#ASMSTART
	v_max3_f32 v2, v2, v3, v4

	;;#ASMEND
	v_and_b32_e32 v3, 0x7fffffff, v30
	v_and_b32_e32 v4, 0x7fffffff, v31
	;;#ASMSTART
	v_max3_f32 v2, v2, v3, v4

	;;#ASMEND
	;; [unrolled: 6-line block ×8, first 2 shown]
.LBB1007_26:
	s_or_b64 exec, exec, s[8:9]
	;;#ASMSTART
	v_max_f32 v3, v2, v2 quad_perm:[1,0,3,2] row_mask:0xf bank_mask:0xf bound_ctrl:1
	;;#ASMEND
	v_and_b32_e32 v2, 1, v0
	v_cmp_eq_u32_e32 vcc, 0, v2
	v_cmp_gt_i32_e64 s[8:9], s23, v1
	s_and_b64 s[30:31], vcc, s[8:9]
	s_and_saveexec_b64 s[8:9], s[30:31]
	s_cbranch_execz .LBB1007_28
; %bb.27:
	s_load_dwordx2 s[30:31], s[4:5], 0x8
	v_mul_f32_e32 v2, 0x3e2aaaab, v3
	v_lshrrev_b32_e32 v3, 23, v2
	v_and_b32_e32 v4, 0x7f800000, v2
	v_and_b32_e32 v2, 0x7fffff, v2
	v_cmp_ne_u32_e32 vcc, 0, v2
	s_mul_hi_i32 s15, s13, s6
	s_mul_i32 s13, s13, s6
	s_mov_b32 s7, 0x7f800000
	v_addc_co_u32_e32 v2, vcc, 0, v3, vcc
	s_waitcnt lgkmcnt(0)
	s_add_u32 s30, s30, s13
	v_cmp_ne_u32_e32 vcc, s7, v4
	s_addc_u32 s31, s31, s15
	v_lshrrev_b32_e32 v5, 1, v0
	v_cndmask_b32_e32 v4, -1, v2, vcc
	v_pk_mov_b32 v[2:3], s[30:31], s[30:31] op_sel:[0,1]
	v_mad_i64_i32 v[2:3], s[14:15], s14, v5, v[2:3]
	global_store_byte v[2:3], v4, off
.LBB1007_28:
	s_or_b64 exec, exec, s[8:9]
	s_and_saveexec_b64 s[8:9], s[0:1]
	s_cbranch_execz .LBB1007_30
; %bb.29:
	s_load_dwordx2 s[0:1], s[4:5], 0x0
	s_mul_hi_i32 s7, s12, s6
	s_mul_i32 s12, s12, s6
	v_mov_b32_e32 v2, 0
	v_lshlrev_b32_e32 v4, 3, v0
	s_waitcnt lgkmcnt(0)
	s_add_u32 s12, s0, s12
	s_addc_u32 s0, s1, s7
	s_lshr_b32 s1, s23, 31
	s_add_i32 s1, s23, s1
	s_ashr_i32 s1, s1, 1
	s_add_i32 s1, s1, 3
	s_ashr_i32 s7, s1, 31
	s_lshr_b32 s7, s7, 30
	s_add_i32 s1, s1, s7
	s_and_b32 s14, s1, -4
	s_and_b32 s13, s0, 0xffff
	s_mov_b32 s15, 0x20000
	v_mov_b32_e32 v3, v2
	buffer_store_dwordx2 v[2:3], v4, s[12:15], 0 offen
	;;#ASMSTART
	s_nop 0
	;;#ASMEND
.LBB1007_30:
	s_or_b64 exec, exec, s[8:9]
	s_cmp_lt_i32 s24, 1
	s_cbranch_scc1 .LBB1007_17
.LBB1007_31:
	s_load_dword s0, s[4:5], 0x94
	s_waitcnt lgkmcnt(0)
	s_cmp_lg_u32 s0, 1
	s_cbranch_scc1 .LBB1007_17
; %bb.32:
	s_lshl_b32 s0, s24, 1
	s_add_i32 s0, s0, 2
	v_cmp_gt_u32_e32 vcc, s24, v1
	s_and_b32 s30, s0, -4
	v_mov_b32_e32 v18, 0
	v_lshlrev_b32_e32 v1, 5, v0
	s_waitcnt vmcnt(2)
	v_mov_b32_e32 v14, 0
	v_mov_b32_e32 v15, 0
	;; [unrolled: 1-line block ×8, first 2 shown]
	s_waitcnt vmcnt(1)
	v_mov_b32_e32 v6, 0
	v_mov_b32_e32 v7, 0
	;; [unrolled: 1-line block ×4, first 2 shown]
	s_waitcnt vmcnt(0)
	v_mov_b32_e32 v2, 0
	v_mov_b32_e32 v3, 0
	;; [unrolled: 1-line block ×4, first 2 shown]
	s_barrier
	s_and_saveexec_b64 s[0:1], vcc
	s_cbranch_execz .LBB1007_34
; %bb.33:
	s_mul_hi_i32 s5, s26, s6
	s_mul_i32 s4, s26, s6
	s_and_b32 s29, s29, 0xffff
	s_lshl_b64 s[4:5], s[4:5], 1
	s_add_u32 s8, s10, s4
	s_mov_b32 s31, 0x20000
	s_addc_u32 s4, s11, s5
	s_and_b32 s9, s4, 0xffff
	s_mov_b32 s10, s30
	s_mov_b32 s11, s31
	buffer_load_dwordx4 v[14:17], v1, s[8:11], 0 offen
	buffer_load_dwordx4 v[10:13], v1, s[8:11], 16 offen
	;; [unrolled: 1-line block ×4, first 2 shown]
.LBB1007_34:
	s_or_b64 exec, exec, s[0:1]
	v_mov_b32_e32 v19, 0
	v_mov_b32_e32 v32, 0
	;; [unrolled: 1-line block ×15, first 2 shown]
	s_and_saveexec_b64 s[0:1], vcc
	s_cbranch_execz .LBB1007_36
; %bb.35:
	s_waitcnt vmcnt(3)
	v_cvt_f32_f16_sdwa v19, v14 dst_sel:DWORD dst_unused:UNUSED_PAD src0_sel:WORD_1
	v_cvt_f32_f16_e32 v18, v14
	v_cvt_f32_f16_sdwa v33, v15 dst_sel:DWORD dst_unused:UNUSED_PAD src0_sel:WORD_1
	v_cvt_f32_f16_e32 v32, v15
	;; [unrolled: 2-line block ×4, first 2 shown]
	s_waitcnt vmcnt(2)
	v_cvt_f32_f16_sdwa v27, v10 dst_sel:DWORD dst_unused:UNUSED_PAD src0_sel:WORD_1
	v_cvt_f32_f16_e32 v26, v10
	v_cvt_f32_f16_sdwa v25, v11 dst_sel:DWORD dst_unused:UNUSED_PAD src0_sel:WORD_1
	v_cvt_f32_f16_e32 v24, v11
	;; [unrolled: 2-line block ×4, first 2 shown]
.LBB1007_36:
	s_or_b64 exec, exec, s[0:1]
	s_waitcnt vmcnt(2)
	v_mul_f32_e32 v10, v19, v19
	v_fmac_f32_e32 v10, v18, v18
	v_fmac_f32_e32 v10, v32, v32
	;; [unrolled: 1-line block ×15, first 2 shown]
	s_nop 1
	v_mov_b32_dpp v11, v10 quad_perm:[1,0,3,2] row_mask:0xf bank_mask:0xf
	v_add_f32_e32 v10, v10, v11
	s_nop 1
	v_mov_b32_dpp v11, v10 quad_perm:[2,3,0,1] row_mask:0xf bank_mask:0xf
	v_add_f32_e32 v10, v10, v11
	s_nop 1
	v_mov_b32_dpp v11, v10 row_half_mirror row_mask:0xf bank_mask:0xf
	v_add_f32_e32 v10, v10, v11
	s_nop 1
	v_mov_b32_dpp v11, v10 row_mirror row_mask:0xf bank_mask:0xf
	v_add_f32_e32 v10, v10, v11
	s_nop 1
	v_mov_b32_dpp v11, v10 row_bcast:15 row_mask:0xf bank_mask:0xf
	v_add_f32_e32 v10, v10, v11
	s_nop 1
	v_mov_b32_dpp v11, v10 row_bcast:31 row_mask:0xf bank_mask:0xf
	s_and_saveexec_b64 s[0:1], s[2:3]
	s_cbranch_execz .LBB1007_38
; %bb.37:
	v_lshrrev_b32_e32 v0, 4, v0
	v_add_f32_e32 v10, v10, v11
	v_and_b32_e32 v0, 60, v0
	ds_write_b32 v0, v10
.LBB1007_38:
	s_or_b64 exec, exec, s[0:1]
	s_waitcnt lgkmcnt(0)
	s_barrier
	ds_read_b32 v0, v34
	s_waitcnt lgkmcnt(0)
	s_nop 0
	v_mov_b32_dpp v10, v0 quad_perm:[1,0,3,2] row_mask:0xf bank_mask:0xf
	v_add_f32_e32 v0, v0, v10
	s_nop 1
	v_mov_b32_dpp v10, v0 quad_perm:[2,3,0,1] row_mask:0xf bank_mask:0xf
	v_add_f32_e32 v0, v0, v10
	s_nop 1
	v_mov_b32_dpp v10, v0 row_half_mirror row_mask:0xf bank_mask:0xf
	s_and_saveexec_b64 s[0:1], vcc
	s_cbranch_execz .LBB1007_17
; %bb.39:
	v_cvt_f32_u32_e32 v11, s24
	v_add_f32_e32 v0, v0, v10
	s_mov_b32 s31, 0x20000
	v_div_scale_f32 v10, s[0:1], v11, v11, v0
	v_rcp_f32_e32 v12, v10
	v_div_scale_f32 v13, vcc, v0, v11, v0
	s_mov_b32 s0, 0x800000
	v_fma_f32 v14, -v10, v12, 1.0
	v_fmac_f32_e32 v12, v14, v12
	v_mul_f32_e32 v14, v13, v12
	v_fma_f32 v15, -v10, v14, v13
	v_fmac_f32_e32 v14, v15, v12
	v_fma_f32 v10, -v10, v14, v13
	v_div_fmas_f32 v10, v10, v12, v14
	v_div_fixup_f32 v0, v10, v11, v0
	v_add_f32_e32 v0, s21, v0
	v_mul_f32_e32 v10, 0x4b800000, v0
	v_cmp_gt_f32_e32 vcc, s0, v0
	v_cndmask_b32_e32 v0, v0, v10, vcc
	v_rsq_f32_e32 v0, v0
	s_mul_hi_i32 s1, s16, s6
	s_mul_i32 s0, s16, s6
	s_lshl_b64 s[0:1], s[0:1], 1
	v_mul_f32_e32 v10, 0x45800000, v0
	v_cndmask_b32_e32 v10, v0, v10, vcc
	v_mov_b32_e32 v11, v10
	;;#ASMSTART
	v_pk_mul_f32 v[12:13], v[18:19], v[10:11]
	;;#ASMEND
	;;#ASMSTART
	v_pk_mul_f32 v[14:15], v[32:33], v[10:11]
	;;#ASMEND
	;; [unrolled: 3-line block ×8, first 2 shown]
	s_waitcnt vmcnt(1)
	v_cvt_f32_f16_sdwa v21, v6 dst_sel:DWORD dst_unused:UNUSED_PAD src0_sel:WORD_1
	v_cvt_f32_f16_e32 v20, v6
	v_cvt_f32_f16_sdwa v29, v7 dst_sel:DWORD dst_unused:UNUSED_PAD src0_sel:WORD_1
	v_cvt_f32_f16_e32 v28, v7
	;; [unrolled: 2-line block ×4, first 2 shown]
	;;#ASMSTART
	v_pk_mul_f32 v[8:9], v[12:13], v[20:21]
	;;#ASMEND
	;;#ASMSTART
	v_pk_mul_f32 v[12:13], v[14:15], v[28:29]
	;;#ASMEND
	;; [unrolled: 3-line block ×4, first 2 shown]
	s_waitcnt vmcnt(0)
	v_cvt_f32_f16_sdwa v17, v2 dst_sel:DWORD dst_unused:UNUSED_PAD src0_sel:WORD_1
	v_cvt_f32_f16_e32 v16, v2
	v_cvt_f32_f16_sdwa v19, v3 dst_sel:DWORD dst_unused:UNUSED_PAD src0_sel:WORD_1
	v_cvt_f32_f16_e32 v18, v3
	;; [unrolled: 2-line block ×4, first 2 shown]
	;;#ASMSTART
	v_pk_mul_f32 v[16:17], v[26:27], v[16:17]
	;;#ASMEND
	;;#ASMSTART
	v_pk_mul_f32 v[18:19], v[24:25], v[18:19]
	;;#ASMEND
	;; [unrolled: 3-line block ×3, first 2 shown]
	v_cvt_f16_f32_e32 v0, v8
	v_cvt_f16_f32_e32 v2, v9
	;; [unrolled: 1-line block ×8, first 2 shown]
	s_add_u32 s28, s18, s0
	s_addc_u32 s0, s19, s1
	s_and_b32 s29, s0, 0xffff
	v_pack_b32_f16 v2, v0, v2
	v_pack_b32_f16 v3, v3, v4
	;; [unrolled: 1-line block ×4, first 2 shown]
	;;#ASMSTART
	v_pk_mul_f32 v[10:11], v[10:11], v[20:21]
	;;#ASMEND
	buffer_store_dwordx4 v[2:5], v1, s[28:31], 0 offen
	v_cvt_f16_f32_e32 v0, v16
	v_cvt_f16_f32_e32 v2, v17
	;; [unrolled: 1-line block ×8, first 2 shown]
	v_pack_b32_f16 v2, v0, v2
	v_pack_b32_f16 v3, v3, v4
	;; [unrolled: 1-line block ×4, first 2 shown]
	;;#ASMSTART
	s_nop 0
	;;#ASMEND
	buffer_store_dwordx4 v[2:5], v1, s[28:31], 16 offen
	;;#ASMSTART
	s_nop 0
	;;#ASMEND
	s_endpgm
	.section	.rodata,"a",@progbits
	.p2align	6, 0x0
	.amdhsa_kernel _ZN5aiter35fused_qk_rmsnorm_group_quant_kernelIDF16_N4opus5fp4_tELi512ELi16ELi2ELb1ELb1ELb0ELb0ELb0ELb0EEEvPT0_PvPT_S7_S7_PKS6_S9_S9_S9_S9_ffiiiiiiiiiiiii
		.amdhsa_group_segment_fixed_size 64
		.amdhsa_private_segment_fixed_size 0
		.amdhsa_kernarg_size 400
		.amdhsa_user_sgpr_count 6
		.amdhsa_user_sgpr_private_segment_buffer 1
		.amdhsa_user_sgpr_dispatch_ptr 0
		.amdhsa_user_sgpr_queue_ptr 0
		.amdhsa_user_sgpr_kernarg_segment_ptr 1
		.amdhsa_user_sgpr_dispatch_id 0
		.amdhsa_user_sgpr_flat_scratch_init 0
		.amdhsa_user_sgpr_kernarg_preload_length 0
		.amdhsa_user_sgpr_kernarg_preload_offset 0
		.amdhsa_user_sgpr_private_segment_size 0
		.amdhsa_uses_dynamic_stack 0
		.amdhsa_system_sgpr_private_segment_wavefront_offset 0
		.amdhsa_system_sgpr_workgroup_id_x 1
		.amdhsa_system_sgpr_workgroup_id_y 1
		.amdhsa_system_sgpr_workgroup_id_z 0
		.amdhsa_system_sgpr_workgroup_info 0
		.amdhsa_system_vgpr_workitem_id 0
		.amdhsa_next_free_vgpr 47
		.amdhsa_next_free_sgpr 44
		.amdhsa_accum_offset 48
		.amdhsa_reserve_vcc 1
		.amdhsa_reserve_flat_scratch 0
		.amdhsa_float_round_mode_32 0
		.amdhsa_float_round_mode_16_64 0
		.amdhsa_float_denorm_mode_32 3
		.amdhsa_float_denorm_mode_16_64 3
		.amdhsa_dx10_clamp 1
		.amdhsa_ieee_mode 1
		.amdhsa_fp16_overflow 0
		.amdhsa_tg_split 0
		.amdhsa_exception_fp_ieee_invalid_op 0
		.amdhsa_exception_fp_denorm_src 0
		.amdhsa_exception_fp_ieee_div_zero 0
		.amdhsa_exception_fp_ieee_overflow 0
		.amdhsa_exception_fp_ieee_underflow 0
		.amdhsa_exception_fp_ieee_inexact 0
		.amdhsa_exception_int_div_zero 0
	.end_amdhsa_kernel
	.section	.text._ZN5aiter35fused_qk_rmsnorm_group_quant_kernelIDF16_N4opus5fp4_tELi512ELi16ELi2ELb1ELb1ELb0ELb0ELb0ELb0EEEvPT0_PvPT_S7_S7_PKS6_S9_S9_S9_S9_ffiiiiiiiiiiiii,"axG",@progbits,_ZN5aiter35fused_qk_rmsnorm_group_quant_kernelIDF16_N4opus5fp4_tELi512ELi16ELi2ELb1ELb1ELb0ELb0ELb0ELb0EEEvPT0_PvPT_S7_S7_PKS6_S9_S9_S9_S9_ffiiiiiiiiiiiii,comdat
.Lfunc_end1007:
	.size	_ZN5aiter35fused_qk_rmsnorm_group_quant_kernelIDF16_N4opus5fp4_tELi512ELi16ELi2ELb1ELb1ELb0ELb0ELb0ELb0EEEvPT0_PvPT_S7_S7_PKS6_S9_S9_S9_S9_ffiiiiiiiiiiiii, .Lfunc_end1007-_ZN5aiter35fused_qk_rmsnorm_group_quant_kernelIDF16_N4opus5fp4_tELi512ELi16ELi2ELb1ELb1ELb0ELb0ELb0ELb0EEEvPT0_PvPT_S7_S7_PKS6_S9_S9_S9_S9_ffiiiiiiiiiiiii
                                        ; -- End function
	.section	.AMDGPU.csdata,"",@progbits
; Kernel info:
; codeLenInByte = 4008
; NumSgprs: 48
; NumVgprs: 47
; NumAgprs: 0
; TotalNumVgprs: 47
; ScratchSize: 0
; MemoryBound: 0
; FloatMode: 240
; IeeeMode: 1
; LDSByteSize: 64 bytes/workgroup (compile time only)
; SGPRBlocks: 5
; VGPRBlocks: 5
; NumSGPRsForWavesPerEU: 48
; NumVGPRsForWavesPerEU: 47
; AccumOffset: 48
; Occupancy: 8
; WaveLimiterHint : 0
; COMPUTE_PGM_RSRC2:SCRATCH_EN: 0
; COMPUTE_PGM_RSRC2:USER_SGPR: 6
; COMPUTE_PGM_RSRC2:TRAP_HANDLER: 0
; COMPUTE_PGM_RSRC2:TGID_X_EN: 1
; COMPUTE_PGM_RSRC2:TGID_Y_EN: 1
; COMPUTE_PGM_RSRC2:TGID_Z_EN: 0
; COMPUTE_PGM_RSRC2:TIDIG_COMP_CNT: 0
; COMPUTE_PGM_RSRC3_GFX90A:ACCUM_OFFSET: 11
; COMPUTE_PGM_RSRC3_GFX90A:TG_SPLIT: 0
	.section	.text._ZN5aiter35fused_qk_rmsnorm_group_quant_kernelItN4opus5fp4_tELi512ELi16ELi2ELb1ELb1ELb0ELb0ELb0ELb0EEEvPT0_PvPT_S7_S7_PKS6_S9_S9_S9_S9_ffiiiiiiiiiiiii,"axG",@progbits,_ZN5aiter35fused_qk_rmsnorm_group_quant_kernelItN4opus5fp4_tELi512ELi16ELi2ELb1ELb1ELb0ELb0ELb0ELb0EEEvPT0_PvPT_S7_S7_PKS6_S9_S9_S9_S9_ffiiiiiiiiiiiii,comdat
	.protected	_ZN5aiter35fused_qk_rmsnorm_group_quant_kernelItN4opus5fp4_tELi512ELi16ELi2ELb1ELb1ELb0ELb0ELb0ELb0EEEvPT0_PvPT_S7_S7_PKS6_S9_S9_S9_S9_ffiiiiiiiiiiiii ; -- Begin function _ZN5aiter35fused_qk_rmsnorm_group_quant_kernelItN4opus5fp4_tELi512ELi16ELi2ELb1ELb1ELb0ELb0ELb0ELb0EEEvPT0_PvPT_S7_S7_PKS6_S9_S9_S9_S9_ffiiiiiiiiiiiii
	.globl	_ZN5aiter35fused_qk_rmsnorm_group_quant_kernelItN4opus5fp4_tELi512ELi16ELi2ELb1ELb1ELb0ELb0ELb0ELb0EEEvPT0_PvPT_S7_S7_PKS6_S9_S9_S9_S9_ffiiiiiiiiiiiii
	.p2align	8
	.type	_ZN5aiter35fused_qk_rmsnorm_group_quant_kernelItN4opus5fp4_tELi512ELi16ELi2ELb1ELb1ELb0ELb0ELb0ELb0EEEvPT0_PvPT_S7_S7_PKS6_S9_S9_S9_S9_ffiiiiiiiiiiiii,@function
_ZN5aiter35fused_qk_rmsnorm_group_quant_kernelItN4opus5fp4_tELi512ELi16ELi2ELb1ELb1ELb0ELb0ELb0ELb0EEEvPT0_PvPT_S7_S7_PKS6_S9_S9_S9_S9_ffiiiiiiiiiiiii: ; @_ZN5aiter35fused_qk_rmsnorm_group_quant_kernelItN4opus5fp4_tELi512ELi16ELi2ELb1ELb1ELb0ELb0ELb0ELb0EEEvPT0_PvPT_S7_S7_PKS6_S9_S9_S9_S9_ffiiiiiiiiiiiii
; %bb.0:
	s_load_dwordx8 s[20:27], s[4:5], 0x50
	s_waitcnt lgkmcnt(0)
	s_cmp_ge_i32 s6, s22
	s_cbranch_scc1 .LBB1008_17
; %bb.1:
	s_load_dwordx2 s[28:29], s[4:5], 0x48
	s_load_dwordx2 s[10:11], s[4:5], 0x30
	s_load_dwordx8 s[12:19], s[4:5], 0x70
	s_cmp_lg_u32 s7, 0
	s_waitcnt lgkmcnt(0)
	s_cselect_b64 s[18:19], -1, 0
	s_cmp_eq_u32 s7, 0
	s_cselect_b64 s[8:9], -1, 0
	s_and_b64 s[0:1], s[8:9], exec
	s_cselect_b32 s7, s23, s24
	s_add_i32 s0, s7, 1
	s_lshr_b32 s1, s0, 31
	s_add_i32 s0, s0, s1
	s_lshl_b32 s0, s0, 1
	v_lshlrev_b32_e32 v1, 4, v0
	s_and_b32 s38, s0, -4
	v_cmp_gt_i32_e64 s[0:1], s7, v1
	v_mov_b32_e32 v80, 0
	v_mov_b32_e32 v81, 0
	;; [unrolled: 1-line block ×16, first 2 shown]
	s_and_saveexec_b64 s[2:3], s[0:1]
	s_cbranch_execz .LBB1008_3
; %bb.2:
	s_load_dwordx2 s[30:31], s[4:5], 0x28
	s_load_dwordx2 s[34:35], s[4:5], 0x40
	s_and_b64 s[36:37], s[8:9], exec
	s_cselect_b32 s22, s25, s26
	s_mov_b32 s39, 0x20000
	s_waitcnt lgkmcnt(0)
	s_cselect_b32 s25, s31, s11
	s_cselect_b32 s33, s30, s10
	s_mul_hi_i32 s31, s22, s6
	s_mul_i32 s30, s22, s6
	s_lshl_b64 s[30:31], s[30:31], 1
	s_add_u32 s40, s33, s30
	s_addc_u32 s22, s25, s31
	s_and_b64 s[30:31], s[8:9], exec
	s_cselect_b32 s36, s34, s28
	s_cselect_b32 s25, s35, s29
	s_and_b32 s41, s22, 0xffff
	s_mov_b32 s42, s38
	s_mov_b32 s43, s39
	v_lshlrev_b32_e32 v2, 5, v0
	s_and_b32 s37, s25, 0xffff
	buffer_load_dwordx4 v[84:87], v2, s[40:43], 0 offen
	buffer_load_dwordx4 v[88:91], v2, s[40:43], 16 offen
	;; [unrolled: 1-line block ×4, first 2 shown]
.LBB1008_3:
	s_or_b64 exec, exec, s[2:3]
	s_and_b64 vcc, exec, s[18:19]
	s_cbranch_vccz .LBB1008_7
; %bb.4:
	v_mov_b32_e32 v93, 0
	v_mov_b32_e32 v92, 0
	;; [unrolled: 1-line block ×16, first 2 shown]
	s_and_saveexec_b64 s[2:3], s[0:1]
	s_cbranch_execz .LBB1008_6
; %bb.5:
	s_waitcnt vmcnt(3)
	v_cvt_f32_u32_sdwa v32, v84 dst_sel:DWORD dst_unused:UNUSED_PAD src0_sel:WORD_0
	v_cvt_f32_u32_sdwa v33, v84 dst_sel:DWORD dst_unused:UNUSED_PAD src0_sel:WORD_1
	v_cvt_f32_u32_sdwa v18, v85 dst_sel:DWORD dst_unused:UNUSED_PAD src0_sel:WORD_0
	v_cvt_f32_u32_sdwa v19, v85 dst_sel:DWORD dst_unused:UNUSED_PAD src0_sel:WORD_1
	;; [unrolled: 2-line block ×4, first 2 shown]
	s_waitcnt vmcnt(2)
	v_cvt_f32_u32_sdwa v68, v88 dst_sel:DWORD dst_unused:UNUSED_PAD src0_sel:WORD_0
	v_cvt_f32_u32_sdwa v69, v88 dst_sel:DWORD dst_unused:UNUSED_PAD src0_sel:WORD_1
	v_cvt_f32_u32_sdwa v62, v89 dst_sel:DWORD dst_unused:UNUSED_PAD src0_sel:WORD_0
	v_cvt_f32_u32_sdwa v63, v89 dst_sel:DWORD dst_unused:UNUSED_PAD src0_sel:WORD_1
	;; [unrolled: 2-line block ×4, first 2 shown]
.LBB1008_6:
	s_or_b64 exec, exec, s[2:3]
	s_cbranch_execz .LBB1008_8
	s_branch .LBB1008_11
.LBB1008_7:
                                        ; implicit-def: $vgpr32_vgpr33_vgpr34_vgpr35_vgpr36_vgpr37_vgpr38_vgpr39_vgpr40_vgpr41_vgpr42_vgpr43_vgpr44_vgpr45_vgpr46_vgpr47
                                        ; implicit-def: $vgpr46_vgpr47_vgpr48_vgpr49_vgpr50_vgpr51_vgpr52_vgpr53_vgpr54_vgpr55_vgpr56_vgpr57_vgpr58_vgpr59_vgpr60_vgpr61
                                        ; implicit-def: $vgpr16_vgpr17_vgpr18_vgpr19_vgpr20_vgpr21_vgpr22_vgpr23_vgpr24_vgpr25_vgpr26_vgpr27_vgpr28_vgpr29_vgpr30_vgpr31
                                        ; implicit-def: $vgpr93
                                        ; implicit-def: $vgpr2_vgpr3_vgpr4_vgpr5_vgpr6_vgpr7_vgpr8_vgpr9_vgpr10_vgpr11_vgpr12_vgpr13_vgpr14_vgpr15_vgpr16_vgpr17
                                        ; implicit-def: $vgpr60_vgpr61_vgpr62_vgpr63_vgpr64_vgpr65_vgpr66_vgpr67_vgpr68_vgpr69_vgpr70_vgpr71_vgpr72_vgpr73_vgpr74_vgpr75
                                        ; implicit-def: $vgpr34_vgpr35_vgpr36_vgpr37_vgpr38_vgpr39_vgpr40_vgpr41_vgpr42_vgpr43_vgpr44_vgpr45_vgpr46_vgpr47_vgpr48_vgpr49
                                        ; implicit-def: $vgpr52_vgpr53_vgpr54_vgpr55_vgpr56_vgpr57_vgpr58_vgpr59_vgpr60_vgpr61_vgpr62_vgpr63_vgpr64_vgpr65_vgpr66_vgpr67
.LBB1008_8:
	v_mov_b32_e32 v93, 0
	v_mov_b32_e32 v92, 0
	v_mov_b32_e32 v15, 0
	v_mov_b32_e32 v14, 0
	v_mov_b32_e32 v63, 0
	v_mov_b32_e32 v62, 0
	v_mov_b32_e32 v69, 0
	v_mov_b32_e32 v68, 0
	v_mov_b32_e32 v41, 0
	v_mov_b32_e32 v40, 0
	v_mov_b32_e32 v51, 0
	v_mov_b32_e32 v50, 0
	v_mov_b32_e32 v19, 0
	v_mov_b32_e32 v18, 0
	v_mov_b32_e32 v33, 0
	v_mov_b32_e32 v32, 0
	s_and_saveexec_b64 s[2:3], s[0:1]
	s_cbranch_execz .LBB1008_10
; %bb.9:
	s_load_dwordx2 s[30:31], s[4:5], 0x38
	s_mul_hi_i32 s35, s27, s6
	s_mul_i32 s34, s27, s6
	s_lshl_b64 s[34:35], s[34:35], 1
	s_mov_b32 s39, 0x20000
	s_waitcnt lgkmcnt(0)
	s_add_u32 s36, s30, s34
	s_addc_u32 s22, s31, s35
	s_and_b32 s37, s22, 0xffff
	v_lshlrev_b32_e32 v36, 5, v0
	buffer_load_dwordx4 v[4:7], v36, s[36:39], 16 offen
	buffer_load_dwordx4 v[8:11], v36, s[36:39], 0 offen
	s_load_dwordx2 s[30:31], s[4:5], 0x20
	s_waitcnt vmcnt(5)
	v_cvt_f32_u32_sdwa v21, v84 dst_sel:DWORD dst_unused:UNUSED_PAD src0_sel:WORD_1
	v_cvt_f32_u32_sdwa v20, v84 dst_sel:DWORD dst_unused:UNUSED_PAD src0_sel:WORD_0
	v_cvt_f32_u32_sdwa v19, v85 dst_sel:DWORD dst_unused:UNUSED_PAD src0_sel:WORD_1
	v_cvt_f32_u32_sdwa v18, v85 dst_sel:DWORD dst_unused:UNUSED_PAD src0_sel:WORD_0
	;; [unrolled: 2-line block ×4, first 2 shown]
	s_waitcnt vmcnt(4)
	v_cvt_f32_u32_sdwa v3, v88 dst_sel:DWORD dst_unused:UNUSED_PAD src0_sel:WORD_1
	v_cvt_f32_u32_sdwa v2, v88 dst_sel:DWORD dst_unused:UNUSED_PAD src0_sel:WORD_0
	v_cvt_f32_u32_sdwa v13, v89 dst_sel:DWORD dst_unused:UNUSED_PAD src0_sel:WORD_1
	v_cvt_f32_u32_sdwa v12, v89 dst_sel:DWORD dst_unused:UNUSED_PAD src0_sel:WORD_0
	;; [unrolled: 2-line block ×3, first 2 shown]
	v_cvt_f32_u32_sdwa v16, v91 dst_sel:DWORD dst_unused:UNUSED_PAD src0_sel:WORD_0
	v_cvt_f32_u32_sdwa v17, v91 dst_sel:DWORD dst_unused:UNUSED_PAD src0_sel:WORD_1
	s_mul_hi_i32 s35, s17, s6
	s_mul_i32 s34, s17, s6
	s_lshl_b64 s[34:35], s[34:35], 1
	s_waitcnt lgkmcnt(0)
	s_add_u32 s36, s30, s34
	s_mov_b32 s17, 0x7060302
	s_addc_u32 s22, s31, s35
	s_and_b32 s37, s22, 0xffff
	s_waitcnt vmcnt(1)
	v_cvt_f32_u32_sdwa v27, v4 dst_sel:DWORD dst_unused:UNUSED_PAD src0_sel:WORD_1
	v_cvt_f32_u32_sdwa v26, v4 dst_sel:DWORD dst_unused:UNUSED_PAD src0_sel:WORD_0
	v_cvt_f32_u32_sdwa v29, v5 dst_sel:DWORD dst_unused:UNUSED_PAD src0_sel:WORD_1
	v_cvt_f32_u32_sdwa v28, v5 dst_sel:DWORD dst_unused:UNUSED_PAD src0_sel:WORD_0
	;; [unrolled: 2-line block ×3, first 2 shown]
	v_cvt_f32_u32_sdwa v34, v7 dst_sel:DWORD dst_unused:UNUSED_PAD src0_sel:WORD_0
	v_cvt_f32_u32_sdwa v35, v7 dst_sel:DWORD dst_unused:UNUSED_PAD src0_sel:WORD_1
	s_waitcnt vmcnt(0)
	v_cvt_f32_u32_sdwa v33, v8 dst_sel:DWORD dst_unused:UNUSED_PAD src0_sel:WORD_1
	v_cvt_f32_u32_sdwa v32, v8 dst_sel:DWORD dst_unused:UNUSED_PAD src0_sel:WORD_0
	v_cvt_f32_u32_sdwa v5, v10 dst_sel:DWORD dst_unused:UNUSED_PAD src0_sel:WORD_1
	v_cvt_f32_u32_sdwa v4, v10 dst_sel:DWORD dst_unused:UNUSED_PAD src0_sel:WORD_0
	;; [unrolled: 2-line block ×4, first 2 shown]
	v_pk_add_f32 v[50:51], v[22:23], v[4:5]
	v_pk_add_f32 v[40:41], v[24:25], v[6:7]
	;; [unrolled: 1-line block ×4, first 2 shown]
	v_perm_b32 v7, v41, v40, s17
	v_perm_b32 v6, v51, v50, s17
	;; [unrolled: 1-line block ×4, first 2 shown]
	v_pk_add_f32 v[92:93], v[16:17], v[34:35]
	v_pk_add_f32 v[14:15], v[14:15], v[30:31]
	;; [unrolled: 1-line block ×4, first 2 shown]
	buffer_store_dwordx4 v[4:7], v36, s[36:39], 0 offen
	;;#ASMSTART
	s_nop 0
	;;#ASMEND
	s_nop 0
	v_perm_b32 v7, v93, v92, s17
	v_perm_b32 v6, v15, v14, s17
	;; [unrolled: 1-line block ×4, first 2 shown]
	buffer_store_dwordx4 v[4:7], v36, s[36:39], 16 offen
	;;#ASMSTART
	s_nop 0
	;;#ASMEND
.LBB1008_10:
	s_or_b64 exec, exec, s[2:3]
.LBB1008_11:
	v_mul_f32_e32 v2, v33, v33
	v_fmac_f32_e32 v2, v32, v32
	v_fmac_f32_e32 v2, v18, v18
	;; [unrolled: 1-line block ×15, first 2 shown]
	s_nop 1
	v_mov_b32_dpp v3, v2 quad_perm:[1,0,3,2] row_mask:0xf bank_mask:0xf
	v_add_f32_e32 v2, v2, v3
	s_nop 1
	v_mov_b32_dpp v3, v2 quad_perm:[2,3,0,1] row_mask:0xf bank_mask:0xf
	v_add_f32_e32 v2, v2, v3
	s_nop 1
	v_mov_b32_dpp v3, v2 row_half_mirror row_mask:0xf bank_mask:0xf
	v_add_f32_e32 v2, v2, v3
	s_nop 1
	v_mov_b32_dpp v3, v2 row_mirror row_mask:0xf bank_mask:0xf
	v_add_f32_e32 v2, v2, v3
	s_nop 1
	v_mov_b32_dpp v3, v2 row_bcast:15 row_mask:0xf bank_mask:0xf
	v_add_f32_e32 v2, v2, v3
	v_and_b32_e32 v3, 63, v0
	v_cmp_eq_u32_e64 s[2:3], 63, v3
	s_nop 0
	v_mov_b32_dpp v3, v2 row_bcast:31 row_mask:0xf bank_mask:0xf
	s_and_saveexec_b64 s[30:31], s[2:3]
	s_cbranch_execz .LBB1008_13
; %bb.12:
	v_add_f32_e32 v2, v2, v3
	v_lshrrev_b32_e32 v3, 4, v0
	v_and_b32_e32 v3, 60, v3
	ds_write_b32 v3, v2 offset:32
.LBB1008_13:
	s_or_b64 exec, exec, s[30:31]
	v_and_b32_e32 v2, 7, v0
	v_lshlrev_b32_e32 v34, 2, v2
	s_waitcnt lgkmcnt(0)
	s_barrier
	ds_read_b32 v2, v34 offset:32
	s_load_dwordx2 s[34:35], s[4:5], 0x18
	s_waitcnt lgkmcnt(0)
	v_mov_b32_dpp v3, v2 quad_perm:[1,0,3,2] row_mask:0xf bank_mask:0xf
	v_add_f32_e32 v2, v2, v3
	s_nop 1
	v_mov_b32_dpp v3, v2 quad_perm:[2,3,0,1] row_mask:0xf bank_mask:0xf
	v_add_f32_e32 v2, v2, v3
	s_nop 1
	v_mov_b32_dpp v3, v2 row_half_mirror row_mask:0xf bank_mask:0xf
	s_and_saveexec_b64 s[30:31], s[0:1]
	s_cbranch_execnz .LBB1008_18
; %bb.14:
	s_or_b64 exec, exec, s[30:31]
	s_mov_b64 s[8:9], -1
	s_and_b64 vcc, exec, s[18:19]
	s_cbranch_vccnz .LBB1008_19
.LBB1008_15:
	s_andn2_b64 vcc, exec, s[8:9]
	s_cbranch_vccz .LBB1008_22
.LBB1008_16:
	s_cmp_lt_i32 s24, 1
	s_cbranch_scc0 .LBB1008_31
.LBB1008_17:
	s_endpgm
.LBB1008_18:
	v_add_f32_e32 v2, v2, v3
	v_cvt_f32_u32_e32 v3, s7
	s_mov_b32 s7, 0x800000
	s_waitcnt vmcnt(1)
	v_cvt_f32_u32_sdwa v21, v81 dst_sel:DWORD dst_unused:UNUSED_PAD src0_sel:WORD_1
	v_cvt_f32_u32_sdwa v20, v81 dst_sel:DWORD dst_unused:UNUSED_PAD src0_sel:WORD_0
	v_div_scale_f32 v4, s[36:37], v3, v3, v2
	v_rcp_f32_e32 v5, v4
	s_waitcnt vmcnt(0)
	v_cvt_f32_u32_sdwa v23, v77 dst_sel:DWORD dst_unused:UNUSED_PAD src0_sel:WORD_1
	v_cvt_f32_u32_sdwa v22, v77 dst_sel:DWORD dst_unused:UNUSED_PAD src0_sel:WORD_0
	v_cvt_f32_u32_sdwa v25, v78 dst_sel:DWORD dst_unused:UNUSED_PAD src0_sel:WORD_1
	v_fma_f32 v6, -v4, v5, 1.0
	v_fmac_f32_e32 v5, v6, v5
	v_div_scale_f32 v6, vcc, v2, v3, v2
	v_mul_f32_e32 v7, v6, v5
	v_fma_f32 v8, -v4, v7, v6
	v_fmac_f32_e32 v7, v8, v5
	v_fma_f32 v4, -v4, v7, v6
	v_div_fmas_f32 v4, v4, v5, v7
	v_div_fixup_f32 v2, v4, v3, v2
	v_mov_b32_e32 v3, s21
	v_mov_b32_e32 v4, s20
	v_cndmask_b32_e64 v3, v3, v4, s[8:9]
	v_add_f32_e32 v2, v3, v2
	v_mul_f32_e32 v3, 0x4b800000, v2
	v_cmp_gt_f32_e32 vcc, s7, v2
	v_cndmask_b32_e32 v2, v2, v3, vcc
	v_rsq_f32_e32 v2, v2
	v_cvt_f32_u32_sdwa v24, v78 dst_sel:DWORD dst_unused:UNUSED_PAD src0_sel:WORD_0
	v_cvt_f32_u32_sdwa v27, v79 dst_sel:DWORD dst_unused:UNUSED_PAD src0_sel:WORD_1
	v_cvt_f32_u32_sdwa v26, v79 dst_sel:DWORD dst_unused:UNUSED_PAD src0_sel:WORD_0
	v_mul_f32_e32 v3, 0x45800000, v2
	v_cndmask_b32_e32 v2, v2, v3, vcc
	v_mov_b32_e32 v3, v2
	;;#ASMSTART
	v_pk_mul_f32 v[4:5], v[32:33], v[2:3]
	;;#ASMEND
	;;#ASMSTART
	v_pk_mul_f32 v[6:7], v[18:19], v[2:3]
	;;#ASMEND
	;; [unrolled: 3-line block ×6, first 2 shown]
	v_cvt_f32_u32_sdwa v19, v80 dst_sel:DWORD dst_unused:UNUSED_PAD src0_sel:WORD_1
	v_cvt_f32_u32_sdwa v18, v80 dst_sel:DWORD dst_unused:UNUSED_PAD src0_sel:WORD_0
	;;#ASMSTART
	v_pk_mul_f32 v[14:15], v[14:15], v[2:3]
	;;#ASMEND
	;;#ASMSTART
	v_pk_mul_f32 v[2:3], v[92:93], v[2:3]
	;;#ASMEND
	;; [unrolled: 3-line block ×4, first 2 shown]
	v_cvt_f32_u32_sdwa v5, v82 dst_sel:DWORD dst_unused:UNUSED_PAD src0_sel:WORD_1
	v_cvt_f32_u32_sdwa v4, v82 dst_sel:DWORD dst_unused:UNUSED_PAD src0_sel:WORD_0
	v_cvt_f32_u32_sdwa v7, v83 dst_sel:DWORD dst_unused:UNUSED_PAD src0_sel:WORD_1
	v_cvt_f32_u32_sdwa v6, v83 dst_sel:DWORD dst_unused:UNUSED_PAD src0_sel:WORD_0
	;; [unrolled: 2-line block ×3, first 2 shown]
	;;#ASMSTART
	v_pk_mul_f32 v[50:51], v[8:9], v[4:5]
	;;#ASMEND
	;;#ASMSTART
	v_pk_mul_f32 v[40:41], v[10:11], v[6:7]
	;;#ASMEND
	;; [unrolled: 3-line block ×6, first 2 shown]
	s_or_b64 exec, exec, s[30:31]
	s_mov_b64 s[8:9], -1
	s_and_b64 vcc, exec, s[18:19]
	s_cbranch_vccz .LBB1008_15
.LBB1008_19:
	s_and_saveexec_b64 s[8:9], s[0:1]
	s_cbranch_execz .LBB1008_21
; %bb.20:
	s_mul_hi_i32 s19, s16, s6
	s_mul_i32 s18, s16, s6
	s_lshl_b64 s[18:19], s[18:19], 1
	s_add_u32 s36, s34, s18
	s_addc_u32 s7, s35, s19
	s_and_b32 s37, s7, 0xffff
	s_mov_b32 s7, 0x7060302
	s_mov_b32 s39, 0x20000
	v_perm_b32 v5, v41, v40, s7
	v_perm_b32 v4, v51, v50, s7
	;; [unrolled: 1-line block ×4, first 2 shown]
	v_lshlrev_b32_e32 v6, 5, v0
	buffer_store_dwordx4 v[2:5], v6, s[36:39], 0 offen
	;;#ASMSTART
	s_nop 0
	;;#ASMEND
	s_nop 0
	v_perm_b32 v5, v93, v92, s7
	v_perm_b32 v4, v15, v14, s7
	;; [unrolled: 1-line block ×4, first 2 shown]
	buffer_store_dwordx4 v[2:5], v6, s[36:39], 16 offen
	;;#ASMSTART
	s_nop 0
	;;#ASMEND
.LBB1008_21:
	s_or_b64 exec, exec, s[8:9]
	s_cbranch_execnz .LBB1008_16
.LBB1008_22:
	v_mov_b32_e32 v2, 0
	s_and_saveexec_b64 s[8:9], s[0:1]
	s_cbranch_execz .LBB1008_24
; %bb.23:
	s_load_dwordx2 s[18:19], s[4:5], 0x10
	s_mul_hi_i32 s31, s15, s6
	s_mul_i32 s30, s15, s6
	s_lshl_b64 s[30:31], s[30:31], 1
	s_mov_b32 s39, 0x20000
	s_waitcnt lgkmcnt(0)
	s_add_u32 s36, s18, s30
	s_addc_u32 s7, s19, s31
	s_and_b32 s37, s7, 0xffff
	s_mov_b32 s7, 0x7060302
	v_perm_b32 v5, v41, v40, s7
	v_perm_b32 v4, v51, v50, s7
	;; [unrolled: 1-line block ×4, first 2 shown]
	v_lshlrev_b32_e32 v6, 5, v0
	buffer_store_dwordx4 v[2:5], v6, s[36:39], 0 offen
	;;#ASMSTART
	s_nop 0
	;;#ASMEND
	s_nop 0
	v_perm_b32 v5, v93, v92, s7
	v_perm_b32 v4, v15, v14, s7
	;; [unrolled: 1-line block ×4, first 2 shown]
	buffer_store_dwordx4 v[2:5], v6, s[36:39], 16 offen
	;;#ASMSTART
	s_nop 0
	;;#ASMEND
	s_nop 0
	v_mov_b32_e32 v2, 0x2edbe6ff
.LBB1008_24:
	s_or_b64 exec, exec, s[8:9]
	s_and_saveexec_b64 s[8:9], s[0:1]
	s_cbranch_execz .LBB1008_26
; %bb.25:
	v_and_b32_e32 v3, 0x7fffffff, v32
	v_and_b32_e32 v4, 0x7fffffff, v33
	;;#ASMSTART
	v_max3_f32 v2, v2, v3, v4

	;;#ASMEND
	v_and_b32_e32 v5, 0x7fffffff, v18
	v_and_b32_e32 v6, 0x7fffffff, v19
	;;#ASMSTART
	v_max3_f32 v2, v2, v5, v6

	;;#ASMEND
	;; [unrolled: 6-line block ×8, first 2 shown]
.LBB1008_26:
	s_or_b64 exec, exec, s[8:9]
	;;#ASMSTART
	v_max_f32 v3, v2, v2 quad_perm:[1,0,3,2] row_mask:0xf bank_mask:0xf bound_ctrl:1
	;;#ASMEND
	v_and_b32_e32 v2, 1, v0
	v_cmp_eq_u32_e32 vcc, 0, v2
	v_cmp_gt_i32_e64 s[8:9], s23, v1
	s_and_b64 s[18:19], vcc, s[8:9]
	s_and_saveexec_b64 s[8:9], s[18:19]
	s_cbranch_execz .LBB1008_28
; %bb.27:
	s_load_dwordx2 s[18:19], s[4:5], 0x8
	v_mul_f32_e32 v2, 0x3e2aaaab, v3
	v_lshrrev_b32_e32 v3, 23, v2
	v_and_b32_e32 v4, 0x7f800000, v2
	v_and_b32_e32 v2, 0x7fffff, v2
	v_cmp_ne_u32_e32 vcc, 0, v2
	s_mul_hi_i32 s15, s13, s6
	s_mul_i32 s13, s13, s6
	s_mov_b32 s7, 0x7f800000
	v_addc_co_u32_e32 v2, vcc, 0, v3, vcc
	s_waitcnt lgkmcnt(0)
	s_add_u32 s18, s18, s13
	v_cmp_ne_u32_e32 vcc, s7, v4
	s_addc_u32 s19, s19, s15
	v_lshrrev_b32_e32 v5, 1, v0
	v_cndmask_b32_e32 v4, -1, v2, vcc
	v_pk_mov_b32 v[2:3], s[18:19], s[18:19] op_sel:[0,1]
	v_mad_i64_i32 v[2:3], s[14:15], s14, v5, v[2:3]
	global_store_byte v[2:3], v4, off
.LBB1008_28:
	s_or_b64 exec, exec, s[8:9]
	s_and_saveexec_b64 s[8:9], s[0:1]
	s_cbranch_execz .LBB1008_30
; %bb.29:
	s_load_dwordx2 s[0:1], s[4:5], 0x0
	s_mul_hi_i32 s7, s12, s6
	s_mul_i32 s12, s12, s6
	v_mov_b32_e32 v2, 0
	v_lshlrev_b32_e32 v4, 3, v0
	s_waitcnt lgkmcnt(0)
	s_add_u32 s12, s0, s12
	s_addc_u32 s0, s1, s7
	s_lshr_b32 s1, s23, 31
	s_add_i32 s1, s23, s1
	s_ashr_i32 s1, s1, 1
	s_add_i32 s1, s1, 3
	s_ashr_i32 s7, s1, 31
	s_lshr_b32 s7, s7, 30
	s_add_i32 s1, s1, s7
	s_and_b32 s14, s1, -4
	s_and_b32 s13, s0, 0xffff
	s_mov_b32 s15, 0x20000
	v_mov_b32_e32 v3, v2
	buffer_store_dwordx2 v[2:3], v4, s[12:15], 0 offen
	;;#ASMSTART
	s_nop 0
	;;#ASMEND
.LBB1008_30:
	s_or_b64 exec, exec, s[8:9]
	s_cmp_lt_i32 s24, 1
	s_cbranch_scc1 .LBB1008_17
.LBB1008_31:
	s_load_dword s0, s[4:5], 0x94
	s_waitcnt lgkmcnt(0)
	s_cmp_lg_u32 s0, 1
	s_cbranch_scc1 .LBB1008_17
; %bb.32:
	s_lshl_b32 s0, s24, 1
	s_add_i32 s0, s0, 2
	v_cmp_gt_u32_e32 vcc, s24, v1
	s_and_b32 s30, s0, -4
	v_mov_b32_e32 v18, 0
	v_lshlrev_b32_e32 v1, 5, v0
	v_mov_b32_e32 v14, 0
	v_mov_b32_e32 v15, 0
	;; [unrolled: 1-line block ×16, first 2 shown]
	s_barrier
	s_and_saveexec_b64 s[0:1], vcc
	s_cbranch_execz .LBB1008_34
; %bb.33:
	s_mul_hi_i32 s5, s26, s6
	s_mul_i32 s4, s26, s6
	s_and_b32 s29, s29, 0xffff
	s_lshl_b64 s[4:5], s[4:5], 1
	s_add_u32 s8, s10, s4
	s_mov_b32 s31, 0x20000
	s_addc_u32 s4, s11, s5
	s_and_b32 s9, s4, 0xffff
	s_mov_b32 s10, s30
	s_mov_b32 s11, s31
	buffer_load_dwordx4 v[14:17], v1, s[8:11], 0 offen
	buffer_load_dwordx4 v[10:13], v1, s[8:11], 16 offen
	;; [unrolled: 1-line block ×4, first 2 shown]
.LBB1008_34:
	s_or_b64 exec, exec, s[0:1]
	v_mov_b32_e32 v19, 0
	v_mov_b32_e32 v32, 0
	;; [unrolled: 1-line block ×15, first 2 shown]
	s_and_saveexec_b64 s[0:1], vcc
	s_cbranch_execz .LBB1008_36
; %bb.35:
	s_waitcnt vmcnt(3)
	v_cvt_f32_u32_sdwa v18, v14 dst_sel:DWORD dst_unused:UNUSED_PAD src0_sel:WORD_0
	v_cvt_f32_u32_sdwa v19, v14 dst_sel:DWORD dst_unused:UNUSED_PAD src0_sel:WORD_1
	v_cvt_f32_u32_sdwa v32, v15 dst_sel:DWORD dst_unused:UNUSED_PAD src0_sel:WORD_0
	v_cvt_f32_u32_sdwa v33, v15 dst_sel:DWORD dst_unused:UNUSED_PAD src0_sel:WORD_1
	;; [unrolled: 2-line block ×4, first 2 shown]
	s_waitcnt vmcnt(2)
	v_cvt_f32_u32_sdwa v26, v10 dst_sel:DWORD dst_unused:UNUSED_PAD src0_sel:WORD_0
	v_cvt_f32_u32_sdwa v27, v10 dst_sel:DWORD dst_unused:UNUSED_PAD src0_sel:WORD_1
	v_cvt_f32_u32_sdwa v24, v11 dst_sel:DWORD dst_unused:UNUSED_PAD src0_sel:WORD_0
	v_cvt_f32_u32_sdwa v25, v11 dst_sel:DWORD dst_unused:UNUSED_PAD src0_sel:WORD_1
	;; [unrolled: 2-line block ×4, first 2 shown]
.LBB1008_36:
	s_or_b64 exec, exec, s[0:1]
	s_waitcnt vmcnt(2)
	v_mul_f32_e32 v10, v19, v19
	v_fmac_f32_e32 v10, v18, v18
	v_fmac_f32_e32 v10, v32, v32
	;; [unrolled: 1-line block ×15, first 2 shown]
	s_nop 1
	v_mov_b32_dpp v11, v10 quad_perm:[1,0,3,2] row_mask:0xf bank_mask:0xf
	v_add_f32_e32 v10, v10, v11
	s_nop 1
	v_mov_b32_dpp v11, v10 quad_perm:[2,3,0,1] row_mask:0xf bank_mask:0xf
	v_add_f32_e32 v10, v10, v11
	s_nop 1
	v_mov_b32_dpp v11, v10 row_half_mirror row_mask:0xf bank_mask:0xf
	v_add_f32_e32 v10, v10, v11
	s_nop 1
	v_mov_b32_dpp v11, v10 row_mirror row_mask:0xf bank_mask:0xf
	v_add_f32_e32 v10, v10, v11
	s_nop 1
	v_mov_b32_dpp v11, v10 row_bcast:15 row_mask:0xf bank_mask:0xf
	v_add_f32_e32 v10, v10, v11
	s_nop 1
	v_mov_b32_dpp v11, v10 row_bcast:31 row_mask:0xf bank_mask:0xf
	s_and_saveexec_b64 s[0:1], s[2:3]
	s_cbranch_execz .LBB1008_38
; %bb.37:
	v_lshrrev_b32_e32 v0, 4, v0
	v_add_f32_e32 v10, v10, v11
	v_and_b32_e32 v0, 60, v0
	ds_write_b32 v0, v10
.LBB1008_38:
	s_or_b64 exec, exec, s[0:1]
	s_waitcnt lgkmcnt(0)
	s_barrier
	ds_read_b32 v0, v34
	s_waitcnt lgkmcnt(0)
	s_nop 0
	v_mov_b32_dpp v10, v0 quad_perm:[1,0,3,2] row_mask:0xf bank_mask:0xf
	v_add_f32_e32 v0, v0, v10
	s_nop 1
	v_mov_b32_dpp v10, v0 quad_perm:[2,3,0,1] row_mask:0xf bank_mask:0xf
	v_add_f32_e32 v0, v0, v10
	s_nop 1
	v_mov_b32_dpp v10, v0 row_half_mirror row_mask:0xf bank_mask:0xf
	s_and_saveexec_b64 s[0:1], vcc
	s_cbranch_execz .LBB1008_17
; %bb.39:
	v_cvt_f32_u32_e32 v11, s24
	v_add_f32_e32 v0, v0, v10
	s_mov_b32 s31, 0x20000
	v_div_scale_f32 v10, s[0:1], v11, v11, v0
	v_rcp_f32_e32 v12, v10
	v_div_scale_f32 v13, vcc, v0, v11, v0
	s_mov_b32 s0, 0x800000
	v_fma_f32 v14, -v10, v12, 1.0
	v_fmac_f32_e32 v12, v14, v12
	v_mul_f32_e32 v14, v13, v12
	v_fma_f32 v15, -v10, v14, v13
	v_fmac_f32_e32 v14, v15, v12
	v_fma_f32 v10, -v10, v14, v13
	v_div_fmas_f32 v10, v10, v12, v14
	v_div_fixup_f32 v0, v10, v11, v0
	v_add_f32_e32 v0, s21, v0
	v_mul_f32_e32 v10, 0x4b800000, v0
	v_cmp_gt_f32_e32 vcc, s0, v0
	v_cndmask_b32_e32 v0, v0, v10, vcc
	v_rsq_f32_e32 v0, v0
	s_mul_hi_i32 s1, s16, s6
	s_mul_i32 s0, s16, s6
	s_lshl_b64 s[0:1], s[0:1], 1
	v_mul_f32_e32 v10, 0x45800000, v0
	v_cndmask_b32_e32 v10, v0, v10, vcc
	v_mov_b32_e32 v11, v10
	s_add_u32 s28, s34, s0
	;;#ASMSTART
	v_pk_mul_f32 v[12:13], v[18:19], v[10:11]
	;;#ASMEND
	;;#ASMSTART
	v_pk_mul_f32 v[14:15], v[32:33], v[10:11]
	;;#ASMEND
	;; [unrolled: 3-line block ×8, first 2 shown]
	s_waitcnt vmcnt(1)
	v_cvt_f32_u32_sdwa v21, v6 dst_sel:DWORD dst_unused:UNUSED_PAD src0_sel:WORD_1
	v_cvt_f32_u32_sdwa v20, v6 dst_sel:DWORD dst_unused:UNUSED_PAD src0_sel:WORD_0
	v_cvt_f32_u32_sdwa v29, v7 dst_sel:DWORD dst_unused:UNUSED_PAD src0_sel:WORD_1
	v_cvt_f32_u32_sdwa v28, v7 dst_sel:DWORD dst_unused:UNUSED_PAD src0_sel:WORD_0
	;; [unrolled: 2-line block ×3, first 2 shown]
	s_addc_u32 s0, s35, s1
	v_cvt_f32_u32_sdwa v31, v9 dst_sel:DWORD dst_unused:UNUSED_PAD src0_sel:WORD_1
	v_cvt_f32_u32_sdwa v30, v9 dst_sel:DWORD dst_unused:UNUSED_PAD src0_sel:WORD_0
	;;#ASMSTART
	v_pk_mul_f32 v[8:9], v[12:13], v[20:21]
	;;#ASMEND
	;;#ASMSTART
	v_pk_mul_f32 v[12:13], v[14:15], v[28:29]
	;;#ASMEND
	;; [unrolled: 3-line block ×4, first 2 shown]
	s_waitcnt vmcnt(0)
	v_cvt_f32_u32_sdwa v17, v2 dst_sel:DWORD dst_unused:UNUSED_PAD src0_sel:WORD_1
	v_cvt_f32_u32_sdwa v16, v2 dst_sel:DWORD dst_unused:UNUSED_PAD src0_sel:WORD_0
	v_cvt_f32_u32_sdwa v19, v3 dst_sel:DWORD dst_unused:UNUSED_PAD src0_sel:WORD_1
	v_cvt_f32_u32_sdwa v18, v3 dst_sel:DWORD dst_unused:UNUSED_PAD src0_sel:WORD_0
	;; [unrolled: 2-line block ×3, first 2 shown]
	s_and_b32 s29, s0, 0xffff
	s_mov_b32 s0, 0x7060302
	v_cvt_f32_u32_sdwa v21, v5 dst_sel:DWORD dst_unused:UNUSED_PAD src0_sel:WORD_1
	v_cvt_f32_u32_sdwa v20, v5 dst_sel:DWORD dst_unused:UNUSED_PAD src0_sel:WORD_0
	;;#ASMSTART
	v_pk_mul_f32 v[16:17], v[26:27], v[16:17]
	;;#ASMEND
	;;#ASMSTART
	v_pk_mul_f32 v[18:19], v[24:25], v[18:19]
	;;#ASMEND
	;; [unrolled: 3-line block ×3, first 2 shown]
	v_perm_b32 v2, v9, v8, s0
	v_perm_b32 v3, v13, v12, s0
	;; [unrolled: 1-line block ×4, first 2 shown]
	;;#ASMSTART
	v_pk_mul_f32 v[10:11], v[10:11], v[20:21]
	;;#ASMEND
	buffer_store_dwordx4 v[2:5], v1, s[28:31], 0 offen
	;;#ASMSTART
	s_nop 0
	;;#ASMEND
	s_nop 0
	v_perm_b32 v2, v17, v16, s0
	v_perm_b32 v3, v19, v18, s0
	;; [unrolled: 1-line block ×4, first 2 shown]
	buffer_store_dwordx4 v[2:5], v1, s[28:31], 16 offen
	;;#ASMSTART
	s_nop 0
	;;#ASMEND
	s_endpgm
	.section	.rodata,"a",@progbits
	.p2align	6, 0x0
	.amdhsa_kernel _ZN5aiter35fused_qk_rmsnorm_group_quant_kernelItN4opus5fp4_tELi512ELi16ELi2ELb1ELb1ELb0ELb0ELb0ELb0EEEvPT0_PvPT_S7_S7_PKS6_S9_S9_S9_S9_ffiiiiiiiiiiiii
		.amdhsa_group_segment_fixed_size 64
		.amdhsa_private_segment_fixed_size 0
		.amdhsa_kernarg_size 400
		.amdhsa_user_sgpr_count 6
		.amdhsa_user_sgpr_private_segment_buffer 1
		.amdhsa_user_sgpr_dispatch_ptr 0
		.amdhsa_user_sgpr_queue_ptr 0
		.amdhsa_user_sgpr_kernarg_segment_ptr 1
		.amdhsa_user_sgpr_dispatch_id 0
		.amdhsa_user_sgpr_flat_scratch_init 0
		.amdhsa_user_sgpr_kernarg_preload_length 0
		.amdhsa_user_sgpr_kernarg_preload_offset 0
		.amdhsa_user_sgpr_private_segment_size 0
		.amdhsa_uses_dynamic_stack 0
		.amdhsa_system_sgpr_private_segment_wavefront_offset 0
		.amdhsa_system_sgpr_workgroup_id_x 1
		.amdhsa_system_sgpr_workgroup_id_y 1
		.amdhsa_system_sgpr_workgroup_id_z 0
		.amdhsa_system_sgpr_workgroup_info 0
		.amdhsa_system_vgpr_workitem_id 0
		.amdhsa_next_free_vgpr 94
		.amdhsa_next_free_sgpr 44
		.amdhsa_accum_offset 96
		.amdhsa_reserve_vcc 1
		.amdhsa_reserve_flat_scratch 0
		.amdhsa_float_round_mode_32 0
		.amdhsa_float_round_mode_16_64 0
		.amdhsa_float_denorm_mode_32 3
		.amdhsa_float_denorm_mode_16_64 3
		.amdhsa_dx10_clamp 1
		.amdhsa_ieee_mode 1
		.amdhsa_fp16_overflow 0
		.amdhsa_tg_split 0
		.amdhsa_exception_fp_ieee_invalid_op 0
		.amdhsa_exception_fp_denorm_src 0
		.amdhsa_exception_fp_ieee_div_zero 0
		.amdhsa_exception_fp_ieee_overflow 0
		.amdhsa_exception_fp_ieee_underflow 0
		.amdhsa_exception_fp_ieee_inexact 0
		.amdhsa_exception_int_div_zero 0
	.end_amdhsa_kernel
	.section	.text._ZN5aiter35fused_qk_rmsnorm_group_quant_kernelItN4opus5fp4_tELi512ELi16ELi2ELb1ELb1ELb0ELb0ELb0ELb0EEEvPT0_PvPT_S7_S7_PKS6_S9_S9_S9_S9_ffiiiiiiiiiiiii,"axG",@progbits,_ZN5aiter35fused_qk_rmsnorm_group_quant_kernelItN4opus5fp4_tELi512ELi16ELi2ELb1ELb1ELb0ELb0ELb0ELb0EEEvPT0_PvPT_S7_S7_PKS6_S9_S9_S9_S9_ffiiiiiiiiiiiii,comdat
.Lfunc_end1008:
	.size	_ZN5aiter35fused_qk_rmsnorm_group_quant_kernelItN4opus5fp4_tELi512ELi16ELi2ELb1ELb1ELb0ELb0ELb0ELb0EEEvPT0_PvPT_S7_S7_PKS6_S9_S9_S9_S9_ffiiiiiiiiiiiii, .Lfunc_end1008-_ZN5aiter35fused_qk_rmsnorm_group_quant_kernelItN4opus5fp4_tELi512ELi16ELi2ELb1ELb1ELb0ELb0ELb0ELb0EEEvPT0_PvPT_S7_S7_PKS6_S9_S9_S9_S9_ffiiiiiiiiiiiii
                                        ; -- End function
	.section	.AMDGPU.csdata,"",@progbits
; Kernel info:
; codeLenInByte = 3964
; NumSgprs: 48
; NumVgprs: 94
; NumAgprs: 0
; TotalNumVgprs: 94
; ScratchSize: 0
; MemoryBound: 0
; FloatMode: 240
; IeeeMode: 1
; LDSByteSize: 64 bytes/workgroup (compile time only)
; SGPRBlocks: 5
; VGPRBlocks: 11
; NumSGPRsForWavesPerEU: 48
; NumVGPRsForWavesPerEU: 94
; AccumOffset: 96
; Occupancy: 5
; WaveLimiterHint : 0
; COMPUTE_PGM_RSRC2:SCRATCH_EN: 0
; COMPUTE_PGM_RSRC2:USER_SGPR: 6
; COMPUTE_PGM_RSRC2:TRAP_HANDLER: 0
; COMPUTE_PGM_RSRC2:TGID_X_EN: 1
; COMPUTE_PGM_RSRC2:TGID_Y_EN: 1
; COMPUTE_PGM_RSRC2:TGID_Z_EN: 0
; COMPUTE_PGM_RSRC2:TIDIG_COMP_CNT: 0
; COMPUTE_PGM_RSRC3_GFX90A:ACCUM_OFFSET: 23
; COMPUTE_PGM_RSRC3_GFX90A:TG_SPLIT: 0
	.section	.text._ZN5aiter35fused_qk_rmsnorm_group_quant_kernelIDF16_DB8_Li512ELi16ELi2ELb1ELb0ELb1ELb0ELb0ELb0EEEvPT0_PvPT_S6_S6_PKS5_S8_S8_S8_S8_ffiiiiiiiiiiiii,"axG",@progbits,_ZN5aiter35fused_qk_rmsnorm_group_quant_kernelIDF16_DB8_Li512ELi16ELi2ELb1ELb0ELb1ELb0ELb0ELb0EEEvPT0_PvPT_S6_S6_PKS5_S8_S8_S8_S8_ffiiiiiiiiiiiii,comdat
	.protected	_ZN5aiter35fused_qk_rmsnorm_group_quant_kernelIDF16_DB8_Li512ELi16ELi2ELb1ELb0ELb1ELb0ELb0ELb0EEEvPT0_PvPT_S6_S6_PKS5_S8_S8_S8_S8_ffiiiiiiiiiiiii ; -- Begin function _ZN5aiter35fused_qk_rmsnorm_group_quant_kernelIDF16_DB8_Li512ELi16ELi2ELb1ELb0ELb1ELb0ELb0ELb0EEEvPT0_PvPT_S6_S6_PKS5_S8_S8_S8_S8_ffiiiiiiiiiiiii
	.globl	_ZN5aiter35fused_qk_rmsnorm_group_quant_kernelIDF16_DB8_Li512ELi16ELi2ELb1ELb0ELb1ELb0ELb0ELb0EEEvPT0_PvPT_S6_S6_PKS5_S8_S8_S8_S8_ffiiiiiiiiiiiii
	.p2align	8
	.type	_ZN5aiter35fused_qk_rmsnorm_group_quant_kernelIDF16_DB8_Li512ELi16ELi2ELb1ELb0ELb1ELb0ELb0ELb0EEEvPT0_PvPT_S6_S6_PKS5_S8_S8_S8_S8_ffiiiiiiiiiiiii,@function
_ZN5aiter35fused_qk_rmsnorm_group_quant_kernelIDF16_DB8_Li512ELi16ELi2ELb1ELb0ELb1ELb0ELb0ELb0EEEvPT0_PvPT_S6_S6_PKS5_S8_S8_S8_S8_ffiiiiiiiiiiiii: ; @_ZN5aiter35fused_qk_rmsnorm_group_quant_kernelIDF16_DB8_Li512ELi16ELi2ELb1ELb0ELb1ELb0ELb0ELb0EEEvPT0_PvPT_S6_S6_PKS5_S8_S8_S8_S8_ffiiiiiiiiiiiii
; %bb.0:
	s_load_dwordx8 s[12:19], s[4:5], 0x50
	s_waitcnt lgkmcnt(0)
	s_cmp_ge_i32 s6, s14
	s_cbranch_scc1 .LBB1009_17
; %bb.1:
	s_cmp_lg_u32 s7, 0
	s_cselect_b64 s[10:11], -1, 0
	s_cmp_eq_u32 s7, 0
	s_cselect_b64 s[8:9], -1, 0
	s_and_b64 s[0:1], s[8:9], exec
	s_load_dwordx2 s[20:21], s[4:5], 0x48
	s_load_dwordx2 s[36:37], s[4:5], 0x30
	s_load_dwordx4 s[24:27], s[4:5], 0x70
	s_cselect_b32 s7, s15, s16
	s_add_i32 s0, s7, 1
	s_lshr_b32 s1, s0, 31
	s_add_i32 s0, s0, s1
	s_lshl_b32 s0, s0, 1
	v_lshlrev_b32_e32 v1, 4, v0
	s_and_b32 s30, s0, -4
	v_cmp_gt_i32_e64 s[0:1], s7, v1
	v_mov_b32_e32 v76, 0
	v_mov_b32_e32 v77, 0
	;; [unrolled: 1-line block ×16, first 2 shown]
	s_and_saveexec_b64 s[2:3], s[0:1]
	s_cbranch_execz .LBB1009_3
; %bb.2:
	s_load_dwordx2 s[22:23], s[4:5], 0x28
	s_load_dwordx2 s[28:29], s[4:5], 0x40
	s_and_b64 s[34:35], s[8:9], exec
	s_cselect_b32 s14, s17, s18
	s_mov_b32 s31, 0x20000
	s_waitcnt lgkmcnt(0)
	s_cselect_b32 s17, s23, s37
	s_cselect_b32 s27, s22, s36
	s_mul_hi_i32 s23, s14, s6
	s_mul_i32 s22, s14, s6
	s_lshl_b64 s[22:23], s[22:23], 1
	s_add_u32 s40, s27, s22
	s_addc_u32 s14, s17, s23
	s_and_b64 s[22:23], s[8:9], exec
	s_cselect_b32 s28, s28, s20
	s_cselect_b32 s17, s29, s21
	s_and_b32 s41, s14, 0xffff
	s_mov_b32 s42, s30
	s_mov_b32 s43, s31
	v_lshlrev_b32_e32 v2, 5, v0
	s_and_b32 s29, s17, 0xffff
	buffer_load_dwordx4 v[80:83], v2, s[40:43], 0 offen
	buffer_load_dwordx4 v[84:87], v2, s[40:43], 16 offen
	;; [unrolled: 1-line block ×4, first 2 shown]
.LBB1009_3:
	s_or_b64 exec, exec, s[2:3]
	s_load_dwordx2 s[34:35], s[4:5], 0x80
	s_and_b64 vcc, exec, s[10:11]
	s_cbranch_vccz .LBB1009_7
; %bb.4:
	v_mov_b32_e32 v89, 0
	v_mov_b32_e32 v88, 0
	;; [unrolled: 1-line block ×16, first 2 shown]
	s_and_saveexec_b64 s[2:3], s[0:1]
	s_cbranch_execz .LBB1009_6
; %bb.5:
	s_waitcnt vmcnt(3)
	v_cvt_f32_f16_sdwa v49, v80 dst_sel:DWORD dst_unused:UNUSED_PAD src0_sel:WORD_1
	v_cvt_f32_f16_e32 v48, v80
	v_cvt_f32_f16_sdwa v35, v81 dst_sel:DWORD dst_unused:UNUSED_PAD src0_sel:WORD_1
	v_cvt_f32_f16_e32 v34, v81
	;; [unrolled: 2-line block ×4, first 2 shown]
	s_waitcnt vmcnt(2)
	v_cvt_f32_f16_sdwa v65, v84 dst_sel:DWORD dst_unused:UNUSED_PAD src0_sel:WORD_1
	v_cvt_f32_f16_e32 v64, v84
	v_cvt_f32_f16_sdwa v19, v85 dst_sel:DWORD dst_unused:UNUSED_PAD src0_sel:WORD_1
	v_cvt_f32_f16_e32 v18, v85
	;; [unrolled: 2-line block ×4, first 2 shown]
.LBB1009_6:
	s_or_b64 exec, exec, s[2:3]
	s_cbranch_execz .LBB1009_8
	s_branch .LBB1009_11
.LBB1009_7:
                                        ; implicit-def: $vgpr32_vgpr33_vgpr34_vgpr35_vgpr36_vgpr37_vgpr38_vgpr39_vgpr40_vgpr41_vgpr42_vgpr43_vgpr44_vgpr45_vgpr46_vgpr47
                                        ; implicit-def: $vgpr48_vgpr49_vgpr50_vgpr51_vgpr52_vgpr53_vgpr54_vgpr55_vgpr56_vgpr57_vgpr58_vgpr59_vgpr60_vgpr61_vgpr62_vgpr63
                                        ; implicit-def: $vgpr18_vgpr19_vgpr20_vgpr21_vgpr22_vgpr23_vgpr24_vgpr25_vgpr26_vgpr27_vgpr28_vgpr29_vgpr30_vgpr31_vgpr32_vgpr33
                                        ; implicit-def: $vgpr50_vgpr51_vgpr52_vgpr53_vgpr54_vgpr55_vgpr56_vgpr57_vgpr58_vgpr59_vgpr60_vgpr61_vgpr62_vgpr63_vgpr64_vgpr65
                                        ; implicit-def: $vgpr89
                                        ; implicit-def: $vgpr8_vgpr9_vgpr10_vgpr11_vgpr12_vgpr13_vgpr14_vgpr15_vgpr16_vgpr17_vgpr18_vgpr19_vgpr20_vgpr21_vgpr22_vgpr23
                                        ; implicit-def: $vgpr56_vgpr57_vgpr58_vgpr59_vgpr60_vgpr61_vgpr62_vgpr63_vgpr64_vgpr65_vgpr66_vgpr67_vgpr68_vgpr69_vgpr70_vgpr71
                                        ; implicit-def: $vgpr2_vgpr3_vgpr4_vgpr5_vgpr6_vgpr7_vgpr8_vgpr9_vgpr10_vgpr11_vgpr12_vgpr13_vgpr14_vgpr15_vgpr16_vgpr17
.LBB1009_8:
	v_mov_b32_e32 v89, 0
	v_mov_b32_e32 v88, 0
	;; [unrolled: 1-line block ×16, first 2 shown]
	s_and_saveexec_b64 s[2:3], s[0:1]
	s_cbranch_execz .LBB1009_10
; %bb.9:
	s_load_dwordx2 s[22:23], s[4:5], 0x38
	s_mul_hi_i32 s29, s19, s6
	s_mul_i32 s28, s19, s6
	s_lshl_b64 s[28:29], s[28:29], 1
	s_mov_b32 s31, 0x20000
	s_waitcnt lgkmcnt(0)
	s_add_u32 s28, s22, s28
	s_addc_u32 s14, s23, s29
	s_and_b32 s29, s14, 0xffff
	v_lshlrev_b32_e32 v38, 5, v0
	buffer_load_dwordx4 v[6:9], v38, s[28:31], 16 offen
	buffer_load_dwordx4 v[10:13], v38, s[28:31], 0 offen
	s_waitcnt vmcnt(5)
	v_cvt_f32_f16_sdwa v23, v82 dst_sel:DWORD dst_unused:UNUSED_PAD src0_sel:WORD_1
	v_cvt_f32_f16_e32 v22, v82
	v_cvt_f32_f16_sdwa v25, v83 dst_sel:DWORD dst_unused:UNUSED_PAD src0_sel:WORD_1
	v_cvt_f32_f16_e32 v24, v83
	;; [unrolled: 2-line block ×4, first 2 shown]
	s_load_dwordx2 s[22:23], s[4:5], 0x20
	s_waitcnt vmcnt(4)
	v_cvt_f32_f16_sdwa v3, v84 dst_sel:DWORD dst_unused:UNUSED_PAD src0_sel:WORD_1
	v_cvt_f32_f16_e32 v2, v84
	v_cvt_f32_f16_sdwa v5, v85 dst_sel:DWORD dst_unused:UNUSED_PAD src0_sel:WORD_1
	v_cvt_f32_f16_e32 v4, v85
	;; [unrolled: 2-line block ×4, first 2 shown]
	s_mul_hi_i32 s29, s35, s6
	s_mul_i32 s28, s35, s6
	s_lshl_b64 s[28:29], s[28:29], 1
	s_waitcnt lgkmcnt(0)
	s_add_u32 s28, s22, s28
	s_addc_u32 s14, s23, s29
	s_and_b32 s29, s14, 0xffff
	s_waitcnt vmcnt(1)
	v_cvt_f32_f16_e32 v26, v6
	v_cvt_f32_f16_sdwa v27, v6 dst_sel:DWORD dst_unused:UNUSED_PAD src0_sel:WORD_1
	v_cvt_f32_f16_e32 v28, v7
	v_cvt_f32_f16_sdwa v29, v7 dst_sel:DWORD dst_unused:UNUSED_PAD src0_sel:WORD_1
	;; [unrolled: 2-line block ×4, first 2 shown]
	s_waitcnt vmcnt(0)
	v_cvt_f32_f16_e32 v6, v12
	v_cvt_f32_f16_sdwa v7, v12 dst_sel:DWORD dst_unused:UNUSED_PAD src0_sel:WORD_1
	v_cvt_f32_f16_e32 v8, v13
	v_cvt_f32_f16_sdwa v9, v13 dst_sel:DWORD dst_unused:UNUSED_PAD src0_sel:WORD_1
	;; [unrolled: 2-line block ×4, first 2 shown]
	v_pk_add_f32 v[54:55], v[22:23], v[6:7]
	v_pk_add_f32 v[24:25], v[24:25], v[8:9]
	v_cvt_f16_f32_e32 v6, v55
	v_cvt_f16_f32_e32 v7, v25
	;; [unrolled: 1-line block ×4, first 2 shown]
	v_pk_add_f32 v[34:35], v[20:21], v[10:11]
	v_pk_add_f32 v[48:49], v[18:19], v[36:37]
	v_pack_b32_f16 v9, v8, v7
	v_pack_b32_f16 v8, v12, v6
	v_cvt_f16_f32_e32 v6, v35
	v_cvt_f16_f32_e32 v7, v34
	;; [unrolled: 1-line block ×3, first 2 shown]
	v_pk_add_f32 v[88:89], v[16:17], v[32:33]
	v_pk_add_f32 v[14:15], v[14:15], v[30:31]
	v_pack_b32_f16 v7, v7, v6
	v_cvt_f16_f32_e32 v6, v49
	v_pk_add_f32 v[18:19], v[4:5], v[28:29]
	v_pk_add_f32 v[64:65], v[2:3], v[26:27]
	v_cvt_f16_f32_e32 v4, v18
	v_pack_b32_f16 v6, v10, v6
	buffer_store_dwordx4 v[6:9], v38, s[28:31], 0 offen
	v_cvt_f16_f32_e32 v5, v19
	v_cvt_f16_f32_e32 v6, v14
	v_cvt_f16_f32_e32 v7, v88
	v_cvt_f16_f32_e32 v8, v89
	v_cvt_f16_f32_e32 v9, v15
	v_cvt_f16_f32_e32 v2, v64
	v_cvt_f16_f32_e32 v3, v65
	v_pack_b32_f16 v7, v7, v8
	v_pack_b32_f16 v6, v6, v9
	;; [unrolled: 1-line block ×4, first 2 shown]
	;;#ASMSTART
	s_nop 0
	;;#ASMEND
	buffer_store_dwordx4 v[4:7], v38, s[28:31], 16 offen
	;;#ASMSTART
	s_nop 0
	;;#ASMEND
.LBB1009_10:
	s_or_b64 exec, exec, s[2:3]
.LBB1009_11:
	v_mul_f32_e32 v2, v49, v49
	v_fmac_f32_e32 v2, v48, v48
	v_fmac_f32_e32 v2, v34, v34
	;; [unrolled: 1-line block ×15, first 2 shown]
	s_nop 1
	v_mov_b32_dpp v3, v2 quad_perm:[1,0,3,2] row_mask:0xf bank_mask:0xf
	v_add_f32_e32 v2, v2, v3
	s_nop 1
	v_mov_b32_dpp v3, v2 quad_perm:[2,3,0,1] row_mask:0xf bank_mask:0xf
	v_add_f32_e32 v2, v2, v3
	s_nop 1
	v_mov_b32_dpp v3, v2 row_half_mirror row_mask:0xf bank_mask:0xf
	v_add_f32_e32 v2, v2, v3
	s_nop 1
	v_mov_b32_dpp v3, v2 row_mirror row_mask:0xf bank_mask:0xf
	v_add_f32_e32 v2, v2, v3
	s_nop 1
	v_mov_b32_dpp v3, v2 row_bcast:15 row_mask:0xf bank_mask:0xf
	v_add_f32_e32 v2, v2, v3
	v_and_b32_e32 v3, 63, v0
	v_cmp_eq_u32_e64 s[2:3], 63, v3
	s_nop 0
	v_mov_b32_dpp v3, v2 row_bcast:31 row_mask:0xf bank_mask:0xf
	s_and_saveexec_b64 s[22:23], s[2:3]
	s_cbranch_execz .LBB1009_13
; %bb.12:
	v_add_f32_e32 v2, v2, v3
	v_lshrrev_b32_e32 v3, 4, v0
	v_and_b32_e32 v3, 60, v3
	ds_write_b32 v3, v2 offset:32
.LBB1009_13:
	s_or_b64 exec, exec, s[22:23]
	v_and_b32_e32 v2, 7, v0
	v_lshlrev_b32_e32 v36, 2, v2
	s_waitcnt lgkmcnt(0)
	s_barrier
	ds_read_b32 v2, v36 offset:32
	s_load_dwordx2 s[38:39], s[4:5], 0x18
	s_waitcnt lgkmcnt(0)
	v_mov_b32_dpp v3, v2 quad_perm:[1,0,3,2] row_mask:0xf bank_mask:0xf
	v_add_f32_e32 v2, v2, v3
	s_nop 1
	v_mov_b32_dpp v3, v2 quad_perm:[2,3,0,1] row_mask:0xf bank_mask:0xf
	v_add_f32_e32 v2, v2, v3
	s_nop 1
	v_mov_b32_dpp v3, v2 row_half_mirror row_mask:0xf bank_mask:0xf
	s_and_saveexec_b64 s[22:23], s[0:1]
	s_cbranch_execnz .LBB1009_18
; %bb.14:
	s_or_b64 exec, exec, s[22:23]
	s_mov_b64 s[8:9], -1
	s_and_b64 vcc, exec, s[10:11]
	s_cbranch_vccnz .LBB1009_19
.LBB1009_15:
	s_andn2_b64 vcc, exec, s[8:9]
	s_cbranch_vccz .LBB1009_22
.LBB1009_16:
	s_cmp_lt_i32 s16, 1
	s_cbranch_scc0 .LBB1009_29
.LBB1009_17:
	s_endpgm
.LBB1009_18:
	v_add_f32_e32 v2, v2, v3
	v_cvt_f32_u32_e32 v3, s7
	s_mov_b32 s7, 0x800000
	s_waitcnt vmcnt(1)
	v_cvt_f32_f16_sdwa v17, v76 dst_sel:DWORD dst_unused:UNUSED_PAD src0_sel:WORD_1
	v_cvt_f32_f16_e32 v16, v76
	v_div_scale_f32 v4, s[28:29], v3, v3, v2
	v_rcp_f32_e32 v5, v4
	v_pk_add_f32 v[16:17], v[16:17], 1.0 op_sel_hi:[1,0]
	v_cvt_f32_f16_sdwa v21, v79 dst_sel:DWORD dst_unused:UNUSED_PAD src0_sel:WORD_1
	v_cvt_f32_f16_e32 v20, v79
	v_fma_f32 v6, -v4, v5, 1.0
	v_fmac_f32_e32 v5, v6, v5
	v_div_scale_f32 v6, vcc, v2, v3, v2
	v_mul_f32_e32 v7, v6, v5
	v_fma_f32 v8, -v4, v7, v6
	v_fmac_f32_e32 v7, v8, v5
	v_fma_f32 v4, -v4, v7, v6
	v_div_fmas_f32 v4, v4, v5, v7
	v_div_fixup_f32 v2, v4, v3, v2
	v_mov_b32_e32 v3, s13
	v_mov_b32_e32 v4, s12
	v_cndmask_b32_e64 v3, v3, v4, s[8:9]
	v_add_f32_e32 v2, v3, v2
	v_mul_f32_e32 v3, 0x4b800000, v2
	v_cmp_gt_f32_e32 vcc, s7, v2
	v_cndmask_b32_e32 v2, v2, v3, vcc
	v_rsq_f32_e32 v2, v2
	s_waitcnt vmcnt(0)
	v_cvt_f32_f16_sdwa v23, v74 dst_sel:DWORD dst_unused:UNUSED_PAD src0_sel:WORD_1
	v_cvt_f32_f16_e32 v22, v74
	v_mul_f32_e32 v3, 0x45800000, v2
	v_cndmask_b32_e32 v2, v2, v3, vcc
	v_mov_b32_e32 v3, v2
	;;#ASMSTART
	v_pk_mul_f32 v[4:5], v[48:49], v[2:3]
	;;#ASMEND
	;;#ASMSTART
	v_pk_mul_f32 v[6:7], v[34:35], v[2:3]
	;;#ASMEND
	;;#ASMSTART
	v_pk_mul_f32 v[8:9], v[54:55], v[2:3]
	;;#ASMEND
	;;#ASMSTART
	v_pk_mul_f32 v[10:11], v[24:25], v[2:3]
	;;#ASMEND
	;;#ASMSTART
	v_pk_mul_f32 v[12:13], v[64:65], v[2:3]
	;;#ASMEND
	;;#ASMSTART
	v_pk_mul_f32 v[18:19], v[18:19], v[2:3]
	;;#ASMEND
	;;#ASMSTART
	v_pk_mul_f32 v[14:15], v[14:15], v[2:3]
	;;#ASMEND
	;;#ASMSTART
	v_pk_mul_f32 v[2:3], v[88:89], v[2:3]
	;;#ASMEND
	;;#ASMSTART
	v_pk_mul_f32 v[48:49], v[4:5], v[16:17]
	;;#ASMEND
	v_cvt_f32_f16_sdwa v5, v77 dst_sel:DWORD dst_unused:UNUSED_PAD src0_sel:WORD_1
	v_cvt_f32_f16_e32 v4, v77
	v_cvt_f32_f16_sdwa v17, v78 dst_sel:DWORD dst_unused:UNUSED_PAD src0_sel:WORD_1
	v_cvt_f32_f16_e32 v16, v78
	v_cvt_f32_f16_sdwa v25, v75 dst_sel:DWORD dst_unused:UNUSED_PAD src0_sel:WORD_1
	v_pk_add_f32 v[4:5], v[4:5], 1.0 op_sel_hi:[1,0]
	;;#ASMSTART
	v_pk_mul_f32 v[34:35], v[6:7], v[4:5]
	;;#ASMEND
	v_pk_add_f32 v[4:5], v[16:17], 1.0 op_sel_hi:[1,0]
	v_pk_add_f32 v[6:7], v[20:21], 1.0 op_sel_hi:[1,0]
	v_cvt_f32_f16_sdwa v17, v72 dst_sel:DWORD dst_unused:UNUSED_PAD src0_sel:WORD_1
	v_cvt_f32_f16_e32 v16, v72
	v_cvt_f32_f16_sdwa v21, v73 dst_sel:DWORD dst_unused:UNUSED_PAD src0_sel:WORD_1
	v_cvt_f32_f16_e32 v20, v73
	v_cvt_f32_f16_e32 v24, v75
	v_pk_add_f32 v[16:17], v[16:17], 1.0 op_sel_hi:[1,0]
	v_pk_add_f32 v[22:23], v[22:23], 1.0 op_sel_hi:[1,0]
	;; [unrolled: 1-line block ×4, first 2 shown]
	;;#ASMSTART
	v_pk_mul_f32 v[54:55], v[8:9], v[4:5]
	;;#ASMEND
	;;#ASMSTART
	v_pk_mul_f32 v[24:25], v[10:11], v[6:7]
	;;#ASMEND
	;; [unrolled: 3-line block ×6, first 2 shown]
	s_or_b64 exec, exec, s[22:23]
	s_mov_b64 s[8:9], -1
	s_and_b64 vcc, exec, s[10:11]
	s_cbranch_vccz .LBB1009_15
.LBB1009_19:
	s_and_saveexec_b64 s[8:9], s[0:1]
	s_cbranch_execz .LBB1009_21
; %bb.20:
	v_cvt_f16_f32_e32 v2, v54
	v_cvt_f16_f32_e32 v3, v24
	;; [unrolled: 1-line block ×4, first 2 shown]
	s_mul_hi_i32 s11, s34, s6
	s_mul_i32 s10, s34, s6
	v_pack_b32_f16 v5, v3, v4
	v_pack_b32_f16 v4, v2, v6
	v_cvt_f16_f32_e32 v2, v34
	v_cvt_f16_f32_e32 v3, v35
	;; [unrolled: 1-line block ×3, first 2 shown]
	s_lshl_b64 s[10:11], s[10:11], 1
	s_add_u32 s28, s38, s10
	v_pack_b32_f16 v3, v2, v3
	v_cvt_f16_f32_e32 v2, v48
	s_addc_u32 s7, s39, s11
	s_and_b32 s29, s7, 0xffff
	s_mov_b32 s31, 0x20000
	v_pack_b32_f16 v2, v2, v6
	v_lshlrev_b32_e32 v6, 5, v0
	buffer_store_dwordx4 v[2:5], v6, s[28:31], 0 offen
	v_cvt_f16_f32_e32 v7, v15
	v_cvt_f16_f32_e32 v2, v14
	;; [unrolled: 1-line block ×4, first 2 shown]
	;;#ASMSTART
	s_nop 0
	;;#ASMEND
	v_pack_b32_f16 v5, v3, v4
	v_pack_b32_f16 v4, v2, v7
	v_cvt_f16_f32_e32 v2, v18
	v_cvt_f16_f32_e32 v3, v19
	v_cvt_f16_f32_e32 v7, v65
	v_pack_b32_f16 v3, v2, v3
	v_cvt_f16_f32_e32 v2, v64
	v_pack_b32_f16 v2, v2, v7
	buffer_store_dwordx4 v[2:5], v6, s[28:31], 16 offen
	;;#ASMSTART
	s_nop 0
	;;#ASMEND
.LBB1009_21:
	s_or_b64 exec, exec, s[8:9]
	s_cbranch_execnz .LBB1009_16
.LBB1009_22:
	v_mov_b32_e32 v2, 0
	s_and_saveexec_b64 s[8:9], s[0:1]
	s_cbranch_execz .LBB1009_24
; %bb.23:
	v_and_b32_e32 v2, 0x7fffffff, v48
	v_and_b32_e32 v3, 0x7fffffff, v49
	v_mov_b32_e32 v4, 0x2edbe6ff
	;;#ASMSTART
	v_max3_f32 v2, v4, v2, v3

	;;#ASMEND
	v_and_b32_e32 v3, 0x7fffffff, v34
	v_and_b32_e32 v4, 0x7fffffff, v35
	;;#ASMSTART
	v_max3_f32 v2, v2, v3, v4

	;;#ASMEND
	v_and_b32_e32 v3, 0x7fffffff, v54
	v_and_b32_e32 v4, 0x7fffffff, v55
	;; [unrolled: 6-line block ×7, first 2 shown]
	;;#ASMSTART
	v_max3_f32 v2, v2, v3, v4

	;;#ASMEND
.LBB1009_24:
	s_or_b64 exec, exec, s[8:9]
	;;#ASMSTART
	v_max_f32 v3, v2, v2 quad_perm:[1,0,3,2] row_mask:0xf bank_mask:0xf bound_ctrl:1
	;;#ASMEND
	v_mul_f32_e32 v2, 0x3b124925, v3
	v_and_b32_e32 v3, 1, v0
	v_cmp_eq_u32_e32 vcc, 0, v3
	v_cmp_gt_i32_e64 s[8:9], s15, v1
	s_and_b64 s[10:11], vcc, s[8:9]
	s_and_saveexec_b64 s[8:9], s[10:11]
	s_cbranch_execz .LBB1009_26
; %bb.25:
	s_load_dwordx2 s[10:11], s[4:5], 0x8
	s_mul_hi_i32 s23, s25, s6
	s_mul_i32 s22, s25, s6
	v_lshrrev_b32_e32 v3, 1, v0
	s_lshl_b64 s[22:23], s[22:23], 2
	v_mad_i64_i32 v[4:5], s[26:27], s26, v3, 0
	s_waitcnt lgkmcnt(0)
	s_add_u32 s7, s10, s22
	s_addc_u32 s10, s11, s23
	v_lshlrev_b64 v[4:5], 2, v[4:5]
	v_mov_b32_e32 v3, s10
	v_add_co_u32_e32 v4, vcc, s7, v4
	v_addc_co_u32_e32 v5, vcc, v3, v5, vcc
	global_store_dword v[4:5], v2, off
.LBB1009_26:
	s_or_b64 exec, exec, s[8:9]
	;;#ASMSTART
	v_rcp_f32 v2, v2
	;;#ASMEND
	s_and_saveexec_b64 s[22:23], s[0:1]
	s_cbranch_execz .LBB1009_28
; %bb.27:
	v_mov_b32_e32 v3, v2
	;;#ASMSTART
	v_pk_mul_f32 v[4:5], v[48:49], v[2:3]
	;;#ASMEND
	v_mov_b32_e32 v10, 0xc3e00000
	v_mov_b32_e32 v11, 0x43e00000
	;;#ASMSTART
	v_med3_f32 v4, v4, v10, v11
v_med3_f32 v5, v5, v10, v11
v_cvt_pk_fp8_f32 v6, v4, v5
	;;#ASMEND
	;;#ASMSTART
	v_pk_mul_f32 v[4:5], v[34:35], v[2:3]
	;;#ASMEND
	;;#ASMSTART
	v_med3_f32 v4, v4, v10, v11
v_med3_f32 v5, v5, v10, v11
v_cvt_pk_fp8_f32 v7, v4, v5
	;;#ASMEND
	;;#ASMSTART
	v_pk_mul_f32 v[4:5], v[54:55], v[2:3]
	;;#ASMEND
	;; [unrolled: 8-line block ×3, first 2 shown]
	;;#ASMSTART
	v_med3_f32 v4, v4, v10, v11
v_med3_f32 v5, v5, v10, v11
v_cvt_pk_fp8_f32 v9, v4, v5
	;;#ASMEND
	s_mov_b32 s0, 0x5040100
	v_perm_b32 v4, v7, v6, s0
	s_mov_b32 s0, 0x1060504
	v_perm_b32 v4, v4, v7, s0
	s_load_dwordx2 s[0:1], s[4:5], 0x0
	s_mov_b32 s7, 0x1000504
	;;#ASMSTART
	v_pk_mul_f32 v[6:7], v[64:65], v[2:3]
	;;#ASMEND
	v_perm_b32 v5, v8, v9, s7
	s_mul_i32 s8, s24, s6
	;;#ASMSTART
	v_med3_f32 v6, v6, v10, v11
v_med3_f32 v7, v7, v10, v11
v_cvt_pk_fp8_f32 v8, v6, v7
	;;#ASMEND
	s_mul_hi_i32 s9, s24, s6
	s_waitcnt lgkmcnt(0)
	s_add_u32 s8, s0, s8
	;;#ASMSTART
	v_pk_mul_f32 v[6:7], v[18:19], v[2:3]
	;;#ASMEND
	s_addc_u32 s0, s1, s9
	s_add_i32 s1, s15, 3
	;;#ASMSTART
	v_med3_f32 v6, v6, v10, v11
v_med3_f32 v7, v7, v10, v11
v_cvt_pk_fp8_f32 v9, v6, v7
	;;#ASMEND
	s_ashr_i32 s9, s1, 31
	v_perm_b32 v6, v8, v9, s7
	;;#ASMSTART
	v_pk_mul_f32 v[8:9], v[14:15], v[2:3]
	;;#ASMEND
	v_mov_b32_e32 v7, v9
	s_lshr_b32 s9, s9, 30
	;;#ASMSTART
	v_med3_f32 v8, v8, v10, v11
v_med3_f32 v7, v7, v10, v11
v_cvt_pk_fp8_f32 v9, v8, v7
	;;#ASMEND
	;;#ASMSTART
	v_pk_mul_f32 v[2:3], v[88:89], v[2:3]
	;;#ASMEND
	s_add_i32 s1, s1, s9
	;;#ASMSTART
	v_med3_f32 v2, v2, v10, v11
v_med3_f32 v3, v3, v10, v11
v_cvt_pk_fp8_f32 v7, v2, v3
	;;#ASMEND
	s_and_b32 s10, s1, -4
	s_and_b32 s9, s0, 0xffff
	s_mov_b32 s11, 0x20000
	v_perm_b32 v7, v9, v7, s7
	buffer_store_dwordx4 v[4:7], v1, s[8:11], 0 offen
	;;#ASMSTART
	s_nop 0
	;;#ASMEND
.LBB1009_28:
	s_or_b64 exec, exec, s[22:23]
	s_cmp_lt_i32 s16, 1
	s_cbranch_scc1 .LBB1009_17
.LBB1009_29:
	s_load_dword s0, s[4:5], 0x94
	s_waitcnt lgkmcnt(0)
	s_cmp_lg_u32 s0, 1
	s_cbranch_scc1 .LBB1009_17
; %bb.30:
	s_lshl_b32 s0, s16, 1
	s_add_i32 s0, s0, 2
	v_cmp_gt_u32_e32 vcc, s16, v1
	s_and_b32 s22, s0, -4
	v_mov_b32_e32 v18, 0
	v_lshlrev_b32_e32 v1, 5, v0
	v_mov_b32_e32 v14, 0
	v_mov_b32_e32 v15, 0
	;; [unrolled: 1-line block ×16, first 2 shown]
	s_barrier
	s_and_saveexec_b64 s[0:1], vcc
	s_cbranch_execz .LBB1009_32
; %bb.31:
	s_mul_hi_i32 s5, s18, s6
	s_mul_i32 s4, s18, s6
	s_and_b32 s21, s21, 0xffff
	s_lshl_b64 s[4:5], s[4:5], 1
	s_add_u32 s8, s36, s4
	s_mov_b32 s23, 0x20000
	s_addc_u32 s4, s37, s5
	s_and_b32 s9, s4, 0xffff
	s_mov_b32 s10, s22
	s_mov_b32 s11, s23
	buffer_load_dwordx4 v[14:17], v1, s[8:11], 0 offen
	buffer_load_dwordx4 v[10:13], v1, s[8:11], 16 offen
	;; [unrolled: 1-line block ×4, first 2 shown]
.LBB1009_32:
	s_or_b64 exec, exec, s[0:1]
	v_mov_b32_e32 v19, 0
	v_mov_b32_e32 v32, 0
	;; [unrolled: 1-line block ×15, first 2 shown]
	s_and_saveexec_b64 s[0:1], vcc
	s_cbranch_execz .LBB1009_34
; %bb.33:
	s_waitcnt vmcnt(3)
	v_cvt_f32_f16_sdwa v19, v14 dst_sel:DWORD dst_unused:UNUSED_PAD src0_sel:WORD_1
	v_cvt_f32_f16_e32 v18, v14
	v_cvt_f32_f16_sdwa v33, v15 dst_sel:DWORD dst_unused:UNUSED_PAD src0_sel:WORD_1
	v_cvt_f32_f16_e32 v32, v15
	;; [unrolled: 2-line block ×4, first 2 shown]
	s_waitcnt vmcnt(2)
	v_cvt_f32_f16_sdwa v27, v10 dst_sel:DWORD dst_unused:UNUSED_PAD src0_sel:WORD_1
	v_cvt_f32_f16_e32 v26, v10
	v_cvt_f32_f16_sdwa v25, v11 dst_sel:DWORD dst_unused:UNUSED_PAD src0_sel:WORD_1
	v_cvt_f32_f16_e32 v24, v11
	;; [unrolled: 2-line block ×4, first 2 shown]
.LBB1009_34:
	s_or_b64 exec, exec, s[0:1]
	s_waitcnt vmcnt(2)
	v_mul_f32_e32 v10, v19, v19
	v_fmac_f32_e32 v10, v18, v18
	v_fmac_f32_e32 v10, v32, v32
	;; [unrolled: 1-line block ×15, first 2 shown]
	s_nop 1
	v_mov_b32_dpp v11, v10 quad_perm:[1,0,3,2] row_mask:0xf bank_mask:0xf
	v_add_f32_e32 v10, v10, v11
	s_nop 1
	v_mov_b32_dpp v11, v10 quad_perm:[2,3,0,1] row_mask:0xf bank_mask:0xf
	v_add_f32_e32 v10, v10, v11
	s_nop 1
	v_mov_b32_dpp v11, v10 row_half_mirror row_mask:0xf bank_mask:0xf
	v_add_f32_e32 v10, v10, v11
	s_nop 1
	v_mov_b32_dpp v11, v10 row_mirror row_mask:0xf bank_mask:0xf
	v_add_f32_e32 v10, v10, v11
	s_nop 1
	v_mov_b32_dpp v11, v10 row_bcast:15 row_mask:0xf bank_mask:0xf
	v_add_f32_e32 v10, v10, v11
	s_nop 1
	v_mov_b32_dpp v11, v10 row_bcast:31 row_mask:0xf bank_mask:0xf
	s_and_saveexec_b64 s[0:1], s[2:3]
	s_cbranch_execz .LBB1009_36
; %bb.35:
	v_lshrrev_b32_e32 v0, 4, v0
	v_add_f32_e32 v10, v10, v11
	v_and_b32_e32 v0, 60, v0
	ds_write_b32 v0, v10
.LBB1009_36:
	s_or_b64 exec, exec, s[0:1]
	s_waitcnt lgkmcnt(0)
	s_barrier
	ds_read_b32 v0, v36
	s_waitcnt lgkmcnt(0)
	s_nop 0
	v_mov_b32_dpp v10, v0 quad_perm:[1,0,3,2] row_mask:0xf bank_mask:0xf
	v_add_f32_e32 v0, v0, v10
	s_nop 1
	v_mov_b32_dpp v10, v0 quad_perm:[2,3,0,1] row_mask:0xf bank_mask:0xf
	v_add_f32_e32 v0, v0, v10
	s_nop 1
	v_mov_b32_dpp v10, v0 row_half_mirror row_mask:0xf bank_mask:0xf
	s_and_saveexec_b64 s[0:1], vcc
	s_cbranch_execz .LBB1009_17
; %bb.37:
	v_cvt_f32_u32_e32 v11, s16
	v_add_f32_e32 v0, v0, v10
	s_mov_b32 s23, 0x20000
	v_div_scale_f32 v10, s[0:1], v11, v11, v0
	v_rcp_f32_e32 v12, v10
	v_div_scale_f32 v13, vcc, v0, v11, v0
	s_mov_b32 s0, 0x800000
	v_fma_f32 v14, -v10, v12, 1.0
	v_fmac_f32_e32 v12, v14, v12
	v_mul_f32_e32 v14, v13, v12
	v_fma_f32 v15, -v10, v14, v13
	v_fmac_f32_e32 v14, v15, v12
	v_fma_f32 v10, -v10, v14, v13
	v_div_fmas_f32 v10, v10, v12, v14
	v_div_fixup_f32 v0, v10, v11, v0
	v_add_f32_e32 v0, s13, v0
	v_mul_f32_e32 v10, 0x4b800000, v0
	v_cmp_gt_f32_e32 vcc, s0, v0
	v_cndmask_b32_e32 v0, v0, v10, vcc
	v_rsq_f32_e32 v0, v0
	s_mul_hi_i32 s1, s34, s6
	s_mul_i32 s0, s34, s6
	s_lshl_b64 s[0:1], s[0:1], 1
	v_mul_f32_e32 v10, 0x45800000, v0
	v_cndmask_b32_e32 v10, v0, v10, vcc
	v_mov_b32_e32 v11, v10
	;;#ASMSTART
	v_pk_mul_f32 v[12:13], v[18:19], v[10:11]
	;;#ASMEND
	;;#ASMSTART
	v_pk_mul_f32 v[14:15], v[32:33], v[10:11]
	;;#ASMEND
	;; [unrolled: 3-line block ×4, first 2 shown]
	s_waitcnt vmcnt(1)
	v_cvt_f32_f16_sdwa v29, v6 dst_sel:DWORD dst_unused:UNUSED_PAD src0_sel:WORD_1
	v_cvt_f32_f16_e32 v28, v6
	v_cvt_f32_f16_sdwa v31, v7 dst_sel:DWORD dst_unused:UNUSED_PAD src0_sel:WORD_1
	v_cvt_f32_f16_e32 v30, v7
	;;#ASMSTART
	v_pk_mul_f32 v[26:27], v[26:27], v[10:11]
	;;#ASMEND
	;;#ASMSTART
	v_pk_mul_f32 v[24:25], v[24:25], v[10:11]
	;;#ASMEND
	;; [unrolled: 3-line block ×4, first 2 shown]
	v_cvt_f32_f16_sdwa v21, v8 dst_sel:DWORD dst_unused:UNUSED_PAD src0_sel:WORD_1
	v_cvt_f32_f16_e32 v20, v8
	v_pk_add_f32 v[10:11], v[28:29], 1.0 op_sel_hi:[1,0]
	;;#ASMSTART
	v_pk_mul_f32 v[10:11], v[12:13], v[10:11]
	;;#ASMEND
	v_pk_add_f32 v[12:13], v[30:31], 1.0 op_sel_hi:[1,0]
	v_cvt_f32_f16_sdwa v29, v9 dst_sel:DWORD dst_unused:UNUSED_PAD src0_sel:WORD_1
	v_cvt_f32_f16_e32 v28, v9
	;;#ASMSTART
	v_pk_mul_f32 v[8:9], v[14:15], v[12:13]
	;;#ASMEND
	v_pk_add_f32 v[12:13], v[20:21], 1.0 op_sel_hi:[1,0]
	;;#ASMSTART
	v_pk_mul_f32 v[12:13], v[16:17], v[12:13]
	;;#ASMEND
	s_waitcnt vmcnt(0)
	v_cvt_f32_f16_sdwa v17, v2 dst_sel:DWORD dst_unused:UNUSED_PAD src0_sel:WORD_1
	v_cvt_f32_f16_e32 v16, v2
	v_cvt_f32_f16_sdwa v21, v3 dst_sel:DWORD dst_unused:UNUSED_PAD src0_sel:WORD_1
	v_cvt_f32_f16_e32 v20, v3
	v_pk_add_f32 v[14:15], v[28:29], 1.0 op_sel_hi:[1,0]
	;;#ASMSTART
	v_pk_mul_f32 v[2:3], v[18:19], v[14:15]
	;;#ASMEND
	v_cvt_f32_f16_sdwa v19, v4 dst_sel:DWORD dst_unused:UNUSED_PAD src0_sel:WORD_1
	v_cvt_f32_f16_e32 v18, v4
	v_pk_add_f32 v[14:15], v[16:17], 1.0 op_sel_hi:[1,0]
	v_pk_add_f32 v[16:17], v[20:21], 1.0 op_sel_hi:[1,0]
	v_cvt_f32_f16_sdwa v21, v5 dst_sel:DWORD dst_unused:UNUSED_PAD src0_sel:WORD_1
	v_cvt_f32_f16_e32 v20, v5
	v_pk_add_f32 v[4:5], v[18:19], 1.0 op_sel_hi:[1,0]
	;;#ASMSTART
	v_pk_mul_f32 v[14:15], v[26:27], v[14:15]
	;;#ASMEND
	;;#ASMSTART
	v_pk_mul_f32 v[16:17], v[24:25], v[16:17]
	;;#ASMEND
	;; [unrolled: 3-line block ×3, first 2 shown]
	v_pk_add_f32 v[4:5], v[20:21], 1.0 op_sel_hi:[1,0]
	;;#ASMSTART
	v_pk_mul_f32 v[6:7], v[6:7], v[4:5]
	;;#ASMEND
	v_cvt_f16_f32_e32 v0, v10
	v_cvt_f16_f32_e32 v4, v11
	;; [unrolled: 1-line block ×8, first 2 shown]
	s_add_u32 s20, s38, s0
	s_addc_u32 s0, s39, s1
	s_and_b32 s21, s0, 0xffff
	v_pack_b32_f16 v2, v0, v4
	v_pack_b32_f16 v3, v5, v8
	;; [unrolled: 1-line block ×4, first 2 shown]
	buffer_store_dwordx4 v[2:5], v1, s[20:23], 0 offen
	v_cvt_f16_f32_e32 v0, v14
	v_cvt_f16_f32_e32 v2, v15
	;; [unrolled: 1-line block ×8, first 2 shown]
	v_pack_b32_f16 v2, v0, v2
	v_pack_b32_f16 v3, v3, v4
	;; [unrolled: 1-line block ×4, first 2 shown]
	;;#ASMSTART
	s_nop 0
	;;#ASMEND
	buffer_store_dwordx4 v[2:5], v1, s[20:23], 16 offen
	;;#ASMSTART
	s_nop 0
	;;#ASMEND
	s_endpgm
	.section	.rodata,"a",@progbits
	.p2align	6, 0x0
	.amdhsa_kernel _ZN5aiter35fused_qk_rmsnorm_group_quant_kernelIDF16_DB8_Li512ELi16ELi2ELb1ELb0ELb1ELb0ELb0ELb0EEEvPT0_PvPT_S6_S6_PKS5_S8_S8_S8_S8_ffiiiiiiiiiiiii
		.amdhsa_group_segment_fixed_size 64
		.amdhsa_private_segment_fixed_size 0
		.amdhsa_kernarg_size 400
		.amdhsa_user_sgpr_count 6
		.amdhsa_user_sgpr_private_segment_buffer 1
		.amdhsa_user_sgpr_dispatch_ptr 0
		.amdhsa_user_sgpr_queue_ptr 0
		.amdhsa_user_sgpr_kernarg_segment_ptr 1
		.amdhsa_user_sgpr_dispatch_id 0
		.amdhsa_user_sgpr_flat_scratch_init 0
		.amdhsa_user_sgpr_kernarg_preload_length 0
		.amdhsa_user_sgpr_kernarg_preload_offset 0
		.amdhsa_user_sgpr_private_segment_size 0
		.amdhsa_uses_dynamic_stack 0
		.amdhsa_system_sgpr_private_segment_wavefront_offset 0
		.amdhsa_system_sgpr_workgroup_id_x 1
		.amdhsa_system_sgpr_workgroup_id_y 1
		.amdhsa_system_sgpr_workgroup_id_z 0
		.amdhsa_system_sgpr_workgroup_info 0
		.amdhsa_system_vgpr_workitem_id 0
		.amdhsa_next_free_vgpr 90
		.amdhsa_next_free_sgpr 44
		.amdhsa_accum_offset 92
		.amdhsa_reserve_vcc 1
		.amdhsa_reserve_flat_scratch 0
		.amdhsa_float_round_mode_32 0
		.amdhsa_float_round_mode_16_64 0
		.amdhsa_float_denorm_mode_32 3
		.amdhsa_float_denorm_mode_16_64 3
		.amdhsa_dx10_clamp 1
		.amdhsa_ieee_mode 1
		.amdhsa_fp16_overflow 0
		.amdhsa_tg_split 0
		.amdhsa_exception_fp_ieee_invalid_op 0
		.amdhsa_exception_fp_denorm_src 0
		.amdhsa_exception_fp_ieee_div_zero 0
		.amdhsa_exception_fp_ieee_overflow 0
		.amdhsa_exception_fp_ieee_underflow 0
		.amdhsa_exception_fp_ieee_inexact 0
		.amdhsa_exception_int_div_zero 0
	.end_amdhsa_kernel
	.section	.text._ZN5aiter35fused_qk_rmsnorm_group_quant_kernelIDF16_DB8_Li512ELi16ELi2ELb1ELb0ELb1ELb0ELb0ELb0EEEvPT0_PvPT_S6_S6_PKS5_S8_S8_S8_S8_ffiiiiiiiiiiiii,"axG",@progbits,_ZN5aiter35fused_qk_rmsnorm_group_quant_kernelIDF16_DB8_Li512ELi16ELi2ELb1ELb0ELb1ELb0ELb0ELb0EEEvPT0_PvPT_S6_S6_PKS5_S8_S8_S8_S8_ffiiiiiiiiiiiii,comdat
.Lfunc_end1009:
	.size	_ZN5aiter35fused_qk_rmsnorm_group_quant_kernelIDF16_DB8_Li512ELi16ELi2ELb1ELb0ELb1ELb0ELb0ELb0EEEvPT0_PvPT_S6_S6_PKS5_S8_S8_S8_S8_ffiiiiiiiiiiiii, .Lfunc_end1009-_ZN5aiter35fused_qk_rmsnorm_group_quant_kernelIDF16_DB8_Li512ELi16ELi2ELb1ELb0ELb1ELb0ELb0ELb0EEEvPT0_PvPT_S6_S6_PKS5_S8_S8_S8_S8_ffiiiiiiiiiiiii
                                        ; -- End function
	.section	.AMDGPU.csdata,"",@progbits
; Kernel info:
; codeLenInByte = 4184
; NumSgprs: 48
; NumVgprs: 90
; NumAgprs: 0
; TotalNumVgprs: 90
; ScratchSize: 0
; MemoryBound: 0
; FloatMode: 240
; IeeeMode: 1
; LDSByteSize: 64 bytes/workgroup (compile time only)
; SGPRBlocks: 5
; VGPRBlocks: 11
; NumSGPRsForWavesPerEU: 48
; NumVGPRsForWavesPerEU: 90
; AccumOffset: 92
; Occupancy: 5
; WaveLimiterHint : 0
; COMPUTE_PGM_RSRC2:SCRATCH_EN: 0
; COMPUTE_PGM_RSRC2:USER_SGPR: 6
; COMPUTE_PGM_RSRC2:TRAP_HANDLER: 0
; COMPUTE_PGM_RSRC2:TGID_X_EN: 1
; COMPUTE_PGM_RSRC2:TGID_Y_EN: 1
; COMPUTE_PGM_RSRC2:TGID_Z_EN: 0
; COMPUTE_PGM_RSRC2:TIDIG_COMP_CNT: 0
; COMPUTE_PGM_RSRC3_GFX90A:ACCUM_OFFSET: 22
; COMPUTE_PGM_RSRC3_GFX90A:TG_SPLIT: 0
	.section	.text._ZN5aiter35fused_qk_rmsnorm_group_quant_kernelItDB8_Li512ELi16ELi2ELb1ELb0ELb1ELb0ELb0ELb0EEEvPT0_PvPT_S6_S6_PKS5_S8_S8_S8_S8_ffiiiiiiiiiiiii,"axG",@progbits,_ZN5aiter35fused_qk_rmsnorm_group_quant_kernelItDB8_Li512ELi16ELi2ELb1ELb0ELb1ELb0ELb0ELb0EEEvPT0_PvPT_S6_S6_PKS5_S8_S8_S8_S8_ffiiiiiiiiiiiii,comdat
	.protected	_ZN5aiter35fused_qk_rmsnorm_group_quant_kernelItDB8_Li512ELi16ELi2ELb1ELb0ELb1ELb0ELb0ELb0EEEvPT0_PvPT_S6_S6_PKS5_S8_S8_S8_S8_ffiiiiiiiiiiiii ; -- Begin function _ZN5aiter35fused_qk_rmsnorm_group_quant_kernelItDB8_Li512ELi16ELi2ELb1ELb0ELb1ELb0ELb0ELb0EEEvPT0_PvPT_S6_S6_PKS5_S8_S8_S8_S8_ffiiiiiiiiiiiii
	.globl	_ZN5aiter35fused_qk_rmsnorm_group_quant_kernelItDB8_Li512ELi16ELi2ELb1ELb0ELb1ELb0ELb0ELb0EEEvPT0_PvPT_S6_S6_PKS5_S8_S8_S8_S8_ffiiiiiiiiiiiii
	.p2align	8
	.type	_ZN5aiter35fused_qk_rmsnorm_group_quant_kernelItDB8_Li512ELi16ELi2ELb1ELb0ELb1ELb0ELb0ELb0EEEvPT0_PvPT_S6_S6_PKS5_S8_S8_S8_S8_ffiiiiiiiiiiiii,@function
_ZN5aiter35fused_qk_rmsnorm_group_quant_kernelItDB8_Li512ELi16ELi2ELb1ELb0ELb1ELb0ELb0ELb0EEEvPT0_PvPT_S6_S6_PKS5_S8_S8_S8_S8_ffiiiiiiiiiiiii: ; @_ZN5aiter35fused_qk_rmsnorm_group_quant_kernelItDB8_Li512ELi16ELi2ELb1ELb0ELb1ELb0ELb0ELb0EEEvPT0_PvPT_S6_S6_PKS5_S8_S8_S8_S8_ffiiiiiiiiiiiii
; %bb.0:
	s_load_dwordx8 s[12:19], s[4:5], 0x50
	s_waitcnt lgkmcnt(0)
	s_cmp_ge_i32 s6, s14
	s_cbranch_scc1 .LBB1010_17
; %bb.1:
	s_cmp_lg_u32 s7, 0
	s_cselect_b64 s[10:11], -1, 0
	s_cmp_eq_u32 s7, 0
	s_cselect_b64 s[8:9], -1, 0
	s_and_b64 s[0:1], s[8:9], exec
	s_load_dwordx2 s[20:21], s[4:5], 0x48
	s_load_dwordx2 s[36:37], s[4:5], 0x30
	s_load_dwordx4 s[24:27], s[4:5], 0x70
	s_cselect_b32 s7, s15, s16
	s_add_i32 s0, s7, 1
	s_lshr_b32 s1, s0, 31
	s_add_i32 s0, s0, s1
	s_lshl_b32 s0, s0, 1
	v_lshlrev_b32_e32 v1, 4, v0
	s_and_b32 s30, s0, -4
	v_cmp_gt_i32_e64 s[0:1], s7, v1
	v_mov_b32_e32 v74, 0
	v_mov_b32_e32 v75, 0
	;; [unrolled: 1-line block ×16, first 2 shown]
	s_and_saveexec_b64 s[2:3], s[0:1]
	s_cbranch_execz .LBB1010_3
; %bb.2:
	s_load_dwordx2 s[22:23], s[4:5], 0x28
	s_load_dwordx2 s[28:29], s[4:5], 0x40
	s_and_b64 s[34:35], s[8:9], exec
	s_cselect_b32 s14, s17, s18
	s_mov_b32 s31, 0x20000
	s_waitcnt lgkmcnt(0)
	s_cselect_b32 s17, s23, s37
	s_cselect_b32 s27, s22, s36
	s_mul_hi_i32 s23, s14, s6
	s_mul_i32 s22, s14, s6
	s_lshl_b64 s[22:23], s[22:23], 1
	s_add_u32 s40, s27, s22
	s_addc_u32 s14, s17, s23
	s_and_b64 s[22:23], s[8:9], exec
	s_cselect_b32 s28, s28, s20
	s_cselect_b32 s17, s29, s21
	s_and_b32 s41, s14, 0xffff
	s_mov_b32 s42, s30
	s_mov_b32 s43, s31
	v_lshlrev_b32_e32 v2, 5, v0
	s_and_b32 s29, s17, 0xffff
	buffer_load_dwordx4 v[78:81], v2, s[40:43], 0 offen
	buffer_load_dwordx4 v[82:85], v2, s[40:43], 16 offen
	;; [unrolled: 1-line block ×4, first 2 shown]
.LBB1010_3:
	s_or_b64 exec, exec, s[2:3]
	s_load_dwordx2 s[34:35], s[4:5], 0x80
	s_and_b64 vcc, exec, s[10:11]
	s_cbranch_vccz .LBB1010_7
; %bb.4:
	v_mov_b32_e32 v87, 0
	v_mov_b32_e32 v86, 0
	;; [unrolled: 1-line block ×16, first 2 shown]
	s_and_saveexec_b64 s[2:3], s[0:1]
	s_cbranch_execz .LBB1010_6
; %bb.5:
	s_waitcnt vmcnt(3)
	v_cvt_f32_u32_sdwa v52, v78 dst_sel:DWORD dst_unused:UNUSED_PAD src0_sel:WORD_0
	v_cvt_f32_u32_sdwa v53, v78 dst_sel:DWORD dst_unused:UNUSED_PAD src0_sel:WORD_1
	v_cvt_f32_u32_sdwa v34, v79 dst_sel:DWORD dst_unused:UNUSED_PAD src0_sel:WORD_0
	v_cvt_f32_u32_sdwa v35, v79 dst_sel:DWORD dst_unused:UNUSED_PAD src0_sel:WORD_1
	v_cvt_f32_u32_sdwa v58, v80 dst_sel:DWORD dst_unused:UNUSED_PAD src0_sel:WORD_0
	v_cvt_f32_u32_sdwa v59, v80 dst_sel:DWORD dst_unused:UNUSED_PAD src0_sel:WORD_1
	v_cvt_f32_u32_sdwa v24, v81 dst_sel:DWORD dst_unused:UNUSED_PAD src0_sel:WORD_0
	v_cvt_f32_u32_sdwa v25, v81 dst_sel:DWORD dst_unused:UNUSED_PAD src0_sel:WORD_1
	s_waitcnt vmcnt(2)
	v_cvt_f32_u32_sdwa v44, v82 dst_sel:DWORD dst_unused:UNUSED_PAD src0_sel:WORD_0
	v_cvt_f32_u32_sdwa v45, v82 dst_sel:DWORD dst_unused:UNUSED_PAD src0_sel:WORD_1
	v_cvt_f32_u32_sdwa v18, v83 dst_sel:DWORD dst_unused:UNUSED_PAD src0_sel:WORD_0
	v_cvt_f32_u32_sdwa v19, v83 dst_sel:DWORD dst_unused:UNUSED_PAD src0_sel:WORD_1
	;; [unrolled: 2-line block ×4, first 2 shown]
.LBB1010_6:
	s_or_b64 exec, exec, s[2:3]
	s_cbranch_execz .LBB1010_8
	s_branch .LBB1010_11
.LBB1010_7:
                                        ; implicit-def: $vgpr32_vgpr33_vgpr34_vgpr35_vgpr36_vgpr37_vgpr38_vgpr39_vgpr40_vgpr41_vgpr42_vgpr43_vgpr44_vgpr45_vgpr46_vgpr47
                                        ; implicit-def: $vgpr18_vgpr19_vgpr20_vgpr21_vgpr22_vgpr23_vgpr24_vgpr25_vgpr26_vgpr27_vgpr28_vgpr29_vgpr30_vgpr31_vgpr32_vgpr33
                                        ; implicit-def: $vgpr52_vgpr53_vgpr54_vgpr55_vgpr56_vgpr57_vgpr58_vgpr59_vgpr60_vgpr61_vgpr62_vgpr63_vgpr64_vgpr65_vgpr66_vgpr67
                                        ; implicit-def: $vgpr87
                                        ; implicit-def: $vgpr54_vgpr55_vgpr56_vgpr57_vgpr58_vgpr59_vgpr60_vgpr61_vgpr62_vgpr63_vgpr64_vgpr65_vgpr66_vgpr67_vgpr68_vgpr69
                                        ; implicit-def: $vgpr8_vgpr9_vgpr10_vgpr11_vgpr12_vgpr13_vgpr14_vgpr15_vgpr16_vgpr17_vgpr18_vgpr19_vgpr20_vgpr21_vgpr22_vgpr23
                                        ; implicit-def: $vgpr36_vgpr37_vgpr38_vgpr39_vgpr40_vgpr41_vgpr42_vgpr43_vgpr44_vgpr45_vgpr46_vgpr47_vgpr48_vgpr49_vgpr50_vgpr51
                                        ; implicit-def: $vgpr2_vgpr3_vgpr4_vgpr5_vgpr6_vgpr7_vgpr8_vgpr9_vgpr10_vgpr11_vgpr12_vgpr13_vgpr14_vgpr15_vgpr16_vgpr17
.LBB1010_8:
	v_mov_b32_e32 v87, 0
	v_mov_b32_e32 v86, 0
	;; [unrolled: 1-line block ×16, first 2 shown]
	s_and_saveexec_b64 s[2:3], s[0:1]
	s_cbranch_execz .LBB1010_10
; %bb.9:
	s_load_dwordx2 s[22:23], s[4:5], 0x38
	s_mul_hi_i32 s29, s19, s6
	s_mul_i32 s28, s19, s6
	s_lshl_b64 s[28:29], s[28:29], 1
	s_mov_b32 s31, 0x20000
	s_waitcnt lgkmcnt(0)
	s_add_u32 s28, s22, s28
	s_addc_u32 s14, s23, s29
	s_and_b32 s29, s14, 0xffff
	v_lshlrev_b32_e32 v38, 5, v0
	buffer_load_dwordx4 v[4:7], v38, s[28:31], 16 offen
	buffer_load_dwordx4 v[8:11], v38, s[28:31], 0 offen
	s_load_dwordx2 s[22:23], s[4:5], 0x20
	s_waitcnt vmcnt(5)
	v_cvt_f32_u32_sdwa v19, v78 dst_sel:DWORD dst_unused:UNUSED_PAD src0_sel:WORD_1
	v_cvt_f32_u32_sdwa v18, v78 dst_sel:DWORD dst_unused:UNUSED_PAD src0_sel:WORD_0
	v_cvt_f32_u32_sdwa v21, v79 dst_sel:DWORD dst_unused:UNUSED_PAD src0_sel:WORD_1
	v_cvt_f32_u32_sdwa v20, v79 dst_sel:DWORD dst_unused:UNUSED_PAD src0_sel:WORD_0
	;; [unrolled: 2-line block ×4, first 2 shown]
	s_waitcnt vmcnt(4)
	v_cvt_f32_u32_sdwa v3, v82 dst_sel:DWORD dst_unused:UNUSED_PAD src0_sel:WORD_1
	v_cvt_f32_u32_sdwa v2, v82 dst_sel:DWORD dst_unused:UNUSED_PAD src0_sel:WORD_0
	v_cvt_f32_u32_sdwa v13, v83 dst_sel:DWORD dst_unused:UNUSED_PAD src0_sel:WORD_1
	v_cvt_f32_u32_sdwa v12, v83 dst_sel:DWORD dst_unused:UNUSED_PAD src0_sel:WORD_0
	;; [unrolled: 2-line block ×3, first 2 shown]
	v_cvt_f32_u32_sdwa v16, v85 dst_sel:DWORD dst_unused:UNUSED_PAD src0_sel:WORD_0
	v_cvt_f32_u32_sdwa v17, v85 dst_sel:DWORD dst_unused:UNUSED_PAD src0_sel:WORD_1
	s_mul_hi_i32 s29, s35, s6
	s_mul_i32 s28, s35, s6
	s_lshl_b64 s[28:29], s[28:29], 1
	s_waitcnt lgkmcnt(0)
	s_add_u32 s28, s22, s28
	s_mov_b32 s14, 0x7060302
	s_addc_u32 s17, s23, s29
	s_and_b32 s29, s17, 0xffff
	s_waitcnt vmcnt(1)
	v_cvt_f32_u32_sdwa v27, v4 dst_sel:DWORD dst_unused:UNUSED_PAD src0_sel:WORD_1
	v_cvt_f32_u32_sdwa v26, v4 dst_sel:DWORD dst_unused:UNUSED_PAD src0_sel:WORD_0
	v_cvt_f32_u32_sdwa v29, v5 dst_sel:DWORD dst_unused:UNUSED_PAD src0_sel:WORD_1
	v_cvt_f32_u32_sdwa v28, v5 dst_sel:DWORD dst_unused:UNUSED_PAD src0_sel:WORD_0
	;; [unrolled: 2-line block ×3, first 2 shown]
	v_cvt_f32_u32_sdwa v32, v7 dst_sel:DWORD dst_unused:UNUSED_PAD src0_sel:WORD_0
	v_cvt_f32_u32_sdwa v33, v7 dst_sel:DWORD dst_unused:UNUSED_PAD src0_sel:WORD_1
	s_waitcnt vmcnt(0)
	v_cvt_f32_u32_sdwa v37, v8 dst_sel:DWORD dst_unused:UNUSED_PAD src0_sel:WORD_1
	v_cvt_f32_u32_sdwa v36, v8 dst_sel:DWORD dst_unused:UNUSED_PAD src0_sel:WORD_0
	v_cvt_f32_u32_sdwa v5, v10 dst_sel:DWORD dst_unused:UNUSED_PAD src0_sel:WORD_1
	v_cvt_f32_u32_sdwa v4, v10 dst_sel:DWORD dst_unused:UNUSED_PAD src0_sel:WORD_0
	;; [unrolled: 2-line block ×4, first 2 shown]
	v_pk_add_f32 v[58:59], v[22:23], v[4:5]
	v_pk_add_f32 v[24:25], v[24:25], v[6:7]
	v_pk_add_f32 v[52:53], v[18:19], v[36:37]
	v_pk_add_f32 v[34:35], v[20:21], v[10:11]
	v_perm_b32 v7, v25, v24, s14
	v_perm_b32 v6, v59, v58, s14
	;; [unrolled: 1-line block ×4, first 2 shown]
	v_pk_add_f32 v[86:87], v[16:17], v[32:33]
	v_pk_add_f32 v[14:15], v[14:15], v[30:31]
	;; [unrolled: 1-line block ×4, first 2 shown]
	buffer_store_dwordx4 v[4:7], v38, s[28:31], 0 offen
	;;#ASMSTART
	s_nop 0
	;;#ASMEND
	s_nop 0
	v_perm_b32 v7, v87, v86, s14
	v_perm_b32 v6, v15, v14, s14
	;; [unrolled: 1-line block ×4, first 2 shown]
	buffer_store_dwordx4 v[4:7], v38, s[28:31], 16 offen
	;;#ASMSTART
	s_nop 0
	;;#ASMEND
.LBB1010_10:
	s_or_b64 exec, exec, s[2:3]
.LBB1010_11:
	v_mul_f32_e32 v2, v53, v53
	v_fmac_f32_e32 v2, v52, v52
	v_fmac_f32_e32 v2, v34, v34
	;; [unrolled: 1-line block ×15, first 2 shown]
	s_nop 1
	v_mov_b32_dpp v3, v2 quad_perm:[1,0,3,2] row_mask:0xf bank_mask:0xf
	v_add_f32_e32 v2, v2, v3
	s_nop 1
	v_mov_b32_dpp v3, v2 quad_perm:[2,3,0,1] row_mask:0xf bank_mask:0xf
	v_add_f32_e32 v2, v2, v3
	s_nop 1
	v_mov_b32_dpp v3, v2 row_half_mirror row_mask:0xf bank_mask:0xf
	v_add_f32_e32 v2, v2, v3
	s_nop 1
	v_mov_b32_dpp v3, v2 row_mirror row_mask:0xf bank_mask:0xf
	v_add_f32_e32 v2, v2, v3
	s_nop 1
	v_mov_b32_dpp v3, v2 row_bcast:15 row_mask:0xf bank_mask:0xf
	v_add_f32_e32 v2, v2, v3
	v_and_b32_e32 v3, 63, v0
	v_cmp_eq_u32_e64 s[2:3], 63, v3
	s_nop 0
	v_mov_b32_dpp v3, v2 row_bcast:31 row_mask:0xf bank_mask:0xf
	s_and_saveexec_b64 s[22:23], s[2:3]
	s_cbranch_execz .LBB1010_13
; %bb.12:
	v_add_f32_e32 v2, v2, v3
	v_lshrrev_b32_e32 v3, 4, v0
	v_and_b32_e32 v3, 60, v3
	ds_write_b32 v3, v2 offset:32
.LBB1010_13:
	s_or_b64 exec, exec, s[22:23]
	v_and_b32_e32 v2, 7, v0
	v_lshlrev_b32_e32 v36, 2, v2
	s_waitcnt lgkmcnt(0)
	s_barrier
	ds_read_b32 v2, v36 offset:32
	s_load_dwordx2 s[38:39], s[4:5], 0x18
	s_waitcnt lgkmcnt(0)
	v_mov_b32_dpp v3, v2 quad_perm:[1,0,3,2] row_mask:0xf bank_mask:0xf
	v_add_f32_e32 v2, v2, v3
	s_nop 1
	v_mov_b32_dpp v3, v2 quad_perm:[2,3,0,1] row_mask:0xf bank_mask:0xf
	v_add_f32_e32 v2, v2, v3
	s_nop 1
	v_mov_b32_dpp v3, v2 row_half_mirror row_mask:0xf bank_mask:0xf
	s_and_saveexec_b64 s[22:23], s[0:1]
	s_cbranch_execnz .LBB1010_18
; %bb.14:
	s_or_b64 exec, exec, s[22:23]
	s_mov_b64 s[8:9], -1
	s_and_b64 vcc, exec, s[10:11]
	s_cbranch_vccnz .LBB1010_19
.LBB1010_15:
	s_andn2_b64 vcc, exec, s[8:9]
	s_cbranch_vccz .LBB1010_22
.LBB1010_16:
	s_cmp_lt_i32 s16, 1
	s_cbranch_scc0 .LBB1010_29
.LBB1010_17:
	s_endpgm
.LBB1010_18:
	v_add_f32_e32 v2, v2, v3
	v_cvt_f32_u32_e32 v3, s7
	s_mov_b32 s7, 0x800000
	s_waitcnt vmcnt(1)
	v_cvt_f32_u32_sdwa v17, v74 dst_sel:DWORD dst_unused:UNUSED_PAD src0_sel:WORD_1
	v_cvt_f32_u32_sdwa v16, v74 dst_sel:DWORD dst_unused:UNUSED_PAD src0_sel:WORD_0
	v_div_scale_f32 v4, s[28:29], v3, v3, v2
	v_rcp_f32_e32 v5, v4
	v_pk_add_f32 v[16:17], v[16:17], 1.0 op_sel_hi:[1,0]
	v_cvt_f32_u32_sdwa v21, v77 dst_sel:DWORD dst_unused:UNUSED_PAD src0_sel:WORD_1
	v_cvt_f32_u32_sdwa v20, v77 dst_sel:DWORD dst_unused:UNUSED_PAD src0_sel:WORD_0
	v_fma_f32 v6, -v4, v5, 1.0
	v_fmac_f32_e32 v5, v6, v5
	v_div_scale_f32 v6, vcc, v2, v3, v2
	v_mul_f32_e32 v7, v6, v5
	v_fma_f32 v8, -v4, v7, v6
	v_fmac_f32_e32 v7, v8, v5
	v_fma_f32 v4, -v4, v7, v6
	v_div_fmas_f32 v4, v4, v5, v7
	v_div_fixup_f32 v2, v4, v3, v2
	v_mov_b32_e32 v3, s13
	v_mov_b32_e32 v4, s12
	v_cndmask_b32_e64 v3, v3, v4, s[8:9]
	v_add_f32_e32 v2, v3, v2
	v_mul_f32_e32 v3, 0x4b800000, v2
	v_cmp_gt_f32_e32 vcc, s7, v2
	v_cndmask_b32_e32 v2, v2, v3, vcc
	v_rsq_f32_e32 v2, v2
	s_waitcnt vmcnt(0)
	v_cvt_f32_u32_sdwa v23, v72 dst_sel:DWORD dst_unused:UNUSED_PAD src0_sel:WORD_1
	v_cvt_f32_u32_sdwa v22, v72 dst_sel:DWORD dst_unused:UNUSED_PAD src0_sel:WORD_0
	v_mul_f32_e32 v3, 0x45800000, v2
	v_cndmask_b32_e32 v2, v2, v3, vcc
	v_mov_b32_e32 v3, v2
	;;#ASMSTART
	v_pk_mul_f32 v[4:5], v[52:53], v[2:3]
	;;#ASMEND
	;;#ASMSTART
	v_pk_mul_f32 v[6:7], v[34:35], v[2:3]
	;;#ASMEND
	;; [unrolled: 3-line block ×9, first 2 shown]
	v_cvt_f32_u32_sdwa v5, v75 dst_sel:DWORD dst_unused:UNUSED_PAD src0_sel:WORD_1
	v_cvt_f32_u32_sdwa v4, v75 dst_sel:DWORD dst_unused:UNUSED_PAD src0_sel:WORD_0
	v_cvt_f32_u32_sdwa v17, v76 dst_sel:DWORD dst_unused:UNUSED_PAD src0_sel:WORD_1
	v_cvt_f32_u32_sdwa v16, v76 dst_sel:DWORD dst_unused:UNUSED_PAD src0_sel:WORD_0
	v_cvt_f32_u32_sdwa v25, v73 dst_sel:DWORD dst_unused:UNUSED_PAD src0_sel:WORD_1
	v_pk_add_f32 v[4:5], v[4:5], 1.0 op_sel_hi:[1,0]
	;;#ASMSTART
	v_pk_mul_f32 v[34:35], v[6:7], v[4:5]
	;;#ASMEND
	v_pk_add_f32 v[4:5], v[16:17], 1.0 op_sel_hi:[1,0]
	v_pk_add_f32 v[6:7], v[20:21], 1.0 op_sel_hi:[1,0]
	v_cvt_f32_u32_sdwa v17, v70 dst_sel:DWORD dst_unused:UNUSED_PAD src0_sel:WORD_1
	v_cvt_f32_u32_sdwa v16, v70 dst_sel:DWORD dst_unused:UNUSED_PAD src0_sel:WORD_0
	v_cvt_f32_u32_sdwa v21, v71 dst_sel:DWORD dst_unused:UNUSED_PAD src0_sel:WORD_1
	v_cvt_f32_u32_sdwa v20, v71 dst_sel:DWORD dst_unused:UNUSED_PAD src0_sel:WORD_0
	v_cvt_f32_u32_sdwa v24, v73 dst_sel:DWORD dst_unused:UNUSED_PAD src0_sel:WORD_0
	v_pk_add_f32 v[16:17], v[16:17], 1.0 op_sel_hi:[1,0]
	v_pk_add_f32 v[22:23], v[22:23], 1.0 op_sel_hi:[1,0]
	;; [unrolled: 1-line block ×4, first 2 shown]
	;;#ASMSTART
	v_pk_mul_f32 v[58:59], v[8:9], v[4:5]
	;;#ASMEND
	;;#ASMSTART
	v_pk_mul_f32 v[24:25], v[10:11], v[6:7]
	;;#ASMEND
	;;#ASMSTART
	v_pk_mul_f32 v[44:45], v[12:13], v[16:17]
	;;#ASMEND
	;;#ASMSTART
	v_pk_mul_f32 v[18:19], v[18:19], v[20:21]
	;;#ASMEND
	;;#ASMSTART
	v_pk_mul_f32 v[14:15], v[14:15], v[22:23]
	;;#ASMEND
	;;#ASMSTART
	v_pk_mul_f32 v[86:87], v[2:3], v[26:27]
	;;#ASMEND
	s_or_b64 exec, exec, s[22:23]
	s_mov_b64 s[8:9], -1
	s_and_b64 vcc, exec, s[10:11]
	s_cbranch_vccz .LBB1010_15
.LBB1010_19:
	s_and_saveexec_b64 s[8:9], s[0:1]
	s_cbranch_execz .LBB1010_21
; %bb.20:
	s_mul_hi_i32 s11, s34, s6
	s_mul_i32 s10, s34, s6
	s_lshl_b64 s[10:11], s[10:11], 1
	s_add_u32 s28, s38, s10
	s_addc_u32 s7, s39, s11
	s_and_b32 s29, s7, 0xffff
	s_mov_b32 s7, 0x7060302
	s_mov_b32 s31, 0x20000
	v_perm_b32 v5, v25, v24, s7
	v_perm_b32 v4, v59, v58, s7
	v_perm_b32 v3, v35, v34, s7
	v_perm_b32 v2, v53, v52, s7
	v_lshlrev_b32_e32 v6, 5, v0
	buffer_store_dwordx4 v[2:5], v6, s[28:31], 0 offen
	;;#ASMSTART
	s_nop 0
	;;#ASMEND
	s_nop 0
	v_perm_b32 v5, v87, v86, s7
	v_perm_b32 v4, v15, v14, s7
	;; [unrolled: 1-line block ×4, first 2 shown]
	buffer_store_dwordx4 v[2:5], v6, s[28:31], 16 offen
	;;#ASMSTART
	s_nop 0
	;;#ASMEND
.LBB1010_21:
	s_or_b64 exec, exec, s[8:9]
	s_cbranch_execnz .LBB1010_16
.LBB1010_22:
	v_mov_b32_e32 v2, 0
	s_and_saveexec_b64 s[8:9], s[0:1]
	s_cbranch_execz .LBB1010_24
; %bb.23:
	v_and_b32_e32 v2, 0x7fffffff, v52
	v_and_b32_e32 v3, 0x7fffffff, v53
	v_mov_b32_e32 v4, 0x2edbe6ff
	;;#ASMSTART
	v_max3_f32 v2, v4, v2, v3

	;;#ASMEND
	v_and_b32_e32 v3, 0x7fffffff, v34
	v_and_b32_e32 v4, 0x7fffffff, v35
	;;#ASMSTART
	v_max3_f32 v2, v2, v3, v4

	;;#ASMEND
	v_and_b32_e32 v3, 0x7fffffff, v58
	v_and_b32_e32 v4, 0x7fffffff, v59
	;; [unrolled: 6-line block ×7, first 2 shown]
	;;#ASMSTART
	v_max3_f32 v2, v2, v3, v4

	;;#ASMEND
.LBB1010_24:
	s_or_b64 exec, exec, s[8:9]
	;;#ASMSTART
	v_max_f32 v3, v2, v2 quad_perm:[1,0,3,2] row_mask:0xf bank_mask:0xf bound_ctrl:1
	;;#ASMEND
	v_mul_f32_e32 v2, 0x3b124925, v3
	v_and_b32_e32 v3, 1, v0
	v_cmp_eq_u32_e32 vcc, 0, v3
	v_cmp_gt_i32_e64 s[8:9], s15, v1
	s_and_b64 s[10:11], vcc, s[8:9]
	s_and_saveexec_b64 s[8:9], s[10:11]
	s_cbranch_execz .LBB1010_26
; %bb.25:
	s_load_dwordx2 s[10:11], s[4:5], 0x8
	s_mul_hi_i32 s23, s25, s6
	s_mul_i32 s22, s25, s6
	v_lshrrev_b32_e32 v3, 1, v0
	s_lshl_b64 s[22:23], s[22:23], 2
	v_mad_i64_i32 v[4:5], s[26:27], s26, v3, 0
	s_waitcnt lgkmcnt(0)
	s_add_u32 s7, s10, s22
	s_addc_u32 s10, s11, s23
	v_lshlrev_b64 v[4:5], 2, v[4:5]
	v_mov_b32_e32 v3, s10
	v_add_co_u32_e32 v4, vcc, s7, v4
	v_addc_co_u32_e32 v5, vcc, v3, v5, vcc
	global_store_dword v[4:5], v2, off
.LBB1010_26:
	s_or_b64 exec, exec, s[8:9]
	;;#ASMSTART
	v_rcp_f32 v2, v2
	;;#ASMEND
	s_and_saveexec_b64 s[22:23], s[0:1]
	s_cbranch_execz .LBB1010_28
; %bb.27:
	v_mov_b32_e32 v3, v2
	;;#ASMSTART
	v_pk_mul_f32 v[4:5], v[52:53], v[2:3]
	;;#ASMEND
	v_mov_b32_e32 v10, 0xc3e00000
	v_mov_b32_e32 v11, 0x43e00000
	;;#ASMSTART
	v_med3_f32 v4, v4, v10, v11
v_med3_f32 v5, v5, v10, v11
v_cvt_pk_fp8_f32 v6, v4, v5
	;;#ASMEND
	;;#ASMSTART
	v_pk_mul_f32 v[4:5], v[34:35], v[2:3]
	;;#ASMEND
	;;#ASMSTART
	v_med3_f32 v4, v4, v10, v11
v_med3_f32 v5, v5, v10, v11
v_cvt_pk_fp8_f32 v7, v4, v5
	;;#ASMEND
	;;#ASMSTART
	v_pk_mul_f32 v[4:5], v[58:59], v[2:3]
	;;#ASMEND
	;; [unrolled: 8-line block ×3, first 2 shown]
	;;#ASMSTART
	v_med3_f32 v4, v4, v10, v11
v_med3_f32 v5, v5, v10, v11
v_cvt_pk_fp8_f32 v9, v4, v5
	;;#ASMEND
	s_mov_b32 s0, 0x5040100
	v_perm_b32 v4, v7, v6, s0
	s_mov_b32 s0, 0x1060504
	v_perm_b32 v4, v4, v7, s0
	s_load_dwordx2 s[0:1], s[4:5], 0x0
	s_mov_b32 s7, 0x1000504
	;;#ASMSTART
	v_pk_mul_f32 v[6:7], v[44:45], v[2:3]
	;;#ASMEND
	v_perm_b32 v5, v8, v9, s7
	s_mul_i32 s8, s24, s6
	;;#ASMSTART
	v_med3_f32 v6, v6, v10, v11
v_med3_f32 v7, v7, v10, v11
v_cvt_pk_fp8_f32 v8, v6, v7
	;;#ASMEND
	s_mul_hi_i32 s9, s24, s6
	s_waitcnt lgkmcnt(0)
	s_add_u32 s8, s0, s8
	;;#ASMSTART
	v_pk_mul_f32 v[6:7], v[18:19], v[2:3]
	;;#ASMEND
	s_addc_u32 s0, s1, s9
	s_add_i32 s1, s15, 3
	;;#ASMSTART
	v_med3_f32 v6, v6, v10, v11
v_med3_f32 v7, v7, v10, v11
v_cvt_pk_fp8_f32 v9, v6, v7
	;;#ASMEND
	s_ashr_i32 s9, s1, 31
	v_perm_b32 v6, v8, v9, s7
	;;#ASMSTART
	v_pk_mul_f32 v[8:9], v[14:15], v[2:3]
	;;#ASMEND
	v_mov_b32_e32 v7, v9
	s_lshr_b32 s9, s9, 30
	;;#ASMSTART
	v_med3_f32 v8, v8, v10, v11
v_med3_f32 v7, v7, v10, v11
v_cvt_pk_fp8_f32 v9, v8, v7
	;;#ASMEND
	;;#ASMSTART
	v_pk_mul_f32 v[2:3], v[86:87], v[2:3]
	;;#ASMEND
	s_add_i32 s1, s1, s9
	;;#ASMSTART
	v_med3_f32 v2, v2, v10, v11
v_med3_f32 v3, v3, v10, v11
v_cvt_pk_fp8_f32 v7, v2, v3
	;;#ASMEND
	s_and_b32 s10, s1, -4
	s_and_b32 s9, s0, 0xffff
	s_mov_b32 s11, 0x20000
	v_perm_b32 v7, v9, v7, s7
	buffer_store_dwordx4 v[4:7], v1, s[8:11], 0 offen
	;;#ASMSTART
	s_nop 0
	;;#ASMEND
.LBB1010_28:
	s_or_b64 exec, exec, s[22:23]
	s_cmp_lt_i32 s16, 1
	s_cbranch_scc1 .LBB1010_17
.LBB1010_29:
	s_load_dword s0, s[4:5], 0x94
	s_waitcnt lgkmcnt(0)
	s_cmp_lg_u32 s0, 1
	s_cbranch_scc1 .LBB1010_17
; %bb.30:
	s_lshl_b32 s0, s16, 1
	s_add_i32 s0, s0, 2
	v_cmp_gt_u32_e32 vcc, s16, v1
	s_and_b32 s22, s0, -4
	v_mov_b32_e32 v18, 0
	v_lshlrev_b32_e32 v1, 5, v0
	v_mov_b32_e32 v14, 0
	v_mov_b32_e32 v15, 0
	;; [unrolled: 1-line block ×16, first 2 shown]
	s_barrier
	s_and_saveexec_b64 s[0:1], vcc
	s_cbranch_execz .LBB1010_32
; %bb.31:
	s_mul_hi_i32 s5, s18, s6
	s_mul_i32 s4, s18, s6
	s_and_b32 s21, s21, 0xffff
	s_lshl_b64 s[4:5], s[4:5], 1
	s_add_u32 s8, s36, s4
	s_mov_b32 s23, 0x20000
	s_addc_u32 s4, s37, s5
	s_and_b32 s9, s4, 0xffff
	s_mov_b32 s10, s22
	s_mov_b32 s11, s23
	buffer_load_dwordx4 v[14:17], v1, s[8:11], 0 offen
	buffer_load_dwordx4 v[10:13], v1, s[8:11], 16 offen
	;; [unrolled: 1-line block ×4, first 2 shown]
.LBB1010_32:
	s_or_b64 exec, exec, s[0:1]
	v_mov_b32_e32 v19, 0
	v_mov_b32_e32 v32, 0
	;; [unrolled: 1-line block ×15, first 2 shown]
	s_and_saveexec_b64 s[0:1], vcc
	s_cbranch_execz .LBB1010_34
; %bb.33:
	s_waitcnt vmcnt(3)
	v_cvt_f32_u32_sdwa v18, v14 dst_sel:DWORD dst_unused:UNUSED_PAD src0_sel:WORD_0
	v_cvt_f32_u32_sdwa v19, v14 dst_sel:DWORD dst_unused:UNUSED_PAD src0_sel:WORD_1
	v_cvt_f32_u32_sdwa v32, v15 dst_sel:DWORD dst_unused:UNUSED_PAD src0_sel:WORD_0
	v_cvt_f32_u32_sdwa v33, v15 dst_sel:DWORD dst_unused:UNUSED_PAD src0_sel:WORD_1
	;; [unrolled: 2-line block ×4, first 2 shown]
	s_waitcnt vmcnt(2)
	v_cvt_f32_u32_sdwa v26, v10 dst_sel:DWORD dst_unused:UNUSED_PAD src0_sel:WORD_0
	v_cvt_f32_u32_sdwa v27, v10 dst_sel:DWORD dst_unused:UNUSED_PAD src0_sel:WORD_1
	v_cvt_f32_u32_sdwa v24, v11 dst_sel:DWORD dst_unused:UNUSED_PAD src0_sel:WORD_0
	v_cvt_f32_u32_sdwa v25, v11 dst_sel:DWORD dst_unused:UNUSED_PAD src0_sel:WORD_1
	;; [unrolled: 2-line block ×4, first 2 shown]
.LBB1010_34:
	s_or_b64 exec, exec, s[0:1]
	s_waitcnt vmcnt(2)
	v_mul_f32_e32 v10, v19, v19
	v_fmac_f32_e32 v10, v18, v18
	v_fmac_f32_e32 v10, v32, v32
	v_fmac_f32_e32 v10, v33, v33
	v_fmac_f32_e32 v10, v30, v30
	v_fmac_f32_e32 v10, v31, v31
	v_fmac_f32_e32 v10, v28, v28
	v_fmac_f32_e32 v10, v29, v29
	v_fmac_f32_e32 v10, v26, v26
	v_fmac_f32_e32 v10, v27, v27
	v_fmac_f32_e32 v10, v24, v24
	v_fmac_f32_e32 v10, v25, v25
	v_fmac_f32_e32 v10, v22, v22
	v_fmac_f32_e32 v10, v23, v23
	v_fmac_f32_e32 v10, v20, v20
	v_fmac_f32_e32 v10, v21, v21
	s_nop 1
	v_mov_b32_dpp v11, v10 quad_perm:[1,0,3,2] row_mask:0xf bank_mask:0xf
	v_add_f32_e32 v10, v10, v11
	s_nop 1
	v_mov_b32_dpp v11, v10 quad_perm:[2,3,0,1] row_mask:0xf bank_mask:0xf
	v_add_f32_e32 v10, v10, v11
	s_nop 1
	v_mov_b32_dpp v11, v10 row_half_mirror row_mask:0xf bank_mask:0xf
	v_add_f32_e32 v10, v10, v11
	s_nop 1
	v_mov_b32_dpp v11, v10 row_mirror row_mask:0xf bank_mask:0xf
	v_add_f32_e32 v10, v10, v11
	s_nop 1
	v_mov_b32_dpp v11, v10 row_bcast:15 row_mask:0xf bank_mask:0xf
	v_add_f32_e32 v10, v10, v11
	s_nop 1
	v_mov_b32_dpp v11, v10 row_bcast:31 row_mask:0xf bank_mask:0xf
	s_and_saveexec_b64 s[0:1], s[2:3]
	s_cbranch_execz .LBB1010_36
; %bb.35:
	v_lshrrev_b32_e32 v0, 4, v0
	v_add_f32_e32 v10, v10, v11
	v_and_b32_e32 v0, 60, v0
	ds_write_b32 v0, v10
.LBB1010_36:
	s_or_b64 exec, exec, s[0:1]
	s_waitcnt lgkmcnt(0)
	s_barrier
	ds_read_b32 v0, v36
	s_waitcnt lgkmcnt(0)
	s_nop 0
	v_mov_b32_dpp v10, v0 quad_perm:[1,0,3,2] row_mask:0xf bank_mask:0xf
	v_add_f32_e32 v0, v0, v10
	s_nop 1
	v_mov_b32_dpp v10, v0 quad_perm:[2,3,0,1] row_mask:0xf bank_mask:0xf
	v_add_f32_e32 v0, v0, v10
	s_nop 1
	v_mov_b32_dpp v10, v0 row_half_mirror row_mask:0xf bank_mask:0xf
	s_and_saveexec_b64 s[0:1], vcc
	s_cbranch_execz .LBB1010_17
; %bb.37:
	v_cvt_f32_u32_e32 v11, s16
	v_add_f32_e32 v0, v0, v10
	s_mov_b32 s23, 0x20000
	v_div_scale_f32 v10, s[0:1], v11, v11, v0
	v_rcp_f32_e32 v12, v10
	v_div_scale_f32 v13, vcc, v0, v11, v0
	s_mov_b32 s0, 0x800000
	v_fma_f32 v14, -v10, v12, 1.0
	v_fmac_f32_e32 v12, v14, v12
	v_mul_f32_e32 v14, v13, v12
	v_fma_f32 v15, -v10, v14, v13
	v_fmac_f32_e32 v14, v15, v12
	v_fma_f32 v10, -v10, v14, v13
	v_div_fmas_f32 v10, v10, v12, v14
	v_div_fixup_f32 v0, v10, v11, v0
	v_add_f32_e32 v0, s13, v0
	v_mul_f32_e32 v10, 0x4b800000, v0
	v_cmp_gt_f32_e32 vcc, s0, v0
	v_cndmask_b32_e32 v0, v0, v10, vcc
	v_rsq_f32_e32 v0, v0
	s_mul_hi_i32 s1, s34, s6
	s_mul_i32 s0, s34, s6
	s_lshl_b64 s[0:1], s[0:1], 1
	v_mul_f32_e32 v10, 0x45800000, v0
	v_cndmask_b32_e32 v10, v0, v10, vcc
	v_mov_b32_e32 v11, v10
	;;#ASMSTART
	v_pk_mul_f32 v[12:13], v[18:19], v[10:11]
	;;#ASMEND
	;;#ASMSTART
	v_pk_mul_f32 v[14:15], v[32:33], v[10:11]
	;;#ASMEND
	;; [unrolled: 3-line block ×4, first 2 shown]
	s_waitcnt vmcnt(1)
	v_cvt_f32_u32_sdwa v29, v6 dst_sel:DWORD dst_unused:UNUSED_PAD src0_sel:WORD_1
	v_cvt_f32_u32_sdwa v28, v6 dst_sel:DWORD dst_unused:UNUSED_PAD src0_sel:WORD_0
	v_cvt_f32_u32_sdwa v31, v7 dst_sel:DWORD dst_unused:UNUSED_PAD src0_sel:WORD_1
	v_cvt_f32_u32_sdwa v30, v7 dst_sel:DWORD dst_unused:UNUSED_PAD src0_sel:WORD_0
	;;#ASMSTART
	v_pk_mul_f32 v[26:27], v[26:27], v[10:11]
	;;#ASMEND
	;;#ASMSTART
	v_pk_mul_f32 v[24:25], v[24:25], v[10:11]
	;;#ASMEND
	;; [unrolled: 3-line block ×4, first 2 shown]
	v_cvt_f32_u32_sdwa v21, v8 dst_sel:DWORD dst_unused:UNUSED_PAD src0_sel:WORD_1
	v_cvt_f32_u32_sdwa v20, v8 dst_sel:DWORD dst_unused:UNUSED_PAD src0_sel:WORD_0
	v_pk_add_f32 v[10:11], v[28:29], 1.0 op_sel_hi:[1,0]
	;;#ASMSTART
	v_pk_mul_f32 v[10:11], v[12:13], v[10:11]
	;;#ASMEND
	v_pk_add_f32 v[12:13], v[30:31], 1.0 op_sel_hi:[1,0]
	v_cvt_f32_u32_sdwa v29, v9 dst_sel:DWORD dst_unused:UNUSED_PAD src0_sel:WORD_1
	v_cvt_f32_u32_sdwa v28, v9 dst_sel:DWORD dst_unused:UNUSED_PAD src0_sel:WORD_0
	;;#ASMSTART
	v_pk_mul_f32 v[8:9], v[14:15], v[12:13]
	;;#ASMEND
	v_pk_add_f32 v[12:13], v[20:21], 1.0 op_sel_hi:[1,0]
	;;#ASMSTART
	v_pk_mul_f32 v[12:13], v[16:17], v[12:13]
	;;#ASMEND
	s_waitcnt vmcnt(0)
	v_cvt_f32_u32_sdwa v17, v2 dst_sel:DWORD dst_unused:UNUSED_PAD src0_sel:WORD_1
	v_cvt_f32_u32_sdwa v16, v2 dst_sel:DWORD dst_unused:UNUSED_PAD src0_sel:WORD_0
	v_cvt_f32_u32_sdwa v21, v3 dst_sel:DWORD dst_unused:UNUSED_PAD src0_sel:WORD_1
	v_cvt_f32_u32_sdwa v20, v3 dst_sel:DWORD dst_unused:UNUSED_PAD src0_sel:WORD_0
	v_pk_add_f32 v[14:15], v[28:29], 1.0 op_sel_hi:[1,0]
	;;#ASMSTART
	v_pk_mul_f32 v[14:15], v[18:19], v[14:15]
	;;#ASMEND
	v_pk_add_f32 v[2:3], v[16:17], 1.0 op_sel_hi:[1,0]
	v_cvt_f32_u32_sdwa v19, v4 dst_sel:DWORD dst_unused:UNUSED_PAD src0_sel:WORD_1
	v_cvt_f32_u32_sdwa v18, v4 dst_sel:DWORD dst_unused:UNUSED_PAD src0_sel:WORD_0
	;;#ASMSTART
	v_pk_mul_f32 v[16:17], v[26:27], v[2:3]
	;;#ASMEND
	v_pk_add_f32 v[2:3], v[20:21], 1.0 op_sel_hi:[1,0]
	v_cvt_f32_u32_sdwa v21, v5 dst_sel:DWORD dst_unused:UNUSED_PAD src0_sel:WORD_1
	v_cvt_f32_u32_sdwa v20, v5 dst_sel:DWORD dst_unused:UNUSED_PAD src0_sel:WORD_0
	s_add_u32 s20, s38, s0
	;;#ASMSTART
	v_pk_mul_f32 v[24:25], v[24:25], v[2:3]
	;;#ASMEND
	v_pk_add_f32 v[2:3], v[18:19], 1.0 op_sel_hi:[1,0]
	s_addc_u32 s0, s39, s1
	;;#ASMSTART
	v_pk_mul_f32 v[18:19], v[22:23], v[2:3]
	;;#ASMEND
	v_pk_add_f32 v[2:3], v[20:21], 1.0 op_sel_hi:[1,0]
	s_and_b32 s21, s0, 0xffff
	s_mov_b32 s0, 0x7060302
	;;#ASMSTART
	v_pk_mul_f32 v[6:7], v[6:7], v[2:3]
	;;#ASMEND
	v_perm_b32 v2, v11, v10, s0
	v_perm_b32 v3, v9, v8, s0
	;; [unrolled: 1-line block ×4, first 2 shown]
	buffer_store_dwordx4 v[2:5], v1, s[20:23], 0 offen
	;;#ASMSTART
	s_nop 0
	;;#ASMEND
	s_nop 0
	v_perm_b32 v2, v17, v16, s0
	v_perm_b32 v3, v25, v24, s0
	;; [unrolled: 1-line block ×4, first 2 shown]
	buffer_store_dwordx4 v[2:5], v1, s[20:23], 16 offen
	;;#ASMSTART
	s_nop 0
	;;#ASMEND
	s_endpgm
	.section	.rodata,"a",@progbits
	.p2align	6, 0x0
	.amdhsa_kernel _ZN5aiter35fused_qk_rmsnorm_group_quant_kernelItDB8_Li512ELi16ELi2ELb1ELb0ELb1ELb0ELb0ELb0EEEvPT0_PvPT_S6_S6_PKS5_S8_S8_S8_S8_ffiiiiiiiiiiiii
		.amdhsa_group_segment_fixed_size 64
		.amdhsa_private_segment_fixed_size 0
		.amdhsa_kernarg_size 400
		.amdhsa_user_sgpr_count 6
		.amdhsa_user_sgpr_private_segment_buffer 1
		.amdhsa_user_sgpr_dispatch_ptr 0
		.amdhsa_user_sgpr_queue_ptr 0
		.amdhsa_user_sgpr_kernarg_segment_ptr 1
		.amdhsa_user_sgpr_dispatch_id 0
		.amdhsa_user_sgpr_flat_scratch_init 0
		.amdhsa_user_sgpr_kernarg_preload_length 0
		.amdhsa_user_sgpr_kernarg_preload_offset 0
		.amdhsa_user_sgpr_private_segment_size 0
		.amdhsa_uses_dynamic_stack 0
		.amdhsa_system_sgpr_private_segment_wavefront_offset 0
		.amdhsa_system_sgpr_workgroup_id_x 1
		.amdhsa_system_sgpr_workgroup_id_y 1
		.amdhsa_system_sgpr_workgroup_id_z 0
		.amdhsa_system_sgpr_workgroup_info 0
		.amdhsa_system_vgpr_workitem_id 0
		.amdhsa_next_free_vgpr 88
		.amdhsa_next_free_sgpr 44
		.amdhsa_accum_offset 88
		.amdhsa_reserve_vcc 1
		.amdhsa_reserve_flat_scratch 0
		.amdhsa_float_round_mode_32 0
		.amdhsa_float_round_mode_16_64 0
		.amdhsa_float_denorm_mode_32 3
		.amdhsa_float_denorm_mode_16_64 3
		.amdhsa_dx10_clamp 1
		.amdhsa_ieee_mode 1
		.amdhsa_fp16_overflow 0
		.amdhsa_tg_split 0
		.amdhsa_exception_fp_ieee_invalid_op 0
		.amdhsa_exception_fp_denorm_src 0
		.amdhsa_exception_fp_ieee_div_zero 0
		.amdhsa_exception_fp_ieee_overflow 0
		.amdhsa_exception_fp_ieee_underflow 0
		.amdhsa_exception_fp_ieee_inexact 0
		.amdhsa_exception_int_div_zero 0
	.end_amdhsa_kernel
	.section	.text._ZN5aiter35fused_qk_rmsnorm_group_quant_kernelItDB8_Li512ELi16ELi2ELb1ELb0ELb1ELb0ELb0ELb0EEEvPT0_PvPT_S6_S6_PKS5_S8_S8_S8_S8_ffiiiiiiiiiiiii,"axG",@progbits,_ZN5aiter35fused_qk_rmsnorm_group_quant_kernelItDB8_Li512ELi16ELi2ELb1ELb0ELb1ELb0ELb0ELb0EEEvPT0_PvPT_S6_S6_PKS5_S8_S8_S8_S8_ffiiiiiiiiiiiii,comdat
.Lfunc_end1010:
	.size	_ZN5aiter35fused_qk_rmsnorm_group_quant_kernelItDB8_Li512ELi16ELi2ELb1ELb0ELb1ELb0ELb0ELb0EEEvPT0_PvPT_S6_S6_PKS5_S8_S8_S8_S8_ffiiiiiiiiiiiii, .Lfunc_end1010-_ZN5aiter35fused_qk_rmsnorm_group_quant_kernelItDB8_Li512ELi16ELi2ELb1ELb0ELb1ELb0ELb0ELb0EEEvPT0_PvPT_S6_S6_PKS5_S8_S8_S8_S8_ffiiiiiiiiiiiii
                                        ; -- End function
	.section	.AMDGPU.csdata,"",@progbits
; Kernel info:
; codeLenInByte = 4220
; NumSgprs: 48
; NumVgprs: 88
; NumAgprs: 0
; TotalNumVgprs: 88
; ScratchSize: 0
; MemoryBound: 0
; FloatMode: 240
; IeeeMode: 1
; LDSByteSize: 64 bytes/workgroup (compile time only)
; SGPRBlocks: 5
; VGPRBlocks: 10
; NumSGPRsForWavesPerEU: 48
; NumVGPRsForWavesPerEU: 88
; AccumOffset: 88
; Occupancy: 5
; WaveLimiterHint : 0
; COMPUTE_PGM_RSRC2:SCRATCH_EN: 0
; COMPUTE_PGM_RSRC2:USER_SGPR: 6
; COMPUTE_PGM_RSRC2:TRAP_HANDLER: 0
; COMPUTE_PGM_RSRC2:TGID_X_EN: 1
; COMPUTE_PGM_RSRC2:TGID_Y_EN: 1
; COMPUTE_PGM_RSRC2:TGID_Z_EN: 0
; COMPUTE_PGM_RSRC2:TIDIG_COMP_CNT: 0
; COMPUTE_PGM_RSRC3_GFX90A:ACCUM_OFFSET: 21
; COMPUTE_PGM_RSRC3_GFX90A:TG_SPLIT: 0
	.section	.text._ZN5aiter35fused_qk_rmsnorm_group_quant_kernelIDF16_N4opus5fp4_tELi512ELi16ELi2ELb1ELb0ELb1ELb0ELb0ELb0EEEvPT0_PvPT_S7_S7_PKS6_S9_S9_S9_S9_ffiiiiiiiiiiiii,"axG",@progbits,_ZN5aiter35fused_qk_rmsnorm_group_quant_kernelIDF16_N4opus5fp4_tELi512ELi16ELi2ELb1ELb0ELb1ELb0ELb0ELb0EEEvPT0_PvPT_S7_S7_PKS6_S9_S9_S9_S9_ffiiiiiiiiiiiii,comdat
	.protected	_ZN5aiter35fused_qk_rmsnorm_group_quant_kernelIDF16_N4opus5fp4_tELi512ELi16ELi2ELb1ELb0ELb1ELb0ELb0ELb0EEEvPT0_PvPT_S7_S7_PKS6_S9_S9_S9_S9_ffiiiiiiiiiiiii ; -- Begin function _ZN5aiter35fused_qk_rmsnorm_group_quant_kernelIDF16_N4opus5fp4_tELi512ELi16ELi2ELb1ELb0ELb1ELb0ELb0ELb0EEEvPT0_PvPT_S7_S7_PKS6_S9_S9_S9_S9_ffiiiiiiiiiiiii
	.globl	_ZN5aiter35fused_qk_rmsnorm_group_quant_kernelIDF16_N4opus5fp4_tELi512ELi16ELi2ELb1ELb0ELb1ELb0ELb0ELb0EEEvPT0_PvPT_S7_S7_PKS6_S9_S9_S9_S9_ffiiiiiiiiiiiii
	.p2align	8
	.type	_ZN5aiter35fused_qk_rmsnorm_group_quant_kernelIDF16_N4opus5fp4_tELi512ELi16ELi2ELb1ELb0ELb1ELb0ELb0ELb0EEEvPT0_PvPT_S7_S7_PKS6_S9_S9_S9_S9_ffiiiiiiiiiiiii,@function
_ZN5aiter35fused_qk_rmsnorm_group_quant_kernelIDF16_N4opus5fp4_tELi512ELi16ELi2ELb1ELb0ELb1ELb0ELb0ELb0EEEvPT0_PvPT_S7_S7_PKS6_S9_S9_S9_S9_ffiiiiiiiiiiiii: ; @_ZN5aiter35fused_qk_rmsnorm_group_quant_kernelIDF16_N4opus5fp4_tELi512ELi16ELi2ELb1ELb0ELb1ELb0ELb0ELb0EEEvPT0_PvPT_S7_S7_PKS6_S9_S9_S9_S9_ffiiiiiiiiiiiii
; %bb.0:
	s_load_dwordx8 s[12:19], s[4:5], 0x50
	s_waitcnt lgkmcnt(0)
	s_cmp_ge_i32 s6, s14
	s_cbranch_scc1 .LBB1011_17
; %bb.1:
	s_cmp_lg_u32 s7, 0
	s_cselect_b64 s[22:23], -1, 0
	s_cmp_eq_u32 s7, 0
	s_cselect_b64 s[2:3], -1, 0
	s_and_b64 s[0:1], s[2:3], exec
	s_load_dwordx2 s[20:21], s[4:5], 0x48
	s_load_dwordx2 s[34:35], s[4:5], 0x30
	s_load_dwordx4 s[24:27], s[4:5], 0x70
	s_cselect_b32 s7, s15, s16
	s_add_i32 s0, s7, 1
	s_lshr_b32 s1, s0, 31
	s_add_i32 s0, s0, s1
	s_lshl_b32 s0, s0, 1
	v_lshlrev_b32_e32 v1, 4, v0
	s_and_b32 s30, s0, -4
	v_cmp_gt_i32_e64 s[0:1], s7, v1
	v_mov_b32_e32 v6, 0
	v_mov_b32_e32 v7, 0
	;; [unrolled: 1-line block ×16, first 2 shown]
	s_and_saveexec_b64 s[8:9], s[0:1]
	s_cbranch_execz .LBB1011_3
; %bb.2:
	s_load_dwordx2 s[10:11], s[4:5], 0x28
	s_load_dwordx2 s[28:29], s[4:5], 0x40
	s_and_b64 s[36:37], s[2:3], exec
	s_cselect_b32 s14, s17, s18
	s_mov_b32 s31, 0x20000
	s_waitcnt lgkmcnt(0)
	s_cselect_b32 s17, s11, s35
	s_cselect_b32 s27, s10, s34
	s_mul_hi_i32 s11, s14, s6
	s_mul_i32 s10, s14, s6
	s_lshl_b64 s[10:11], s[10:11], 1
	s_add_u32 s36, s27, s10
	s_addc_u32 s14, s17, s11
	s_and_b64 s[10:11], s[2:3], exec
	s_cselect_b32 s28, s28, s20
	s_cselect_b32 s10, s29, s21
	s_and_b32 s37, s14, 0xffff
	s_mov_b32 s38, s30
	s_mov_b32 s39, s31
	v_lshlrev_b32_e32 v18, 5, v0
	s_and_b32 s29, s10, 0xffff
	buffer_load_dwordx4 v[10:13], v18, s[36:39], 0 offen
	buffer_load_dwordx4 v[14:17], v18, s[36:39], 16 offen
	;; [unrolled: 1-line block ×4, first 2 shown]
.LBB1011_3:
	s_or_b64 exec, exec, s[8:9]
	s_load_dwordx2 s[10:11], s[4:5], 0x80
	s_and_b64 vcc, exec, s[22:23]
	s_cbranch_vccz .LBB1011_7
; %bb.4:
	v_mov_b32_e32 v19, 0
	v_mov_b32_e32 v18, 0
	;; [unrolled: 1-line block ×16, first 2 shown]
	s_and_saveexec_b64 s[8:9], s[0:1]
	s_cbranch_execz .LBB1011_6
; %bb.5:
	s_waitcnt vmcnt(3)
	v_cvt_f32_f16_sdwa v29, v10 dst_sel:DWORD dst_unused:UNUSED_PAD src0_sel:WORD_1
	v_cvt_f32_f16_e32 v28, v10
	v_cvt_f32_f16_sdwa v33, v11 dst_sel:DWORD dst_unused:UNUSED_PAD src0_sel:WORD_1
	v_cvt_f32_f16_e32 v32, v11
	v_cvt_f32_f16_sdwa v27, v12 dst_sel:DWORD dst_unused:UNUSED_PAD src0_sel:WORD_1
	v_cvt_f32_f16_e32 v26, v12
	v_cvt_f32_f16_sdwa v31, v13 dst_sel:DWORD dst_unused:UNUSED_PAD src0_sel:WORD_1
	v_cvt_f32_f16_e32 v30, v13
	s_waitcnt vmcnt(2)
	v_cvt_f32_f16_sdwa v23, v14 dst_sel:DWORD dst_unused:UNUSED_PAD src0_sel:WORD_1
	v_cvt_f32_f16_e32 v22, v14
	v_cvt_f32_f16_sdwa v25, v15 dst_sel:DWORD dst_unused:UNUSED_PAD src0_sel:WORD_1
	v_cvt_f32_f16_e32 v24, v15
	;; [unrolled: 2-line block ×4, first 2 shown]
.LBB1011_6:
	s_or_b64 exec, exec, s[8:9]
	s_cbranch_execz .LBB1011_8
	s_branch .LBB1011_11
.LBB1011_7:
                                        ; implicit-def: $vgpr19
                                        ; implicit-def: $vgpr21
                                        ; implicit-def: $vgpr25
                                        ; implicit-def: $vgpr23
                                        ; implicit-def: $vgpr31
                                        ; implicit-def: $vgpr27
                                        ; implicit-def: $vgpr33
                                        ; implicit-def: $vgpr29
.LBB1011_8:
	v_mov_b32_e32 v19, 0
	v_mov_b32_e32 v18, 0
	;; [unrolled: 1-line block ×16, first 2 shown]
	s_and_saveexec_b64 s[8:9], s[0:1]
	s_cbranch_execz .LBB1011_10
; %bb.9:
	s_load_dwordx2 s[28:29], s[4:5], 0x38
	s_mul_hi_i32 s37, s19, s6
	s_mul_i32 s36, s19, s6
	s_lshl_b64 s[36:37], s[36:37], 1
	s_mov_b32 s31, 0x20000
	s_waitcnt lgkmcnt(0)
	s_add_u32 s28, s28, s36
	s_addc_u32 s14, s29, s37
	s_and_b32 s29, s14, 0xffff
	v_lshlrev_b32_e32 v48, 5, v0
	buffer_load_dwordx4 v[18:21], v48, s[28:31], 16 offen
	buffer_load_dwordx4 v[22:25], v48, s[28:31], 0 offen
	s_waitcnt vmcnt(4)
	v_cvt_f32_f16_sdwa v27, v14 dst_sel:DWORD dst_unused:UNUSED_PAD src0_sel:WORD_1
	v_cvt_f32_f16_e32 v26, v14
	v_cvt_f32_f16_sdwa v29, v15 dst_sel:DWORD dst_unused:UNUSED_PAD src0_sel:WORD_1
	v_cvt_f32_f16_e32 v28, v15
	;; [unrolled: 2-line block ×8, first 2 shown]
	s_load_dwordx2 s[28:29], s[4:5], 0x20
	s_mul_hi_i32 s37, s11, s6
	s_mul_i32 s36, s11, s6
	s_lshl_b64 s[36:37], s[36:37], 1
	s_waitcnt lgkmcnt(0)
	s_add_u32 s28, s28, s36
	s_addc_u32 s11, s29, s37
	s_and_b32 s29, s11, 0xffff
	s_waitcnt vmcnt(1)
	v_cvt_f32_f16_e32 v12, v18
	v_cvt_f32_f16_sdwa v13, v18 dst_sel:DWORD dst_unused:UNUSED_PAD src0_sel:WORD_1
	v_cvt_f32_f16_e32 v18, v19
	v_cvt_f32_f16_sdwa v19, v19 dst_sel:DWORD dst_unused:UNUSED_PAD src0_sel:WORD_1
	;; [unrolled: 2-line block ×4, first 2 shown]
	s_waitcnt vmcnt(0)
	v_cvt_f32_f16_e32 v40, v22
	v_cvt_f32_f16_sdwa v41, v22 dst_sel:DWORD dst_unused:UNUSED_PAD src0_sel:WORD_1
	v_cvt_f32_f16_e32 v42, v23
	v_cvt_f32_f16_sdwa v43, v23 dst_sel:DWORD dst_unused:UNUSED_PAD src0_sel:WORD_1
	v_cvt_f32_f16_e32 v44, v24
	v_cvt_f32_f16_sdwa v45, v24 dst_sel:DWORD dst_unused:UNUSED_PAD src0_sel:WORD_1
	v_cvt_f32_f16_e32 v46, v25
	v_cvt_f32_f16_sdwa v47, v25 dst_sel:DWORD dst_unused:UNUSED_PAD src0_sel:WORD_1
	v_pk_add_f32 v[22:23], v[26:27], v[12:13]
	v_pk_add_f32 v[24:25], v[28:29], v[18:19]
	;; [unrolled: 1-line block ×8, first 2 shown]
	v_cvt_f16_f32_e32 v10, v29
	v_cvt_f16_f32_e32 v14, v28
	;; [unrolled: 1-line block ×16, first 2 shown]
	v_pack_b32_f16 v13, v17, v13
	v_pack_b32_f16 v12, v16, v12
	;; [unrolled: 1-line block ×8, first 2 shown]
	buffer_store_dwordx4 v[10:13], v48, s[28:31], 0 offen
	;;#ASMSTART
	s_nop 0
	;;#ASMEND
	buffer_store_dwordx4 v[14:17], v48, s[28:31], 16 offen
	;;#ASMSTART
	s_nop 0
	;;#ASMEND
.LBB1011_10:
	s_or_b64 exec, exec, s[8:9]
.LBB1011_11:
	s_waitcnt vmcnt(3)
	v_mul_f32_e32 v10, v29, v29
	v_fmac_f32_e32 v10, v28, v28
	v_fmac_f32_e32 v10, v32, v32
	;; [unrolled: 1-line block ×15, first 2 shown]
	v_and_b32_e32 v12, 63, v0
	v_cmp_eq_u32_e64 s[8:9], 63, v12
	v_mov_b32_dpp v11, v10 quad_perm:[1,0,3,2] row_mask:0xf bank_mask:0xf
	v_add_f32_e32 v10, v10, v11
	s_nop 1
	v_mov_b32_dpp v11, v10 quad_perm:[2,3,0,1] row_mask:0xf bank_mask:0xf
	v_add_f32_e32 v10, v10, v11
	s_nop 1
	v_mov_b32_dpp v11, v10 row_half_mirror row_mask:0xf bank_mask:0xf
	v_add_f32_e32 v10, v10, v11
	s_nop 1
	v_mov_b32_dpp v11, v10 row_mirror row_mask:0xf bank_mask:0xf
	v_add_f32_e32 v10, v10, v11
	s_nop 1
	v_mov_b32_dpp v11, v10 row_bcast:15 row_mask:0xf bank_mask:0xf
	v_add_f32_e32 v10, v10, v11
	s_nop 1
	v_mov_b32_dpp v11, v10 row_bcast:31 row_mask:0xf bank_mask:0xf
	s_and_saveexec_b64 s[28:29], s[8:9]
	s_cbranch_execz .LBB1011_13
; %bb.12:
	v_add_f32_e32 v10, v10, v11
	v_lshrrev_b32_e32 v11, 4, v0
	v_and_b32_e32 v11, 60, v11
	ds_write_b32 v11, v10 offset:32
.LBB1011_13:
	s_or_b64 exec, exec, s[28:29]
	v_and_b32_e32 v10, 7, v0
	v_lshlrev_b32_e32 v34, 2, v10
	s_waitcnt lgkmcnt(0)
	s_barrier
	ds_read_b32 v10, v34 offset:32
	s_load_dwordx2 s[36:37], s[4:5], 0x18
	s_waitcnt lgkmcnt(0)
	v_mov_b32_dpp v11, v10 quad_perm:[1,0,3,2] row_mask:0xf bank_mask:0xf
	v_add_f32_e32 v10, v10, v11
	s_nop 1
	v_mov_b32_dpp v11, v10 quad_perm:[2,3,0,1] row_mask:0xf bank_mask:0xf
	v_add_f32_e32 v10, v10, v11
	s_nop 1
	v_mov_b32_dpp v11, v10 row_half_mirror row_mask:0xf bank_mask:0xf
	s_and_saveexec_b64 s[28:29], s[0:1]
	s_cbranch_execnz .LBB1011_18
; %bb.14:
	s_or_b64 exec, exec, s[28:29]
	s_mov_b64 s[2:3], -1
	s_and_b64 vcc, exec, s[22:23]
	s_cbranch_vccnz .LBB1011_19
.LBB1011_15:
	s_andn2_b64 vcc, exec, s[2:3]
	s_cbranch_vccz .LBB1011_22
.LBB1011_16:
	s_cmp_lt_i32 s16, 1
	s_cbranch_scc0 .LBB1011_29
.LBB1011_17:
	s_endpgm
.LBB1011_18:
	v_cvt_f32_u32_e32 v12, s7
	v_add_f32_e32 v10, v10, v11
	s_waitcnt vmcnt(2)
	v_mov_b32_e32 v14, s13
	v_mov_b32_e32 v15, s12
	v_div_scale_f32 v11, s[38:39], v12, v12, v10
	v_rcp_f32_e32 v13, v11
	v_cndmask_b32_e64 v14, v14, v15, s[2:3]
	s_mov_b32 s2, 0x800000
	v_fma_f32 v15, -v11, v13, 1.0
	v_fmac_f32_e32 v13, v15, v13
	v_div_scale_f32 v15, vcc, v10, v12, v10
	v_mul_f32_e32 v16, v15, v13
	v_fma_f32 v17, -v11, v16, v15
	v_fmac_f32_e32 v16, v17, v13
	v_fma_f32 v11, -v11, v16, v15
	v_div_fmas_f32 v11, v11, v13, v16
	v_div_fixup_f32 v10, v11, v12, v10
	v_add_f32_e32 v10, v14, v10
	v_mul_f32_e32 v11, 0x4b800000, v10
	v_cmp_gt_f32_e32 vcc, s2, v10
	v_cndmask_b32_e32 v10, v10, v11, vcc
	v_rsq_f32_e32 v10, v10
	v_mul_f32_e32 v11, 0x45800000, v10
	v_cndmask_b32_e32 v10, v10, v11, vcc
	v_mov_b32_e32 v11, v10
	;;#ASMSTART
	v_pk_mul_f32 v[12:13], v[28:29], v[10:11]
	;;#ASMEND
	;;#ASMSTART
	v_pk_mul_f32 v[14:15], v[32:33], v[10:11]
	;;#ASMEND
	;; [unrolled: 3-line block ×3, first 2 shown]
	s_waitcnt vmcnt(1)
	v_cvt_f32_f16_sdwa v27, v6 dst_sel:DWORD dst_unused:UNUSED_PAD src0_sel:WORD_1
	v_cvt_f32_f16_e32 v26, v6
	v_cvt_f32_f16_sdwa v33, v7 dst_sel:DWORD dst_unused:UNUSED_PAD src0_sel:WORD_1
	v_cvt_f32_f16_e32 v32, v7
	;;#ASMSTART
	v_pk_mul_f32 v[30:31], v[30:31], v[10:11]
	;;#ASMEND
	;;#ASMSTART
	v_pk_mul_f32 v[22:23], v[22:23], v[10:11]
	;;#ASMEND
	;; [unrolled: 3-line block ×5, first 2 shown]
	v_pk_add_f32 v[10:11], v[26:27], 1.0 op_sel_hi:[1,0]
	;;#ASMSTART
	v_pk_mul_f32 v[28:29], v[12:13], v[10:11]
	;;#ASMEND
	v_cvt_f32_f16_sdwa v13, v8 dst_sel:DWORD dst_unused:UNUSED_PAD src0_sel:WORD_1
	v_cvt_f32_f16_e32 v12, v8
	v_cvt_f32_f16_sdwa v19, v9 dst_sel:DWORD dst_unused:UNUSED_PAD src0_sel:WORD_1
	v_cvt_f32_f16_e32 v18, v9
	v_pk_add_f32 v[10:11], v[32:33], 1.0 op_sel_hi:[1,0]
	;;#ASMSTART
	v_pk_mul_f32 v[32:33], v[14:15], v[10:11]
	;;#ASMEND
	s_waitcnt vmcnt(0)
	v_cvt_f32_f16_sdwa v11, v2 dst_sel:DWORD dst_unused:UNUSED_PAD src0_sel:WORD_1
	v_cvt_f32_f16_e32 v10, v2
	v_pk_add_f32 v[8:9], v[12:13], 1.0 op_sel_hi:[1,0]
	;;#ASMSTART
	v_pk_mul_f32 v[26:27], v[16:17], v[8:9]
	;;#ASMEND
	v_pk_add_f32 v[8:9], v[18:19], 1.0 op_sel_hi:[1,0]
	v_cvt_f32_f16_sdwa v13, v3 dst_sel:DWORD dst_unused:UNUSED_PAD src0_sel:WORD_1
	v_cvt_f32_f16_e32 v12, v3
	;;#ASMSTART
	v_pk_mul_f32 v[30:31], v[30:31], v[8:9]
	;;#ASMEND
	v_cvt_f32_f16_sdwa v9, v4 dst_sel:DWORD dst_unused:UNUSED_PAD src0_sel:WORD_1
	v_cvt_f32_f16_e32 v8, v4
	v_pk_add_f32 v[2:3], v[10:11], 1.0 op_sel_hi:[1,0]
	v_cvt_f32_f16_sdwa v11, v5 dst_sel:DWORD dst_unused:UNUSED_PAD src0_sel:WORD_1
	v_cvt_f32_f16_e32 v10, v5
	;;#ASMSTART
	v_pk_mul_f32 v[22:23], v[22:23], v[2:3]
	;;#ASMEND
	v_pk_add_f32 v[2:3], v[12:13], 1.0 op_sel_hi:[1,0]
	;;#ASMSTART
	v_pk_mul_f32 v[24:25], v[24:25], v[2:3]
	;;#ASMEND
	v_pk_add_f32 v[2:3], v[8:9], 1.0 op_sel_hi:[1,0]
	;; [unrolled: 4-line block ×3, first 2 shown]
	;;#ASMSTART
	v_pk_mul_f32 v[18:19], v[6:7], v[2:3]
	;;#ASMEND
	s_or_b64 exec, exec, s[28:29]
	s_mov_b64 s[2:3], -1
	s_and_b64 vcc, exec, s[22:23]
	s_cbranch_vccz .LBB1011_15
.LBB1011_19:
	s_and_saveexec_b64 s[2:3], s[0:1]
	s_cbranch_execz .LBB1011_21
; %bb.20:
	s_mul_hi_i32 s23, s10, s6
	s_mul_i32 s22, s10, s6
	s_waitcnt vmcnt(0)
	v_cvt_f16_f32_e32 v2, v28
	v_cvt_f16_f32_e32 v3, v32
	;; [unrolled: 1-line block ×8, first 2 shown]
	s_lshl_b64 s[22:23], s[22:23], 1
	s_add_u32 s28, s36, s22
	s_addc_u32 s7, s37, s23
	s_and_b32 s29, s7, 0xffff
	s_mov_b32 s31, 0x20000
	v_pack_b32_f16 v5, v5, v6
	v_pack_b32_f16 v4, v4, v7
	;; [unrolled: 1-line block ×4, first 2 shown]
	v_lshlrev_b32_e32 v6, 5, v0
	buffer_store_dwordx4 v[2:5], v6, s[28:31], 0 offen
	v_cvt_f16_f32_e32 v7, v19
	v_cvt_f16_f32_e32 v2, v22
	;; [unrolled: 1-line block ×8, first 2 shown]
	v_pack_b32_f16 v5, v5, v7
	v_pack_b32_f16 v4, v4, v8
	;; [unrolled: 1-line block ×4, first 2 shown]
	;;#ASMSTART
	s_nop 0
	;;#ASMEND
	buffer_store_dwordx4 v[2:5], v6, s[28:31], 16 offen
	;;#ASMSTART
	s_nop 0
	;;#ASMEND
.LBB1011_21:
	s_or_b64 exec, exec, s[2:3]
	s_cbranch_execnz .LBB1011_16
.LBB1011_22:
	s_waitcnt vmcnt(0)
	v_mov_b32_e32 v2, 0
	s_and_saveexec_b64 s[2:3], s[0:1]
	s_cbranch_execz .LBB1011_24
; %bb.23:
	v_and_b32_e32 v2, 0x7fffffff, v28
	v_and_b32_e32 v3, 0x7fffffff, v29
	v_mov_b32_e32 v4, 0x2edbe6ff
	;;#ASMSTART
	v_max3_f32 v2, v4, v2, v3

	;;#ASMEND
	v_and_b32_e32 v3, 0x7fffffff, v32
	v_and_b32_e32 v4, 0x7fffffff, v33
	;;#ASMSTART
	v_max3_f32 v2, v2, v3, v4

	;;#ASMEND
	v_and_b32_e32 v3, 0x7fffffff, v26
	v_and_b32_e32 v4, 0x7fffffff, v27
	;; [unrolled: 6-line block ×7, first 2 shown]
	;;#ASMSTART
	v_max3_f32 v2, v2, v3, v4

	;;#ASMEND
.LBB1011_24:
	s_or_b64 exec, exec, s[2:3]
	;;#ASMSTART
	v_max_f32 v3, v2, v2 quad_perm:[1,0,3,2] row_mask:0xf bank_mask:0xf bound_ctrl:1
	;;#ASMEND
	v_and_b32_e32 v2, 1, v0
	v_cmp_eq_u32_e32 vcc, 0, v2
	v_cmp_gt_i32_e64 s[2:3], s15, v1
	s_and_b64 s[22:23], vcc, s[2:3]
	s_and_saveexec_b64 s[2:3], s[22:23]
	s_cbranch_execz .LBB1011_26
; %bb.25:
	s_load_dwordx2 s[22:23], s[4:5], 0x8
	v_mul_f32_e32 v2, 0x3e2aaaab, v3
	v_lshrrev_b32_e32 v3, 23, v2
	v_and_b32_e32 v4, 0x7f800000, v2
	v_and_b32_e32 v2, 0x7fffff, v2
	v_cmp_ne_u32_e32 vcc, 0, v2
	s_mul_i32 s12, s25, s6
	s_mov_b32 s7, 0x7f800000
	v_addc_co_u32_e32 v2, vcc, 0, v3, vcc
	s_mul_hi_i32 s11, s25, s6
	s_waitcnt lgkmcnt(0)
	s_add_u32 s22, s22, s12
	v_cmp_ne_u32_e32 vcc, s7, v4
	s_addc_u32 s23, s23, s11
	v_lshrrev_b32_e32 v5, 1, v0
	v_cndmask_b32_e32 v4, -1, v2, vcc
	v_pk_mov_b32 v[2:3], s[22:23], s[22:23] op_sel:[0,1]
	v_mad_i64_i32 v[2:3], s[22:23], s26, v5, v[2:3]
	global_store_byte v[2:3], v4, off
.LBB1011_26:
	s_or_b64 exec, exec, s[2:3]
	s_and_saveexec_b64 s[2:3], s[0:1]
	s_cbranch_execz .LBB1011_28
; %bb.27:
	s_load_dwordx2 s[0:1], s[4:5], 0x0
	s_mul_i32 s11, s24, s6
	s_mul_hi_i32 s7, s24, s6
	v_mov_b32_e32 v2, 0
	v_lshlrev_b32_e32 v4, 3, v0
	s_waitcnt lgkmcnt(0)
	s_add_u32 s24, s0, s11
	s_addc_u32 s0, s1, s7
	s_lshr_b32 s1, s15, 31
	s_add_i32 s1, s15, s1
	s_ashr_i32 s1, s1, 1
	s_add_i32 s1, s1, 3
	s_ashr_i32 s7, s1, 31
	s_lshr_b32 s7, s7, 30
	s_add_i32 s1, s1, s7
	s_and_b32 s26, s1, -4
	s_and_b32 s25, s0, 0xffff
	s_mov_b32 s27, 0x20000
	v_mov_b32_e32 v3, v2
	buffer_store_dwordx2 v[2:3], v4, s[24:27], 0 offen
	;;#ASMSTART
	s_nop 0
	;;#ASMEND
.LBB1011_28:
	s_or_b64 exec, exec, s[2:3]
	s_cmp_lt_i32 s16, 1
	s_cbranch_scc1 .LBB1011_17
.LBB1011_29:
	s_load_dword s0, s[4:5], 0x94
	s_waitcnt lgkmcnt(0)
	s_cmp_lg_u32 s0, 1
	s_cbranch_scc1 .LBB1011_17
; %bb.30:
	s_lshl_b32 s0, s16, 1
	s_add_i32 s0, s0, 2
	v_cmp_gt_u32_e32 vcc, s16, v1
	s_and_b32 s22, s0, -4
	v_mov_b32_e32 v18, 0
	v_lshlrev_b32_e32 v1, 5, v0
	s_waitcnt vmcnt(2)
	v_mov_b32_e32 v14, 0
	v_mov_b32_e32 v15, 0
	;; [unrolled: 1-line block ×8, first 2 shown]
	s_waitcnt vmcnt(1)
	v_mov_b32_e32 v6, 0
	v_mov_b32_e32 v7, 0
	;; [unrolled: 1-line block ×4, first 2 shown]
	s_waitcnt vmcnt(0)
	v_mov_b32_e32 v2, 0
	v_mov_b32_e32 v3, 0
	;; [unrolled: 1-line block ×4, first 2 shown]
	s_barrier
	s_and_saveexec_b64 s[0:1], vcc
	s_cbranch_execz .LBB1011_32
; %bb.31:
	s_mul_hi_i32 s3, s18, s6
	s_mul_i32 s2, s18, s6
	s_and_b32 s21, s21, 0xffff
	s_lshl_b64 s[2:3], s[2:3], 1
	s_add_u32 s24, s34, s2
	s_mov_b32 s23, 0x20000
	s_addc_u32 s2, s35, s3
	s_and_b32 s25, s2, 0xffff
	s_mov_b32 s26, s22
	s_mov_b32 s27, s23
	buffer_load_dwordx4 v[14:17], v1, s[24:27], 0 offen
	buffer_load_dwordx4 v[10:13], v1, s[24:27], 16 offen
	;; [unrolled: 1-line block ×4, first 2 shown]
.LBB1011_32:
	s_or_b64 exec, exec, s[0:1]
	v_mov_b32_e32 v19, 0
	v_mov_b32_e32 v32, 0
	;; [unrolled: 1-line block ×15, first 2 shown]
	s_and_saveexec_b64 s[0:1], vcc
	s_cbranch_execz .LBB1011_34
; %bb.33:
	s_waitcnt vmcnt(3)
	v_cvt_f32_f16_sdwa v19, v14 dst_sel:DWORD dst_unused:UNUSED_PAD src0_sel:WORD_1
	v_cvt_f32_f16_e32 v18, v14
	v_cvt_f32_f16_sdwa v33, v15 dst_sel:DWORD dst_unused:UNUSED_PAD src0_sel:WORD_1
	v_cvt_f32_f16_e32 v32, v15
	;; [unrolled: 2-line block ×4, first 2 shown]
	s_waitcnt vmcnt(2)
	v_cvt_f32_f16_sdwa v27, v10 dst_sel:DWORD dst_unused:UNUSED_PAD src0_sel:WORD_1
	v_cvt_f32_f16_e32 v26, v10
	v_cvt_f32_f16_sdwa v25, v11 dst_sel:DWORD dst_unused:UNUSED_PAD src0_sel:WORD_1
	v_cvt_f32_f16_e32 v24, v11
	;; [unrolled: 2-line block ×4, first 2 shown]
.LBB1011_34:
	s_or_b64 exec, exec, s[0:1]
	s_waitcnt vmcnt(2)
	v_mul_f32_e32 v10, v19, v19
	v_fmac_f32_e32 v10, v18, v18
	v_fmac_f32_e32 v10, v32, v32
	v_fmac_f32_e32 v10, v33, v33
	v_fmac_f32_e32 v10, v30, v30
	v_fmac_f32_e32 v10, v31, v31
	v_fmac_f32_e32 v10, v28, v28
	v_fmac_f32_e32 v10, v29, v29
	v_fmac_f32_e32 v10, v26, v26
	v_fmac_f32_e32 v10, v27, v27
	v_fmac_f32_e32 v10, v24, v24
	v_fmac_f32_e32 v10, v25, v25
	v_fmac_f32_e32 v10, v22, v22
	v_fmac_f32_e32 v10, v23, v23
	v_fmac_f32_e32 v10, v20, v20
	v_fmac_f32_e32 v10, v21, v21
	s_nop 1
	v_mov_b32_dpp v11, v10 quad_perm:[1,0,3,2] row_mask:0xf bank_mask:0xf
	v_add_f32_e32 v10, v10, v11
	s_nop 1
	v_mov_b32_dpp v11, v10 quad_perm:[2,3,0,1] row_mask:0xf bank_mask:0xf
	v_add_f32_e32 v10, v10, v11
	s_nop 1
	v_mov_b32_dpp v11, v10 row_half_mirror row_mask:0xf bank_mask:0xf
	v_add_f32_e32 v10, v10, v11
	s_nop 1
	v_mov_b32_dpp v11, v10 row_mirror row_mask:0xf bank_mask:0xf
	v_add_f32_e32 v10, v10, v11
	s_nop 1
	v_mov_b32_dpp v11, v10 row_bcast:15 row_mask:0xf bank_mask:0xf
	v_add_f32_e32 v10, v10, v11
	s_nop 1
	v_mov_b32_dpp v11, v10 row_bcast:31 row_mask:0xf bank_mask:0xf
	s_and_saveexec_b64 s[0:1], s[8:9]
	s_cbranch_execz .LBB1011_36
; %bb.35:
	v_lshrrev_b32_e32 v0, 4, v0
	v_add_f32_e32 v10, v10, v11
	v_and_b32_e32 v0, 60, v0
	ds_write_b32 v0, v10
.LBB1011_36:
	s_or_b64 exec, exec, s[0:1]
	s_waitcnt lgkmcnt(0)
	s_barrier
	ds_read_b32 v0, v34
	s_waitcnt lgkmcnt(0)
	s_nop 0
	v_mov_b32_dpp v10, v0 quad_perm:[1,0,3,2] row_mask:0xf bank_mask:0xf
	v_add_f32_e32 v0, v0, v10
	s_nop 1
	v_mov_b32_dpp v10, v0 quad_perm:[2,3,0,1] row_mask:0xf bank_mask:0xf
	v_add_f32_e32 v0, v0, v10
	s_nop 1
	v_mov_b32_dpp v10, v0 row_half_mirror row_mask:0xf bank_mask:0xf
	s_and_saveexec_b64 s[0:1], vcc
	s_cbranch_execz .LBB1011_17
; %bb.37:
	v_cvt_f32_u32_e32 v11, s16
	v_add_f32_e32 v0, v0, v10
	s_mov_b32 s23, 0x20000
	v_div_scale_f32 v10, s[0:1], v11, v11, v0
	v_rcp_f32_e32 v12, v10
	v_div_scale_f32 v13, vcc, v0, v11, v0
	s_mov_b32 s0, 0x800000
	v_fma_f32 v14, -v10, v12, 1.0
	v_fmac_f32_e32 v12, v14, v12
	v_mul_f32_e32 v14, v13, v12
	v_fma_f32 v15, -v10, v14, v13
	v_fmac_f32_e32 v14, v15, v12
	v_fma_f32 v10, -v10, v14, v13
	v_div_fmas_f32 v10, v10, v12, v14
	v_div_fixup_f32 v0, v10, v11, v0
	v_add_f32_e32 v0, s13, v0
	v_mul_f32_e32 v10, 0x4b800000, v0
	v_cmp_gt_f32_e32 vcc, s0, v0
	v_cndmask_b32_e32 v0, v0, v10, vcc
	v_rsq_f32_e32 v0, v0
	s_mul_hi_i32 s1, s10, s6
	s_mul_i32 s0, s10, s6
	s_lshl_b64 s[0:1], s[0:1], 1
	v_mul_f32_e32 v10, 0x45800000, v0
	v_cndmask_b32_e32 v10, v0, v10, vcc
	v_mov_b32_e32 v11, v10
	;;#ASMSTART
	v_pk_mul_f32 v[12:13], v[18:19], v[10:11]
	;;#ASMEND
	;;#ASMSTART
	v_pk_mul_f32 v[14:15], v[32:33], v[10:11]
	;;#ASMEND
	;; [unrolled: 3-line block ×4, first 2 shown]
	s_waitcnt vmcnt(1)
	v_cvt_f32_f16_sdwa v29, v6 dst_sel:DWORD dst_unused:UNUSED_PAD src0_sel:WORD_1
	v_cvt_f32_f16_e32 v28, v6
	v_cvt_f32_f16_sdwa v31, v7 dst_sel:DWORD dst_unused:UNUSED_PAD src0_sel:WORD_1
	v_cvt_f32_f16_e32 v30, v7
	;;#ASMSTART
	v_pk_mul_f32 v[26:27], v[26:27], v[10:11]
	;;#ASMEND
	;;#ASMSTART
	v_pk_mul_f32 v[24:25], v[24:25], v[10:11]
	;;#ASMEND
	;; [unrolled: 3-line block ×4, first 2 shown]
	v_cvt_f32_f16_sdwa v21, v8 dst_sel:DWORD dst_unused:UNUSED_PAD src0_sel:WORD_1
	v_cvt_f32_f16_e32 v20, v8
	v_pk_add_f32 v[10:11], v[28:29], 1.0 op_sel_hi:[1,0]
	;;#ASMSTART
	v_pk_mul_f32 v[10:11], v[12:13], v[10:11]
	;;#ASMEND
	v_pk_add_f32 v[12:13], v[30:31], 1.0 op_sel_hi:[1,0]
	v_cvt_f32_f16_sdwa v29, v9 dst_sel:DWORD dst_unused:UNUSED_PAD src0_sel:WORD_1
	v_cvt_f32_f16_e32 v28, v9
	;;#ASMSTART
	v_pk_mul_f32 v[8:9], v[14:15], v[12:13]
	;;#ASMEND
	v_pk_add_f32 v[12:13], v[20:21], 1.0 op_sel_hi:[1,0]
	;;#ASMSTART
	v_pk_mul_f32 v[12:13], v[16:17], v[12:13]
	;;#ASMEND
	s_waitcnt vmcnt(0)
	v_cvt_f32_f16_sdwa v17, v2 dst_sel:DWORD dst_unused:UNUSED_PAD src0_sel:WORD_1
	v_cvt_f32_f16_e32 v16, v2
	v_cvt_f32_f16_sdwa v21, v3 dst_sel:DWORD dst_unused:UNUSED_PAD src0_sel:WORD_1
	v_cvt_f32_f16_e32 v20, v3
	v_pk_add_f32 v[14:15], v[28:29], 1.0 op_sel_hi:[1,0]
	;;#ASMSTART
	v_pk_mul_f32 v[2:3], v[18:19], v[14:15]
	;;#ASMEND
	v_cvt_f32_f16_sdwa v19, v4 dst_sel:DWORD dst_unused:UNUSED_PAD src0_sel:WORD_1
	v_cvt_f32_f16_e32 v18, v4
	v_pk_add_f32 v[14:15], v[16:17], 1.0 op_sel_hi:[1,0]
	v_pk_add_f32 v[16:17], v[20:21], 1.0 op_sel_hi:[1,0]
	v_cvt_f32_f16_sdwa v21, v5 dst_sel:DWORD dst_unused:UNUSED_PAD src0_sel:WORD_1
	v_cvt_f32_f16_e32 v20, v5
	v_pk_add_f32 v[4:5], v[18:19], 1.0 op_sel_hi:[1,0]
	;;#ASMSTART
	v_pk_mul_f32 v[14:15], v[26:27], v[14:15]
	;;#ASMEND
	;;#ASMSTART
	v_pk_mul_f32 v[16:17], v[24:25], v[16:17]
	;;#ASMEND
	;; [unrolled: 3-line block ×3, first 2 shown]
	v_pk_add_f32 v[4:5], v[20:21], 1.0 op_sel_hi:[1,0]
	;;#ASMSTART
	v_pk_mul_f32 v[6:7], v[6:7], v[4:5]
	;;#ASMEND
	v_cvt_f16_f32_e32 v0, v10
	v_cvt_f16_f32_e32 v4, v11
	;; [unrolled: 1-line block ×8, first 2 shown]
	s_add_u32 s20, s36, s0
	s_addc_u32 s0, s37, s1
	s_and_b32 s21, s0, 0xffff
	v_pack_b32_f16 v2, v0, v4
	v_pack_b32_f16 v3, v5, v8
	;; [unrolled: 1-line block ×4, first 2 shown]
	buffer_store_dwordx4 v[2:5], v1, s[20:23], 0 offen
	v_cvt_f16_f32_e32 v0, v14
	v_cvt_f16_f32_e32 v2, v15
	;; [unrolled: 1-line block ×8, first 2 shown]
	v_pack_b32_f16 v2, v0, v2
	v_pack_b32_f16 v3, v3, v4
	;; [unrolled: 1-line block ×4, first 2 shown]
	;;#ASMSTART
	s_nop 0
	;;#ASMEND
	buffer_store_dwordx4 v[2:5], v1, s[20:23], 16 offen
	;;#ASMSTART
	s_nop 0
	;;#ASMEND
	s_endpgm
	.section	.rodata,"a",@progbits
	.p2align	6, 0x0
	.amdhsa_kernel _ZN5aiter35fused_qk_rmsnorm_group_quant_kernelIDF16_N4opus5fp4_tELi512ELi16ELi2ELb1ELb0ELb1ELb0ELb0ELb0EEEvPT0_PvPT_S7_S7_PKS6_S9_S9_S9_S9_ffiiiiiiiiiiiii
		.amdhsa_group_segment_fixed_size 64
		.amdhsa_private_segment_fixed_size 0
		.amdhsa_kernarg_size 400
		.amdhsa_user_sgpr_count 6
		.amdhsa_user_sgpr_private_segment_buffer 1
		.amdhsa_user_sgpr_dispatch_ptr 0
		.amdhsa_user_sgpr_queue_ptr 0
		.amdhsa_user_sgpr_kernarg_segment_ptr 1
		.amdhsa_user_sgpr_dispatch_id 0
		.amdhsa_user_sgpr_flat_scratch_init 0
		.amdhsa_user_sgpr_kernarg_preload_length 0
		.amdhsa_user_sgpr_kernarg_preload_offset 0
		.amdhsa_user_sgpr_private_segment_size 0
		.amdhsa_uses_dynamic_stack 0
		.amdhsa_system_sgpr_private_segment_wavefront_offset 0
		.amdhsa_system_sgpr_workgroup_id_x 1
		.amdhsa_system_sgpr_workgroup_id_y 1
		.amdhsa_system_sgpr_workgroup_id_z 0
		.amdhsa_system_sgpr_workgroup_info 0
		.amdhsa_system_vgpr_workitem_id 0
		.amdhsa_next_free_vgpr 49
		.amdhsa_next_free_sgpr 40
		.amdhsa_accum_offset 52
		.amdhsa_reserve_vcc 1
		.amdhsa_reserve_flat_scratch 0
		.amdhsa_float_round_mode_32 0
		.amdhsa_float_round_mode_16_64 0
		.amdhsa_float_denorm_mode_32 3
		.amdhsa_float_denorm_mode_16_64 3
		.amdhsa_dx10_clamp 1
		.amdhsa_ieee_mode 1
		.amdhsa_fp16_overflow 0
		.amdhsa_tg_split 0
		.amdhsa_exception_fp_ieee_invalid_op 0
		.amdhsa_exception_fp_denorm_src 0
		.amdhsa_exception_fp_ieee_div_zero 0
		.amdhsa_exception_fp_ieee_overflow 0
		.amdhsa_exception_fp_ieee_underflow 0
		.amdhsa_exception_fp_ieee_inexact 0
		.amdhsa_exception_int_div_zero 0
	.end_amdhsa_kernel
	.section	.text._ZN5aiter35fused_qk_rmsnorm_group_quant_kernelIDF16_N4opus5fp4_tELi512ELi16ELi2ELb1ELb0ELb1ELb0ELb0ELb0EEEvPT0_PvPT_S7_S7_PKS6_S9_S9_S9_S9_ffiiiiiiiiiiiii,"axG",@progbits,_ZN5aiter35fused_qk_rmsnorm_group_quant_kernelIDF16_N4opus5fp4_tELi512ELi16ELi2ELb1ELb0ELb1ELb0ELb0ELb0EEEvPT0_PvPT_S7_S7_PKS6_S9_S9_S9_S9_ffiiiiiiiiiiiii,comdat
.Lfunc_end1011:
	.size	_ZN5aiter35fused_qk_rmsnorm_group_quant_kernelIDF16_N4opus5fp4_tELi512ELi16ELi2ELb1ELb0ELb1ELb0ELb0ELb0EEEvPT0_PvPT_S7_S7_PKS6_S9_S9_S9_S9_ffiiiiiiiiiiiii, .Lfunc_end1011-_ZN5aiter35fused_qk_rmsnorm_group_quant_kernelIDF16_N4opus5fp4_tELi512ELi16ELi2ELb1ELb0ELb1ELb0ELb0ELb0EEEvPT0_PvPT_S7_S7_PKS6_S9_S9_S9_S9_ffiiiiiiiiiiiii
                                        ; -- End function
	.section	.AMDGPU.csdata,"",@progbits
; Kernel info:
; codeLenInByte = 3904
; NumSgprs: 44
; NumVgprs: 49
; NumAgprs: 0
; TotalNumVgprs: 49
; ScratchSize: 0
; MemoryBound: 0
; FloatMode: 240
; IeeeMode: 1
; LDSByteSize: 64 bytes/workgroup (compile time only)
; SGPRBlocks: 5
; VGPRBlocks: 6
; NumSGPRsForWavesPerEU: 44
; NumVGPRsForWavesPerEU: 49
; AccumOffset: 52
; Occupancy: 8
; WaveLimiterHint : 0
; COMPUTE_PGM_RSRC2:SCRATCH_EN: 0
; COMPUTE_PGM_RSRC2:USER_SGPR: 6
; COMPUTE_PGM_RSRC2:TRAP_HANDLER: 0
; COMPUTE_PGM_RSRC2:TGID_X_EN: 1
; COMPUTE_PGM_RSRC2:TGID_Y_EN: 1
; COMPUTE_PGM_RSRC2:TGID_Z_EN: 0
; COMPUTE_PGM_RSRC2:TIDIG_COMP_CNT: 0
; COMPUTE_PGM_RSRC3_GFX90A:ACCUM_OFFSET: 12
; COMPUTE_PGM_RSRC3_GFX90A:TG_SPLIT: 0
	.section	.text._ZN5aiter35fused_qk_rmsnorm_group_quant_kernelItN4opus5fp4_tELi512ELi16ELi2ELb1ELb0ELb1ELb0ELb0ELb0EEEvPT0_PvPT_S7_S7_PKS6_S9_S9_S9_S9_ffiiiiiiiiiiiii,"axG",@progbits,_ZN5aiter35fused_qk_rmsnorm_group_quant_kernelItN4opus5fp4_tELi512ELi16ELi2ELb1ELb0ELb1ELb0ELb0ELb0EEEvPT0_PvPT_S7_S7_PKS6_S9_S9_S9_S9_ffiiiiiiiiiiiii,comdat
	.protected	_ZN5aiter35fused_qk_rmsnorm_group_quant_kernelItN4opus5fp4_tELi512ELi16ELi2ELb1ELb0ELb1ELb0ELb0ELb0EEEvPT0_PvPT_S7_S7_PKS6_S9_S9_S9_S9_ffiiiiiiiiiiiii ; -- Begin function _ZN5aiter35fused_qk_rmsnorm_group_quant_kernelItN4opus5fp4_tELi512ELi16ELi2ELb1ELb0ELb1ELb0ELb0ELb0EEEvPT0_PvPT_S7_S7_PKS6_S9_S9_S9_S9_ffiiiiiiiiiiiii
	.globl	_ZN5aiter35fused_qk_rmsnorm_group_quant_kernelItN4opus5fp4_tELi512ELi16ELi2ELb1ELb0ELb1ELb0ELb0ELb0EEEvPT0_PvPT_S7_S7_PKS6_S9_S9_S9_S9_ffiiiiiiiiiiiii
	.p2align	8
	.type	_ZN5aiter35fused_qk_rmsnorm_group_quant_kernelItN4opus5fp4_tELi512ELi16ELi2ELb1ELb0ELb1ELb0ELb0ELb0EEEvPT0_PvPT_S7_S7_PKS6_S9_S9_S9_S9_ffiiiiiiiiiiiii,@function
_ZN5aiter35fused_qk_rmsnorm_group_quant_kernelItN4opus5fp4_tELi512ELi16ELi2ELb1ELb0ELb1ELb0ELb0ELb0EEEvPT0_PvPT_S7_S7_PKS6_S9_S9_S9_S9_ffiiiiiiiiiiiii: ; @_ZN5aiter35fused_qk_rmsnorm_group_quant_kernelItN4opus5fp4_tELi512ELi16ELi2ELb1ELb0ELb1ELb0ELb0ELb0EEEvPT0_PvPT_S7_S7_PKS6_S9_S9_S9_S9_ffiiiiiiiiiiiii
; %bb.0:
	s_load_dwordx8 s[12:19], s[4:5], 0x50
	s_waitcnt lgkmcnt(0)
	s_cmp_ge_i32 s6, s14
	s_cbranch_scc1 .LBB1012_17
; %bb.1:
	s_cmp_lg_u32 s7, 0
	s_cselect_b64 s[22:23], -1, 0
	s_cmp_eq_u32 s7, 0
	s_cselect_b64 s[2:3], -1, 0
	s_and_b64 s[0:1], s[2:3], exec
	s_load_dwordx2 s[20:21], s[4:5], 0x48
	s_load_dwordx2 s[34:35], s[4:5], 0x30
	s_load_dwordx4 s[24:27], s[4:5], 0x70
	s_cselect_b32 s7, s15, s16
	s_add_i32 s0, s7, 1
	s_lshr_b32 s1, s0, 31
	s_add_i32 s0, s0, s1
	s_lshl_b32 s0, s0, 1
	v_lshlrev_b32_e32 v1, 4, v0
	s_and_b32 s30, s0, -4
	v_cmp_gt_i32_e64 s[0:1], s7, v1
	v_mov_b32_e32 v62, 0
	v_mov_b32_e32 v63, 0
	;; [unrolled: 1-line block ×16, first 2 shown]
	s_and_saveexec_b64 s[8:9], s[0:1]
	s_cbranch_execz .LBB1012_3
; %bb.2:
	s_load_dwordx2 s[10:11], s[4:5], 0x28
	s_load_dwordx2 s[28:29], s[4:5], 0x40
	s_and_b64 s[36:37], s[2:3], exec
	s_cselect_b32 s14, s17, s18
	s_mov_b32 s31, 0x20000
	s_waitcnt lgkmcnt(0)
	s_cselect_b32 s17, s11, s35
	s_cselect_b32 s27, s10, s34
	s_mul_hi_i32 s11, s14, s6
	s_mul_i32 s10, s14, s6
	s_lshl_b64 s[10:11], s[10:11], 1
	s_add_u32 s36, s27, s10
	s_addc_u32 s14, s17, s11
	s_and_b64 s[10:11], s[2:3], exec
	s_cselect_b32 s28, s28, s20
	s_cselect_b32 s10, s29, s21
	s_and_b32 s37, s14, 0xffff
	s_mov_b32 s38, s30
	s_mov_b32 s39, s31
	v_lshlrev_b32_e32 v2, 5, v0
	s_and_b32 s29, s10, 0xffff
	buffer_load_dwordx4 v[66:69], v2, s[36:39], 0 offen
	buffer_load_dwordx4 v[70:73], v2, s[36:39], 16 offen
	;; [unrolled: 1-line block ×4, first 2 shown]
.LBB1012_3:
	s_or_b64 exec, exec, s[8:9]
	s_load_dwordx2 s[10:11], s[4:5], 0x80
	s_and_b64 vcc, exec, s[22:23]
	s_cbranch_vccz .LBB1012_7
; %bb.4:
	v_mov_b32_e32 v75, 0
	v_mov_b32_e32 v74, 0
	;; [unrolled: 1-line block ×16, first 2 shown]
	s_and_saveexec_b64 s[8:9], s[0:1]
	s_cbranch_execz .LBB1012_6
; %bb.5:
	s_waitcnt vmcnt(3)
	v_cvt_f32_u32_sdwa v2, v66 dst_sel:DWORD dst_unused:UNUSED_PAD src0_sel:WORD_0
	v_cvt_f32_u32_sdwa v3, v66 dst_sel:DWORD dst_unused:UNUSED_PAD src0_sel:WORD_1
	v_cvt_f32_u32_sdwa v6, v67 dst_sel:DWORD dst_unused:UNUSED_PAD src0_sel:WORD_0
	v_cvt_f32_u32_sdwa v7, v67 dst_sel:DWORD dst_unused:UNUSED_PAD src0_sel:WORD_1
	;; [unrolled: 2-line block ×4, first 2 shown]
	s_waitcnt vmcnt(2)
	v_cvt_f32_u32_sdwa v50, v70 dst_sel:DWORD dst_unused:UNUSED_PAD src0_sel:WORD_0
	v_cvt_f32_u32_sdwa v51, v70 dst_sel:DWORD dst_unused:UNUSED_PAD src0_sel:WORD_1
	v_cvt_f32_u32_sdwa v24, v71 dst_sel:DWORD dst_unused:UNUSED_PAD src0_sel:WORD_0
	v_cvt_f32_u32_sdwa v25, v71 dst_sel:DWORD dst_unused:UNUSED_PAD src0_sel:WORD_1
	;; [unrolled: 2-line block ×4, first 2 shown]
.LBB1012_6:
	s_or_b64 exec, exec, s[8:9]
	s_cbranch_execz .LBB1012_8
	s_branch .LBB1012_11
.LBB1012_7:
                                        ; implicit-def: $vgpr2_vgpr3_vgpr4_vgpr5_vgpr6_vgpr7_vgpr8_vgpr9_vgpr10_vgpr11_vgpr12_vgpr13_vgpr14_vgpr15_vgpr16_vgpr17
                                        ; implicit-def: $vgpr36_vgpr37_vgpr38_vgpr39_vgpr40_vgpr41_vgpr42_vgpr43_vgpr44_vgpr45_vgpr46_vgpr47_vgpr48_vgpr49_vgpr50_vgpr51
                                        ; implicit-def: $vgpr4_vgpr5_vgpr6_vgpr7_vgpr8_vgpr9_vgpr10_vgpr11_vgpr12_vgpr13_vgpr14_vgpr15_vgpr16_vgpr17_vgpr18_vgpr19
                                        ; implicit-def: $vgpr24_vgpr25_vgpr26_vgpr27_vgpr28_vgpr29_vgpr30_vgpr31_vgpr32_vgpr33_vgpr34_vgpr35_vgpr36_vgpr37_vgpr38_vgpr39
                                        ; implicit-def: $vgpr75
                                        ; implicit-def: $vgpr42_vgpr43_vgpr44_vgpr45_vgpr46_vgpr47_vgpr48_vgpr49_vgpr50_vgpr51_vgpr52_vgpr53_vgpr54_vgpr55_vgpr56_vgpr57
                                        ; implicit-def: $vgpr14_vgpr15_vgpr16_vgpr17_vgpr18_vgpr19_vgpr20_vgpr21_vgpr22_vgpr23_vgpr24_vgpr25_vgpr26_vgpr27_vgpr28_vgpr29
                                        ; implicit-def: $vgpr8_vgpr9_vgpr10_vgpr11_vgpr12_vgpr13_vgpr14_vgpr15_vgpr16_vgpr17_vgpr18_vgpr19_vgpr20_vgpr21_vgpr22_vgpr23
.LBB1012_8:
	v_mov_b32_e32 v75, 0
	v_mov_b32_e32 v74, 0
	;; [unrolled: 1-line block ×16, first 2 shown]
	s_and_saveexec_b64 s[8:9], s[0:1]
	s_cbranch_execz .LBB1012_10
; %bb.9:
	s_load_dwordx2 s[28:29], s[4:5], 0x38
	s_mul_hi_i32 s37, s19, s6
	s_mul_i32 s36, s19, s6
	s_lshl_b64 s[36:37], s[36:37], 1
	s_mov_b32 s31, 0x20000
	s_waitcnt lgkmcnt(0)
	s_add_u32 s28, s28, s36
	s_addc_u32 s14, s29, s37
	s_and_b32 s29, s14, 0xffff
	v_lshlrev_b32_e32 v38, 5, v0
	buffer_load_dwordx4 v[6:9], v38, s[28:31], 16 offen
	buffer_load_dwordx4 v[10:13], v38, s[28:31], 0 offen
	s_load_dwordx2 s[28:29], s[4:5], 0x20
	s_waitcnt vmcnt(5)
	v_cvt_f32_u32_sdwa v3, v66 dst_sel:DWORD dst_unused:UNUSED_PAD src0_sel:WORD_1
	v_cvt_f32_u32_sdwa v2, v66 dst_sel:DWORD dst_unused:UNUSED_PAD src0_sel:WORD_0
	v_cvt_f32_u32_sdwa v21, v67 dst_sel:DWORD dst_unused:UNUSED_PAD src0_sel:WORD_1
	v_cvt_f32_u32_sdwa v20, v67 dst_sel:DWORD dst_unused:UNUSED_PAD src0_sel:WORD_0
	;; [unrolled: 2-line block ×4, first 2 shown]
	s_waitcnt vmcnt(4)
	v_cvt_f32_u32_sdwa v5, v70 dst_sel:DWORD dst_unused:UNUSED_PAD src0_sel:WORD_1
	v_cvt_f32_u32_sdwa v4, v70 dst_sel:DWORD dst_unused:UNUSED_PAD src0_sel:WORD_0
	v_cvt_f32_u32_sdwa v15, v71 dst_sel:DWORD dst_unused:UNUSED_PAD src0_sel:WORD_1
	v_cvt_f32_u32_sdwa v14, v71 dst_sel:DWORD dst_unused:UNUSED_PAD src0_sel:WORD_0
	v_cvt_f32_u32_sdwa v17, v72 dst_sel:DWORD dst_unused:UNUSED_PAD src0_sel:WORD_1
	v_cvt_f32_u32_sdwa v16, v72 dst_sel:DWORD dst_unused:UNUSED_PAD src0_sel:WORD_0
	v_cvt_f32_u32_sdwa v18, v73 dst_sel:DWORD dst_unused:UNUSED_PAD src0_sel:WORD_0
	v_cvt_f32_u32_sdwa v19, v73 dst_sel:DWORD dst_unused:UNUSED_PAD src0_sel:WORD_1
	s_mul_hi_i32 s37, s11, s6
	s_mul_i32 s36, s11, s6
	s_lshl_b64 s[36:37], s[36:37], 1
	s_waitcnt lgkmcnt(0)
	s_add_u32 s28, s28, s36
	s_mov_b32 s11, 0x7060302
	s_addc_u32 s14, s29, s37
	s_and_b32 s29, s14, 0xffff
	s_waitcnt vmcnt(1)
	v_cvt_f32_u32_sdwa v27, v6 dst_sel:DWORD dst_unused:UNUSED_PAD src0_sel:WORD_1
	v_cvt_f32_u32_sdwa v26, v6 dst_sel:DWORD dst_unused:UNUSED_PAD src0_sel:WORD_0
	v_cvt_f32_u32_sdwa v29, v7 dst_sel:DWORD dst_unused:UNUSED_PAD src0_sel:WORD_1
	v_cvt_f32_u32_sdwa v28, v7 dst_sel:DWORD dst_unused:UNUSED_PAD src0_sel:WORD_0
	;; [unrolled: 2-line block ×3, first 2 shown]
	v_cvt_f32_u32_sdwa v34, v9 dst_sel:DWORD dst_unused:UNUSED_PAD src0_sel:WORD_0
	v_cvt_f32_u32_sdwa v35, v9 dst_sel:DWORD dst_unused:UNUSED_PAD src0_sel:WORD_1
	s_waitcnt vmcnt(0)
	v_cvt_f32_u32_sdwa v37, v10 dst_sel:DWORD dst_unused:UNUSED_PAD src0_sel:WORD_1
	v_cvt_f32_u32_sdwa v36, v10 dst_sel:DWORD dst_unused:UNUSED_PAD src0_sel:WORD_0
	v_cvt_f32_u32_sdwa v7, v12 dst_sel:DWORD dst_unused:UNUSED_PAD src0_sel:WORD_1
	v_cvt_f32_u32_sdwa v6, v12 dst_sel:DWORD dst_unused:UNUSED_PAD src0_sel:WORD_0
	;; [unrolled: 2-line block ×4, first 2 shown]
	v_pk_add_f32 v[40:41], v[22:23], v[6:7]
	v_pk_add_f32 v[30:31], v[24:25], v[8:9]
	;; [unrolled: 1-line block ×4, first 2 shown]
	v_perm_b32 v11, v31, v30, s11
	v_perm_b32 v10, v41, v40, s11
	;; [unrolled: 1-line block ×4, first 2 shown]
	v_pk_add_f32 v[74:75], v[18:19], v[34:35]
	v_pk_add_f32 v[20:21], v[16:17], v[32:33]
	;; [unrolled: 1-line block ×4, first 2 shown]
	buffer_store_dwordx4 v[8:11], v38, s[28:31], 0 offen
	;;#ASMSTART
	s_nop 0
	;;#ASMEND
	s_nop 0
	v_perm_b32 v11, v75, v74, s11
	v_perm_b32 v10, v21, v20, s11
	;; [unrolled: 1-line block ×4, first 2 shown]
	buffer_store_dwordx4 v[8:11], v38, s[28:31], 16 offen
	;;#ASMSTART
	s_nop 0
	;;#ASMEND
.LBB1012_10:
	s_or_b64 exec, exec, s[8:9]
.LBB1012_11:
	v_mul_f32_e32 v4, v3, v3
	v_fmac_f32_e32 v4, v2, v2
	v_fmac_f32_e32 v4, v6, v6
	;; [unrolled: 1-line block ×15, first 2 shown]
	s_nop 1
	v_mov_b32_dpp v5, v4 quad_perm:[1,0,3,2] row_mask:0xf bank_mask:0xf
	v_add_f32_e32 v4, v4, v5
	s_nop 1
	v_mov_b32_dpp v5, v4 quad_perm:[2,3,0,1] row_mask:0xf bank_mask:0xf
	v_add_f32_e32 v4, v4, v5
	s_nop 1
	v_mov_b32_dpp v5, v4 row_half_mirror row_mask:0xf bank_mask:0xf
	v_add_f32_e32 v4, v4, v5
	s_nop 1
	v_mov_b32_dpp v5, v4 row_mirror row_mask:0xf bank_mask:0xf
	v_add_f32_e32 v4, v4, v5
	s_nop 1
	v_mov_b32_dpp v5, v4 row_bcast:15 row_mask:0xf bank_mask:0xf
	v_add_f32_e32 v4, v4, v5
	v_and_b32_e32 v5, 63, v0
	v_cmp_eq_u32_e64 s[8:9], 63, v5
	s_nop 0
	v_mov_b32_dpp v5, v4 row_bcast:31 row_mask:0xf bank_mask:0xf
	s_and_saveexec_b64 s[28:29], s[8:9]
	s_cbranch_execz .LBB1012_13
; %bb.12:
	v_add_f32_e32 v4, v4, v5
	v_lshrrev_b32_e32 v5, 4, v0
	v_and_b32_e32 v5, 60, v5
	ds_write_b32 v5, v4 offset:32
.LBB1012_13:
	s_or_b64 exec, exec, s[28:29]
	v_and_b32_e32 v4, 7, v0
	v_lshlrev_b32_e32 v34, 2, v4
	s_waitcnt lgkmcnt(0)
	s_barrier
	ds_read_b32 v4, v34 offset:32
	s_load_dwordx2 s[36:37], s[4:5], 0x18
	s_waitcnt lgkmcnt(0)
	v_mov_b32_dpp v5, v4 quad_perm:[1,0,3,2] row_mask:0xf bank_mask:0xf
	v_add_f32_e32 v4, v4, v5
	s_nop 1
	v_mov_b32_dpp v5, v4 quad_perm:[2,3,0,1] row_mask:0xf bank_mask:0xf
	v_add_f32_e32 v4, v4, v5
	s_nop 1
	v_mov_b32_dpp v5, v4 row_half_mirror row_mask:0xf bank_mask:0xf
	s_and_saveexec_b64 s[28:29], s[0:1]
	s_cbranch_execnz .LBB1012_18
; %bb.14:
	s_or_b64 exec, exec, s[28:29]
	s_mov_b64 s[2:3], -1
	s_and_b64 vcc, exec, s[22:23]
	s_cbranch_vccnz .LBB1012_19
.LBB1012_15:
	s_andn2_b64 vcc, exec, s[2:3]
	s_cbranch_vccz .LBB1012_22
.LBB1012_16:
	s_cmp_lt_i32 s16, 1
	s_cbranch_scc0 .LBB1012_29
.LBB1012_17:
	s_endpgm
.LBB1012_18:
	v_add_f32_e32 v4, v4, v5
	v_cvt_f32_u32_e32 v5, s7
	s_waitcnt vmcnt(1)
	v_cvt_f32_u32_sdwa v15, v62 dst_sel:DWORD dst_unused:UNUSED_PAD src0_sel:WORD_1
	v_cvt_f32_u32_sdwa v14, v62 dst_sel:DWORD dst_unused:UNUSED_PAD src0_sel:WORD_0
	v_cvt_f32_u32_sdwa v23, v65 dst_sel:DWORD dst_unused:UNUSED_PAD src0_sel:WORD_1
	v_div_scale_f32 v8, s[38:39], v5, v5, v4
	v_rcp_f32_e32 v9, v8
	v_pk_add_f32 v[14:15], v[14:15], 1.0 op_sel_hi:[1,0]
	v_cvt_f32_u32_sdwa v22, v65 dst_sel:DWORD dst_unused:UNUSED_PAD src0_sel:WORD_0
	s_waitcnt vmcnt(0)
	v_cvt_f32_u32_sdwa v27, v60 dst_sel:DWORD dst_unused:UNUSED_PAD src0_sel:WORD_1
	v_fma_f32 v10, -v8, v9, 1.0
	v_fmac_f32_e32 v9, v10, v9
	v_div_scale_f32 v10, vcc, v4, v5, v4
	v_mul_f32_e32 v11, v10, v9
	v_fma_f32 v12, -v8, v11, v10
	v_fmac_f32_e32 v11, v12, v9
	v_fma_f32 v8, -v8, v11, v10
	v_div_fmas_f32 v8, v8, v9, v11
	v_div_fixup_f32 v4, v8, v5, v4
	v_mov_b32_e32 v5, s13
	v_mov_b32_e32 v8, s12
	v_cndmask_b32_e64 v5, v5, v8, s[2:3]
	v_add_f32_e32 v4, v5, v4
	s_mov_b32 s2, 0x800000
	v_mul_f32_e32 v5, 0x4b800000, v4
	v_cmp_gt_f32_e32 vcc, s2, v4
	v_cndmask_b32_e32 v4, v4, v5, vcc
	v_rsq_f32_e32 v4, v4
	v_cvt_f32_u32_sdwa v26, v60 dst_sel:DWORD dst_unused:UNUSED_PAD src0_sel:WORD_0
	v_cvt_f32_u32_sdwa v29, v61 dst_sel:DWORD dst_unused:UNUSED_PAD src0_sel:WORD_1
	v_cvt_f32_u32_sdwa v28, v61 dst_sel:DWORD dst_unused:UNUSED_PAD src0_sel:WORD_0
	v_mul_f32_e32 v5, 0x45800000, v4
	v_cndmask_b32_e32 v4, v4, v5, vcc
	v_mov_b32_e32 v5, v4
	;;#ASMSTART
	v_pk_mul_f32 v[2:3], v[2:3], v[4:5]
	;;#ASMEND
	;;#ASMSTART
	v_pk_mul_f32 v[6:7], v[6:7], v[4:5]
	;;#ASMEND
	;; [unrolled: 3-line block ×9, first 2 shown]
	v_cvt_f32_u32_sdwa v15, v63 dst_sel:DWORD dst_unused:UNUSED_PAD src0_sel:WORD_1
	v_cvt_f32_u32_sdwa v14, v63 dst_sel:DWORD dst_unused:UNUSED_PAD src0_sel:WORD_0
	v_cvt_f32_u32_sdwa v21, v64 dst_sel:DWORD dst_unused:UNUSED_PAD src0_sel:WORD_1
	v_cvt_f32_u32_sdwa v20, v64 dst_sel:DWORD dst_unused:UNUSED_PAD src0_sel:WORD_0
	v_cvt_f32_u32_sdwa v25, v59 dst_sel:DWORD dst_unused:UNUSED_PAD src0_sel:WORD_1
	v_pk_add_f32 v[14:15], v[14:15], 1.0 op_sel_hi:[1,0]
	v_cvt_f32_u32_sdwa v24, v59 dst_sel:DWORD dst_unused:UNUSED_PAD src0_sel:WORD_0
	;;#ASMSTART
	v_pk_mul_f32 v[6:7], v[6:7], v[14:15]
	;;#ASMEND
	v_pk_add_f32 v[14:15], v[20:21], 1.0 op_sel_hi:[1,0]
	v_pk_add_f32 v[20:21], v[22:23], 1.0 op_sel_hi:[1,0]
	v_cvt_f32_u32_sdwa v23, v58 dst_sel:DWORD dst_unused:UNUSED_PAD src0_sel:WORD_1
	v_cvt_f32_u32_sdwa v22, v58 dst_sel:DWORD dst_unused:UNUSED_PAD src0_sel:WORD_0
	v_pk_add_f32 v[24:25], v[24:25], 1.0 op_sel_hi:[1,0]
	v_pk_add_f32 v[26:27], v[26:27], 1.0 op_sel_hi:[1,0]
	;; [unrolled: 1-line block ×4, first 2 shown]
	;;#ASMSTART
	v_pk_mul_f32 v[40:41], v[8:9], v[14:15]
	;;#ASMEND
	;;#ASMSTART
	v_pk_mul_f32 v[30:31], v[10:11], v[20:21]
	;;#ASMEND
	;; [unrolled: 3-line block ×6, first 2 shown]
	s_or_b64 exec, exec, s[28:29]
	s_mov_b64 s[2:3], -1
	s_and_b64 vcc, exec, s[22:23]
	s_cbranch_vccz .LBB1012_15
.LBB1012_19:
	s_and_saveexec_b64 s[2:3], s[0:1]
	s_cbranch_execz .LBB1012_21
; %bb.20:
	s_mul_hi_i32 s23, s10, s6
	s_mul_i32 s22, s10, s6
	s_lshl_b64 s[22:23], s[22:23], 1
	s_add_u32 s28, s36, s22
	s_addc_u32 s7, s37, s23
	s_and_b32 s29, s7, 0xffff
	s_mov_b32 s7, 0x7060302
	s_mov_b32 s31, 0x20000
	v_perm_b32 v11, v31, v30, s7
	v_perm_b32 v10, v41, v40, s7
	;; [unrolled: 1-line block ×4, first 2 shown]
	v_lshlrev_b32_e32 v4, 5, v0
	buffer_store_dwordx4 v[8:11], v4, s[28:31], 0 offen
	;;#ASMSTART
	s_nop 0
	;;#ASMEND
	s_nop 0
	v_perm_b32 v11, v75, v74, s7
	v_perm_b32 v10, v21, v20, s7
	;; [unrolled: 1-line block ×4, first 2 shown]
	buffer_store_dwordx4 v[8:11], v4, s[28:31], 16 offen
	;;#ASMSTART
	s_nop 0
	;;#ASMEND
.LBB1012_21:
	s_or_b64 exec, exec, s[2:3]
	s_cbranch_execnz .LBB1012_16
.LBB1012_22:
	v_mov_b32_e32 v4, 0
	s_and_saveexec_b64 s[2:3], s[0:1]
	s_cbranch_execz .LBB1012_24
; %bb.23:
	v_and_b32_e32 v2, 0x7fffffff, v2
	v_and_b32_e32 v3, 0x7fffffff, v3
	v_mov_b32_e32 v10, 0x2edbe6ff
	;;#ASMSTART
	v_max3_f32 v2, v10, v2, v3

	;;#ASMEND
	v_and_b32_e32 v4, 0x7fffffff, v6
	v_and_b32_e32 v5, 0x7fffffff, v7
	;;#ASMSTART
	v_max3_f32 v2, v2, v4, v5

	;;#ASMEND
	v_and_b32_e32 v6, 0x7fffffff, v40
	v_and_b32_e32 v7, 0x7fffffff, v41
	;; [unrolled: 6-line block ×7, first 2 shown]
	;;#ASMSTART
	v_max3_f32 v4, v2, v3, v4

	;;#ASMEND
.LBB1012_24:
	s_or_b64 exec, exec, s[2:3]
	v_and_b32_e32 v3, 1, v0
	v_cmp_eq_u32_e32 vcc, 0, v3
	v_cmp_gt_i32_e64 s[2:3], s15, v1
	s_and_b64 s[22:23], vcc, s[2:3]
	;;#ASMSTART
	v_max_f32 v2, v4, v4 quad_perm:[1,0,3,2] row_mask:0xf bank_mask:0xf bound_ctrl:1
	;;#ASMEND
	s_and_saveexec_b64 s[2:3], s[22:23]
	s_cbranch_execz .LBB1012_26
; %bb.25:
	s_load_dwordx2 s[22:23], s[4:5], 0x8
	v_mul_f32_e32 v2, 0x3e2aaaab, v2
	v_lshrrev_b32_e32 v3, 23, v2
	v_and_b32_e32 v4, 0x7f800000, v2
	v_and_b32_e32 v2, 0x7fffff, v2
	v_cmp_ne_u32_e32 vcc, 0, v2
	s_mul_i32 s12, s25, s6
	s_mov_b32 s7, 0x7f800000
	v_addc_co_u32_e32 v2, vcc, 0, v3, vcc
	s_mul_hi_i32 s11, s25, s6
	s_waitcnt lgkmcnt(0)
	s_add_u32 s22, s22, s12
	v_cmp_ne_u32_e32 vcc, s7, v4
	s_addc_u32 s23, s23, s11
	v_lshrrev_b32_e32 v5, 1, v0
	v_cndmask_b32_e32 v4, -1, v2, vcc
	v_pk_mov_b32 v[2:3], s[22:23], s[22:23] op_sel:[0,1]
	v_mad_i64_i32 v[2:3], s[22:23], s26, v5, v[2:3]
	global_store_byte v[2:3], v4, off
.LBB1012_26:
	s_or_b64 exec, exec, s[2:3]
	s_and_saveexec_b64 s[2:3], s[0:1]
	s_cbranch_execz .LBB1012_28
; %bb.27:
	s_load_dwordx2 s[0:1], s[4:5], 0x0
	s_mul_i32 s11, s24, s6
	s_mul_hi_i32 s7, s24, s6
	v_mov_b32_e32 v2, 0
	v_lshlrev_b32_e32 v4, 3, v0
	s_waitcnt lgkmcnt(0)
	s_add_u32 s24, s0, s11
	s_addc_u32 s0, s1, s7
	s_lshr_b32 s1, s15, 31
	s_add_i32 s1, s15, s1
	s_ashr_i32 s1, s1, 1
	s_add_i32 s1, s1, 3
	s_ashr_i32 s7, s1, 31
	s_lshr_b32 s7, s7, 30
	s_add_i32 s1, s1, s7
	s_and_b32 s26, s1, -4
	s_and_b32 s25, s0, 0xffff
	s_mov_b32 s27, 0x20000
	v_mov_b32_e32 v3, v2
	buffer_store_dwordx2 v[2:3], v4, s[24:27], 0 offen
	;;#ASMSTART
	s_nop 0
	;;#ASMEND
.LBB1012_28:
	s_or_b64 exec, exec, s[2:3]
	s_cmp_lt_i32 s16, 1
	s_cbranch_scc1 .LBB1012_17
.LBB1012_29:
	s_load_dword s0, s[4:5], 0x94
	s_waitcnt lgkmcnt(0)
	s_cmp_lg_u32 s0, 1
	s_cbranch_scc1 .LBB1012_17
; %bb.30:
	s_lshl_b32 s0, s16, 1
	s_add_i32 s0, s0, 2
	v_cmp_gt_u32_e32 vcc, s16, v1
	s_and_b32 s22, s0, -4
	v_mov_b32_e32 v18, 0
	v_lshlrev_b32_e32 v1, 5, v0
	v_mov_b32_e32 v14, 0
	v_mov_b32_e32 v15, 0
	;; [unrolled: 1-line block ×16, first 2 shown]
	s_barrier
	s_and_saveexec_b64 s[0:1], vcc
	s_cbranch_execz .LBB1012_32
; %bb.31:
	s_mul_hi_i32 s3, s18, s6
	s_mul_i32 s2, s18, s6
	s_and_b32 s21, s21, 0xffff
	s_lshl_b64 s[2:3], s[2:3], 1
	s_add_u32 s24, s34, s2
	s_mov_b32 s23, 0x20000
	s_addc_u32 s2, s35, s3
	s_and_b32 s25, s2, 0xffff
	s_mov_b32 s26, s22
	s_mov_b32 s27, s23
	buffer_load_dwordx4 v[14:17], v1, s[24:27], 0 offen
	buffer_load_dwordx4 v[10:13], v1, s[24:27], 16 offen
	;; [unrolled: 1-line block ×4, first 2 shown]
.LBB1012_32:
	s_or_b64 exec, exec, s[0:1]
	v_mov_b32_e32 v19, 0
	v_mov_b32_e32 v32, 0
	;; [unrolled: 1-line block ×15, first 2 shown]
	s_and_saveexec_b64 s[0:1], vcc
	s_cbranch_execz .LBB1012_34
; %bb.33:
	s_waitcnt vmcnt(3)
	v_cvt_f32_u32_sdwa v18, v14 dst_sel:DWORD dst_unused:UNUSED_PAD src0_sel:WORD_0
	v_cvt_f32_u32_sdwa v19, v14 dst_sel:DWORD dst_unused:UNUSED_PAD src0_sel:WORD_1
	v_cvt_f32_u32_sdwa v32, v15 dst_sel:DWORD dst_unused:UNUSED_PAD src0_sel:WORD_0
	v_cvt_f32_u32_sdwa v33, v15 dst_sel:DWORD dst_unused:UNUSED_PAD src0_sel:WORD_1
	;; [unrolled: 2-line block ×4, first 2 shown]
	s_waitcnt vmcnt(2)
	v_cvt_f32_u32_sdwa v26, v10 dst_sel:DWORD dst_unused:UNUSED_PAD src0_sel:WORD_0
	v_cvt_f32_u32_sdwa v27, v10 dst_sel:DWORD dst_unused:UNUSED_PAD src0_sel:WORD_1
	v_cvt_f32_u32_sdwa v24, v11 dst_sel:DWORD dst_unused:UNUSED_PAD src0_sel:WORD_0
	v_cvt_f32_u32_sdwa v25, v11 dst_sel:DWORD dst_unused:UNUSED_PAD src0_sel:WORD_1
	;; [unrolled: 2-line block ×4, first 2 shown]
.LBB1012_34:
	s_or_b64 exec, exec, s[0:1]
	s_waitcnt vmcnt(2)
	v_mul_f32_e32 v10, v19, v19
	v_fmac_f32_e32 v10, v18, v18
	v_fmac_f32_e32 v10, v32, v32
	;; [unrolled: 1-line block ×15, first 2 shown]
	s_nop 1
	v_mov_b32_dpp v11, v10 quad_perm:[1,0,3,2] row_mask:0xf bank_mask:0xf
	v_add_f32_e32 v10, v10, v11
	s_nop 1
	v_mov_b32_dpp v11, v10 quad_perm:[2,3,0,1] row_mask:0xf bank_mask:0xf
	v_add_f32_e32 v10, v10, v11
	s_nop 1
	v_mov_b32_dpp v11, v10 row_half_mirror row_mask:0xf bank_mask:0xf
	v_add_f32_e32 v10, v10, v11
	s_nop 1
	v_mov_b32_dpp v11, v10 row_mirror row_mask:0xf bank_mask:0xf
	v_add_f32_e32 v10, v10, v11
	s_nop 1
	v_mov_b32_dpp v11, v10 row_bcast:15 row_mask:0xf bank_mask:0xf
	v_add_f32_e32 v10, v10, v11
	s_nop 1
	v_mov_b32_dpp v11, v10 row_bcast:31 row_mask:0xf bank_mask:0xf
	s_and_saveexec_b64 s[0:1], s[8:9]
	s_cbranch_execz .LBB1012_36
; %bb.35:
	v_lshrrev_b32_e32 v0, 4, v0
	v_add_f32_e32 v10, v10, v11
	v_and_b32_e32 v0, 60, v0
	ds_write_b32 v0, v10
.LBB1012_36:
	s_or_b64 exec, exec, s[0:1]
	s_waitcnt lgkmcnt(0)
	s_barrier
	ds_read_b32 v0, v34
	s_waitcnt lgkmcnt(0)
	s_nop 0
	v_mov_b32_dpp v10, v0 quad_perm:[1,0,3,2] row_mask:0xf bank_mask:0xf
	v_add_f32_e32 v0, v0, v10
	s_nop 1
	v_mov_b32_dpp v10, v0 quad_perm:[2,3,0,1] row_mask:0xf bank_mask:0xf
	v_add_f32_e32 v0, v0, v10
	s_nop 1
	v_mov_b32_dpp v10, v0 row_half_mirror row_mask:0xf bank_mask:0xf
	s_and_saveexec_b64 s[0:1], vcc
	s_cbranch_execz .LBB1012_17
; %bb.37:
	v_cvt_f32_u32_e32 v11, s16
	v_add_f32_e32 v0, v0, v10
	s_mov_b32 s23, 0x20000
	v_div_scale_f32 v10, s[0:1], v11, v11, v0
	v_rcp_f32_e32 v12, v10
	v_div_scale_f32 v13, vcc, v0, v11, v0
	s_mov_b32 s0, 0x800000
	v_fma_f32 v14, -v10, v12, 1.0
	v_fmac_f32_e32 v12, v14, v12
	v_mul_f32_e32 v14, v13, v12
	v_fma_f32 v15, -v10, v14, v13
	v_fmac_f32_e32 v14, v15, v12
	v_fma_f32 v10, -v10, v14, v13
	v_div_fmas_f32 v10, v10, v12, v14
	v_div_fixup_f32 v0, v10, v11, v0
	v_add_f32_e32 v0, s13, v0
	v_mul_f32_e32 v10, 0x4b800000, v0
	v_cmp_gt_f32_e32 vcc, s0, v0
	v_cndmask_b32_e32 v0, v0, v10, vcc
	v_rsq_f32_e32 v0, v0
	s_mul_hi_i32 s1, s10, s6
	s_mul_i32 s0, s10, s6
	s_lshl_b64 s[0:1], s[0:1], 1
	v_mul_f32_e32 v10, 0x45800000, v0
	v_cndmask_b32_e32 v10, v0, v10, vcc
	v_mov_b32_e32 v11, v10
	;;#ASMSTART
	v_pk_mul_f32 v[12:13], v[18:19], v[10:11]
	;;#ASMEND
	;;#ASMSTART
	v_pk_mul_f32 v[14:15], v[32:33], v[10:11]
	;;#ASMEND
	;; [unrolled: 3-line block ×4, first 2 shown]
	s_waitcnt vmcnt(1)
	v_cvt_f32_u32_sdwa v29, v6 dst_sel:DWORD dst_unused:UNUSED_PAD src0_sel:WORD_1
	v_cvt_f32_u32_sdwa v28, v6 dst_sel:DWORD dst_unused:UNUSED_PAD src0_sel:WORD_0
	v_cvt_f32_u32_sdwa v31, v7 dst_sel:DWORD dst_unused:UNUSED_PAD src0_sel:WORD_1
	v_cvt_f32_u32_sdwa v30, v7 dst_sel:DWORD dst_unused:UNUSED_PAD src0_sel:WORD_0
	;;#ASMSTART
	v_pk_mul_f32 v[26:27], v[26:27], v[10:11]
	;;#ASMEND
	;;#ASMSTART
	v_pk_mul_f32 v[24:25], v[24:25], v[10:11]
	;;#ASMEND
	;; [unrolled: 3-line block ×4, first 2 shown]
	v_cvt_f32_u32_sdwa v21, v8 dst_sel:DWORD dst_unused:UNUSED_PAD src0_sel:WORD_1
	v_cvt_f32_u32_sdwa v20, v8 dst_sel:DWORD dst_unused:UNUSED_PAD src0_sel:WORD_0
	v_pk_add_f32 v[10:11], v[28:29], 1.0 op_sel_hi:[1,0]
	;;#ASMSTART
	v_pk_mul_f32 v[10:11], v[12:13], v[10:11]
	;;#ASMEND
	v_pk_add_f32 v[12:13], v[30:31], 1.0 op_sel_hi:[1,0]
	v_cvt_f32_u32_sdwa v29, v9 dst_sel:DWORD dst_unused:UNUSED_PAD src0_sel:WORD_1
	v_cvt_f32_u32_sdwa v28, v9 dst_sel:DWORD dst_unused:UNUSED_PAD src0_sel:WORD_0
	;;#ASMSTART
	v_pk_mul_f32 v[8:9], v[14:15], v[12:13]
	;;#ASMEND
	v_pk_add_f32 v[12:13], v[20:21], 1.0 op_sel_hi:[1,0]
	;;#ASMSTART
	v_pk_mul_f32 v[12:13], v[16:17], v[12:13]
	;;#ASMEND
	s_waitcnt vmcnt(0)
	v_cvt_f32_u32_sdwa v17, v2 dst_sel:DWORD dst_unused:UNUSED_PAD src0_sel:WORD_1
	v_cvt_f32_u32_sdwa v16, v2 dst_sel:DWORD dst_unused:UNUSED_PAD src0_sel:WORD_0
	v_cvt_f32_u32_sdwa v21, v3 dst_sel:DWORD dst_unused:UNUSED_PAD src0_sel:WORD_1
	v_cvt_f32_u32_sdwa v20, v3 dst_sel:DWORD dst_unused:UNUSED_PAD src0_sel:WORD_0
	v_pk_add_f32 v[14:15], v[28:29], 1.0 op_sel_hi:[1,0]
	;;#ASMSTART
	v_pk_mul_f32 v[14:15], v[18:19], v[14:15]
	;;#ASMEND
	v_pk_add_f32 v[2:3], v[16:17], 1.0 op_sel_hi:[1,0]
	v_cvt_f32_u32_sdwa v19, v4 dst_sel:DWORD dst_unused:UNUSED_PAD src0_sel:WORD_1
	v_cvt_f32_u32_sdwa v18, v4 dst_sel:DWORD dst_unused:UNUSED_PAD src0_sel:WORD_0
	;;#ASMSTART
	v_pk_mul_f32 v[16:17], v[26:27], v[2:3]
	;;#ASMEND
	v_pk_add_f32 v[2:3], v[20:21], 1.0 op_sel_hi:[1,0]
	v_cvt_f32_u32_sdwa v21, v5 dst_sel:DWORD dst_unused:UNUSED_PAD src0_sel:WORD_1
	v_cvt_f32_u32_sdwa v20, v5 dst_sel:DWORD dst_unused:UNUSED_PAD src0_sel:WORD_0
	s_add_u32 s20, s36, s0
	;;#ASMSTART
	v_pk_mul_f32 v[24:25], v[24:25], v[2:3]
	;;#ASMEND
	v_pk_add_f32 v[2:3], v[18:19], 1.0 op_sel_hi:[1,0]
	s_addc_u32 s0, s37, s1
	;;#ASMSTART
	v_pk_mul_f32 v[18:19], v[22:23], v[2:3]
	;;#ASMEND
	v_pk_add_f32 v[2:3], v[20:21], 1.0 op_sel_hi:[1,0]
	s_and_b32 s21, s0, 0xffff
	s_mov_b32 s0, 0x7060302
	;;#ASMSTART
	v_pk_mul_f32 v[6:7], v[6:7], v[2:3]
	;;#ASMEND
	v_perm_b32 v2, v11, v10, s0
	v_perm_b32 v3, v9, v8, s0
	;; [unrolled: 1-line block ×4, first 2 shown]
	buffer_store_dwordx4 v[2:5], v1, s[20:23], 0 offen
	;;#ASMSTART
	s_nop 0
	;;#ASMEND
	s_nop 0
	v_perm_b32 v2, v17, v16, s0
	v_perm_b32 v3, v25, v24, s0
	v_perm_b32 v4, v19, v18, s0
	v_perm_b32 v5, v7, v6, s0
	buffer_store_dwordx4 v[2:5], v1, s[20:23], 16 offen
	;;#ASMSTART
	s_nop 0
	;;#ASMEND
	s_endpgm
	.section	.rodata,"a",@progbits
	.p2align	6, 0x0
	.amdhsa_kernel _ZN5aiter35fused_qk_rmsnorm_group_quant_kernelItN4opus5fp4_tELi512ELi16ELi2ELb1ELb0ELb1ELb0ELb0ELb0EEEvPT0_PvPT_S7_S7_PKS6_S9_S9_S9_S9_ffiiiiiiiiiiiii
		.amdhsa_group_segment_fixed_size 64
		.amdhsa_private_segment_fixed_size 0
		.amdhsa_kernarg_size 400
		.amdhsa_user_sgpr_count 6
		.amdhsa_user_sgpr_private_segment_buffer 1
		.amdhsa_user_sgpr_dispatch_ptr 0
		.amdhsa_user_sgpr_queue_ptr 0
		.amdhsa_user_sgpr_kernarg_segment_ptr 1
		.amdhsa_user_sgpr_dispatch_id 0
		.amdhsa_user_sgpr_flat_scratch_init 0
		.amdhsa_user_sgpr_kernarg_preload_length 0
		.amdhsa_user_sgpr_kernarg_preload_offset 0
		.amdhsa_user_sgpr_private_segment_size 0
		.amdhsa_uses_dynamic_stack 0
		.amdhsa_system_sgpr_private_segment_wavefront_offset 0
		.amdhsa_system_sgpr_workgroup_id_x 1
		.amdhsa_system_sgpr_workgroup_id_y 1
		.amdhsa_system_sgpr_workgroup_id_z 0
		.amdhsa_system_sgpr_workgroup_info 0
		.amdhsa_system_vgpr_workitem_id 0
		.amdhsa_next_free_vgpr 76
		.amdhsa_next_free_sgpr 40
		.amdhsa_accum_offset 76
		.amdhsa_reserve_vcc 1
		.amdhsa_reserve_flat_scratch 0
		.amdhsa_float_round_mode_32 0
		.amdhsa_float_round_mode_16_64 0
		.amdhsa_float_denorm_mode_32 3
		.amdhsa_float_denorm_mode_16_64 3
		.amdhsa_dx10_clamp 1
		.amdhsa_ieee_mode 1
		.amdhsa_fp16_overflow 0
		.amdhsa_tg_split 0
		.amdhsa_exception_fp_ieee_invalid_op 0
		.amdhsa_exception_fp_denorm_src 0
		.amdhsa_exception_fp_ieee_div_zero 0
		.amdhsa_exception_fp_ieee_overflow 0
		.amdhsa_exception_fp_ieee_underflow 0
		.amdhsa_exception_fp_ieee_inexact 0
		.amdhsa_exception_int_div_zero 0
	.end_amdhsa_kernel
	.section	.text._ZN5aiter35fused_qk_rmsnorm_group_quant_kernelItN4opus5fp4_tELi512ELi16ELi2ELb1ELb0ELb1ELb0ELb0ELb0EEEvPT0_PvPT_S7_S7_PKS6_S9_S9_S9_S9_ffiiiiiiiiiiiii,"axG",@progbits,_ZN5aiter35fused_qk_rmsnorm_group_quant_kernelItN4opus5fp4_tELi512ELi16ELi2ELb1ELb0ELb1ELb0ELb0ELb0EEEvPT0_PvPT_S7_S7_PKS6_S9_S9_S9_S9_ffiiiiiiiiiiiii,comdat
.Lfunc_end1012:
	.size	_ZN5aiter35fused_qk_rmsnorm_group_quant_kernelItN4opus5fp4_tELi512ELi16ELi2ELb1ELb0ELb1ELb0ELb0ELb0EEEvPT0_PvPT_S7_S7_PKS6_S9_S9_S9_S9_ffiiiiiiiiiiiii, .Lfunc_end1012-_ZN5aiter35fused_qk_rmsnorm_group_quant_kernelItN4opus5fp4_tELi512ELi16ELi2ELb1ELb0ELb1ELb0ELb0ELb0EEEvPT0_PvPT_S7_S7_PKS6_S9_S9_S9_S9_ffiiiiiiiiiiiii
                                        ; -- End function
	.section	.AMDGPU.csdata,"",@progbits
; Kernel info:
; codeLenInByte = 3920
; NumSgprs: 44
; NumVgprs: 76
; NumAgprs: 0
; TotalNumVgprs: 76
; ScratchSize: 0
; MemoryBound: 0
; FloatMode: 240
; IeeeMode: 1
; LDSByteSize: 64 bytes/workgroup (compile time only)
; SGPRBlocks: 5
; VGPRBlocks: 9
; NumSGPRsForWavesPerEU: 44
; NumVGPRsForWavesPerEU: 76
; AccumOffset: 76
; Occupancy: 6
; WaveLimiterHint : 0
; COMPUTE_PGM_RSRC2:SCRATCH_EN: 0
; COMPUTE_PGM_RSRC2:USER_SGPR: 6
; COMPUTE_PGM_RSRC2:TRAP_HANDLER: 0
; COMPUTE_PGM_RSRC2:TGID_X_EN: 1
; COMPUTE_PGM_RSRC2:TGID_Y_EN: 1
; COMPUTE_PGM_RSRC2:TGID_Z_EN: 0
; COMPUTE_PGM_RSRC2:TIDIG_COMP_CNT: 0
; COMPUTE_PGM_RSRC3_GFX90A:ACCUM_OFFSET: 18
; COMPUTE_PGM_RSRC3_GFX90A:TG_SPLIT: 0
	.section	.text._ZN5aiter35fused_qk_rmsnorm_group_quant_kernelIDF16_DB8_Li512ELi16ELi2ELb1ELb0ELb0ELb0ELb0ELb0EEEvPT0_PvPT_S6_S6_PKS5_S8_S8_S8_S8_ffiiiiiiiiiiiii,"axG",@progbits,_ZN5aiter35fused_qk_rmsnorm_group_quant_kernelIDF16_DB8_Li512ELi16ELi2ELb1ELb0ELb0ELb0ELb0ELb0EEEvPT0_PvPT_S6_S6_PKS5_S8_S8_S8_S8_ffiiiiiiiiiiiii,comdat
	.protected	_ZN5aiter35fused_qk_rmsnorm_group_quant_kernelIDF16_DB8_Li512ELi16ELi2ELb1ELb0ELb0ELb0ELb0ELb0EEEvPT0_PvPT_S6_S6_PKS5_S8_S8_S8_S8_ffiiiiiiiiiiiii ; -- Begin function _ZN5aiter35fused_qk_rmsnorm_group_quant_kernelIDF16_DB8_Li512ELi16ELi2ELb1ELb0ELb0ELb0ELb0ELb0EEEvPT0_PvPT_S6_S6_PKS5_S8_S8_S8_S8_ffiiiiiiiiiiiii
	.globl	_ZN5aiter35fused_qk_rmsnorm_group_quant_kernelIDF16_DB8_Li512ELi16ELi2ELb1ELb0ELb0ELb0ELb0ELb0EEEvPT0_PvPT_S6_S6_PKS5_S8_S8_S8_S8_ffiiiiiiiiiiiii
	.p2align	8
	.type	_ZN5aiter35fused_qk_rmsnorm_group_quant_kernelIDF16_DB8_Li512ELi16ELi2ELb1ELb0ELb0ELb0ELb0ELb0EEEvPT0_PvPT_S6_S6_PKS5_S8_S8_S8_S8_ffiiiiiiiiiiiii,@function
_ZN5aiter35fused_qk_rmsnorm_group_quant_kernelIDF16_DB8_Li512ELi16ELi2ELb1ELb0ELb0ELb0ELb0ELb0EEEvPT0_PvPT_S6_S6_PKS5_S8_S8_S8_S8_ffiiiiiiiiiiiii: ; @_ZN5aiter35fused_qk_rmsnorm_group_quant_kernelIDF16_DB8_Li512ELi16ELi2ELb1ELb0ELb0ELb0ELb0ELb0EEEvPT0_PvPT_S6_S6_PKS5_S8_S8_S8_S8_ffiiiiiiiiiiiii
; %bb.0:
	s_load_dwordx8 s[12:19], s[4:5], 0x50
	s_waitcnt lgkmcnt(0)
	s_cmp_ge_i32 s6, s14
	s_cbranch_scc1 .LBB1013_17
; %bb.1:
	s_cmp_lg_u32 s7, 0
	s_cselect_b64 s[10:11], -1, 0
	s_cmp_eq_u32 s7, 0
	s_cselect_b64 s[8:9], -1, 0
	s_and_b64 s[0:1], s[8:9], exec
	s_load_dwordx2 s[20:21], s[4:5], 0x48
	s_load_dwordx2 s[36:37], s[4:5], 0x30
	s_load_dwordx4 s[24:27], s[4:5], 0x70
	s_cselect_b32 s7, s15, s16
	s_add_i32 s0, s7, 1
	s_lshr_b32 s1, s0, 31
	s_add_i32 s0, s0, s1
	s_lshl_b32 s0, s0, 1
	v_lshlrev_b32_e32 v1, 4, v0
	s_and_b32 s30, s0, -4
	v_cmp_gt_i32_e64 s[0:1], s7, v1
	v_mov_b32_e32 v80, 0
	v_mov_b32_e32 v81, 0
	;; [unrolled: 1-line block ×16, first 2 shown]
	s_and_saveexec_b64 s[2:3], s[0:1]
	s_cbranch_execz .LBB1013_3
; %bb.2:
	s_load_dwordx2 s[22:23], s[4:5], 0x28
	s_load_dwordx2 s[28:29], s[4:5], 0x40
	s_and_b64 s[34:35], s[8:9], exec
	s_cselect_b32 s14, s17, s18
	s_mov_b32 s31, 0x20000
	s_waitcnt lgkmcnt(0)
	s_cselect_b32 s17, s23, s37
	s_cselect_b32 s27, s22, s36
	s_mul_hi_i32 s23, s14, s6
	s_mul_i32 s22, s14, s6
	s_lshl_b64 s[22:23], s[22:23], 1
	s_add_u32 s40, s27, s22
	s_addc_u32 s14, s17, s23
	s_and_b64 s[22:23], s[8:9], exec
	s_cselect_b32 s28, s28, s20
	s_cselect_b32 s17, s29, s21
	s_and_b32 s41, s14, 0xffff
	s_mov_b32 s42, s30
	s_mov_b32 s43, s31
	v_lshlrev_b32_e32 v2, 5, v0
	s_and_b32 s29, s17, 0xffff
	buffer_load_dwordx4 v[84:87], v2, s[40:43], 0 offen
	buffer_load_dwordx4 v[88:91], v2, s[40:43], 16 offen
	;; [unrolled: 1-line block ×4, first 2 shown]
.LBB1013_3:
	s_or_b64 exec, exec, s[2:3]
	s_load_dwordx2 s[34:35], s[4:5], 0x80
	s_and_b64 vcc, exec, s[10:11]
	s_cbranch_vccz .LBB1013_7
; %bb.4:
	v_mov_b32_e32 v93, 0
	v_mov_b32_e32 v92, 0
	;; [unrolled: 1-line block ×16, first 2 shown]
	s_and_saveexec_b64 s[2:3], s[0:1]
	s_cbranch_execz .LBB1013_6
; %bb.5:
	s_waitcnt vmcnt(3)
	v_cvt_f32_f16_sdwa v59, v84 dst_sel:DWORD dst_unused:UNUSED_PAD src0_sel:WORD_1
	v_cvt_f32_f16_e32 v58, v84
	v_cvt_f32_f16_sdwa v29, v85 dst_sel:DWORD dst_unused:UNUSED_PAD src0_sel:WORD_1
	v_cvt_f32_f16_e32 v28, v85
	;; [unrolled: 2-line block ×4, first 2 shown]
	s_waitcnt vmcnt(2)
	v_cvt_f32_f16_sdwa v69, v88 dst_sel:DWORD dst_unused:UNUSED_PAD src0_sel:WORD_1
	v_cvt_f32_f16_e32 v68, v88
	v_cvt_f32_f16_sdwa v41, v89 dst_sel:DWORD dst_unused:UNUSED_PAD src0_sel:WORD_1
	v_cvt_f32_f16_e32 v40, v89
	;; [unrolled: 2-line block ×4, first 2 shown]
.LBB1013_6:
	s_or_b64 exec, exec, s[2:3]
	s_cbranch_execz .LBB1013_8
	s_branch .LBB1013_11
.LBB1013_7:
                                        ; implicit-def: $vgpr26_vgpr27_vgpr28_vgpr29_vgpr30_vgpr31_vgpr32_vgpr33_vgpr34_vgpr35_vgpr36_vgpr37_vgpr38_vgpr39_vgpr40_vgpr41
                                        ; implicit-def: $vgpr58_vgpr59_vgpr60_vgpr61_vgpr62_vgpr63_vgpr64_vgpr65_vgpr66_vgpr67_vgpr68_vgpr69_vgpr70_vgpr71_vgpr72_vgpr73
                                        ; implicit-def: $vgpr42_vgpr43_vgpr44_vgpr45_vgpr46_vgpr47_vgpr48_vgpr49_vgpr50_vgpr51_vgpr52_vgpr53_vgpr54_vgpr55_vgpr56_vgpr57
                                        ; implicit-def: $vgpr12_vgpr13_vgpr14_vgpr15_vgpr16_vgpr17_vgpr18_vgpr19_vgpr20_vgpr21_vgpr22_vgpr23_vgpr24_vgpr25_vgpr26_vgpr27
                                        ; implicit-def: $vgpr93
                                        ; implicit-def: $vgpr60_vgpr61_vgpr62_vgpr63_vgpr64_vgpr65_vgpr66_vgpr67_vgpr68_vgpr69_vgpr70_vgpr71_vgpr72_vgpr73_vgpr74_vgpr75
                                        ; implicit-def: $vgpr30_vgpr31_vgpr32_vgpr33_vgpr34_vgpr35_vgpr36_vgpr37_vgpr38_vgpr39_vgpr40_vgpr41_vgpr42_vgpr43_vgpr44_vgpr45
                                        ; implicit-def: $vgpr2_vgpr3_vgpr4_vgpr5_vgpr6_vgpr7_vgpr8_vgpr9_vgpr10_vgpr11_vgpr12_vgpr13_vgpr14_vgpr15_vgpr16_vgpr17
.LBB1013_8:
	v_mov_b32_e32 v93, 0
	v_mov_b32_e32 v92, 0
	;; [unrolled: 1-line block ×16, first 2 shown]
	s_and_saveexec_b64 s[2:3], s[0:1]
	s_cbranch_execz .LBB1013_10
; %bb.9:
	s_load_dwordx2 s[22:23], s[4:5], 0x38
	s_mul_hi_i32 s29, s19, s6
	s_mul_i32 s28, s19, s6
	s_lshl_b64 s[28:29], s[28:29], 1
	s_mov_b32 s31, 0x20000
	s_waitcnt lgkmcnt(0)
	s_add_u32 s28, s22, s28
	s_addc_u32 s14, s23, s29
	s_and_b32 s29, s14, 0xffff
	v_lshlrev_b32_e32 v38, 5, v0
	buffer_load_dwordx4 v[6:9], v38, s[28:31], 16 offen
	buffer_load_dwordx4 v[10:13], v38, s[28:31], 0 offen
	s_waitcnt vmcnt(5)
	v_cvt_f32_f16_sdwa v19, v86 dst_sel:DWORD dst_unused:UNUSED_PAD src0_sel:WORD_1
	v_cvt_f32_f16_e32 v18, v86
	v_cvt_f32_f16_sdwa v25, v87 dst_sel:DWORD dst_unused:UNUSED_PAD src0_sel:WORD_1
	v_cvt_f32_f16_e32 v24, v87
	;; [unrolled: 2-line block ×4, first 2 shown]
	s_load_dwordx2 s[22:23], s[4:5], 0x20
	s_waitcnt vmcnt(4)
	v_cvt_f32_f16_sdwa v3, v88 dst_sel:DWORD dst_unused:UNUSED_PAD src0_sel:WORD_1
	v_cvt_f32_f16_e32 v2, v88
	v_cvt_f32_f16_sdwa v5, v89 dst_sel:DWORD dst_unused:UNUSED_PAD src0_sel:WORD_1
	v_cvt_f32_f16_e32 v4, v89
	;; [unrolled: 2-line block ×4, first 2 shown]
	s_mul_hi_i32 s29, s35, s6
	s_mul_i32 s28, s35, s6
	s_lshl_b64 s[28:29], s[28:29], 1
	s_waitcnt lgkmcnt(0)
	s_add_u32 s28, s22, s28
	s_addc_u32 s14, s23, s29
	s_and_b32 s29, s14, 0xffff
	s_waitcnt vmcnt(1)
	v_cvt_f32_f16_e32 v26, v6
	v_cvt_f32_f16_sdwa v27, v6 dst_sel:DWORD dst_unused:UNUSED_PAD src0_sel:WORD_1
	v_cvt_f32_f16_e32 v30, v7
	v_cvt_f32_f16_sdwa v31, v7 dst_sel:DWORD dst_unused:UNUSED_PAD src0_sel:WORD_1
	;; [unrolled: 2-line block ×4, first 2 shown]
	s_waitcnt vmcnt(0)
	v_cvt_f32_f16_e32 v6, v12
	v_cvt_f32_f16_sdwa v7, v12 dst_sel:DWORD dst_unused:UNUSED_PAD src0_sel:WORD_1
	v_cvt_f32_f16_e32 v8, v13
	v_cvt_f32_f16_sdwa v9, v13 dst_sel:DWORD dst_unused:UNUSED_PAD src0_sel:WORD_1
	;; [unrolled: 2-line block ×4, first 2 shown]
	v_pk_add_f32 v[46:47], v[18:19], v[6:7]
	v_pk_add_f32 v[18:19], v[24:25], v[8:9]
	v_cvt_f16_f32_e32 v6, v47
	v_cvt_f16_f32_e32 v7, v19
	;; [unrolled: 1-line block ×4, first 2 shown]
	v_pk_add_f32 v[28:29], v[22:23], v[10:11]
	v_pk_add_f32 v[58:59], v[20:21], v[36:37]
	v_pack_b32_f16 v9, v8, v7
	v_pack_b32_f16 v8, v12, v6
	v_cvt_f16_f32_e32 v6, v29
	v_cvt_f16_f32_e32 v7, v28
	v_cvt_f16_f32_e32 v10, v58
	v_pk_add_f32 v[92:93], v[16:17], v[34:35]
	v_pk_add_f32 v[14:15], v[14:15], v[32:33]
	v_pack_b32_f16 v7, v7, v6
	v_cvt_f16_f32_e32 v6, v59
	v_pk_add_f32 v[40:41], v[4:5], v[30:31]
	v_pk_add_f32 v[68:69], v[2:3], v[26:27]
	v_cvt_f16_f32_e32 v4, v40
	v_pack_b32_f16 v6, v10, v6
	buffer_store_dwordx4 v[6:9], v38, s[28:31], 0 offen
	v_cvt_f16_f32_e32 v5, v41
	v_cvt_f16_f32_e32 v6, v14
	;; [unrolled: 1-line block ×7, first 2 shown]
	v_pack_b32_f16 v7, v7, v8
	v_pack_b32_f16 v6, v6, v9
	;; [unrolled: 1-line block ×4, first 2 shown]
	;;#ASMSTART
	s_nop 0
	;;#ASMEND
	buffer_store_dwordx4 v[4:7], v38, s[28:31], 16 offen
	;;#ASMSTART
	s_nop 0
	;;#ASMEND
.LBB1013_10:
	s_or_b64 exec, exec, s[2:3]
.LBB1013_11:
	v_mul_f32_e32 v2, v59, v59
	v_fmac_f32_e32 v2, v58, v58
	v_fmac_f32_e32 v2, v28, v28
	;; [unrolled: 1-line block ×15, first 2 shown]
	s_nop 1
	v_mov_b32_dpp v3, v2 quad_perm:[1,0,3,2] row_mask:0xf bank_mask:0xf
	v_add_f32_e32 v2, v2, v3
	s_nop 1
	v_mov_b32_dpp v3, v2 quad_perm:[2,3,0,1] row_mask:0xf bank_mask:0xf
	v_add_f32_e32 v2, v2, v3
	s_nop 1
	v_mov_b32_dpp v3, v2 row_half_mirror row_mask:0xf bank_mask:0xf
	v_add_f32_e32 v2, v2, v3
	s_nop 1
	v_mov_b32_dpp v3, v2 row_mirror row_mask:0xf bank_mask:0xf
	v_add_f32_e32 v2, v2, v3
	s_nop 1
	v_mov_b32_dpp v3, v2 row_bcast:15 row_mask:0xf bank_mask:0xf
	v_add_f32_e32 v2, v2, v3
	v_and_b32_e32 v3, 63, v0
	v_cmp_eq_u32_e64 s[2:3], 63, v3
	s_nop 0
	v_mov_b32_dpp v3, v2 row_bcast:31 row_mask:0xf bank_mask:0xf
	s_and_saveexec_b64 s[22:23], s[2:3]
	s_cbranch_execz .LBB1013_13
; %bb.12:
	v_add_f32_e32 v2, v2, v3
	v_lshrrev_b32_e32 v3, 4, v0
	v_and_b32_e32 v3, 60, v3
	ds_write_b32 v3, v2 offset:32
.LBB1013_13:
	s_or_b64 exec, exec, s[22:23]
	v_and_b32_e32 v2, 7, v0
	v_lshlrev_b32_e32 v34, 2, v2
	s_waitcnt lgkmcnt(0)
	s_barrier
	ds_read_b32 v2, v34 offset:32
	s_load_dwordx2 s[38:39], s[4:5], 0x18
	s_waitcnt lgkmcnt(0)
	v_mov_b32_dpp v3, v2 quad_perm:[1,0,3,2] row_mask:0xf bank_mask:0xf
	v_add_f32_e32 v2, v2, v3
	s_nop 1
	v_mov_b32_dpp v3, v2 quad_perm:[2,3,0,1] row_mask:0xf bank_mask:0xf
	v_add_f32_e32 v2, v2, v3
	s_nop 1
	v_mov_b32_dpp v3, v2 row_half_mirror row_mask:0xf bank_mask:0xf
	s_and_saveexec_b64 s[22:23], s[0:1]
	s_cbranch_execnz .LBB1013_18
; %bb.14:
	s_or_b64 exec, exec, s[22:23]
	s_mov_b64 s[8:9], -1
	s_and_b64 vcc, exec, s[10:11]
	s_cbranch_vccnz .LBB1013_19
.LBB1013_15:
	s_andn2_b64 vcc, exec, s[8:9]
	s_cbranch_vccz .LBB1013_22
.LBB1013_16:
	s_cmp_lt_i32 s16, 1
	s_cbranch_scc0 .LBB1013_29
.LBB1013_17:
	s_endpgm
.LBB1013_18:
	v_add_f32_e32 v2, v2, v3
	v_cvt_f32_u32_e32 v3, s7
	s_mov_b32 s7, 0x800000
	s_waitcnt vmcnt(1)
	v_cvt_f32_f16_sdwa v21, v81 dst_sel:DWORD dst_unused:UNUSED_PAD src0_sel:WORD_1
	v_cvt_f32_f16_e32 v20, v81
	v_div_scale_f32 v4, s[28:29], v3, v3, v2
	v_rcp_f32_e32 v5, v4
	s_waitcnt vmcnt(0)
	v_cvt_f32_f16_sdwa v23, v77 dst_sel:DWORD dst_unused:UNUSED_PAD src0_sel:WORD_1
	v_cvt_f32_f16_e32 v22, v77
	v_cvt_f32_f16_sdwa v25, v78 dst_sel:DWORD dst_unused:UNUSED_PAD src0_sel:WORD_1
	v_fma_f32 v6, -v4, v5, 1.0
	v_fmac_f32_e32 v5, v6, v5
	v_div_scale_f32 v6, vcc, v2, v3, v2
	v_mul_f32_e32 v7, v6, v5
	v_fma_f32 v8, -v4, v7, v6
	v_fmac_f32_e32 v7, v8, v5
	v_fma_f32 v4, -v4, v7, v6
	v_div_fmas_f32 v4, v4, v5, v7
	v_div_fixup_f32 v2, v4, v3, v2
	v_mov_b32_e32 v3, s13
	v_mov_b32_e32 v4, s12
	v_cndmask_b32_e64 v3, v3, v4, s[8:9]
	v_add_f32_e32 v2, v3, v2
	v_mul_f32_e32 v3, 0x4b800000, v2
	v_cmp_gt_f32_e32 vcc, s7, v2
	v_cndmask_b32_e32 v2, v2, v3, vcc
	v_rsq_f32_e32 v2, v2
	v_cvt_f32_f16_e32 v24, v78
	v_cvt_f32_f16_sdwa v27, v79 dst_sel:DWORD dst_unused:UNUSED_PAD src0_sel:WORD_1
	v_cvt_f32_f16_e32 v26, v79
	v_mul_f32_e32 v3, 0x45800000, v2
	v_cndmask_b32_e32 v2, v2, v3, vcc
	v_mov_b32_e32 v3, v2
	;;#ASMSTART
	v_pk_mul_f32 v[4:5], v[58:59], v[2:3]
	;;#ASMEND
	;;#ASMSTART
	v_pk_mul_f32 v[6:7], v[28:29], v[2:3]
	;;#ASMEND
	;; [unrolled: 3-line block ×6, first 2 shown]
	v_cvt_f32_f16_sdwa v19, v80 dst_sel:DWORD dst_unused:UNUSED_PAD src0_sel:WORD_1
	v_cvt_f32_f16_e32 v18, v80
	;;#ASMSTART
	v_pk_mul_f32 v[14:15], v[14:15], v[2:3]
	;;#ASMEND
	;;#ASMSTART
	v_pk_mul_f32 v[2:3], v[92:93], v[2:3]
	;;#ASMEND
	;; [unrolled: 3-line block ×4, first 2 shown]
	v_cvt_f32_f16_sdwa v5, v82 dst_sel:DWORD dst_unused:UNUSED_PAD src0_sel:WORD_1
	v_cvt_f32_f16_e32 v4, v82
	v_cvt_f32_f16_sdwa v7, v83 dst_sel:DWORD dst_unused:UNUSED_PAD src0_sel:WORD_1
	v_cvt_f32_f16_e32 v6, v83
	;; [unrolled: 2-line block ×3, first 2 shown]
	;;#ASMSTART
	v_pk_mul_f32 v[46:47], v[8:9], v[4:5]
	;;#ASMEND
	;;#ASMSTART
	v_pk_mul_f32 v[18:19], v[10:11], v[6:7]
	;;#ASMEND
	;; [unrolled: 3-line block ×6, first 2 shown]
	s_or_b64 exec, exec, s[22:23]
	s_mov_b64 s[8:9], -1
	s_and_b64 vcc, exec, s[10:11]
	s_cbranch_vccz .LBB1013_15
.LBB1013_19:
	s_and_saveexec_b64 s[8:9], s[0:1]
	s_cbranch_execz .LBB1013_21
; %bb.20:
	v_cvt_f16_f32_e32 v2, v46
	v_cvt_f16_f32_e32 v3, v18
	;; [unrolled: 1-line block ×4, first 2 shown]
	s_mul_hi_i32 s11, s34, s6
	s_mul_i32 s10, s34, s6
	v_pack_b32_f16 v5, v3, v4
	v_pack_b32_f16 v4, v2, v6
	v_cvt_f16_f32_e32 v2, v28
	v_cvt_f16_f32_e32 v3, v29
	;; [unrolled: 1-line block ×3, first 2 shown]
	s_lshl_b64 s[10:11], s[10:11], 1
	s_add_u32 s28, s38, s10
	v_pack_b32_f16 v3, v2, v3
	v_cvt_f16_f32_e32 v2, v58
	s_addc_u32 s7, s39, s11
	s_and_b32 s29, s7, 0xffff
	s_mov_b32 s31, 0x20000
	v_pack_b32_f16 v2, v2, v6
	v_lshlrev_b32_e32 v6, 5, v0
	buffer_store_dwordx4 v[2:5], v6, s[28:31], 0 offen
	v_cvt_f16_f32_e32 v7, v15
	v_cvt_f16_f32_e32 v2, v14
	;; [unrolled: 1-line block ×4, first 2 shown]
	;;#ASMSTART
	s_nop 0
	;;#ASMEND
	v_pack_b32_f16 v5, v3, v4
	v_pack_b32_f16 v4, v2, v7
	v_cvt_f16_f32_e32 v2, v40
	v_cvt_f16_f32_e32 v3, v41
	;; [unrolled: 1-line block ×3, first 2 shown]
	v_pack_b32_f16 v3, v2, v3
	v_cvt_f16_f32_e32 v2, v68
	v_pack_b32_f16 v2, v2, v7
	buffer_store_dwordx4 v[2:5], v6, s[28:31], 16 offen
	;;#ASMSTART
	s_nop 0
	;;#ASMEND
.LBB1013_21:
	s_or_b64 exec, exec, s[8:9]
	s_cbranch_execnz .LBB1013_16
.LBB1013_22:
	v_mov_b32_e32 v2, 0
	s_and_saveexec_b64 s[8:9], s[0:1]
	s_cbranch_execz .LBB1013_24
; %bb.23:
	v_and_b32_e32 v2, 0x7fffffff, v58
	v_and_b32_e32 v3, 0x7fffffff, v59
	v_mov_b32_e32 v4, 0x2edbe6ff
	;;#ASMSTART
	v_max3_f32 v2, v4, v2, v3

	;;#ASMEND
	v_and_b32_e32 v3, 0x7fffffff, v28
	v_and_b32_e32 v4, 0x7fffffff, v29
	;;#ASMSTART
	v_max3_f32 v2, v2, v3, v4

	;;#ASMEND
	v_and_b32_e32 v3, 0x7fffffff, v46
	v_and_b32_e32 v4, 0x7fffffff, v47
	;; [unrolled: 6-line block ×7, first 2 shown]
	;;#ASMSTART
	v_max3_f32 v2, v2, v3, v4

	;;#ASMEND
.LBB1013_24:
	s_or_b64 exec, exec, s[8:9]
	;;#ASMSTART
	v_max_f32 v3, v2, v2 quad_perm:[1,0,3,2] row_mask:0xf bank_mask:0xf bound_ctrl:1
	;;#ASMEND
	v_mul_f32_e32 v2, 0x3b124925, v3
	v_and_b32_e32 v3, 1, v0
	v_cmp_eq_u32_e32 vcc, 0, v3
	v_cmp_gt_i32_e64 s[8:9], s15, v1
	s_and_b64 s[10:11], vcc, s[8:9]
	s_and_saveexec_b64 s[8:9], s[10:11]
	s_cbranch_execz .LBB1013_26
; %bb.25:
	s_load_dwordx2 s[10:11], s[4:5], 0x8
	s_mul_hi_i32 s23, s25, s6
	s_mul_i32 s22, s25, s6
	v_lshrrev_b32_e32 v3, 1, v0
	s_lshl_b64 s[22:23], s[22:23], 2
	v_mad_i64_i32 v[4:5], s[26:27], s26, v3, 0
	s_waitcnt lgkmcnt(0)
	s_add_u32 s7, s10, s22
	s_addc_u32 s10, s11, s23
	v_lshlrev_b64 v[4:5], 2, v[4:5]
	v_mov_b32_e32 v3, s10
	v_add_co_u32_e32 v4, vcc, s7, v4
	v_addc_co_u32_e32 v5, vcc, v3, v5, vcc
	global_store_dword v[4:5], v2, off
.LBB1013_26:
	s_or_b64 exec, exec, s[8:9]
	;;#ASMSTART
	v_rcp_f32 v2, v2
	;;#ASMEND
	s_and_saveexec_b64 s[22:23], s[0:1]
	s_cbranch_execz .LBB1013_28
; %bb.27:
	v_mov_b32_e32 v3, v2
	;;#ASMSTART
	v_pk_mul_f32 v[4:5], v[58:59], v[2:3]
	;;#ASMEND
	v_mov_b32_e32 v10, 0xc3e00000
	v_mov_b32_e32 v11, 0x43e00000
	;;#ASMSTART
	v_med3_f32 v4, v4, v10, v11
v_med3_f32 v5, v5, v10, v11
v_cvt_pk_fp8_f32 v6, v4, v5
	;;#ASMEND
	;;#ASMSTART
	v_pk_mul_f32 v[4:5], v[28:29], v[2:3]
	;;#ASMEND
	;;#ASMSTART
	v_med3_f32 v4, v4, v10, v11
v_med3_f32 v5, v5, v10, v11
v_cvt_pk_fp8_f32 v7, v4, v5
	;;#ASMEND
	;;#ASMSTART
	v_pk_mul_f32 v[4:5], v[46:47], v[2:3]
	;;#ASMEND
	;; [unrolled: 8-line block ×3, first 2 shown]
	;;#ASMSTART
	v_med3_f32 v4, v4, v10, v11
v_med3_f32 v5, v5, v10, v11
v_cvt_pk_fp8_f32 v9, v4, v5
	;;#ASMEND
	s_mov_b32 s0, 0x5040100
	v_perm_b32 v4, v7, v6, s0
	s_mov_b32 s0, 0x1060504
	v_perm_b32 v4, v4, v7, s0
	s_load_dwordx2 s[0:1], s[4:5], 0x0
	s_mov_b32 s7, 0x1000504
	;;#ASMSTART
	v_pk_mul_f32 v[6:7], v[68:69], v[2:3]
	;;#ASMEND
	v_perm_b32 v5, v8, v9, s7
	s_mul_i32 s8, s24, s6
	;;#ASMSTART
	v_med3_f32 v6, v6, v10, v11
v_med3_f32 v7, v7, v10, v11
v_cvt_pk_fp8_f32 v8, v6, v7
	;;#ASMEND
	s_mul_hi_i32 s9, s24, s6
	s_waitcnt lgkmcnt(0)
	s_add_u32 s8, s0, s8
	;;#ASMSTART
	v_pk_mul_f32 v[6:7], v[40:41], v[2:3]
	;;#ASMEND
	s_addc_u32 s0, s1, s9
	s_add_i32 s1, s15, 3
	;;#ASMSTART
	v_med3_f32 v6, v6, v10, v11
v_med3_f32 v7, v7, v10, v11
v_cvt_pk_fp8_f32 v9, v6, v7
	;;#ASMEND
	s_ashr_i32 s9, s1, 31
	v_perm_b32 v6, v8, v9, s7
	;;#ASMSTART
	v_pk_mul_f32 v[8:9], v[14:15], v[2:3]
	;;#ASMEND
	v_mov_b32_e32 v7, v9
	s_lshr_b32 s9, s9, 30
	;;#ASMSTART
	v_med3_f32 v8, v8, v10, v11
v_med3_f32 v7, v7, v10, v11
v_cvt_pk_fp8_f32 v9, v8, v7
	;;#ASMEND
	;;#ASMSTART
	v_pk_mul_f32 v[2:3], v[92:93], v[2:3]
	;;#ASMEND
	s_add_i32 s1, s1, s9
	;;#ASMSTART
	v_med3_f32 v2, v2, v10, v11
v_med3_f32 v3, v3, v10, v11
v_cvt_pk_fp8_f32 v7, v2, v3
	;;#ASMEND
	s_and_b32 s10, s1, -4
	s_and_b32 s9, s0, 0xffff
	s_mov_b32 s11, 0x20000
	v_perm_b32 v7, v9, v7, s7
	buffer_store_dwordx4 v[4:7], v1, s[8:11], 0 offen
	;;#ASMSTART
	s_nop 0
	;;#ASMEND
.LBB1013_28:
	s_or_b64 exec, exec, s[22:23]
	s_cmp_lt_i32 s16, 1
	s_cbranch_scc1 .LBB1013_17
.LBB1013_29:
	s_load_dword s0, s[4:5], 0x94
	s_waitcnt lgkmcnt(0)
	s_cmp_lg_u32 s0, 1
	s_cbranch_scc1 .LBB1013_17
; %bb.30:
	s_lshl_b32 s0, s16, 1
	s_add_i32 s0, s0, 2
	v_cmp_gt_u32_e32 vcc, s16, v1
	s_and_b32 s22, s0, -4
	v_mov_b32_e32 v18, 0
	v_lshlrev_b32_e32 v1, 5, v0
	v_mov_b32_e32 v14, 0
	v_mov_b32_e32 v15, 0
	;; [unrolled: 1-line block ×16, first 2 shown]
	s_barrier
	s_and_saveexec_b64 s[0:1], vcc
	s_cbranch_execz .LBB1013_32
; %bb.31:
	s_mul_hi_i32 s5, s18, s6
	s_mul_i32 s4, s18, s6
	s_and_b32 s21, s21, 0xffff
	s_lshl_b64 s[4:5], s[4:5], 1
	s_add_u32 s8, s36, s4
	s_mov_b32 s23, 0x20000
	s_addc_u32 s4, s37, s5
	s_and_b32 s9, s4, 0xffff
	s_mov_b32 s10, s22
	s_mov_b32 s11, s23
	buffer_load_dwordx4 v[14:17], v1, s[8:11], 0 offen
	buffer_load_dwordx4 v[10:13], v1, s[8:11], 16 offen
	;; [unrolled: 1-line block ×4, first 2 shown]
.LBB1013_32:
	s_or_b64 exec, exec, s[0:1]
	v_mov_b32_e32 v19, 0
	v_mov_b32_e32 v32, 0
	;; [unrolled: 1-line block ×15, first 2 shown]
	s_and_saveexec_b64 s[0:1], vcc
	s_cbranch_execz .LBB1013_34
; %bb.33:
	s_waitcnt vmcnt(3)
	v_cvt_f32_f16_sdwa v19, v14 dst_sel:DWORD dst_unused:UNUSED_PAD src0_sel:WORD_1
	v_cvt_f32_f16_e32 v18, v14
	v_cvt_f32_f16_sdwa v33, v15 dst_sel:DWORD dst_unused:UNUSED_PAD src0_sel:WORD_1
	v_cvt_f32_f16_e32 v32, v15
	;; [unrolled: 2-line block ×4, first 2 shown]
	s_waitcnt vmcnt(2)
	v_cvt_f32_f16_sdwa v27, v10 dst_sel:DWORD dst_unused:UNUSED_PAD src0_sel:WORD_1
	v_cvt_f32_f16_e32 v26, v10
	v_cvt_f32_f16_sdwa v25, v11 dst_sel:DWORD dst_unused:UNUSED_PAD src0_sel:WORD_1
	v_cvt_f32_f16_e32 v24, v11
	;; [unrolled: 2-line block ×4, first 2 shown]
.LBB1013_34:
	s_or_b64 exec, exec, s[0:1]
	s_waitcnt vmcnt(2)
	v_mul_f32_e32 v10, v19, v19
	v_fmac_f32_e32 v10, v18, v18
	v_fmac_f32_e32 v10, v32, v32
	;; [unrolled: 1-line block ×15, first 2 shown]
	s_nop 1
	v_mov_b32_dpp v11, v10 quad_perm:[1,0,3,2] row_mask:0xf bank_mask:0xf
	v_add_f32_e32 v10, v10, v11
	s_nop 1
	v_mov_b32_dpp v11, v10 quad_perm:[2,3,0,1] row_mask:0xf bank_mask:0xf
	v_add_f32_e32 v10, v10, v11
	s_nop 1
	v_mov_b32_dpp v11, v10 row_half_mirror row_mask:0xf bank_mask:0xf
	v_add_f32_e32 v10, v10, v11
	s_nop 1
	v_mov_b32_dpp v11, v10 row_mirror row_mask:0xf bank_mask:0xf
	v_add_f32_e32 v10, v10, v11
	s_nop 1
	v_mov_b32_dpp v11, v10 row_bcast:15 row_mask:0xf bank_mask:0xf
	v_add_f32_e32 v10, v10, v11
	s_nop 1
	v_mov_b32_dpp v11, v10 row_bcast:31 row_mask:0xf bank_mask:0xf
	s_and_saveexec_b64 s[0:1], s[2:3]
	s_cbranch_execz .LBB1013_36
; %bb.35:
	v_lshrrev_b32_e32 v0, 4, v0
	v_add_f32_e32 v10, v10, v11
	v_and_b32_e32 v0, 60, v0
	ds_write_b32 v0, v10
.LBB1013_36:
	s_or_b64 exec, exec, s[0:1]
	s_waitcnt lgkmcnt(0)
	s_barrier
	ds_read_b32 v0, v34
	s_waitcnt lgkmcnt(0)
	s_nop 0
	v_mov_b32_dpp v10, v0 quad_perm:[1,0,3,2] row_mask:0xf bank_mask:0xf
	v_add_f32_e32 v0, v0, v10
	s_nop 1
	v_mov_b32_dpp v10, v0 quad_perm:[2,3,0,1] row_mask:0xf bank_mask:0xf
	v_add_f32_e32 v0, v0, v10
	s_nop 1
	v_mov_b32_dpp v10, v0 row_half_mirror row_mask:0xf bank_mask:0xf
	s_and_saveexec_b64 s[0:1], vcc
	s_cbranch_execz .LBB1013_17
; %bb.37:
	v_cvt_f32_u32_e32 v11, s16
	v_add_f32_e32 v0, v0, v10
	s_mov_b32 s23, 0x20000
	v_div_scale_f32 v10, s[0:1], v11, v11, v0
	v_rcp_f32_e32 v12, v10
	v_div_scale_f32 v13, vcc, v0, v11, v0
	s_mov_b32 s0, 0x800000
	v_fma_f32 v14, -v10, v12, 1.0
	v_fmac_f32_e32 v12, v14, v12
	v_mul_f32_e32 v14, v13, v12
	v_fma_f32 v15, -v10, v14, v13
	v_fmac_f32_e32 v14, v15, v12
	v_fma_f32 v10, -v10, v14, v13
	v_div_fmas_f32 v10, v10, v12, v14
	v_div_fixup_f32 v0, v10, v11, v0
	v_add_f32_e32 v0, s13, v0
	v_mul_f32_e32 v10, 0x4b800000, v0
	v_cmp_gt_f32_e32 vcc, s0, v0
	v_cndmask_b32_e32 v0, v0, v10, vcc
	v_rsq_f32_e32 v0, v0
	s_mul_hi_i32 s1, s34, s6
	s_mul_i32 s0, s34, s6
	s_lshl_b64 s[0:1], s[0:1], 1
	v_mul_f32_e32 v10, 0x45800000, v0
	v_cndmask_b32_e32 v10, v0, v10, vcc
	v_mov_b32_e32 v11, v10
	;;#ASMSTART
	v_pk_mul_f32 v[12:13], v[18:19], v[10:11]
	;;#ASMEND
	;;#ASMSTART
	v_pk_mul_f32 v[14:15], v[32:33], v[10:11]
	;;#ASMEND
	;;#ASMSTART
	v_pk_mul_f32 v[16:17], v[30:31], v[10:11]
	;;#ASMEND
	;;#ASMSTART
	v_pk_mul_f32 v[18:19], v[28:29], v[10:11]
	;;#ASMEND
	;;#ASMSTART
	v_pk_mul_f32 v[26:27], v[26:27], v[10:11]
	;;#ASMEND
	;;#ASMSTART
	v_pk_mul_f32 v[24:25], v[24:25], v[10:11]
	;;#ASMEND
	;;#ASMSTART
	v_pk_mul_f32 v[22:23], v[22:23], v[10:11]
	;;#ASMEND
	;;#ASMSTART
	v_pk_mul_f32 v[10:11], v[20:21], v[10:11]
	;;#ASMEND
	s_waitcnt vmcnt(1)
	v_cvt_f32_f16_sdwa v21, v6 dst_sel:DWORD dst_unused:UNUSED_PAD src0_sel:WORD_1
	v_cvt_f32_f16_e32 v20, v6
	v_cvt_f32_f16_sdwa v29, v7 dst_sel:DWORD dst_unused:UNUSED_PAD src0_sel:WORD_1
	v_cvt_f32_f16_e32 v28, v7
	;; [unrolled: 2-line block ×4, first 2 shown]
	;;#ASMSTART
	v_pk_mul_f32 v[8:9], v[12:13], v[20:21]
	;;#ASMEND
	;;#ASMSTART
	v_pk_mul_f32 v[12:13], v[14:15], v[28:29]
	;;#ASMEND
	;; [unrolled: 3-line block ×4, first 2 shown]
	s_waitcnt vmcnt(0)
	v_cvt_f32_f16_sdwa v17, v2 dst_sel:DWORD dst_unused:UNUSED_PAD src0_sel:WORD_1
	v_cvt_f32_f16_e32 v16, v2
	v_cvt_f32_f16_sdwa v19, v3 dst_sel:DWORD dst_unused:UNUSED_PAD src0_sel:WORD_1
	v_cvt_f32_f16_e32 v18, v3
	;; [unrolled: 2-line block ×4, first 2 shown]
	;;#ASMSTART
	v_pk_mul_f32 v[16:17], v[26:27], v[16:17]
	;;#ASMEND
	;;#ASMSTART
	v_pk_mul_f32 v[18:19], v[24:25], v[18:19]
	;;#ASMEND
	;; [unrolled: 3-line block ×3, first 2 shown]
	v_cvt_f16_f32_e32 v0, v8
	v_cvt_f16_f32_e32 v2, v9
	;; [unrolled: 1-line block ×8, first 2 shown]
	s_add_u32 s20, s38, s0
	s_addc_u32 s0, s39, s1
	s_and_b32 s21, s0, 0xffff
	v_pack_b32_f16 v2, v0, v2
	v_pack_b32_f16 v3, v3, v4
	;; [unrolled: 1-line block ×4, first 2 shown]
	;;#ASMSTART
	v_pk_mul_f32 v[10:11], v[10:11], v[20:21]
	;;#ASMEND
	buffer_store_dwordx4 v[2:5], v1, s[20:23], 0 offen
	v_cvt_f16_f32_e32 v0, v16
	v_cvt_f16_f32_e32 v2, v17
	;; [unrolled: 1-line block ×8, first 2 shown]
	v_pack_b32_f16 v2, v0, v2
	v_pack_b32_f16 v3, v3, v4
	;; [unrolled: 1-line block ×4, first 2 shown]
	;;#ASMSTART
	s_nop 0
	;;#ASMEND
	buffer_store_dwordx4 v[2:5], v1, s[20:23], 16 offen
	;;#ASMSTART
	s_nop 0
	;;#ASMEND
	s_endpgm
	.section	.rodata,"a",@progbits
	.p2align	6, 0x0
	.amdhsa_kernel _ZN5aiter35fused_qk_rmsnorm_group_quant_kernelIDF16_DB8_Li512ELi16ELi2ELb1ELb0ELb0ELb0ELb0ELb0EEEvPT0_PvPT_S6_S6_PKS5_S8_S8_S8_S8_ffiiiiiiiiiiiii
		.amdhsa_group_segment_fixed_size 64
		.amdhsa_private_segment_fixed_size 0
		.amdhsa_kernarg_size 400
		.amdhsa_user_sgpr_count 6
		.amdhsa_user_sgpr_private_segment_buffer 1
		.amdhsa_user_sgpr_dispatch_ptr 0
		.amdhsa_user_sgpr_queue_ptr 0
		.amdhsa_user_sgpr_kernarg_segment_ptr 1
		.amdhsa_user_sgpr_dispatch_id 0
		.amdhsa_user_sgpr_flat_scratch_init 0
		.amdhsa_user_sgpr_kernarg_preload_length 0
		.amdhsa_user_sgpr_kernarg_preload_offset 0
		.amdhsa_user_sgpr_private_segment_size 0
		.amdhsa_uses_dynamic_stack 0
		.amdhsa_system_sgpr_private_segment_wavefront_offset 0
		.amdhsa_system_sgpr_workgroup_id_x 1
		.amdhsa_system_sgpr_workgroup_id_y 1
		.amdhsa_system_sgpr_workgroup_id_z 0
		.amdhsa_system_sgpr_workgroup_info 0
		.amdhsa_system_vgpr_workitem_id 0
		.amdhsa_next_free_vgpr 94
		.amdhsa_next_free_sgpr 44
		.amdhsa_accum_offset 96
		.amdhsa_reserve_vcc 1
		.amdhsa_reserve_flat_scratch 0
		.amdhsa_float_round_mode_32 0
		.amdhsa_float_round_mode_16_64 0
		.amdhsa_float_denorm_mode_32 3
		.amdhsa_float_denorm_mode_16_64 3
		.amdhsa_dx10_clamp 1
		.amdhsa_ieee_mode 1
		.amdhsa_fp16_overflow 0
		.amdhsa_tg_split 0
		.amdhsa_exception_fp_ieee_invalid_op 0
		.amdhsa_exception_fp_denorm_src 0
		.amdhsa_exception_fp_ieee_div_zero 0
		.amdhsa_exception_fp_ieee_overflow 0
		.amdhsa_exception_fp_ieee_underflow 0
		.amdhsa_exception_fp_ieee_inexact 0
		.amdhsa_exception_int_div_zero 0
	.end_amdhsa_kernel
	.section	.text._ZN5aiter35fused_qk_rmsnorm_group_quant_kernelIDF16_DB8_Li512ELi16ELi2ELb1ELb0ELb0ELb0ELb0ELb0EEEvPT0_PvPT_S6_S6_PKS5_S8_S8_S8_S8_ffiiiiiiiiiiiii,"axG",@progbits,_ZN5aiter35fused_qk_rmsnorm_group_quant_kernelIDF16_DB8_Li512ELi16ELi2ELb1ELb0ELb0ELb0ELb0ELb0EEEvPT0_PvPT_S6_S6_PKS5_S8_S8_S8_S8_ffiiiiiiiiiiiii,comdat
.Lfunc_end1013:
	.size	_ZN5aiter35fused_qk_rmsnorm_group_quant_kernelIDF16_DB8_Li512ELi16ELi2ELb1ELb0ELb0ELb0ELb0ELb0EEEvPT0_PvPT_S6_S6_PKS5_S8_S8_S8_S8_ffiiiiiiiiiiiii, .Lfunc_end1013-_ZN5aiter35fused_qk_rmsnorm_group_quant_kernelIDF16_DB8_Li512ELi16ELi2ELb1ELb0ELb0ELb0ELb0ELb0EEEvPT0_PvPT_S6_S6_PKS5_S8_S8_S8_S8_ffiiiiiiiiiiiii
                                        ; -- End function
	.section	.AMDGPU.csdata,"",@progbits
; Kernel info:
; codeLenInByte = 4056
; NumSgprs: 48
; NumVgprs: 94
; NumAgprs: 0
; TotalNumVgprs: 94
; ScratchSize: 0
; MemoryBound: 0
; FloatMode: 240
; IeeeMode: 1
; LDSByteSize: 64 bytes/workgroup (compile time only)
; SGPRBlocks: 5
; VGPRBlocks: 11
; NumSGPRsForWavesPerEU: 48
; NumVGPRsForWavesPerEU: 94
; AccumOffset: 96
; Occupancy: 5
; WaveLimiterHint : 0
; COMPUTE_PGM_RSRC2:SCRATCH_EN: 0
; COMPUTE_PGM_RSRC2:USER_SGPR: 6
; COMPUTE_PGM_RSRC2:TRAP_HANDLER: 0
; COMPUTE_PGM_RSRC2:TGID_X_EN: 1
; COMPUTE_PGM_RSRC2:TGID_Y_EN: 1
; COMPUTE_PGM_RSRC2:TGID_Z_EN: 0
; COMPUTE_PGM_RSRC2:TIDIG_COMP_CNT: 0
; COMPUTE_PGM_RSRC3_GFX90A:ACCUM_OFFSET: 23
; COMPUTE_PGM_RSRC3_GFX90A:TG_SPLIT: 0
	.section	.text._ZN5aiter35fused_qk_rmsnorm_group_quant_kernelItDB8_Li512ELi16ELi2ELb1ELb0ELb0ELb0ELb0ELb0EEEvPT0_PvPT_S6_S6_PKS5_S8_S8_S8_S8_ffiiiiiiiiiiiii,"axG",@progbits,_ZN5aiter35fused_qk_rmsnorm_group_quant_kernelItDB8_Li512ELi16ELi2ELb1ELb0ELb0ELb0ELb0ELb0EEEvPT0_PvPT_S6_S6_PKS5_S8_S8_S8_S8_ffiiiiiiiiiiiii,comdat
	.protected	_ZN5aiter35fused_qk_rmsnorm_group_quant_kernelItDB8_Li512ELi16ELi2ELb1ELb0ELb0ELb0ELb0ELb0EEEvPT0_PvPT_S6_S6_PKS5_S8_S8_S8_S8_ffiiiiiiiiiiiii ; -- Begin function _ZN5aiter35fused_qk_rmsnorm_group_quant_kernelItDB8_Li512ELi16ELi2ELb1ELb0ELb0ELb0ELb0ELb0EEEvPT0_PvPT_S6_S6_PKS5_S8_S8_S8_S8_ffiiiiiiiiiiiii
	.globl	_ZN5aiter35fused_qk_rmsnorm_group_quant_kernelItDB8_Li512ELi16ELi2ELb1ELb0ELb0ELb0ELb0ELb0EEEvPT0_PvPT_S6_S6_PKS5_S8_S8_S8_S8_ffiiiiiiiiiiiii
	.p2align	8
	.type	_ZN5aiter35fused_qk_rmsnorm_group_quant_kernelItDB8_Li512ELi16ELi2ELb1ELb0ELb0ELb0ELb0ELb0EEEvPT0_PvPT_S6_S6_PKS5_S8_S8_S8_S8_ffiiiiiiiiiiiii,@function
_ZN5aiter35fused_qk_rmsnorm_group_quant_kernelItDB8_Li512ELi16ELi2ELb1ELb0ELb0ELb0ELb0ELb0EEEvPT0_PvPT_S6_S6_PKS5_S8_S8_S8_S8_ffiiiiiiiiiiiii: ; @_ZN5aiter35fused_qk_rmsnorm_group_quant_kernelItDB8_Li512ELi16ELi2ELb1ELb0ELb0ELb0ELb0ELb0EEEvPT0_PvPT_S6_S6_PKS5_S8_S8_S8_S8_ffiiiiiiiiiiiii
; %bb.0:
	s_load_dwordx8 s[12:19], s[4:5], 0x50
	s_waitcnt lgkmcnt(0)
	s_cmp_ge_i32 s6, s14
	s_cbranch_scc1 .LBB1014_17
; %bb.1:
	s_cmp_lg_u32 s7, 0
	s_cselect_b64 s[10:11], -1, 0
	s_cmp_eq_u32 s7, 0
	s_cselect_b64 s[8:9], -1, 0
	s_and_b64 s[0:1], s[8:9], exec
	s_load_dwordx2 s[20:21], s[4:5], 0x48
	s_load_dwordx2 s[36:37], s[4:5], 0x30
	s_load_dwordx4 s[24:27], s[4:5], 0x70
	s_cselect_b32 s7, s15, s16
	s_add_i32 s0, s7, 1
	s_lshr_b32 s1, s0, 31
	s_add_i32 s0, s0, s1
	s_lshl_b32 s0, s0, 1
	v_lshlrev_b32_e32 v1, 4, v0
	s_and_b32 s30, s0, -4
	v_cmp_gt_i32_e64 s[0:1], s7, v1
	v_mov_b32_e32 v82, 0
	v_mov_b32_e32 v83, 0
	;; [unrolled: 1-line block ×16, first 2 shown]
	s_and_saveexec_b64 s[2:3], s[0:1]
	s_cbranch_execz .LBB1014_3
; %bb.2:
	s_load_dwordx2 s[22:23], s[4:5], 0x28
	s_load_dwordx2 s[28:29], s[4:5], 0x40
	s_and_b64 s[34:35], s[8:9], exec
	s_cselect_b32 s14, s17, s18
	s_mov_b32 s31, 0x20000
	s_waitcnt lgkmcnt(0)
	s_cselect_b32 s17, s23, s37
	s_cselect_b32 s27, s22, s36
	s_mul_hi_i32 s23, s14, s6
	s_mul_i32 s22, s14, s6
	s_lshl_b64 s[22:23], s[22:23], 1
	s_add_u32 s40, s27, s22
	s_addc_u32 s14, s17, s23
	s_and_b64 s[22:23], s[8:9], exec
	s_cselect_b32 s28, s28, s20
	s_cselect_b32 s17, s29, s21
	s_and_b32 s41, s14, 0xffff
	s_mov_b32 s42, s30
	s_mov_b32 s43, s31
	v_lshlrev_b32_e32 v2, 5, v0
	s_and_b32 s29, s17, 0xffff
	buffer_load_dwordx4 v[86:89], v2, s[40:43], 0 offen
	buffer_load_dwordx4 v[90:93], v2, s[40:43], 16 offen
	;; [unrolled: 1-line block ×4, first 2 shown]
.LBB1014_3:
	s_or_b64 exec, exec, s[2:3]
	s_load_dwordx2 s[34:35], s[4:5], 0x80
	s_and_b64 vcc, exec, s[10:11]
	s_cbranch_vccz .LBB1014_7
; %bb.4:
	v_mov_b32_e32 v95, 0
	v_mov_b32_e32 v94, 0
	;; [unrolled: 1-line block ×16, first 2 shown]
	s_and_saveexec_b64 s[2:3], s[0:1]
	s_cbranch_execz .LBB1014_6
; %bb.5:
	s_waitcnt vmcnt(3)
	v_cvt_f32_u32_sdwa v62, v86 dst_sel:DWORD dst_unused:UNUSED_PAD src0_sel:WORD_0
	v_cvt_f32_u32_sdwa v63, v86 dst_sel:DWORD dst_unused:UNUSED_PAD src0_sel:WORD_1
	v_cvt_f32_u32_sdwa v24, v87 dst_sel:DWORD dst_unused:UNUSED_PAD src0_sel:WORD_0
	v_cvt_f32_u32_sdwa v25, v87 dst_sel:DWORD dst_unused:UNUSED_PAD src0_sel:WORD_1
	;; [unrolled: 2-line block ×4, first 2 shown]
	s_waitcnt vmcnt(2)
	v_cvt_f32_u32_sdwa v42, v90 dst_sel:DWORD dst_unused:UNUSED_PAD src0_sel:WORD_0
	v_cvt_f32_u32_sdwa v43, v90 dst_sel:DWORD dst_unused:UNUSED_PAD src0_sel:WORD_1
	v_cvt_f32_u32_sdwa v18, v91 dst_sel:DWORD dst_unused:UNUSED_PAD src0_sel:WORD_0
	v_cvt_f32_u32_sdwa v19, v91 dst_sel:DWORD dst_unused:UNUSED_PAD src0_sel:WORD_1
	;; [unrolled: 2-line block ×4, first 2 shown]
.LBB1014_6:
	s_or_b64 exec, exec, s[2:3]
	s_cbranch_execz .LBB1014_8
	s_branch .LBB1014_11
.LBB1014_7:
                                        ; implicit-def: $vgpr22_vgpr23_vgpr24_vgpr25_vgpr26_vgpr27_vgpr28_vgpr29_vgpr30_vgpr31_vgpr32_vgpr33_vgpr34_vgpr35_vgpr36_vgpr37
                                        ; implicit-def: $vgpr46_vgpr47_vgpr48_vgpr49_vgpr50_vgpr51_vgpr52_vgpr53_vgpr54_vgpr55_vgpr56_vgpr57_vgpr58_vgpr59_vgpr60_vgpr61
                                        ; implicit-def: $vgpr26_vgpr27_vgpr28_vgpr29_vgpr30_vgpr31_vgpr32_vgpr33_vgpr34_vgpr35_vgpr36_vgpr37_vgpr38_vgpr39_vgpr40_vgpr41
                                        ; implicit-def: $vgpr8_vgpr9_vgpr10_vgpr11_vgpr12_vgpr13_vgpr14_vgpr15_vgpr16_vgpr17_vgpr18_vgpr19_vgpr20_vgpr21_vgpr22_vgpr23
                                        ; implicit-def: $vgpr95
                                        ; implicit-def: $vgpr62_vgpr63_vgpr64_vgpr65_vgpr66_vgpr67_vgpr68_vgpr69_vgpr70_vgpr71_vgpr72_vgpr73_vgpr74_vgpr75_vgpr76_vgpr77
                                        ; implicit-def: $vgpr34_vgpr35_vgpr36_vgpr37_vgpr38_vgpr39_vgpr40_vgpr41_vgpr42_vgpr43_vgpr44_vgpr45_vgpr46_vgpr47_vgpr48_vgpr49
                                        ; implicit-def: $vgpr2_vgpr3_vgpr4_vgpr5_vgpr6_vgpr7_vgpr8_vgpr9_vgpr10_vgpr11_vgpr12_vgpr13_vgpr14_vgpr15_vgpr16_vgpr17
.LBB1014_8:
	v_mov_b32_e32 v95, 0
	v_mov_b32_e32 v94, 0
	;; [unrolled: 1-line block ×16, first 2 shown]
	s_and_saveexec_b64 s[2:3], s[0:1]
	s_cbranch_execz .LBB1014_10
; %bb.9:
	s_load_dwordx2 s[22:23], s[4:5], 0x38
	s_mul_hi_i32 s29, s19, s6
	s_mul_i32 s28, s19, s6
	s_lshl_b64 s[28:29], s[28:29], 1
	s_mov_b32 s31, 0x20000
	s_waitcnt lgkmcnt(0)
	s_add_u32 s28, s22, s28
	s_addc_u32 s14, s23, s29
	s_and_b32 s29, s14, 0xffff
	v_lshlrev_b32_e32 v38, 5, v0
	buffer_load_dwordx4 v[4:7], v38, s[28:31], 16 offen
	buffer_load_dwordx4 v[8:11], v38, s[28:31], 0 offen
	s_load_dwordx2 s[22:23], s[4:5], 0x20
	s_waitcnt vmcnt(5)
	v_cvt_f32_u32_sdwa v19, v86 dst_sel:DWORD dst_unused:UNUSED_PAD src0_sel:WORD_1
	v_cvt_f32_u32_sdwa v18, v86 dst_sel:DWORD dst_unused:UNUSED_PAD src0_sel:WORD_0
	v_cvt_f32_u32_sdwa v21, v87 dst_sel:DWORD dst_unused:UNUSED_PAD src0_sel:WORD_1
	v_cvt_f32_u32_sdwa v20, v87 dst_sel:DWORD dst_unused:UNUSED_PAD src0_sel:WORD_0
	;; [unrolled: 2-line block ×4, first 2 shown]
	s_waitcnt vmcnt(4)
	v_cvt_f32_u32_sdwa v3, v90 dst_sel:DWORD dst_unused:UNUSED_PAD src0_sel:WORD_1
	v_cvt_f32_u32_sdwa v2, v90 dst_sel:DWORD dst_unused:UNUSED_PAD src0_sel:WORD_0
	v_cvt_f32_u32_sdwa v13, v91 dst_sel:DWORD dst_unused:UNUSED_PAD src0_sel:WORD_1
	v_cvt_f32_u32_sdwa v12, v91 dst_sel:DWORD dst_unused:UNUSED_PAD src0_sel:WORD_0
	;; [unrolled: 2-line block ×3, first 2 shown]
	v_cvt_f32_u32_sdwa v16, v93 dst_sel:DWORD dst_unused:UNUSED_PAD src0_sel:WORD_0
	v_cvt_f32_u32_sdwa v17, v93 dst_sel:DWORD dst_unused:UNUSED_PAD src0_sel:WORD_1
	s_mul_hi_i32 s29, s35, s6
	s_mul_i32 s28, s35, s6
	s_lshl_b64 s[28:29], s[28:29], 1
	s_waitcnt lgkmcnt(0)
	s_add_u32 s28, s22, s28
	s_mov_b32 s14, 0x7060302
	s_addc_u32 s17, s23, s29
	s_and_b32 s29, s17, 0xffff
	s_waitcnt vmcnt(1)
	v_cvt_f32_u32_sdwa v27, v4 dst_sel:DWORD dst_unused:UNUSED_PAD src0_sel:WORD_1
	v_cvt_f32_u32_sdwa v26, v4 dst_sel:DWORD dst_unused:UNUSED_PAD src0_sel:WORD_0
	v_cvt_f32_u32_sdwa v29, v5 dst_sel:DWORD dst_unused:UNUSED_PAD src0_sel:WORD_1
	v_cvt_f32_u32_sdwa v28, v5 dst_sel:DWORD dst_unused:UNUSED_PAD src0_sel:WORD_0
	;; [unrolled: 2-line block ×3, first 2 shown]
	v_cvt_f32_u32_sdwa v34, v7 dst_sel:DWORD dst_unused:UNUSED_PAD src0_sel:WORD_0
	v_cvt_f32_u32_sdwa v35, v7 dst_sel:DWORD dst_unused:UNUSED_PAD src0_sel:WORD_1
	s_waitcnt vmcnt(0)
	v_cvt_f32_u32_sdwa v37, v8 dst_sel:DWORD dst_unused:UNUSED_PAD src0_sel:WORD_1
	v_cvt_f32_u32_sdwa v36, v8 dst_sel:DWORD dst_unused:UNUSED_PAD src0_sel:WORD_0
	v_cvt_f32_u32_sdwa v5, v10 dst_sel:DWORD dst_unused:UNUSED_PAD src0_sel:WORD_1
	v_cvt_f32_u32_sdwa v4, v10 dst_sel:DWORD dst_unused:UNUSED_PAD src0_sel:WORD_0
	;; [unrolled: 2-line block ×4, first 2 shown]
	v_pk_add_f32 v[50:51], v[22:23], v[4:5]
	v_pk_add_f32 v[32:33], v[24:25], v[6:7]
	;; [unrolled: 1-line block ×4, first 2 shown]
	v_perm_b32 v7, v33, v32, s14
	v_perm_b32 v6, v51, v50, s14
	;; [unrolled: 1-line block ×4, first 2 shown]
	v_pk_add_f32 v[94:95], v[16:17], v[34:35]
	v_pk_add_f32 v[14:15], v[14:15], v[30:31]
	;; [unrolled: 1-line block ×4, first 2 shown]
	buffer_store_dwordx4 v[4:7], v38, s[28:31], 0 offen
	;;#ASMSTART
	s_nop 0
	;;#ASMEND
	s_nop 0
	v_perm_b32 v7, v95, v94, s14
	v_perm_b32 v6, v15, v14, s14
	;; [unrolled: 1-line block ×4, first 2 shown]
	buffer_store_dwordx4 v[4:7], v38, s[28:31], 16 offen
	;;#ASMSTART
	s_nop 0
	;;#ASMEND
.LBB1014_10:
	s_or_b64 exec, exec, s[2:3]
.LBB1014_11:
	v_mul_f32_e32 v2, v63, v63
	v_fmac_f32_e32 v2, v62, v62
	v_fmac_f32_e32 v2, v24, v24
	;; [unrolled: 1-line block ×15, first 2 shown]
	s_nop 1
	v_mov_b32_dpp v3, v2 quad_perm:[1,0,3,2] row_mask:0xf bank_mask:0xf
	v_add_f32_e32 v2, v2, v3
	s_nop 1
	v_mov_b32_dpp v3, v2 quad_perm:[2,3,0,1] row_mask:0xf bank_mask:0xf
	v_add_f32_e32 v2, v2, v3
	s_nop 1
	v_mov_b32_dpp v3, v2 row_half_mirror row_mask:0xf bank_mask:0xf
	v_add_f32_e32 v2, v2, v3
	s_nop 1
	v_mov_b32_dpp v3, v2 row_mirror row_mask:0xf bank_mask:0xf
	v_add_f32_e32 v2, v2, v3
	s_nop 1
	v_mov_b32_dpp v3, v2 row_bcast:15 row_mask:0xf bank_mask:0xf
	v_add_f32_e32 v2, v2, v3
	v_and_b32_e32 v3, 63, v0
	v_cmp_eq_u32_e64 s[2:3], 63, v3
	s_nop 0
	v_mov_b32_dpp v3, v2 row_bcast:31 row_mask:0xf bank_mask:0xf
	s_and_saveexec_b64 s[22:23], s[2:3]
	s_cbranch_execz .LBB1014_13
; %bb.12:
	v_add_f32_e32 v2, v2, v3
	v_lshrrev_b32_e32 v3, 4, v0
	v_and_b32_e32 v3, 60, v3
	ds_write_b32 v3, v2 offset:32
.LBB1014_13:
	s_or_b64 exec, exec, s[22:23]
	v_and_b32_e32 v2, 7, v0
	v_lshlrev_b32_e32 v34, 2, v2
	s_waitcnt lgkmcnt(0)
	s_barrier
	ds_read_b32 v2, v34 offset:32
	s_load_dwordx2 s[38:39], s[4:5], 0x18
	s_waitcnt lgkmcnt(0)
	v_mov_b32_dpp v3, v2 quad_perm:[1,0,3,2] row_mask:0xf bank_mask:0xf
	v_add_f32_e32 v2, v2, v3
	s_nop 1
	v_mov_b32_dpp v3, v2 quad_perm:[2,3,0,1] row_mask:0xf bank_mask:0xf
	v_add_f32_e32 v2, v2, v3
	s_nop 1
	v_mov_b32_dpp v3, v2 row_half_mirror row_mask:0xf bank_mask:0xf
	s_and_saveexec_b64 s[22:23], s[0:1]
	s_cbranch_execnz .LBB1014_18
; %bb.14:
	s_or_b64 exec, exec, s[22:23]
	s_mov_b64 s[8:9], -1
	s_and_b64 vcc, exec, s[10:11]
	s_cbranch_vccnz .LBB1014_19
.LBB1014_15:
	s_andn2_b64 vcc, exec, s[8:9]
	s_cbranch_vccz .LBB1014_22
.LBB1014_16:
	s_cmp_lt_i32 s16, 1
	s_cbranch_scc0 .LBB1014_29
.LBB1014_17:
	s_endpgm
.LBB1014_18:
	v_add_f32_e32 v2, v2, v3
	v_cvt_f32_u32_e32 v3, s7
	s_mov_b32 s7, 0x800000
	s_waitcnt vmcnt(1)
	v_cvt_f32_u32_sdwa v21, v83 dst_sel:DWORD dst_unused:UNUSED_PAD src0_sel:WORD_1
	v_cvt_f32_u32_sdwa v20, v83 dst_sel:DWORD dst_unused:UNUSED_PAD src0_sel:WORD_0
	v_div_scale_f32 v4, s[28:29], v3, v3, v2
	v_rcp_f32_e32 v5, v4
	s_waitcnt vmcnt(0)
	v_cvt_f32_u32_sdwa v23, v80 dst_sel:DWORD dst_unused:UNUSED_PAD src0_sel:WORD_1
	v_cvt_f32_u32_sdwa v22, v80 dst_sel:DWORD dst_unused:UNUSED_PAD src0_sel:WORD_0
	v_cvt_f32_u32_sdwa v27, v81 dst_sel:DWORD dst_unused:UNUSED_PAD src0_sel:WORD_1
	v_fma_f32 v6, -v4, v5, 1.0
	v_fmac_f32_e32 v5, v6, v5
	v_div_scale_f32 v6, vcc, v2, v3, v2
	v_mul_f32_e32 v7, v6, v5
	v_fma_f32 v8, -v4, v7, v6
	v_fmac_f32_e32 v7, v8, v5
	v_fma_f32 v4, -v4, v7, v6
	v_div_fmas_f32 v4, v4, v5, v7
	v_div_fixup_f32 v2, v4, v3, v2
	v_mov_b32_e32 v3, s13
	v_mov_b32_e32 v4, s12
	v_cndmask_b32_e64 v3, v3, v4, s[8:9]
	v_add_f32_e32 v2, v3, v2
	v_mul_f32_e32 v3, 0x4b800000, v2
	v_cmp_gt_f32_e32 vcc, s7, v2
	v_cndmask_b32_e32 v2, v2, v3, vcc
	v_rsq_f32_e32 v2, v2
	v_cvt_f32_u32_sdwa v26, v81 dst_sel:DWORD dst_unused:UNUSED_PAD src0_sel:WORD_0
	v_mul_f32_e32 v3, 0x45800000, v2
	v_cndmask_b32_e32 v2, v2, v3, vcc
	v_mov_b32_e32 v3, v2
	;;#ASMSTART
	v_pk_mul_f32 v[4:5], v[62:63], v[2:3]
	;;#ASMEND
	;;#ASMSTART
	v_pk_mul_f32 v[6:7], v[24:25], v[2:3]
	;;#ASMEND
	;; [unrolled: 3-line block ×6, first 2 shown]
	v_cvt_f32_u32_sdwa v19, v82 dst_sel:DWORD dst_unused:UNUSED_PAD src0_sel:WORD_1
	v_cvt_f32_u32_sdwa v18, v82 dst_sel:DWORD dst_unused:UNUSED_PAD src0_sel:WORD_0
	;;#ASMSTART
	v_pk_mul_f32 v[14:15], v[14:15], v[2:3]
	;;#ASMEND
	;;#ASMSTART
	v_pk_mul_f32 v[2:3], v[94:95], v[2:3]
	;;#ASMEND
	;; [unrolled: 3-line block ×3, first 2 shown]
	v_cvt_f32_u32_sdwa v19, v78 dst_sel:DWORD dst_unused:UNUSED_PAD src0_sel:WORD_1
	v_cvt_f32_u32_sdwa v18, v78 dst_sel:DWORD dst_unused:UNUSED_PAD src0_sel:WORD_0
	;;#ASMSTART
	v_pk_mul_f32 v[24:25], v[6:7], v[20:21]
	;;#ASMEND
	v_cvt_f32_u32_sdwa v5, v84 dst_sel:DWORD dst_unused:UNUSED_PAD src0_sel:WORD_1
	v_cvt_f32_u32_sdwa v4, v84 dst_sel:DWORD dst_unused:UNUSED_PAD src0_sel:WORD_0
	v_cvt_f32_u32_sdwa v7, v85 dst_sel:DWORD dst_unused:UNUSED_PAD src0_sel:WORD_1
	v_cvt_f32_u32_sdwa v6, v85 dst_sel:DWORD dst_unused:UNUSED_PAD src0_sel:WORD_0
	;; [unrolled: 2-line block ×3, first 2 shown]
	;;#ASMSTART
	v_pk_mul_f32 v[50:51], v[8:9], v[4:5]
	;;#ASMEND
	;;#ASMSTART
	v_pk_mul_f32 v[32:33], v[10:11], v[6:7]
	;;#ASMEND
	;;#ASMSTART
	v_pk_mul_f32 v[42:43], v[12:13], v[18:19]
	;;#ASMEND
	;;#ASMSTART
	v_pk_mul_f32 v[18:19], v[16:17], v[20:21]
	;;#ASMEND
	;;#ASMSTART
	v_pk_mul_f32 v[14:15], v[14:15], v[22:23]
	;;#ASMEND
	;;#ASMSTART
	v_pk_mul_f32 v[94:95], v[2:3], v[26:27]
	;;#ASMEND
	s_or_b64 exec, exec, s[22:23]
	s_mov_b64 s[8:9], -1
	s_and_b64 vcc, exec, s[10:11]
	s_cbranch_vccz .LBB1014_15
.LBB1014_19:
	s_and_saveexec_b64 s[8:9], s[0:1]
	s_cbranch_execz .LBB1014_21
; %bb.20:
	s_mul_hi_i32 s11, s34, s6
	s_mul_i32 s10, s34, s6
	s_lshl_b64 s[10:11], s[10:11], 1
	s_add_u32 s28, s38, s10
	s_addc_u32 s7, s39, s11
	s_and_b32 s29, s7, 0xffff
	s_mov_b32 s7, 0x7060302
	s_mov_b32 s31, 0x20000
	v_perm_b32 v5, v33, v32, s7
	v_perm_b32 v4, v51, v50, s7
	;; [unrolled: 1-line block ×4, first 2 shown]
	v_lshlrev_b32_e32 v6, 5, v0
	buffer_store_dwordx4 v[2:5], v6, s[28:31], 0 offen
	;;#ASMSTART
	s_nop 0
	;;#ASMEND
	s_nop 0
	v_perm_b32 v5, v95, v94, s7
	v_perm_b32 v4, v15, v14, s7
	;; [unrolled: 1-line block ×4, first 2 shown]
	buffer_store_dwordx4 v[2:5], v6, s[28:31], 16 offen
	;;#ASMSTART
	s_nop 0
	;;#ASMEND
.LBB1014_21:
	s_or_b64 exec, exec, s[8:9]
	s_cbranch_execnz .LBB1014_16
.LBB1014_22:
	v_mov_b32_e32 v2, 0
	s_and_saveexec_b64 s[8:9], s[0:1]
	s_cbranch_execz .LBB1014_24
; %bb.23:
	v_and_b32_e32 v2, 0x7fffffff, v62
	v_and_b32_e32 v3, 0x7fffffff, v63
	v_mov_b32_e32 v4, 0x2edbe6ff
	;;#ASMSTART
	v_max3_f32 v2, v4, v2, v3

	;;#ASMEND
	v_and_b32_e32 v3, 0x7fffffff, v24
	v_and_b32_e32 v4, 0x7fffffff, v25
	;;#ASMSTART
	v_max3_f32 v2, v2, v3, v4

	;;#ASMEND
	v_and_b32_e32 v3, 0x7fffffff, v50
	v_and_b32_e32 v4, 0x7fffffff, v51
	;; [unrolled: 6-line block ×7, first 2 shown]
	;;#ASMSTART
	v_max3_f32 v2, v2, v3, v4

	;;#ASMEND
.LBB1014_24:
	s_or_b64 exec, exec, s[8:9]
	;;#ASMSTART
	v_max_f32 v3, v2, v2 quad_perm:[1,0,3,2] row_mask:0xf bank_mask:0xf bound_ctrl:1
	;;#ASMEND
	v_mul_f32_e32 v2, 0x3b124925, v3
	v_and_b32_e32 v3, 1, v0
	v_cmp_eq_u32_e32 vcc, 0, v3
	v_cmp_gt_i32_e64 s[8:9], s15, v1
	s_and_b64 s[10:11], vcc, s[8:9]
	s_and_saveexec_b64 s[8:9], s[10:11]
	s_cbranch_execz .LBB1014_26
; %bb.25:
	s_load_dwordx2 s[10:11], s[4:5], 0x8
	s_mul_hi_i32 s23, s25, s6
	s_mul_i32 s22, s25, s6
	v_lshrrev_b32_e32 v3, 1, v0
	s_lshl_b64 s[22:23], s[22:23], 2
	v_mad_i64_i32 v[4:5], s[26:27], s26, v3, 0
	s_waitcnt lgkmcnt(0)
	s_add_u32 s7, s10, s22
	s_addc_u32 s10, s11, s23
	v_lshlrev_b64 v[4:5], 2, v[4:5]
	v_mov_b32_e32 v3, s10
	v_add_co_u32_e32 v4, vcc, s7, v4
	v_addc_co_u32_e32 v5, vcc, v3, v5, vcc
	global_store_dword v[4:5], v2, off
.LBB1014_26:
	s_or_b64 exec, exec, s[8:9]
	;;#ASMSTART
	v_rcp_f32 v2, v2
	;;#ASMEND
	s_and_saveexec_b64 s[22:23], s[0:1]
	s_cbranch_execz .LBB1014_28
; %bb.27:
	v_mov_b32_e32 v3, v2
	;;#ASMSTART
	v_pk_mul_f32 v[4:5], v[62:63], v[2:3]
	;;#ASMEND
	v_mov_b32_e32 v10, 0xc3e00000
	v_mov_b32_e32 v11, 0x43e00000
	;;#ASMSTART
	v_med3_f32 v4, v4, v10, v11
v_med3_f32 v5, v5, v10, v11
v_cvt_pk_fp8_f32 v6, v4, v5
	;;#ASMEND
	;;#ASMSTART
	v_pk_mul_f32 v[4:5], v[24:25], v[2:3]
	;;#ASMEND
	;;#ASMSTART
	v_med3_f32 v4, v4, v10, v11
v_med3_f32 v5, v5, v10, v11
v_cvt_pk_fp8_f32 v7, v4, v5
	;;#ASMEND
	;;#ASMSTART
	v_pk_mul_f32 v[4:5], v[50:51], v[2:3]
	;;#ASMEND
	;; [unrolled: 8-line block ×3, first 2 shown]
	;;#ASMSTART
	v_med3_f32 v4, v4, v10, v11
v_med3_f32 v5, v5, v10, v11
v_cvt_pk_fp8_f32 v9, v4, v5
	;;#ASMEND
	s_mov_b32 s0, 0x5040100
	v_perm_b32 v4, v7, v6, s0
	s_mov_b32 s0, 0x1060504
	v_perm_b32 v4, v4, v7, s0
	s_load_dwordx2 s[0:1], s[4:5], 0x0
	s_mov_b32 s7, 0x1000504
	;;#ASMSTART
	v_pk_mul_f32 v[6:7], v[42:43], v[2:3]
	;;#ASMEND
	v_perm_b32 v5, v8, v9, s7
	s_mul_i32 s8, s24, s6
	;;#ASMSTART
	v_med3_f32 v6, v6, v10, v11
v_med3_f32 v7, v7, v10, v11
v_cvt_pk_fp8_f32 v8, v6, v7
	;;#ASMEND
	s_mul_hi_i32 s9, s24, s6
	s_waitcnt lgkmcnt(0)
	s_add_u32 s8, s0, s8
	;;#ASMSTART
	v_pk_mul_f32 v[6:7], v[18:19], v[2:3]
	;;#ASMEND
	s_addc_u32 s0, s1, s9
	s_add_i32 s1, s15, 3
	;;#ASMSTART
	v_med3_f32 v6, v6, v10, v11
v_med3_f32 v7, v7, v10, v11
v_cvt_pk_fp8_f32 v9, v6, v7
	;;#ASMEND
	s_ashr_i32 s9, s1, 31
	v_perm_b32 v6, v8, v9, s7
	;;#ASMSTART
	v_pk_mul_f32 v[8:9], v[14:15], v[2:3]
	;;#ASMEND
	v_mov_b32_e32 v7, v9
	s_lshr_b32 s9, s9, 30
	;;#ASMSTART
	v_med3_f32 v8, v8, v10, v11
v_med3_f32 v7, v7, v10, v11
v_cvt_pk_fp8_f32 v9, v8, v7
	;;#ASMEND
	;;#ASMSTART
	v_pk_mul_f32 v[2:3], v[94:95], v[2:3]
	;;#ASMEND
	s_add_i32 s1, s1, s9
	;;#ASMSTART
	v_med3_f32 v2, v2, v10, v11
v_med3_f32 v3, v3, v10, v11
v_cvt_pk_fp8_f32 v7, v2, v3
	;;#ASMEND
	s_and_b32 s10, s1, -4
	s_and_b32 s9, s0, 0xffff
	s_mov_b32 s11, 0x20000
	v_perm_b32 v7, v9, v7, s7
	buffer_store_dwordx4 v[4:7], v1, s[8:11], 0 offen
	;;#ASMSTART
	s_nop 0
	;;#ASMEND
.LBB1014_28:
	s_or_b64 exec, exec, s[22:23]
	s_cmp_lt_i32 s16, 1
	s_cbranch_scc1 .LBB1014_17
.LBB1014_29:
	s_load_dword s0, s[4:5], 0x94
	s_waitcnt lgkmcnt(0)
	s_cmp_lg_u32 s0, 1
	s_cbranch_scc1 .LBB1014_17
; %bb.30:
	s_lshl_b32 s0, s16, 1
	s_add_i32 s0, s0, 2
	v_cmp_gt_u32_e32 vcc, s16, v1
	s_and_b32 s22, s0, -4
	v_mov_b32_e32 v18, 0
	v_lshlrev_b32_e32 v1, 5, v0
	v_mov_b32_e32 v14, 0
	v_mov_b32_e32 v15, 0
	;; [unrolled: 1-line block ×16, first 2 shown]
	s_barrier
	s_and_saveexec_b64 s[0:1], vcc
	s_cbranch_execz .LBB1014_32
; %bb.31:
	s_mul_hi_i32 s5, s18, s6
	s_mul_i32 s4, s18, s6
	s_and_b32 s21, s21, 0xffff
	s_lshl_b64 s[4:5], s[4:5], 1
	s_add_u32 s8, s36, s4
	s_mov_b32 s23, 0x20000
	s_addc_u32 s4, s37, s5
	s_and_b32 s9, s4, 0xffff
	s_mov_b32 s10, s22
	s_mov_b32 s11, s23
	buffer_load_dwordx4 v[14:17], v1, s[8:11], 0 offen
	buffer_load_dwordx4 v[10:13], v1, s[8:11], 16 offen
	;; [unrolled: 1-line block ×4, first 2 shown]
.LBB1014_32:
	s_or_b64 exec, exec, s[0:1]
	v_mov_b32_e32 v19, 0
	v_mov_b32_e32 v32, 0
	;; [unrolled: 1-line block ×15, first 2 shown]
	s_and_saveexec_b64 s[0:1], vcc
	s_cbranch_execz .LBB1014_34
; %bb.33:
	s_waitcnt vmcnt(3)
	v_cvt_f32_u32_sdwa v18, v14 dst_sel:DWORD dst_unused:UNUSED_PAD src0_sel:WORD_0
	v_cvt_f32_u32_sdwa v19, v14 dst_sel:DWORD dst_unused:UNUSED_PAD src0_sel:WORD_1
	v_cvt_f32_u32_sdwa v32, v15 dst_sel:DWORD dst_unused:UNUSED_PAD src0_sel:WORD_0
	v_cvt_f32_u32_sdwa v33, v15 dst_sel:DWORD dst_unused:UNUSED_PAD src0_sel:WORD_1
	;; [unrolled: 2-line block ×4, first 2 shown]
	s_waitcnt vmcnt(2)
	v_cvt_f32_u32_sdwa v26, v10 dst_sel:DWORD dst_unused:UNUSED_PAD src0_sel:WORD_0
	v_cvt_f32_u32_sdwa v27, v10 dst_sel:DWORD dst_unused:UNUSED_PAD src0_sel:WORD_1
	v_cvt_f32_u32_sdwa v24, v11 dst_sel:DWORD dst_unused:UNUSED_PAD src0_sel:WORD_0
	v_cvt_f32_u32_sdwa v25, v11 dst_sel:DWORD dst_unused:UNUSED_PAD src0_sel:WORD_1
	;; [unrolled: 2-line block ×4, first 2 shown]
.LBB1014_34:
	s_or_b64 exec, exec, s[0:1]
	s_waitcnt vmcnt(2)
	v_mul_f32_e32 v10, v19, v19
	v_fmac_f32_e32 v10, v18, v18
	v_fmac_f32_e32 v10, v32, v32
	;; [unrolled: 1-line block ×15, first 2 shown]
	s_nop 1
	v_mov_b32_dpp v11, v10 quad_perm:[1,0,3,2] row_mask:0xf bank_mask:0xf
	v_add_f32_e32 v10, v10, v11
	s_nop 1
	v_mov_b32_dpp v11, v10 quad_perm:[2,3,0,1] row_mask:0xf bank_mask:0xf
	v_add_f32_e32 v10, v10, v11
	s_nop 1
	v_mov_b32_dpp v11, v10 row_half_mirror row_mask:0xf bank_mask:0xf
	v_add_f32_e32 v10, v10, v11
	s_nop 1
	v_mov_b32_dpp v11, v10 row_mirror row_mask:0xf bank_mask:0xf
	v_add_f32_e32 v10, v10, v11
	s_nop 1
	v_mov_b32_dpp v11, v10 row_bcast:15 row_mask:0xf bank_mask:0xf
	v_add_f32_e32 v10, v10, v11
	s_nop 1
	v_mov_b32_dpp v11, v10 row_bcast:31 row_mask:0xf bank_mask:0xf
	s_and_saveexec_b64 s[0:1], s[2:3]
	s_cbranch_execz .LBB1014_36
; %bb.35:
	v_lshrrev_b32_e32 v0, 4, v0
	v_add_f32_e32 v10, v10, v11
	v_and_b32_e32 v0, 60, v0
	ds_write_b32 v0, v10
.LBB1014_36:
	s_or_b64 exec, exec, s[0:1]
	s_waitcnt lgkmcnt(0)
	s_barrier
	ds_read_b32 v0, v34
	s_waitcnt lgkmcnt(0)
	s_nop 0
	v_mov_b32_dpp v10, v0 quad_perm:[1,0,3,2] row_mask:0xf bank_mask:0xf
	v_add_f32_e32 v0, v0, v10
	s_nop 1
	v_mov_b32_dpp v10, v0 quad_perm:[2,3,0,1] row_mask:0xf bank_mask:0xf
	v_add_f32_e32 v0, v0, v10
	s_nop 1
	v_mov_b32_dpp v10, v0 row_half_mirror row_mask:0xf bank_mask:0xf
	s_and_saveexec_b64 s[0:1], vcc
	s_cbranch_execz .LBB1014_17
; %bb.37:
	v_cvt_f32_u32_e32 v11, s16
	v_add_f32_e32 v0, v0, v10
	s_mov_b32 s23, 0x20000
	v_div_scale_f32 v10, s[0:1], v11, v11, v0
	v_rcp_f32_e32 v12, v10
	v_div_scale_f32 v13, vcc, v0, v11, v0
	s_mov_b32 s0, 0x800000
	v_fma_f32 v14, -v10, v12, 1.0
	v_fmac_f32_e32 v12, v14, v12
	v_mul_f32_e32 v14, v13, v12
	v_fma_f32 v15, -v10, v14, v13
	v_fmac_f32_e32 v14, v15, v12
	v_fma_f32 v10, -v10, v14, v13
	v_div_fmas_f32 v10, v10, v12, v14
	v_div_fixup_f32 v0, v10, v11, v0
	v_add_f32_e32 v0, s13, v0
	v_mul_f32_e32 v10, 0x4b800000, v0
	v_cmp_gt_f32_e32 vcc, s0, v0
	v_cndmask_b32_e32 v0, v0, v10, vcc
	v_rsq_f32_e32 v0, v0
	s_mul_hi_i32 s1, s34, s6
	s_mul_i32 s0, s34, s6
	s_lshl_b64 s[0:1], s[0:1], 1
	v_mul_f32_e32 v10, 0x45800000, v0
	v_cndmask_b32_e32 v10, v0, v10, vcc
	v_mov_b32_e32 v11, v10
	s_add_u32 s20, s38, s0
	;;#ASMSTART
	v_pk_mul_f32 v[12:13], v[18:19], v[10:11]
	;;#ASMEND
	;;#ASMSTART
	v_pk_mul_f32 v[14:15], v[32:33], v[10:11]
	;;#ASMEND
	;; [unrolled: 3-line block ×8, first 2 shown]
	s_waitcnt vmcnt(1)
	v_cvt_f32_u32_sdwa v21, v6 dst_sel:DWORD dst_unused:UNUSED_PAD src0_sel:WORD_1
	v_cvt_f32_u32_sdwa v20, v6 dst_sel:DWORD dst_unused:UNUSED_PAD src0_sel:WORD_0
	v_cvt_f32_u32_sdwa v29, v7 dst_sel:DWORD dst_unused:UNUSED_PAD src0_sel:WORD_1
	v_cvt_f32_u32_sdwa v28, v7 dst_sel:DWORD dst_unused:UNUSED_PAD src0_sel:WORD_0
	;; [unrolled: 2-line block ×3, first 2 shown]
	s_addc_u32 s0, s39, s1
	v_cvt_f32_u32_sdwa v31, v9 dst_sel:DWORD dst_unused:UNUSED_PAD src0_sel:WORD_1
	v_cvt_f32_u32_sdwa v30, v9 dst_sel:DWORD dst_unused:UNUSED_PAD src0_sel:WORD_0
	;;#ASMSTART
	v_pk_mul_f32 v[8:9], v[12:13], v[20:21]
	;;#ASMEND
	;;#ASMSTART
	v_pk_mul_f32 v[12:13], v[14:15], v[28:29]
	;;#ASMEND
	;; [unrolled: 3-line block ×4, first 2 shown]
	s_waitcnt vmcnt(0)
	v_cvt_f32_u32_sdwa v17, v2 dst_sel:DWORD dst_unused:UNUSED_PAD src0_sel:WORD_1
	v_cvt_f32_u32_sdwa v16, v2 dst_sel:DWORD dst_unused:UNUSED_PAD src0_sel:WORD_0
	v_cvt_f32_u32_sdwa v19, v3 dst_sel:DWORD dst_unused:UNUSED_PAD src0_sel:WORD_1
	v_cvt_f32_u32_sdwa v18, v3 dst_sel:DWORD dst_unused:UNUSED_PAD src0_sel:WORD_0
	;; [unrolled: 2-line block ×3, first 2 shown]
	s_and_b32 s21, s0, 0xffff
	s_mov_b32 s0, 0x7060302
	v_cvt_f32_u32_sdwa v21, v5 dst_sel:DWORD dst_unused:UNUSED_PAD src0_sel:WORD_1
	v_cvt_f32_u32_sdwa v20, v5 dst_sel:DWORD dst_unused:UNUSED_PAD src0_sel:WORD_0
	;;#ASMSTART
	v_pk_mul_f32 v[16:17], v[26:27], v[16:17]
	;;#ASMEND
	;;#ASMSTART
	v_pk_mul_f32 v[18:19], v[24:25], v[18:19]
	;;#ASMEND
	;;#ASMSTART
	v_pk_mul_f32 v[22:23], v[22:23], v[2:3]
	;;#ASMEND
	v_perm_b32 v2, v9, v8, s0
	v_perm_b32 v3, v13, v12, s0
	;; [unrolled: 1-line block ×4, first 2 shown]
	;;#ASMSTART
	v_pk_mul_f32 v[10:11], v[10:11], v[20:21]
	;;#ASMEND
	buffer_store_dwordx4 v[2:5], v1, s[20:23], 0 offen
	;;#ASMSTART
	s_nop 0
	;;#ASMEND
	s_nop 0
	v_perm_b32 v2, v17, v16, s0
	v_perm_b32 v3, v19, v18, s0
	;; [unrolled: 1-line block ×4, first 2 shown]
	buffer_store_dwordx4 v[2:5], v1, s[20:23], 16 offen
	;;#ASMSTART
	s_nop 0
	;;#ASMEND
	s_endpgm
	.section	.rodata,"a",@progbits
	.p2align	6, 0x0
	.amdhsa_kernel _ZN5aiter35fused_qk_rmsnorm_group_quant_kernelItDB8_Li512ELi16ELi2ELb1ELb0ELb0ELb0ELb0ELb0EEEvPT0_PvPT_S6_S6_PKS5_S8_S8_S8_S8_ffiiiiiiiiiiiii
		.amdhsa_group_segment_fixed_size 64
		.amdhsa_private_segment_fixed_size 0
		.amdhsa_kernarg_size 400
		.amdhsa_user_sgpr_count 6
		.amdhsa_user_sgpr_private_segment_buffer 1
		.amdhsa_user_sgpr_dispatch_ptr 0
		.amdhsa_user_sgpr_queue_ptr 0
		.amdhsa_user_sgpr_kernarg_segment_ptr 1
		.amdhsa_user_sgpr_dispatch_id 0
		.amdhsa_user_sgpr_flat_scratch_init 0
		.amdhsa_user_sgpr_kernarg_preload_length 0
		.amdhsa_user_sgpr_kernarg_preload_offset 0
		.amdhsa_user_sgpr_private_segment_size 0
		.amdhsa_uses_dynamic_stack 0
		.amdhsa_system_sgpr_private_segment_wavefront_offset 0
		.amdhsa_system_sgpr_workgroup_id_x 1
		.amdhsa_system_sgpr_workgroup_id_y 1
		.amdhsa_system_sgpr_workgroup_id_z 0
		.amdhsa_system_sgpr_workgroup_info 0
		.amdhsa_system_vgpr_workitem_id 0
		.amdhsa_next_free_vgpr 96
		.amdhsa_next_free_sgpr 44
		.amdhsa_accum_offset 96
		.amdhsa_reserve_vcc 1
		.amdhsa_reserve_flat_scratch 0
		.amdhsa_float_round_mode_32 0
		.amdhsa_float_round_mode_16_64 0
		.amdhsa_float_denorm_mode_32 3
		.amdhsa_float_denorm_mode_16_64 3
		.amdhsa_dx10_clamp 1
		.amdhsa_ieee_mode 1
		.amdhsa_fp16_overflow 0
		.amdhsa_tg_split 0
		.amdhsa_exception_fp_ieee_invalid_op 0
		.amdhsa_exception_fp_denorm_src 0
		.amdhsa_exception_fp_ieee_div_zero 0
		.amdhsa_exception_fp_ieee_overflow 0
		.amdhsa_exception_fp_ieee_underflow 0
		.amdhsa_exception_fp_ieee_inexact 0
		.amdhsa_exception_int_div_zero 0
	.end_amdhsa_kernel
	.section	.text._ZN5aiter35fused_qk_rmsnorm_group_quant_kernelItDB8_Li512ELi16ELi2ELb1ELb0ELb0ELb0ELb0ELb0EEEvPT0_PvPT_S6_S6_PKS5_S8_S8_S8_S8_ffiiiiiiiiiiiii,"axG",@progbits,_ZN5aiter35fused_qk_rmsnorm_group_quant_kernelItDB8_Li512ELi16ELi2ELb1ELb0ELb0ELb0ELb0ELb0EEEvPT0_PvPT_S6_S6_PKS5_S8_S8_S8_S8_ffiiiiiiiiiiiii,comdat
.Lfunc_end1014:
	.size	_ZN5aiter35fused_qk_rmsnorm_group_quant_kernelItDB8_Li512ELi16ELi2ELb1ELb0ELb0ELb0ELb0ELb0EEEvPT0_PvPT_S6_S6_PKS5_S8_S8_S8_S8_ffiiiiiiiiiiiii, .Lfunc_end1014-_ZN5aiter35fused_qk_rmsnorm_group_quant_kernelItDB8_Li512ELi16ELi2ELb1ELb0ELb0ELb0ELb0ELb0EEEvPT0_PvPT_S6_S6_PKS5_S8_S8_S8_S8_ffiiiiiiiiiiiii
                                        ; -- End function
	.section	.AMDGPU.csdata,"",@progbits
; Kernel info:
; codeLenInByte = 4092
; NumSgprs: 48
; NumVgprs: 96
; NumAgprs: 0
; TotalNumVgprs: 96
; ScratchSize: 0
; MemoryBound: 0
; FloatMode: 240
; IeeeMode: 1
; LDSByteSize: 64 bytes/workgroup (compile time only)
; SGPRBlocks: 5
; VGPRBlocks: 11
; NumSGPRsForWavesPerEU: 48
; NumVGPRsForWavesPerEU: 96
; AccumOffset: 96
; Occupancy: 5
; WaveLimiterHint : 0
; COMPUTE_PGM_RSRC2:SCRATCH_EN: 0
; COMPUTE_PGM_RSRC2:USER_SGPR: 6
; COMPUTE_PGM_RSRC2:TRAP_HANDLER: 0
; COMPUTE_PGM_RSRC2:TGID_X_EN: 1
; COMPUTE_PGM_RSRC2:TGID_Y_EN: 1
; COMPUTE_PGM_RSRC2:TGID_Z_EN: 0
; COMPUTE_PGM_RSRC2:TIDIG_COMP_CNT: 0
; COMPUTE_PGM_RSRC3_GFX90A:ACCUM_OFFSET: 23
; COMPUTE_PGM_RSRC3_GFX90A:TG_SPLIT: 0
	.section	.text._ZN5aiter35fused_qk_rmsnorm_group_quant_kernelIDF16_N4opus5fp4_tELi512ELi16ELi2ELb1ELb0ELb0ELb0ELb0ELb0EEEvPT0_PvPT_S7_S7_PKS6_S9_S9_S9_S9_ffiiiiiiiiiiiii,"axG",@progbits,_ZN5aiter35fused_qk_rmsnorm_group_quant_kernelIDF16_N4opus5fp4_tELi512ELi16ELi2ELb1ELb0ELb0ELb0ELb0ELb0EEEvPT0_PvPT_S7_S7_PKS6_S9_S9_S9_S9_ffiiiiiiiiiiiii,comdat
	.protected	_ZN5aiter35fused_qk_rmsnorm_group_quant_kernelIDF16_N4opus5fp4_tELi512ELi16ELi2ELb1ELb0ELb0ELb0ELb0ELb0EEEvPT0_PvPT_S7_S7_PKS6_S9_S9_S9_S9_ffiiiiiiiiiiiii ; -- Begin function _ZN5aiter35fused_qk_rmsnorm_group_quant_kernelIDF16_N4opus5fp4_tELi512ELi16ELi2ELb1ELb0ELb0ELb0ELb0ELb0EEEvPT0_PvPT_S7_S7_PKS6_S9_S9_S9_S9_ffiiiiiiiiiiiii
	.globl	_ZN5aiter35fused_qk_rmsnorm_group_quant_kernelIDF16_N4opus5fp4_tELi512ELi16ELi2ELb1ELb0ELb0ELb0ELb0ELb0EEEvPT0_PvPT_S7_S7_PKS6_S9_S9_S9_S9_ffiiiiiiiiiiiii
	.p2align	8
	.type	_ZN5aiter35fused_qk_rmsnorm_group_quant_kernelIDF16_N4opus5fp4_tELi512ELi16ELi2ELb1ELb0ELb0ELb0ELb0ELb0EEEvPT0_PvPT_S7_S7_PKS6_S9_S9_S9_S9_ffiiiiiiiiiiiii,@function
_ZN5aiter35fused_qk_rmsnorm_group_quant_kernelIDF16_N4opus5fp4_tELi512ELi16ELi2ELb1ELb0ELb0ELb0ELb0ELb0EEEvPT0_PvPT_S7_S7_PKS6_S9_S9_S9_S9_ffiiiiiiiiiiiii: ; @_ZN5aiter35fused_qk_rmsnorm_group_quant_kernelIDF16_N4opus5fp4_tELi512ELi16ELi2ELb1ELb0ELb0ELb0ELb0ELb0EEEvPT0_PvPT_S7_S7_PKS6_S9_S9_S9_S9_ffiiiiiiiiiiiii
; %bb.0:
	s_load_dwordx8 s[12:19], s[4:5], 0x50
	s_waitcnt lgkmcnt(0)
	s_cmp_ge_i32 s6, s14
	s_cbranch_scc1 .LBB1015_17
; %bb.1:
	s_cmp_lg_u32 s7, 0
	s_cselect_b64 s[22:23], -1, 0
	s_cmp_eq_u32 s7, 0
	s_cselect_b64 s[2:3], -1, 0
	s_and_b64 s[0:1], s[2:3], exec
	s_load_dwordx2 s[20:21], s[4:5], 0x48
	s_load_dwordx2 s[34:35], s[4:5], 0x30
	s_load_dwordx4 s[24:27], s[4:5], 0x70
	s_cselect_b32 s7, s15, s16
	s_add_i32 s0, s7, 1
	s_lshr_b32 s1, s0, 31
	s_add_i32 s0, s0, s1
	s_lshl_b32 s0, s0, 1
	v_lshlrev_b32_e32 v1, 4, v0
	s_and_b32 s30, s0, -4
	v_cmp_gt_i32_e64 s[0:1], s7, v1
	v_mov_b32_e32 v6, 0
	v_mov_b32_e32 v7, 0
	;; [unrolled: 1-line block ×16, first 2 shown]
	s_and_saveexec_b64 s[8:9], s[0:1]
	s_cbranch_execz .LBB1015_3
; %bb.2:
	s_load_dwordx2 s[10:11], s[4:5], 0x28
	s_load_dwordx2 s[28:29], s[4:5], 0x40
	s_and_b64 s[36:37], s[2:3], exec
	s_cselect_b32 s14, s17, s18
	s_mov_b32 s31, 0x20000
	s_waitcnt lgkmcnt(0)
	s_cselect_b32 s17, s11, s35
	s_cselect_b32 s27, s10, s34
	s_mul_hi_i32 s11, s14, s6
	s_mul_i32 s10, s14, s6
	s_lshl_b64 s[10:11], s[10:11], 1
	s_add_u32 s36, s27, s10
	s_addc_u32 s14, s17, s11
	s_and_b64 s[10:11], s[2:3], exec
	s_cselect_b32 s28, s28, s20
	s_cselect_b32 s10, s29, s21
	s_and_b32 s37, s14, 0xffff
	s_mov_b32 s38, s30
	s_mov_b32 s39, s31
	v_lshlrev_b32_e32 v18, 5, v0
	s_and_b32 s29, s10, 0xffff
	buffer_load_dwordx4 v[10:13], v18, s[36:39], 0 offen
	buffer_load_dwordx4 v[14:17], v18, s[36:39], 16 offen
	;; [unrolled: 1-line block ×4, first 2 shown]
.LBB1015_3:
	s_or_b64 exec, exec, s[8:9]
	s_load_dwordx2 s[10:11], s[4:5], 0x80
	s_and_b64 vcc, exec, s[22:23]
	s_cbranch_vccz .LBB1015_7
; %bb.4:
	v_mov_b32_e32 v19, 0
	v_mov_b32_e32 v18, 0
	;; [unrolled: 1-line block ×16, first 2 shown]
	s_and_saveexec_b64 s[8:9], s[0:1]
	s_cbranch_execz .LBB1015_6
; %bb.5:
	s_waitcnt vmcnt(3)
	v_cvt_f32_f16_sdwa v33, v10 dst_sel:DWORD dst_unused:UNUSED_PAD src0_sel:WORD_1
	v_cvt_f32_f16_e32 v32, v10
	v_cvt_f32_f16_sdwa v31, v11 dst_sel:DWORD dst_unused:UNUSED_PAD src0_sel:WORD_1
	v_cvt_f32_f16_e32 v30, v11
	;; [unrolled: 2-line block ×4, first 2 shown]
	s_waitcnt vmcnt(2)
	v_cvt_f32_f16_sdwa v27, v14 dst_sel:DWORD dst_unused:UNUSED_PAD src0_sel:WORD_1
	v_cvt_f32_f16_e32 v26, v14
	v_cvt_f32_f16_sdwa v23, v15 dst_sel:DWORD dst_unused:UNUSED_PAD src0_sel:WORD_1
	v_cvt_f32_f16_e32 v22, v15
	v_cvt_f32_f16_sdwa v21, v16 dst_sel:DWORD dst_unused:UNUSED_PAD src0_sel:WORD_1
	v_cvt_f32_f16_e32 v20, v16
	v_cvt_f32_f16_sdwa v19, v17 dst_sel:DWORD dst_unused:UNUSED_PAD src0_sel:WORD_1
	v_cvt_f32_f16_e32 v18, v17
.LBB1015_6:
	s_or_b64 exec, exec, s[8:9]
	s_cbranch_execz .LBB1015_8
	s_branch .LBB1015_11
.LBB1015_7:
                                        ; implicit-def: $vgpr19
                                        ; implicit-def: $vgpr21
                                        ; implicit-def: $vgpr23
                                        ; implicit-def: $vgpr27
                                        ; implicit-def: $vgpr25
                                        ; implicit-def: $vgpr29
                                        ; implicit-def: $vgpr31
                                        ; implicit-def: $vgpr33
.LBB1015_8:
	v_mov_b32_e32 v19, 0
	v_mov_b32_e32 v18, 0
	;; [unrolled: 1-line block ×16, first 2 shown]
	s_and_saveexec_b64 s[8:9], s[0:1]
	s_cbranch_execz .LBB1015_10
; %bb.9:
	s_load_dwordx2 s[28:29], s[4:5], 0x38
	s_mul_hi_i32 s37, s19, s6
	s_mul_i32 s36, s19, s6
	s_lshl_b64 s[36:37], s[36:37], 1
	s_mov_b32 s31, 0x20000
	s_waitcnt lgkmcnt(0)
	s_add_u32 s28, s28, s36
	s_addc_u32 s14, s29, s37
	s_and_b32 s29, s14, 0xffff
	v_lshlrev_b32_e32 v46, 5, v0
	buffer_load_dwordx4 v[18:21], v46, s[28:31], 16 offen
	buffer_load_dwordx4 v[22:25], v46, s[28:31], 0 offen
	s_waitcnt vmcnt(4)
	v_cvt_f32_f16_sdwa v27, v14 dst_sel:DWORD dst_unused:UNUSED_PAD src0_sel:WORD_1
	v_cvt_f32_f16_e32 v26, v14
	v_cvt_f32_f16_sdwa v29, v15 dst_sel:DWORD dst_unused:UNUSED_PAD src0_sel:WORD_1
	v_cvt_f32_f16_e32 v28, v15
	;; [unrolled: 2-line block ×8, first 2 shown]
	s_load_dwordx2 s[28:29], s[4:5], 0x20
	s_mul_hi_i32 s37, s11, s6
	s_mul_i32 s36, s11, s6
	s_lshl_b64 s[36:37], s[36:37], 1
	s_waitcnt lgkmcnt(0)
	s_add_u32 s28, s28, s36
	s_addc_u32 s11, s29, s37
	s_and_b32 s29, s11, 0xffff
	s_waitcnt vmcnt(1)
	v_cvt_f32_f16_e32 v12, v18
	v_cvt_f32_f16_sdwa v13, v18 dst_sel:DWORD dst_unused:UNUSED_PAD src0_sel:WORD_1
	v_cvt_f32_f16_e32 v18, v19
	v_cvt_f32_f16_sdwa v19, v19 dst_sel:DWORD dst_unused:UNUSED_PAD src0_sel:WORD_1
	v_cvt_f32_f16_e32 v32, v20
	v_cvt_f32_f16_sdwa v33, v20 dst_sel:DWORD dst_unused:UNUSED_PAD src0_sel:WORD_1
	v_cvt_f32_f16_e32 v38, v21
	v_cvt_f32_f16_sdwa v39, v21 dst_sel:DWORD dst_unused:UNUSED_PAD src0_sel:WORD_1
	s_waitcnt vmcnt(0)
	v_cvt_f32_f16_e32 v40, v22
	v_cvt_f32_f16_sdwa v41, v22 dst_sel:DWORD dst_unused:UNUSED_PAD src0_sel:WORD_1
	v_cvt_f32_f16_e32 v42, v23
	v_cvt_f32_f16_sdwa v43, v23 dst_sel:DWORD dst_unused:UNUSED_PAD src0_sel:WORD_1
	;; [unrolled: 2-line block ×4, first 2 shown]
	v_pk_add_f32 v[26:27], v[26:27], v[12:13]
	v_pk_add_f32 v[22:23], v[28:29], v[18:19]
	;; [unrolled: 1-line block ×8, first 2 shown]
	v_cvt_f16_f32_e32 v10, v33
	v_cvt_f16_f32_e32 v14, v32
	;; [unrolled: 1-line block ×16, first 2 shown]
	v_pack_b32_f16 v13, v17, v13
	v_pack_b32_f16 v12, v16, v12
	;; [unrolled: 1-line block ×8, first 2 shown]
	buffer_store_dwordx4 v[10:13], v46, s[28:31], 0 offen
	;;#ASMSTART
	s_nop 0
	;;#ASMEND
	buffer_store_dwordx4 v[14:17], v46, s[28:31], 16 offen
	;;#ASMSTART
	s_nop 0
	;;#ASMEND
.LBB1015_10:
	s_or_b64 exec, exec, s[8:9]
.LBB1015_11:
	s_waitcnt vmcnt(3)
	v_mul_f32_e32 v10, v33, v33
	v_fmac_f32_e32 v10, v32, v32
	v_fmac_f32_e32 v10, v30, v30
	;; [unrolled: 1-line block ×15, first 2 shown]
	v_and_b32_e32 v12, 63, v0
	v_cmp_eq_u32_e64 s[8:9], 63, v12
	v_mov_b32_dpp v11, v10 quad_perm:[1,0,3,2] row_mask:0xf bank_mask:0xf
	v_add_f32_e32 v10, v10, v11
	s_nop 1
	v_mov_b32_dpp v11, v10 quad_perm:[2,3,0,1] row_mask:0xf bank_mask:0xf
	v_add_f32_e32 v10, v10, v11
	s_nop 1
	v_mov_b32_dpp v11, v10 row_half_mirror row_mask:0xf bank_mask:0xf
	v_add_f32_e32 v10, v10, v11
	s_nop 1
	v_mov_b32_dpp v11, v10 row_mirror row_mask:0xf bank_mask:0xf
	v_add_f32_e32 v10, v10, v11
	s_nop 1
	v_mov_b32_dpp v11, v10 row_bcast:15 row_mask:0xf bank_mask:0xf
	v_add_f32_e32 v10, v10, v11
	s_nop 1
	v_mov_b32_dpp v11, v10 row_bcast:31 row_mask:0xf bank_mask:0xf
	s_and_saveexec_b64 s[28:29], s[8:9]
	s_cbranch_execz .LBB1015_13
; %bb.12:
	v_add_f32_e32 v10, v10, v11
	v_lshrrev_b32_e32 v11, 4, v0
	v_and_b32_e32 v11, 60, v11
	ds_write_b32 v11, v10 offset:32
.LBB1015_13:
	s_or_b64 exec, exec, s[28:29]
	v_and_b32_e32 v10, 7, v0
	v_lshlrev_b32_e32 v34, 2, v10
	s_waitcnt lgkmcnt(0)
	s_barrier
	ds_read_b32 v10, v34 offset:32
	s_load_dwordx2 s[36:37], s[4:5], 0x18
	s_waitcnt lgkmcnt(0)
	v_mov_b32_dpp v11, v10 quad_perm:[1,0,3,2] row_mask:0xf bank_mask:0xf
	v_add_f32_e32 v10, v10, v11
	s_nop 1
	v_mov_b32_dpp v11, v10 quad_perm:[2,3,0,1] row_mask:0xf bank_mask:0xf
	v_add_f32_e32 v10, v10, v11
	s_nop 1
	v_mov_b32_dpp v11, v10 row_half_mirror row_mask:0xf bank_mask:0xf
	s_and_saveexec_b64 s[28:29], s[0:1]
	s_cbranch_execnz .LBB1015_18
; %bb.14:
	s_or_b64 exec, exec, s[28:29]
	s_mov_b64 s[2:3], -1
	s_and_b64 vcc, exec, s[22:23]
	s_cbranch_vccnz .LBB1015_19
.LBB1015_15:
	s_andn2_b64 vcc, exec, s[2:3]
	s_cbranch_vccz .LBB1015_22
.LBB1015_16:
	s_cmp_lt_i32 s16, 1
	s_cbranch_scc0 .LBB1015_29
.LBB1015_17:
	s_endpgm
.LBB1015_18:
	v_cvt_f32_u32_e32 v12, s7
	v_add_f32_e32 v10, v10, v11
	s_waitcnt vmcnt(2)
	v_mov_b32_e32 v14, s13
	v_mov_b32_e32 v15, s12
	v_div_scale_f32 v11, s[38:39], v12, v12, v10
	v_rcp_f32_e32 v13, v11
	v_cndmask_b32_e64 v14, v14, v15, s[2:3]
	s_mov_b32 s2, 0x800000
	s_waitcnt vmcnt(1)
	v_cvt_f32_f16_sdwa v37, v9 dst_sel:DWORD dst_unused:UNUSED_PAD src0_sel:WORD_1
	v_fma_f32 v15, -v11, v13, 1.0
	v_fmac_f32_e32 v13, v15, v13
	v_div_scale_f32 v15, vcc, v10, v12, v10
	v_mul_f32_e32 v16, v15, v13
	v_fma_f32 v17, -v11, v16, v15
	v_fmac_f32_e32 v16, v17, v13
	v_fma_f32 v11, -v11, v16, v15
	v_div_fmas_f32 v11, v11, v13, v16
	v_div_fixup_f32 v10, v11, v12, v10
	v_add_f32_e32 v10, v14, v10
	v_mul_f32_e32 v11, 0x4b800000, v10
	v_cmp_gt_f32_e32 vcc, s2, v10
	v_cndmask_b32_e32 v10, v10, v11, vcc
	v_rsq_f32_e32 v10, v10
	v_cvt_f32_f16_e32 v36, v9
	s_waitcnt vmcnt(0)
	v_cvt_f32_f16_sdwa v9, v3 dst_sel:DWORD dst_unused:UNUSED_PAD src0_sel:WORD_1
	v_mul_f32_e32 v11, 0x45800000, v10
	v_cndmask_b32_e32 v10, v10, v11, vcc
	v_mov_b32_e32 v11, v10
	;;#ASMSTART
	v_pk_mul_f32 v[12:13], v[32:33], v[10:11]
	;;#ASMEND
	;;#ASMSTART
	v_pk_mul_f32 v[14:15], v[30:31], v[10:11]
	;;#ASMEND
	;; [unrolled: 3-line block ×8, first 2 shown]
	v_cvt_f32_f16_sdwa v19, v6 dst_sel:DWORD dst_unused:UNUSED_PAD src0_sel:WORD_1
	v_cvt_f32_f16_e32 v18, v6
	v_cvt_f32_f16_sdwa v29, v7 dst_sel:DWORD dst_unused:UNUSED_PAD src0_sel:WORD_1
	v_cvt_f32_f16_e32 v28, v7
	;; [unrolled: 2-line block ×3, first 2 shown]
	;;#ASMSTART
	v_pk_mul_f32 v[32:33], v[12:13], v[18:19]
	;;#ASMEND
	;;#ASMSTART
	v_pk_mul_f32 v[30:31], v[14:15], v[28:29]
	;;#ASMEND
	;; [unrolled: 3-line block ×4, first 2 shown]
	v_cvt_f32_f16_sdwa v7, v2 dst_sel:DWORD dst_unused:UNUSED_PAD src0_sel:WORD_1
	v_cvt_f32_f16_e32 v6, v2
	v_cvt_f32_f16_e32 v8, v3
	v_cvt_f32_f16_sdwa v3, v4 dst_sel:DWORD dst_unused:UNUSED_PAD src0_sel:WORD_1
	v_cvt_f32_f16_e32 v2, v4
	v_cvt_f32_f16_sdwa v13, v5 dst_sel:DWORD dst_unused:UNUSED_PAD src0_sel:WORD_1
	v_cvt_f32_f16_e32 v12, v5
	;;#ASMSTART
	v_pk_mul_f32 v[26:27], v[26:27], v[6:7]
	;;#ASMEND
	;;#ASMSTART
	v_pk_mul_f32 v[22:23], v[22:23], v[8:9]
	;;#ASMEND
	;; [unrolled: 3-line block ×4, first 2 shown]
	s_or_b64 exec, exec, s[28:29]
	s_mov_b64 s[2:3], -1
	s_and_b64 vcc, exec, s[22:23]
	s_cbranch_vccz .LBB1015_15
.LBB1015_19:
	s_and_saveexec_b64 s[2:3], s[0:1]
	s_cbranch_execz .LBB1015_21
; %bb.20:
	s_mul_hi_i32 s23, s10, s6
	s_mul_i32 s22, s10, s6
	s_waitcnt vmcnt(0)
	v_cvt_f16_f32_e32 v2, v32
	v_cvt_f16_f32_e32 v3, v30
	;; [unrolled: 1-line block ×8, first 2 shown]
	s_lshl_b64 s[22:23], s[22:23], 1
	s_add_u32 s28, s36, s22
	s_addc_u32 s7, s37, s23
	s_and_b32 s29, s7, 0xffff
	s_mov_b32 s31, 0x20000
	v_pack_b32_f16 v5, v5, v6
	v_pack_b32_f16 v4, v4, v7
	;; [unrolled: 1-line block ×4, first 2 shown]
	v_lshlrev_b32_e32 v6, 5, v0
	buffer_store_dwordx4 v[2:5], v6, s[28:31], 0 offen
	v_cvt_f16_f32_e32 v7, v19
	v_cvt_f16_f32_e32 v2, v26
	;; [unrolled: 1-line block ×8, first 2 shown]
	v_pack_b32_f16 v5, v5, v7
	v_pack_b32_f16 v4, v4, v8
	;; [unrolled: 1-line block ×4, first 2 shown]
	;;#ASMSTART
	s_nop 0
	;;#ASMEND
	buffer_store_dwordx4 v[2:5], v6, s[28:31], 16 offen
	;;#ASMSTART
	s_nop 0
	;;#ASMEND
.LBB1015_21:
	s_or_b64 exec, exec, s[2:3]
	s_cbranch_execnz .LBB1015_16
.LBB1015_22:
	s_waitcnt vmcnt(0)
	v_mov_b32_e32 v2, 0
	s_and_saveexec_b64 s[2:3], s[0:1]
	s_cbranch_execz .LBB1015_24
; %bb.23:
	v_and_b32_e32 v2, 0x7fffffff, v32
	v_and_b32_e32 v3, 0x7fffffff, v33
	v_mov_b32_e32 v4, 0x2edbe6ff
	;;#ASMSTART
	v_max3_f32 v2, v4, v2, v3

	;;#ASMEND
	v_and_b32_e32 v3, 0x7fffffff, v30
	v_and_b32_e32 v4, 0x7fffffff, v31
	;;#ASMSTART
	v_max3_f32 v2, v2, v3, v4

	;;#ASMEND
	v_and_b32_e32 v3, 0x7fffffff, v28
	v_and_b32_e32 v4, 0x7fffffff, v29
	;; [unrolled: 6-line block ×7, first 2 shown]
	;;#ASMSTART
	v_max3_f32 v2, v2, v3, v4

	;;#ASMEND
.LBB1015_24:
	s_or_b64 exec, exec, s[2:3]
	;;#ASMSTART
	v_max_f32 v3, v2, v2 quad_perm:[1,0,3,2] row_mask:0xf bank_mask:0xf bound_ctrl:1
	;;#ASMEND
	v_and_b32_e32 v2, 1, v0
	v_cmp_eq_u32_e32 vcc, 0, v2
	v_cmp_gt_i32_e64 s[2:3], s15, v1
	s_and_b64 s[22:23], vcc, s[2:3]
	s_and_saveexec_b64 s[2:3], s[22:23]
	s_cbranch_execz .LBB1015_26
; %bb.25:
	s_load_dwordx2 s[22:23], s[4:5], 0x8
	v_mul_f32_e32 v2, 0x3e2aaaab, v3
	v_lshrrev_b32_e32 v3, 23, v2
	v_and_b32_e32 v4, 0x7f800000, v2
	v_and_b32_e32 v2, 0x7fffff, v2
	v_cmp_ne_u32_e32 vcc, 0, v2
	s_mul_i32 s12, s25, s6
	s_mov_b32 s7, 0x7f800000
	v_addc_co_u32_e32 v2, vcc, 0, v3, vcc
	s_mul_hi_i32 s11, s25, s6
	s_waitcnt lgkmcnt(0)
	s_add_u32 s22, s22, s12
	v_cmp_ne_u32_e32 vcc, s7, v4
	s_addc_u32 s23, s23, s11
	v_lshrrev_b32_e32 v5, 1, v0
	v_cndmask_b32_e32 v4, -1, v2, vcc
	v_pk_mov_b32 v[2:3], s[22:23], s[22:23] op_sel:[0,1]
	v_mad_i64_i32 v[2:3], s[22:23], s26, v5, v[2:3]
	global_store_byte v[2:3], v4, off
.LBB1015_26:
	s_or_b64 exec, exec, s[2:3]
	s_and_saveexec_b64 s[2:3], s[0:1]
	s_cbranch_execz .LBB1015_28
; %bb.27:
	s_load_dwordx2 s[0:1], s[4:5], 0x0
	s_mul_i32 s11, s24, s6
	s_mul_hi_i32 s7, s24, s6
	v_mov_b32_e32 v2, 0
	v_lshlrev_b32_e32 v4, 3, v0
	s_waitcnt lgkmcnt(0)
	s_add_u32 s24, s0, s11
	s_addc_u32 s0, s1, s7
	s_lshr_b32 s1, s15, 31
	s_add_i32 s1, s15, s1
	s_ashr_i32 s1, s1, 1
	s_add_i32 s1, s1, 3
	s_ashr_i32 s7, s1, 31
	s_lshr_b32 s7, s7, 30
	s_add_i32 s1, s1, s7
	s_and_b32 s26, s1, -4
	s_and_b32 s25, s0, 0xffff
	s_mov_b32 s27, 0x20000
	v_mov_b32_e32 v3, v2
	buffer_store_dwordx2 v[2:3], v4, s[24:27], 0 offen
	;;#ASMSTART
	s_nop 0
	;;#ASMEND
.LBB1015_28:
	s_or_b64 exec, exec, s[2:3]
	s_cmp_lt_i32 s16, 1
	s_cbranch_scc1 .LBB1015_17
.LBB1015_29:
	s_load_dword s0, s[4:5], 0x94
	s_waitcnt lgkmcnt(0)
	s_cmp_lg_u32 s0, 1
	s_cbranch_scc1 .LBB1015_17
; %bb.30:
	s_lshl_b32 s0, s16, 1
	s_add_i32 s0, s0, 2
	v_cmp_gt_u32_e32 vcc, s16, v1
	s_and_b32 s22, s0, -4
	v_mov_b32_e32 v18, 0
	v_lshlrev_b32_e32 v1, 5, v0
	s_waitcnt vmcnt(2)
	v_mov_b32_e32 v14, 0
	v_mov_b32_e32 v15, 0
	;; [unrolled: 1-line block ×8, first 2 shown]
	s_waitcnt vmcnt(1)
	v_mov_b32_e32 v6, 0
	v_mov_b32_e32 v7, 0
	;; [unrolled: 1-line block ×4, first 2 shown]
	s_waitcnt vmcnt(0)
	v_mov_b32_e32 v2, 0
	v_mov_b32_e32 v3, 0
	v_mov_b32_e32 v4, 0
	v_mov_b32_e32 v5, 0
	s_barrier
	s_and_saveexec_b64 s[0:1], vcc
	s_cbranch_execz .LBB1015_32
; %bb.31:
	s_mul_hi_i32 s3, s18, s6
	s_mul_i32 s2, s18, s6
	s_and_b32 s21, s21, 0xffff
	s_lshl_b64 s[2:3], s[2:3], 1
	s_add_u32 s24, s34, s2
	s_mov_b32 s23, 0x20000
	s_addc_u32 s2, s35, s3
	s_and_b32 s25, s2, 0xffff
	s_mov_b32 s26, s22
	s_mov_b32 s27, s23
	buffer_load_dwordx4 v[14:17], v1, s[24:27], 0 offen
	buffer_load_dwordx4 v[10:13], v1, s[24:27], 16 offen
	;; [unrolled: 1-line block ×4, first 2 shown]
.LBB1015_32:
	s_or_b64 exec, exec, s[0:1]
	v_mov_b32_e32 v19, 0
	v_mov_b32_e32 v32, 0
	;; [unrolled: 1-line block ×15, first 2 shown]
	s_and_saveexec_b64 s[0:1], vcc
	s_cbranch_execz .LBB1015_34
; %bb.33:
	s_waitcnt vmcnt(3)
	v_cvt_f32_f16_sdwa v19, v14 dst_sel:DWORD dst_unused:UNUSED_PAD src0_sel:WORD_1
	v_cvt_f32_f16_e32 v18, v14
	v_cvt_f32_f16_sdwa v33, v15 dst_sel:DWORD dst_unused:UNUSED_PAD src0_sel:WORD_1
	v_cvt_f32_f16_e32 v32, v15
	;; [unrolled: 2-line block ×4, first 2 shown]
	s_waitcnt vmcnt(2)
	v_cvt_f32_f16_sdwa v27, v10 dst_sel:DWORD dst_unused:UNUSED_PAD src0_sel:WORD_1
	v_cvt_f32_f16_e32 v26, v10
	v_cvt_f32_f16_sdwa v25, v11 dst_sel:DWORD dst_unused:UNUSED_PAD src0_sel:WORD_1
	v_cvt_f32_f16_e32 v24, v11
	;; [unrolled: 2-line block ×4, first 2 shown]
.LBB1015_34:
	s_or_b64 exec, exec, s[0:1]
	s_waitcnt vmcnt(2)
	v_mul_f32_e32 v10, v19, v19
	v_fmac_f32_e32 v10, v18, v18
	v_fmac_f32_e32 v10, v32, v32
	;; [unrolled: 1-line block ×15, first 2 shown]
	s_nop 1
	v_mov_b32_dpp v11, v10 quad_perm:[1,0,3,2] row_mask:0xf bank_mask:0xf
	v_add_f32_e32 v10, v10, v11
	s_nop 1
	v_mov_b32_dpp v11, v10 quad_perm:[2,3,0,1] row_mask:0xf bank_mask:0xf
	v_add_f32_e32 v10, v10, v11
	s_nop 1
	v_mov_b32_dpp v11, v10 row_half_mirror row_mask:0xf bank_mask:0xf
	v_add_f32_e32 v10, v10, v11
	s_nop 1
	v_mov_b32_dpp v11, v10 row_mirror row_mask:0xf bank_mask:0xf
	v_add_f32_e32 v10, v10, v11
	s_nop 1
	v_mov_b32_dpp v11, v10 row_bcast:15 row_mask:0xf bank_mask:0xf
	v_add_f32_e32 v10, v10, v11
	s_nop 1
	v_mov_b32_dpp v11, v10 row_bcast:31 row_mask:0xf bank_mask:0xf
	s_and_saveexec_b64 s[0:1], s[8:9]
	s_cbranch_execz .LBB1015_36
; %bb.35:
	v_lshrrev_b32_e32 v0, 4, v0
	v_add_f32_e32 v10, v10, v11
	v_and_b32_e32 v0, 60, v0
	ds_write_b32 v0, v10
.LBB1015_36:
	s_or_b64 exec, exec, s[0:1]
	s_waitcnt lgkmcnt(0)
	s_barrier
	ds_read_b32 v0, v34
	s_waitcnt lgkmcnt(0)
	s_nop 0
	v_mov_b32_dpp v10, v0 quad_perm:[1,0,3,2] row_mask:0xf bank_mask:0xf
	v_add_f32_e32 v0, v0, v10
	s_nop 1
	v_mov_b32_dpp v10, v0 quad_perm:[2,3,0,1] row_mask:0xf bank_mask:0xf
	v_add_f32_e32 v0, v0, v10
	s_nop 1
	v_mov_b32_dpp v10, v0 row_half_mirror row_mask:0xf bank_mask:0xf
	s_and_saveexec_b64 s[0:1], vcc
	s_cbranch_execz .LBB1015_17
; %bb.37:
	v_cvt_f32_u32_e32 v11, s16
	v_add_f32_e32 v0, v0, v10
	s_mov_b32 s23, 0x20000
	v_div_scale_f32 v10, s[0:1], v11, v11, v0
	v_rcp_f32_e32 v12, v10
	v_div_scale_f32 v13, vcc, v0, v11, v0
	s_mov_b32 s0, 0x800000
	v_fma_f32 v14, -v10, v12, 1.0
	v_fmac_f32_e32 v12, v14, v12
	v_mul_f32_e32 v14, v13, v12
	v_fma_f32 v15, -v10, v14, v13
	v_fmac_f32_e32 v14, v15, v12
	v_fma_f32 v10, -v10, v14, v13
	v_div_fmas_f32 v10, v10, v12, v14
	v_div_fixup_f32 v0, v10, v11, v0
	v_add_f32_e32 v0, s13, v0
	v_mul_f32_e32 v10, 0x4b800000, v0
	v_cmp_gt_f32_e32 vcc, s0, v0
	v_cndmask_b32_e32 v0, v0, v10, vcc
	v_rsq_f32_e32 v0, v0
	s_mul_hi_i32 s1, s10, s6
	s_mul_i32 s0, s10, s6
	s_lshl_b64 s[0:1], s[0:1], 1
	v_mul_f32_e32 v10, 0x45800000, v0
	v_cndmask_b32_e32 v10, v0, v10, vcc
	v_mov_b32_e32 v11, v10
	;;#ASMSTART
	v_pk_mul_f32 v[12:13], v[18:19], v[10:11]
	;;#ASMEND
	;;#ASMSTART
	v_pk_mul_f32 v[14:15], v[32:33], v[10:11]
	;;#ASMEND
	;; [unrolled: 3-line block ×8, first 2 shown]
	s_waitcnt vmcnt(1)
	v_cvt_f32_f16_sdwa v21, v6 dst_sel:DWORD dst_unused:UNUSED_PAD src0_sel:WORD_1
	v_cvt_f32_f16_e32 v20, v6
	v_cvt_f32_f16_sdwa v29, v7 dst_sel:DWORD dst_unused:UNUSED_PAD src0_sel:WORD_1
	v_cvt_f32_f16_e32 v28, v7
	;; [unrolled: 2-line block ×4, first 2 shown]
	;;#ASMSTART
	v_pk_mul_f32 v[8:9], v[12:13], v[20:21]
	;;#ASMEND
	;;#ASMSTART
	v_pk_mul_f32 v[12:13], v[14:15], v[28:29]
	;;#ASMEND
	;; [unrolled: 3-line block ×4, first 2 shown]
	s_waitcnt vmcnt(0)
	v_cvt_f32_f16_sdwa v17, v2 dst_sel:DWORD dst_unused:UNUSED_PAD src0_sel:WORD_1
	v_cvt_f32_f16_e32 v16, v2
	v_cvt_f32_f16_sdwa v19, v3 dst_sel:DWORD dst_unused:UNUSED_PAD src0_sel:WORD_1
	v_cvt_f32_f16_e32 v18, v3
	;; [unrolled: 2-line block ×4, first 2 shown]
	;;#ASMSTART
	v_pk_mul_f32 v[16:17], v[26:27], v[16:17]
	;;#ASMEND
	;;#ASMSTART
	v_pk_mul_f32 v[18:19], v[24:25], v[18:19]
	;;#ASMEND
	;; [unrolled: 3-line block ×3, first 2 shown]
	v_cvt_f16_f32_e32 v0, v8
	v_cvt_f16_f32_e32 v2, v9
	v_cvt_f16_f32_e32 v3, v12
	v_cvt_f16_f32_e32 v4, v13
	v_cvt_f16_f32_e32 v5, v6
	v_cvt_f16_f32_e32 v6, v7
	v_cvt_f16_f32_e32 v7, v14
	v_cvt_f16_f32_e32 v8, v15
	s_add_u32 s20, s36, s0
	s_addc_u32 s0, s37, s1
	s_and_b32 s21, s0, 0xffff
	v_pack_b32_f16 v2, v0, v2
	v_pack_b32_f16 v3, v3, v4
	;; [unrolled: 1-line block ×4, first 2 shown]
	;;#ASMSTART
	v_pk_mul_f32 v[10:11], v[10:11], v[20:21]
	;;#ASMEND
	buffer_store_dwordx4 v[2:5], v1, s[20:23], 0 offen
	v_cvt_f16_f32_e32 v0, v16
	v_cvt_f16_f32_e32 v2, v17
	v_cvt_f16_f32_e32 v3, v18
	v_cvt_f16_f32_e32 v4, v19
	v_cvt_f16_f32_e32 v5, v22
	v_cvt_f16_f32_e32 v6, v23
	v_cvt_f16_f32_e32 v7, v10
	v_cvt_f16_f32_e32 v8, v11
	v_pack_b32_f16 v2, v0, v2
	v_pack_b32_f16 v3, v3, v4
	;; [unrolled: 1-line block ×4, first 2 shown]
	;;#ASMSTART
	s_nop 0
	;;#ASMEND
	buffer_store_dwordx4 v[2:5], v1, s[20:23], 16 offen
	;;#ASMSTART
	s_nop 0
	;;#ASMEND
	s_endpgm
	.section	.rodata,"a",@progbits
	.p2align	6, 0x0
	.amdhsa_kernel _ZN5aiter35fused_qk_rmsnorm_group_quant_kernelIDF16_N4opus5fp4_tELi512ELi16ELi2ELb1ELb0ELb0ELb0ELb0ELb0EEEvPT0_PvPT_S7_S7_PKS6_S9_S9_S9_S9_ffiiiiiiiiiiiii
		.amdhsa_group_segment_fixed_size 64
		.amdhsa_private_segment_fixed_size 0
		.amdhsa_kernarg_size 400
		.amdhsa_user_sgpr_count 6
		.amdhsa_user_sgpr_private_segment_buffer 1
		.amdhsa_user_sgpr_dispatch_ptr 0
		.amdhsa_user_sgpr_queue_ptr 0
		.amdhsa_user_sgpr_kernarg_segment_ptr 1
		.amdhsa_user_sgpr_dispatch_id 0
		.amdhsa_user_sgpr_flat_scratch_init 0
		.amdhsa_user_sgpr_kernarg_preload_length 0
		.amdhsa_user_sgpr_kernarg_preload_offset 0
		.amdhsa_user_sgpr_private_segment_size 0
		.amdhsa_uses_dynamic_stack 0
		.amdhsa_system_sgpr_private_segment_wavefront_offset 0
		.amdhsa_system_sgpr_workgroup_id_x 1
		.amdhsa_system_sgpr_workgroup_id_y 1
		.amdhsa_system_sgpr_workgroup_id_z 0
		.amdhsa_system_sgpr_workgroup_info 0
		.amdhsa_system_vgpr_workitem_id 0
		.amdhsa_next_free_vgpr 47
		.amdhsa_next_free_sgpr 40
		.amdhsa_accum_offset 48
		.amdhsa_reserve_vcc 1
		.amdhsa_reserve_flat_scratch 0
		.amdhsa_float_round_mode_32 0
		.amdhsa_float_round_mode_16_64 0
		.amdhsa_float_denorm_mode_32 3
		.amdhsa_float_denorm_mode_16_64 3
		.amdhsa_dx10_clamp 1
		.amdhsa_ieee_mode 1
		.amdhsa_fp16_overflow 0
		.amdhsa_tg_split 0
		.amdhsa_exception_fp_ieee_invalid_op 0
		.amdhsa_exception_fp_denorm_src 0
		.amdhsa_exception_fp_ieee_div_zero 0
		.amdhsa_exception_fp_ieee_overflow 0
		.amdhsa_exception_fp_ieee_underflow 0
		.amdhsa_exception_fp_ieee_inexact 0
		.amdhsa_exception_int_div_zero 0
	.end_amdhsa_kernel
	.section	.text._ZN5aiter35fused_qk_rmsnorm_group_quant_kernelIDF16_N4opus5fp4_tELi512ELi16ELi2ELb1ELb0ELb0ELb0ELb0ELb0EEEvPT0_PvPT_S7_S7_PKS6_S9_S9_S9_S9_ffiiiiiiiiiiiii,"axG",@progbits,_ZN5aiter35fused_qk_rmsnorm_group_quant_kernelIDF16_N4opus5fp4_tELi512ELi16ELi2ELb1ELb0ELb0ELb0ELb0ELb0EEEvPT0_PvPT_S7_S7_PKS6_S9_S9_S9_S9_ffiiiiiiiiiiiii,comdat
.Lfunc_end1015:
	.size	_ZN5aiter35fused_qk_rmsnorm_group_quant_kernelIDF16_N4opus5fp4_tELi512ELi16ELi2ELb1ELb0ELb0ELb0ELb0ELb0EEEvPT0_PvPT_S7_S7_PKS6_S9_S9_S9_S9_ffiiiiiiiiiiiii, .Lfunc_end1015-_ZN5aiter35fused_qk_rmsnorm_group_quant_kernelIDF16_N4opus5fp4_tELi512ELi16ELi2ELb1ELb0ELb0ELb0ELb0ELb0EEEvPT0_PvPT_S7_S7_PKS6_S9_S9_S9_S9_ffiiiiiiiiiiiii
                                        ; -- End function
	.section	.AMDGPU.csdata,"",@progbits
; Kernel info:
; codeLenInByte = 3776
; NumSgprs: 44
; NumVgprs: 47
; NumAgprs: 0
; TotalNumVgprs: 47
; ScratchSize: 0
; MemoryBound: 0
; FloatMode: 240
; IeeeMode: 1
; LDSByteSize: 64 bytes/workgroup (compile time only)
; SGPRBlocks: 5
; VGPRBlocks: 5
; NumSGPRsForWavesPerEU: 44
; NumVGPRsForWavesPerEU: 47
; AccumOffset: 48
; Occupancy: 8
; WaveLimiterHint : 0
; COMPUTE_PGM_RSRC2:SCRATCH_EN: 0
; COMPUTE_PGM_RSRC2:USER_SGPR: 6
; COMPUTE_PGM_RSRC2:TRAP_HANDLER: 0
; COMPUTE_PGM_RSRC2:TGID_X_EN: 1
; COMPUTE_PGM_RSRC2:TGID_Y_EN: 1
; COMPUTE_PGM_RSRC2:TGID_Z_EN: 0
; COMPUTE_PGM_RSRC2:TIDIG_COMP_CNT: 0
; COMPUTE_PGM_RSRC3_GFX90A:ACCUM_OFFSET: 11
; COMPUTE_PGM_RSRC3_GFX90A:TG_SPLIT: 0
	.section	.text._ZN5aiter35fused_qk_rmsnorm_group_quant_kernelItN4opus5fp4_tELi512ELi16ELi2ELb1ELb0ELb0ELb0ELb0ELb0EEEvPT0_PvPT_S7_S7_PKS6_S9_S9_S9_S9_ffiiiiiiiiiiiii,"axG",@progbits,_ZN5aiter35fused_qk_rmsnorm_group_quant_kernelItN4opus5fp4_tELi512ELi16ELi2ELb1ELb0ELb0ELb0ELb0ELb0EEEvPT0_PvPT_S7_S7_PKS6_S9_S9_S9_S9_ffiiiiiiiiiiiii,comdat
	.protected	_ZN5aiter35fused_qk_rmsnorm_group_quant_kernelItN4opus5fp4_tELi512ELi16ELi2ELb1ELb0ELb0ELb0ELb0ELb0EEEvPT0_PvPT_S7_S7_PKS6_S9_S9_S9_S9_ffiiiiiiiiiiiii ; -- Begin function _ZN5aiter35fused_qk_rmsnorm_group_quant_kernelItN4opus5fp4_tELi512ELi16ELi2ELb1ELb0ELb0ELb0ELb0ELb0EEEvPT0_PvPT_S7_S7_PKS6_S9_S9_S9_S9_ffiiiiiiiiiiiii
	.globl	_ZN5aiter35fused_qk_rmsnorm_group_quant_kernelItN4opus5fp4_tELi512ELi16ELi2ELb1ELb0ELb0ELb0ELb0ELb0EEEvPT0_PvPT_S7_S7_PKS6_S9_S9_S9_S9_ffiiiiiiiiiiiii
	.p2align	8
	.type	_ZN5aiter35fused_qk_rmsnorm_group_quant_kernelItN4opus5fp4_tELi512ELi16ELi2ELb1ELb0ELb0ELb0ELb0ELb0EEEvPT0_PvPT_S7_S7_PKS6_S9_S9_S9_S9_ffiiiiiiiiiiiii,@function
_ZN5aiter35fused_qk_rmsnorm_group_quant_kernelItN4opus5fp4_tELi512ELi16ELi2ELb1ELb0ELb0ELb0ELb0ELb0EEEvPT0_PvPT_S7_S7_PKS6_S9_S9_S9_S9_ffiiiiiiiiiiiii: ; @_ZN5aiter35fused_qk_rmsnorm_group_quant_kernelItN4opus5fp4_tELi512ELi16ELi2ELb1ELb0ELb0ELb0ELb0ELb0EEEvPT0_PvPT_S7_S7_PKS6_S9_S9_S9_S9_ffiiiiiiiiiiiii
; %bb.0:
	s_load_dwordx8 s[12:19], s[4:5], 0x50
	s_waitcnt lgkmcnt(0)
	s_cmp_ge_i32 s6, s14
	s_cbranch_scc1 .LBB1016_17
; %bb.1:
	s_cmp_lg_u32 s7, 0
	s_cselect_b64 s[22:23], -1, 0
	s_cmp_eq_u32 s7, 0
	s_cselect_b64 s[2:3], -1, 0
	s_and_b64 s[0:1], s[2:3], exec
	s_load_dwordx2 s[20:21], s[4:5], 0x48
	s_load_dwordx2 s[34:35], s[4:5], 0x30
	s_load_dwordx4 s[24:27], s[4:5], 0x70
	s_cselect_b32 s7, s15, s16
	s_add_i32 s0, s7, 1
	s_lshr_b32 s1, s0, 31
	s_add_i32 s0, s0, s1
	s_lshl_b32 s0, s0, 1
	v_lshlrev_b32_e32 v1, 4, v0
	s_and_b32 s30, s0, -4
	v_cmp_gt_i32_e64 s[0:1], s7, v1
	v_mov_b32_e32 v80, 0
	v_mov_b32_e32 v81, 0
	;; [unrolled: 1-line block ×16, first 2 shown]
	s_and_saveexec_b64 s[8:9], s[0:1]
	s_cbranch_execz .LBB1016_3
; %bb.2:
	s_load_dwordx2 s[10:11], s[4:5], 0x28
	s_load_dwordx2 s[28:29], s[4:5], 0x40
	s_and_b64 s[36:37], s[2:3], exec
	s_cselect_b32 s14, s17, s18
	s_mov_b32 s31, 0x20000
	s_waitcnt lgkmcnt(0)
	s_cselect_b32 s17, s11, s35
	s_cselect_b32 s27, s10, s34
	s_mul_hi_i32 s11, s14, s6
	s_mul_i32 s10, s14, s6
	s_lshl_b64 s[10:11], s[10:11], 1
	s_add_u32 s36, s27, s10
	s_addc_u32 s14, s17, s11
	s_and_b64 s[10:11], s[2:3], exec
	s_cselect_b32 s28, s28, s20
	s_cselect_b32 s10, s29, s21
	s_and_b32 s37, s14, 0xffff
	s_mov_b32 s38, s30
	s_mov_b32 s39, s31
	v_lshlrev_b32_e32 v2, 5, v0
	s_and_b32 s29, s10, 0xffff
	buffer_load_dwordx4 v[84:87], v2, s[36:39], 0 offen
	buffer_load_dwordx4 v[88:91], v2, s[36:39], 16 offen
	;; [unrolled: 1-line block ×4, first 2 shown]
.LBB1016_3:
	s_or_b64 exec, exec, s[8:9]
	s_load_dwordx2 s[10:11], s[4:5], 0x80
	s_and_b64 vcc, exec, s[22:23]
	s_cbranch_vccz .LBB1016_7
; %bb.4:
	v_mov_b32_e32 v93, 0
	v_mov_b32_e32 v92, 0
	;; [unrolled: 1-line block ×16, first 2 shown]
	s_and_saveexec_b64 s[8:9], s[0:1]
	s_cbranch_execz .LBB1016_6
; %bb.5:
	s_waitcnt vmcnt(3)
	v_cvt_f32_u32_sdwa v32, v84 dst_sel:DWORD dst_unused:UNUSED_PAD src0_sel:WORD_0
	v_cvt_f32_u32_sdwa v33, v84 dst_sel:DWORD dst_unused:UNUSED_PAD src0_sel:WORD_1
	v_cvt_f32_u32_sdwa v18, v85 dst_sel:DWORD dst_unused:UNUSED_PAD src0_sel:WORD_0
	v_cvt_f32_u32_sdwa v19, v85 dst_sel:DWORD dst_unused:UNUSED_PAD src0_sel:WORD_1
	;; [unrolled: 2-line block ×4, first 2 shown]
	s_waitcnt vmcnt(2)
	v_cvt_f32_u32_sdwa v68, v88 dst_sel:DWORD dst_unused:UNUSED_PAD src0_sel:WORD_0
	v_cvt_f32_u32_sdwa v69, v88 dst_sel:DWORD dst_unused:UNUSED_PAD src0_sel:WORD_1
	v_cvt_f32_u32_sdwa v62, v89 dst_sel:DWORD dst_unused:UNUSED_PAD src0_sel:WORD_0
	v_cvt_f32_u32_sdwa v63, v89 dst_sel:DWORD dst_unused:UNUSED_PAD src0_sel:WORD_1
	;; [unrolled: 2-line block ×4, first 2 shown]
.LBB1016_6:
	s_or_b64 exec, exec, s[8:9]
	s_cbranch_execz .LBB1016_8
	s_branch .LBB1016_11
.LBB1016_7:
                                        ; implicit-def: $vgpr32_vgpr33_vgpr34_vgpr35_vgpr36_vgpr37_vgpr38_vgpr39_vgpr40_vgpr41_vgpr42_vgpr43_vgpr44_vgpr45_vgpr46_vgpr47
                                        ; implicit-def: $vgpr46_vgpr47_vgpr48_vgpr49_vgpr50_vgpr51_vgpr52_vgpr53_vgpr54_vgpr55_vgpr56_vgpr57_vgpr58_vgpr59_vgpr60_vgpr61
                                        ; implicit-def: $vgpr16_vgpr17_vgpr18_vgpr19_vgpr20_vgpr21_vgpr22_vgpr23_vgpr24_vgpr25_vgpr26_vgpr27_vgpr28_vgpr29_vgpr30_vgpr31
                                        ; implicit-def: $vgpr93
                                        ; implicit-def: $vgpr2_vgpr3_vgpr4_vgpr5_vgpr6_vgpr7_vgpr8_vgpr9_vgpr10_vgpr11_vgpr12_vgpr13_vgpr14_vgpr15_vgpr16_vgpr17
                                        ; implicit-def: $vgpr60_vgpr61_vgpr62_vgpr63_vgpr64_vgpr65_vgpr66_vgpr67_vgpr68_vgpr69_vgpr70_vgpr71_vgpr72_vgpr73_vgpr74_vgpr75
                                        ; implicit-def: $vgpr34_vgpr35_vgpr36_vgpr37_vgpr38_vgpr39_vgpr40_vgpr41_vgpr42_vgpr43_vgpr44_vgpr45_vgpr46_vgpr47_vgpr48_vgpr49
                                        ; implicit-def: $vgpr52_vgpr53_vgpr54_vgpr55_vgpr56_vgpr57_vgpr58_vgpr59_vgpr60_vgpr61_vgpr62_vgpr63_vgpr64_vgpr65_vgpr66_vgpr67
.LBB1016_8:
	v_mov_b32_e32 v93, 0
	v_mov_b32_e32 v92, 0
	;; [unrolled: 1-line block ×16, first 2 shown]
	s_and_saveexec_b64 s[8:9], s[0:1]
	s_cbranch_execz .LBB1016_10
; %bb.9:
	s_load_dwordx2 s[28:29], s[4:5], 0x38
	s_mul_hi_i32 s37, s19, s6
	s_mul_i32 s36, s19, s6
	s_lshl_b64 s[36:37], s[36:37], 1
	s_mov_b32 s31, 0x20000
	s_waitcnt lgkmcnt(0)
	s_add_u32 s28, s28, s36
	s_addc_u32 s14, s29, s37
	s_and_b32 s29, s14, 0xffff
	v_lshlrev_b32_e32 v36, 5, v0
	buffer_load_dwordx4 v[4:7], v36, s[28:31], 16 offen
	buffer_load_dwordx4 v[8:11], v36, s[28:31], 0 offen
	s_load_dwordx2 s[28:29], s[4:5], 0x20
	s_waitcnt vmcnt(5)
	v_cvt_f32_u32_sdwa v21, v84 dst_sel:DWORD dst_unused:UNUSED_PAD src0_sel:WORD_1
	v_cvt_f32_u32_sdwa v20, v84 dst_sel:DWORD dst_unused:UNUSED_PAD src0_sel:WORD_0
	v_cvt_f32_u32_sdwa v19, v85 dst_sel:DWORD dst_unused:UNUSED_PAD src0_sel:WORD_1
	v_cvt_f32_u32_sdwa v18, v85 dst_sel:DWORD dst_unused:UNUSED_PAD src0_sel:WORD_0
	;; [unrolled: 2-line block ×4, first 2 shown]
	s_waitcnt vmcnt(4)
	v_cvt_f32_u32_sdwa v3, v88 dst_sel:DWORD dst_unused:UNUSED_PAD src0_sel:WORD_1
	v_cvt_f32_u32_sdwa v2, v88 dst_sel:DWORD dst_unused:UNUSED_PAD src0_sel:WORD_0
	v_cvt_f32_u32_sdwa v13, v89 dst_sel:DWORD dst_unused:UNUSED_PAD src0_sel:WORD_1
	v_cvt_f32_u32_sdwa v12, v89 dst_sel:DWORD dst_unused:UNUSED_PAD src0_sel:WORD_0
	;; [unrolled: 2-line block ×3, first 2 shown]
	v_cvt_f32_u32_sdwa v16, v91 dst_sel:DWORD dst_unused:UNUSED_PAD src0_sel:WORD_0
	v_cvt_f32_u32_sdwa v17, v91 dst_sel:DWORD dst_unused:UNUSED_PAD src0_sel:WORD_1
	s_mul_hi_i32 s37, s11, s6
	s_mul_i32 s36, s11, s6
	s_lshl_b64 s[36:37], s[36:37], 1
	s_waitcnt lgkmcnt(0)
	s_add_u32 s28, s28, s36
	s_mov_b32 s11, 0x7060302
	s_addc_u32 s14, s29, s37
	s_and_b32 s29, s14, 0xffff
	s_waitcnt vmcnt(1)
	v_cvt_f32_u32_sdwa v27, v4 dst_sel:DWORD dst_unused:UNUSED_PAD src0_sel:WORD_1
	v_cvt_f32_u32_sdwa v26, v4 dst_sel:DWORD dst_unused:UNUSED_PAD src0_sel:WORD_0
	v_cvt_f32_u32_sdwa v29, v5 dst_sel:DWORD dst_unused:UNUSED_PAD src0_sel:WORD_1
	v_cvt_f32_u32_sdwa v28, v5 dst_sel:DWORD dst_unused:UNUSED_PAD src0_sel:WORD_0
	;; [unrolled: 2-line block ×3, first 2 shown]
	v_cvt_f32_u32_sdwa v34, v7 dst_sel:DWORD dst_unused:UNUSED_PAD src0_sel:WORD_0
	v_cvt_f32_u32_sdwa v35, v7 dst_sel:DWORD dst_unused:UNUSED_PAD src0_sel:WORD_1
	s_waitcnt vmcnt(0)
	v_cvt_f32_u32_sdwa v33, v8 dst_sel:DWORD dst_unused:UNUSED_PAD src0_sel:WORD_1
	v_cvt_f32_u32_sdwa v32, v8 dst_sel:DWORD dst_unused:UNUSED_PAD src0_sel:WORD_0
	v_cvt_f32_u32_sdwa v5, v10 dst_sel:DWORD dst_unused:UNUSED_PAD src0_sel:WORD_1
	v_cvt_f32_u32_sdwa v4, v10 dst_sel:DWORD dst_unused:UNUSED_PAD src0_sel:WORD_0
	;; [unrolled: 2-line block ×4, first 2 shown]
	v_pk_add_f32 v[50:51], v[22:23], v[4:5]
	v_pk_add_f32 v[40:41], v[24:25], v[6:7]
	;; [unrolled: 1-line block ×4, first 2 shown]
	v_perm_b32 v7, v41, v40, s11
	v_perm_b32 v6, v51, v50, s11
	;; [unrolled: 1-line block ×4, first 2 shown]
	v_pk_add_f32 v[92:93], v[16:17], v[34:35]
	v_pk_add_f32 v[14:15], v[14:15], v[30:31]
	;; [unrolled: 1-line block ×4, first 2 shown]
	buffer_store_dwordx4 v[4:7], v36, s[28:31], 0 offen
	;;#ASMSTART
	s_nop 0
	;;#ASMEND
	s_nop 0
	v_perm_b32 v7, v93, v92, s11
	v_perm_b32 v6, v15, v14, s11
	;; [unrolled: 1-line block ×4, first 2 shown]
	buffer_store_dwordx4 v[4:7], v36, s[28:31], 16 offen
	;;#ASMSTART
	s_nop 0
	;;#ASMEND
.LBB1016_10:
	s_or_b64 exec, exec, s[8:9]
.LBB1016_11:
	v_mul_f32_e32 v2, v33, v33
	v_fmac_f32_e32 v2, v32, v32
	v_fmac_f32_e32 v2, v18, v18
	;; [unrolled: 1-line block ×15, first 2 shown]
	s_nop 1
	v_mov_b32_dpp v3, v2 quad_perm:[1,0,3,2] row_mask:0xf bank_mask:0xf
	v_add_f32_e32 v2, v2, v3
	s_nop 1
	v_mov_b32_dpp v3, v2 quad_perm:[2,3,0,1] row_mask:0xf bank_mask:0xf
	v_add_f32_e32 v2, v2, v3
	s_nop 1
	v_mov_b32_dpp v3, v2 row_half_mirror row_mask:0xf bank_mask:0xf
	v_add_f32_e32 v2, v2, v3
	s_nop 1
	v_mov_b32_dpp v3, v2 row_mirror row_mask:0xf bank_mask:0xf
	v_add_f32_e32 v2, v2, v3
	s_nop 1
	v_mov_b32_dpp v3, v2 row_bcast:15 row_mask:0xf bank_mask:0xf
	v_add_f32_e32 v2, v2, v3
	v_and_b32_e32 v3, 63, v0
	v_cmp_eq_u32_e64 s[8:9], 63, v3
	s_nop 0
	v_mov_b32_dpp v3, v2 row_bcast:31 row_mask:0xf bank_mask:0xf
	s_and_saveexec_b64 s[28:29], s[8:9]
	s_cbranch_execz .LBB1016_13
; %bb.12:
	v_add_f32_e32 v2, v2, v3
	v_lshrrev_b32_e32 v3, 4, v0
	v_and_b32_e32 v3, 60, v3
	ds_write_b32 v3, v2 offset:32
.LBB1016_13:
	s_or_b64 exec, exec, s[28:29]
	v_and_b32_e32 v2, 7, v0
	v_lshlrev_b32_e32 v34, 2, v2
	s_waitcnt lgkmcnt(0)
	s_barrier
	ds_read_b32 v2, v34 offset:32
	s_load_dwordx2 s[36:37], s[4:5], 0x18
	s_waitcnt lgkmcnt(0)
	v_mov_b32_dpp v3, v2 quad_perm:[1,0,3,2] row_mask:0xf bank_mask:0xf
	v_add_f32_e32 v2, v2, v3
	s_nop 1
	v_mov_b32_dpp v3, v2 quad_perm:[2,3,0,1] row_mask:0xf bank_mask:0xf
	v_add_f32_e32 v2, v2, v3
	s_nop 1
	v_mov_b32_dpp v3, v2 row_half_mirror row_mask:0xf bank_mask:0xf
	s_and_saveexec_b64 s[28:29], s[0:1]
	s_cbranch_execnz .LBB1016_18
; %bb.14:
	s_or_b64 exec, exec, s[28:29]
	s_mov_b64 s[2:3], -1
	s_and_b64 vcc, exec, s[22:23]
	s_cbranch_vccnz .LBB1016_19
.LBB1016_15:
	s_andn2_b64 vcc, exec, s[2:3]
	s_cbranch_vccz .LBB1016_22
.LBB1016_16:
	s_cmp_lt_i32 s16, 1
	s_cbranch_scc0 .LBB1016_29
.LBB1016_17:
	s_endpgm
.LBB1016_18:
	v_add_f32_e32 v2, v2, v3
	v_cvt_f32_u32_e32 v3, s7
	s_waitcnt vmcnt(1)
	v_cvt_f32_u32_sdwa v21, v81 dst_sel:DWORD dst_unused:UNUSED_PAD src0_sel:WORD_1
	v_cvt_f32_u32_sdwa v20, v81 dst_sel:DWORD dst_unused:UNUSED_PAD src0_sel:WORD_0
	s_waitcnt vmcnt(0)
	v_cvt_f32_u32_sdwa v23, v77 dst_sel:DWORD dst_unused:UNUSED_PAD src0_sel:WORD_1
	v_div_scale_f32 v4, s[38:39], v3, v3, v2
	v_rcp_f32_e32 v5, v4
	v_cvt_f32_u32_sdwa v22, v77 dst_sel:DWORD dst_unused:UNUSED_PAD src0_sel:WORD_0
	v_cvt_f32_u32_sdwa v25, v78 dst_sel:DWORD dst_unused:UNUSED_PAD src0_sel:WORD_1
	v_cvt_f32_u32_sdwa v24, v78 dst_sel:DWORD dst_unused:UNUSED_PAD src0_sel:WORD_0
	v_fma_f32 v6, -v4, v5, 1.0
	v_fmac_f32_e32 v5, v6, v5
	v_div_scale_f32 v6, vcc, v2, v3, v2
	v_mul_f32_e32 v7, v6, v5
	v_fma_f32 v8, -v4, v7, v6
	v_fmac_f32_e32 v7, v8, v5
	v_fma_f32 v4, -v4, v7, v6
	v_div_fmas_f32 v4, v4, v5, v7
	v_div_fixup_f32 v2, v4, v3, v2
	v_mov_b32_e32 v3, s13
	v_mov_b32_e32 v4, s12
	v_cndmask_b32_e64 v3, v3, v4, s[2:3]
	v_add_f32_e32 v2, v3, v2
	s_mov_b32 s2, 0x800000
	v_mul_f32_e32 v3, 0x4b800000, v2
	v_cmp_gt_f32_e32 vcc, s2, v2
	v_cndmask_b32_e32 v2, v2, v3, vcc
	v_rsq_f32_e32 v2, v2
	v_cvt_f32_u32_sdwa v27, v79 dst_sel:DWORD dst_unused:UNUSED_PAD src0_sel:WORD_1
	v_cvt_f32_u32_sdwa v26, v79 dst_sel:DWORD dst_unused:UNUSED_PAD src0_sel:WORD_0
	v_mul_f32_e32 v3, 0x45800000, v2
	v_cndmask_b32_e32 v2, v2, v3, vcc
	v_mov_b32_e32 v3, v2
	;;#ASMSTART
	v_pk_mul_f32 v[4:5], v[32:33], v[2:3]
	;;#ASMEND
	;;#ASMSTART
	v_pk_mul_f32 v[6:7], v[18:19], v[2:3]
	;;#ASMEND
	;; [unrolled: 3-line block ×6, first 2 shown]
	v_cvt_f32_u32_sdwa v19, v80 dst_sel:DWORD dst_unused:UNUSED_PAD src0_sel:WORD_1
	v_cvt_f32_u32_sdwa v18, v80 dst_sel:DWORD dst_unused:UNUSED_PAD src0_sel:WORD_0
	;;#ASMSTART
	v_pk_mul_f32 v[14:15], v[14:15], v[2:3]
	;;#ASMEND
	;;#ASMSTART
	v_pk_mul_f32 v[2:3], v[92:93], v[2:3]
	;;#ASMEND
	;; [unrolled: 3-line block ×4, first 2 shown]
	v_cvt_f32_u32_sdwa v5, v82 dst_sel:DWORD dst_unused:UNUSED_PAD src0_sel:WORD_1
	v_cvt_f32_u32_sdwa v4, v82 dst_sel:DWORD dst_unused:UNUSED_PAD src0_sel:WORD_0
	v_cvt_f32_u32_sdwa v7, v83 dst_sel:DWORD dst_unused:UNUSED_PAD src0_sel:WORD_1
	v_cvt_f32_u32_sdwa v6, v83 dst_sel:DWORD dst_unused:UNUSED_PAD src0_sel:WORD_0
	;; [unrolled: 2-line block ×3, first 2 shown]
	;;#ASMSTART
	v_pk_mul_f32 v[50:51], v[8:9], v[4:5]
	;;#ASMEND
	;;#ASMSTART
	v_pk_mul_f32 v[40:41], v[10:11], v[6:7]
	;;#ASMEND
	;; [unrolled: 3-line block ×6, first 2 shown]
	s_or_b64 exec, exec, s[28:29]
	s_mov_b64 s[2:3], -1
	s_and_b64 vcc, exec, s[22:23]
	s_cbranch_vccz .LBB1016_15
.LBB1016_19:
	s_and_saveexec_b64 s[2:3], s[0:1]
	s_cbranch_execz .LBB1016_21
; %bb.20:
	s_mul_hi_i32 s23, s10, s6
	s_mul_i32 s22, s10, s6
	s_lshl_b64 s[22:23], s[22:23], 1
	s_add_u32 s28, s36, s22
	s_addc_u32 s7, s37, s23
	s_and_b32 s29, s7, 0xffff
	s_mov_b32 s7, 0x7060302
	s_mov_b32 s31, 0x20000
	v_perm_b32 v5, v41, v40, s7
	v_perm_b32 v4, v51, v50, s7
	;; [unrolled: 1-line block ×4, first 2 shown]
	v_lshlrev_b32_e32 v6, 5, v0
	buffer_store_dwordx4 v[2:5], v6, s[28:31], 0 offen
	;;#ASMSTART
	s_nop 0
	;;#ASMEND
	s_nop 0
	v_perm_b32 v5, v93, v92, s7
	v_perm_b32 v4, v15, v14, s7
	;; [unrolled: 1-line block ×4, first 2 shown]
	buffer_store_dwordx4 v[2:5], v6, s[28:31], 16 offen
	;;#ASMSTART
	s_nop 0
	;;#ASMEND
.LBB1016_21:
	s_or_b64 exec, exec, s[2:3]
	s_cbranch_execnz .LBB1016_16
.LBB1016_22:
	v_mov_b32_e32 v2, 0
	s_and_saveexec_b64 s[2:3], s[0:1]
	s_cbranch_execz .LBB1016_24
; %bb.23:
	v_and_b32_e32 v2, 0x7fffffff, v32
	v_and_b32_e32 v3, 0x7fffffff, v33
	v_mov_b32_e32 v10, 0x2edbe6ff
	;;#ASMSTART
	v_max3_f32 v2, v10, v2, v3

	;;#ASMEND
	v_and_b32_e32 v4, 0x7fffffff, v18
	v_and_b32_e32 v5, 0x7fffffff, v19
	;;#ASMSTART
	v_max3_f32 v2, v2, v4, v5

	;;#ASMEND
	v_and_b32_e32 v6, 0x7fffffff, v50
	v_and_b32_e32 v7, 0x7fffffff, v51
	;; [unrolled: 6-line block ×7, first 2 shown]
	;;#ASMSTART
	v_max3_f32 v2, v2, v3, v4

	;;#ASMEND
.LBB1016_24:
	s_or_b64 exec, exec, s[2:3]
	;;#ASMSTART
	v_max_f32 v3, v2, v2 quad_perm:[1,0,3,2] row_mask:0xf bank_mask:0xf bound_ctrl:1
	;;#ASMEND
	v_and_b32_e32 v2, 1, v0
	v_cmp_eq_u32_e32 vcc, 0, v2
	v_cmp_gt_i32_e64 s[2:3], s15, v1
	s_and_b64 s[22:23], vcc, s[2:3]
	s_and_saveexec_b64 s[2:3], s[22:23]
	s_cbranch_execz .LBB1016_26
; %bb.25:
	s_load_dwordx2 s[22:23], s[4:5], 0x8
	v_mul_f32_e32 v2, 0x3e2aaaab, v3
	v_lshrrev_b32_e32 v3, 23, v2
	v_and_b32_e32 v4, 0x7f800000, v2
	v_and_b32_e32 v2, 0x7fffff, v2
	v_cmp_ne_u32_e32 vcc, 0, v2
	s_mul_i32 s12, s25, s6
	s_mov_b32 s7, 0x7f800000
	v_addc_co_u32_e32 v2, vcc, 0, v3, vcc
	s_mul_hi_i32 s11, s25, s6
	s_waitcnt lgkmcnt(0)
	s_add_u32 s22, s22, s12
	v_cmp_ne_u32_e32 vcc, s7, v4
	s_addc_u32 s23, s23, s11
	v_lshrrev_b32_e32 v5, 1, v0
	v_cndmask_b32_e32 v4, -1, v2, vcc
	v_pk_mov_b32 v[2:3], s[22:23], s[22:23] op_sel:[0,1]
	v_mad_i64_i32 v[2:3], s[22:23], s26, v5, v[2:3]
	global_store_byte v[2:3], v4, off
.LBB1016_26:
	s_or_b64 exec, exec, s[2:3]
	s_and_saveexec_b64 s[2:3], s[0:1]
	s_cbranch_execz .LBB1016_28
; %bb.27:
	s_load_dwordx2 s[0:1], s[4:5], 0x0
	s_mul_i32 s11, s24, s6
	s_mul_hi_i32 s7, s24, s6
	v_mov_b32_e32 v2, 0
	v_lshlrev_b32_e32 v4, 3, v0
	s_waitcnt lgkmcnt(0)
	s_add_u32 s24, s0, s11
	s_addc_u32 s0, s1, s7
	s_lshr_b32 s1, s15, 31
	s_add_i32 s1, s15, s1
	s_ashr_i32 s1, s1, 1
	s_add_i32 s1, s1, 3
	s_ashr_i32 s7, s1, 31
	s_lshr_b32 s7, s7, 30
	s_add_i32 s1, s1, s7
	s_and_b32 s26, s1, -4
	s_and_b32 s25, s0, 0xffff
	s_mov_b32 s27, 0x20000
	v_mov_b32_e32 v3, v2
	buffer_store_dwordx2 v[2:3], v4, s[24:27], 0 offen
	;;#ASMSTART
	s_nop 0
	;;#ASMEND
.LBB1016_28:
	s_or_b64 exec, exec, s[2:3]
	s_cmp_lt_i32 s16, 1
	s_cbranch_scc1 .LBB1016_17
.LBB1016_29:
	s_load_dword s0, s[4:5], 0x94
	s_waitcnt lgkmcnt(0)
	s_cmp_lg_u32 s0, 1
	s_cbranch_scc1 .LBB1016_17
; %bb.30:
	s_lshl_b32 s0, s16, 1
	s_add_i32 s0, s0, 2
	v_cmp_gt_u32_e32 vcc, s16, v1
	s_and_b32 s22, s0, -4
	v_mov_b32_e32 v18, 0
	v_lshlrev_b32_e32 v1, 5, v0
	v_mov_b32_e32 v14, 0
	v_mov_b32_e32 v15, 0
	;; [unrolled: 1-line block ×16, first 2 shown]
	s_barrier
	s_and_saveexec_b64 s[0:1], vcc
	s_cbranch_execz .LBB1016_32
; %bb.31:
	s_mul_hi_i32 s3, s18, s6
	s_mul_i32 s2, s18, s6
	s_and_b32 s21, s21, 0xffff
	s_lshl_b64 s[2:3], s[2:3], 1
	s_add_u32 s24, s34, s2
	s_mov_b32 s23, 0x20000
	s_addc_u32 s2, s35, s3
	s_and_b32 s25, s2, 0xffff
	s_mov_b32 s26, s22
	s_mov_b32 s27, s23
	buffer_load_dwordx4 v[14:17], v1, s[24:27], 0 offen
	buffer_load_dwordx4 v[10:13], v1, s[24:27], 16 offen
	;; [unrolled: 1-line block ×4, first 2 shown]
.LBB1016_32:
	s_or_b64 exec, exec, s[0:1]
	v_mov_b32_e32 v19, 0
	v_mov_b32_e32 v32, 0
	;; [unrolled: 1-line block ×15, first 2 shown]
	s_and_saveexec_b64 s[0:1], vcc
	s_cbranch_execz .LBB1016_34
; %bb.33:
	s_waitcnt vmcnt(3)
	v_cvt_f32_u32_sdwa v18, v14 dst_sel:DWORD dst_unused:UNUSED_PAD src0_sel:WORD_0
	v_cvt_f32_u32_sdwa v19, v14 dst_sel:DWORD dst_unused:UNUSED_PAD src0_sel:WORD_1
	v_cvt_f32_u32_sdwa v32, v15 dst_sel:DWORD dst_unused:UNUSED_PAD src0_sel:WORD_0
	v_cvt_f32_u32_sdwa v33, v15 dst_sel:DWORD dst_unused:UNUSED_PAD src0_sel:WORD_1
	;; [unrolled: 2-line block ×4, first 2 shown]
	s_waitcnt vmcnt(2)
	v_cvt_f32_u32_sdwa v26, v10 dst_sel:DWORD dst_unused:UNUSED_PAD src0_sel:WORD_0
	v_cvt_f32_u32_sdwa v27, v10 dst_sel:DWORD dst_unused:UNUSED_PAD src0_sel:WORD_1
	v_cvt_f32_u32_sdwa v24, v11 dst_sel:DWORD dst_unused:UNUSED_PAD src0_sel:WORD_0
	v_cvt_f32_u32_sdwa v25, v11 dst_sel:DWORD dst_unused:UNUSED_PAD src0_sel:WORD_1
	;; [unrolled: 2-line block ×4, first 2 shown]
.LBB1016_34:
	s_or_b64 exec, exec, s[0:1]
	s_waitcnt vmcnt(2)
	v_mul_f32_e32 v10, v19, v19
	v_fmac_f32_e32 v10, v18, v18
	v_fmac_f32_e32 v10, v32, v32
	;; [unrolled: 1-line block ×15, first 2 shown]
	s_nop 1
	v_mov_b32_dpp v11, v10 quad_perm:[1,0,3,2] row_mask:0xf bank_mask:0xf
	v_add_f32_e32 v10, v10, v11
	s_nop 1
	v_mov_b32_dpp v11, v10 quad_perm:[2,3,0,1] row_mask:0xf bank_mask:0xf
	v_add_f32_e32 v10, v10, v11
	s_nop 1
	v_mov_b32_dpp v11, v10 row_half_mirror row_mask:0xf bank_mask:0xf
	v_add_f32_e32 v10, v10, v11
	s_nop 1
	v_mov_b32_dpp v11, v10 row_mirror row_mask:0xf bank_mask:0xf
	v_add_f32_e32 v10, v10, v11
	s_nop 1
	v_mov_b32_dpp v11, v10 row_bcast:15 row_mask:0xf bank_mask:0xf
	v_add_f32_e32 v10, v10, v11
	s_nop 1
	v_mov_b32_dpp v11, v10 row_bcast:31 row_mask:0xf bank_mask:0xf
	s_and_saveexec_b64 s[0:1], s[8:9]
	s_cbranch_execz .LBB1016_36
; %bb.35:
	v_lshrrev_b32_e32 v0, 4, v0
	v_add_f32_e32 v10, v10, v11
	v_and_b32_e32 v0, 60, v0
	ds_write_b32 v0, v10
.LBB1016_36:
	s_or_b64 exec, exec, s[0:1]
	s_waitcnt lgkmcnt(0)
	s_barrier
	ds_read_b32 v0, v34
	s_waitcnt lgkmcnt(0)
	s_nop 0
	v_mov_b32_dpp v10, v0 quad_perm:[1,0,3,2] row_mask:0xf bank_mask:0xf
	v_add_f32_e32 v0, v0, v10
	s_nop 1
	v_mov_b32_dpp v10, v0 quad_perm:[2,3,0,1] row_mask:0xf bank_mask:0xf
	v_add_f32_e32 v0, v0, v10
	s_nop 1
	v_mov_b32_dpp v10, v0 row_half_mirror row_mask:0xf bank_mask:0xf
	s_and_saveexec_b64 s[0:1], vcc
	s_cbranch_execz .LBB1016_17
; %bb.37:
	v_cvt_f32_u32_e32 v11, s16
	v_add_f32_e32 v0, v0, v10
	s_mov_b32 s23, 0x20000
	v_div_scale_f32 v10, s[0:1], v11, v11, v0
	v_rcp_f32_e32 v12, v10
	v_div_scale_f32 v13, vcc, v0, v11, v0
	s_mov_b32 s0, 0x800000
	v_fma_f32 v14, -v10, v12, 1.0
	v_fmac_f32_e32 v12, v14, v12
	v_mul_f32_e32 v14, v13, v12
	v_fma_f32 v15, -v10, v14, v13
	v_fmac_f32_e32 v14, v15, v12
	v_fma_f32 v10, -v10, v14, v13
	v_div_fmas_f32 v10, v10, v12, v14
	v_div_fixup_f32 v0, v10, v11, v0
	v_add_f32_e32 v0, s13, v0
	v_mul_f32_e32 v10, 0x4b800000, v0
	v_cmp_gt_f32_e32 vcc, s0, v0
	v_cndmask_b32_e32 v0, v0, v10, vcc
	v_rsq_f32_e32 v0, v0
	s_mul_hi_i32 s1, s10, s6
	s_mul_i32 s0, s10, s6
	s_lshl_b64 s[0:1], s[0:1], 1
	v_mul_f32_e32 v10, 0x45800000, v0
	v_cndmask_b32_e32 v10, v0, v10, vcc
	v_mov_b32_e32 v11, v10
	s_add_u32 s20, s36, s0
	;;#ASMSTART
	v_pk_mul_f32 v[12:13], v[18:19], v[10:11]
	;;#ASMEND
	;;#ASMSTART
	v_pk_mul_f32 v[14:15], v[32:33], v[10:11]
	;;#ASMEND
	;; [unrolled: 3-line block ×8, first 2 shown]
	s_waitcnt vmcnt(1)
	v_cvt_f32_u32_sdwa v21, v6 dst_sel:DWORD dst_unused:UNUSED_PAD src0_sel:WORD_1
	v_cvt_f32_u32_sdwa v20, v6 dst_sel:DWORD dst_unused:UNUSED_PAD src0_sel:WORD_0
	v_cvt_f32_u32_sdwa v29, v7 dst_sel:DWORD dst_unused:UNUSED_PAD src0_sel:WORD_1
	v_cvt_f32_u32_sdwa v28, v7 dst_sel:DWORD dst_unused:UNUSED_PAD src0_sel:WORD_0
	;; [unrolled: 2-line block ×3, first 2 shown]
	s_addc_u32 s0, s37, s1
	v_cvt_f32_u32_sdwa v31, v9 dst_sel:DWORD dst_unused:UNUSED_PAD src0_sel:WORD_1
	v_cvt_f32_u32_sdwa v30, v9 dst_sel:DWORD dst_unused:UNUSED_PAD src0_sel:WORD_0
	;;#ASMSTART
	v_pk_mul_f32 v[8:9], v[12:13], v[20:21]
	;;#ASMEND
	;;#ASMSTART
	v_pk_mul_f32 v[12:13], v[14:15], v[28:29]
	;;#ASMEND
	;; [unrolled: 3-line block ×4, first 2 shown]
	s_waitcnt vmcnt(0)
	v_cvt_f32_u32_sdwa v17, v2 dst_sel:DWORD dst_unused:UNUSED_PAD src0_sel:WORD_1
	v_cvt_f32_u32_sdwa v16, v2 dst_sel:DWORD dst_unused:UNUSED_PAD src0_sel:WORD_0
	v_cvt_f32_u32_sdwa v19, v3 dst_sel:DWORD dst_unused:UNUSED_PAD src0_sel:WORD_1
	v_cvt_f32_u32_sdwa v18, v3 dst_sel:DWORD dst_unused:UNUSED_PAD src0_sel:WORD_0
	;; [unrolled: 2-line block ×3, first 2 shown]
	s_and_b32 s21, s0, 0xffff
	s_mov_b32 s0, 0x7060302
	v_cvt_f32_u32_sdwa v21, v5 dst_sel:DWORD dst_unused:UNUSED_PAD src0_sel:WORD_1
	v_cvt_f32_u32_sdwa v20, v5 dst_sel:DWORD dst_unused:UNUSED_PAD src0_sel:WORD_0
	;;#ASMSTART
	v_pk_mul_f32 v[16:17], v[26:27], v[16:17]
	;;#ASMEND
	;;#ASMSTART
	v_pk_mul_f32 v[18:19], v[24:25], v[18:19]
	;;#ASMEND
	;; [unrolled: 3-line block ×3, first 2 shown]
	v_perm_b32 v2, v9, v8, s0
	v_perm_b32 v3, v13, v12, s0
	;; [unrolled: 1-line block ×4, first 2 shown]
	;;#ASMSTART
	v_pk_mul_f32 v[10:11], v[10:11], v[20:21]
	;;#ASMEND
	buffer_store_dwordx4 v[2:5], v1, s[20:23], 0 offen
	;;#ASMSTART
	s_nop 0
	;;#ASMEND
	s_nop 0
	v_perm_b32 v2, v17, v16, s0
	v_perm_b32 v3, v19, v18, s0
	;; [unrolled: 1-line block ×4, first 2 shown]
	buffer_store_dwordx4 v[2:5], v1, s[20:23], 16 offen
	;;#ASMSTART
	s_nop 0
	;;#ASMEND
	s_endpgm
	.section	.rodata,"a",@progbits
	.p2align	6, 0x0
	.amdhsa_kernel _ZN5aiter35fused_qk_rmsnorm_group_quant_kernelItN4opus5fp4_tELi512ELi16ELi2ELb1ELb0ELb0ELb0ELb0ELb0EEEvPT0_PvPT_S7_S7_PKS6_S9_S9_S9_S9_ffiiiiiiiiiiiii
		.amdhsa_group_segment_fixed_size 64
		.amdhsa_private_segment_fixed_size 0
		.amdhsa_kernarg_size 400
		.amdhsa_user_sgpr_count 6
		.amdhsa_user_sgpr_private_segment_buffer 1
		.amdhsa_user_sgpr_dispatch_ptr 0
		.amdhsa_user_sgpr_queue_ptr 0
		.amdhsa_user_sgpr_kernarg_segment_ptr 1
		.amdhsa_user_sgpr_dispatch_id 0
		.amdhsa_user_sgpr_flat_scratch_init 0
		.amdhsa_user_sgpr_kernarg_preload_length 0
		.amdhsa_user_sgpr_kernarg_preload_offset 0
		.amdhsa_user_sgpr_private_segment_size 0
		.amdhsa_uses_dynamic_stack 0
		.amdhsa_system_sgpr_private_segment_wavefront_offset 0
		.amdhsa_system_sgpr_workgroup_id_x 1
		.amdhsa_system_sgpr_workgroup_id_y 1
		.amdhsa_system_sgpr_workgroup_id_z 0
		.amdhsa_system_sgpr_workgroup_info 0
		.amdhsa_system_vgpr_workitem_id 0
		.amdhsa_next_free_vgpr 94
		.amdhsa_next_free_sgpr 40
		.amdhsa_accum_offset 96
		.amdhsa_reserve_vcc 1
		.amdhsa_reserve_flat_scratch 0
		.amdhsa_float_round_mode_32 0
		.amdhsa_float_round_mode_16_64 0
		.amdhsa_float_denorm_mode_32 3
		.amdhsa_float_denorm_mode_16_64 3
		.amdhsa_dx10_clamp 1
		.amdhsa_ieee_mode 1
		.amdhsa_fp16_overflow 0
		.amdhsa_tg_split 0
		.amdhsa_exception_fp_ieee_invalid_op 0
		.amdhsa_exception_fp_denorm_src 0
		.amdhsa_exception_fp_ieee_div_zero 0
		.amdhsa_exception_fp_ieee_overflow 0
		.amdhsa_exception_fp_ieee_underflow 0
		.amdhsa_exception_fp_ieee_inexact 0
		.amdhsa_exception_int_div_zero 0
	.end_amdhsa_kernel
	.section	.text._ZN5aiter35fused_qk_rmsnorm_group_quant_kernelItN4opus5fp4_tELi512ELi16ELi2ELb1ELb0ELb0ELb0ELb0ELb0EEEvPT0_PvPT_S7_S7_PKS6_S9_S9_S9_S9_ffiiiiiiiiiiiii,"axG",@progbits,_ZN5aiter35fused_qk_rmsnorm_group_quant_kernelItN4opus5fp4_tELi512ELi16ELi2ELb1ELb0ELb0ELb0ELb0ELb0EEEvPT0_PvPT_S7_S7_PKS6_S9_S9_S9_S9_ffiiiiiiiiiiiii,comdat
.Lfunc_end1016:
	.size	_ZN5aiter35fused_qk_rmsnorm_group_quant_kernelItN4opus5fp4_tELi512ELi16ELi2ELb1ELb0ELb0ELb0ELb0ELb0EEEvPT0_PvPT_S7_S7_PKS6_S9_S9_S9_S9_ffiiiiiiiiiiiii, .Lfunc_end1016-_ZN5aiter35fused_qk_rmsnorm_group_quant_kernelItN4opus5fp4_tELi512ELi16ELi2ELb1ELb0ELb0ELb0ELb0ELb0EEEvPT0_PvPT_S7_S7_PKS6_S9_S9_S9_S9_ffiiiiiiiiiiiii
                                        ; -- End function
	.section	.AMDGPU.csdata,"",@progbits
; Kernel info:
; codeLenInByte = 3792
; NumSgprs: 44
; NumVgprs: 94
; NumAgprs: 0
; TotalNumVgprs: 94
; ScratchSize: 0
; MemoryBound: 0
; FloatMode: 240
; IeeeMode: 1
; LDSByteSize: 64 bytes/workgroup (compile time only)
; SGPRBlocks: 5
; VGPRBlocks: 11
; NumSGPRsForWavesPerEU: 44
; NumVGPRsForWavesPerEU: 94
; AccumOffset: 96
; Occupancy: 5
; WaveLimiterHint : 0
; COMPUTE_PGM_RSRC2:SCRATCH_EN: 0
; COMPUTE_PGM_RSRC2:USER_SGPR: 6
; COMPUTE_PGM_RSRC2:TRAP_HANDLER: 0
; COMPUTE_PGM_RSRC2:TGID_X_EN: 1
; COMPUTE_PGM_RSRC2:TGID_Y_EN: 1
; COMPUTE_PGM_RSRC2:TGID_Z_EN: 0
; COMPUTE_PGM_RSRC2:TIDIG_COMP_CNT: 0
; COMPUTE_PGM_RSRC3_GFX90A:ACCUM_OFFSET: 23
; COMPUTE_PGM_RSRC3_GFX90A:TG_SPLIT: 0
	.section	.text._ZN5aiter35fused_qk_rmsnorm_group_quant_kernelIDF16_DB8_Li512ELi16ELi2ELb0ELb1ELb1ELb0ELb0ELb0EEEvPT0_PvPT_S6_S6_PKS5_S8_S8_S8_S8_ffiiiiiiiiiiiii,"axG",@progbits,_ZN5aiter35fused_qk_rmsnorm_group_quant_kernelIDF16_DB8_Li512ELi16ELi2ELb0ELb1ELb1ELb0ELb0ELb0EEEvPT0_PvPT_S6_S6_PKS5_S8_S8_S8_S8_ffiiiiiiiiiiiii,comdat
	.protected	_ZN5aiter35fused_qk_rmsnorm_group_quant_kernelIDF16_DB8_Li512ELi16ELi2ELb0ELb1ELb1ELb0ELb0ELb0EEEvPT0_PvPT_S6_S6_PKS5_S8_S8_S8_S8_ffiiiiiiiiiiiii ; -- Begin function _ZN5aiter35fused_qk_rmsnorm_group_quant_kernelIDF16_DB8_Li512ELi16ELi2ELb0ELb1ELb1ELb0ELb0ELb0EEEvPT0_PvPT_S6_S6_PKS5_S8_S8_S8_S8_ffiiiiiiiiiiiii
	.globl	_ZN5aiter35fused_qk_rmsnorm_group_quant_kernelIDF16_DB8_Li512ELi16ELi2ELb0ELb1ELb1ELb0ELb0ELb0EEEvPT0_PvPT_S6_S6_PKS5_S8_S8_S8_S8_ffiiiiiiiiiiiii
	.p2align	8
	.type	_ZN5aiter35fused_qk_rmsnorm_group_quant_kernelIDF16_DB8_Li512ELi16ELi2ELb0ELb1ELb1ELb0ELb0ELb0EEEvPT0_PvPT_S6_S6_PKS5_S8_S8_S8_S8_ffiiiiiiiiiiiii,@function
_ZN5aiter35fused_qk_rmsnorm_group_quant_kernelIDF16_DB8_Li512ELi16ELi2ELb0ELb1ELb1ELb0ELb0ELb0EEEvPT0_PvPT_S6_S6_PKS5_S8_S8_S8_S8_ffiiiiiiiiiiiii: ; @_ZN5aiter35fused_qk_rmsnorm_group_quant_kernelIDF16_DB8_Li512ELi16ELi2ELb0ELb1ELb1ELb0ELb0ELb0EEEvPT0_PvPT_S6_S6_PKS5_S8_S8_S8_S8_ffiiiiiiiiiiiii
; %bb.0:
	s_load_dwordx4 s[16:19], s[4:5], 0x50
	s_waitcnt lgkmcnt(0)
	s_cmp_ge_i32 s6, s18
	s_cbranch_scc1 .LBB1017_12
; %bb.1:
	s_load_dwordx2 s[12:13], s[4:5], 0x48
	s_load_dwordx2 s[30:31], s[4:5], 0x30
	s_load_dwordx4 s[20:23], s[4:5], 0x60
	s_cmp_lg_u32 s7, 0
	s_cselect_b64 s[14:15], -1, 0
	s_cmp_eq_u32 s7, 0
	s_cselect_b64 vcc, -1, 0
	s_and_b64 s[0:1], vcc, exec
	s_waitcnt lgkmcnt(0)
	s_cselect_b32 s7, s19, s20
	s_add_i32 s0, s7, 1
	s_lshr_b32 s1, s0, 31
	s_add_i32 s0, s0, s1
	s_lshl_b32 s0, s0, 1
	v_lshlrev_b32_e32 v1, 4, v0
	s_and_b32 s10, s0, -4
	v_cmp_gt_i32_e64 s[2:3], s7, v1
	v_mov_b32_e32 v18, 0
	v_mov_b32_e32 v6, 0
	;; [unrolled: 1-line block ×17, first 2 shown]
	s_and_saveexec_b64 s[0:1], s[2:3]
	s_cbranch_execz .LBB1017_3
; %bb.2:
	s_load_dwordx2 s[8:9], s[4:5], 0x28
	s_load_dwordx2 s[26:27], s[4:5], 0x40
	s_and_b64 s[24:25], vcc, exec
	s_cselect_b32 s11, s21, s22
	v_lshlrev_b32_e32 v19, 5, v0
	s_waitcnt lgkmcnt(0)
	s_cselect_b32 s18, s9, s31
	s_cselect_b32 s21, s8, s30
	s_mul_hi_i32 s9, s11, s6
	s_mul_i32 s8, s11, s6
	s_lshl_b64 s[8:9], s[8:9], 1
	s_add_u32 s24, s21, s8
	s_addc_u32 s18, s18, s9
	s_and_b64 s[8:9], vcc, exec
	s_mov_b32 s11, 0x20000
	s_cselect_b32 s8, s26, s12
	s_cselect_b32 s9, s27, s13
	s_and_b32 s25, s18, 0xffff
	s_mov_b32 s26, s10
	s_mov_b32 s27, s11
	s_and_b32 s9, s9, 0xffff
	buffer_load_dwordx4 v[14:17], v19, s[24:27], 0 offen
	buffer_load_dwordx4 v[10:13], v19, s[24:27], 16 offen
	;; [unrolled: 1-line block ×4, first 2 shown]
.LBB1017_3:
	s_or_b64 exec, exec, s[0:1]
	v_mov_b32_e32 v19, 0
	v_mov_b32_e32 v32, 0
	;; [unrolled: 1-line block ×15, first 2 shown]
	s_and_saveexec_b64 s[0:1], s[2:3]
	s_cbranch_execz .LBB1017_5
; %bb.4:
	s_waitcnt vmcnt(3)
	v_cvt_f32_f16_sdwa v19, v14 dst_sel:DWORD dst_unused:UNUSED_PAD src0_sel:WORD_1
	v_cvt_f32_f16_e32 v18, v14
	v_cvt_f32_f16_sdwa v33, v15 dst_sel:DWORD dst_unused:UNUSED_PAD src0_sel:WORD_1
	v_cvt_f32_f16_e32 v32, v15
	;; [unrolled: 2-line block ×4, first 2 shown]
	s_waitcnt vmcnt(2)
	v_cvt_f32_f16_sdwa v25, v10 dst_sel:DWORD dst_unused:UNUSED_PAD src0_sel:WORD_1
	v_cvt_f32_f16_e32 v24, v10
	v_cvt_f32_f16_sdwa v29, v11 dst_sel:DWORD dst_unused:UNUSED_PAD src0_sel:WORD_1
	v_cvt_f32_f16_e32 v28, v11
	;; [unrolled: 2-line block ×4, first 2 shown]
.LBB1017_5:
	s_or_b64 exec, exec, s[0:1]
	s_waitcnt vmcnt(2)
	v_mul_f32_e32 v10, v19, v19
	v_fmac_f32_e32 v10, v18, v18
	v_fmac_f32_e32 v10, v32, v32
	;; [unrolled: 1-line block ×15, first 2 shown]
	v_and_b32_e32 v12, 63, v0
	v_cmp_eq_u32_e64 s[0:1], 63, v12
	v_mov_b32_dpp v11, v10 quad_perm:[1,0,3,2] row_mask:0xf bank_mask:0xf
	v_add_f32_e32 v10, v10, v11
	s_nop 1
	v_mov_b32_dpp v11, v10 quad_perm:[2,3,0,1] row_mask:0xf bank_mask:0xf
	v_add_f32_e32 v10, v10, v11
	s_nop 1
	v_mov_b32_dpp v11, v10 row_half_mirror row_mask:0xf bank_mask:0xf
	v_add_f32_e32 v10, v10, v11
	s_nop 1
	v_mov_b32_dpp v11, v10 row_mirror row_mask:0xf bank_mask:0xf
	v_add_f32_e32 v10, v10, v11
	s_nop 1
	v_mov_b32_dpp v11, v10 row_bcast:15 row_mask:0xf bank_mask:0xf
	v_add_f32_e32 v10, v10, v11
	s_nop 1
	v_mov_b32_dpp v11, v10 row_bcast:31 row_mask:0xf bank_mask:0xf
	s_and_saveexec_b64 s[8:9], s[0:1]
	s_cbranch_execz .LBB1017_7
; %bb.6:
	v_add_f32_e32 v10, v10, v11
	v_lshrrev_b32_e32 v11, 4, v0
	v_and_b32_e32 v11, 60, v11
	ds_write_b32 v11, v10 offset:32
.LBB1017_7:
	s_or_b64 exec, exec, s[8:9]
	v_and_b32_e32 v10, 7, v0
	v_lshlrev_b32_e32 v34, 2, v10
	s_waitcnt lgkmcnt(0)
	s_barrier
	ds_read_b32 v10, v34 offset:32
	s_load_dwordx2 s[28:29], s[4:5], 0x18
	s_waitcnt lgkmcnt(0)
	v_mov_b32_dpp v11, v10 quad_perm:[1,0,3,2] row_mask:0xf bank_mask:0xf
	v_add_f32_e32 v10, v10, v11
	s_nop 1
	v_mov_b32_dpp v11, v10 quad_perm:[2,3,0,1] row_mask:0xf bank_mask:0xf
	v_add_f32_e32 v10, v10, v11
	s_nop 1
	v_mov_b32_dpp v11, v10 row_half_mirror row_mask:0xf bank_mask:0xf
	s_and_saveexec_b64 s[8:9], s[2:3]
	s_cbranch_execz .LBB1017_9
; %bb.8:
	v_cvt_f32_u32_e32 v12, s7
	v_add_f32_e32 v10, v10, v11
	v_mov_b32_e32 v14, s17
	v_mov_b32_e32 v15, s16
	v_div_scale_f32 v11, s[24:25], v12, v12, v10
	v_rcp_f32_e32 v13, v11
	v_cndmask_b32_e32 v14, v14, v15, vcc
	s_mov_b32 s7, 0x800000
	v_fma_f32 v15, -v11, v13, 1.0
	v_fmac_f32_e32 v13, v15, v13
	v_div_scale_f32 v15, vcc, v10, v12, v10
	v_mul_f32_e32 v16, v15, v13
	v_fma_f32 v17, -v11, v16, v15
	v_fmac_f32_e32 v16, v17, v13
	v_fma_f32 v11, -v11, v16, v15
	v_div_fmas_f32 v11, v11, v13, v16
	v_div_fixup_f32 v10, v11, v12, v10
	v_add_f32_e32 v10, v14, v10
	v_mul_f32_e32 v11, 0x4b800000, v10
	v_cmp_gt_f32_e32 vcc, s7, v10
	v_cndmask_b32_e32 v10, v10, v11, vcc
	v_rsq_f32_e32 v10, v10
	v_mul_f32_e32 v11, 0x45800000, v10
	v_cndmask_b32_e32 v10, v10, v11, vcc
	v_mov_b32_e32 v11, v10
	;;#ASMSTART
	v_pk_mul_f32 v[12:13], v[18:19], v[10:11]
	;;#ASMEND
	s_waitcnt vmcnt(1)
	v_cvt_f32_f16_sdwa v19, v6 dst_sel:DWORD dst_unused:UNUSED_PAD src0_sel:WORD_1
	v_cvt_f32_f16_e32 v18, v6
	;;#ASMSTART
	v_pk_mul_f32 v[14:15], v[32:33], v[10:11]
	;;#ASMEND
	;;#ASMSTART
	v_pk_mul_f32 v[16:17], v[26:27], v[10:11]
	;;#ASMEND
	v_cvt_f32_f16_sdwa v27, v7 dst_sel:DWORD dst_unused:UNUSED_PAD src0_sel:WORD_1
	v_cvt_f32_f16_e32 v26, v7
	;;#ASMSTART
	v_pk_mul_f32 v[30:31], v[30:31], v[10:11]
	;;#ASMEND
	;;#ASMSTART
	v_pk_mul_f32 v[24:25], v[24:25], v[10:11]
	;;#ASMEND
	;; [unrolled: 3-line block ×5, first 2 shown]
	v_pk_add_f32 v[10:11], v[18:19], 1.0 op_sel_hi:[1,0]
	;;#ASMSTART
	v_pk_mul_f32 v[18:19], v[12:13], v[10:11]
	;;#ASMEND
	v_cvt_f32_f16_sdwa v13, v8 dst_sel:DWORD dst_unused:UNUSED_PAD src0_sel:WORD_1
	v_cvt_f32_f16_e32 v12, v8
	v_cvt_f32_f16_sdwa v21, v9 dst_sel:DWORD dst_unused:UNUSED_PAD src0_sel:WORD_1
	v_cvt_f32_f16_e32 v20, v9
	v_pk_add_f32 v[10:11], v[26:27], 1.0 op_sel_hi:[1,0]
	;;#ASMSTART
	v_pk_mul_f32 v[32:33], v[14:15], v[10:11]
	;;#ASMEND
	s_waitcnt vmcnt(0)
	v_cvt_f32_f16_sdwa v11, v2 dst_sel:DWORD dst_unused:UNUSED_PAD src0_sel:WORD_1
	v_cvt_f32_f16_e32 v10, v2
	v_pk_add_f32 v[8:9], v[12:13], 1.0 op_sel_hi:[1,0]
	;;#ASMSTART
	v_pk_mul_f32 v[26:27], v[16:17], v[8:9]
	;;#ASMEND
	v_pk_add_f32 v[8:9], v[20:21], 1.0 op_sel_hi:[1,0]
	v_cvt_f32_f16_sdwa v13, v3 dst_sel:DWORD dst_unused:UNUSED_PAD src0_sel:WORD_1
	v_cvt_f32_f16_e32 v12, v3
	;;#ASMSTART
	v_pk_mul_f32 v[30:31], v[30:31], v[8:9]
	;;#ASMEND
	v_cvt_f32_f16_sdwa v9, v4 dst_sel:DWORD dst_unused:UNUSED_PAD src0_sel:WORD_1
	v_cvt_f32_f16_e32 v8, v4
	v_pk_add_f32 v[2:3], v[10:11], 1.0 op_sel_hi:[1,0]
	v_cvt_f32_f16_sdwa v11, v5 dst_sel:DWORD dst_unused:UNUSED_PAD src0_sel:WORD_1
	v_cvt_f32_f16_e32 v10, v5
	;;#ASMSTART
	v_pk_mul_f32 v[24:25], v[24:25], v[2:3]
	;;#ASMEND
	v_pk_add_f32 v[2:3], v[12:13], 1.0 op_sel_hi:[1,0]
	;;#ASMSTART
	v_pk_mul_f32 v[28:29], v[28:29], v[2:3]
	;;#ASMEND
	v_pk_add_f32 v[2:3], v[8:9], 1.0 op_sel_hi:[1,0]
	;; [unrolled: 4-line block ×3, first 2 shown]
	;;#ASMSTART
	v_pk_mul_f32 v[20:21], v[6:7], v[2:3]
	;;#ASMEND
.LBB1017_9:
	s_or_b64 exec, exec, s[8:9]
	s_load_dword s7, s[4:5], 0x80
	s_mov_b64 s[8:9], -1
	s_and_b64 vcc, exec, s[14:15]
	s_cbranch_vccnz .LBB1017_13
; %bb.10:
	s_andn2_b64 vcc, exec, s[8:9]
	s_cbranch_vccz .LBB1017_16
.LBB1017_11:
	s_cmp_lt_i32 s20, 1
	s_cbranch_scc0 .LBB1017_25
.LBB1017_12:
	s_endpgm
.LBB1017_13:
	s_and_saveexec_b64 s[14:15], s[2:3]
	s_cbranch_execz .LBB1017_15
; %bb.14:
	s_waitcnt lgkmcnt(0)
	s_mul_hi_i32 s9, s7, s6
	s_mul_i32 s8, s7, s6
	s_waitcnt vmcnt(0)
	v_cvt_f16_f32_e32 v2, v18
	v_cvt_f16_f32_e32 v3, v32
	v_cvt_f16_f32_e32 v4, v26
	v_cvt_f16_f32_e32 v5, v30
	v_cvt_f16_f32_e32 v6, v31
	v_cvt_f16_f32_e32 v7, v27
	v_cvt_f16_f32_e32 v8, v33
	v_cvt_f16_f32_e32 v9, v19
	s_lshl_b64 s[8:9], s[8:9], 1
	s_add_u32 s8, s28, s8
	s_addc_u32 s9, s29, s9
	s_and_b32 s9, s9, 0xffff
	s_mov_b32 s11, 0x20000
	v_pack_b32_f16 v5, v5, v6
	v_pack_b32_f16 v4, v4, v7
	;; [unrolled: 1-line block ×4, first 2 shown]
	v_lshlrev_b32_e32 v6, 5, v0
	buffer_store_dwordx4 v[2:5], v6, s[8:11], 0 offen
	v_cvt_f16_f32_e32 v7, v21
	v_cvt_f16_f32_e32 v2, v24
	;; [unrolled: 1-line block ×8, first 2 shown]
	v_pack_b32_f16 v5, v5, v7
	v_pack_b32_f16 v4, v4, v8
	;; [unrolled: 1-line block ×4, first 2 shown]
	;;#ASMSTART
	s_nop 0
	;;#ASMEND
	buffer_store_dwordx4 v[2:5], v6, s[8:11], 16 offen
	;;#ASMSTART
	s_nop 0
	;;#ASMEND
.LBB1017_15:
	s_or_b64 exec, exec, s[14:15]
	s_cbranch_execnz .LBB1017_11
.LBB1017_16:
	s_load_dwordx4 s[24:27], s[4:5], 0x70
	s_waitcnt vmcnt(0)
	v_mov_b32_e32 v2, 0
	s_and_saveexec_b64 s[14:15], s[2:3]
	s_cbranch_execz .LBB1017_18
; %bb.17:
	s_load_dwordx2 s[8:9], s[4:5], 0x10
	s_waitcnt lgkmcnt(0)
	s_mul_hi_i32 s35, s27, s6
	s_mul_i32 s34, s27, s6
	v_cvt_f16_f32_e32 v2, v18
	v_cvt_f16_f32_e32 v3, v32
	;; [unrolled: 1-line block ×8, first 2 shown]
	s_lshl_b64 s[34:35], s[34:35], 1
	s_add_u32 s8, s8, s34
	s_addc_u32 s9, s9, s35
	s_mov_b32 s11, 0x20000
	s_and_b32 s9, s9, 0xffff
	v_pack_b32_f16 v5, v5, v6
	v_pack_b32_f16 v4, v4, v7
	;; [unrolled: 1-line block ×4, first 2 shown]
	v_lshlrev_b32_e32 v6, 5, v0
	buffer_store_dwordx4 v[2:5], v6, s[8:11], 0 offen
	v_cvt_f16_f32_e32 v7, v21
	v_cvt_f16_f32_e32 v2, v24
	;; [unrolled: 1-line block ×8, first 2 shown]
	v_pack_b32_f16 v5, v5, v7
	v_pack_b32_f16 v4, v4, v8
	v_pack_b32_f16 v3, v3, v9
	v_pack_b32_f16 v2, v2, v10
	;;#ASMSTART
	s_nop 0
	;;#ASMEND
	buffer_store_dwordx4 v[2:5], v6, s[8:11], 16 offen
	;;#ASMSTART
	s_nop 0
	;;#ASMEND
	s_nop 0
	v_mov_b32_e32 v2, 0x2edbe6ff
.LBB1017_18:
	s_or_b64 exec, exec, s[14:15]
	s_and_saveexec_b64 s[8:9], s[2:3]
	s_cbranch_execz .LBB1017_20
; %bb.19:
	v_and_b32_e32 v3, 0x7fffffff, v18
	v_and_b32_e32 v4, 0x7fffffff, v19
	;;#ASMSTART
	v_max3_f32 v2, v2, v3, v4

	;;#ASMEND
	v_and_b32_e32 v3, 0x7fffffff, v32
	v_and_b32_e32 v4, 0x7fffffff, v33
	;;#ASMSTART
	v_max3_f32 v2, v2, v3, v4

	;;#ASMEND
	;; [unrolled: 6-line block ×8, first 2 shown]
.LBB1017_20:
	s_or_b64 exec, exec, s[8:9]
	;;#ASMSTART
	v_max_f32 v3, v2, v2 quad_perm:[1,0,3,2] row_mask:0xf bank_mask:0xf bound_ctrl:1
	;;#ASMEND
	v_mul_f32_e32 v2, 0x3b124925, v3
	v_and_b32_e32 v3, 1, v0
	v_cmp_eq_u32_e32 vcc, 0, v3
	v_cmp_gt_i32_e64 s[8:9], s19, v1
	s_and_b64 s[10:11], vcc, s[8:9]
	s_and_saveexec_b64 s[8:9], s[10:11]
	s_cbranch_execz .LBB1017_22
; %bb.21:
	s_load_dwordx2 s[10:11], s[4:5], 0x8
	s_waitcnt lgkmcnt(0)
	s_mul_hi_i32 s15, s25, s6
	s_mul_i32 s14, s25, s6
	v_lshrrev_b32_e32 v3, 1, v0
	s_lshl_b64 s[14:15], s[14:15], 2
	v_mad_i64_i32 v[4:5], s[26:27], s26, v3, 0
	s_add_u32 s10, s10, s14
	s_addc_u32 s11, s11, s15
	v_lshlrev_b64 v[4:5], 2, v[4:5]
	v_mov_b32_e32 v3, s11
	v_add_co_u32_e32 v4, vcc, s10, v4
	v_addc_co_u32_e32 v5, vcc, v3, v5, vcc
	global_store_dword v[4:5], v2, off
.LBB1017_22:
	s_or_b64 exec, exec, s[8:9]
	;;#ASMSTART
	v_rcp_f32 v2, v2
	;;#ASMEND
	s_and_saveexec_b64 s[14:15], s[2:3]
	s_cbranch_execz .LBB1017_24
; %bb.23:
	s_load_dwordx2 s[2:3], s[4:5], 0x0
	s_waitcnt lgkmcnt(0)
	s_mul_i32 s8, s24, s6
	s_mul_hi_i32 s9, s24, s6
	v_mov_b32_e32 v3, v2
	;;#ASMSTART
	v_pk_mul_f32 v[4:5], v[18:19], v[2:3]
	;;#ASMEND
	s_add_u32 s8, s2, s8
	s_addc_u32 s2, s3, s9
	s_add_i32 s3, s19, 3
	s_ashr_i32 s10, s3, 31
	v_mov_b32_e32 v10, 0xc3e00000
	v_mov_b32_e32 v11, 0x43e00000
	;;#ASMSTART
	v_med3_f32 v4, v4, v10, v11
v_med3_f32 v5, v5, v10, v11
v_cvt_pk_fp8_f32 v6, v4, v5
	;;#ASMEND
	s_and_b32 s9, s2, 0xffff
	s_lshr_b32 s2, s10, 30
	;;#ASMSTART
	v_pk_mul_f32 v[4:5], v[32:33], v[2:3]
	;;#ASMEND
	s_add_i32 s3, s3, s2
	;;#ASMSTART
	v_med3_f32 v4, v4, v10, v11
v_med3_f32 v5, v5, v10, v11
v_cvt_pk_fp8_f32 v7, v4, v5
	;;#ASMEND
	s_mov_b32 s2, 0x5040100
	v_perm_b32 v4, v7, v6, s2
	s_mov_b32 s2, 0x1060504
	v_perm_b32 v4, v4, v7, s2
	;;#ASMSTART
	v_pk_mul_f32 v[6:7], v[26:27], v[2:3]
	;;#ASMEND
	v_mov_b32_e32 v5, v6
	;;#ASMSTART
	v_med3_f32 v5, v5, v10, v11
v_med3_f32 v7, v7, v10, v11
v_cvt_pk_fp8_f32 v8, v5, v7
	;;#ASMEND
	;;#ASMSTART
	v_pk_mul_f32 v[6:7], v[30:31], v[2:3]
	;;#ASMEND
	v_mov_b32_e32 v5, v7
	;;#ASMSTART
	v_med3_f32 v6, v6, v10, v11
v_med3_f32 v5, v5, v10, v11
v_cvt_pk_fp8_f32 v7, v6, v5
	;;#ASMEND
	s_mov_b32 s2, 0x1000504
	v_perm_b32 v5, v8, v7, s2
	;;#ASMSTART
	v_pk_mul_f32 v[6:7], v[24:25], v[2:3]
	;;#ASMEND
	;;#ASMSTART
	v_med3_f32 v6, v6, v10, v11
v_med3_f32 v7, v7, v10, v11
v_cvt_pk_fp8_f32 v8, v6, v7
	;;#ASMEND
	;;#ASMSTART
	v_pk_mul_f32 v[6:7], v[28:29], v[2:3]
	;;#ASMEND
	;;#ASMSTART
	v_med3_f32 v6, v6, v10, v11
v_med3_f32 v7, v7, v10, v11
v_cvt_pk_fp8_f32 v9, v6, v7
	;;#ASMEND
	v_perm_b32 v6, v8, v9, s2
	;;#ASMSTART
	v_pk_mul_f32 v[8:9], v[22:23], v[2:3]
	;;#ASMEND
	v_mov_b32_e32 v7, v8
	;;#ASMSTART
	v_med3_f32 v7, v7, v10, v11
v_med3_f32 v9, v9, v10, v11
v_cvt_pk_fp8_f32 v8, v7, v9
	;;#ASMEND
	;;#ASMSTART
	v_pk_mul_f32 v[2:3], v[20:21], v[2:3]
	;;#ASMEND
	;;#ASMSTART
	v_med3_f32 v2, v2, v10, v11
v_med3_f32 v3, v3, v10, v11
v_cvt_pk_fp8_f32 v7, v2, v3
	;;#ASMEND
	s_and_b32 s10, s3, -4
	s_mov_b32 s11, 0x20000
	v_perm_b32 v7, v8, v7, s2
	buffer_store_dwordx4 v[4:7], v1, s[8:11], 0 offen
	;;#ASMSTART
	s_nop 0
	;;#ASMEND
.LBB1017_24:
	s_or_b64 exec, exec, s[14:15]
	s_cmp_lt_i32 s20, 1
	s_cbranch_scc1 .LBB1017_12
.LBB1017_25:
	s_load_dword s2, s[4:5], 0x94
	s_waitcnt lgkmcnt(0)
	s_cmp_lg_u32 s2, 1
	s_cbranch_scc1 .LBB1017_12
; %bb.26:
	s_lshl_b32 s2, s20, 1
	s_add_i32 s2, s2, 2
	v_cmp_gt_u32_e32 vcc, s20, v1
	s_and_b32 s14, s2, -4
	v_mov_b32_e32 v18, 0
	v_lshlrev_b32_e32 v1, 5, v0
	v_mov_b32_e32 v14, 0
	v_mov_b32_e32 v15, 0
	;; [unrolled: 1-line block ×8, first 2 shown]
	s_waitcnt vmcnt(1)
	v_mov_b32_e32 v6, 0
	v_mov_b32_e32 v7, 0
	;; [unrolled: 1-line block ×4, first 2 shown]
	s_waitcnt vmcnt(0)
	v_mov_b32_e32 v2, 0
	v_mov_b32_e32 v3, 0
	;; [unrolled: 1-line block ×4, first 2 shown]
	s_barrier
	s_and_saveexec_b64 s[2:3], vcc
	s_cbranch_execz .LBB1017_28
; %bb.27:
	s_mul_hi_i32 s5, s22, s6
	s_mul_i32 s4, s22, s6
	s_and_b32 s13, s13, 0xffff
	s_lshl_b64 s[4:5], s[4:5], 1
	s_add_u32 s8, s30, s4
	s_mov_b32 s15, 0x20000
	s_addc_u32 s4, s31, s5
	s_and_b32 s9, s4, 0xffff
	s_mov_b32 s10, s14
	s_mov_b32 s11, s15
	buffer_load_dwordx4 v[14:17], v1, s[8:11], 0 offen
	buffer_load_dwordx4 v[10:13], v1, s[8:11], 16 offen
	;; [unrolled: 1-line block ×4, first 2 shown]
.LBB1017_28:
	s_or_b64 exec, exec, s[2:3]
	v_mov_b32_e32 v19, 0
	v_mov_b32_e32 v32, 0
	;; [unrolled: 1-line block ×15, first 2 shown]
	s_and_saveexec_b64 s[2:3], vcc
	s_cbranch_execz .LBB1017_30
; %bb.29:
	s_waitcnt vmcnt(3)
	v_cvt_f32_f16_sdwa v19, v14 dst_sel:DWORD dst_unused:UNUSED_PAD src0_sel:WORD_1
	v_cvt_f32_f16_e32 v18, v14
	v_cvt_f32_f16_sdwa v33, v15 dst_sel:DWORD dst_unused:UNUSED_PAD src0_sel:WORD_1
	v_cvt_f32_f16_e32 v32, v15
	;; [unrolled: 2-line block ×4, first 2 shown]
	s_waitcnt vmcnt(2)
	v_cvt_f32_f16_sdwa v27, v10 dst_sel:DWORD dst_unused:UNUSED_PAD src0_sel:WORD_1
	v_cvt_f32_f16_e32 v26, v10
	v_cvt_f32_f16_sdwa v25, v11 dst_sel:DWORD dst_unused:UNUSED_PAD src0_sel:WORD_1
	v_cvt_f32_f16_e32 v24, v11
	;; [unrolled: 2-line block ×4, first 2 shown]
.LBB1017_30:
	s_or_b64 exec, exec, s[2:3]
	s_waitcnt vmcnt(2)
	v_mul_f32_e32 v10, v19, v19
	v_fmac_f32_e32 v10, v18, v18
	v_fmac_f32_e32 v10, v32, v32
	;; [unrolled: 1-line block ×15, first 2 shown]
	s_nop 1
	v_mov_b32_dpp v11, v10 quad_perm:[1,0,3,2] row_mask:0xf bank_mask:0xf
	v_add_f32_e32 v10, v10, v11
	s_nop 1
	v_mov_b32_dpp v11, v10 quad_perm:[2,3,0,1] row_mask:0xf bank_mask:0xf
	v_add_f32_e32 v10, v10, v11
	s_nop 1
	v_mov_b32_dpp v11, v10 row_half_mirror row_mask:0xf bank_mask:0xf
	v_add_f32_e32 v10, v10, v11
	s_nop 1
	v_mov_b32_dpp v11, v10 row_mirror row_mask:0xf bank_mask:0xf
	v_add_f32_e32 v10, v10, v11
	s_nop 1
	v_mov_b32_dpp v11, v10 row_bcast:15 row_mask:0xf bank_mask:0xf
	v_add_f32_e32 v10, v10, v11
	s_nop 1
	v_mov_b32_dpp v11, v10 row_bcast:31 row_mask:0xf bank_mask:0xf
	s_and_saveexec_b64 s[2:3], s[0:1]
	s_cbranch_execz .LBB1017_32
; %bb.31:
	v_lshrrev_b32_e32 v0, 4, v0
	v_add_f32_e32 v10, v10, v11
	v_and_b32_e32 v0, 60, v0
	ds_write_b32 v0, v10
.LBB1017_32:
	s_or_b64 exec, exec, s[2:3]
	s_waitcnt lgkmcnt(0)
	s_barrier
	ds_read_b32 v0, v34
	s_waitcnt lgkmcnt(0)
	s_nop 0
	v_mov_b32_dpp v10, v0 quad_perm:[1,0,3,2] row_mask:0xf bank_mask:0xf
	v_add_f32_e32 v0, v0, v10
	s_nop 1
	v_mov_b32_dpp v10, v0 quad_perm:[2,3,0,1] row_mask:0xf bank_mask:0xf
	v_add_f32_e32 v0, v0, v10
	s_nop 1
	v_mov_b32_dpp v10, v0 row_half_mirror row_mask:0xf bank_mask:0xf
	s_and_saveexec_b64 s[0:1], vcc
	s_cbranch_execz .LBB1017_12
; %bb.33:
	v_cvt_f32_u32_e32 v11, s20
	v_add_f32_e32 v0, v0, v10
	s_mov_b32 s15, 0x20000
	v_div_scale_f32 v10, s[0:1], v11, v11, v0
	v_rcp_f32_e32 v12, v10
	v_div_scale_f32 v13, vcc, v0, v11, v0
	s_mov_b32 s0, 0x800000
	v_fma_f32 v14, -v10, v12, 1.0
	v_fmac_f32_e32 v12, v14, v12
	v_mul_f32_e32 v14, v13, v12
	v_fma_f32 v15, -v10, v14, v13
	v_fmac_f32_e32 v14, v15, v12
	v_fma_f32 v10, -v10, v14, v13
	v_div_fmas_f32 v10, v10, v12, v14
	v_div_fixup_f32 v0, v10, v11, v0
	v_add_f32_e32 v0, s17, v0
	v_mul_f32_e32 v10, 0x4b800000, v0
	v_cmp_gt_f32_e32 vcc, s0, v0
	v_cndmask_b32_e32 v0, v0, v10, vcc
	v_rsq_f32_e32 v0, v0
	s_mul_hi_i32 s1, s7, s6
	s_mul_i32 s0, s7, s6
	s_lshl_b64 s[0:1], s[0:1], 1
	v_mul_f32_e32 v10, 0x45800000, v0
	v_cndmask_b32_e32 v10, v0, v10, vcc
	v_mov_b32_e32 v11, v10
	;;#ASMSTART
	v_pk_mul_f32 v[12:13], v[18:19], v[10:11]
	;;#ASMEND
	;;#ASMSTART
	v_pk_mul_f32 v[14:15], v[32:33], v[10:11]
	;;#ASMEND
	;; [unrolled: 3-line block ×4, first 2 shown]
	s_waitcnt vmcnt(1)
	v_cvt_f32_f16_sdwa v29, v6 dst_sel:DWORD dst_unused:UNUSED_PAD src0_sel:WORD_1
	v_cvt_f32_f16_e32 v28, v6
	v_cvt_f32_f16_sdwa v31, v7 dst_sel:DWORD dst_unused:UNUSED_PAD src0_sel:WORD_1
	v_cvt_f32_f16_e32 v30, v7
	;;#ASMSTART
	v_pk_mul_f32 v[26:27], v[26:27], v[10:11]
	;;#ASMEND
	;;#ASMSTART
	v_pk_mul_f32 v[24:25], v[24:25], v[10:11]
	;;#ASMEND
	;; [unrolled: 3-line block ×4, first 2 shown]
	v_cvt_f32_f16_sdwa v21, v8 dst_sel:DWORD dst_unused:UNUSED_PAD src0_sel:WORD_1
	v_cvt_f32_f16_e32 v20, v8
	v_pk_add_f32 v[10:11], v[28:29], 1.0 op_sel_hi:[1,0]
	;;#ASMSTART
	v_pk_mul_f32 v[10:11], v[12:13], v[10:11]
	;;#ASMEND
	v_pk_add_f32 v[12:13], v[30:31], 1.0 op_sel_hi:[1,0]
	v_cvt_f32_f16_sdwa v29, v9 dst_sel:DWORD dst_unused:UNUSED_PAD src0_sel:WORD_1
	v_cvt_f32_f16_e32 v28, v9
	;;#ASMSTART
	v_pk_mul_f32 v[8:9], v[14:15], v[12:13]
	;;#ASMEND
	v_pk_add_f32 v[12:13], v[20:21], 1.0 op_sel_hi:[1,0]
	;;#ASMSTART
	v_pk_mul_f32 v[12:13], v[16:17], v[12:13]
	;;#ASMEND
	s_waitcnt vmcnt(0)
	v_cvt_f32_f16_sdwa v17, v2 dst_sel:DWORD dst_unused:UNUSED_PAD src0_sel:WORD_1
	v_cvt_f32_f16_e32 v16, v2
	v_cvt_f32_f16_sdwa v21, v3 dst_sel:DWORD dst_unused:UNUSED_PAD src0_sel:WORD_1
	v_cvt_f32_f16_e32 v20, v3
	v_pk_add_f32 v[14:15], v[28:29], 1.0 op_sel_hi:[1,0]
	;;#ASMSTART
	v_pk_mul_f32 v[2:3], v[18:19], v[14:15]
	;;#ASMEND
	v_cvt_f32_f16_sdwa v19, v4 dst_sel:DWORD dst_unused:UNUSED_PAD src0_sel:WORD_1
	v_cvt_f32_f16_e32 v18, v4
	v_pk_add_f32 v[14:15], v[16:17], 1.0 op_sel_hi:[1,0]
	v_pk_add_f32 v[16:17], v[20:21], 1.0 op_sel_hi:[1,0]
	v_cvt_f32_f16_sdwa v21, v5 dst_sel:DWORD dst_unused:UNUSED_PAD src0_sel:WORD_1
	v_cvt_f32_f16_e32 v20, v5
	v_pk_add_f32 v[4:5], v[18:19], 1.0 op_sel_hi:[1,0]
	;;#ASMSTART
	v_pk_mul_f32 v[14:15], v[26:27], v[14:15]
	;;#ASMEND
	;;#ASMSTART
	v_pk_mul_f32 v[16:17], v[24:25], v[16:17]
	;;#ASMEND
	;; [unrolled: 3-line block ×3, first 2 shown]
	v_pk_add_f32 v[4:5], v[20:21], 1.0 op_sel_hi:[1,0]
	;;#ASMSTART
	v_pk_mul_f32 v[6:7], v[6:7], v[4:5]
	;;#ASMEND
	v_cvt_f16_f32_e32 v0, v10
	v_cvt_f16_f32_e32 v4, v11
	;; [unrolled: 1-line block ×8, first 2 shown]
	s_add_u32 s12, s28, s0
	s_addc_u32 s0, s29, s1
	s_and_b32 s13, s0, 0xffff
	v_pack_b32_f16 v2, v0, v4
	v_pack_b32_f16 v3, v5, v8
	;; [unrolled: 1-line block ×4, first 2 shown]
	buffer_store_dwordx4 v[2:5], v1, s[12:15], 0 offen
	v_cvt_f16_f32_e32 v0, v14
	v_cvt_f16_f32_e32 v2, v15
	v_cvt_f16_f32_e32 v3, v16
	v_cvt_f16_f32_e32 v4, v17
	v_cvt_f16_f32_e32 v5, v18
	v_cvt_f16_f32_e32 v8, v19
	v_cvt_f16_f32_e32 v6, v6
	v_cvt_f16_f32_e32 v7, v7
	v_pack_b32_f16 v2, v0, v2
	v_pack_b32_f16 v3, v3, v4
	;; [unrolled: 1-line block ×4, first 2 shown]
	;;#ASMSTART
	s_nop 0
	;;#ASMEND
	buffer_store_dwordx4 v[2:5], v1, s[12:15], 16 offen
	;;#ASMSTART
	s_nop 0
	;;#ASMEND
	s_endpgm
	.section	.rodata,"a",@progbits
	.p2align	6, 0x0
	.amdhsa_kernel _ZN5aiter35fused_qk_rmsnorm_group_quant_kernelIDF16_DB8_Li512ELi16ELi2ELb0ELb1ELb1ELb0ELb0ELb0EEEvPT0_PvPT_S6_S6_PKS5_S8_S8_S8_S8_ffiiiiiiiiiiiii
		.amdhsa_group_segment_fixed_size 64
		.amdhsa_private_segment_fixed_size 0
		.amdhsa_kernarg_size 400
		.amdhsa_user_sgpr_count 6
		.amdhsa_user_sgpr_private_segment_buffer 1
		.amdhsa_user_sgpr_dispatch_ptr 0
		.amdhsa_user_sgpr_queue_ptr 0
		.amdhsa_user_sgpr_kernarg_segment_ptr 1
		.amdhsa_user_sgpr_dispatch_id 0
		.amdhsa_user_sgpr_flat_scratch_init 0
		.amdhsa_user_sgpr_kernarg_preload_length 0
		.amdhsa_user_sgpr_kernarg_preload_offset 0
		.amdhsa_user_sgpr_private_segment_size 0
		.amdhsa_uses_dynamic_stack 0
		.amdhsa_system_sgpr_private_segment_wavefront_offset 0
		.amdhsa_system_sgpr_workgroup_id_x 1
		.amdhsa_system_sgpr_workgroup_id_y 1
		.amdhsa_system_sgpr_workgroup_id_z 0
		.amdhsa_system_sgpr_workgroup_info 0
		.amdhsa_system_vgpr_workitem_id 0
		.amdhsa_next_free_vgpr 35
		.amdhsa_next_free_sgpr 36
		.amdhsa_accum_offset 36
		.amdhsa_reserve_vcc 1
		.amdhsa_reserve_flat_scratch 0
		.amdhsa_float_round_mode_32 0
		.amdhsa_float_round_mode_16_64 0
		.amdhsa_float_denorm_mode_32 3
		.amdhsa_float_denorm_mode_16_64 3
		.amdhsa_dx10_clamp 1
		.amdhsa_ieee_mode 1
		.amdhsa_fp16_overflow 0
		.amdhsa_tg_split 0
		.amdhsa_exception_fp_ieee_invalid_op 0
		.amdhsa_exception_fp_denorm_src 0
		.amdhsa_exception_fp_ieee_div_zero 0
		.amdhsa_exception_fp_ieee_overflow 0
		.amdhsa_exception_fp_ieee_underflow 0
		.amdhsa_exception_fp_ieee_inexact 0
		.amdhsa_exception_int_div_zero 0
	.end_amdhsa_kernel
	.section	.text._ZN5aiter35fused_qk_rmsnorm_group_quant_kernelIDF16_DB8_Li512ELi16ELi2ELb0ELb1ELb1ELb0ELb0ELb0EEEvPT0_PvPT_S6_S6_PKS5_S8_S8_S8_S8_ffiiiiiiiiiiiii,"axG",@progbits,_ZN5aiter35fused_qk_rmsnorm_group_quant_kernelIDF16_DB8_Li512ELi16ELi2ELb0ELb1ELb1ELb0ELb0ELb0EEEvPT0_PvPT_S6_S6_PKS5_S8_S8_S8_S8_ffiiiiiiiiiiiii,comdat
.Lfunc_end1017:
	.size	_ZN5aiter35fused_qk_rmsnorm_group_quant_kernelIDF16_DB8_Li512ELi16ELi2ELb0ELb1ELb1ELb0ELb0ELb0EEEvPT0_PvPT_S6_S6_PKS5_S8_S8_S8_S8_ffiiiiiiiiiiiii, .Lfunc_end1017-_ZN5aiter35fused_qk_rmsnorm_group_quant_kernelIDF16_DB8_Li512ELi16ELi2ELb0ELb1ELb1ELb0ELb0ELb0EEEvPT0_PvPT_S6_S6_PKS5_S8_S8_S8_S8_ffiiiiiiiiiiiii
                                        ; -- End function
	.section	.AMDGPU.csdata,"",@progbits
; Kernel info:
; codeLenInByte = 3800
; NumSgprs: 40
; NumVgprs: 35
; NumAgprs: 0
; TotalNumVgprs: 35
; ScratchSize: 0
; MemoryBound: 0
; FloatMode: 240
; IeeeMode: 1
; LDSByteSize: 64 bytes/workgroup (compile time only)
; SGPRBlocks: 4
; VGPRBlocks: 4
; NumSGPRsForWavesPerEU: 40
; NumVGPRsForWavesPerEU: 35
; AccumOffset: 36
; Occupancy: 8
; WaveLimiterHint : 0
; COMPUTE_PGM_RSRC2:SCRATCH_EN: 0
; COMPUTE_PGM_RSRC2:USER_SGPR: 6
; COMPUTE_PGM_RSRC2:TRAP_HANDLER: 0
; COMPUTE_PGM_RSRC2:TGID_X_EN: 1
; COMPUTE_PGM_RSRC2:TGID_Y_EN: 1
; COMPUTE_PGM_RSRC2:TGID_Z_EN: 0
; COMPUTE_PGM_RSRC2:TIDIG_COMP_CNT: 0
; COMPUTE_PGM_RSRC3_GFX90A:ACCUM_OFFSET: 8
; COMPUTE_PGM_RSRC3_GFX90A:TG_SPLIT: 0
	.section	.text._ZN5aiter35fused_qk_rmsnorm_group_quant_kernelItDB8_Li512ELi16ELi2ELb0ELb1ELb1ELb0ELb0ELb0EEEvPT0_PvPT_S6_S6_PKS5_S8_S8_S8_S8_ffiiiiiiiiiiiii,"axG",@progbits,_ZN5aiter35fused_qk_rmsnorm_group_quant_kernelItDB8_Li512ELi16ELi2ELb0ELb1ELb1ELb0ELb0ELb0EEEvPT0_PvPT_S6_S6_PKS5_S8_S8_S8_S8_ffiiiiiiiiiiiii,comdat
	.protected	_ZN5aiter35fused_qk_rmsnorm_group_quant_kernelItDB8_Li512ELi16ELi2ELb0ELb1ELb1ELb0ELb0ELb0EEEvPT0_PvPT_S6_S6_PKS5_S8_S8_S8_S8_ffiiiiiiiiiiiii ; -- Begin function _ZN5aiter35fused_qk_rmsnorm_group_quant_kernelItDB8_Li512ELi16ELi2ELb0ELb1ELb1ELb0ELb0ELb0EEEvPT0_PvPT_S6_S6_PKS5_S8_S8_S8_S8_ffiiiiiiiiiiiii
	.globl	_ZN5aiter35fused_qk_rmsnorm_group_quant_kernelItDB8_Li512ELi16ELi2ELb0ELb1ELb1ELb0ELb0ELb0EEEvPT0_PvPT_S6_S6_PKS5_S8_S8_S8_S8_ffiiiiiiiiiiiii
	.p2align	8
	.type	_ZN5aiter35fused_qk_rmsnorm_group_quant_kernelItDB8_Li512ELi16ELi2ELb0ELb1ELb1ELb0ELb0ELb0EEEvPT0_PvPT_S6_S6_PKS5_S8_S8_S8_S8_ffiiiiiiiiiiiii,@function
_ZN5aiter35fused_qk_rmsnorm_group_quant_kernelItDB8_Li512ELi16ELi2ELb0ELb1ELb1ELb0ELb0ELb0EEEvPT0_PvPT_S6_S6_PKS5_S8_S8_S8_S8_ffiiiiiiiiiiiii: ; @_ZN5aiter35fused_qk_rmsnorm_group_quant_kernelItDB8_Li512ELi16ELi2ELb0ELb1ELb1ELb0ELb0ELb0EEEvPT0_PvPT_S6_S6_PKS5_S8_S8_S8_S8_ffiiiiiiiiiiiii
; %bb.0:
	s_load_dwordx4 s[16:19], s[4:5], 0x50
	s_waitcnt lgkmcnt(0)
	s_cmp_ge_i32 s6, s18
	s_cbranch_scc1 .LBB1018_12
; %bb.1:
	s_load_dwordx2 s[12:13], s[4:5], 0x48
	s_load_dwordx2 s[30:31], s[4:5], 0x30
	s_load_dwordx4 s[20:23], s[4:5], 0x60
	s_cmp_lg_u32 s7, 0
	s_cselect_b64 s[14:15], -1, 0
	s_cmp_eq_u32 s7, 0
	s_cselect_b64 vcc, -1, 0
	s_and_b64 s[0:1], vcc, exec
	s_waitcnt lgkmcnt(0)
	s_cselect_b32 s7, s19, s20
	s_add_i32 s0, s7, 1
	s_lshr_b32 s1, s0, 31
	s_add_i32 s0, s0, s1
	s_lshl_b32 s0, s0, 1
	v_lshlrev_b32_e32 v1, 4, v0
	s_and_b32 s10, s0, -4
	v_cmp_gt_i32_e64 s[2:3], s7, v1
	v_mov_b32_e32 v18, 0
	v_mov_b32_e32 v6, 0
	;; [unrolled: 1-line block ×17, first 2 shown]
	s_and_saveexec_b64 s[0:1], s[2:3]
	s_cbranch_execz .LBB1018_3
; %bb.2:
	s_load_dwordx2 s[8:9], s[4:5], 0x28
	s_load_dwordx2 s[26:27], s[4:5], 0x40
	s_and_b64 s[24:25], vcc, exec
	s_cselect_b32 s11, s21, s22
	v_lshlrev_b32_e32 v19, 5, v0
	s_waitcnt lgkmcnt(0)
	s_cselect_b32 s18, s9, s31
	s_cselect_b32 s21, s8, s30
	s_mul_hi_i32 s9, s11, s6
	s_mul_i32 s8, s11, s6
	s_lshl_b64 s[8:9], s[8:9], 1
	s_add_u32 s24, s21, s8
	s_addc_u32 s18, s18, s9
	s_and_b64 s[8:9], vcc, exec
	s_mov_b32 s11, 0x20000
	s_cselect_b32 s8, s26, s12
	s_cselect_b32 s9, s27, s13
	s_and_b32 s25, s18, 0xffff
	s_mov_b32 s26, s10
	s_mov_b32 s27, s11
	s_and_b32 s9, s9, 0xffff
	buffer_load_dwordx4 v[14:17], v19, s[24:27], 0 offen
	buffer_load_dwordx4 v[10:13], v19, s[24:27], 16 offen
	;; [unrolled: 1-line block ×4, first 2 shown]
.LBB1018_3:
	s_or_b64 exec, exec, s[0:1]
	v_mov_b32_e32 v19, 0
	v_mov_b32_e32 v32, 0
	;; [unrolled: 1-line block ×15, first 2 shown]
	s_and_saveexec_b64 s[0:1], s[2:3]
	s_cbranch_execz .LBB1018_5
; %bb.4:
	s_waitcnt vmcnt(3)
	v_cvt_f32_u32_sdwa v18, v14 dst_sel:DWORD dst_unused:UNUSED_PAD src0_sel:WORD_0
	v_cvt_f32_u32_sdwa v19, v14 dst_sel:DWORD dst_unused:UNUSED_PAD src0_sel:WORD_1
	v_cvt_f32_u32_sdwa v32, v15 dst_sel:DWORD dst_unused:UNUSED_PAD src0_sel:WORD_0
	v_cvt_f32_u32_sdwa v33, v15 dst_sel:DWORD dst_unused:UNUSED_PAD src0_sel:WORD_1
	;; [unrolled: 2-line block ×4, first 2 shown]
	s_waitcnt vmcnt(2)
	v_cvt_f32_u32_sdwa v24, v10 dst_sel:DWORD dst_unused:UNUSED_PAD src0_sel:WORD_0
	v_cvt_f32_u32_sdwa v25, v10 dst_sel:DWORD dst_unused:UNUSED_PAD src0_sel:WORD_1
	v_cvt_f32_u32_sdwa v28, v11 dst_sel:DWORD dst_unused:UNUSED_PAD src0_sel:WORD_0
	v_cvt_f32_u32_sdwa v29, v11 dst_sel:DWORD dst_unused:UNUSED_PAD src0_sel:WORD_1
	;; [unrolled: 2-line block ×4, first 2 shown]
.LBB1018_5:
	s_or_b64 exec, exec, s[0:1]
	s_waitcnt vmcnt(2)
	v_mul_f32_e32 v10, v19, v19
	v_fmac_f32_e32 v10, v18, v18
	v_fmac_f32_e32 v10, v32, v32
	;; [unrolled: 1-line block ×15, first 2 shown]
	v_and_b32_e32 v12, 63, v0
	v_cmp_eq_u32_e64 s[0:1], 63, v12
	v_mov_b32_dpp v11, v10 quad_perm:[1,0,3,2] row_mask:0xf bank_mask:0xf
	v_add_f32_e32 v10, v10, v11
	s_nop 1
	v_mov_b32_dpp v11, v10 quad_perm:[2,3,0,1] row_mask:0xf bank_mask:0xf
	v_add_f32_e32 v10, v10, v11
	s_nop 1
	v_mov_b32_dpp v11, v10 row_half_mirror row_mask:0xf bank_mask:0xf
	v_add_f32_e32 v10, v10, v11
	s_nop 1
	v_mov_b32_dpp v11, v10 row_mirror row_mask:0xf bank_mask:0xf
	v_add_f32_e32 v10, v10, v11
	s_nop 1
	v_mov_b32_dpp v11, v10 row_bcast:15 row_mask:0xf bank_mask:0xf
	v_add_f32_e32 v10, v10, v11
	s_nop 1
	v_mov_b32_dpp v11, v10 row_bcast:31 row_mask:0xf bank_mask:0xf
	s_and_saveexec_b64 s[8:9], s[0:1]
	s_cbranch_execz .LBB1018_7
; %bb.6:
	v_add_f32_e32 v10, v10, v11
	v_lshrrev_b32_e32 v11, 4, v0
	v_and_b32_e32 v11, 60, v11
	ds_write_b32 v11, v10 offset:32
.LBB1018_7:
	s_or_b64 exec, exec, s[8:9]
	v_and_b32_e32 v10, 7, v0
	v_lshlrev_b32_e32 v34, 2, v10
	s_waitcnt lgkmcnt(0)
	s_barrier
	ds_read_b32 v10, v34 offset:32
	s_load_dwordx2 s[28:29], s[4:5], 0x18
	s_waitcnt lgkmcnt(0)
	v_mov_b32_dpp v11, v10 quad_perm:[1,0,3,2] row_mask:0xf bank_mask:0xf
	v_add_f32_e32 v10, v10, v11
	s_nop 1
	v_mov_b32_dpp v11, v10 quad_perm:[2,3,0,1] row_mask:0xf bank_mask:0xf
	v_add_f32_e32 v10, v10, v11
	s_nop 1
	v_mov_b32_dpp v11, v10 row_half_mirror row_mask:0xf bank_mask:0xf
	s_and_saveexec_b64 s[8:9], s[2:3]
	s_cbranch_execz .LBB1018_9
; %bb.8:
	v_cvt_f32_u32_e32 v12, s7
	v_add_f32_e32 v10, v10, v11
	v_mov_b32_e32 v14, s17
	v_mov_b32_e32 v15, s16
	v_div_scale_f32 v11, s[24:25], v12, v12, v10
	v_rcp_f32_e32 v13, v11
	v_cndmask_b32_e32 v14, v14, v15, vcc
	s_mov_b32 s7, 0x800000
	v_fma_f32 v15, -v11, v13, 1.0
	v_fmac_f32_e32 v13, v15, v13
	v_div_scale_f32 v15, vcc, v10, v12, v10
	v_mul_f32_e32 v16, v15, v13
	v_fma_f32 v17, -v11, v16, v15
	v_fmac_f32_e32 v16, v17, v13
	v_fma_f32 v11, -v11, v16, v15
	v_div_fmas_f32 v11, v11, v13, v16
	v_div_fixup_f32 v10, v11, v12, v10
	v_add_f32_e32 v10, v14, v10
	v_mul_f32_e32 v11, 0x4b800000, v10
	v_cmp_gt_f32_e32 vcc, s7, v10
	v_cndmask_b32_e32 v10, v10, v11, vcc
	v_rsq_f32_e32 v10, v10
	v_mul_f32_e32 v11, 0x45800000, v10
	v_cndmask_b32_e32 v10, v10, v11, vcc
	v_mov_b32_e32 v11, v10
	;;#ASMSTART
	v_pk_mul_f32 v[12:13], v[18:19], v[10:11]
	;;#ASMEND
	s_waitcnt vmcnt(1)
	v_cvt_f32_u32_sdwa v19, v6 dst_sel:DWORD dst_unused:UNUSED_PAD src0_sel:WORD_1
	v_cvt_f32_u32_sdwa v18, v6 dst_sel:DWORD dst_unused:UNUSED_PAD src0_sel:WORD_0
	;;#ASMSTART
	v_pk_mul_f32 v[14:15], v[32:33], v[10:11]
	;;#ASMEND
	;;#ASMSTART
	v_pk_mul_f32 v[16:17], v[26:27], v[10:11]
	;;#ASMEND
	v_cvt_f32_u32_sdwa v27, v7 dst_sel:DWORD dst_unused:UNUSED_PAD src0_sel:WORD_1
	v_cvt_f32_u32_sdwa v26, v7 dst_sel:DWORD dst_unused:UNUSED_PAD src0_sel:WORD_0
	;;#ASMSTART
	v_pk_mul_f32 v[30:31], v[30:31], v[10:11]
	;;#ASMEND
	;;#ASMSTART
	v_pk_mul_f32 v[24:25], v[24:25], v[10:11]
	;;#ASMEND
	;; [unrolled: 3-line block ×5, first 2 shown]
	v_pk_add_f32 v[10:11], v[18:19], 1.0 op_sel_hi:[1,0]
	;;#ASMSTART
	v_pk_mul_f32 v[18:19], v[12:13], v[10:11]
	;;#ASMEND
	v_cvt_f32_u32_sdwa v13, v8 dst_sel:DWORD dst_unused:UNUSED_PAD src0_sel:WORD_1
	v_cvt_f32_u32_sdwa v12, v8 dst_sel:DWORD dst_unused:UNUSED_PAD src0_sel:WORD_0
	v_cvt_f32_u32_sdwa v21, v9 dst_sel:DWORD dst_unused:UNUSED_PAD src0_sel:WORD_1
	v_cvt_f32_u32_sdwa v20, v9 dst_sel:DWORD dst_unused:UNUSED_PAD src0_sel:WORD_0
	v_pk_add_f32 v[10:11], v[26:27], 1.0 op_sel_hi:[1,0]
	;;#ASMSTART
	v_pk_mul_f32 v[32:33], v[14:15], v[10:11]
	;;#ASMEND
	s_waitcnt vmcnt(0)
	v_cvt_f32_u32_sdwa v11, v2 dst_sel:DWORD dst_unused:UNUSED_PAD src0_sel:WORD_1
	v_cvt_f32_u32_sdwa v10, v2 dst_sel:DWORD dst_unused:UNUSED_PAD src0_sel:WORD_0
	v_pk_add_f32 v[8:9], v[12:13], 1.0 op_sel_hi:[1,0]
	;;#ASMSTART
	v_pk_mul_f32 v[26:27], v[16:17], v[8:9]
	;;#ASMEND
	v_pk_add_f32 v[8:9], v[20:21], 1.0 op_sel_hi:[1,0]
	v_cvt_f32_u32_sdwa v13, v3 dst_sel:DWORD dst_unused:UNUSED_PAD src0_sel:WORD_1
	v_cvt_f32_u32_sdwa v12, v3 dst_sel:DWORD dst_unused:UNUSED_PAD src0_sel:WORD_0
	;;#ASMSTART
	v_pk_mul_f32 v[30:31], v[30:31], v[8:9]
	;;#ASMEND
	v_cvt_f32_u32_sdwa v9, v4 dst_sel:DWORD dst_unused:UNUSED_PAD src0_sel:WORD_1
	v_cvt_f32_u32_sdwa v8, v4 dst_sel:DWORD dst_unused:UNUSED_PAD src0_sel:WORD_0
	v_pk_add_f32 v[2:3], v[10:11], 1.0 op_sel_hi:[1,0]
	v_cvt_f32_u32_sdwa v11, v5 dst_sel:DWORD dst_unused:UNUSED_PAD src0_sel:WORD_1
	v_cvt_f32_u32_sdwa v10, v5 dst_sel:DWORD dst_unused:UNUSED_PAD src0_sel:WORD_0
	;;#ASMSTART
	v_pk_mul_f32 v[24:25], v[24:25], v[2:3]
	;;#ASMEND
	v_pk_add_f32 v[2:3], v[12:13], 1.0 op_sel_hi:[1,0]
	;;#ASMSTART
	v_pk_mul_f32 v[28:29], v[28:29], v[2:3]
	;;#ASMEND
	v_pk_add_f32 v[2:3], v[8:9], 1.0 op_sel_hi:[1,0]
	;; [unrolled: 4-line block ×3, first 2 shown]
	;;#ASMSTART
	v_pk_mul_f32 v[20:21], v[6:7], v[2:3]
	;;#ASMEND
.LBB1018_9:
	s_or_b64 exec, exec, s[8:9]
	s_load_dword s7, s[4:5], 0x80
	s_mov_b64 s[8:9], -1
	s_and_b64 vcc, exec, s[14:15]
	s_cbranch_vccnz .LBB1018_13
; %bb.10:
	s_andn2_b64 vcc, exec, s[8:9]
	s_cbranch_vccz .LBB1018_16
.LBB1018_11:
	s_cmp_lt_i32 s20, 1
	s_cbranch_scc0 .LBB1018_25
.LBB1018_12:
	s_endpgm
.LBB1018_13:
	s_and_saveexec_b64 s[14:15], s[2:3]
	s_cbranch_execz .LBB1018_15
; %bb.14:
	s_waitcnt lgkmcnt(0)
	s_mul_hi_i32 s9, s7, s6
	s_mul_i32 s8, s7, s6
	s_lshl_b64 s[8:9], s[8:9], 1
	s_add_u32 s8, s28, s8
	s_addc_u32 s9, s29, s9
	s_mov_b32 s16, 0x7060302
	s_and_b32 s9, s9, 0xffff
	s_mov_b32 s11, 0x20000
	s_waitcnt vmcnt(0)
	v_perm_b32 v5, v31, v30, s16
	v_perm_b32 v4, v27, v26, s16
	;; [unrolled: 1-line block ×4, first 2 shown]
	v_lshlrev_b32_e32 v6, 5, v0
	buffer_store_dwordx4 v[2:5], v6, s[8:11], 0 offen
	;;#ASMSTART
	s_nop 0
	;;#ASMEND
	s_nop 0
	v_perm_b32 v5, v21, v20, s16
	v_perm_b32 v4, v23, v22, s16
	;; [unrolled: 1-line block ×4, first 2 shown]
	buffer_store_dwordx4 v[2:5], v6, s[8:11], 16 offen
	;;#ASMSTART
	s_nop 0
	;;#ASMEND
.LBB1018_15:
	s_or_b64 exec, exec, s[14:15]
	s_cbranch_execnz .LBB1018_11
.LBB1018_16:
	s_load_dwordx4 s[24:27], s[4:5], 0x70
	s_waitcnt vmcnt(0)
	v_mov_b32_e32 v2, 0
	s_and_saveexec_b64 s[14:15], s[2:3]
	s_cbranch_execz .LBB1018_18
; %bb.17:
	s_load_dwordx2 s[8:9], s[4:5], 0x10
	s_waitcnt lgkmcnt(0)
	s_mul_hi_i32 s35, s27, s6
	s_mul_i32 s34, s27, s6
	s_lshl_b64 s[34:35], s[34:35], 1
	s_mov_b32 s16, 0x7060302
	s_add_u32 s8, s8, s34
	s_addc_u32 s9, s9, s35
	s_mov_b32 s11, 0x20000
	s_and_b32 s9, s9, 0xffff
	v_perm_b32 v5, v31, v30, s16
	v_perm_b32 v4, v27, v26, s16
	v_perm_b32 v3, v33, v32, s16
	v_perm_b32 v2, v19, v18, s16
	v_lshlrev_b32_e32 v6, 5, v0
	buffer_store_dwordx4 v[2:5], v6, s[8:11], 0 offen
	;;#ASMSTART
	s_nop 0
	;;#ASMEND
	s_nop 0
	v_perm_b32 v5, v21, v20, s16
	v_perm_b32 v4, v23, v22, s16
	;; [unrolled: 1-line block ×4, first 2 shown]
	buffer_store_dwordx4 v[2:5], v6, s[8:11], 16 offen
	;;#ASMSTART
	s_nop 0
	;;#ASMEND
	s_nop 0
	v_mov_b32_e32 v2, 0x2edbe6ff
.LBB1018_18:
	s_or_b64 exec, exec, s[14:15]
	s_and_saveexec_b64 s[8:9], s[2:3]
	s_cbranch_execz .LBB1018_20
; %bb.19:
	v_and_b32_e32 v3, 0x7fffffff, v18
	v_and_b32_e32 v4, 0x7fffffff, v19
	;;#ASMSTART
	v_max3_f32 v2, v2, v3, v4

	;;#ASMEND
	v_and_b32_e32 v3, 0x7fffffff, v32
	v_and_b32_e32 v4, 0x7fffffff, v33
	;;#ASMSTART
	v_max3_f32 v2, v2, v3, v4

	;;#ASMEND
	;; [unrolled: 6-line block ×8, first 2 shown]
.LBB1018_20:
	s_or_b64 exec, exec, s[8:9]
	;;#ASMSTART
	v_max_f32 v3, v2, v2 quad_perm:[1,0,3,2] row_mask:0xf bank_mask:0xf bound_ctrl:1
	;;#ASMEND
	v_mul_f32_e32 v2, 0x3b124925, v3
	v_and_b32_e32 v3, 1, v0
	v_cmp_eq_u32_e32 vcc, 0, v3
	v_cmp_gt_i32_e64 s[8:9], s19, v1
	s_and_b64 s[10:11], vcc, s[8:9]
	s_and_saveexec_b64 s[8:9], s[10:11]
	s_cbranch_execz .LBB1018_22
; %bb.21:
	s_load_dwordx2 s[10:11], s[4:5], 0x8
	s_waitcnt lgkmcnt(0)
	s_mul_hi_i32 s15, s25, s6
	s_mul_i32 s14, s25, s6
	v_lshrrev_b32_e32 v3, 1, v0
	s_lshl_b64 s[14:15], s[14:15], 2
	v_mad_i64_i32 v[4:5], s[26:27], s26, v3, 0
	s_add_u32 s10, s10, s14
	s_addc_u32 s11, s11, s15
	v_lshlrev_b64 v[4:5], 2, v[4:5]
	v_mov_b32_e32 v3, s11
	v_add_co_u32_e32 v4, vcc, s10, v4
	v_addc_co_u32_e32 v5, vcc, v3, v5, vcc
	global_store_dword v[4:5], v2, off
.LBB1018_22:
	s_or_b64 exec, exec, s[8:9]
	;;#ASMSTART
	v_rcp_f32 v2, v2
	;;#ASMEND
	s_and_saveexec_b64 s[14:15], s[2:3]
	s_cbranch_execz .LBB1018_24
; %bb.23:
	s_load_dwordx2 s[2:3], s[4:5], 0x0
	s_waitcnt lgkmcnt(0)
	s_mul_i32 s8, s24, s6
	s_mul_hi_i32 s9, s24, s6
	v_mov_b32_e32 v3, v2
	;;#ASMSTART
	v_pk_mul_f32 v[4:5], v[18:19], v[2:3]
	;;#ASMEND
	s_add_u32 s8, s2, s8
	s_addc_u32 s2, s3, s9
	s_add_i32 s3, s19, 3
	s_ashr_i32 s10, s3, 31
	v_mov_b32_e32 v10, 0xc3e00000
	v_mov_b32_e32 v11, 0x43e00000
	;;#ASMSTART
	v_med3_f32 v4, v4, v10, v11
v_med3_f32 v5, v5, v10, v11
v_cvt_pk_fp8_f32 v6, v4, v5
	;;#ASMEND
	s_and_b32 s9, s2, 0xffff
	s_lshr_b32 s2, s10, 30
	;;#ASMSTART
	v_pk_mul_f32 v[4:5], v[32:33], v[2:3]
	;;#ASMEND
	s_add_i32 s3, s3, s2
	;;#ASMSTART
	v_med3_f32 v4, v4, v10, v11
v_med3_f32 v5, v5, v10, v11
v_cvt_pk_fp8_f32 v7, v4, v5
	;;#ASMEND
	s_mov_b32 s2, 0x5040100
	v_perm_b32 v4, v7, v6, s2
	s_mov_b32 s2, 0x1060504
	v_perm_b32 v4, v4, v7, s2
	;;#ASMSTART
	v_pk_mul_f32 v[6:7], v[26:27], v[2:3]
	;;#ASMEND
	v_mov_b32_e32 v5, v6
	;;#ASMSTART
	v_med3_f32 v5, v5, v10, v11
v_med3_f32 v7, v7, v10, v11
v_cvt_pk_fp8_f32 v8, v5, v7
	;;#ASMEND
	;;#ASMSTART
	v_pk_mul_f32 v[6:7], v[30:31], v[2:3]
	;;#ASMEND
	v_mov_b32_e32 v5, v7
	;;#ASMSTART
	v_med3_f32 v6, v6, v10, v11
v_med3_f32 v5, v5, v10, v11
v_cvt_pk_fp8_f32 v7, v6, v5
	;;#ASMEND
	s_mov_b32 s2, 0x1000504
	v_perm_b32 v5, v8, v7, s2
	;;#ASMSTART
	v_pk_mul_f32 v[6:7], v[24:25], v[2:3]
	;;#ASMEND
	;;#ASMSTART
	v_med3_f32 v6, v6, v10, v11
v_med3_f32 v7, v7, v10, v11
v_cvt_pk_fp8_f32 v8, v6, v7
	;;#ASMEND
	;;#ASMSTART
	v_pk_mul_f32 v[6:7], v[28:29], v[2:3]
	;;#ASMEND
	;;#ASMSTART
	v_med3_f32 v6, v6, v10, v11
v_med3_f32 v7, v7, v10, v11
v_cvt_pk_fp8_f32 v9, v6, v7
	;;#ASMEND
	v_perm_b32 v6, v8, v9, s2
	;;#ASMSTART
	v_pk_mul_f32 v[8:9], v[22:23], v[2:3]
	;;#ASMEND
	v_mov_b32_e32 v7, v8
	;;#ASMSTART
	v_med3_f32 v7, v7, v10, v11
v_med3_f32 v9, v9, v10, v11
v_cvt_pk_fp8_f32 v8, v7, v9
	;;#ASMEND
	;;#ASMSTART
	v_pk_mul_f32 v[2:3], v[20:21], v[2:3]
	;;#ASMEND
	;;#ASMSTART
	v_med3_f32 v2, v2, v10, v11
v_med3_f32 v3, v3, v10, v11
v_cvt_pk_fp8_f32 v7, v2, v3
	;;#ASMEND
	s_and_b32 s10, s3, -4
	s_mov_b32 s11, 0x20000
	v_perm_b32 v7, v8, v7, s2
	buffer_store_dwordx4 v[4:7], v1, s[8:11], 0 offen
	;;#ASMSTART
	s_nop 0
	;;#ASMEND
.LBB1018_24:
	s_or_b64 exec, exec, s[14:15]
	s_cmp_lt_i32 s20, 1
	s_cbranch_scc1 .LBB1018_12
.LBB1018_25:
	s_load_dword s2, s[4:5], 0x94
	s_waitcnt lgkmcnt(0)
	s_cmp_lg_u32 s2, 1
	s_cbranch_scc1 .LBB1018_12
; %bb.26:
	s_lshl_b32 s2, s20, 1
	s_add_i32 s2, s2, 2
	v_cmp_gt_u32_e32 vcc, s20, v1
	s_and_b32 s14, s2, -4
	v_mov_b32_e32 v18, 0
	v_lshlrev_b32_e32 v1, 5, v0
	v_mov_b32_e32 v14, 0
	v_mov_b32_e32 v15, 0
	;; [unrolled: 1-line block ×8, first 2 shown]
	s_waitcnt vmcnt(1)
	v_mov_b32_e32 v6, 0
	v_mov_b32_e32 v7, 0
	;; [unrolled: 1-line block ×4, first 2 shown]
	s_waitcnt vmcnt(0)
	v_mov_b32_e32 v2, 0
	v_mov_b32_e32 v3, 0
	;; [unrolled: 1-line block ×4, first 2 shown]
	s_barrier
	s_and_saveexec_b64 s[2:3], vcc
	s_cbranch_execz .LBB1018_28
; %bb.27:
	s_mul_hi_i32 s5, s22, s6
	s_mul_i32 s4, s22, s6
	s_and_b32 s13, s13, 0xffff
	s_lshl_b64 s[4:5], s[4:5], 1
	s_add_u32 s8, s30, s4
	s_mov_b32 s15, 0x20000
	s_addc_u32 s4, s31, s5
	s_and_b32 s9, s4, 0xffff
	s_mov_b32 s10, s14
	s_mov_b32 s11, s15
	buffer_load_dwordx4 v[14:17], v1, s[8:11], 0 offen
	buffer_load_dwordx4 v[10:13], v1, s[8:11], 16 offen
	;; [unrolled: 1-line block ×4, first 2 shown]
.LBB1018_28:
	s_or_b64 exec, exec, s[2:3]
	v_mov_b32_e32 v19, 0
	v_mov_b32_e32 v32, 0
	v_mov_b32_e32 v33, 0
	v_mov_b32_e32 v30, 0
	v_mov_b32_e32 v31, 0
	v_mov_b32_e32 v28, 0
	v_mov_b32_e32 v29, 0
	v_mov_b32_e32 v26, 0
	v_mov_b32_e32 v27, 0
	v_mov_b32_e32 v24, 0
	v_mov_b32_e32 v25, 0
	v_mov_b32_e32 v22, 0
	v_mov_b32_e32 v23, 0
	v_mov_b32_e32 v20, 0
	v_mov_b32_e32 v21, 0
	s_and_saveexec_b64 s[2:3], vcc
	s_cbranch_execz .LBB1018_30
; %bb.29:
	s_waitcnt vmcnt(3)
	v_cvt_f32_u32_sdwa v18, v14 dst_sel:DWORD dst_unused:UNUSED_PAD src0_sel:WORD_0
	v_cvt_f32_u32_sdwa v19, v14 dst_sel:DWORD dst_unused:UNUSED_PAD src0_sel:WORD_1
	v_cvt_f32_u32_sdwa v32, v15 dst_sel:DWORD dst_unused:UNUSED_PAD src0_sel:WORD_0
	v_cvt_f32_u32_sdwa v33, v15 dst_sel:DWORD dst_unused:UNUSED_PAD src0_sel:WORD_1
	;; [unrolled: 2-line block ×4, first 2 shown]
	s_waitcnt vmcnt(2)
	v_cvt_f32_u32_sdwa v26, v10 dst_sel:DWORD dst_unused:UNUSED_PAD src0_sel:WORD_0
	v_cvt_f32_u32_sdwa v27, v10 dst_sel:DWORD dst_unused:UNUSED_PAD src0_sel:WORD_1
	v_cvt_f32_u32_sdwa v24, v11 dst_sel:DWORD dst_unused:UNUSED_PAD src0_sel:WORD_0
	v_cvt_f32_u32_sdwa v25, v11 dst_sel:DWORD dst_unused:UNUSED_PAD src0_sel:WORD_1
	;; [unrolled: 2-line block ×4, first 2 shown]
.LBB1018_30:
	s_or_b64 exec, exec, s[2:3]
	s_waitcnt vmcnt(2)
	v_mul_f32_e32 v10, v19, v19
	v_fmac_f32_e32 v10, v18, v18
	v_fmac_f32_e32 v10, v32, v32
	;; [unrolled: 1-line block ×15, first 2 shown]
	s_nop 1
	v_mov_b32_dpp v11, v10 quad_perm:[1,0,3,2] row_mask:0xf bank_mask:0xf
	v_add_f32_e32 v10, v10, v11
	s_nop 1
	v_mov_b32_dpp v11, v10 quad_perm:[2,3,0,1] row_mask:0xf bank_mask:0xf
	v_add_f32_e32 v10, v10, v11
	s_nop 1
	v_mov_b32_dpp v11, v10 row_half_mirror row_mask:0xf bank_mask:0xf
	v_add_f32_e32 v10, v10, v11
	s_nop 1
	v_mov_b32_dpp v11, v10 row_mirror row_mask:0xf bank_mask:0xf
	v_add_f32_e32 v10, v10, v11
	s_nop 1
	v_mov_b32_dpp v11, v10 row_bcast:15 row_mask:0xf bank_mask:0xf
	v_add_f32_e32 v10, v10, v11
	s_nop 1
	v_mov_b32_dpp v11, v10 row_bcast:31 row_mask:0xf bank_mask:0xf
	s_and_saveexec_b64 s[2:3], s[0:1]
	s_cbranch_execz .LBB1018_32
; %bb.31:
	v_lshrrev_b32_e32 v0, 4, v0
	v_add_f32_e32 v10, v10, v11
	v_and_b32_e32 v0, 60, v0
	ds_write_b32 v0, v10
.LBB1018_32:
	s_or_b64 exec, exec, s[2:3]
	s_waitcnt lgkmcnt(0)
	s_barrier
	ds_read_b32 v0, v34
	s_waitcnt lgkmcnt(0)
	s_nop 0
	v_mov_b32_dpp v10, v0 quad_perm:[1,0,3,2] row_mask:0xf bank_mask:0xf
	v_add_f32_e32 v0, v0, v10
	s_nop 1
	v_mov_b32_dpp v10, v0 quad_perm:[2,3,0,1] row_mask:0xf bank_mask:0xf
	v_add_f32_e32 v0, v0, v10
	s_nop 1
	v_mov_b32_dpp v10, v0 row_half_mirror row_mask:0xf bank_mask:0xf
	s_and_saveexec_b64 s[0:1], vcc
	s_cbranch_execz .LBB1018_12
; %bb.33:
	v_cvt_f32_u32_e32 v11, s20
	v_add_f32_e32 v0, v0, v10
	s_mov_b32 s15, 0x20000
	v_div_scale_f32 v10, s[0:1], v11, v11, v0
	v_rcp_f32_e32 v12, v10
	v_div_scale_f32 v13, vcc, v0, v11, v0
	s_mov_b32 s0, 0x800000
	v_fma_f32 v14, -v10, v12, 1.0
	v_fmac_f32_e32 v12, v14, v12
	v_mul_f32_e32 v14, v13, v12
	v_fma_f32 v15, -v10, v14, v13
	v_fmac_f32_e32 v14, v15, v12
	v_fma_f32 v10, -v10, v14, v13
	v_div_fmas_f32 v10, v10, v12, v14
	v_div_fixup_f32 v0, v10, v11, v0
	v_add_f32_e32 v0, s17, v0
	v_mul_f32_e32 v10, 0x4b800000, v0
	v_cmp_gt_f32_e32 vcc, s0, v0
	v_cndmask_b32_e32 v0, v0, v10, vcc
	v_rsq_f32_e32 v0, v0
	s_mul_hi_i32 s1, s7, s6
	s_mul_i32 s0, s7, s6
	s_lshl_b64 s[0:1], s[0:1], 1
	v_mul_f32_e32 v10, 0x45800000, v0
	v_cndmask_b32_e32 v10, v0, v10, vcc
	v_mov_b32_e32 v11, v10
	;;#ASMSTART
	v_pk_mul_f32 v[12:13], v[18:19], v[10:11]
	;;#ASMEND
	;;#ASMSTART
	v_pk_mul_f32 v[14:15], v[32:33], v[10:11]
	;;#ASMEND
	;; [unrolled: 3-line block ×4, first 2 shown]
	s_waitcnt vmcnt(1)
	v_cvt_f32_u32_sdwa v29, v6 dst_sel:DWORD dst_unused:UNUSED_PAD src0_sel:WORD_1
	v_cvt_f32_u32_sdwa v28, v6 dst_sel:DWORD dst_unused:UNUSED_PAD src0_sel:WORD_0
	v_cvt_f32_u32_sdwa v31, v7 dst_sel:DWORD dst_unused:UNUSED_PAD src0_sel:WORD_1
	v_cvt_f32_u32_sdwa v30, v7 dst_sel:DWORD dst_unused:UNUSED_PAD src0_sel:WORD_0
	;;#ASMSTART
	v_pk_mul_f32 v[26:27], v[26:27], v[10:11]
	;;#ASMEND
	;;#ASMSTART
	v_pk_mul_f32 v[24:25], v[24:25], v[10:11]
	;;#ASMEND
	;; [unrolled: 3-line block ×4, first 2 shown]
	v_cvt_f32_u32_sdwa v21, v8 dst_sel:DWORD dst_unused:UNUSED_PAD src0_sel:WORD_1
	v_cvt_f32_u32_sdwa v20, v8 dst_sel:DWORD dst_unused:UNUSED_PAD src0_sel:WORD_0
	v_pk_add_f32 v[10:11], v[28:29], 1.0 op_sel_hi:[1,0]
	;;#ASMSTART
	v_pk_mul_f32 v[10:11], v[12:13], v[10:11]
	;;#ASMEND
	v_pk_add_f32 v[12:13], v[30:31], 1.0 op_sel_hi:[1,0]
	v_cvt_f32_u32_sdwa v29, v9 dst_sel:DWORD dst_unused:UNUSED_PAD src0_sel:WORD_1
	v_cvt_f32_u32_sdwa v28, v9 dst_sel:DWORD dst_unused:UNUSED_PAD src0_sel:WORD_0
	;;#ASMSTART
	v_pk_mul_f32 v[8:9], v[14:15], v[12:13]
	;;#ASMEND
	v_pk_add_f32 v[12:13], v[20:21], 1.0 op_sel_hi:[1,0]
	;;#ASMSTART
	v_pk_mul_f32 v[12:13], v[16:17], v[12:13]
	;;#ASMEND
	s_waitcnt vmcnt(0)
	v_cvt_f32_u32_sdwa v17, v2 dst_sel:DWORD dst_unused:UNUSED_PAD src0_sel:WORD_1
	v_cvt_f32_u32_sdwa v16, v2 dst_sel:DWORD dst_unused:UNUSED_PAD src0_sel:WORD_0
	v_cvt_f32_u32_sdwa v21, v3 dst_sel:DWORD dst_unused:UNUSED_PAD src0_sel:WORD_1
	v_cvt_f32_u32_sdwa v20, v3 dst_sel:DWORD dst_unused:UNUSED_PAD src0_sel:WORD_0
	v_pk_add_f32 v[14:15], v[28:29], 1.0 op_sel_hi:[1,0]
	;;#ASMSTART
	v_pk_mul_f32 v[14:15], v[18:19], v[14:15]
	;;#ASMEND
	v_pk_add_f32 v[2:3], v[16:17], 1.0 op_sel_hi:[1,0]
	v_cvt_f32_u32_sdwa v19, v4 dst_sel:DWORD dst_unused:UNUSED_PAD src0_sel:WORD_1
	v_cvt_f32_u32_sdwa v18, v4 dst_sel:DWORD dst_unused:UNUSED_PAD src0_sel:WORD_0
	;;#ASMSTART
	v_pk_mul_f32 v[16:17], v[26:27], v[2:3]
	;;#ASMEND
	v_pk_add_f32 v[2:3], v[20:21], 1.0 op_sel_hi:[1,0]
	v_cvt_f32_u32_sdwa v21, v5 dst_sel:DWORD dst_unused:UNUSED_PAD src0_sel:WORD_1
	v_cvt_f32_u32_sdwa v20, v5 dst_sel:DWORD dst_unused:UNUSED_PAD src0_sel:WORD_0
	s_add_u32 s12, s28, s0
	;;#ASMSTART
	v_pk_mul_f32 v[24:25], v[24:25], v[2:3]
	;;#ASMEND
	v_pk_add_f32 v[2:3], v[18:19], 1.0 op_sel_hi:[1,0]
	s_addc_u32 s0, s29, s1
	;;#ASMSTART
	v_pk_mul_f32 v[18:19], v[22:23], v[2:3]
	;;#ASMEND
	v_pk_add_f32 v[2:3], v[20:21], 1.0 op_sel_hi:[1,0]
	s_and_b32 s13, s0, 0xffff
	s_mov_b32 s0, 0x7060302
	;;#ASMSTART
	v_pk_mul_f32 v[6:7], v[6:7], v[2:3]
	;;#ASMEND
	v_perm_b32 v2, v11, v10, s0
	v_perm_b32 v3, v9, v8, s0
	;; [unrolled: 1-line block ×4, first 2 shown]
	buffer_store_dwordx4 v[2:5], v1, s[12:15], 0 offen
	;;#ASMSTART
	s_nop 0
	;;#ASMEND
	s_nop 0
	v_perm_b32 v2, v17, v16, s0
	v_perm_b32 v3, v25, v24, s0
	;; [unrolled: 1-line block ×4, first 2 shown]
	buffer_store_dwordx4 v[2:5], v1, s[12:15], 16 offen
	;;#ASMSTART
	s_nop 0
	;;#ASMEND
	s_endpgm
	.section	.rodata,"a",@progbits
	.p2align	6, 0x0
	.amdhsa_kernel _ZN5aiter35fused_qk_rmsnorm_group_quant_kernelItDB8_Li512ELi16ELi2ELb0ELb1ELb1ELb0ELb0ELb0EEEvPT0_PvPT_S6_S6_PKS5_S8_S8_S8_S8_ffiiiiiiiiiiiii
		.amdhsa_group_segment_fixed_size 64
		.amdhsa_private_segment_fixed_size 0
		.amdhsa_kernarg_size 400
		.amdhsa_user_sgpr_count 6
		.amdhsa_user_sgpr_private_segment_buffer 1
		.amdhsa_user_sgpr_dispatch_ptr 0
		.amdhsa_user_sgpr_queue_ptr 0
		.amdhsa_user_sgpr_kernarg_segment_ptr 1
		.amdhsa_user_sgpr_dispatch_id 0
		.amdhsa_user_sgpr_flat_scratch_init 0
		.amdhsa_user_sgpr_kernarg_preload_length 0
		.amdhsa_user_sgpr_kernarg_preload_offset 0
		.amdhsa_user_sgpr_private_segment_size 0
		.amdhsa_uses_dynamic_stack 0
		.amdhsa_system_sgpr_private_segment_wavefront_offset 0
		.amdhsa_system_sgpr_workgroup_id_x 1
		.amdhsa_system_sgpr_workgroup_id_y 1
		.amdhsa_system_sgpr_workgroup_id_z 0
		.amdhsa_system_sgpr_workgroup_info 0
		.amdhsa_system_vgpr_workitem_id 0
		.amdhsa_next_free_vgpr 35
		.amdhsa_next_free_sgpr 36
		.amdhsa_accum_offset 36
		.amdhsa_reserve_vcc 1
		.amdhsa_reserve_flat_scratch 0
		.amdhsa_float_round_mode_32 0
		.amdhsa_float_round_mode_16_64 0
		.amdhsa_float_denorm_mode_32 3
		.amdhsa_float_denorm_mode_16_64 3
		.amdhsa_dx10_clamp 1
		.amdhsa_ieee_mode 1
		.amdhsa_fp16_overflow 0
		.amdhsa_tg_split 0
		.amdhsa_exception_fp_ieee_invalid_op 0
		.amdhsa_exception_fp_denorm_src 0
		.amdhsa_exception_fp_ieee_div_zero 0
		.amdhsa_exception_fp_ieee_overflow 0
		.amdhsa_exception_fp_ieee_underflow 0
		.amdhsa_exception_fp_ieee_inexact 0
		.amdhsa_exception_int_div_zero 0
	.end_amdhsa_kernel
	.section	.text._ZN5aiter35fused_qk_rmsnorm_group_quant_kernelItDB8_Li512ELi16ELi2ELb0ELb1ELb1ELb0ELb0ELb0EEEvPT0_PvPT_S6_S6_PKS5_S8_S8_S8_S8_ffiiiiiiiiiiiii,"axG",@progbits,_ZN5aiter35fused_qk_rmsnorm_group_quant_kernelItDB8_Li512ELi16ELi2ELb0ELb1ELb1ELb0ELb0ELb0EEEvPT0_PvPT_S6_S6_PKS5_S8_S8_S8_S8_ffiiiiiiiiiiiii,comdat
.Lfunc_end1018:
	.size	_ZN5aiter35fused_qk_rmsnorm_group_quant_kernelItDB8_Li512ELi16ELi2ELb0ELb1ELb1ELb0ELb0ELb0EEEvPT0_PvPT_S6_S6_PKS5_S8_S8_S8_S8_ffiiiiiiiiiiiii, .Lfunc_end1018-_ZN5aiter35fused_qk_rmsnorm_group_quant_kernelItDB8_Li512ELi16ELi2ELb0ELb1ELb1ELb0ELb0ELb0EEEvPT0_PvPT_S6_S6_PKS5_S8_S8_S8_S8_ffiiiiiiiiiiiii
                                        ; -- End function
	.section	.AMDGPU.csdata,"",@progbits
; Kernel info:
; codeLenInByte = 3772
; NumSgprs: 40
; NumVgprs: 35
; NumAgprs: 0
; TotalNumVgprs: 35
; ScratchSize: 0
; MemoryBound: 0
; FloatMode: 240
; IeeeMode: 1
; LDSByteSize: 64 bytes/workgroup (compile time only)
; SGPRBlocks: 4
; VGPRBlocks: 4
; NumSGPRsForWavesPerEU: 40
; NumVGPRsForWavesPerEU: 35
; AccumOffset: 36
; Occupancy: 8
; WaveLimiterHint : 0
; COMPUTE_PGM_RSRC2:SCRATCH_EN: 0
; COMPUTE_PGM_RSRC2:USER_SGPR: 6
; COMPUTE_PGM_RSRC2:TRAP_HANDLER: 0
; COMPUTE_PGM_RSRC2:TGID_X_EN: 1
; COMPUTE_PGM_RSRC2:TGID_Y_EN: 1
; COMPUTE_PGM_RSRC2:TGID_Z_EN: 0
; COMPUTE_PGM_RSRC2:TIDIG_COMP_CNT: 0
; COMPUTE_PGM_RSRC3_GFX90A:ACCUM_OFFSET: 8
; COMPUTE_PGM_RSRC3_GFX90A:TG_SPLIT: 0
	.section	.text._ZN5aiter35fused_qk_rmsnorm_group_quant_kernelIDF16_N4opus5fp4_tELi512ELi16ELi2ELb0ELb1ELb1ELb0ELb0ELb0EEEvPT0_PvPT_S7_S7_PKS6_S9_S9_S9_S9_ffiiiiiiiiiiiii,"axG",@progbits,_ZN5aiter35fused_qk_rmsnorm_group_quant_kernelIDF16_N4opus5fp4_tELi512ELi16ELi2ELb0ELb1ELb1ELb0ELb0ELb0EEEvPT0_PvPT_S7_S7_PKS6_S9_S9_S9_S9_ffiiiiiiiiiiiii,comdat
	.protected	_ZN5aiter35fused_qk_rmsnorm_group_quant_kernelIDF16_N4opus5fp4_tELi512ELi16ELi2ELb0ELb1ELb1ELb0ELb0ELb0EEEvPT0_PvPT_S7_S7_PKS6_S9_S9_S9_S9_ffiiiiiiiiiiiii ; -- Begin function _ZN5aiter35fused_qk_rmsnorm_group_quant_kernelIDF16_N4opus5fp4_tELi512ELi16ELi2ELb0ELb1ELb1ELb0ELb0ELb0EEEvPT0_PvPT_S7_S7_PKS6_S9_S9_S9_S9_ffiiiiiiiiiiiii
	.globl	_ZN5aiter35fused_qk_rmsnorm_group_quant_kernelIDF16_N4opus5fp4_tELi512ELi16ELi2ELb0ELb1ELb1ELb0ELb0ELb0EEEvPT0_PvPT_S7_S7_PKS6_S9_S9_S9_S9_ffiiiiiiiiiiiii
	.p2align	8
	.type	_ZN5aiter35fused_qk_rmsnorm_group_quant_kernelIDF16_N4opus5fp4_tELi512ELi16ELi2ELb0ELb1ELb1ELb0ELb0ELb0EEEvPT0_PvPT_S7_S7_PKS6_S9_S9_S9_S9_ffiiiiiiiiiiiii,@function
_ZN5aiter35fused_qk_rmsnorm_group_quant_kernelIDF16_N4opus5fp4_tELi512ELi16ELi2ELb0ELb1ELb1ELb0ELb0ELb0EEEvPT0_PvPT_S7_S7_PKS6_S9_S9_S9_S9_ffiiiiiiiiiiiii: ; @_ZN5aiter35fused_qk_rmsnorm_group_quant_kernelIDF16_N4opus5fp4_tELi512ELi16ELi2ELb0ELb1ELb1ELb0ELb0ELb0EEEvPT0_PvPT_S7_S7_PKS6_S9_S9_S9_S9_ffiiiiiiiiiiiii
; %bb.0:
	s_load_dwordx4 s[16:19], s[4:5], 0x50
	s_waitcnt lgkmcnt(0)
	s_cmp_ge_i32 s6, s18
	s_cbranch_scc1 .LBB1019_12
; %bb.1:
	s_load_dwordx2 s[12:13], s[4:5], 0x48
	s_load_dwordx2 s[30:31], s[4:5], 0x30
	s_load_dwordx4 s[20:23], s[4:5], 0x60
	s_cmp_lg_u32 s7, 0
	s_cselect_b64 s[14:15], -1, 0
	s_cmp_eq_u32 s7, 0
	s_cselect_b64 vcc, -1, 0
	s_and_b64 s[0:1], vcc, exec
	s_waitcnt lgkmcnt(0)
	s_cselect_b32 s7, s19, s20
	s_add_i32 s0, s7, 1
	s_lshr_b32 s1, s0, 31
	s_add_i32 s0, s0, s1
	s_lshl_b32 s0, s0, 1
	v_lshlrev_b32_e32 v1, 4, v0
	s_and_b32 s10, s0, -4
	v_cmp_gt_i32_e64 s[2:3], s7, v1
	v_mov_b32_e32 v18, 0
	v_mov_b32_e32 v6, 0
	;; [unrolled: 1-line block ×17, first 2 shown]
	s_and_saveexec_b64 s[0:1], s[2:3]
	s_cbranch_execz .LBB1019_3
; %bb.2:
	s_load_dwordx2 s[8:9], s[4:5], 0x28
	s_load_dwordx2 s[26:27], s[4:5], 0x40
	s_and_b64 s[24:25], vcc, exec
	s_cselect_b32 s11, s21, s22
	v_lshlrev_b32_e32 v19, 5, v0
	s_waitcnt lgkmcnt(0)
	s_cselect_b32 s18, s9, s31
	s_cselect_b32 s21, s8, s30
	s_mul_hi_i32 s9, s11, s6
	s_mul_i32 s8, s11, s6
	s_lshl_b64 s[8:9], s[8:9], 1
	s_add_u32 s24, s21, s8
	s_addc_u32 s18, s18, s9
	s_and_b64 s[8:9], vcc, exec
	s_mov_b32 s11, 0x20000
	s_cselect_b32 s8, s26, s12
	s_cselect_b32 s9, s27, s13
	s_and_b32 s25, s18, 0xffff
	s_mov_b32 s26, s10
	s_mov_b32 s27, s11
	s_and_b32 s9, s9, 0xffff
	buffer_load_dwordx4 v[14:17], v19, s[24:27], 0 offen
	buffer_load_dwordx4 v[10:13], v19, s[24:27], 16 offen
	;; [unrolled: 1-line block ×4, first 2 shown]
.LBB1019_3:
	s_or_b64 exec, exec, s[0:1]
	v_mov_b32_e32 v19, 0
	v_mov_b32_e32 v22, 0
	;; [unrolled: 1-line block ×15, first 2 shown]
	s_and_saveexec_b64 s[0:1], s[2:3]
	s_cbranch_execz .LBB1019_5
; %bb.4:
	s_waitcnt vmcnt(3)
	v_cvt_f32_f16_sdwa v19, v14 dst_sel:DWORD dst_unused:UNUSED_PAD src0_sel:WORD_1
	v_cvt_f32_f16_e32 v18, v14
	v_cvt_f32_f16_sdwa v23, v15 dst_sel:DWORD dst_unused:UNUSED_PAD src0_sel:WORD_1
	v_cvt_f32_f16_e32 v22, v15
	;; [unrolled: 2-line block ×4, first 2 shown]
	s_waitcnt vmcnt(2)
	v_cvt_f32_f16_sdwa v27, v10 dst_sel:DWORD dst_unused:UNUSED_PAD src0_sel:WORD_1
	v_cvt_f32_f16_e32 v26, v10
	v_cvt_f32_f16_sdwa v33, v11 dst_sel:DWORD dst_unused:UNUSED_PAD src0_sel:WORD_1
	v_cvt_f32_f16_e32 v32, v11
	;; [unrolled: 2-line block ×4, first 2 shown]
.LBB1019_5:
	s_or_b64 exec, exec, s[0:1]
	s_waitcnt vmcnt(2)
	v_mul_f32_e32 v10, v19, v19
	v_fmac_f32_e32 v10, v18, v18
	v_fmac_f32_e32 v10, v22, v22
	;; [unrolled: 1-line block ×15, first 2 shown]
	v_and_b32_e32 v12, 63, v0
	v_cmp_eq_u32_e64 s[0:1], 63, v12
	v_mov_b32_dpp v11, v10 quad_perm:[1,0,3,2] row_mask:0xf bank_mask:0xf
	v_add_f32_e32 v10, v10, v11
	s_nop 1
	v_mov_b32_dpp v11, v10 quad_perm:[2,3,0,1] row_mask:0xf bank_mask:0xf
	v_add_f32_e32 v10, v10, v11
	s_nop 1
	v_mov_b32_dpp v11, v10 row_half_mirror row_mask:0xf bank_mask:0xf
	v_add_f32_e32 v10, v10, v11
	s_nop 1
	v_mov_b32_dpp v11, v10 row_mirror row_mask:0xf bank_mask:0xf
	v_add_f32_e32 v10, v10, v11
	s_nop 1
	v_mov_b32_dpp v11, v10 row_bcast:15 row_mask:0xf bank_mask:0xf
	v_add_f32_e32 v10, v10, v11
	s_nop 1
	v_mov_b32_dpp v11, v10 row_bcast:31 row_mask:0xf bank_mask:0xf
	s_and_saveexec_b64 s[8:9], s[0:1]
	s_cbranch_execz .LBB1019_7
; %bb.6:
	v_add_f32_e32 v10, v10, v11
	v_lshrrev_b32_e32 v11, 4, v0
	v_and_b32_e32 v11, 60, v11
	ds_write_b32 v11, v10 offset:32
.LBB1019_7:
	s_or_b64 exec, exec, s[8:9]
	v_and_b32_e32 v10, 7, v0
	v_lshlrev_b32_e32 v34, 2, v10
	s_waitcnt lgkmcnt(0)
	s_barrier
	ds_read_b32 v10, v34 offset:32
	s_load_dwordx2 s[28:29], s[4:5], 0x18
	s_waitcnt lgkmcnt(0)
	v_mov_b32_dpp v11, v10 quad_perm:[1,0,3,2] row_mask:0xf bank_mask:0xf
	v_add_f32_e32 v10, v10, v11
	s_nop 1
	v_mov_b32_dpp v11, v10 quad_perm:[2,3,0,1] row_mask:0xf bank_mask:0xf
	v_add_f32_e32 v10, v10, v11
	s_nop 1
	v_mov_b32_dpp v11, v10 row_half_mirror row_mask:0xf bank_mask:0xf
	s_and_saveexec_b64 s[8:9], s[2:3]
	s_cbranch_execz .LBB1019_9
; %bb.8:
	v_cvt_f32_u32_e32 v12, s7
	v_add_f32_e32 v10, v10, v11
	v_mov_b32_e32 v14, s17
	v_mov_b32_e32 v15, s16
	v_div_scale_f32 v11, s[24:25], v12, v12, v10
	v_rcp_f32_e32 v13, v11
	v_cndmask_b32_e32 v14, v14, v15, vcc
	s_mov_b32 s7, 0x800000
	v_fma_f32 v15, -v11, v13, 1.0
	v_fmac_f32_e32 v13, v15, v13
	v_div_scale_f32 v15, vcc, v10, v12, v10
	v_mul_f32_e32 v16, v15, v13
	v_fma_f32 v17, -v11, v16, v15
	v_fmac_f32_e32 v16, v17, v13
	v_fma_f32 v11, -v11, v16, v15
	v_div_fmas_f32 v11, v11, v13, v16
	v_div_fixup_f32 v10, v11, v12, v10
	v_add_f32_e32 v10, v14, v10
	v_mul_f32_e32 v11, 0x4b800000, v10
	v_cmp_gt_f32_e32 vcc, s7, v10
	v_cndmask_b32_e32 v10, v10, v11, vcc
	v_rsq_f32_e32 v10, v10
	v_mul_f32_e32 v11, 0x45800000, v10
	v_cndmask_b32_e32 v10, v10, v11, vcc
	v_mov_b32_e32 v11, v10
	;;#ASMSTART
	v_pk_mul_f32 v[12:13], v[18:19], v[10:11]
	;;#ASMEND
	s_waitcnt vmcnt(1)
	v_cvt_f32_f16_sdwa v19, v6 dst_sel:DWORD dst_unused:UNUSED_PAD src0_sel:WORD_1
	v_cvt_f32_f16_e32 v18, v6
	;;#ASMSTART
	v_pk_mul_f32 v[14:15], v[22:23], v[10:11]
	;;#ASMEND
	;;#ASMSTART
	v_pk_mul_f32 v[16:17], v[20:21], v[10:11]
	;;#ASMEND
	v_cvt_f32_f16_sdwa v21, v7 dst_sel:DWORD dst_unused:UNUSED_PAD src0_sel:WORD_1
	v_cvt_f32_f16_e32 v20, v7
	;;#ASMSTART
	v_pk_mul_f32 v[28:29], v[28:29], v[10:11]
	;;#ASMEND
	;;#ASMSTART
	v_pk_mul_f32 v[26:27], v[26:27], v[10:11]
	;;#ASMEND
	;;#ASMSTART
	v_pk_mul_f32 v[32:33], v[32:33], v[10:11]
	;;#ASMEND
	;;#ASMSTART
	v_pk_mul_f32 v[30:31], v[30:31], v[10:11]
	;;#ASMEND
	;;#ASMSTART
	v_pk_mul_f32 v[6:7], v[24:25], v[10:11]
	;;#ASMEND
	v_pk_add_f32 v[10:11], v[18:19], 1.0 op_sel_hi:[1,0]
	;;#ASMSTART
	v_pk_mul_f32 v[18:19], v[12:13], v[10:11]
	;;#ASMEND
	v_cvt_f32_f16_sdwa v13, v8 dst_sel:DWORD dst_unused:UNUSED_PAD src0_sel:WORD_1
	v_cvt_f32_f16_e32 v12, v8
	v_cvt_f32_f16_sdwa v25, v9 dst_sel:DWORD dst_unused:UNUSED_PAD src0_sel:WORD_1
	v_cvt_f32_f16_e32 v24, v9
	v_pk_add_f32 v[10:11], v[20:21], 1.0 op_sel_hi:[1,0]
	;;#ASMSTART
	v_pk_mul_f32 v[22:23], v[14:15], v[10:11]
	;;#ASMEND
	s_waitcnt vmcnt(0)
	v_cvt_f32_f16_sdwa v11, v2 dst_sel:DWORD dst_unused:UNUSED_PAD src0_sel:WORD_1
	v_cvt_f32_f16_e32 v10, v2
	v_pk_add_f32 v[8:9], v[12:13], 1.0 op_sel_hi:[1,0]
	;;#ASMSTART
	v_pk_mul_f32 v[20:21], v[16:17], v[8:9]
	;;#ASMEND
	v_pk_add_f32 v[8:9], v[24:25], 1.0 op_sel_hi:[1,0]
	v_cvt_f32_f16_sdwa v13, v3 dst_sel:DWORD dst_unused:UNUSED_PAD src0_sel:WORD_1
	v_cvt_f32_f16_e32 v12, v3
	;;#ASMSTART
	v_pk_mul_f32 v[28:29], v[28:29], v[8:9]
	;;#ASMEND
	v_cvt_f32_f16_sdwa v9, v4 dst_sel:DWORD dst_unused:UNUSED_PAD src0_sel:WORD_1
	v_cvt_f32_f16_e32 v8, v4
	v_pk_add_f32 v[2:3], v[10:11], 1.0 op_sel_hi:[1,0]
	v_cvt_f32_f16_sdwa v11, v5 dst_sel:DWORD dst_unused:UNUSED_PAD src0_sel:WORD_1
	v_cvt_f32_f16_e32 v10, v5
	;;#ASMSTART
	v_pk_mul_f32 v[26:27], v[26:27], v[2:3]
	;;#ASMEND
	v_pk_add_f32 v[2:3], v[12:13], 1.0 op_sel_hi:[1,0]
	;;#ASMSTART
	v_pk_mul_f32 v[32:33], v[32:33], v[2:3]
	;;#ASMEND
	v_pk_add_f32 v[2:3], v[8:9], 1.0 op_sel_hi:[1,0]
	;; [unrolled: 4-line block ×3, first 2 shown]
	;;#ASMSTART
	v_pk_mul_f32 v[24:25], v[6:7], v[2:3]
	;;#ASMEND
.LBB1019_9:
	s_or_b64 exec, exec, s[8:9]
	s_load_dword s7, s[4:5], 0x80
	s_mov_b64 s[8:9], -1
	s_and_b64 vcc, exec, s[14:15]
	s_cbranch_vccnz .LBB1019_13
; %bb.10:
	s_andn2_b64 vcc, exec, s[8:9]
	s_cbranch_vccz .LBB1019_16
.LBB1019_11:
	s_cmp_lt_i32 s20, 1
	s_cbranch_scc0 .LBB1019_25
.LBB1019_12:
	s_endpgm
.LBB1019_13:
	s_and_saveexec_b64 s[14:15], s[2:3]
	s_cbranch_execz .LBB1019_15
; %bb.14:
	s_waitcnt lgkmcnt(0)
	s_mul_hi_i32 s9, s7, s6
	s_mul_i32 s8, s7, s6
	s_waitcnt vmcnt(0)
	v_cvt_f16_f32_e32 v2, v18
	v_cvt_f16_f32_e32 v3, v22
	v_cvt_f16_f32_e32 v4, v20
	v_cvt_f16_f32_e32 v5, v28
	v_cvt_f16_f32_e32 v6, v29
	v_cvt_f16_f32_e32 v7, v21
	v_cvt_f16_f32_e32 v8, v23
	v_cvt_f16_f32_e32 v9, v19
	s_lshl_b64 s[8:9], s[8:9], 1
	s_add_u32 s8, s28, s8
	s_addc_u32 s9, s29, s9
	s_and_b32 s9, s9, 0xffff
	s_mov_b32 s11, 0x20000
	v_pack_b32_f16 v5, v5, v6
	v_pack_b32_f16 v4, v4, v7
	;; [unrolled: 1-line block ×4, first 2 shown]
	v_lshlrev_b32_e32 v6, 5, v0
	buffer_store_dwordx4 v[2:5], v6, s[8:11], 0 offen
	v_cvt_f16_f32_e32 v7, v25
	v_cvt_f16_f32_e32 v2, v26
	;; [unrolled: 1-line block ×8, first 2 shown]
	v_pack_b32_f16 v5, v5, v7
	v_pack_b32_f16 v4, v4, v8
	v_pack_b32_f16 v3, v3, v9
	v_pack_b32_f16 v2, v2, v10
	;;#ASMSTART
	s_nop 0
	;;#ASMEND
	buffer_store_dwordx4 v[2:5], v6, s[8:11], 16 offen
	;;#ASMSTART
	s_nop 0
	;;#ASMEND
.LBB1019_15:
	s_or_b64 exec, exec, s[14:15]
	s_cbranch_execnz .LBB1019_11
.LBB1019_16:
	s_load_dwordx4 s[24:27], s[4:5], 0x70
	s_waitcnt vmcnt(0)
	v_mov_b32_e32 v2, 0
	s_and_saveexec_b64 s[14:15], s[2:3]
	s_cbranch_execz .LBB1019_18
; %bb.17:
	s_load_dwordx2 s[8:9], s[4:5], 0x10
	s_waitcnt lgkmcnt(0)
	s_mul_hi_i32 s35, s27, s6
	s_mul_i32 s34, s27, s6
	v_cvt_f16_f32_e32 v2, v18
	v_cvt_f16_f32_e32 v3, v22
	;; [unrolled: 1-line block ×8, first 2 shown]
	s_lshl_b64 s[34:35], s[34:35], 1
	s_add_u32 s8, s8, s34
	s_addc_u32 s9, s9, s35
	s_mov_b32 s11, 0x20000
	s_and_b32 s9, s9, 0xffff
	v_pack_b32_f16 v5, v5, v6
	v_pack_b32_f16 v4, v4, v7
	;; [unrolled: 1-line block ×4, first 2 shown]
	v_lshlrev_b32_e32 v6, 5, v0
	buffer_store_dwordx4 v[2:5], v6, s[8:11], 0 offen
	v_cvt_f16_f32_e32 v7, v25
	v_cvt_f16_f32_e32 v2, v26
	;; [unrolled: 1-line block ×8, first 2 shown]
	v_pack_b32_f16 v5, v5, v7
	v_pack_b32_f16 v4, v4, v8
	;; [unrolled: 1-line block ×4, first 2 shown]
	;;#ASMSTART
	s_nop 0
	;;#ASMEND
	buffer_store_dwordx4 v[2:5], v6, s[8:11], 16 offen
	;;#ASMSTART
	s_nop 0
	;;#ASMEND
	s_nop 0
	v_mov_b32_e32 v2, 0x2edbe6ff
.LBB1019_18:
	s_or_b64 exec, exec, s[14:15]
	s_and_saveexec_b64 s[8:9], s[2:3]
	s_cbranch_execz .LBB1019_20
; %bb.19:
	v_and_b32_e32 v3, 0x7fffffff, v18
	v_and_b32_e32 v4, 0x7fffffff, v19
	;;#ASMSTART
	v_max3_f32 v2, v2, v3, v4

	;;#ASMEND
	v_and_b32_e32 v3, 0x7fffffff, v22
	v_and_b32_e32 v4, 0x7fffffff, v23
	;;#ASMSTART
	v_max3_f32 v2, v2, v3, v4

	;;#ASMEND
	;; [unrolled: 6-line block ×8, first 2 shown]
.LBB1019_20:
	s_or_b64 exec, exec, s[8:9]
	;;#ASMSTART
	v_max_f32 v3, v2, v2 quad_perm:[1,0,3,2] row_mask:0xf bank_mask:0xf bound_ctrl:1
	;;#ASMEND
	v_and_b32_e32 v2, 1, v0
	v_cmp_eq_u32_e32 vcc, 0, v2
	v_cmp_gt_i32_e64 s[8:9], s19, v1
	s_and_b64 s[10:11], vcc, s[8:9]
	s_and_saveexec_b64 s[8:9], s[10:11]
	s_cbranch_execz .LBB1019_22
; %bb.21:
	s_load_dwordx2 s[10:11], s[4:5], 0x8
	v_mul_f32_e32 v2, 0x3e2aaaab, v3
	v_lshrrev_b32_e32 v3, 23, v2
	v_and_b32_e32 v4, 0x7f800000, v2
	v_and_b32_e32 v2, 0x7fffff, v2
	v_cmp_ne_u32_e32 vcc, 0, v2
	s_waitcnt lgkmcnt(0)
	s_mul_i32 s16, s25, s6
	s_mov_b32 s14, 0x7f800000
	v_addc_co_u32_e32 v2, vcc, 0, v3, vcc
	s_mul_hi_i32 s15, s25, s6
	s_add_u32 s10, s10, s16
	v_cmp_ne_u32_e32 vcc, s14, v4
	s_addc_u32 s11, s11, s15
	v_lshrrev_b32_e32 v5, 1, v0
	v_cndmask_b32_e32 v4, -1, v2, vcc
	v_pk_mov_b32 v[2:3], s[10:11], s[10:11] op_sel:[0,1]
	v_mad_i64_i32 v[2:3], s[10:11], s26, v5, v[2:3]
	global_store_byte v[2:3], v4, off
.LBB1019_22:
	s_or_b64 exec, exec, s[8:9]
	s_and_saveexec_b64 s[8:9], s[2:3]
	s_cbranch_execz .LBB1019_24
; %bb.23:
	s_load_dwordx2 s[2:3], s[4:5], 0x0
	s_waitcnt lgkmcnt(0)
	s_mul_i32 s11, s24, s6
	s_mul_hi_i32 s10, s24, s6
	v_mov_b32_e32 v2, 0
	v_lshlrev_b32_e32 v4, 3, v0
	s_add_u32 s24, s2, s11
	s_addc_u32 s2, s3, s10
	s_lshr_b32 s3, s19, 31
	s_add_i32 s3, s19, s3
	s_ashr_i32 s3, s3, 1
	s_add_i32 s3, s3, 3
	s_ashr_i32 s10, s3, 31
	s_lshr_b32 s10, s10, 30
	s_add_i32 s3, s3, s10
	s_and_b32 s26, s3, -4
	s_and_b32 s25, s2, 0xffff
	s_mov_b32 s27, 0x20000
	v_mov_b32_e32 v3, v2
	buffer_store_dwordx2 v[2:3], v4, s[24:27], 0 offen
	;;#ASMSTART
	s_nop 0
	;;#ASMEND
.LBB1019_24:
	s_or_b64 exec, exec, s[8:9]
	s_cmp_lt_i32 s20, 1
	s_cbranch_scc1 .LBB1019_12
.LBB1019_25:
	s_load_dword s2, s[4:5], 0x94
	s_waitcnt lgkmcnt(0)
	s_cmp_lg_u32 s2, 1
	s_cbranch_scc1 .LBB1019_12
; %bb.26:
	s_lshl_b32 s2, s20, 1
	s_add_i32 s2, s2, 2
	v_cmp_gt_u32_e32 vcc, s20, v1
	s_and_b32 s14, s2, -4
	v_mov_b32_e32 v18, 0
	v_lshlrev_b32_e32 v1, 5, v0
	v_mov_b32_e32 v14, 0
	v_mov_b32_e32 v15, 0
	;; [unrolled: 1-line block ×8, first 2 shown]
	s_waitcnt vmcnt(1)
	v_mov_b32_e32 v6, 0
	v_mov_b32_e32 v7, 0
	;; [unrolled: 1-line block ×4, first 2 shown]
	s_waitcnt vmcnt(0)
	v_mov_b32_e32 v2, 0
	v_mov_b32_e32 v3, 0
	;; [unrolled: 1-line block ×4, first 2 shown]
	s_barrier
	s_and_saveexec_b64 s[2:3], vcc
	s_cbranch_execz .LBB1019_28
; %bb.27:
	s_mul_hi_i32 s5, s22, s6
	s_mul_i32 s4, s22, s6
	s_and_b32 s13, s13, 0xffff
	s_lshl_b64 s[4:5], s[4:5], 1
	s_add_u32 s8, s30, s4
	s_mov_b32 s15, 0x20000
	s_addc_u32 s4, s31, s5
	s_and_b32 s9, s4, 0xffff
	s_mov_b32 s10, s14
	s_mov_b32 s11, s15
	buffer_load_dwordx4 v[14:17], v1, s[8:11], 0 offen
	buffer_load_dwordx4 v[10:13], v1, s[8:11], 16 offen
	;; [unrolled: 1-line block ×4, first 2 shown]
.LBB1019_28:
	s_or_b64 exec, exec, s[2:3]
	v_mov_b32_e32 v19, 0
	v_mov_b32_e32 v32, 0
	;; [unrolled: 1-line block ×15, first 2 shown]
	s_and_saveexec_b64 s[2:3], vcc
	s_cbranch_execz .LBB1019_30
; %bb.29:
	s_waitcnt vmcnt(3)
	v_cvt_f32_f16_sdwa v19, v14 dst_sel:DWORD dst_unused:UNUSED_PAD src0_sel:WORD_1
	v_cvt_f32_f16_e32 v18, v14
	v_cvt_f32_f16_sdwa v33, v15 dst_sel:DWORD dst_unused:UNUSED_PAD src0_sel:WORD_1
	v_cvt_f32_f16_e32 v32, v15
	;; [unrolled: 2-line block ×4, first 2 shown]
	s_waitcnt vmcnt(2)
	v_cvt_f32_f16_sdwa v27, v10 dst_sel:DWORD dst_unused:UNUSED_PAD src0_sel:WORD_1
	v_cvt_f32_f16_e32 v26, v10
	v_cvt_f32_f16_sdwa v25, v11 dst_sel:DWORD dst_unused:UNUSED_PAD src0_sel:WORD_1
	v_cvt_f32_f16_e32 v24, v11
	;; [unrolled: 2-line block ×4, first 2 shown]
.LBB1019_30:
	s_or_b64 exec, exec, s[2:3]
	s_waitcnt vmcnt(2)
	v_mul_f32_e32 v10, v19, v19
	v_fmac_f32_e32 v10, v18, v18
	v_fmac_f32_e32 v10, v32, v32
	;; [unrolled: 1-line block ×15, first 2 shown]
	s_nop 1
	v_mov_b32_dpp v11, v10 quad_perm:[1,0,3,2] row_mask:0xf bank_mask:0xf
	v_add_f32_e32 v10, v10, v11
	s_nop 1
	v_mov_b32_dpp v11, v10 quad_perm:[2,3,0,1] row_mask:0xf bank_mask:0xf
	v_add_f32_e32 v10, v10, v11
	s_nop 1
	v_mov_b32_dpp v11, v10 row_half_mirror row_mask:0xf bank_mask:0xf
	v_add_f32_e32 v10, v10, v11
	s_nop 1
	v_mov_b32_dpp v11, v10 row_mirror row_mask:0xf bank_mask:0xf
	v_add_f32_e32 v10, v10, v11
	s_nop 1
	v_mov_b32_dpp v11, v10 row_bcast:15 row_mask:0xf bank_mask:0xf
	v_add_f32_e32 v10, v10, v11
	s_nop 1
	v_mov_b32_dpp v11, v10 row_bcast:31 row_mask:0xf bank_mask:0xf
	s_and_saveexec_b64 s[2:3], s[0:1]
	s_cbranch_execz .LBB1019_32
; %bb.31:
	v_lshrrev_b32_e32 v0, 4, v0
	v_add_f32_e32 v10, v10, v11
	v_and_b32_e32 v0, 60, v0
	ds_write_b32 v0, v10
.LBB1019_32:
	s_or_b64 exec, exec, s[2:3]
	s_waitcnt lgkmcnt(0)
	s_barrier
	ds_read_b32 v0, v34
	s_waitcnt lgkmcnt(0)
	s_nop 0
	v_mov_b32_dpp v10, v0 quad_perm:[1,0,3,2] row_mask:0xf bank_mask:0xf
	v_add_f32_e32 v0, v0, v10
	s_nop 1
	v_mov_b32_dpp v10, v0 quad_perm:[2,3,0,1] row_mask:0xf bank_mask:0xf
	v_add_f32_e32 v0, v0, v10
	s_nop 1
	v_mov_b32_dpp v10, v0 row_half_mirror row_mask:0xf bank_mask:0xf
	s_and_saveexec_b64 s[0:1], vcc
	s_cbranch_execz .LBB1019_12
; %bb.33:
	v_cvt_f32_u32_e32 v11, s20
	v_add_f32_e32 v0, v0, v10
	s_mov_b32 s15, 0x20000
	v_div_scale_f32 v10, s[0:1], v11, v11, v0
	v_rcp_f32_e32 v12, v10
	v_div_scale_f32 v13, vcc, v0, v11, v0
	s_mov_b32 s0, 0x800000
	v_fma_f32 v14, -v10, v12, 1.0
	v_fmac_f32_e32 v12, v14, v12
	v_mul_f32_e32 v14, v13, v12
	v_fma_f32 v15, -v10, v14, v13
	v_fmac_f32_e32 v14, v15, v12
	v_fma_f32 v10, -v10, v14, v13
	v_div_fmas_f32 v10, v10, v12, v14
	v_div_fixup_f32 v0, v10, v11, v0
	v_add_f32_e32 v0, s17, v0
	v_mul_f32_e32 v10, 0x4b800000, v0
	v_cmp_gt_f32_e32 vcc, s0, v0
	v_cndmask_b32_e32 v0, v0, v10, vcc
	v_rsq_f32_e32 v0, v0
	s_mul_hi_i32 s1, s7, s6
	s_mul_i32 s0, s7, s6
	s_lshl_b64 s[0:1], s[0:1], 1
	v_mul_f32_e32 v10, 0x45800000, v0
	v_cndmask_b32_e32 v10, v0, v10, vcc
	v_mov_b32_e32 v11, v10
	;;#ASMSTART
	v_pk_mul_f32 v[12:13], v[18:19], v[10:11]
	;;#ASMEND
	;;#ASMSTART
	v_pk_mul_f32 v[14:15], v[32:33], v[10:11]
	;;#ASMEND
	;; [unrolled: 3-line block ×4, first 2 shown]
	s_waitcnt vmcnt(1)
	v_cvt_f32_f16_sdwa v29, v6 dst_sel:DWORD dst_unused:UNUSED_PAD src0_sel:WORD_1
	v_cvt_f32_f16_e32 v28, v6
	v_cvt_f32_f16_sdwa v31, v7 dst_sel:DWORD dst_unused:UNUSED_PAD src0_sel:WORD_1
	v_cvt_f32_f16_e32 v30, v7
	;;#ASMSTART
	v_pk_mul_f32 v[26:27], v[26:27], v[10:11]
	;;#ASMEND
	;;#ASMSTART
	v_pk_mul_f32 v[24:25], v[24:25], v[10:11]
	;;#ASMEND
	;; [unrolled: 3-line block ×4, first 2 shown]
	v_cvt_f32_f16_sdwa v21, v8 dst_sel:DWORD dst_unused:UNUSED_PAD src0_sel:WORD_1
	v_cvt_f32_f16_e32 v20, v8
	v_pk_add_f32 v[10:11], v[28:29], 1.0 op_sel_hi:[1,0]
	;;#ASMSTART
	v_pk_mul_f32 v[10:11], v[12:13], v[10:11]
	;;#ASMEND
	v_pk_add_f32 v[12:13], v[30:31], 1.0 op_sel_hi:[1,0]
	v_cvt_f32_f16_sdwa v29, v9 dst_sel:DWORD dst_unused:UNUSED_PAD src0_sel:WORD_1
	v_cvt_f32_f16_e32 v28, v9
	;;#ASMSTART
	v_pk_mul_f32 v[8:9], v[14:15], v[12:13]
	;;#ASMEND
	v_pk_add_f32 v[12:13], v[20:21], 1.0 op_sel_hi:[1,0]
	;;#ASMSTART
	v_pk_mul_f32 v[12:13], v[16:17], v[12:13]
	;;#ASMEND
	s_waitcnt vmcnt(0)
	v_cvt_f32_f16_sdwa v17, v2 dst_sel:DWORD dst_unused:UNUSED_PAD src0_sel:WORD_1
	v_cvt_f32_f16_e32 v16, v2
	v_cvt_f32_f16_sdwa v21, v3 dst_sel:DWORD dst_unused:UNUSED_PAD src0_sel:WORD_1
	v_cvt_f32_f16_e32 v20, v3
	v_pk_add_f32 v[14:15], v[28:29], 1.0 op_sel_hi:[1,0]
	;;#ASMSTART
	v_pk_mul_f32 v[2:3], v[18:19], v[14:15]
	;;#ASMEND
	v_cvt_f32_f16_sdwa v19, v4 dst_sel:DWORD dst_unused:UNUSED_PAD src0_sel:WORD_1
	v_cvt_f32_f16_e32 v18, v4
	v_pk_add_f32 v[14:15], v[16:17], 1.0 op_sel_hi:[1,0]
	v_pk_add_f32 v[16:17], v[20:21], 1.0 op_sel_hi:[1,0]
	v_cvt_f32_f16_sdwa v21, v5 dst_sel:DWORD dst_unused:UNUSED_PAD src0_sel:WORD_1
	v_cvt_f32_f16_e32 v20, v5
	v_pk_add_f32 v[4:5], v[18:19], 1.0 op_sel_hi:[1,0]
	;;#ASMSTART
	v_pk_mul_f32 v[14:15], v[26:27], v[14:15]
	;;#ASMEND
	;;#ASMSTART
	v_pk_mul_f32 v[16:17], v[24:25], v[16:17]
	;;#ASMEND
	;; [unrolled: 3-line block ×3, first 2 shown]
	v_pk_add_f32 v[4:5], v[20:21], 1.0 op_sel_hi:[1,0]
	;;#ASMSTART
	v_pk_mul_f32 v[6:7], v[6:7], v[4:5]
	;;#ASMEND
	v_cvt_f16_f32_e32 v0, v10
	v_cvt_f16_f32_e32 v4, v11
	;; [unrolled: 1-line block ×8, first 2 shown]
	s_add_u32 s12, s28, s0
	s_addc_u32 s0, s29, s1
	s_and_b32 s13, s0, 0xffff
	v_pack_b32_f16 v2, v0, v4
	v_pack_b32_f16 v3, v5, v8
	;; [unrolled: 1-line block ×4, first 2 shown]
	buffer_store_dwordx4 v[2:5], v1, s[12:15], 0 offen
	v_cvt_f16_f32_e32 v0, v14
	v_cvt_f16_f32_e32 v2, v15
	;; [unrolled: 1-line block ×8, first 2 shown]
	v_pack_b32_f16 v2, v0, v2
	v_pack_b32_f16 v3, v3, v4
	;; [unrolled: 1-line block ×4, first 2 shown]
	;;#ASMSTART
	s_nop 0
	;;#ASMEND
	buffer_store_dwordx4 v[2:5], v1, s[12:15], 16 offen
	;;#ASMSTART
	s_nop 0
	;;#ASMEND
	s_endpgm
	.section	.rodata,"a",@progbits
	.p2align	6, 0x0
	.amdhsa_kernel _ZN5aiter35fused_qk_rmsnorm_group_quant_kernelIDF16_N4opus5fp4_tELi512ELi16ELi2ELb0ELb1ELb1ELb0ELb0ELb0EEEvPT0_PvPT_S7_S7_PKS6_S9_S9_S9_S9_ffiiiiiiiiiiiii
		.amdhsa_group_segment_fixed_size 64
		.amdhsa_private_segment_fixed_size 0
		.amdhsa_kernarg_size 400
		.amdhsa_user_sgpr_count 6
		.amdhsa_user_sgpr_private_segment_buffer 1
		.amdhsa_user_sgpr_dispatch_ptr 0
		.amdhsa_user_sgpr_queue_ptr 0
		.amdhsa_user_sgpr_kernarg_segment_ptr 1
		.amdhsa_user_sgpr_dispatch_id 0
		.amdhsa_user_sgpr_flat_scratch_init 0
		.amdhsa_user_sgpr_kernarg_preload_length 0
		.amdhsa_user_sgpr_kernarg_preload_offset 0
		.amdhsa_user_sgpr_private_segment_size 0
		.amdhsa_uses_dynamic_stack 0
		.amdhsa_system_sgpr_private_segment_wavefront_offset 0
		.amdhsa_system_sgpr_workgroup_id_x 1
		.amdhsa_system_sgpr_workgroup_id_y 1
		.amdhsa_system_sgpr_workgroup_id_z 0
		.amdhsa_system_sgpr_workgroup_info 0
		.amdhsa_system_vgpr_workitem_id 0
		.amdhsa_next_free_vgpr 35
		.amdhsa_next_free_sgpr 36
		.amdhsa_accum_offset 36
		.amdhsa_reserve_vcc 1
		.amdhsa_reserve_flat_scratch 0
		.amdhsa_float_round_mode_32 0
		.amdhsa_float_round_mode_16_64 0
		.amdhsa_float_denorm_mode_32 3
		.amdhsa_float_denorm_mode_16_64 3
		.amdhsa_dx10_clamp 1
		.amdhsa_ieee_mode 1
		.amdhsa_fp16_overflow 0
		.amdhsa_tg_split 0
		.amdhsa_exception_fp_ieee_invalid_op 0
		.amdhsa_exception_fp_denorm_src 0
		.amdhsa_exception_fp_ieee_div_zero 0
		.amdhsa_exception_fp_ieee_overflow 0
		.amdhsa_exception_fp_ieee_underflow 0
		.amdhsa_exception_fp_ieee_inexact 0
		.amdhsa_exception_int_div_zero 0
	.end_amdhsa_kernel
	.section	.text._ZN5aiter35fused_qk_rmsnorm_group_quant_kernelIDF16_N4opus5fp4_tELi512ELi16ELi2ELb0ELb1ELb1ELb0ELb0ELb0EEEvPT0_PvPT_S7_S7_PKS6_S9_S9_S9_S9_ffiiiiiiiiiiiii,"axG",@progbits,_ZN5aiter35fused_qk_rmsnorm_group_quant_kernelIDF16_N4opus5fp4_tELi512ELi16ELi2ELb0ELb1ELb1ELb0ELb0ELb0EEEvPT0_PvPT_S7_S7_PKS6_S9_S9_S9_S9_ffiiiiiiiiiiiii,comdat
.Lfunc_end1019:
	.size	_ZN5aiter35fused_qk_rmsnorm_group_quant_kernelIDF16_N4opus5fp4_tELi512ELi16ELi2ELb0ELb1ELb1ELb0ELb0ELb0EEEvPT0_PvPT_S7_S7_PKS6_S9_S9_S9_S9_ffiiiiiiiiiiiii, .Lfunc_end1019-_ZN5aiter35fused_qk_rmsnorm_group_quant_kernelIDF16_N4opus5fp4_tELi512ELi16ELi2ELb0ELb1ELb1ELb0ELb0ELb0EEEvPT0_PvPT_S7_S7_PKS6_S9_S9_S9_S9_ffiiiiiiiiiiiii
                                        ; -- End function
	.section	.AMDGPU.csdata,"",@progbits
; Kernel info:
; codeLenInByte = 3492
; NumSgprs: 40
; NumVgprs: 35
; NumAgprs: 0
; TotalNumVgprs: 35
; ScratchSize: 0
; MemoryBound: 0
; FloatMode: 240
; IeeeMode: 1
; LDSByteSize: 64 bytes/workgroup (compile time only)
; SGPRBlocks: 4
; VGPRBlocks: 4
; NumSGPRsForWavesPerEU: 40
; NumVGPRsForWavesPerEU: 35
; AccumOffset: 36
; Occupancy: 8
; WaveLimiterHint : 0
; COMPUTE_PGM_RSRC2:SCRATCH_EN: 0
; COMPUTE_PGM_RSRC2:USER_SGPR: 6
; COMPUTE_PGM_RSRC2:TRAP_HANDLER: 0
; COMPUTE_PGM_RSRC2:TGID_X_EN: 1
; COMPUTE_PGM_RSRC2:TGID_Y_EN: 1
; COMPUTE_PGM_RSRC2:TGID_Z_EN: 0
; COMPUTE_PGM_RSRC2:TIDIG_COMP_CNT: 0
; COMPUTE_PGM_RSRC3_GFX90A:ACCUM_OFFSET: 8
; COMPUTE_PGM_RSRC3_GFX90A:TG_SPLIT: 0
	.section	.text._ZN5aiter35fused_qk_rmsnorm_group_quant_kernelItN4opus5fp4_tELi512ELi16ELi2ELb0ELb1ELb1ELb0ELb0ELb0EEEvPT0_PvPT_S7_S7_PKS6_S9_S9_S9_S9_ffiiiiiiiiiiiii,"axG",@progbits,_ZN5aiter35fused_qk_rmsnorm_group_quant_kernelItN4opus5fp4_tELi512ELi16ELi2ELb0ELb1ELb1ELb0ELb0ELb0EEEvPT0_PvPT_S7_S7_PKS6_S9_S9_S9_S9_ffiiiiiiiiiiiii,comdat
	.protected	_ZN5aiter35fused_qk_rmsnorm_group_quant_kernelItN4opus5fp4_tELi512ELi16ELi2ELb0ELb1ELb1ELb0ELb0ELb0EEEvPT0_PvPT_S7_S7_PKS6_S9_S9_S9_S9_ffiiiiiiiiiiiii ; -- Begin function _ZN5aiter35fused_qk_rmsnorm_group_quant_kernelItN4opus5fp4_tELi512ELi16ELi2ELb0ELb1ELb1ELb0ELb0ELb0EEEvPT0_PvPT_S7_S7_PKS6_S9_S9_S9_S9_ffiiiiiiiiiiiii
	.globl	_ZN5aiter35fused_qk_rmsnorm_group_quant_kernelItN4opus5fp4_tELi512ELi16ELi2ELb0ELb1ELb1ELb0ELb0ELb0EEEvPT0_PvPT_S7_S7_PKS6_S9_S9_S9_S9_ffiiiiiiiiiiiii
	.p2align	8
	.type	_ZN5aiter35fused_qk_rmsnorm_group_quant_kernelItN4opus5fp4_tELi512ELi16ELi2ELb0ELb1ELb1ELb0ELb0ELb0EEEvPT0_PvPT_S7_S7_PKS6_S9_S9_S9_S9_ffiiiiiiiiiiiii,@function
_ZN5aiter35fused_qk_rmsnorm_group_quant_kernelItN4opus5fp4_tELi512ELi16ELi2ELb0ELb1ELb1ELb0ELb0ELb0EEEvPT0_PvPT_S7_S7_PKS6_S9_S9_S9_S9_ffiiiiiiiiiiiii: ; @_ZN5aiter35fused_qk_rmsnorm_group_quant_kernelItN4opus5fp4_tELi512ELi16ELi2ELb0ELb1ELb1ELb0ELb0ELb0EEEvPT0_PvPT_S7_S7_PKS6_S9_S9_S9_S9_ffiiiiiiiiiiiii
; %bb.0:
	s_load_dwordx4 s[16:19], s[4:5], 0x50
	s_waitcnt lgkmcnt(0)
	s_cmp_ge_i32 s6, s18
	s_cbranch_scc1 .LBB1020_12
; %bb.1:
	s_load_dwordx2 s[12:13], s[4:5], 0x48
	s_load_dwordx2 s[30:31], s[4:5], 0x30
	s_load_dwordx4 s[20:23], s[4:5], 0x60
	s_cmp_lg_u32 s7, 0
	s_cselect_b64 s[14:15], -1, 0
	s_cmp_eq_u32 s7, 0
	s_cselect_b64 vcc, -1, 0
	s_and_b64 s[0:1], vcc, exec
	s_waitcnt lgkmcnt(0)
	s_cselect_b32 s7, s19, s20
	s_add_i32 s0, s7, 1
	s_lshr_b32 s1, s0, 31
	s_add_i32 s0, s0, s1
	s_lshl_b32 s0, s0, 1
	v_lshlrev_b32_e32 v1, 4, v0
	s_and_b32 s10, s0, -4
	v_cmp_gt_i32_e64 s[2:3], s7, v1
	v_mov_b32_e32 v18, 0
	v_mov_b32_e32 v6, 0
	;; [unrolled: 1-line block ×17, first 2 shown]
	s_and_saveexec_b64 s[0:1], s[2:3]
	s_cbranch_execz .LBB1020_3
; %bb.2:
	s_load_dwordx2 s[8:9], s[4:5], 0x28
	s_load_dwordx2 s[26:27], s[4:5], 0x40
	s_and_b64 s[24:25], vcc, exec
	s_cselect_b32 s11, s21, s22
	v_lshlrev_b32_e32 v19, 5, v0
	s_waitcnt lgkmcnt(0)
	s_cselect_b32 s18, s9, s31
	s_cselect_b32 s21, s8, s30
	s_mul_hi_i32 s9, s11, s6
	s_mul_i32 s8, s11, s6
	s_lshl_b64 s[8:9], s[8:9], 1
	s_add_u32 s24, s21, s8
	s_addc_u32 s18, s18, s9
	s_and_b64 s[8:9], vcc, exec
	s_mov_b32 s11, 0x20000
	s_cselect_b32 s8, s26, s12
	s_cselect_b32 s9, s27, s13
	s_and_b32 s25, s18, 0xffff
	s_mov_b32 s26, s10
	s_mov_b32 s27, s11
	s_and_b32 s9, s9, 0xffff
	buffer_load_dwordx4 v[14:17], v19, s[24:27], 0 offen
	buffer_load_dwordx4 v[10:13], v19, s[24:27], 16 offen
	;; [unrolled: 1-line block ×4, first 2 shown]
.LBB1020_3:
	s_or_b64 exec, exec, s[0:1]
	v_mov_b32_e32 v19, 0
	v_mov_b32_e32 v22, 0
	;; [unrolled: 1-line block ×15, first 2 shown]
	s_and_saveexec_b64 s[0:1], s[2:3]
	s_cbranch_execz .LBB1020_5
; %bb.4:
	s_waitcnt vmcnt(3)
	v_cvt_f32_u32_sdwa v18, v14 dst_sel:DWORD dst_unused:UNUSED_PAD src0_sel:WORD_0
	v_cvt_f32_u32_sdwa v19, v14 dst_sel:DWORD dst_unused:UNUSED_PAD src0_sel:WORD_1
	v_cvt_f32_u32_sdwa v22, v15 dst_sel:DWORD dst_unused:UNUSED_PAD src0_sel:WORD_0
	v_cvt_f32_u32_sdwa v23, v15 dst_sel:DWORD dst_unused:UNUSED_PAD src0_sel:WORD_1
	v_cvt_f32_u32_sdwa v20, v16 dst_sel:DWORD dst_unused:UNUSED_PAD src0_sel:WORD_0
	v_cvt_f32_u32_sdwa v21, v16 dst_sel:DWORD dst_unused:UNUSED_PAD src0_sel:WORD_1
	v_cvt_f32_u32_sdwa v28, v17 dst_sel:DWORD dst_unused:UNUSED_PAD src0_sel:WORD_0
	v_cvt_f32_u32_sdwa v29, v17 dst_sel:DWORD dst_unused:UNUSED_PAD src0_sel:WORD_1
	s_waitcnt vmcnt(2)
	v_cvt_f32_u32_sdwa v24, v10 dst_sel:DWORD dst_unused:UNUSED_PAD src0_sel:WORD_0
	v_cvt_f32_u32_sdwa v25, v10 dst_sel:DWORD dst_unused:UNUSED_PAD src0_sel:WORD_1
	v_cvt_f32_u32_sdwa v32, v11 dst_sel:DWORD dst_unused:UNUSED_PAD src0_sel:WORD_0
	v_cvt_f32_u32_sdwa v33, v11 dst_sel:DWORD dst_unused:UNUSED_PAD src0_sel:WORD_1
	;; [unrolled: 2-line block ×4, first 2 shown]
.LBB1020_5:
	s_or_b64 exec, exec, s[0:1]
	s_waitcnt vmcnt(2)
	v_mul_f32_e32 v10, v19, v19
	v_fmac_f32_e32 v10, v18, v18
	v_fmac_f32_e32 v10, v22, v22
	;; [unrolled: 1-line block ×15, first 2 shown]
	v_and_b32_e32 v12, 63, v0
	v_cmp_eq_u32_e64 s[0:1], 63, v12
	v_mov_b32_dpp v11, v10 quad_perm:[1,0,3,2] row_mask:0xf bank_mask:0xf
	v_add_f32_e32 v10, v10, v11
	s_nop 1
	v_mov_b32_dpp v11, v10 quad_perm:[2,3,0,1] row_mask:0xf bank_mask:0xf
	v_add_f32_e32 v10, v10, v11
	s_nop 1
	v_mov_b32_dpp v11, v10 row_half_mirror row_mask:0xf bank_mask:0xf
	v_add_f32_e32 v10, v10, v11
	s_nop 1
	v_mov_b32_dpp v11, v10 row_mirror row_mask:0xf bank_mask:0xf
	v_add_f32_e32 v10, v10, v11
	s_nop 1
	v_mov_b32_dpp v11, v10 row_bcast:15 row_mask:0xf bank_mask:0xf
	v_add_f32_e32 v10, v10, v11
	s_nop 1
	v_mov_b32_dpp v11, v10 row_bcast:31 row_mask:0xf bank_mask:0xf
	s_and_saveexec_b64 s[8:9], s[0:1]
	s_cbranch_execz .LBB1020_7
; %bb.6:
	v_add_f32_e32 v10, v10, v11
	v_lshrrev_b32_e32 v11, 4, v0
	v_and_b32_e32 v11, 60, v11
	ds_write_b32 v11, v10 offset:32
.LBB1020_7:
	s_or_b64 exec, exec, s[8:9]
	v_and_b32_e32 v10, 7, v0
	v_lshlrev_b32_e32 v34, 2, v10
	s_waitcnt lgkmcnt(0)
	s_barrier
	ds_read_b32 v10, v34 offset:32
	s_load_dwordx2 s[28:29], s[4:5], 0x18
	s_waitcnt lgkmcnt(0)
	v_mov_b32_dpp v11, v10 quad_perm:[1,0,3,2] row_mask:0xf bank_mask:0xf
	v_add_f32_e32 v10, v10, v11
	s_nop 1
	v_mov_b32_dpp v11, v10 quad_perm:[2,3,0,1] row_mask:0xf bank_mask:0xf
	v_add_f32_e32 v10, v10, v11
	s_nop 1
	v_mov_b32_dpp v11, v10 row_half_mirror row_mask:0xf bank_mask:0xf
	s_and_saveexec_b64 s[8:9], s[2:3]
	s_cbranch_execz .LBB1020_9
; %bb.8:
	v_cvt_f32_u32_e32 v12, s7
	v_add_f32_e32 v10, v10, v11
	v_mov_b32_e32 v14, s17
	v_mov_b32_e32 v15, s16
	v_div_scale_f32 v11, s[24:25], v12, v12, v10
	v_rcp_f32_e32 v13, v11
	v_cndmask_b32_e32 v14, v14, v15, vcc
	s_mov_b32 s7, 0x800000
	v_fma_f32 v15, -v11, v13, 1.0
	v_fmac_f32_e32 v13, v15, v13
	v_div_scale_f32 v15, vcc, v10, v12, v10
	v_mul_f32_e32 v16, v15, v13
	v_fma_f32 v17, -v11, v16, v15
	v_fmac_f32_e32 v16, v17, v13
	v_fma_f32 v11, -v11, v16, v15
	v_div_fmas_f32 v11, v11, v13, v16
	v_div_fixup_f32 v10, v11, v12, v10
	v_add_f32_e32 v10, v14, v10
	v_mul_f32_e32 v11, 0x4b800000, v10
	v_cmp_gt_f32_e32 vcc, s7, v10
	v_cndmask_b32_e32 v10, v10, v11, vcc
	v_rsq_f32_e32 v10, v10
	v_mul_f32_e32 v11, 0x45800000, v10
	v_cndmask_b32_e32 v10, v10, v11, vcc
	v_mov_b32_e32 v11, v10
	;;#ASMSTART
	v_pk_mul_f32 v[12:13], v[18:19], v[10:11]
	;;#ASMEND
	s_waitcnt vmcnt(1)
	v_cvt_f32_u32_sdwa v19, v6 dst_sel:DWORD dst_unused:UNUSED_PAD src0_sel:WORD_1
	v_cvt_f32_u32_sdwa v18, v6 dst_sel:DWORD dst_unused:UNUSED_PAD src0_sel:WORD_0
	;;#ASMSTART
	v_pk_mul_f32 v[14:15], v[22:23], v[10:11]
	;;#ASMEND
	;;#ASMSTART
	v_pk_mul_f32 v[16:17], v[20:21], v[10:11]
	;;#ASMEND
	v_cvt_f32_u32_sdwa v21, v7 dst_sel:DWORD dst_unused:UNUSED_PAD src0_sel:WORD_1
	v_cvt_f32_u32_sdwa v20, v7 dst_sel:DWORD dst_unused:UNUSED_PAD src0_sel:WORD_0
	;;#ASMSTART
	v_pk_mul_f32 v[28:29], v[28:29], v[10:11]
	;;#ASMEND
	;;#ASMSTART
	v_pk_mul_f32 v[24:25], v[24:25], v[10:11]
	;;#ASMEND
	;; [unrolled: 3-line block ×5, first 2 shown]
	v_pk_add_f32 v[10:11], v[18:19], 1.0 op_sel_hi:[1,0]
	;;#ASMSTART
	v_pk_mul_f32 v[18:19], v[12:13], v[10:11]
	;;#ASMEND
	v_cvt_f32_u32_sdwa v13, v8 dst_sel:DWORD dst_unused:UNUSED_PAD src0_sel:WORD_1
	v_cvt_f32_u32_sdwa v12, v8 dst_sel:DWORD dst_unused:UNUSED_PAD src0_sel:WORD_0
	v_cvt_f32_u32_sdwa v27, v9 dst_sel:DWORD dst_unused:UNUSED_PAD src0_sel:WORD_1
	v_cvt_f32_u32_sdwa v26, v9 dst_sel:DWORD dst_unused:UNUSED_PAD src0_sel:WORD_0
	v_pk_add_f32 v[10:11], v[20:21], 1.0 op_sel_hi:[1,0]
	;;#ASMSTART
	v_pk_mul_f32 v[22:23], v[14:15], v[10:11]
	;;#ASMEND
	s_waitcnt vmcnt(0)
	v_cvt_f32_u32_sdwa v11, v2 dst_sel:DWORD dst_unused:UNUSED_PAD src0_sel:WORD_1
	v_cvt_f32_u32_sdwa v10, v2 dst_sel:DWORD dst_unused:UNUSED_PAD src0_sel:WORD_0
	v_pk_add_f32 v[8:9], v[12:13], 1.0 op_sel_hi:[1,0]
	;;#ASMSTART
	v_pk_mul_f32 v[20:21], v[16:17], v[8:9]
	;;#ASMEND
	v_pk_add_f32 v[8:9], v[26:27], 1.0 op_sel_hi:[1,0]
	v_cvt_f32_u32_sdwa v13, v3 dst_sel:DWORD dst_unused:UNUSED_PAD src0_sel:WORD_1
	v_cvt_f32_u32_sdwa v12, v3 dst_sel:DWORD dst_unused:UNUSED_PAD src0_sel:WORD_0
	;;#ASMSTART
	v_pk_mul_f32 v[28:29], v[28:29], v[8:9]
	;;#ASMEND
	v_cvt_f32_u32_sdwa v9, v4 dst_sel:DWORD dst_unused:UNUSED_PAD src0_sel:WORD_1
	v_cvt_f32_u32_sdwa v8, v4 dst_sel:DWORD dst_unused:UNUSED_PAD src0_sel:WORD_0
	v_pk_add_f32 v[2:3], v[10:11], 1.0 op_sel_hi:[1,0]
	v_cvt_f32_u32_sdwa v11, v5 dst_sel:DWORD dst_unused:UNUSED_PAD src0_sel:WORD_1
	v_cvt_f32_u32_sdwa v10, v5 dst_sel:DWORD dst_unused:UNUSED_PAD src0_sel:WORD_0
	;;#ASMSTART
	v_pk_mul_f32 v[24:25], v[24:25], v[2:3]
	;;#ASMEND
	v_pk_add_f32 v[2:3], v[12:13], 1.0 op_sel_hi:[1,0]
	;;#ASMSTART
	v_pk_mul_f32 v[32:33], v[32:33], v[2:3]
	;;#ASMEND
	v_pk_add_f32 v[2:3], v[8:9], 1.0 op_sel_hi:[1,0]
	;; [unrolled: 4-line block ×3, first 2 shown]
	;;#ASMSTART
	v_pk_mul_f32 v[26:27], v[6:7], v[2:3]
	;;#ASMEND
.LBB1020_9:
	s_or_b64 exec, exec, s[8:9]
	s_load_dword s7, s[4:5], 0x80
	s_mov_b64 s[8:9], -1
	s_and_b64 vcc, exec, s[14:15]
	s_cbranch_vccnz .LBB1020_13
; %bb.10:
	s_andn2_b64 vcc, exec, s[8:9]
	s_cbranch_vccz .LBB1020_16
.LBB1020_11:
	s_cmp_lt_i32 s20, 1
	s_cbranch_scc0 .LBB1020_25
.LBB1020_12:
	s_endpgm
.LBB1020_13:
	s_and_saveexec_b64 s[14:15], s[2:3]
	s_cbranch_execz .LBB1020_15
; %bb.14:
	s_waitcnt lgkmcnt(0)
	s_mul_hi_i32 s9, s7, s6
	s_mul_i32 s8, s7, s6
	s_lshl_b64 s[8:9], s[8:9], 1
	s_add_u32 s8, s28, s8
	s_addc_u32 s9, s29, s9
	s_mov_b32 s16, 0x7060302
	s_and_b32 s9, s9, 0xffff
	s_mov_b32 s11, 0x20000
	s_waitcnt vmcnt(0)
	v_perm_b32 v5, v29, v28, s16
	v_perm_b32 v4, v21, v20, s16
	;; [unrolled: 1-line block ×4, first 2 shown]
	v_lshlrev_b32_e32 v6, 5, v0
	buffer_store_dwordx4 v[2:5], v6, s[8:11], 0 offen
	;;#ASMSTART
	s_nop 0
	;;#ASMEND
	s_nop 0
	v_perm_b32 v5, v27, v26, s16
	v_perm_b32 v4, v31, v30, s16
	;; [unrolled: 1-line block ×4, first 2 shown]
	buffer_store_dwordx4 v[2:5], v6, s[8:11], 16 offen
	;;#ASMSTART
	s_nop 0
	;;#ASMEND
.LBB1020_15:
	s_or_b64 exec, exec, s[14:15]
	s_cbranch_execnz .LBB1020_11
.LBB1020_16:
	s_load_dwordx4 s[24:27], s[4:5], 0x70
	s_waitcnt vmcnt(0)
	v_mov_b32_e32 v2, 0
	s_and_saveexec_b64 s[14:15], s[2:3]
	s_cbranch_execz .LBB1020_18
; %bb.17:
	s_load_dwordx2 s[8:9], s[4:5], 0x10
	s_waitcnt lgkmcnt(0)
	s_mul_hi_i32 s35, s27, s6
	s_mul_i32 s34, s27, s6
	s_lshl_b64 s[34:35], s[34:35], 1
	s_mov_b32 s16, 0x7060302
	s_add_u32 s8, s8, s34
	s_addc_u32 s9, s9, s35
	s_mov_b32 s11, 0x20000
	s_and_b32 s9, s9, 0xffff
	v_perm_b32 v5, v29, v28, s16
	v_perm_b32 v4, v21, v20, s16
	;; [unrolled: 1-line block ×4, first 2 shown]
	v_lshlrev_b32_e32 v6, 5, v0
	buffer_store_dwordx4 v[2:5], v6, s[8:11], 0 offen
	;;#ASMSTART
	s_nop 0
	;;#ASMEND
	s_nop 0
	v_perm_b32 v5, v27, v26, s16
	v_perm_b32 v4, v31, v30, s16
	;; [unrolled: 1-line block ×4, first 2 shown]
	buffer_store_dwordx4 v[2:5], v6, s[8:11], 16 offen
	;;#ASMSTART
	s_nop 0
	;;#ASMEND
	s_nop 0
	v_mov_b32_e32 v2, 0x2edbe6ff
.LBB1020_18:
	s_or_b64 exec, exec, s[14:15]
	s_and_saveexec_b64 s[8:9], s[2:3]
	s_cbranch_execz .LBB1020_20
; %bb.19:
	v_and_b32_e32 v3, 0x7fffffff, v18
	v_and_b32_e32 v4, 0x7fffffff, v19
	;;#ASMSTART
	v_max3_f32 v2, v2, v3, v4

	;;#ASMEND
	v_and_b32_e32 v3, 0x7fffffff, v22
	v_and_b32_e32 v4, 0x7fffffff, v23
	;;#ASMSTART
	v_max3_f32 v2, v2, v3, v4

	;;#ASMEND
	;; [unrolled: 6-line block ×8, first 2 shown]
.LBB1020_20:
	s_or_b64 exec, exec, s[8:9]
	;;#ASMSTART
	v_max_f32 v3, v2, v2 quad_perm:[1,0,3,2] row_mask:0xf bank_mask:0xf bound_ctrl:1
	;;#ASMEND
	v_and_b32_e32 v2, 1, v0
	v_cmp_eq_u32_e32 vcc, 0, v2
	v_cmp_gt_i32_e64 s[8:9], s19, v1
	s_and_b64 s[10:11], vcc, s[8:9]
	s_and_saveexec_b64 s[8:9], s[10:11]
	s_cbranch_execz .LBB1020_22
; %bb.21:
	s_load_dwordx2 s[10:11], s[4:5], 0x8
	v_mul_f32_e32 v2, 0x3e2aaaab, v3
	v_lshrrev_b32_e32 v3, 23, v2
	v_and_b32_e32 v4, 0x7f800000, v2
	v_and_b32_e32 v2, 0x7fffff, v2
	v_cmp_ne_u32_e32 vcc, 0, v2
	s_waitcnt lgkmcnt(0)
	s_mul_i32 s16, s25, s6
	s_mov_b32 s14, 0x7f800000
	v_addc_co_u32_e32 v2, vcc, 0, v3, vcc
	s_mul_hi_i32 s15, s25, s6
	s_add_u32 s10, s10, s16
	v_cmp_ne_u32_e32 vcc, s14, v4
	s_addc_u32 s11, s11, s15
	v_lshrrev_b32_e32 v5, 1, v0
	v_cndmask_b32_e32 v4, -1, v2, vcc
	v_pk_mov_b32 v[2:3], s[10:11], s[10:11] op_sel:[0,1]
	v_mad_i64_i32 v[2:3], s[10:11], s26, v5, v[2:3]
	global_store_byte v[2:3], v4, off
.LBB1020_22:
	s_or_b64 exec, exec, s[8:9]
	s_and_saveexec_b64 s[8:9], s[2:3]
	s_cbranch_execz .LBB1020_24
; %bb.23:
	s_load_dwordx2 s[2:3], s[4:5], 0x0
	s_waitcnt lgkmcnt(0)
	s_mul_i32 s11, s24, s6
	s_mul_hi_i32 s10, s24, s6
	v_mov_b32_e32 v2, 0
	v_lshlrev_b32_e32 v4, 3, v0
	s_add_u32 s24, s2, s11
	s_addc_u32 s2, s3, s10
	s_lshr_b32 s3, s19, 31
	s_add_i32 s3, s19, s3
	s_ashr_i32 s3, s3, 1
	s_add_i32 s3, s3, 3
	s_ashr_i32 s10, s3, 31
	s_lshr_b32 s10, s10, 30
	s_add_i32 s3, s3, s10
	s_and_b32 s26, s3, -4
	s_and_b32 s25, s2, 0xffff
	s_mov_b32 s27, 0x20000
	v_mov_b32_e32 v3, v2
	buffer_store_dwordx2 v[2:3], v4, s[24:27], 0 offen
	;;#ASMSTART
	s_nop 0
	;;#ASMEND
.LBB1020_24:
	s_or_b64 exec, exec, s[8:9]
	s_cmp_lt_i32 s20, 1
	s_cbranch_scc1 .LBB1020_12
.LBB1020_25:
	s_load_dword s2, s[4:5], 0x94
	s_waitcnt lgkmcnt(0)
	s_cmp_lg_u32 s2, 1
	s_cbranch_scc1 .LBB1020_12
; %bb.26:
	s_lshl_b32 s2, s20, 1
	s_add_i32 s2, s2, 2
	v_cmp_gt_u32_e32 vcc, s20, v1
	s_and_b32 s14, s2, -4
	v_mov_b32_e32 v18, 0
	v_lshlrev_b32_e32 v1, 5, v0
	v_mov_b32_e32 v14, 0
	v_mov_b32_e32 v15, 0
	;; [unrolled: 1-line block ×8, first 2 shown]
	s_waitcnt vmcnt(1)
	v_mov_b32_e32 v6, 0
	v_mov_b32_e32 v7, 0
	;; [unrolled: 1-line block ×4, first 2 shown]
	s_waitcnt vmcnt(0)
	v_mov_b32_e32 v2, 0
	v_mov_b32_e32 v3, 0
	;; [unrolled: 1-line block ×4, first 2 shown]
	s_barrier
	s_and_saveexec_b64 s[2:3], vcc
	s_cbranch_execz .LBB1020_28
; %bb.27:
	s_mul_hi_i32 s5, s22, s6
	s_mul_i32 s4, s22, s6
	s_and_b32 s13, s13, 0xffff
	s_lshl_b64 s[4:5], s[4:5], 1
	s_add_u32 s8, s30, s4
	s_mov_b32 s15, 0x20000
	s_addc_u32 s4, s31, s5
	s_and_b32 s9, s4, 0xffff
	s_mov_b32 s10, s14
	s_mov_b32 s11, s15
	buffer_load_dwordx4 v[14:17], v1, s[8:11], 0 offen
	buffer_load_dwordx4 v[10:13], v1, s[8:11], 16 offen
	;; [unrolled: 1-line block ×4, first 2 shown]
.LBB1020_28:
	s_or_b64 exec, exec, s[2:3]
	v_mov_b32_e32 v19, 0
	v_mov_b32_e32 v32, 0
	;; [unrolled: 1-line block ×15, first 2 shown]
	s_and_saveexec_b64 s[2:3], vcc
	s_cbranch_execz .LBB1020_30
; %bb.29:
	s_waitcnt vmcnt(3)
	v_cvt_f32_u32_sdwa v18, v14 dst_sel:DWORD dst_unused:UNUSED_PAD src0_sel:WORD_0
	v_cvt_f32_u32_sdwa v19, v14 dst_sel:DWORD dst_unused:UNUSED_PAD src0_sel:WORD_1
	v_cvt_f32_u32_sdwa v32, v15 dst_sel:DWORD dst_unused:UNUSED_PAD src0_sel:WORD_0
	v_cvt_f32_u32_sdwa v33, v15 dst_sel:DWORD dst_unused:UNUSED_PAD src0_sel:WORD_1
	;; [unrolled: 2-line block ×4, first 2 shown]
	s_waitcnt vmcnt(2)
	v_cvt_f32_u32_sdwa v26, v10 dst_sel:DWORD dst_unused:UNUSED_PAD src0_sel:WORD_0
	v_cvt_f32_u32_sdwa v27, v10 dst_sel:DWORD dst_unused:UNUSED_PAD src0_sel:WORD_1
	v_cvt_f32_u32_sdwa v24, v11 dst_sel:DWORD dst_unused:UNUSED_PAD src0_sel:WORD_0
	v_cvt_f32_u32_sdwa v25, v11 dst_sel:DWORD dst_unused:UNUSED_PAD src0_sel:WORD_1
	;; [unrolled: 2-line block ×4, first 2 shown]
.LBB1020_30:
	s_or_b64 exec, exec, s[2:3]
	s_waitcnt vmcnt(2)
	v_mul_f32_e32 v10, v19, v19
	v_fmac_f32_e32 v10, v18, v18
	v_fmac_f32_e32 v10, v32, v32
	;; [unrolled: 1-line block ×15, first 2 shown]
	s_nop 1
	v_mov_b32_dpp v11, v10 quad_perm:[1,0,3,2] row_mask:0xf bank_mask:0xf
	v_add_f32_e32 v10, v10, v11
	s_nop 1
	v_mov_b32_dpp v11, v10 quad_perm:[2,3,0,1] row_mask:0xf bank_mask:0xf
	v_add_f32_e32 v10, v10, v11
	s_nop 1
	v_mov_b32_dpp v11, v10 row_half_mirror row_mask:0xf bank_mask:0xf
	v_add_f32_e32 v10, v10, v11
	s_nop 1
	v_mov_b32_dpp v11, v10 row_mirror row_mask:0xf bank_mask:0xf
	v_add_f32_e32 v10, v10, v11
	s_nop 1
	v_mov_b32_dpp v11, v10 row_bcast:15 row_mask:0xf bank_mask:0xf
	v_add_f32_e32 v10, v10, v11
	s_nop 1
	v_mov_b32_dpp v11, v10 row_bcast:31 row_mask:0xf bank_mask:0xf
	s_and_saveexec_b64 s[2:3], s[0:1]
	s_cbranch_execz .LBB1020_32
; %bb.31:
	v_lshrrev_b32_e32 v0, 4, v0
	v_add_f32_e32 v10, v10, v11
	v_and_b32_e32 v0, 60, v0
	ds_write_b32 v0, v10
.LBB1020_32:
	s_or_b64 exec, exec, s[2:3]
	s_waitcnt lgkmcnt(0)
	s_barrier
	ds_read_b32 v0, v34
	s_waitcnt lgkmcnt(0)
	s_nop 0
	v_mov_b32_dpp v10, v0 quad_perm:[1,0,3,2] row_mask:0xf bank_mask:0xf
	v_add_f32_e32 v0, v0, v10
	s_nop 1
	v_mov_b32_dpp v10, v0 quad_perm:[2,3,0,1] row_mask:0xf bank_mask:0xf
	v_add_f32_e32 v0, v0, v10
	s_nop 1
	v_mov_b32_dpp v10, v0 row_half_mirror row_mask:0xf bank_mask:0xf
	s_and_saveexec_b64 s[0:1], vcc
	s_cbranch_execz .LBB1020_12
; %bb.33:
	v_cvt_f32_u32_e32 v11, s20
	v_add_f32_e32 v0, v0, v10
	s_mov_b32 s15, 0x20000
	v_div_scale_f32 v10, s[0:1], v11, v11, v0
	v_rcp_f32_e32 v12, v10
	v_div_scale_f32 v13, vcc, v0, v11, v0
	s_mov_b32 s0, 0x800000
	v_fma_f32 v14, -v10, v12, 1.0
	v_fmac_f32_e32 v12, v14, v12
	v_mul_f32_e32 v14, v13, v12
	v_fma_f32 v15, -v10, v14, v13
	v_fmac_f32_e32 v14, v15, v12
	v_fma_f32 v10, -v10, v14, v13
	v_div_fmas_f32 v10, v10, v12, v14
	v_div_fixup_f32 v0, v10, v11, v0
	v_add_f32_e32 v0, s17, v0
	v_mul_f32_e32 v10, 0x4b800000, v0
	v_cmp_gt_f32_e32 vcc, s0, v0
	v_cndmask_b32_e32 v0, v0, v10, vcc
	v_rsq_f32_e32 v0, v0
	s_mul_hi_i32 s1, s7, s6
	s_mul_i32 s0, s7, s6
	s_lshl_b64 s[0:1], s[0:1], 1
	v_mul_f32_e32 v10, 0x45800000, v0
	v_cndmask_b32_e32 v10, v0, v10, vcc
	v_mov_b32_e32 v11, v10
	;;#ASMSTART
	v_pk_mul_f32 v[12:13], v[18:19], v[10:11]
	;;#ASMEND
	;;#ASMSTART
	v_pk_mul_f32 v[14:15], v[32:33], v[10:11]
	;;#ASMEND
	;; [unrolled: 3-line block ×4, first 2 shown]
	s_waitcnt vmcnt(1)
	v_cvt_f32_u32_sdwa v29, v6 dst_sel:DWORD dst_unused:UNUSED_PAD src0_sel:WORD_1
	v_cvt_f32_u32_sdwa v28, v6 dst_sel:DWORD dst_unused:UNUSED_PAD src0_sel:WORD_0
	v_cvt_f32_u32_sdwa v31, v7 dst_sel:DWORD dst_unused:UNUSED_PAD src0_sel:WORD_1
	v_cvt_f32_u32_sdwa v30, v7 dst_sel:DWORD dst_unused:UNUSED_PAD src0_sel:WORD_0
	;;#ASMSTART
	v_pk_mul_f32 v[26:27], v[26:27], v[10:11]
	;;#ASMEND
	;;#ASMSTART
	v_pk_mul_f32 v[24:25], v[24:25], v[10:11]
	;;#ASMEND
	;; [unrolled: 3-line block ×4, first 2 shown]
	v_cvt_f32_u32_sdwa v21, v8 dst_sel:DWORD dst_unused:UNUSED_PAD src0_sel:WORD_1
	v_cvt_f32_u32_sdwa v20, v8 dst_sel:DWORD dst_unused:UNUSED_PAD src0_sel:WORD_0
	v_pk_add_f32 v[10:11], v[28:29], 1.0 op_sel_hi:[1,0]
	;;#ASMSTART
	v_pk_mul_f32 v[10:11], v[12:13], v[10:11]
	;;#ASMEND
	v_pk_add_f32 v[12:13], v[30:31], 1.0 op_sel_hi:[1,0]
	v_cvt_f32_u32_sdwa v29, v9 dst_sel:DWORD dst_unused:UNUSED_PAD src0_sel:WORD_1
	v_cvt_f32_u32_sdwa v28, v9 dst_sel:DWORD dst_unused:UNUSED_PAD src0_sel:WORD_0
	;;#ASMSTART
	v_pk_mul_f32 v[8:9], v[14:15], v[12:13]
	;;#ASMEND
	v_pk_add_f32 v[12:13], v[20:21], 1.0 op_sel_hi:[1,0]
	;;#ASMSTART
	v_pk_mul_f32 v[12:13], v[16:17], v[12:13]
	;;#ASMEND
	s_waitcnt vmcnt(0)
	v_cvt_f32_u32_sdwa v17, v2 dst_sel:DWORD dst_unused:UNUSED_PAD src0_sel:WORD_1
	v_cvt_f32_u32_sdwa v16, v2 dst_sel:DWORD dst_unused:UNUSED_PAD src0_sel:WORD_0
	v_cvt_f32_u32_sdwa v21, v3 dst_sel:DWORD dst_unused:UNUSED_PAD src0_sel:WORD_1
	v_cvt_f32_u32_sdwa v20, v3 dst_sel:DWORD dst_unused:UNUSED_PAD src0_sel:WORD_0
	v_pk_add_f32 v[14:15], v[28:29], 1.0 op_sel_hi:[1,0]
	;;#ASMSTART
	v_pk_mul_f32 v[14:15], v[18:19], v[14:15]
	;;#ASMEND
	v_pk_add_f32 v[2:3], v[16:17], 1.0 op_sel_hi:[1,0]
	v_cvt_f32_u32_sdwa v19, v4 dst_sel:DWORD dst_unused:UNUSED_PAD src0_sel:WORD_1
	v_cvt_f32_u32_sdwa v18, v4 dst_sel:DWORD dst_unused:UNUSED_PAD src0_sel:WORD_0
	;;#ASMSTART
	v_pk_mul_f32 v[16:17], v[26:27], v[2:3]
	;;#ASMEND
	v_pk_add_f32 v[2:3], v[20:21], 1.0 op_sel_hi:[1,0]
	v_cvt_f32_u32_sdwa v21, v5 dst_sel:DWORD dst_unused:UNUSED_PAD src0_sel:WORD_1
	v_cvt_f32_u32_sdwa v20, v5 dst_sel:DWORD dst_unused:UNUSED_PAD src0_sel:WORD_0
	s_add_u32 s12, s28, s0
	;;#ASMSTART
	v_pk_mul_f32 v[24:25], v[24:25], v[2:3]
	;;#ASMEND
	v_pk_add_f32 v[2:3], v[18:19], 1.0 op_sel_hi:[1,0]
	s_addc_u32 s0, s29, s1
	;;#ASMSTART
	v_pk_mul_f32 v[18:19], v[22:23], v[2:3]
	;;#ASMEND
	v_pk_add_f32 v[2:3], v[20:21], 1.0 op_sel_hi:[1,0]
	s_and_b32 s13, s0, 0xffff
	s_mov_b32 s0, 0x7060302
	;;#ASMSTART
	v_pk_mul_f32 v[6:7], v[6:7], v[2:3]
	;;#ASMEND
	v_perm_b32 v2, v11, v10, s0
	v_perm_b32 v3, v9, v8, s0
	;; [unrolled: 1-line block ×4, first 2 shown]
	buffer_store_dwordx4 v[2:5], v1, s[12:15], 0 offen
	;;#ASMSTART
	s_nop 0
	;;#ASMEND
	s_nop 0
	v_perm_b32 v2, v17, v16, s0
	v_perm_b32 v3, v25, v24, s0
	;; [unrolled: 1-line block ×4, first 2 shown]
	buffer_store_dwordx4 v[2:5], v1, s[12:15], 16 offen
	;;#ASMSTART
	s_nop 0
	;;#ASMEND
	s_endpgm
	.section	.rodata,"a",@progbits
	.p2align	6, 0x0
	.amdhsa_kernel _ZN5aiter35fused_qk_rmsnorm_group_quant_kernelItN4opus5fp4_tELi512ELi16ELi2ELb0ELb1ELb1ELb0ELb0ELb0EEEvPT0_PvPT_S7_S7_PKS6_S9_S9_S9_S9_ffiiiiiiiiiiiii
		.amdhsa_group_segment_fixed_size 64
		.amdhsa_private_segment_fixed_size 0
		.amdhsa_kernarg_size 400
		.amdhsa_user_sgpr_count 6
		.amdhsa_user_sgpr_private_segment_buffer 1
		.amdhsa_user_sgpr_dispatch_ptr 0
		.amdhsa_user_sgpr_queue_ptr 0
		.amdhsa_user_sgpr_kernarg_segment_ptr 1
		.amdhsa_user_sgpr_dispatch_id 0
		.amdhsa_user_sgpr_flat_scratch_init 0
		.amdhsa_user_sgpr_kernarg_preload_length 0
		.amdhsa_user_sgpr_kernarg_preload_offset 0
		.amdhsa_user_sgpr_private_segment_size 0
		.amdhsa_uses_dynamic_stack 0
		.amdhsa_system_sgpr_private_segment_wavefront_offset 0
		.amdhsa_system_sgpr_workgroup_id_x 1
		.amdhsa_system_sgpr_workgroup_id_y 1
		.amdhsa_system_sgpr_workgroup_id_z 0
		.amdhsa_system_sgpr_workgroup_info 0
		.amdhsa_system_vgpr_workitem_id 0
		.amdhsa_next_free_vgpr 35
		.amdhsa_next_free_sgpr 36
		.amdhsa_accum_offset 36
		.amdhsa_reserve_vcc 1
		.amdhsa_reserve_flat_scratch 0
		.amdhsa_float_round_mode_32 0
		.amdhsa_float_round_mode_16_64 0
		.amdhsa_float_denorm_mode_32 3
		.amdhsa_float_denorm_mode_16_64 3
		.amdhsa_dx10_clamp 1
		.amdhsa_ieee_mode 1
		.amdhsa_fp16_overflow 0
		.amdhsa_tg_split 0
		.amdhsa_exception_fp_ieee_invalid_op 0
		.amdhsa_exception_fp_denorm_src 0
		.amdhsa_exception_fp_ieee_div_zero 0
		.amdhsa_exception_fp_ieee_overflow 0
		.amdhsa_exception_fp_ieee_underflow 0
		.amdhsa_exception_fp_ieee_inexact 0
		.amdhsa_exception_int_div_zero 0
	.end_amdhsa_kernel
	.section	.text._ZN5aiter35fused_qk_rmsnorm_group_quant_kernelItN4opus5fp4_tELi512ELi16ELi2ELb0ELb1ELb1ELb0ELb0ELb0EEEvPT0_PvPT_S7_S7_PKS6_S9_S9_S9_S9_ffiiiiiiiiiiiii,"axG",@progbits,_ZN5aiter35fused_qk_rmsnorm_group_quant_kernelItN4opus5fp4_tELi512ELi16ELi2ELb0ELb1ELb1ELb0ELb0ELb0EEEvPT0_PvPT_S7_S7_PKS6_S9_S9_S9_S9_ffiiiiiiiiiiiii,comdat
.Lfunc_end1020:
	.size	_ZN5aiter35fused_qk_rmsnorm_group_quant_kernelItN4opus5fp4_tELi512ELi16ELi2ELb0ELb1ELb1ELb0ELb0ELb0EEEvPT0_PvPT_S7_S7_PKS6_S9_S9_S9_S9_ffiiiiiiiiiiiii, .Lfunc_end1020-_ZN5aiter35fused_qk_rmsnorm_group_quant_kernelItN4opus5fp4_tELi512ELi16ELi2ELb0ELb1ELb1ELb0ELb0ELb0EEEvPT0_PvPT_S7_S7_PKS6_S9_S9_S9_S9_ffiiiiiiiiiiiii
                                        ; -- End function
	.section	.AMDGPU.csdata,"",@progbits
; Kernel info:
; codeLenInByte = 3464
; NumSgprs: 40
; NumVgprs: 35
; NumAgprs: 0
; TotalNumVgprs: 35
; ScratchSize: 0
; MemoryBound: 0
; FloatMode: 240
; IeeeMode: 1
; LDSByteSize: 64 bytes/workgroup (compile time only)
; SGPRBlocks: 4
; VGPRBlocks: 4
; NumSGPRsForWavesPerEU: 40
; NumVGPRsForWavesPerEU: 35
; AccumOffset: 36
; Occupancy: 8
; WaveLimiterHint : 0
; COMPUTE_PGM_RSRC2:SCRATCH_EN: 0
; COMPUTE_PGM_RSRC2:USER_SGPR: 6
; COMPUTE_PGM_RSRC2:TRAP_HANDLER: 0
; COMPUTE_PGM_RSRC2:TGID_X_EN: 1
; COMPUTE_PGM_RSRC2:TGID_Y_EN: 1
; COMPUTE_PGM_RSRC2:TGID_Z_EN: 0
; COMPUTE_PGM_RSRC2:TIDIG_COMP_CNT: 0
; COMPUTE_PGM_RSRC3_GFX90A:ACCUM_OFFSET: 8
; COMPUTE_PGM_RSRC3_GFX90A:TG_SPLIT: 0
	.section	.text._ZN5aiter35fused_qk_rmsnorm_group_quant_kernelIDF16_DB8_Li512ELi16ELi2ELb0ELb1ELb0ELb0ELb0ELb0EEEvPT0_PvPT_S6_S6_PKS5_S8_S8_S8_S8_ffiiiiiiiiiiiii,"axG",@progbits,_ZN5aiter35fused_qk_rmsnorm_group_quant_kernelIDF16_DB8_Li512ELi16ELi2ELb0ELb1ELb0ELb0ELb0ELb0EEEvPT0_PvPT_S6_S6_PKS5_S8_S8_S8_S8_ffiiiiiiiiiiiii,comdat
	.protected	_ZN5aiter35fused_qk_rmsnorm_group_quant_kernelIDF16_DB8_Li512ELi16ELi2ELb0ELb1ELb0ELb0ELb0ELb0EEEvPT0_PvPT_S6_S6_PKS5_S8_S8_S8_S8_ffiiiiiiiiiiiii ; -- Begin function _ZN5aiter35fused_qk_rmsnorm_group_quant_kernelIDF16_DB8_Li512ELi16ELi2ELb0ELb1ELb0ELb0ELb0ELb0EEEvPT0_PvPT_S6_S6_PKS5_S8_S8_S8_S8_ffiiiiiiiiiiiii
	.globl	_ZN5aiter35fused_qk_rmsnorm_group_quant_kernelIDF16_DB8_Li512ELi16ELi2ELb0ELb1ELb0ELb0ELb0ELb0EEEvPT0_PvPT_S6_S6_PKS5_S8_S8_S8_S8_ffiiiiiiiiiiiii
	.p2align	8
	.type	_ZN5aiter35fused_qk_rmsnorm_group_quant_kernelIDF16_DB8_Li512ELi16ELi2ELb0ELb1ELb0ELb0ELb0ELb0EEEvPT0_PvPT_S6_S6_PKS5_S8_S8_S8_S8_ffiiiiiiiiiiiii,@function
_ZN5aiter35fused_qk_rmsnorm_group_quant_kernelIDF16_DB8_Li512ELi16ELi2ELb0ELb1ELb0ELb0ELb0ELb0EEEvPT0_PvPT_S6_S6_PKS5_S8_S8_S8_S8_ffiiiiiiiiiiiii: ; @_ZN5aiter35fused_qk_rmsnorm_group_quant_kernelIDF16_DB8_Li512ELi16ELi2ELb0ELb1ELb0ELb0ELb0ELb0EEEvPT0_PvPT_S6_S6_PKS5_S8_S8_S8_S8_ffiiiiiiiiiiiii
; %bb.0:
	s_load_dwordx4 s[16:19], s[4:5], 0x50
	s_waitcnt lgkmcnt(0)
	s_cmp_ge_i32 s6, s18
	s_cbranch_scc1 .LBB1021_12
; %bb.1:
	s_load_dwordx2 s[12:13], s[4:5], 0x48
	s_load_dwordx2 s[30:31], s[4:5], 0x30
	s_load_dwordx4 s[20:23], s[4:5], 0x60
	s_cmp_lg_u32 s7, 0
	s_cselect_b64 s[14:15], -1, 0
	s_cmp_eq_u32 s7, 0
	s_cselect_b64 vcc, -1, 0
	s_and_b64 s[0:1], vcc, exec
	s_waitcnt lgkmcnt(0)
	s_cselect_b32 s7, s19, s20
	s_add_i32 s0, s7, 1
	s_lshr_b32 s1, s0, 31
	s_add_i32 s0, s0, s1
	s_lshl_b32 s0, s0, 1
	v_lshlrev_b32_e32 v1, 4, v0
	s_and_b32 s10, s0, -4
	v_cmp_gt_i32_e64 s[2:3], s7, v1
	v_mov_b32_e32 v18, 0
	v_mov_b32_e32 v6, 0
	;; [unrolled: 1-line block ×17, first 2 shown]
	s_and_saveexec_b64 s[0:1], s[2:3]
	s_cbranch_execz .LBB1021_3
; %bb.2:
	s_load_dwordx2 s[8:9], s[4:5], 0x28
	s_load_dwordx2 s[26:27], s[4:5], 0x40
	s_and_b64 s[24:25], vcc, exec
	s_cselect_b32 s11, s21, s22
	v_lshlrev_b32_e32 v19, 5, v0
	s_waitcnt lgkmcnt(0)
	s_cselect_b32 s18, s9, s31
	s_cselect_b32 s21, s8, s30
	s_mul_hi_i32 s9, s11, s6
	s_mul_i32 s8, s11, s6
	s_lshl_b64 s[8:9], s[8:9], 1
	s_add_u32 s24, s21, s8
	s_addc_u32 s18, s18, s9
	s_and_b64 s[8:9], vcc, exec
	s_mov_b32 s11, 0x20000
	s_cselect_b32 s8, s26, s12
	s_cselect_b32 s9, s27, s13
	s_and_b32 s25, s18, 0xffff
	s_mov_b32 s26, s10
	s_mov_b32 s27, s11
	s_and_b32 s9, s9, 0xffff
	buffer_load_dwordx4 v[14:17], v19, s[24:27], 0 offen
	buffer_load_dwordx4 v[10:13], v19, s[24:27], 16 offen
	;; [unrolled: 1-line block ×4, first 2 shown]
.LBB1021_3:
	s_or_b64 exec, exec, s[0:1]
	v_mov_b32_e32 v19, 0
	v_mov_b32_e32 v32, 0
	;; [unrolled: 1-line block ×15, first 2 shown]
	s_and_saveexec_b64 s[0:1], s[2:3]
	s_cbranch_execz .LBB1021_5
; %bb.4:
	s_waitcnt vmcnt(3)
	v_cvt_f32_f16_sdwa v19, v14 dst_sel:DWORD dst_unused:UNUSED_PAD src0_sel:WORD_1
	v_cvt_f32_f16_e32 v18, v14
	v_cvt_f32_f16_sdwa v33, v15 dst_sel:DWORD dst_unused:UNUSED_PAD src0_sel:WORD_1
	v_cvt_f32_f16_e32 v32, v15
	;; [unrolled: 2-line block ×4, first 2 shown]
	s_waitcnt vmcnt(2)
	v_cvt_f32_f16_sdwa v31, v10 dst_sel:DWORD dst_unused:UNUSED_PAD src0_sel:WORD_1
	v_cvt_f32_f16_e32 v30, v10
	v_cvt_f32_f16_sdwa v29, v11 dst_sel:DWORD dst_unused:UNUSED_PAD src0_sel:WORD_1
	v_cvt_f32_f16_e32 v28, v11
	;; [unrolled: 2-line block ×4, first 2 shown]
.LBB1021_5:
	s_or_b64 exec, exec, s[0:1]
	s_waitcnt vmcnt(2)
	v_mul_f32_e32 v10, v19, v19
	v_fmac_f32_e32 v10, v18, v18
	v_fmac_f32_e32 v10, v32, v32
	;; [unrolled: 1-line block ×15, first 2 shown]
	v_and_b32_e32 v12, 63, v0
	v_cmp_eq_u32_e64 s[0:1], 63, v12
	v_mov_b32_dpp v11, v10 quad_perm:[1,0,3,2] row_mask:0xf bank_mask:0xf
	v_add_f32_e32 v10, v10, v11
	s_nop 1
	v_mov_b32_dpp v11, v10 quad_perm:[2,3,0,1] row_mask:0xf bank_mask:0xf
	v_add_f32_e32 v10, v10, v11
	s_nop 1
	v_mov_b32_dpp v11, v10 row_half_mirror row_mask:0xf bank_mask:0xf
	v_add_f32_e32 v10, v10, v11
	s_nop 1
	v_mov_b32_dpp v11, v10 row_mirror row_mask:0xf bank_mask:0xf
	v_add_f32_e32 v10, v10, v11
	s_nop 1
	v_mov_b32_dpp v11, v10 row_bcast:15 row_mask:0xf bank_mask:0xf
	v_add_f32_e32 v10, v10, v11
	s_nop 1
	v_mov_b32_dpp v11, v10 row_bcast:31 row_mask:0xf bank_mask:0xf
	s_and_saveexec_b64 s[8:9], s[0:1]
	s_cbranch_execz .LBB1021_7
; %bb.6:
	v_add_f32_e32 v10, v10, v11
	v_lshrrev_b32_e32 v11, 4, v0
	v_and_b32_e32 v11, 60, v11
	ds_write_b32 v11, v10 offset:32
.LBB1021_7:
	s_or_b64 exec, exec, s[8:9]
	v_and_b32_e32 v10, 7, v0
	v_lshlrev_b32_e32 v34, 2, v10
	s_waitcnt lgkmcnt(0)
	s_barrier
	ds_read_b32 v10, v34 offset:32
	s_load_dwordx2 s[28:29], s[4:5], 0x18
	s_waitcnt lgkmcnt(0)
	v_mov_b32_dpp v11, v10 quad_perm:[1,0,3,2] row_mask:0xf bank_mask:0xf
	v_add_f32_e32 v10, v10, v11
	s_nop 1
	v_mov_b32_dpp v11, v10 quad_perm:[2,3,0,1] row_mask:0xf bank_mask:0xf
	v_add_f32_e32 v10, v10, v11
	s_nop 1
	v_mov_b32_dpp v11, v10 row_half_mirror row_mask:0xf bank_mask:0xf
	s_and_saveexec_b64 s[8:9], s[2:3]
	s_cbranch_execz .LBB1021_9
; %bb.8:
	v_cvt_f32_u32_e32 v12, s7
	v_add_f32_e32 v10, v10, v11
	v_mov_b32_e32 v14, s17
	v_mov_b32_e32 v15, s16
	v_div_scale_f32 v11, s[24:25], v12, v12, v10
	v_rcp_f32_e32 v13, v11
	v_cndmask_b32_e32 v14, v14, v15, vcc
	s_mov_b32 s7, 0x800000
	s_waitcnt vmcnt(1)
	v_cvt_f32_f16_sdwa v37, v9 dst_sel:DWORD dst_unused:UNUSED_PAD src0_sel:WORD_1
	v_fma_f32 v15, -v11, v13, 1.0
	v_fmac_f32_e32 v13, v15, v13
	v_div_scale_f32 v15, vcc, v10, v12, v10
	v_mul_f32_e32 v16, v15, v13
	v_fma_f32 v17, -v11, v16, v15
	v_fmac_f32_e32 v16, v17, v13
	v_fma_f32 v11, -v11, v16, v15
	v_div_fmas_f32 v11, v11, v13, v16
	v_div_fixup_f32 v10, v11, v12, v10
	v_add_f32_e32 v10, v14, v10
	v_mul_f32_e32 v11, 0x4b800000, v10
	v_cmp_gt_f32_e32 vcc, s7, v10
	v_cndmask_b32_e32 v10, v10, v11, vcc
	v_rsq_f32_e32 v10, v10
	v_cvt_f32_f16_e32 v36, v9
	s_waitcnt vmcnt(0)
	v_cvt_f32_f16_sdwa v9, v3 dst_sel:DWORD dst_unused:UNUSED_PAD src0_sel:WORD_1
	v_mul_f32_e32 v11, 0x45800000, v10
	v_cndmask_b32_e32 v10, v10, v11, vcc
	v_mov_b32_e32 v11, v10
	;;#ASMSTART
	v_pk_mul_f32 v[12:13], v[18:19], v[10:11]
	;;#ASMEND
	;;#ASMSTART
	v_pk_mul_f32 v[14:15], v[32:33], v[10:11]
	;;#ASMEND
	;;#ASMSTART
	v_pk_mul_f32 v[16:17], v[26:27], v[10:11]
	;;#ASMEND
	;;#ASMSTART
	v_pk_mul_f32 v[24:25], v[24:25], v[10:11]
	;;#ASMEND
	;;#ASMSTART
	v_pk_mul_f32 v[30:31], v[30:31], v[10:11]
	;;#ASMEND
	;;#ASMSTART
	v_pk_mul_f32 v[28:29], v[28:29], v[10:11]
	;;#ASMEND
	;;#ASMSTART
	v_pk_mul_f32 v[22:23], v[22:23], v[10:11]
	;;#ASMEND
	;;#ASMSTART
	v_pk_mul_f32 v[10:11], v[20:21], v[10:11]
	;;#ASMEND
	v_cvt_f32_f16_sdwa v19, v6 dst_sel:DWORD dst_unused:UNUSED_PAD src0_sel:WORD_1
	v_cvt_f32_f16_e32 v18, v6
	v_cvt_f32_f16_sdwa v21, v7 dst_sel:DWORD dst_unused:UNUSED_PAD src0_sel:WORD_1
	v_cvt_f32_f16_e32 v20, v7
	v_cvt_f32_f16_sdwa v7, v8 dst_sel:DWORD dst_unused:UNUSED_PAD src0_sel:WORD_1
	v_cvt_f32_f16_e32 v6, v8
	;;#ASMSTART
	v_pk_mul_f32 v[18:19], v[12:13], v[18:19]
	;;#ASMEND
	;;#ASMSTART
	v_pk_mul_f32 v[32:33], v[14:15], v[20:21]
	;;#ASMEND
	;; [unrolled: 3-line block ×4, first 2 shown]
	v_cvt_f32_f16_sdwa v7, v2 dst_sel:DWORD dst_unused:UNUSED_PAD src0_sel:WORD_1
	v_cvt_f32_f16_e32 v6, v2
	v_cvt_f32_f16_e32 v8, v3
	v_cvt_f32_f16_sdwa v3, v4 dst_sel:DWORD dst_unused:UNUSED_PAD src0_sel:WORD_1
	v_cvt_f32_f16_e32 v2, v4
	v_cvt_f32_f16_sdwa v13, v5 dst_sel:DWORD dst_unused:UNUSED_PAD src0_sel:WORD_1
	v_cvt_f32_f16_e32 v12, v5
	;;#ASMSTART
	v_pk_mul_f32 v[30:31], v[30:31], v[6:7]
	;;#ASMEND
	;;#ASMSTART
	v_pk_mul_f32 v[28:29], v[28:29], v[8:9]
	;;#ASMEND
	;; [unrolled: 3-line block ×4, first 2 shown]
.LBB1021_9:
	s_or_b64 exec, exec, s[8:9]
	s_load_dword s7, s[4:5], 0x80
	s_mov_b64 s[8:9], -1
	s_and_b64 vcc, exec, s[14:15]
	s_cbranch_vccnz .LBB1021_13
; %bb.10:
	s_andn2_b64 vcc, exec, s[8:9]
	s_cbranch_vccz .LBB1021_16
.LBB1021_11:
	s_cmp_lt_i32 s20, 1
	s_cbranch_scc0 .LBB1021_25
.LBB1021_12:
	s_endpgm
.LBB1021_13:
	s_and_saveexec_b64 s[14:15], s[2:3]
	s_cbranch_execz .LBB1021_15
; %bb.14:
	s_waitcnt lgkmcnt(0)
	s_mul_hi_i32 s9, s7, s6
	s_mul_i32 s8, s7, s6
	s_waitcnt vmcnt(0)
	v_cvt_f16_f32_e32 v2, v18
	v_cvt_f16_f32_e32 v3, v32
	;; [unrolled: 1-line block ×8, first 2 shown]
	s_lshl_b64 s[8:9], s[8:9], 1
	s_add_u32 s8, s28, s8
	s_addc_u32 s9, s29, s9
	s_and_b32 s9, s9, 0xffff
	s_mov_b32 s11, 0x20000
	v_pack_b32_f16 v5, v5, v6
	v_pack_b32_f16 v4, v4, v7
	;; [unrolled: 1-line block ×4, first 2 shown]
	v_lshlrev_b32_e32 v6, 5, v0
	buffer_store_dwordx4 v[2:5], v6, s[8:11], 0 offen
	v_cvt_f16_f32_e32 v7, v21
	v_cvt_f16_f32_e32 v2, v30
	;; [unrolled: 1-line block ×8, first 2 shown]
	v_pack_b32_f16 v5, v5, v7
	v_pack_b32_f16 v4, v4, v8
	;; [unrolled: 1-line block ×4, first 2 shown]
	;;#ASMSTART
	s_nop 0
	;;#ASMEND
	buffer_store_dwordx4 v[2:5], v6, s[8:11], 16 offen
	;;#ASMSTART
	s_nop 0
	;;#ASMEND
.LBB1021_15:
	s_or_b64 exec, exec, s[14:15]
	s_cbranch_execnz .LBB1021_11
.LBB1021_16:
	s_load_dwordx4 s[24:27], s[4:5], 0x70
	s_waitcnt vmcnt(0)
	v_mov_b32_e32 v2, 0
	s_and_saveexec_b64 s[14:15], s[2:3]
	s_cbranch_execz .LBB1021_18
; %bb.17:
	s_load_dwordx2 s[8:9], s[4:5], 0x10
	s_waitcnt lgkmcnt(0)
	s_mul_hi_i32 s35, s27, s6
	s_mul_i32 s34, s27, s6
	v_cvt_f16_f32_e32 v2, v18
	v_cvt_f16_f32_e32 v3, v32
	;; [unrolled: 1-line block ×8, first 2 shown]
	s_lshl_b64 s[34:35], s[34:35], 1
	s_add_u32 s8, s8, s34
	s_addc_u32 s9, s9, s35
	s_mov_b32 s11, 0x20000
	s_and_b32 s9, s9, 0xffff
	v_pack_b32_f16 v5, v5, v6
	v_pack_b32_f16 v4, v4, v7
	;; [unrolled: 1-line block ×4, first 2 shown]
	v_lshlrev_b32_e32 v6, 5, v0
	buffer_store_dwordx4 v[2:5], v6, s[8:11], 0 offen
	v_cvt_f16_f32_e32 v7, v21
	v_cvt_f16_f32_e32 v2, v30
	;; [unrolled: 1-line block ×8, first 2 shown]
	v_pack_b32_f16 v5, v5, v7
	v_pack_b32_f16 v4, v4, v8
	;; [unrolled: 1-line block ×4, first 2 shown]
	;;#ASMSTART
	s_nop 0
	;;#ASMEND
	buffer_store_dwordx4 v[2:5], v6, s[8:11], 16 offen
	;;#ASMSTART
	s_nop 0
	;;#ASMEND
	s_nop 0
	v_mov_b32_e32 v2, 0x2edbe6ff
.LBB1021_18:
	s_or_b64 exec, exec, s[14:15]
	s_and_saveexec_b64 s[8:9], s[2:3]
	s_cbranch_execz .LBB1021_20
; %bb.19:
	v_and_b32_e32 v3, 0x7fffffff, v18
	v_and_b32_e32 v4, 0x7fffffff, v19
	;;#ASMSTART
	v_max3_f32 v2, v2, v3, v4

	;;#ASMEND
	v_and_b32_e32 v3, 0x7fffffff, v32
	v_and_b32_e32 v4, 0x7fffffff, v33
	;;#ASMSTART
	v_max3_f32 v2, v2, v3, v4

	;;#ASMEND
	;; [unrolled: 6-line block ×8, first 2 shown]
.LBB1021_20:
	s_or_b64 exec, exec, s[8:9]
	;;#ASMSTART
	v_max_f32 v3, v2, v2 quad_perm:[1,0,3,2] row_mask:0xf bank_mask:0xf bound_ctrl:1
	;;#ASMEND
	v_mul_f32_e32 v2, 0x3b124925, v3
	v_and_b32_e32 v3, 1, v0
	v_cmp_eq_u32_e32 vcc, 0, v3
	v_cmp_gt_i32_e64 s[8:9], s19, v1
	s_and_b64 s[10:11], vcc, s[8:9]
	s_and_saveexec_b64 s[8:9], s[10:11]
	s_cbranch_execz .LBB1021_22
; %bb.21:
	s_load_dwordx2 s[10:11], s[4:5], 0x8
	s_waitcnt lgkmcnt(0)
	s_mul_hi_i32 s15, s25, s6
	s_mul_i32 s14, s25, s6
	v_lshrrev_b32_e32 v3, 1, v0
	s_lshl_b64 s[14:15], s[14:15], 2
	v_mad_i64_i32 v[4:5], s[26:27], s26, v3, 0
	s_add_u32 s10, s10, s14
	s_addc_u32 s11, s11, s15
	v_lshlrev_b64 v[4:5], 2, v[4:5]
	v_mov_b32_e32 v3, s11
	v_add_co_u32_e32 v4, vcc, s10, v4
	v_addc_co_u32_e32 v5, vcc, v3, v5, vcc
	global_store_dword v[4:5], v2, off
.LBB1021_22:
	s_or_b64 exec, exec, s[8:9]
	;;#ASMSTART
	v_rcp_f32 v2, v2
	;;#ASMEND
	s_and_saveexec_b64 s[14:15], s[2:3]
	s_cbranch_execz .LBB1021_24
; %bb.23:
	s_load_dwordx2 s[2:3], s[4:5], 0x0
	s_waitcnt lgkmcnt(0)
	s_mul_i32 s8, s24, s6
	s_mul_hi_i32 s9, s24, s6
	v_mov_b32_e32 v3, v2
	;;#ASMSTART
	v_pk_mul_f32 v[4:5], v[18:19], v[2:3]
	;;#ASMEND
	s_add_u32 s8, s2, s8
	s_addc_u32 s2, s3, s9
	s_add_i32 s3, s19, 3
	s_ashr_i32 s10, s3, 31
	v_mov_b32_e32 v10, 0xc3e00000
	v_mov_b32_e32 v11, 0x43e00000
	;;#ASMSTART
	v_med3_f32 v4, v4, v10, v11
v_med3_f32 v5, v5, v10, v11
v_cvt_pk_fp8_f32 v6, v4, v5
	;;#ASMEND
	s_and_b32 s9, s2, 0xffff
	s_lshr_b32 s2, s10, 30
	;;#ASMSTART
	v_pk_mul_f32 v[4:5], v[32:33], v[2:3]
	;;#ASMEND
	s_add_i32 s3, s3, s2
	;;#ASMSTART
	v_med3_f32 v4, v4, v10, v11
v_med3_f32 v5, v5, v10, v11
v_cvt_pk_fp8_f32 v7, v4, v5
	;;#ASMEND
	s_mov_b32 s2, 0x5040100
	v_perm_b32 v4, v7, v6, s2
	s_mov_b32 s2, 0x1060504
	v_perm_b32 v4, v4, v7, s2
	;;#ASMSTART
	v_pk_mul_f32 v[6:7], v[26:27], v[2:3]
	;;#ASMEND
	v_mov_b32_e32 v5, v6
	;;#ASMSTART
	v_med3_f32 v5, v5, v10, v11
v_med3_f32 v7, v7, v10, v11
v_cvt_pk_fp8_f32 v8, v5, v7
	;;#ASMEND
	;;#ASMSTART
	v_pk_mul_f32 v[6:7], v[24:25], v[2:3]
	;;#ASMEND
	v_mov_b32_e32 v5, v7
	;;#ASMSTART
	v_med3_f32 v6, v6, v10, v11
v_med3_f32 v5, v5, v10, v11
v_cvt_pk_fp8_f32 v7, v6, v5
	;;#ASMEND
	s_mov_b32 s2, 0x1000504
	v_perm_b32 v5, v8, v7, s2
	;;#ASMSTART
	v_pk_mul_f32 v[6:7], v[30:31], v[2:3]
	;;#ASMEND
	;;#ASMSTART
	v_med3_f32 v6, v6, v10, v11
v_med3_f32 v7, v7, v10, v11
v_cvt_pk_fp8_f32 v8, v6, v7
	;;#ASMEND
	;;#ASMSTART
	v_pk_mul_f32 v[6:7], v[28:29], v[2:3]
	;;#ASMEND
	;;#ASMSTART
	v_med3_f32 v6, v6, v10, v11
v_med3_f32 v7, v7, v10, v11
v_cvt_pk_fp8_f32 v9, v6, v7
	;;#ASMEND
	v_perm_b32 v6, v8, v9, s2
	;;#ASMSTART
	v_pk_mul_f32 v[8:9], v[22:23], v[2:3]
	;;#ASMEND
	v_mov_b32_e32 v7, v8
	;;#ASMSTART
	v_med3_f32 v7, v7, v10, v11
v_med3_f32 v9, v9, v10, v11
v_cvt_pk_fp8_f32 v8, v7, v9
	;;#ASMEND
	;;#ASMSTART
	v_pk_mul_f32 v[2:3], v[20:21], v[2:3]
	;;#ASMEND
	;;#ASMSTART
	v_med3_f32 v2, v2, v10, v11
v_med3_f32 v3, v3, v10, v11
v_cvt_pk_fp8_f32 v7, v2, v3
	;;#ASMEND
	s_and_b32 s10, s3, -4
	s_mov_b32 s11, 0x20000
	v_perm_b32 v7, v8, v7, s2
	buffer_store_dwordx4 v[4:7], v1, s[8:11], 0 offen
	;;#ASMSTART
	s_nop 0
	;;#ASMEND
.LBB1021_24:
	s_or_b64 exec, exec, s[14:15]
	s_cmp_lt_i32 s20, 1
	s_cbranch_scc1 .LBB1021_12
.LBB1021_25:
	s_load_dword s2, s[4:5], 0x94
	s_waitcnt lgkmcnt(0)
	s_cmp_lg_u32 s2, 1
	s_cbranch_scc1 .LBB1021_12
; %bb.26:
	s_lshl_b32 s2, s20, 1
	s_add_i32 s2, s2, 2
	v_cmp_gt_u32_e32 vcc, s20, v1
	s_and_b32 s14, s2, -4
	v_mov_b32_e32 v18, 0
	v_lshlrev_b32_e32 v1, 5, v0
	v_mov_b32_e32 v14, 0
	v_mov_b32_e32 v15, 0
	;; [unrolled: 1-line block ×8, first 2 shown]
	s_waitcnt vmcnt(1)
	v_mov_b32_e32 v6, 0
	v_mov_b32_e32 v7, 0
	;; [unrolled: 1-line block ×4, first 2 shown]
	s_waitcnt vmcnt(0)
	v_mov_b32_e32 v2, 0
	v_mov_b32_e32 v3, 0
	;; [unrolled: 1-line block ×4, first 2 shown]
	s_barrier
	s_and_saveexec_b64 s[2:3], vcc
	s_cbranch_execz .LBB1021_28
; %bb.27:
	s_mul_hi_i32 s5, s22, s6
	s_mul_i32 s4, s22, s6
	s_and_b32 s13, s13, 0xffff
	s_lshl_b64 s[4:5], s[4:5], 1
	s_add_u32 s8, s30, s4
	s_mov_b32 s15, 0x20000
	s_addc_u32 s4, s31, s5
	s_and_b32 s9, s4, 0xffff
	s_mov_b32 s10, s14
	s_mov_b32 s11, s15
	buffer_load_dwordx4 v[14:17], v1, s[8:11], 0 offen
	buffer_load_dwordx4 v[10:13], v1, s[8:11], 16 offen
	;; [unrolled: 1-line block ×4, first 2 shown]
.LBB1021_28:
	s_or_b64 exec, exec, s[2:3]
	v_mov_b32_e32 v19, 0
	v_mov_b32_e32 v32, 0
	;; [unrolled: 1-line block ×15, first 2 shown]
	s_and_saveexec_b64 s[2:3], vcc
	s_cbranch_execz .LBB1021_30
; %bb.29:
	s_waitcnt vmcnt(3)
	v_cvt_f32_f16_sdwa v19, v14 dst_sel:DWORD dst_unused:UNUSED_PAD src0_sel:WORD_1
	v_cvt_f32_f16_e32 v18, v14
	v_cvt_f32_f16_sdwa v33, v15 dst_sel:DWORD dst_unused:UNUSED_PAD src0_sel:WORD_1
	v_cvt_f32_f16_e32 v32, v15
	;; [unrolled: 2-line block ×4, first 2 shown]
	s_waitcnt vmcnt(2)
	v_cvt_f32_f16_sdwa v27, v10 dst_sel:DWORD dst_unused:UNUSED_PAD src0_sel:WORD_1
	v_cvt_f32_f16_e32 v26, v10
	v_cvt_f32_f16_sdwa v25, v11 dst_sel:DWORD dst_unused:UNUSED_PAD src0_sel:WORD_1
	v_cvt_f32_f16_e32 v24, v11
	;; [unrolled: 2-line block ×4, first 2 shown]
.LBB1021_30:
	s_or_b64 exec, exec, s[2:3]
	s_waitcnt vmcnt(2)
	v_mul_f32_e32 v10, v19, v19
	v_fmac_f32_e32 v10, v18, v18
	v_fmac_f32_e32 v10, v32, v32
	;; [unrolled: 1-line block ×15, first 2 shown]
	s_nop 1
	v_mov_b32_dpp v11, v10 quad_perm:[1,0,3,2] row_mask:0xf bank_mask:0xf
	v_add_f32_e32 v10, v10, v11
	s_nop 1
	v_mov_b32_dpp v11, v10 quad_perm:[2,3,0,1] row_mask:0xf bank_mask:0xf
	v_add_f32_e32 v10, v10, v11
	s_nop 1
	v_mov_b32_dpp v11, v10 row_half_mirror row_mask:0xf bank_mask:0xf
	v_add_f32_e32 v10, v10, v11
	s_nop 1
	v_mov_b32_dpp v11, v10 row_mirror row_mask:0xf bank_mask:0xf
	v_add_f32_e32 v10, v10, v11
	s_nop 1
	v_mov_b32_dpp v11, v10 row_bcast:15 row_mask:0xf bank_mask:0xf
	v_add_f32_e32 v10, v10, v11
	s_nop 1
	v_mov_b32_dpp v11, v10 row_bcast:31 row_mask:0xf bank_mask:0xf
	s_and_saveexec_b64 s[2:3], s[0:1]
	s_cbranch_execz .LBB1021_32
; %bb.31:
	v_lshrrev_b32_e32 v0, 4, v0
	v_add_f32_e32 v10, v10, v11
	v_and_b32_e32 v0, 60, v0
	ds_write_b32 v0, v10
.LBB1021_32:
	s_or_b64 exec, exec, s[2:3]
	s_waitcnt lgkmcnt(0)
	s_barrier
	ds_read_b32 v0, v34
	s_waitcnt lgkmcnt(0)
	s_nop 0
	v_mov_b32_dpp v10, v0 quad_perm:[1,0,3,2] row_mask:0xf bank_mask:0xf
	v_add_f32_e32 v0, v0, v10
	s_nop 1
	v_mov_b32_dpp v10, v0 quad_perm:[2,3,0,1] row_mask:0xf bank_mask:0xf
	v_add_f32_e32 v0, v0, v10
	s_nop 1
	v_mov_b32_dpp v10, v0 row_half_mirror row_mask:0xf bank_mask:0xf
	s_and_saveexec_b64 s[0:1], vcc
	s_cbranch_execz .LBB1021_12
; %bb.33:
	v_cvt_f32_u32_e32 v11, s20
	v_add_f32_e32 v0, v0, v10
	s_mov_b32 s15, 0x20000
	v_div_scale_f32 v10, s[0:1], v11, v11, v0
	v_rcp_f32_e32 v12, v10
	v_div_scale_f32 v13, vcc, v0, v11, v0
	s_mov_b32 s0, 0x800000
	v_fma_f32 v14, -v10, v12, 1.0
	v_fmac_f32_e32 v12, v14, v12
	v_mul_f32_e32 v14, v13, v12
	v_fma_f32 v15, -v10, v14, v13
	v_fmac_f32_e32 v14, v15, v12
	v_fma_f32 v10, -v10, v14, v13
	v_div_fmas_f32 v10, v10, v12, v14
	v_div_fixup_f32 v0, v10, v11, v0
	v_add_f32_e32 v0, s17, v0
	v_mul_f32_e32 v10, 0x4b800000, v0
	v_cmp_gt_f32_e32 vcc, s0, v0
	v_cndmask_b32_e32 v0, v0, v10, vcc
	v_rsq_f32_e32 v0, v0
	s_mul_hi_i32 s1, s7, s6
	s_mul_i32 s0, s7, s6
	s_lshl_b64 s[0:1], s[0:1], 1
	v_mul_f32_e32 v10, 0x45800000, v0
	v_cndmask_b32_e32 v10, v0, v10, vcc
	v_mov_b32_e32 v11, v10
	;;#ASMSTART
	v_pk_mul_f32 v[12:13], v[18:19], v[10:11]
	;;#ASMEND
	;;#ASMSTART
	v_pk_mul_f32 v[14:15], v[32:33], v[10:11]
	;;#ASMEND
	;; [unrolled: 3-line block ×8, first 2 shown]
	s_waitcnt vmcnt(1)
	v_cvt_f32_f16_sdwa v21, v6 dst_sel:DWORD dst_unused:UNUSED_PAD src0_sel:WORD_1
	v_cvt_f32_f16_e32 v20, v6
	v_cvt_f32_f16_sdwa v29, v7 dst_sel:DWORD dst_unused:UNUSED_PAD src0_sel:WORD_1
	v_cvt_f32_f16_e32 v28, v7
	;; [unrolled: 2-line block ×4, first 2 shown]
	;;#ASMSTART
	v_pk_mul_f32 v[8:9], v[12:13], v[20:21]
	;;#ASMEND
	;;#ASMSTART
	v_pk_mul_f32 v[12:13], v[14:15], v[28:29]
	;;#ASMEND
	;; [unrolled: 3-line block ×4, first 2 shown]
	s_waitcnt vmcnt(0)
	v_cvt_f32_f16_sdwa v17, v2 dst_sel:DWORD dst_unused:UNUSED_PAD src0_sel:WORD_1
	v_cvt_f32_f16_e32 v16, v2
	v_cvt_f32_f16_sdwa v19, v3 dst_sel:DWORD dst_unused:UNUSED_PAD src0_sel:WORD_1
	v_cvt_f32_f16_e32 v18, v3
	;; [unrolled: 2-line block ×4, first 2 shown]
	;;#ASMSTART
	v_pk_mul_f32 v[16:17], v[26:27], v[16:17]
	;;#ASMEND
	;;#ASMSTART
	v_pk_mul_f32 v[18:19], v[24:25], v[18:19]
	;;#ASMEND
	;; [unrolled: 3-line block ×3, first 2 shown]
	v_cvt_f16_f32_e32 v0, v8
	v_cvt_f16_f32_e32 v2, v9
	;; [unrolled: 1-line block ×8, first 2 shown]
	s_add_u32 s12, s28, s0
	s_addc_u32 s0, s29, s1
	s_and_b32 s13, s0, 0xffff
	v_pack_b32_f16 v2, v0, v2
	v_pack_b32_f16 v3, v3, v4
	;; [unrolled: 1-line block ×4, first 2 shown]
	;;#ASMSTART
	v_pk_mul_f32 v[10:11], v[10:11], v[20:21]
	;;#ASMEND
	buffer_store_dwordx4 v[2:5], v1, s[12:15], 0 offen
	v_cvt_f16_f32_e32 v0, v16
	v_cvt_f16_f32_e32 v2, v17
	;; [unrolled: 1-line block ×8, first 2 shown]
	v_pack_b32_f16 v2, v0, v2
	v_pack_b32_f16 v3, v3, v4
	;; [unrolled: 1-line block ×4, first 2 shown]
	;;#ASMSTART
	s_nop 0
	;;#ASMEND
	buffer_store_dwordx4 v[2:5], v1, s[12:15], 16 offen
	;;#ASMSTART
	s_nop 0
	;;#ASMEND
	s_endpgm
	.section	.rodata,"a",@progbits
	.p2align	6, 0x0
	.amdhsa_kernel _ZN5aiter35fused_qk_rmsnorm_group_quant_kernelIDF16_DB8_Li512ELi16ELi2ELb0ELb1ELb0ELb0ELb0ELb0EEEvPT0_PvPT_S6_S6_PKS5_S8_S8_S8_S8_ffiiiiiiiiiiiii
		.amdhsa_group_segment_fixed_size 64
		.amdhsa_private_segment_fixed_size 0
		.amdhsa_kernarg_size 400
		.amdhsa_user_sgpr_count 6
		.amdhsa_user_sgpr_private_segment_buffer 1
		.amdhsa_user_sgpr_dispatch_ptr 0
		.amdhsa_user_sgpr_queue_ptr 0
		.amdhsa_user_sgpr_kernarg_segment_ptr 1
		.amdhsa_user_sgpr_dispatch_id 0
		.amdhsa_user_sgpr_flat_scratch_init 0
		.amdhsa_user_sgpr_kernarg_preload_length 0
		.amdhsa_user_sgpr_kernarg_preload_offset 0
		.amdhsa_user_sgpr_private_segment_size 0
		.amdhsa_uses_dynamic_stack 0
		.amdhsa_system_sgpr_private_segment_wavefront_offset 0
		.amdhsa_system_sgpr_workgroup_id_x 1
		.amdhsa_system_sgpr_workgroup_id_y 1
		.amdhsa_system_sgpr_workgroup_id_z 0
		.amdhsa_system_sgpr_workgroup_info 0
		.amdhsa_system_vgpr_workitem_id 0
		.amdhsa_next_free_vgpr 38
		.amdhsa_next_free_sgpr 36
		.amdhsa_accum_offset 40
		.amdhsa_reserve_vcc 1
		.amdhsa_reserve_flat_scratch 0
		.amdhsa_float_round_mode_32 0
		.amdhsa_float_round_mode_16_64 0
		.amdhsa_float_denorm_mode_32 3
		.amdhsa_float_denorm_mode_16_64 3
		.amdhsa_dx10_clamp 1
		.amdhsa_ieee_mode 1
		.amdhsa_fp16_overflow 0
		.amdhsa_tg_split 0
		.amdhsa_exception_fp_ieee_invalid_op 0
		.amdhsa_exception_fp_denorm_src 0
		.amdhsa_exception_fp_ieee_div_zero 0
		.amdhsa_exception_fp_ieee_overflow 0
		.amdhsa_exception_fp_ieee_underflow 0
		.amdhsa_exception_fp_ieee_inexact 0
		.amdhsa_exception_int_div_zero 0
	.end_amdhsa_kernel
	.section	.text._ZN5aiter35fused_qk_rmsnorm_group_quant_kernelIDF16_DB8_Li512ELi16ELi2ELb0ELb1ELb0ELb0ELb0ELb0EEEvPT0_PvPT_S6_S6_PKS5_S8_S8_S8_S8_ffiiiiiiiiiiiii,"axG",@progbits,_ZN5aiter35fused_qk_rmsnorm_group_quant_kernelIDF16_DB8_Li512ELi16ELi2ELb0ELb1ELb0ELb0ELb0ELb0EEEvPT0_PvPT_S6_S6_PKS5_S8_S8_S8_S8_ffiiiiiiiiiiiii,comdat
.Lfunc_end1021:
	.size	_ZN5aiter35fused_qk_rmsnorm_group_quant_kernelIDF16_DB8_Li512ELi16ELi2ELb0ELb1ELb0ELb0ELb0ELb0EEEvPT0_PvPT_S6_S6_PKS5_S8_S8_S8_S8_ffiiiiiiiiiiiii, .Lfunc_end1021-_ZN5aiter35fused_qk_rmsnorm_group_quant_kernelIDF16_DB8_Li512ELi16ELi2ELb0ELb1ELb0ELb0ELb0ELb0EEEvPT0_PvPT_S6_S6_PKS5_S8_S8_S8_S8_ffiiiiiiiiiiiii
                                        ; -- End function
	.section	.AMDGPU.csdata,"",@progbits
; Kernel info:
; codeLenInByte = 3672
; NumSgprs: 40
; NumVgprs: 38
; NumAgprs: 0
; TotalNumVgprs: 38
; ScratchSize: 0
; MemoryBound: 0
; FloatMode: 240
; IeeeMode: 1
; LDSByteSize: 64 bytes/workgroup (compile time only)
; SGPRBlocks: 4
; VGPRBlocks: 4
; NumSGPRsForWavesPerEU: 40
; NumVGPRsForWavesPerEU: 38
; AccumOffset: 40
; Occupancy: 8
; WaveLimiterHint : 0
; COMPUTE_PGM_RSRC2:SCRATCH_EN: 0
; COMPUTE_PGM_RSRC2:USER_SGPR: 6
; COMPUTE_PGM_RSRC2:TRAP_HANDLER: 0
; COMPUTE_PGM_RSRC2:TGID_X_EN: 1
; COMPUTE_PGM_RSRC2:TGID_Y_EN: 1
; COMPUTE_PGM_RSRC2:TGID_Z_EN: 0
; COMPUTE_PGM_RSRC2:TIDIG_COMP_CNT: 0
; COMPUTE_PGM_RSRC3_GFX90A:ACCUM_OFFSET: 9
; COMPUTE_PGM_RSRC3_GFX90A:TG_SPLIT: 0
	.section	.text._ZN5aiter35fused_qk_rmsnorm_group_quant_kernelItDB8_Li512ELi16ELi2ELb0ELb1ELb0ELb0ELb0ELb0EEEvPT0_PvPT_S6_S6_PKS5_S8_S8_S8_S8_ffiiiiiiiiiiiii,"axG",@progbits,_ZN5aiter35fused_qk_rmsnorm_group_quant_kernelItDB8_Li512ELi16ELi2ELb0ELb1ELb0ELb0ELb0ELb0EEEvPT0_PvPT_S6_S6_PKS5_S8_S8_S8_S8_ffiiiiiiiiiiiii,comdat
	.protected	_ZN5aiter35fused_qk_rmsnorm_group_quant_kernelItDB8_Li512ELi16ELi2ELb0ELb1ELb0ELb0ELb0ELb0EEEvPT0_PvPT_S6_S6_PKS5_S8_S8_S8_S8_ffiiiiiiiiiiiii ; -- Begin function _ZN5aiter35fused_qk_rmsnorm_group_quant_kernelItDB8_Li512ELi16ELi2ELb0ELb1ELb0ELb0ELb0ELb0EEEvPT0_PvPT_S6_S6_PKS5_S8_S8_S8_S8_ffiiiiiiiiiiiii
	.globl	_ZN5aiter35fused_qk_rmsnorm_group_quant_kernelItDB8_Li512ELi16ELi2ELb0ELb1ELb0ELb0ELb0ELb0EEEvPT0_PvPT_S6_S6_PKS5_S8_S8_S8_S8_ffiiiiiiiiiiiii
	.p2align	8
	.type	_ZN5aiter35fused_qk_rmsnorm_group_quant_kernelItDB8_Li512ELi16ELi2ELb0ELb1ELb0ELb0ELb0ELb0EEEvPT0_PvPT_S6_S6_PKS5_S8_S8_S8_S8_ffiiiiiiiiiiiii,@function
_ZN5aiter35fused_qk_rmsnorm_group_quant_kernelItDB8_Li512ELi16ELi2ELb0ELb1ELb0ELb0ELb0ELb0EEEvPT0_PvPT_S6_S6_PKS5_S8_S8_S8_S8_ffiiiiiiiiiiiii: ; @_ZN5aiter35fused_qk_rmsnorm_group_quant_kernelItDB8_Li512ELi16ELi2ELb0ELb1ELb0ELb0ELb0ELb0EEEvPT0_PvPT_S6_S6_PKS5_S8_S8_S8_S8_ffiiiiiiiiiiiii
; %bb.0:
	s_load_dwordx4 s[16:19], s[4:5], 0x50
	s_waitcnt lgkmcnt(0)
	s_cmp_ge_i32 s6, s18
	s_cbranch_scc1 .LBB1022_12
; %bb.1:
	s_load_dwordx2 s[12:13], s[4:5], 0x48
	s_load_dwordx2 s[30:31], s[4:5], 0x30
	s_load_dwordx4 s[20:23], s[4:5], 0x60
	s_cmp_lg_u32 s7, 0
	s_cselect_b64 s[14:15], -1, 0
	s_cmp_eq_u32 s7, 0
	s_cselect_b64 vcc, -1, 0
	s_and_b64 s[0:1], vcc, exec
	s_waitcnt lgkmcnt(0)
	s_cselect_b32 s7, s19, s20
	s_add_i32 s0, s7, 1
	s_lshr_b32 s1, s0, 31
	s_add_i32 s0, s0, s1
	s_lshl_b32 s0, s0, 1
	v_lshlrev_b32_e32 v1, 4, v0
	s_and_b32 s10, s0, -4
	v_cmp_gt_i32_e64 s[2:3], s7, v1
	v_mov_b32_e32 v18, 0
	v_mov_b32_e32 v6, 0
	;; [unrolled: 1-line block ×17, first 2 shown]
	s_and_saveexec_b64 s[0:1], s[2:3]
	s_cbranch_execz .LBB1022_3
; %bb.2:
	s_load_dwordx2 s[8:9], s[4:5], 0x28
	s_load_dwordx2 s[26:27], s[4:5], 0x40
	s_and_b64 s[24:25], vcc, exec
	s_cselect_b32 s11, s21, s22
	v_lshlrev_b32_e32 v19, 5, v0
	s_waitcnt lgkmcnt(0)
	s_cselect_b32 s18, s9, s31
	s_cselect_b32 s21, s8, s30
	s_mul_hi_i32 s9, s11, s6
	s_mul_i32 s8, s11, s6
	s_lshl_b64 s[8:9], s[8:9], 1
	s_add_u32 s24, s21, s8
	s_addc_u32 s18, s18, s9
	s_and_b64 s[8:9], vcc, exec
	s_mov_b32 s11, 0x20000
	s_cselect_b32 s8, s26, s12
	s_cselect_b32 s9, s27, s13
	s_and_b32 s25, s18, 0xffff
	s_mov_b32 s26, s10
	s_mov_b32 s27, s11
	s_and_b32 s9, s9, 0xffff
	buffer_load_dwordx4 v[14:17], v19, s[24:27], 0 offen
	buffer_load_dwordx4 v[10:13], v19, s[24:27], 16 offen
	;; [unrolled: 1-line block ×4, first 2 shown]
.LBB1022_3:
	s_or_b64 exec, exec, s[0:1]
	v_mov_b32_e32 v19, 0
	v_mov_b32_e32 v32, 0
	;; [unrolled: 1-line block ×15, first 2 shown]
	s_and_saveexec_b64 s[0:1], s[2:3]
	s_cbranch_execz .LBB1022_5
; %bb.4:
	s_waitcnt vmcnt(3)
	v_cvt_f32_u32_sdwa v18, v14 dst_sel:DWORD dst_unused:UNUSED_PAD src0_sel:WORD_0
	v_cvt_f32_u32_sdwa v19, v14 dst_sel:DWORD dst_unused:UNUSED_PAD src0_sel:WORD_1
	v_cvt_f32_u32_sdwa v32, v15 dst_sel:DWORD dst_unused:UNUSED_PAD src0_sel:WORD_0
	v_cvt_f32_u32_sdwa v33, v15 dst_sel:DWORD dst_unused:UNUSED_PAD src0_sel:WORD_1
	;; [unrolled: 2-line block ×4, first 2 shown]
	s_waitcnt vmcnt(2)
	v_cvt_f32_u32_sdwa v30, v10 dst_sel:DWORD dst_unused:UNUSED_PAD src0_sel:WORD_0
	v_cvt_f32_u32_sdwa v31, v10 dst_sel:DWORD dst_unused:UNUSED_PAD src0_sel:WORD_1
	v_cvt_f32_u32_sdwa v28, v11 dst_sel:DWORD dst_unused:UNUSED_PAD src0_sel:WORD_0
	v_cvt_f32_u32_sdwa v29, v11 dst_sel:DWORD dst_unused:UNUSED_PAD src0_sel:WORD_1
	;; [unrolled: 2-line block ×4, first 2 shown]
.LBB1022_5:
	s_or_b64 exec, exec, s[0:1]
	s_waitcnt vmcnt(2)
	v_mul_f32_e32 v10, v19, v19
	v_fmac_f32_e32 v10, v18, v18
	v_fmac_f32_e32 v10, v32, v32
	;; [unrolled: 1-line block ×15, first 2 shown]
	v_and_b32_e32 v12, 63, v0
	v_cmp_eq_u32_e64 s[0:1], 63, v12
	v_mov_b32_dpp v11, v10 quad_perm:[1,0,3,2] row_mask:0xf bank_mask:0xf
	v_add_f32_e32 v10, v10, v11
	s_nop 1
	v_mov_b32_dpp v11, v10 quad_perm:[2,3,0,1] row_mask:0xf bank_mask:0xf
	v_add_f32_e32 v10, v10, v11
	s_nop 1
	v_mov_b32_dpp v11, v10 row_half_mirror row_mask:0xf bank_mask:0xf
	v_add_f32_e32 v10, v10, v11
	s_nop 1
	v_mov_b32_dpp v11, v10 row_mirror row_mask:0xf bank_mask:0xf
	v_add_f32_e32 v10, v10, v11
	s_nop 1
	v_mov_b32_dpp v11, v10 row_bcast:15 row_mask:0xf bank_mask:0xf
	v_add_f32_e32 v10, v10, v11
	s_nop 1
	v_mov_b32_dpp v11, v10 row_bcast:31 row_mask:0xf bank_mask:0xf
	s_and_saveexec_b64 s[8:9], s[0:1]
	s_cbranch_execz .LBB1022_7
; %bb.6:
	v_add_f32_e32 v10, v10, v11
	v_lshrrev_b32_e32 v11, 4, v0
	v_and_b32_e32 v11, 60, v11
	ds_write_b32 v11, v10 offset:32
.LBB1022_7:
	s_or_b64 exec, exec, s[8:9]
	v_and_b32_e32 v10, 7, v0
	v_lshlrev_b32_e32 v34, 2, v10
	s_waitcnt lgkmcnt(0)
	s_barrier
	ds_read_b32 v10, v34 offset:32
	s_load_dwordx2 s[28:29], s[4:5], 0x18
	s_waitcnt lgkmcnt(0)
	v_mov_b32_dpp v11, v10 quad_perm:[1,0,3,2] row_mask:0xf bank_mask:0xf
	v_add_f32_e32 v10, v10, v11
	s_nop 1
	v_mov_b32_dpp v11, v10 quad_perm:[2,3,0,1] row_mask:0xf bank_mask:0xf
	v_add_f32_e32 v10, v10, v11
	s_nop 1
	v_mov_b32_dpp v11, v10 row_half_mirror row_mask:0xf bank_mask:0xf
	s_and_saveexec_b64 s[8:9], s[2:3]
	s_cbranch_execz .LBB1022_9
; %bb.8:
	v_cvt_f32_u32_e32 v12, s7
	v_add_f32_e32 v10, v10, v11
	v_mov_b32_e32 v14, s17
	v_mov_b32_e32 v15, s16
	v_div_scale_f32 v11, s[24:25], v12, v12, v10
	v_rcp_f32_e32 v13, v11
	v_cndmask_b32_e32 v14, v14, v15, vcc
	s_mov_b32 s7, 0x800000
	s_waitcnt vmcnt(1)
	v_cvt_f32_u32_sdwa v37, v9 dst_sel:DWORD dst_unused:UNUSED_PAD src0_sel:WORD_1
	v_fma_f32 v15, -v11, v13, 1.0
	v_fmac_f32_e32 v13, v15, v13
	v_div_scale_f32 v15, vcc, v10, v12, v10
	v_mul_f32_e32 v16, v15, v13
	v_fma_f32 v17, -v11, v16, v15
	v_fmac_f32_e32 v16, v17, v13
	v_fma_f32 v11, -v11, v16, v15
	v_div_fmas_f32 v11, v11, v13, v16
	v_div_fixup_f32 v10, v11, v12, v10
	v_add_f32_e32 v10, v14, v10
	v_mul_f32_e32 v11, 0x4b800000, v10
	v_cmp_gt_f32_e32 vcc, s7, v10
	v_cndmask_b32_e32 v10, v10, v11, vcc
	v_rsq_f32_e32 v10, v10
	v_cvt_f32_u32_sdwa v36, v9 dst_sel:DWORD dst_unused:UNUSED_PAD src0_sel:WORD_0
	s_waitcnt vmcnt(0)
	v_cvt_f32_u32_sdwa v9, v3 dst_sel:DWORD dst_unused:UNUSED_PAD src0_sel:WORD_1
	v_mul_f32_e32 v11, 0x45800000, v10
	v_cndmask_b32_e32 v10, v10, v11, vcc
	v_mov_b32_e32 v11, v10
	;;#ASMSTART
	v_pk_mul_f32 v[12:13], v[18:19], v[10:11]
	;;#ASMEND
	;;#ASMSTART
	v_pk_mul_f32 v[14:15], v[32:33], v[10:11]
	;;#ASMEND
	;; [unrolled: 3-line block ×8, first 2 shown]
	v_cvt_f32_u32_sdwa v19, v6 dst_sel:DWORD dst_unused:UNUSED_PAD src0_sel:WORD_1
	v_cvt_f32_u32_sdwa v18, v6 dst_sel:DWORD dst_unused:UNUSED_PAD src0_sel:WORD_0
	v_cvt_f32_u32_sdwa v21, v7 dst_sel:DWORD dst_unused:UNUSED_PAD src0_sel:WORD_1
	v_cvt_f32_u32_sdwa v20, v7 dst_sel:DWORD dst_unused:UNUSED_PAD src0_sel:WORD_0
	;; [unrolled: 2-line block ×3, first 2 shown]
	;;#ASMSTART
	v_pk_mul_f32 v[18:19], v[12:13], v[18:19]
	;;#ASMEND
	;;#ASMSTART
	v_pk_mul_f32 v[32:33], v[14:15], v[20:21]
	;;#ASMEND
	;; [unrolled: 3-line block ×4, first 2 shown]
	v_cvt_f32_u32_sdwa v7, v2 dst_sel:DWORD dst_unused:UNUSED_PAD src0_sel:WORD_1
	v_cvt_f32_u32_sdwa v6, v2 dst_sel:DWORD dst_unused:UNUSED_PAD src0_sel:WORD_0
	v_cvt_f32_u32_sdwa v8, v3 dst_sel:DWORD dst_unused:UNUSED_PAD src0_sel:WORD_0
	v_cvt_f32_u32_sdwa v3, v4 dst_sel:DWORD dst_unused:UNUSED_PAD src0_sel:WORD_1
	v_cvt_f32_u32_sdwa v2, v4 dst_sel:DWORD dst_unused:UNUSED_PAD src0_sel:WORD_0
	v_cvt_f32_u32_sdwa v13, v5 dst_sel:DWORD dst_unused:UNUSED_PAD src0_sel:WORD_1
	v_cvt_f32_u32_sdwa v12, v5 dst_sel:DWORD dst_unused:UNUSED_PAD src0_sel:WORD_0
	;;#ASMSTART
	v_pk_mul_f32 v[30:31], v[30:31], v[6:7]
	;;#ASMEND
	;;#ASMSTART
	v_pk_mul_f32 v[28:29], v[28:29], v[8:9]
	;;#ASMEND
	;; [unrolled: 3-line block ×4, first 2 shown]
.LBB1022_9:
	s_or_b64 exec, exec, s[8:9]
	s_load_dword s7, s[4:5], 0x80
	s_mov_b64 s[8:9], -1
	s_and_b64 vcc, exec, s[14:15]
	s_cbranch_vccnz .LBB1022_13
; %bb.10:
	s_andn2_b64 vcc, exec, s[8:9]
	s_cbranch_vccz .LBB1022_16
.LBB1022_11:
	s_cmp_lt_i32 s20, 1
	s_cbranch_scc0 .LBB1022_25
.LBB1022_12:
	s_endpgm
.LBB1022_13:
	s_and_saveexec_b64 s[14:15], s[2:3]
	s_cbranch_execz .LBB1022_15
; %bb.14:
	s_waitcnt lgkmcnt(0)
	s_mul_hi_i32 s9, s7, s6
	s_mul_i32 s8, s7, s6
	s_lshl_b64 s[8:9], s[8:9], 1
	s_add_u32 s8, s28, s8
	s_addc_u32 s9, s29, s9
	s_mov_b32 s16, 0x7060302
	s_and_b32 s9, s9, 0xffff
	s_mov_b32 s11, 0x20000
	s_waitcnt vmcnt(0)
	v_perm_b32 v5, v25, v24, s16
	v_perm_b32 v4, v27, v26, s16
	;; [unrolled: 1-line block ×4, first 2 shown]
	v_lshlrev_b32_e32 v6, 5, v0
	buffer_store_dwordx4 v[2:5], v6, s[8:11], 0 offen
	;;#ASMSTART
	s_nop 0
	;;#ASMEND
	s_nop 0
	v_perm_b32 v5, v21, v20, s16
	v_perm_b32 v4, v23, v22, s16
	;; [unrolled: 1-line block ×4, first 2 shown]
	buffer_store_dwordx4 v[2:5], v6, s[8:11], 16 offen
	;;#ASMSTART
	s_nop 0
	;;#ASMEND
.LBB1022_15:
	s_or_b64 exec, exec, s[14:15]
	s_cbranch_execnz .LBB1022_11
.LBB1022_16:
	s_load_dwordx4 s[24:27], s[4:5], 0x70
	s_waitcnt vmcnt(0)
	v_mov_b32_e32 v2, 0
	s_and_saveexec_b64 s[14:15], s[2:3]
	s_cbranch_execz .LBB1022_18
; %bb.17:
	s_load_dwordx2 s[8:9], s[4:5], 0x10
	s_waitcnt lgkmcnt(0)
	s_mul_hi_i32 s35, s27, s6
	s_mul_i32 s34, s27, s6
	s_lshl_b64 s[34:35], s[34:35], 1
	s_mov_b32 s16, 0x7060302
	s_add_u32 s8, s8, s34
	s_addc_u32 s9, s9, s35
	s_mov_b32 s11, 0x20000
	s_and_b32 s9, s9, 0xffff
	v_perm_b32 v5, v25, v24, s16
	v_perm_b32 v4, v27, v26, s16
	;; [unrolled: 1-line block ×4, first 2 shown]
	v_lshlrev_b32_e32 v6, 5, v0
	buffer_store_dwordx4 v[2:5], v6, s[8:11], 0 offen
	;;#ASMSTART
	s_nop 0
	;;#ASMEND
	s_nop 0
	v_perm_b32 v5, v21, v20, s16
	v_perm_b32 v4, v23, v22, s16
	;; [unrolled: 1-line block ×4, first 2 shown]
	buffer_store_dwordx4 v[2:5], v6, s[8:11], 16 offen
	;;#ASMSTART
	s_nop 0
	;;#ASMEND
	s_nop 0
	v_mov_b32_e32 v2, 0x2edbe6ff
.LBB1022_18:
	s_or_b64 exec, exec, s[14:15]
	s_and_saveexec_b64 s[8:9], s[2:3]
	s_cbranch_execz .LBB1022_20
; %bb.19:
	v_and_b32_e32 v3, 0x7fffffff, v18
	v_and_b32_e32 v4, 0x7fffffff, v19
	;;#ASMSTART
	v_max3_f32 v2, v2, v3, v4

	;;#ASMEND
	v_and_b32_e32 v3, 0x7fffffff, v32
	v_and_b32_e32 v4, 0x7fffffff, v33
	;;#ASMSTART
	v_max3_f32 v2, v2, v3, v4

	;;#ASMEND
	;; [unrolled: 6-line block ×8, first 2 shown]
.LBB1022_20:
	s_or_b64 exec, exec, s[8:9]
	;;#ASMSTART
	v_max_f32 v3, v2, v2 quad_perm:[1,0,3,2] row_mask:0xf bank_mask:0xf bound_ctrl:1
	;;#ASMEND
	v_mul_f32_e32 v2, 0x3b124925, v3
	v_and_b32_e32 v3, 1, v0
	v_cmp_eq_u32_e32 vcc, 0, v3
	v_cmp_gt_i32_e64 s[8:9], s19, v1
	s_and_b64 s[10:11], vcc, s[8:9]
	s_and_saveexec_b64 s[8:9], s[10:11]
	s_cbranch_execz .LBB1022_22
; %bb.21:
	s_load_dwordx2 s[10:11], s[4:5], 0x8
	s_waitcnt lgkmcnt(0)
	s_mul_hi_i32 s15, s25, s6
	s_mul_i32 s14, s25, s6
	v_lshrrev_b32_e32 v3, 1, v0
	s_lshl_b64 s[14:15], s[14:15], 2
	v_mad_i64_i32 v[4:5], s[26:27], s26, v3, 0
	s_add_u32 s10, s10, s14
	s_addc_u32 s11, s11, s15
	v_lshlrev_b64 v[4:5], 2, v[4:5]
	v_mov_b32_e32 v3, s11
	v_add_co_u32_e32 v4, vcc, s10, v4
	v_addc_co_u32_e32 v5, vcc, v3, v5, vcc
	global_store_dword v[4:5], v2, off
.LBB1022_22:
	s_or_b64 exec, exec, s[8:9]
	;;#ASMSTART
	v_rcp_f32 v2, v2
	;;#ASMEND
	s_and_saveexec_b64 s[14:15], s[2:3]
	s_cbranch_execz .LBB1022_24
; %bb.23:
	s_load_dwordx2 s[2:3], s[4:5], 0x0
	s_waitcnt lgkmcnt(0)
	s_mul_i32 s8, s24, s6
	s_mul_hi_i32 s9, s24, s6
	v_mov_b32_e32 v3, v2
	;;#ASMSTART
	v_pk_mul_f32 v[4:5], v[18:19], v[2:3]
	;;#ASMEND
	s_add_u32 s8, s2, s8
	s_addc_u32 s2, s3, s9
	s_add_i32 s3, s19, 3
	s_ashr_i32 s10, s3, 31
	v_mov_b32_e32 v10, 0xc3e00000
	v_mov_b32_e32 v11, 0x43e00000
	;;#ASMSTART
	v_med3_f32 v4, v4, v10, v11
v_med3_f32 v5, v5, v10, v11
v_cvt_pk_fp8_f32 v6, v4, v5
	;;#ASMEND
	s_and_b32 s9, s2, 0xffff
	s_lshr_b32 s2, s10, 30
	;;#ASMSTART
	v_pk_mul_f32 v[4:5], v[32:33], v[2:3]
	;;#ASMEND
	s_add_i32 s3, s3, s2
	;;#ASMSTART
	v_med3_f32 v4, v4, v10, v11
v_med3_f32 v5, v5, v10, v11
v_cvt_pk_fp8_f32 v7, v4, v5
	;;#ASMEND
	s_mov_b32 s2, 0x5040100
	v_perm_b32 v4, v7, v6, s2
	s_mov_b32 s2, 0x1060504
	v_perm_b32 v4, v4, v7, s2
	;;#ASMSTART
	v_pk_mul_f32 v[6:7], v[26:27], v[2:3]
	;;#ASMEND
	v_mov_b32_e32 v5, v6
	;;#ASMSTART
	v_med3_f32 v5, v5, v10, v11
v_med3_f32 v7, v7, v10, v11
v_cvt_pk_fp8_f32 v8, v5, v7
	;;#ASMEND
	;;#ASMSTART
	v_pk_mul_f32 v[6:7], v[24:25], v[2:3]
	;;#ASMEND
	v_mov_b32_e32 v5, v7
	;;#ASMSTART
	v_med3_f32 v6, v6, v10, v11
v_med3_f32 v5, v5, v10, v11
v_cvt_pk_fp8_f32 v7, v6, v5
	;;#ASMEND
	s_mov_b32 s2, 0x1000504
	v_perm_b32 v5, v8, v7, s2
	;;#ASMSTART
	v_pk_mul_f32 v[6:7], v[30:31], v[2:3]
	;;#ASMEND
	;;#ASMSTART
	v_med3_f32 v6, v6, v10, v11
v_med3_f32 v7, v7, v10, v11
v_cvt_pk_fp8_f32 v8, v6, v7
	;;#ASMEND
	;;#ASMSTART
	v_pk_mul_f32 v[6:7], v[28:29], v[2:3]
	;;#ASMEND
	;;#ASMSTART
	v_med3_f32 v6, v6, v10, v11
v_med3_f32 v7, v7, v10, v11
v_cvt_pk_fp8_f32 v9, v6, v7
	;;#ASMEND
	v_perm_b32 v6, v8, v9, s2
	;;#ASMSTART
	v_pk_mul_f32 v[8:9], v[22:23], v[2:3]
	;;#ASMEND
	v_mov_b32_e32 v7, v8
	;;#ASMSTART
	v_med3_f32 v7, v7, v10, v11
v_med3_f32 v9, v9, v10, v11
v_cvt_pk_fp8_f32 v8, v7, v9
	;;#ASMEND
	;;#ASMSTART
	v_pk_mul_f32 v[2:3], v[20:21], v[2:3]
	;;#ASMEND
	;;#ASMSTART
	v_med3_f32 v2, v2, v10, v11
v_med3_f32 v3, v3, v10, v11
v_cvt_pk_fp8_f32 v7, v2, v3
	;;#ASMEND
	s_and_b32 s10, s3, -4
	s_mov_b32 s11, 0x20000
	v_perm_b32 v7, v8, v7, s2
	buffer_store_dwordx4 v[4:7], v1, s[8:11], 0 offen
	;;#ASMSTART
	s_nop 0
	;;#ASMEND
.LBB1022_24:
	s_or_b64 exec, exec, s[14:15]
	s_cmp_lt_i32 s20, 1
	s_cbranch_scc1 .LBB1022_12
.LBB1022_25:
	s_load_dword s2, s[4:5], 0x94
	s_waitcnt lgkmcnt(0)
	s_cmp_lg_u32 s2, 1
	s_cbranch_scc1 .LBB1022_12
; %bb.26:
	s_lshl_b32 s2, s20, 1
	s_add_i32 s2, s2, 2
	v_cmp_gt_u32_e32 vcc, s20, v1
	s_and_b32 s14, s2, -4
	v_mov_b32_e32 v18, 0
	v_lshlrev_b32_e32 v1, 5, v0
	v_mov_b32_e32 v14, 0
	v_mov_b32_e32 v15, 0
	;; [unrolled: 1-line block ×8, first 2 shown]
	s_waitcnt vmcnt(1)
	v_mov_b32_e32 v6, 0
	v_mov_b32_e32 v7, 0
	;; [unrolled: 1-line block ×4, first 2 shown]
	s_waitcnt vmcnt(0)
	v_mov_b32_e32 v2, 0
	v_mov_b32_e32 v3, 0
	;; [unrolled: 1-line block ×4, first 2 shown]
	s_barrier
	s_and_saveexec_b64 s[2:3], vcc
	s_cbranch_execz .LBB1022_28
; %bb.27:
	s_mul_hi_i32 s5, s22, s6
	s_mul_i32 s4, s22, s6
	s_and_b32 s13, s13, 0xffff
	s_lshl_b64 s[4:5], s[4:5], 1
	s_add_u32 s8, s30, s4
	s_mov_b32 s15, 0x20000
	s_addc_u32 s4, s31, s5
	s_and_b32 s9, s4, 0xffff
	s_mov_b32 s10, s14
	s_mov_b32 s11, s15
	buffer_load_dwordx4 v[14:17], v1, s[8:11], 0 offen
	buffer_load_dwordx4 v[10:13], v1, s[8:11], 16 offen
	buffer_load_dwordx4 v[6:9], v1, s[12:15], 0 offen
	buffer_load_dwordx4 v[2:5], v1, s[12:15], 16 offen
.LBB1022_28:
	s_or_b64 exec, exec, s[2:3]
	v_mov_b32_e32 v19, 0
	v_mov_b32_e32 v32, 0
	;; [unrolled: 1-line block ×15, first 2 shown]
	s_and_saveexec_b64 s[2:3], vcc
	s_cbranch_execz .LBB1022_30
; %bb.29:
	s_waitcnt vmcnt(3)
	v_cvt_f32_u32_sdwa v18, v14 dst_sel:DWORD dst_unused:UNUSED_PAD src0_sel:WORD_0
	v_cvt_f32_u32_sdwa v19, v14 dst_sel:DWORD dst_unused:UNUSED_PAD src0_sel:WORD_1
	v_cvt_f32_u32_sdwa v32, v15 dst_sel:DWORD dst_unused:UNUSED_PAD src0_sel:WORD_0
	v_cvt_f32_u32_sdwa v33, v15 dst_sel:DWORD dst_unused:UNUSED_PAD src0_sel:WORD_1
	;; [unrolled: 2-line block ×4, first 2 shown]
	s_waitcnt vmcnt(2)
	v_cvt_f32_u32_sdwa v26, v10 dst_sel:DWORD dst_unused:UNUSED_PAD src0_sel:WORD_0
	v_cvt_f32_u32_sdwa v27, v10 dst_sel:DWORD dst_unused:UNUSED_PAD src0_sel:WORD_1
	v_cvt_f32_u32_sdwa v24, v11 dst_sel:DWORD dst_unused:UNUSED_PAD src0_sel:WORD_0
	v_cvt_f32_u32_sdwa v25, v11 dst_sel:DWORD dst_unused:UNUSED_PAD src0_sel:WORD_1
	;; [unrolled: 2-line block ×4, first 2 shown]
.LBB1022_30:
	s_or_b64 exec, exec, s[2:3]
	s_waitcnt vmcnt(2)
	v_mul_f32_e32 v10, v19, v19
	v_fmac_f32_e32 v10, v18, v18
	v_fmac_f32_e32 v10, v32, v32
	;; [unrolled: 1-line block ×15, first 2 shown]
	s_nop 1
	v_mov_b32_dpp v11, v10 quad_perm:[1,0,3,2] row_mask:0xf bank_mask:0xf
	v_add_f32_e32 v10, v10, v11
	s_nop 1
	v_mov_b32_dpp v11, v10 quad_perm:[2,3,0,1] row_mask:0xf bank_mask:0xf
	v_add_f32_e32 v10, v10, v11
	s_nop 1
	v_mov_b32_dpp v11, v10 row_half_mirror row_mask:0xf bank_mask:0xf
	v_add_f32_e32 v10, v10, v11
	s_nop 1
	v_mov_b32_dpp v11, v10 row_mirror row_mask:0xf bank_mask:0xf
	v_add_f32_e32 v10, v10, v11
	s_nop 1
	v_mov_b32_dpp v11, v10 row_bcast:15 row_mask:0xf bank_mask:0xf
	v_add_f32_e32 v10, v10, v11
	s_nop 1
	v_mov_b32_dpp v11, v10 row_bcast:31 row_mask:0xf bank_mask:0xf
	s_and_saveexec_b64 s[2:3], s[0:1]
	s_cbranch_execz .LBB1022_32
; %bb.31:
	v_lshrrev_b32_e32 v0, 4, v0
	v_add_f32_e32 v10, v10, v11
	v_and_b32_e32 v0, 60, v0
	ds_write_b32 v0, v10
.LBB1022_32:
	s_or_b64 exec, exec, s[2:3]
	s_waitcnt lgkmcnt(0)
	s_barrier
	ds_read_b32 v0, v34
	s_waitcnt lgkmcnt(0)
	s_nop 0
	v_mov_b32_dpp v10, v0 quad_perm:[1,0,3,2] row_mask:0xf bank_mask:0xf
	v_add_f32_e32 v0, v0, v10
	s_nop 1
	v_mov_b32_dpp v10, v0 quad_perm:[2,3,0,1] row_mask:0xf bank_mask:0xf
	v_add_f32_e32 v0, v0, v10
	s_nop 1
	v_mov_b32_dpp v10, v0 row_half_mirror row_mask:0xf bank_mask:0xf
	s_and_saveexec_b64 s[0:1], vcc
	s_cbranch_execz .LBB1022_12
; %bb.33:
	v_cvt_f32_u32_e32 v11, s20
	v_add_f32_e32 v0, v0, v10
	s_mov_b32 s15, 0x20000
	v_div_scale_f32 v10, s[0:1], v11, v11, v0
	v_rcp_f32_e32 v12, v10
	v_div_scale_f32 v13, vcc, v0, v11, v0
	s_mov_b32 s0, 0x800000
	v_fma_f32 v14, -v10, v12, 1.0
	v_fmac_f32_e32 v12, v14, v12
	v_mul_f32_e32 v14, v13, v12
	v_fma_f32 v15, -v10, v14, v13
	v_fmac_f32_e32 v14, v15, v12
	v_fma_f32 v10, -v10, v14, v13
	v_div_fmas_f32 v10, v10, v12, v14
	v_div_fixup_f32 v0, v10, v11, v0
	v_add_f32_e32 v0, s17, v0
	v_mul_f32_e32 v10, 0x4b800000, v0
	v_cmp_gt_f32_e32 vcc, s0, v0
	v_cndmask_b32_e32 v0, v0, v10, vcc
	v_rsq_f32_e32 v0, v0
	s_mul_hi_i32 s1, s7, s6
	s_mul_i32 s0, s7, s6
	s_lshl_b64 s[0:1], s[0:1], 1
	v_mul_f32_e32 v10, 0x45800000, v0
	v_cndmask_b32_e32 v10, v0, v10, vcc
	v_mov_b32_e32 v11, v10
	s_add_u32 s12, s28, s0
	;;#ASMSTART
	v_pk_mul_f32 v[12:13], v[18:19], v[10:11]
	;;#ASMEND
	;;#ASMSTART
	v_pk_mul_f32 v[14:15], v[32:33], v[10:11]
	;;#ASMEND
	;; [unrolled: 3-line block ×8, first 2 shown]
	s_waitcnt vmcnt(1)
	v_cvt_f32_u32_sdwa v21, v6 dst_sel:DWORD dst_unused:UNUSED_PAD src0_sel:WORD_1
	v_cvt_f32_u32_sdwa v20, v6 dst_sel:DWORD dst_unused:UNUSED_PAD src0_sel:WORD_0
	v_cvt_f32_u32_sdwa v29, v7 dst_sel:DWORD dst_unused:UNUSED_PAD src0_sel:WORD_1
	v_cvt_f32_u32_sdwa v28, v7 dst_sel:DWORD dst_unused:UNUSED_PAD src0_sel:WORD_0
	;; [unrolled: 2-line block ×3, first 2 shown]
	s_addc_u32 s0, s29, s1
	v_cvt_f32_u32_sdwa v31, v9 dst_sel:DWORD dst_unused:UNUSED_PAD src0_sel:WORD_1
	v_cvt_f32_u32_sdwa v30, v9 dst_sel:DWORD dst_unused:UNUSED_PAD src0_sel:WORD_0
	;;#ASMSTART
	v_pk_mul_f32 v[8:9], v[12:13], v[20:21]
	;;#ASMEND
	;;#ASMSTART
	v_pk_mul_f32 v[12:13], v[14:15], v[28:29]
	;;#ASMEND
	;; [unrolled: 3-line block ×4, first 2 shown]
	s_waitcnt vmcnt(0)
	v_cvt_f32_u32_sdwa v17, v2 dst_sel:DWORD dst_unused:UNUSED_PAD src0_sel:WORD_1
	v_cvt_f32_u32_sdwa v16, v2 dst_sel:DWORD dst_unused:UNUSED_PAD src0_sel:WORD_0
	v_cvt_f32_u32_sdwa v19, v3 dst_sel:DWORD dst_unused:UNUSED_PAD src0_sel:WORD_1
	v_cvt_f32_u32_sdwa v18, v3 dst_sel:DWORD dst_unused:UNUSED_PAD src0_sel:WORD_0
	;; [unrolled: 2-line block ×3, first 2 shown]
	s_and_b32 s13, s0, 0xffff
	s_mov_b32 s0, 0x7060302
	v_cvt_f32_u32_sdwa v21, v5 dst_sel:DWORD dst_unused:UNUSED_PAD src0_sel:WORD_1
	v_cvt_f32_u32_sdwa v20, v5 dst_sel:DWORD dst_unused:UNUSED_PAD src0_sel:WORD_0
	;;#ASMSTART
	v_pk_mul_f32 v[16:17], v[26:27], v[16:17]
	;;#ASMEND
	;;#ASMSTART
	v_pk_mul_f32 v[18:19], v[24:25], v[18:19]
	;;#ASMEND
	;; [unrolled: 3-line block ×3, first 2 shown]
	v_perm_b32 v2, v9, v8, s0
	v_perm_b32 v3, v13, v12, s0
	;; [unrolled: 1-line block ×4, first 2 shown]
	;;#ASMSTART
	v_pk_mul_f32 v[10:11], v[10:11], v[20:21]
	;;#ASMEND
	buffer_store_dwordx4 v[2:5], v1, s[12:15], 0 offen
	;;#ASMSTART
	s_nop 0
	;;#ASMEND
	s_nop 0
	v_perm_b32 v2, v17, v16, s0
	v_perm_b32 v3, v19, v18, s0
	;; [unrolled: 1-line block ×4, first 2 shown]
	buffer_store_dwordx4 v[2:5], v1, s[12:15], 16 offen
	;;#ASMSTART
	s_nop 0
	;;#ASMEND
	s_endpgm
	.section	.rodata,"a",@progbits
	.p2align	6, 0x0
	.amdhsa_kernel _ZN5aiter35fused_qk_rmsnorm_group_quant_kernelItDB8_Li512ELi16ELi2ELb0ELb1ELb0ELb0ELb0ELb0EEEvPT0_PvPT_S6_S6_PKS5_S8_S8_S8_S8_ffiiiiiiiiiiiii
		.amdhsa_group_segment_fixed_size 64
		.amdhsa_private_segment_fixed_size 0
		.amdhsa_kernarg_size 400
		.amdhsa_user_sgpr_count 6
		.amdhsa_user_sgpr_private_segment_buffer 1
		.amdhsa_user_sgpr_dispatch_ptr 0
		.amdhsa_user_sgpr_queue_ptr 0
		.amdhsa_user_sgpr_kernarg_segment_ptr 1
		.amdhsa_user_sgpr_dispatch_id 0
		.amdhsa_user_sgpr_flat_scratch_init 0
		.amdhsa_user_sgpr_kernarg_preload_length 0
		.amdhsa_user_sgpr_kernarg_preload_offset 0
		.amdhsa_user_sgpr_private_segment_size 0
		.amdhsa_uses_dynamic_stack 0
		.amdhsa_system_sgpr_private_segment_wavefront_offset 0
		.amdhsa_system_sgpr_workgroup_id_x 1
		.amdhsa_system_sgpr_workgroup_id_y 1
		.amdhsa_system_sgpr_workgroup_id_z 0
		.amdhsa_system_sgpr_workgroup_info 0
		.amdhsa_system_vgpr_workitem_id 0
		.amdhsa_next_free_vgpr 38
		.amdhsa_next_free_sgpr 36
		.amdhsa_accum_offset 40
		.amdhsa_reserve_vcc 1
		.amdhsa_reserve_flat_scratch 0
		.amdhsa_float_round_mode_32 0
		.amdhsa_float_round_mode_16_64 0
		.amdhsa_float_denorm_mode_32 3
		.amdhsa_float_denorm_mode_16_64 3
		.amdhsa_dx10_clamp 1
		.amdhsa_ieee_mode 1
		.amdhsa_fp16_overflow 0
		.amdhsa_tg_split 0
		.amdhsa_exception_fp_ieee_invalid_op 0
		.amdhsa_exception_fp_denorm_src 0
		.amdhsa_exception_fp_ieee_div_zero 0
		.amdhsa_exception_fp_ieee_overflow 0
		.amdhsa_exception_fp_ieee_underflow 0
		.amdhsa_exception_fp_ieee_inexact 0
		.amdhsa_exception_int_div_zero 0
	.end_amdhsa_kernel
	.section	.text._ZN5aiter35fused_qk_rmsnorm_group_quant_kernelItDB8_Li512ELi16ELi2ELb0ELb1ELb0ELb0ELb0ELb0EEEvPT0_PvPT_S6_S6_PKS5_S8_S8_S8_S8_ffiiiiiiiiiiiii,"axG",@progbits,_ZN5aiter35fused_qk_rmsnorm_group_quant_kernelItDB8_Li512ELi16ELi2ELb0ELb1ELb0ELb0ELb0ELb0EEEvPT0_PvPT_S6_S6_PKS5_S8_S8_S8_S8_ffiiiiiiiiiiiii,comdat
.Lfunc_end1022:
	.size	_ZN5aiter35fused_qk_rmsnorm_group_quant_kernelItDB8_Li512ELi16ELi2ELb0ELb1ELb0ELb0ELb0ELb0EEEvPT0_PvPT_S6_S6_PKS5_S8_S8_S8_S8_ffiiiiiiiiiiiii, .Lfunc_end1022-_ZN5aiter35fused_qk_rmsnorm_group_quant_kernelItDB8_Li512ELi16ELi2ELb0ELb1ELb0ELb0ELb0ELb0EEEvPT0_PvPT_S6_S6_PKS5_S8_S8_S8_S8_ffiiiiiiiiiiiii
                                        ; -- End function
	.section	.AMDGPU.csdata,"",@progbits
; Kernel info:
; codeLenInByte = 3644
; NumSgprs: 40
; NumVgprs: 38
; NumAgprs: 0
; TotalNumVgprs: 38
; ScratchSize: 0
; MemoryBound: 0
; FloatMode: 240
; IeeeMode: 1
; LDSByteSize: 64 bytes/workgroup (compile time only)
; SGPRBlocks: 4
; VGPRBlocks: 4
; NumSGPRsForWavesPerEU: 40
; NumVGPRsForWavesPerEU: 38
; AccumOffset: 40
; Occupancy: 8
; WaveLimiterHint : 0
; COMPUTE_PGM_RSRC2:SCRATCH_EN: 0
; COMPUTE_PGM_RSRC2:USER_SGPR: 6
; COMPUTE_PGM_RSRC2:TRAP_HANDLER: 0
; COMPUTE_PGM_RSRC2:TGID_X_EN: 1
; COMPUTE_PGM_RSRC2:TGID_Y_EN: 1
; COMPUTE_PGM_RSRC2:TGID_Z_EN: 0
; COMPUTE_PGM_RSRC2:TIDIG_COMP_CNT: 0
; COMPUTE_PGM_RSRC3_GFX90A:ACCUM_OFFSET: 9
; COMPUTE_PGM_RSRC3_GFX90A:TG_SPLIT: 0
	.section	.text._ZN5aiter35fused_qk_rmsnorm_group_quant_kernelIDF16_N4opus5fp4_tELi512ELi16ELi2ELb0ELb1ELb0ELb0ELb0ELb0EEEvPT0_PvPT_S7_S7_PKS6_S9_S9_S9_S9_ffiiiiiiiiiiiii,"axG",@progbits,_ZN5aiter35fused_qk_rmsnorm_group_quant_kernelIDF16_N4opus5fp4_tELi512ELi16ELi2ELb0ELb1ELb0ELb0ELb0ELb0EEEvPT0_PvPT_S7_S7_PKS6_S9_S9_S9_S9_ffiiiiiiiiiiiii,comdat
	.protected	_ZN5aiter35fused_qk_rmsnorm_group_quant_kernelIDF16_N4opus5fp4_tELi512ELi16ELi2ELb0ELb1ELb0ELb0ELb0ELb0EEEvPT0_PvPT_S7_S7_PKS6_S9_S9_S9_S9_ffiiiiiiiiiiiii ; -- Begin function _ZN5aiter35fused_qk_rmsnorm_group_quant_kernelIDF16_N4opus5fp4_tELi512ELi16ELi2ELb0ELb1ELb0ELb0ELb0ELb0EEEvPT0_PvPT_S7_S7_PKS6_S9_S9_S9_S9_ffiiiiiiiiiiiii
	.globl	_ZN5aiter35fused_qk_rmsnorm_group_quant_kernelIDF16_N4opus5fp4_tELi512ELi16ELi2ELb0ELb1ELb0ELb0ELb0ELb0EEEvPT0_PvPT_S7_S7_PKS6_S9_S9_S9_S9_ffiiiiiiiiiiiii
	.p2align	8
	.type	_ZN5aiter35fused_qk_rmsnorm_group_quant_kernelIDF16_N4opus5fp4_tELi512ELi16ELi2ELb0ELb1ELb0ELb0ELb0ELb0EEEvPT0_PvPT_S7_S7_PKS6_S9_S9_S9_S9_ffiiiiiiiiiiiii,@function
_ZN5aiter35fused_qk_rmsnorm_group_quant_kernelIDF16_N4opus5fp4_tELi512ELi16ELi2ELb0ELb1ELb0ELb0ELb0ELb0EEEvPT0_PvPT_S7_S7_PKS6_S9_S9_S9_S9_ffiiiiiiiiiiiii: ; @_ZN5aiter35fused_qk_rmsnorm_group_quant_kernelIDF16_N4opus5fp4_tELi512ELi16ELi2ELb0ELb1ELb0ELb0ELb0ELb0EEEvPT0_PvPT_S7_S7_PKS6_S9_S9_S9_S9_ffiiiiiiiiiiiii
; %bb.0:
	s_load_dwordx4 s[16:19], s[4:5], 0x50
	s_waitcnt lgkmcnt(0)
	s_cmp_ge_i32 s6, s18
	s_cbranch_scc1 .LBB1023_12
; %bb.1:
	s_load_dwordx2 s[12:13], s[4:5], 0x48
	s_load_dwordx2 s[30:31], s[4:5], 0x30
	s_load_dwordx4 s[20:23], s[4:5], 0x60
	s_cmp_lg_u32 s7, 0
	s_cselect_b64 s[14:15], -1, 0
	s_cmp_eq_u32 s7, 0
	s_cselect_b64 vcc, -1, 0
	s_and_b64 s[0:1], vcc, exec
	s_waitcnt lgkmcnt(0)
	s_cselect_b32 s7, s19, s20
	s_add_i32 s0, s7, 1
	s_lshr_b32 s1, s0, 31
	s_add_i32 s0, s0, s1
	s_lshl_b32 s0, s0, 1
	v_lshlrev_b32_e32 v1, 4, v0
	s_and_b32 s10, s0, -4
	v_cmp_gt_i32_e64 s[2:3], s7, v1
	v_mov_b32_e32 v18, 0
	v_mov_b32_e32 v6, 0
	;; [unrolled: 1-line block ×17, first 2 shown]
	s_and_saveexec_b64 s[0:1], s[2:3]
	s_cbranch_execz .LBB1023_3
; %bb.2:
	s_load_dwordx2 s[8:9], s[4:5], 0x28
	s_load_dwordx2 s[26:27], s[4:5], 0x40
	s_and_b64 s[24:25], vcc, exec
	s_cselect_b32 s11, s21, s22
	v_lshlrev_b32_e32 v19, 5, v0
	s_waitcnt lgkmcnt(0)
	s_cselect_b32 s18, s9, s31
	s_cselect_b32 s21, s8, s30
	s_mul_hi_i32 s9, s11, s6
	s_mul_i32 s8, s11, s6
	s_lshl_b64 s[8:9], s[8:9], 1
	s_add_u32 s24, s21, s8
	s_addc_u32 s18, s18, s9
	s_and_b64 s[8:9], vcc, exec
	s_mov_b32 s11, 0x20000
	s_cselect_b32 s8, s26, s12
	s_cselect_b32 s9, s27, s13
	s_and_b32 s25, s18, 0xffff
	s_mov_b32 s26, s10
	s_mov_b32 s27, s11
	s_and_b32 s9, s9, 0xffff
	buffer_load_dwordx4 v[14:17], v19, s[24:27], 0 offen
	buffer_load_dwordx4 v[10:13], v19, s[24:27], 16 offen
	;; [unrolled: 1-line block ×4, first 2 shown]
.LBB1023_3:
	s_or_b64 exec, exec, s[0:1]
	v_mov_b32_e32 v19, 0
	v_mov_b32_e32 v24, 0
	;; [unrolled: 1-line block ×15, first 2 shown]
	s_and_saveexec_b64 s[0:1], s[2:3]
	s_cbranch_execz .LBB1023_5
; %bb.4:
	s_waitcnt vmcnt(3)
	v_cvt_f32_f16_sdwa v19, v14 dst_sel:DWORD dst_unused:UNUSED_PAD src0_sel:WORD_1
	v_cvt_f32_f16_e32 v18, v14
	v_cvt_f32_f16_sdwa v25, v15 dst_sel:DWORD dst_unused:UNUSED_PAD src0_sel:WORD_1
	v_cvt_f32_f16_e32 v24, v15
	;; [unrolled: 2-line block ×4, first 2 shown]
	s_waitcnt vmcnt(2)
	v_cvt_f32_f16_sdwa v33, v10 dst_sel:DWORD dst_unused:UNUSED_PAD src0_sel:WORD_1
	v_cvt_f32_f16_e32 v32, v10
	v_cvt_f32_f16_sdwa v31, v11 dst_sel:DWORD dst_unused:UNUSED_PAD src0_sel:WORD_1
	v_cvt_f32_f16_e32 v30, v11
	;; [unrolled: 2-line block ×4, first 2 shown]
.LBB1023_5:
	s_or_b64 exec, exec, s[0:1]
	s_waitcnt vmcnt(2)
	v_mul_f32_e32 v10, v19, v19
	v_fmac_f32_e32 v10, v18, v18
	v_fmac_f32_e32 v10, v24, v24
	;; [unrolled: 1-line block ×15, first 2 shown]
	v_and_b32_e32 v12, 63, v0
	v_cmp_eq_u32_e64 s[0:1], 63, v12
	v_mov_b32_dpp v11, v10 quad_perm:[1,0,3,2] row_mask:0xf bank_mask:0xf
	v_add_f32_e32 v10, v10, v11
	s_nop 1
	v_mov_b32_dpp v11, v10 quad_perm:[2,3,0,1] row_mask:0xf bank_mask:0xf
	v_add_f32_e32 v10, v10, v11
	s_nop 1
	v_mov_b32_dpp v11, v10 row_half_mirror row_mask:0xf bank_mask:0xf
	v_add_f32_e32 v10, v10, v11
	s_nop 1
	v_mov_b32_dpp v11, v10 row_mirror row_mask:0xf bank_mask:0xf
	v_add_f32_e32 v10, v10, v11
	s_nop 1
	v_mov_b32_dpp v11, v10 row_bcast:15 row_mask:0xf bank_mask:0xf
	v_add_f32_e32 v10, v10, v11
	s_nop 1
	v_mov_b32_dpp v11, v10 row_bcast:31 row_mask:0xf bank_mask:0xf
	s_and_saveexec_b64 s[8:9], s[0:1]
	s_cbranch_execz .LBB1023_7
; %bb.6:
	v_add_f32_e32 v10, v10, v11
	v_lshrrev_b32_e32 v11, 4, v0
	v_and_b32_e32 v11, 60, v11
	ds_write_b32 v11, v10 offset:32
.LBB1023_7:
	s_or_b64 exec, exec, s[8:9]
	v_and_b32_e32 v10, 7, v0
	v_lshlrev_b32_e32 v34, 2, v10
	s_waitcnt lgkmcnt(0)
	s_barrier
	ds_read_b32 v10, v34 offset:32
	s_load_dwordx2 s[28:29], s[4:5], 0x18
	s_waitcnt lgkmcnt(0)
	v_mov_b32_dpp v11, v10 quad_perm:[1,0,3,2] row_mask:0xf bank_mask:0xf
	v_add_f32_e32 v10, v10, v11
	s_nop 1
	v_mov_b32_dpp v11, v10 quad_perm:[2,3,0,1] row_mask:0xf bank_mask:0xf
	v_add_f32_e32 v10, v10, v11
	s_nop 1
	v_mov_b32_dpp v11, v10 row_half_mirror row_mask:0xf bank_mask:0xf
	s_and_saveexec_b64 s[8:9], s[2:3]
	s_cbranch_execz .LBB1023_9
; %bb.8:
	v_cvt_f32_u32_e32 v12, s7
	v_add_f32_e32 v10, v10, v11
	v_mov_b32_e32 v14, s17
	v_mov_b32_e32 v15, s16
	v_div_scale_f32 v11, s[24:25], v12, v12, v10
	v_rcp_f32_e32 v13, v11
	v_cndmask_b32_e32 v14, v14, v15, vcc
	s_mov_b32 s7, 0x800000
	v_fma_f32 v15, -v11, v13, 1.0
	v_fmac_f32_e32 v13, v15, v13
	v_div_scale_f32 v15, vcc, v10, v12, v10
	v_mul_f32_e32 v16, v15, v13
	v_fma_f32 v17, -v11, v16, v15
	v_fmac_f32_e32 v16, v17, v13
	v_fma_f32 v11, -v11, v16, v15
	v_div_fmas_f32 v11, v11, v13, v16
	v_div_fixup_f32 v10, v11, v12, v10
	v_add_f32_e32 v10, v14, v10
	v_mul_f32_e32 v11, 0x4b800000, v10
	v_cmp_gt_f32_e32 vcc, s7, v10
	v_cndmask_b32_e32 v10, v10, v11, vcc
	v_rsq_f32_e32 v10, v10
	v_mul_f32_e32 v11, 0x45800000, v10
	v_cndmask_b32_e32 v10, v10, v11, vcc
	v_mov_b32_e32 v11, v10
	;;#ASMSTART
	v_pk_mul_f32 v[12:13], v[18:19], v[10:11]
	;;#ASMEND
	;;#ASMSTART
	v_pk_mul_f32 v[14:15], v[24:25], v[10:11]
	;;#ASMEND
	;;#ASMSTART
	v_pk_mul_f32 v[16:17], v[20:21], v[10:11]
	;;#ASMEND
	;;#ASMSTART
	v_pk_mul_f32 v[22:23], v[22:23], v[10:11]
	;;#ASMEND
	;;#ASMSTART
	v_pk_mul_f32 v[32:33], v[32:33], v[10:11]
	;;#ASMEND
	;;#ASMSTART
	v_pk_mul_f32 v[30:31], v[30:31], v[10:11]
	;;#ASMEND
	;;#ASMSTART
	v_pk_mul_f32 v[26:27], v[26:27], v[10:11]
	;;#ASMEND
	;;#ASMSTART
	v_pk_mul_f32 v[10:11], v[28:29], v[10:11]
	;;#ASMEND
	s_waitcnt vmcnt(1)
	v_cvt_f32_f16_sdwa v19, v6 dst_sel:DWORD dst_unused:UNUSED_PAD src0_sel:WORD_1
	v_cvt_f32_f16_e32 v18, v6
	v_cvt_f32_f16_sdwa v21, v7 dst_sel:DWORD dst_unused:UNUSED_PAD src0_sel:WORD_1
	v_cvt_f32_f16_e32 v20, v7
	;; [unrolled: 2-line block ×4, first 2 shown]
	;;#ASMSTART
	v_pk_mul_f32 v[18:19], v[12:13], v[18:19]
	;;#ASMEND
	;;#ASMSTART
	v_pk_mul_f32 v[24:25], v[14:15], v[20:21]
	;;#ASMEND
	;; [unrolled: 3-line block ×4, first 2 shown]
	s_waitcnt vmcnt(0)
	v_cvt_f32_f16_sdwa v7, v2 dst_sel:DWORD dst_unused:UNUSED_PAD src0_sel:WORD_1
	v_cvt_f32_f16_e32 v6, v2
	v_cvt_f32_f16_sdwa v9, v3 dst_sel:DWORD dst_unused:UNUSED_PAD src0_sel:WORD_1
	v_cvt_f32_f16_e32 v8, v3
	;; [unrolled: 2-line block ×4, first 2 shown]
	;;#ASMSTART
	v_pk_mul_f32 v[32:33], v[32:33], v[6:7]
	;;#ASMEND
	;;#ASMSTART
	v_pk_mul_f32 v[30:31], v[30:31], v[8:9]
	;;#ASMEND
	;; [unrolled: 3-line block ×4, first 2 shown]
.LBB1023_9:
	s_or_b64 exec, exec, s[8:9]
	s_load_dword s7, s[4:5], 0x80
	s_mov_b64 s[8:9], -1
	s_and_b64 vcc, exec, s[14:15]
	s_cbranch_vccnz .LBB1023_13
; %bb.10:
	s_andn2_b64 vcc, exec, s[8:9]
	s_cbranch_vccz .LBB1023_16
.LBB1023_11:
	s_cmp_lt_i32 s20, 1
	s_cbranch_scc0 .LBB1023_25
.LBB1023_12:
	s_endpgm
.LBB1023_13:
	s_and_saveexec_b64 s[14:15], s[2:3]
	s_cbranch_execz .LBB1023_15
; %bb.14:
	s_waitcnt lgkmcnt(0)
	s_mul_hi_i32 s9, s7, s6
	s_mul_i32 s8, s7, s6
	s_waitcnt vmcnt(0)
	v_cvt_f16_f32_e32 v2, v18
	v_cvt_f16_f32_e32 v3, v24
	;; [unrolled: 1-line block ×8, first 2 shown]
	s_lshl_b64 s[8:9], s[8:9], 1
	s_add_u32 s8, s28, s8
	s_addc_u32 s9, s29, s9
	s_and_b32 s9, s9, 0xffff
	s_mov_b32 s11, 0x20000
	v_pack_b32_f16 v5, v5, v6
	v_pack_b32_f16 v4, v4, v7
	;; [unrolled: 1-line block ×4, first 2 shown]
	v_lshlrev_b32_e32 v6, 5, v0
	buffer_store_dwordx4 v[2:5], v6, s[8:11], 0 offen
	v_cvt_f16_f32_e32 v7, v29
	v_cvt_f16_f32_e32 v2, v32
	;; [unrolled: 1-line block ×8, first 2 shown]
	v_pack_b32_f16 v5, v5, v7
	v_pack_b32_f16 v4, v4, v8
	;; [unrolled: 1-line block ×4, first 2 shown]
	;;#ASMSTART
	s_nop 0
	;;#ASMEND
	buffer_store_dwordx4 v[2:5], v6, s[8:11], 16 offen
	;;#ASMSTART
	s_nop 0
	;;#ASMEND
.LBB1023_15:
	s_or_b64 exec, exec, s[14:15]
	s_cbranch_execnz .LBB1023_11
.LBB1023_16:
	s_load_dwordx4 s[24:27], s[4:5], 0x70
	s_waitcnt vmcnt(0)
	v_mov_b32_e32 v2, 0
	s_and_saveexec_b64 s[14:15], s[2:3]
	s_cbranch_execz .LBB1023_18
; %bb.17:
	s_load_dwordx2 s[8:9], s[4:5], 0x10
	s_waitcnt lgkmcnt(0)
	s_mul_hi_i32 s35, s27, s6
	s_mul_i32 s34, s27, s6
	v_cvt_f16_f32_e32 v2, v18
	v_cvt_f16_f32_e32 v3, v24
	;; [unrolled: 1-line block ×8, first 2 shown]
	s_lshl_b64 s[34:35], s[34:35], 1
	s_add_u32 s8, s8, s34
	s_addc_u32 s9, s9, s35
	s_mov_b32 s11, 0x20000
	s_and_b32 s9, s9, 0xffff
	v_pack_b32_f16 v5, v5, v6
	v_pack_b32_f16 v4, v4, v7
	;; [unrolled: 1-line block ×4, first 2 shown]
	v_lshlrev_b32_e32 v6, 5, v0
	buffer_store_dwordx4 v[2:5], v6, s[8:11], 0 offen
	v_cvt_f16_f32_e32 v7, v29
	v_cvt_f16_f32_e32 v2, v32
	;; [unrolled: 1-line block ×8, first 2 shown]
	v_pack_b32_f16 v5, v5, v7
	v_pack_b32_f16 v4, v4, v8
	;; [unrolled: 1-line block ×4, first 2 shown]
	;;#ASMSTART
	s_nop 0
	;;#ASMEND
	buffer_store_dwordx4 v[2:5], v6, s[8:11], 16 offen
	;;#ASMSTART
	s_nop 0
	;;#ASMEND
	s_nop 0
	v_mov_b32_e32 v2, 0x2edbe6ff
.LBB1023_18:
	s_or_b64 exec, exec, s[14:15]
	s_and_saveexec_b64 s[8:9], s[2:3]
	s_cbranch_execz .LBB1023_20
; %bb.19:
	v_and_b32_e32 v3, 0x7fffffff, v18
	v_and_b32_e32 v4, 0x7fffffff, v19
	;;#ASMSTART
	v_max3_f32 v2, v2, v3, v4

	;;#ASMEND
	v_and_b32_e32 v3, 0x7fffffff, v24
	v_and_b32_e32 v4, 0x7fffffff, v25
	;;#ASMSTART
	v_max3_f32 v2, v2, v3, v4

	;;#ASMEND
	;; [unrolled: 6-line block ×8, first 2 shown]
.LBB1023_20:
	s_or_b64 exec, exec, s[8:9]
	;;#ASMSTART
	v_max_f32 v3, v2, v2 quad_perm:[1,0,3,2] row_mask:0xf bank_mask:0xf bound_ctrl:1
	;;#ASMEND
	v_and_b32_e32 v2, 1, v0
	v_cmp_eq_u32_e32 vcc, 0, v2
	v_cmp_gt_i32_e64 s[8:9], s19, v1
	s_and_b64 s[10:11], vcc, s[8:9]
	s_and_saveexec_b64 s[8:9], s[10:11]
	s_cbranch_execz .LBB1023_22
; %bb.21:
	s_load_dwordx2 s[10:11], s[4:5], 0x8
	v_mul_f32_e32 v2, 0x3e2aaaab, v3
	v_lshrrev_b32_e32 v3, 23, v2
	v_and_b32_e32 v4, 0x7f800000, v2
	v_and_b32_e32 v2, 0x7fffff, v2
	v_cmp_ne_u32_e32 vcc, 0, v2
	s_waitcnt lgkmcnt(0)
	s_mul_i32 s16, s25, s6
	s_mov_b32 s14, 0x7f800000
	v_addc_co_u32_e32 v2, vcc, 0, v3, vcc
	s_mul_hi_i32 s15, s25, s6
	s_add_u32 s10, s10, s16
	v_cmp_ne_u32_e32 vcc, s14, v4
	s_addc_u32 s11, s11, s15
	v_lshrrev_b32_e32 v5, 1, v0
	v_cndmask_b32_e32 v4, -1, v2, vcc
	v_pk_mov_b32 v[2:3], s[10:11], s[10:11] op_sel:[0,1]
	v_mad_i64_i32 v[2:3], s[10:11], s26, v5, v[2:3]
	global_store_byte v[2:3], v4, off
.LBB1023_22:
	s_or_b64 exec, exec, s[8:9]
	s_and_saveexec_b64 s[8:9], s[2:3]
	s_cbranch_execz .LBB1023_24
; %bb.23:
	s_load_dwordx2 s[2:3], s[4:5], 0x0
	s_waitcnt lgkmcnt(0)
	s_mul_i32 s11, s24, s6
	s_mul_hi_i32 s10, s24, s6
	v_mov_b32_e32 v2, 0
	v_lshlrev_b32_e32 v4, 3, v0
	s_add_u32 s24, s2, s11
	s_addc_u32 s2, s3, s10
	s_lshr_b32 s3, s19, 31
	s_add_i32 s3, s19, s3
	s_ashr_i32 s3, s3, 1
	s_add_i32 s3, s3, 3
	s_ashr_i32 s10, s3, 31
	s_lshr_b32 s10, s10, 30
	s_add_i32 s3, s3, s10
	s_and_b32 s26, s3, -4
	s_and_b32 s25, s2, 0xffff
	s_mov_b32 s27, 0x20000
	v_mov_b32_e32 v3, v2
	buffer_store_dwordx2 v[2:3], v4, s[24:27], 0 offen
	;;#ASMSTART
	s_nop 0
	;;#ASMEND
.LBB1023_24:
	s_or_b64 exec, exec, s[8:9]
	s_cmp_lt_i32 s20, 1
	s_cbranch_scc1 .LBB1023_12
.LBB1023_25:
	s_load_dword s2, s[4:5], 0x94
	s_waitcnt lgkmcnt(0)
	s_cmp_lg_u32 s2, 1
	s_cbranch_scc1 .LBB1023_12
; %bb.26:
	s_lshl_b32 s2, s20, 1
	s_add_i32 s2, s2, 2
	v_cmp_gt_u32_e32 vcc, s20, v1
	s_and_b32 s14, s2, -4
	v_mov_b32_e32 v18, 0
	v_lshlrev_b32_e32 v1, 5, v0
	v_mov_b32_e32 v14, 0
	v_mov_b32_e32 v15, 0
	;; [unrolled: 1-line block ×8, first 2 shown]
	s_waitcnt vmcnt(1)
	v_mov_b32_e32 v6, 0
	v_mov_b32_e32 v7, 0
	;; [unrolled: 1-line block ×4, first 2 shown]
	s_waitcnt vmcnt(0)
	v_mov_b32_e32 v2, 0
	v_mov_b32_e32 v3, 0
	;; [unrolled: 1-line block ×4, first 2 shown]
	s_barrier
	s_and_saveexec_b64 s[2:3], vcc
	s_cbranch_execz .LBB1023_28
; %bb.27:
	s_mul_hi_i32 s5, s22, s6
	s_mul_i32 s4, s22, s6
	s_and_b32 s13, s13, 0xffff
	s_lshl_b64 s[4:5], s[4:5], 1
	s_add_u32 s8, s30, s4
	s_mov_b32 s15, 0x20000
	s_addc_u32 s4, s31, s5
	s_and_b32 s9, s4, 0xffff
	s_mov_b32 s10, s14
	s_mov_b32 s11, s15
	buffer_load_dwordx4 v[14:17], v1, s[8:11], 0 offen
	buffer_load_dwordx4 v[10:13], v1, s[8:11], 16 offen
	;; [unrolled: 1-line block ×4, first 2 shown]
.LBB1023_28:
	s_or_b64 exec, exec, s[2:3]
	v_mov_b32_e32 v19, 0
	v_mov_b32_e32 v32, 0
	;; [unrolled: 1-line block ×15, first 2 shown]
	s_and_saveexec_b64 s[2:3], vcc
	s_cbranch_execz .LBB1023_30
; %bb.29:
	s_waitcnt vmcnt(3)
	v_cvt_f32_f16_sdwa v19, v14 dst_sel:DWORD dst_unused:UNUSED_PAD src0_sel:WORD_1
	v_cvt_f32_f16_e32 v18, v14
	v_cvt_f32_f16_sdwa v33, v15 dst_sel:DWORD dst_unused:UNUSED_PAD src0_sel:WORD_1
	v_cvt_f32_f16_e32 v32, v15
	;; [unrolled: 2-line block ×4, first 2 shown]
	s_waitcnt vmcnt(2)
	v_cvt_f32_f16_sdwa v27, v10 dst_sel:DWORD dst_unused:UNUSED_PAD src0_sel:WORD_1
	v_cvt_f32_f16_e32 v26, v10
	v_cvt_f32_f16_sdwa v25, v11 dst_sel:DWORD dst_unused:UNUSED_PAD src0_sel:WORD_1
	v_cvt_f32_f16_e32 v24, v11
	v_cvt_f32_f16_sdwa v23, v12 dst_sel:DWORD dst_unused:UNUSED_PAD src0_sel:WORD_1
	v_cvt_f32_f16_e32 v22, v12
	v_cvt_f32_f16_sdwa v21, v13 dst_sel:DWORD dst_unused:UNUSED_PAD src0_sel:WORD_1
	v_cvt_f32_f16_e32 v20, v13
.LBB1023_30:
	s_or_b64 exec, exec, s[2:3]
	s_waitcnt vmcnt(2)
	v_mul_f32_e32 v10, v19, v19
	v_fmac_f32_e32 v10, v18, v18
	v_fmac_f32_e32 v10, v32, v32
	;; [unrolled: 1-line block ×15, first 2 shown]
	s_nop 1
	v_mov_b32_dpp v11, v10 quad_perm:[1,0,3,2] row_mask:0xf bank_mask:0xf
	v_add_f32_e32 v10, v10, v11
	s_nop 1
	v_mov_b32_dpp v11, v10 quad_perm:[2,3,0,1] row_mask:0xf bank_mask:0xf
	v_add_f32_e32 v10, v10, v11
	s_nop 1
	v_mov_b32_dpp v11, v10 row_half_mirror row_mask:0xf bank_mask:0xf
	v_add_f32_e32 v10, v10, v11
	s_nop 1
	v_mov_b32_dpp v11, v10 row_mirror row_mask:0xf bank_mask:0xf
	v_add_f32_e32 v10, v10, v11
	s_nop 1
	v_mov_b32_dpp v11, v10 row_bcast:15 row_mask:0xf bank_mask:0xf
	v_add_f32_e32 v10, v10, v11
	s_nop 1
	v_mov_b32_dpp v11, v10 row_bcast:31 row_mask:0xf bank_mask:0xf
	s_and_saveexec_b64 s[2:3], s[0:1]
	s_cbranch_execz .LBB1023_32
; %bb.31:
	v_lshrrev_b32_e32 v0, 4, v0
	v_add_f32_e32 v10, v10, v11
	v_and_b32_e32 v0, 60, v0
	ds_write_b32 v0, v10
.LBB1023_32:
	s_or_b64 exec, exec, s[2:3]
	s_waitcnt lgkmcnt(0)
	s_barrier
	ds_read_b32 v0, v34
	s_waitcnt lgkmcnt(0)
	s_nop 0
	v_mov_b32_dpp v10, v0 quad_perm:[1,0,3,2] row_mask:0xf bank_mask:0xf
	v_add_f32_e32 v0, v0, v10
	s_nop 1
	v_mov_b32_dpp v10, v0 quad_perm:[2,3,0,1] row_mask:0xf bank_mask:0xf
	v_add_f32_e32 v0, v0, v10
	s_nop 1
	v_mov_b32_dpp v10, v0 row_half_mirror row_mask:0xf bank_mask:0xf
	s_and_saveexec_b64 s[0:1], vcc
	s_cbranch_execz .LBB1023_12
; %bb.33:
	v_cvt_f32_u32_e32 v11, s20
	v_add_f32_e32 v0, v0, v10
	s_mov_b32 s15, 0x20000
	v_div_scale_f32 v10, s[0:1], v11, v11, v0
	v_rcp_f32_e32 v12, v10
	v_div_scale_f32 v13, vcc, v0, v11, v0
	s_mov_b32 s0, 0x800000
	v_fma_f32 v14, -v10, v12, 1.0
	v_fmac_f32_e32 v12, v14, v12
	v_mul_f32_e32 v14, v13, v12
	v_fma_f32 v15, -v10, v14, v13
	v_fmac_f32_e32 v14, v15, v12
	v_fma_f32 v10, -v10, v14, v13
	v_div_fmas_f32 v10, v10, v12, v14
	v_div_fixup_f32 v0, v10, v11, v0
	v_add_f32_e32 v0, s17, v0
	v_mul_f32_e32 v10, 0x4b800000, v0
	v_cmp_gt_f32_e32 vcc, s0, v0
	v_cndmask_b32_e32 v0, v0, v10, vcc
	v_rsq_f32_e32 v0, v0
	s_mul_hi_i32 s1, s7, s6
	s_mul_i32 s0, s7, s6
	s_lshl_b64 s[0:1], s[0:1], 1
	v_mul_f32_e32 v10, 0x45800000, v0
	v_cndmask_b32_e32 v10, v0, v10, vcc
	v_mov_b32_e32 v11, v10
	;;#ASMSTART
	v_pk_mul_f32 v[12:13], v[18:19], v[10:11]
	;;#ASMEND
	;;#ASMSTART
	v_pk_mul_f32 v[14:15], v[32:33], v[10:11]
	;;#ASMEND
	;; [unrolled: 3-line block ×8, first 2 shown]
	s_waitcnt vmcnt(1)
	v_cvt_f32_f16_sdwa v21, v6 dst_sel:DWORD dst_unused:UNUSED_PAD src0_sel:WORD_1
	v_cvt_f32_f16_e32 v20, v6
	v_cvt_f32_f16_sdwa v29, v7 dst_sel:DWORD dst_unused:UNUSED_PAD src0_sel:WORD_1
	v_cvt_f32_f16_e32 v28, v7
	;; [unrolled: 2-line block ×4, first 2 shown]
	;;#ASMSTART
	v_pk_mul_f32 v[8:9], v[12:13], v[20:21]
	;;#ASMEND
	;;#ASMSTART
	v_pk_mul_f32 v[12:13], v[14:15], v[28:29]
	;;#ASMEND
	;; [unrolled: 3-line block ×4, first 2 shown]
	s_waitcnt vmcnt(0)
	v_cvt_f32_f16_sdwa v17, v2 dst_sel:DWORD dst_unused:UNUSED_PAD src0_sel:WORD_1
	v_cvt_f32_f16_e32 v16, v2
	v_cvt_f32_f16_sdwa v19, v3 dst_sel:DWORD dst_unused:UNUSED_PAD src0_sel:WORD_1
	v_cvt_f32_f16_e32 v18, v3
	;; [unrolled: 2-line block ×4, first 2 shown]
	;;#ASMSTART
	v_pk_mul_f32 v[16:17], v[26:27], v[16:17]
	;;#ASMEND
	;;#ASMSTART
	v_pk_mul_f32 v[18:19], v[24:25], v[18:19]
	;;#ASMEND
	;; [unrolled: 3-line block ×3, first 2 shown]
	v_cvt_f16_f32_e32 v0, v8
	v_cvt_f16_f32_e32 v2, v9
	;; [unrolled: 1-line block ×8, first 2 shown]
	s_add_u32 s12, s28, s0
	s_addc_u32 s0, s29, s1
	s_and_b32 s13, s0, 0xffff
	v_pack_b32_f16 v2, v0, v2
	v_pack_b32_f16 v3, v3, v4
	;; [unrolled: 1-line block ×4, first 2 shown]
	;;#ASMSTART
	v_pk_mul_f32 v[10:11], v[10:11], v[20:21]
	;;#ASMEND
	buffer_store_dwordx4 v[2:5], v1, s[12:15], 0 offen
	v_cvt_f16_f32_e32 v0, v16
	v_cvt_f16_f32_e32 v2, v17
	;; [unrolled: 1-line block ×8, first 2 shown]
	v_pack_b32_f16 v2, v0, v2
	v_pack_b32_f16 v3, v3, v4
	v_pack_b32_f16 v4, v5, v6
	v_pack_b32_f16 v5, v7, v8
	;;#ASMSTART
	s_nop 0
	;;#ASMEND
	buffer_store_dwordx4 v[2:5], v1, s[12:15], 16 offen
	;;#ASMSTART
	s_nop 0
	;;#ASMEND
	s_endpgm
	.section	.rodata,"a",@progbits
	.p2align	6, 0x0
	.amdhsa_kernel _ZN5aiter35fused_qk_rmsnorm_group_quant_kernelIDF16_N4opus5fp4_tELi512ELi16ELi2ELb0ELb1ELb0ELb0ELb0ELb0EEEvPT0_PvPT_S7_S7_PKS6_S9_S9_S9_S9_ffiiiiiiiiiiiii
		.amdhsa_group_segment_fixed_size 64
		.amdhsa_private_segment_fixed_size 0
		.amdhsa_kernarg_size 400
		.amdhsa_user_sgpr_count 6
		.amdhsa_user_sgpr_private_segment_buffer 1
		.amdhsa_user_sgpr_dispatch_ptr 0
		.amdhsa_user_sgpr_queue_ptr 0
		.amdhsa_user_sgpr_kernarg_segment_ptr 1
		.amdhsa_user_sgpr_dispatch_id 0
		.amdhsa_user_sgpr_flat_scratch_init 0
		.amdhsa_user_sgpr_kernarg_preload_length 0
		.amdhsa_user_sgpr_kernarg_preload_offset 0
		.amdhsa_user_sgpr_private_segment_size 0
		.amdhsa_uses_dynamic_stack 0
		.amdhsa_system_sgpr_private_segment_wavefront_offset 0
		.amdhsa_system_sgpr_workgroup_id_x 1
		.amdhsa_system_sgpr_workgroup_id_y 1
		.amdhsa_system_sgpr_workgroup_id_z 0
		.amdhsa_system_sgpr_workgroup_info 0
		.amdhsa_system_vgpr_workitem_id 0
		.amdhsa_next_free_vgpr 35
		.amdhsa_next_free_sgpr 36
		.amdhsa_accum_offset 36
		.amdhsa_reserve_vcc 1
		.amdhsa_reserve_flat_scratch 0
		.amdhsa_float_round_mode_32 0
		.amdhsa_float_round_mode_16_64 0
		.amdhsa_float_denorm_mode_32 3
		.amdhsa_float_denorm_mode_16_64 3
		.amdhsa_dx10_clamp 1
		.amdhsa_ieee_mode 1
		.amdhsa_fp16_overflow 0
		.amdhsa_tg_split 0
		.amdhsa_exception_fp_ieee_invalid_op 0
		.amdhsa_exception_fp_denorm_src 0
		.amdhsa_exception_fp_ieee_div_zero 0
		.amdhsa_exception_fp_ieee_overflow 0
		.amdhsa_exception_fp_ieee_underflow 0
		.amdhsa_exception_fp_ieee_inexact 0
		.amdhsa_exception_int_div_zero 0
	.end_amdhsa_kernel
	.section	.text._ZN5aiter35fused_qk_rmsnorm_group_quant_kernelIDF16_N4opus5fp4_tELi512ELi16ELi2ELb0ELb1ELb0ELb0ELb0ELb0EEEvPT0_PvPT_S7_S7_PKS6_S9_S9_S9_S9_ffiiiiiiiiiiiii,"axG",@progbits,_ZN5aiter35fused_qk_rmsnorm_group_quant_kernelIDF16_N4opus5fp4_tELi512ELi16ELi2ELb0ELb1ELb0ELb0ELb0ELb0EEEvPT0_PvPT_S7_S7_PKS6_S9_S9_S9_S9_ffiiiiiiiiiiiii,comdat
.Lfunc_end1023:
	.size	_ZN5aiter35fused_qk_rmsnorm_group_quant_kernelIDF16_N4opus5fp4_tELi512ELi16ELi2ELb0ELb1ELb0ELb0ELb0ELb0EEEvPT0_PvPT_S7_S7_PKS6_S9_S9_S9_S9_ffiiiiiiiiiiiii, .Lfunc_end1023-_ZN5aiter35fused_qk_rmsnorm_group_quant_kernelIDF16_N4opus5fp4_tELi512ELi16ELi2ELb0ELb1ELb0ELb0ELb0ELb0EEEvPT0_PvPT_S7_S7_PKS6_S9_S9_S9_S9_ffiiiiiiiiiiiii
                                        ; -- End function
	.section	.AMDGPU.csdata,"",@progbits
; Kernel info:
; codeLenInByte = 3364
; NumSgprs: 40
; NumVgprs: 35
; NumAgprs: 0
; TotalNumVgprs: 35
; ScratchSize: 0
; MemoryBound: 0
; FloatMode: 240
; IeeeMode: 1
; LDSByteSize: 64 bytes/workgroup (compile time only)
; SGPRBlocks: 4
; VGPRBlocks: 4
; NumSGPRsForWavesPerEU: 40
; NumVGPRsForWavesPerEU: 35
; AccumOffset: 36
; Occupancy: 8
; WaveLimiterHint : 0
; COMPUTE_PGM_RSRC2:SCRATCH_EN: 0
; COMPUTE_PGM_RSRC2:USER_SGPR: 6
; COMPUTE_PGM_RSRC2:TRAP_HANDLER: 0
; COMPUTE_PGM_RSRC2:TGID_X_EN: 1
; COMPUTE_PGM_RSRC2:TGID_Y_EN: 1
; COMPUTE_PGM_RSRC2:TGID_Z_EN: 0
; COMPUTE_PGM_RSRC2:TIDIG_COMP_CNT: 0
; COMPUTE_PGM_RSRC3_GFX90A:ACCUM_OFFSET: 8
; COMPUTE_PGM_RSRC3_GFX90A:TG_SPLIT: 0
	.section	.text._ZN5aiter35fused_qk_rmsnorm_group_quant_kernelItN4opus5fp4_tELi512ELi16ELi2ELb0ELb1ELb0ELb0ELb0ELb0EEEvPT0_PvPT_S7_S7_PKS6_S9_S9_S9_S9_ffiiiiiiiiiiiii,"axG",@progbits,_ZN5aiter35fused_qk_rmsnorm_group_quant_kernelItN4opus5fp4_tELi512ELi16ELi2ELb0ELb1ELb0ELb0ELb0ELb0EEEvPT0_PvPT_S7_S7_PKS6_S9_S9_S9_S9_ffiiiiiiiiiiiii,comdat
	.protected	_ZN5aiter35fused_qk_rmsnorm_group_quant_kernelItN4opus5fp4_tELi512ELi16ELi2ELb0ELb1ELb0ELb0ELb0ELb0EEEvPT0_PvPT_S7_S7_PKS6_S9_S9_S9_S9_ffiiiiiiiiiiiii ; -- Begin function _ZN5aiter35fused_qk_rmsnorm_group_quant_kernelItN4opus5fp4_tELi512ELi16ELi2ELb0ELb1ELb0ELb0ELb0ELb0EEEvPT0_PvPT_S7_S7_PKS6_S9_S9_S9_S9_ffiiiiiiiiiiiii
	.globl	_ZN5aiter35fused_qk_rmsnorm_group_quant_kernelItN4opus5fp4_tELi512ELi16ELi2ELb0ELb1ELb0ELb0ELb0ELb0EEEvPT0_PvPT_S7_S7_PKS6_S9_S9_S9_S9_ffiiiiiiiiiiiii
	.p2align	8
	.type	_ZN5aiter35fused_qk_rmsnorm_group_quant_kernelItN4opus5fp4_tELi512ELi16ELi2ELb0ELb1ELb0ELb0ELb0ELb0EEEvPT0_PvPT_S7_S7_PKS6_S9_S9_S9_S9_ffiiiiiiiiiiiii,@function
_ZN5aiter35fused_qk_rmsnorm_group_quant_kernelItN4opus5fp4_tELi512ELi16ELi2ELb0ELb1ELb0ELb0ELb0ELb0EEEvPT0_PvPT_S7_S7_PKS6_S9_S9_S9_S9_ffiiiiiiiiiiiii: ; @_ZN5aiter35fused_qk_rmsnorm_group_quant_kernelItN4opus5fp4_tELi512ELi16ELi2ELb0ELb1ELb0ELb0ELb0ELb0EEEvPT0_PvPT_S7_S7_PKS6_S9_S9_S9_S9_ffiiiiiiiiiiiii
; %bb.0:
	s_load_dwordx4 s[16:19], s[4:5], 0x50
	s_waitcnt lgkmcnt(0)
	s_cmp_ge_i32 s6, s18
	s_cbranch_scc1 .LBB1024_12
; %bb.1:
	s_load_dwordx2 s[12:13], s[4:5], 0x48
	s_load_dwordx2 s[30:31], s[4:5], 0x30
	s_load_dwordx4 s[20:23], s[4:5], 0x60
	s_cmp_lg_u32 s7, 0
	s_cselect_b64 s[14:15], -1, 0
	s_cmp_eq_u32 s7, 0
	s_cselect_b64 vcc, -1, 0
	s_and_b64 s[0:1], vcc, exec
	s_waitcnt lgkmcnt(0)
	s_cselect_b32 s7, s19, s20
	s_add_i32 s0, s7, 1
	s_lshr_b32 s1, s0, 31
	s_add_i32 s0, s0, s1
	s_lshl_b32 s0, s0, 1
	v_lshlrev_b32_e32 v1, 4, v0
	s_and_b32 s10, s0, -4
	v_cmp_gt_i32_e64 s[2:3], s7, v1
	v_mov_b32_e32 v18, 0
	v_mov_b32_e32 v6, 0
	;; [unrolled: 1-line block ×17, first 2 shown]
	s_and_saveexec_b64 s[0:1], s[2:3]
	s_cbranch_execz .LBB1024_3
; %bb.2:
	s_load_dwordx2 s[8:9], s[4:5], 0x28
	s_load_dwordx2 s[26:27], s[4:5], 0x40
	s_and_b64 s[24:25], vcc, exec
	s_cselect_b32 s11, s21, s22
	v_lshlrev_b32_e32 v19, 5, v0
	s_waitcnt lgkmcnt(0)
	s_cselect_b32 s18, s9, s31
	s_cselect_b32 s21, s8, s30
	s_mul_hi_i32 s9, s11, s6
	s_mul_i32 s8, s11, s6
	s_lshl_b64 s[8:9], s[8:9], 1
	s_add_u32 s24, s21, s8
	s_addc_u32 s18, s18, s9
	s_and_b64 s[8:9], vcc, exec
	s_mov_b32 s11, 0x20000
	s_cselect_b32 s8, s26, s12
	s_cselect_b32 s9, s27, s13
	s_and_b32 s25, s18, 0xffff
	s_mov_b32 s26, s10
	s_mov_b32 s27, s11
	s_and_b32 s9, s9, 0xffff
	buffer_load_dwordx4 v[14:17], v19, s[24:27], 0 offen
	buffer_load_dwordx4 v[10:13], v19, s[24:27], 16 offen
	;; [unrolled: 1-line block ×4, first 2 shown]
.LBB1024_3:
	s_or_b64 exec, exec, s[0:1]
	v_mov_b32_e32 v19, 0
	v_mov_b32_e32 v24, 0
	;; [unrolled: 1-line block ×15, first 2 shown]
	s_and_saveexec_b64 s[0:1], s[2:3]
	s_cbranch_execz .LBB1024_5
; %bb.4:
	s_waitcnt vmcnt(3)
	v_cvt_f32_u32_sdwa v18, v14 dst_sel:DWORD dst_unused:UNUSED_PAD src0_sel:WORD_0
	v_cvt_f32_u32_sdwa v19, v14 dst_sel:DWORD dst_unused:UNUSED_PAD src0_sel:WORD_1
	v_cvt_f32_u32_sdwa v24, v15 dst_sel:DWORD dst_unused:UNUSED_PAD src0_sel:WORD_0
	v_cvt_f32_u32_sdwa v25, v15 dst_sel:DWORD dst_unused:UNUSED_PAD src0_sel:WORD_1
	;; [unrolled: 2-line block ×4, first 2 shown]
	s_waitcnt vmcnt(2)
	v_cvt_f32_u32_sdwa v32, v10 dst_sel:DWORD dst_unused:UNUSED_PAD src0_sel:WORD_0
	v_cvt_f32_u32_sdwa v33, v10 dst_sel:DWORD dst_unused:UNUSED_PAD src0_sel:WORD_1
	v_cvt_f32_u32_sdwa v30, v11 dst_sel:DWORD dst_unused:UNUSED_PAD src0_sel:WORD_0
	v_cvt_f32_u32_sdwa v31, v11 dst_sel:DWORD dst_unused:UNUSED_PAD src0_sel:WORD_1
	;; [unrolled: 2-line block ×4, first 2 shown]
.LBB1024_5:
	s_or_b64 exec, exec, s[0:1]
	s_waitcnt vmcnt(2)
	v_mul_f32_e32 v10, v19, v19
	v_fmac_f32_e32 v10, v18, v18
	v_fmac_f32_e32 v10, v24, v24
	;; [unrolled: 1-line block ×15, first 2 shown]
	v_and_b32_e32 v12, 63, v0
	v_cmp_eq_u32_e64 s[0:1], 63, v12
	v_mov_b32_dpp v11, v10 quad_perm:[1,0,3,2] row_mask:0xf bank_mask:0xf
	v_add_f32_e32 v10, v10, v11
	s_nop 1
	v_mov_b32_dpp v11, v10 quad_perm:[2,3,0,1] row_mask:0xf bank_mask:0xf
	v_add_f32_e32 v10, v10, v11
	s_nop 1
	v_mov_b32_dpp v11, v10 row_half_mirror row_mask:0xf bank_mask:0xf
	v_add_f32_e32 v10, v10, v11
	s_nop 1
	v_mov_b32_dpp v11, v10 row_mirror row_mask:0xf bank_mask:0xf
	v_add_f32_e32 v10, v10, v11
	s_nop 1
	v_mov_b32_dpp v11, v10 row_bcast:15 row_mask:0xf bank_mask:0xf
	v_add_f32_e32 v10, v10, v11
	s_nop 1
	v_mov_b32_dpp v11, v10 row_bcast:31 row_mask:0xf bank_mask:0xf
	s_and_saveexec_b64 s[8:9], s[0:1]
	s_cbranch_execz .LBB1024_7
; %bb.6:
	v_add_f32_e32 v10, v10, v11
	v_lshrrev_b32_e32 v11, 4, v0
	v_and_b32_e32 v11, 60, v11
	ds_write_b32 v11, v10 offset:32
.LBB1024_7:
	s_or_b64 exec, exec, s[8:9]
	v_and_b32_e32 v10, 7, v0
	v_lshlrev_b32_e32 v34, 2, v10
	s_waitcnt lgkmcnt(0)
	s_barrier
	ds_read_b32 v10, v34 offset:32
	s_load_dwordx2 s[28:29], s[4:5], 0x18
	s_waitcnt lgkmcnt(0)
	v_mov_b32_dpp v11, v10 quad_perm:[1,0,3,2] row_mask:0xf bank_mask:0xf
	v_add_f32_e32 v10, v10, v11
	s_nop 1
	v_mov_b32_dpp v11, v10 quad_perm:[2,3,0,1] row_mask:0xf bank_mask:0xf
	v_add_f32_e32 v10, v10, v11
	s_nop 1
	v_mov_b32_dpp v11, v10 row_half_mirror row_mask:0xf bank_mask:0xf
	s_and_saveexec_b64 s[8:9], s[2:3]
	s_cbranch_execz .LBB1024_9
; %bb.8:
	v_cvt_f32_u32_e32 v12, s7
	v_add_f32_e32 v10, v10, v11
	v_mov_b32_e32 v14, s17
	v_mov_b32_e32 v15, s16
	v_div_scale_f32 v11, s[24:25], v12, v12, v10
	v_rcp_f32_e32 v13, v11
	v_cndmask_b32_e32 v14, v14, v15, vcc
	s_mov_b32 s7, 0x800000
	v_fma_f32 v15, -v11, v13, 1.0
	v_fmac_f32_e32 v13, v15, v13
	v_div_scale_f32 v15, vcc, v10, v12, v10
	v_mul_f32_e32 v16, v15, v13
	v_fma_f32 v17, -v11, v16, v15
	v_fmac_f32_e32 v16, v17, v13
	v_fma_f32 v11, -v11, v16, v15
	v_div_fmas_f32 v11, v11, v13, v16
	v_div_fixup_f32 v10, v11, v12, v10
	v_add_f32_e32 v10, v14, v10
	v_mul_f32_e32 v11, 0x4b800000, v10
	v_cmp_gt_f32_e32 vcc, s7, v10
	v_cndmask_b32_e32 v10, v10, v11, vcc
	v_rsq_f32_e32 v10, v10
	v_mul_f32_e32 v11, 0x45800000, v10
	v_cndmask_b32_e32 v10, v10, v11, vcc
	v_mov_b32_e32 v11, v10
	;;#ASMSTART
	v_pk_mul_f32 v[12:13], v[18:19], v[10:11]
	;;#ASMEND
	;;#ASMSTART
	v_pk_mul_f32 v[14:15], v[24:25], v[10:11]
	;;#ASMEND
	;; [unrolled: 3-line block ×8, first 2 shown]
	s_waitcnt vmcnt(1)
	v_cvt_f32_u32_sdwa v19, v6 dst_sel:DWORD dst_unused:UNUSED_PAD src0_sel:WORD_1
	v_cvt_f32_u32_sdwa v18, v6 dst_sel:DWORD dst_unused:UNUSED_PAD src0_sel:WORD_0
	v_cvt_f32_u32_sdwa v21, v7 dst_sel:DWORD dst_unused:UNUSED_PAD src0_sel:WORD_1
	v_cvt_f32_u32_sdwa v20, v7 dst_sel:DWORD dst_unused:UNUSED_PAD src0_sel:WORD_0
	;; [unrolled: 2-line block ×4, first 2 shown]
	;;#ASMSTART
	v_pk_mul_f32 v[18:19], v[12:13], v[18:19]
	;;#ASMEND
	;;#ASMSTART
	v_pk_mul_f32 v[24:25], v[14:15], v[20:21]
	;;#ASMEND
	;; [unrolled: 3-line block ×4, first 2 shown]
	s_waitcnt vmcnt(0)
	v_cvt_f32_u32_sdwa v7, v2 dst_sel:DWORD dst_unused:UNUSED_PAD src0_sel:WORD_1
	v_cvt_f32_u32_sdwa v6, v2 dst_sel:DWORD dst_unused:UNUSED_PAD src0_sel:WORD_0
	v_cvt_f32_u32_sdwa v9, v3 dst_sel:DWORD dst_unused:UNUSED_PAD src0_sel:WORD_1
	v_cvt_f32_u32_sdwa v8, v3 dst_sel:DWORD dst_unused:UNUSED_PAD src0_sel:WORD_0
	;; [unrolled: 2-line block ×4, first 2 shown]
	;;#ASMSTART
	v_pk_mul_f32 v[32:33], v[32:33], v[6:7]
	;;#ASMEND
	;;#ASMSTART
	v_pk_mul_f32 v[30:31], v[30:31], v[8:9]
	;;#ASMEND
	;; [unrolled: 3-line block ×4, first 2 shown]
.LBB1024_9:
	s_or_b64 exec, exec, s[8:9]
	s_load_dword s7, s[4:5], 0x80
	s_mov_b64 s[8:9], -1
	s_and_b64 vcc, exec, s[14:15]
	s_cbranch_vccnz .LBB1024_13
; %bb.10:
	s_andn2_b64 vcc, exec, s[8:9]
	s_cbranch_vccz .LBB1024_16
.LBB1024_11:
	s_cmp_lt_i32 s20, 1
	s_cbranch_scc0 .LBB1024_25
.LBB1024_12:
	s_endpgm
.LBB1024_13:
	s_and_saveexec_b64 s[14:15], s[2:3]
	s_cbranch_execz .LBB1024_15
; %bb.14:
	s_waitcnt lgkmcnt(0)
	s_mul_hi_i32 s9, s7, s6
	s_mul_i32 s8, s7, s6
	s_lshl_b64 s[8:9], s[8:9], 1
	s_add_u32 s8, s28, s8
	s_addc_u32 s9, s29, s9
	s_mov_b32 s16, 0x7060302
	s_and_b32 s9, s9, 0xffff
	s_mov_b32 s11, 0x20000
	s_waitcnt vmcnt(0)
	v_perm_b32 v5, v23, v22, s16
	v_perm_b32 v4, v21, v20, s16
	;; [unrolled: 1-line block ×4, first 2 shown]
	v_lshlrev_b32_e32 v6, 5, v0
	buffer_store_dwordx4 v[2:5], v6, s[8:11], 0 offen
	;;#ASMSTART
	s_nop 0
	;;#ASMEND
	s_nop 0
	v_perm_b32 v5, v29, v28, s16
	v_perm_b32 v4, v27, v26, s16
	;; [unrolled: 1-line block ×4, first 2 shown]
	buffer_store_dwordx4 v[2:5], v6, s[8:11], 16 offen
	;;#ASMSTART
	s_nop 0
	;;#ASMEND
.LBB1024_15:
	s_or_b64 exec, exec, s[14:15]
	s_cbranch_execnz .LBB1024_11
.LBB1024_16:
	s_load_dwordx4 s[24:27], s[4:5], 0x70
	s_waitcnt vmcnt(0)
	v_mov_b32_e32 v2, 0
	s_and_saveexec_b64 s[14:15], s[2:3]
	s_cbranch_execz .LBB1024_18
; %bb.17:
	s_load_dwordx2 s[8:9], s[4:5], 0x10
	s_waitcnt lgkmcnt(0)
	s_mul_hi_i32 s35, s27, s6
	s_mul_i32 s34, s27, s6
	s_lshl_b64 s[34:35], s[34:35], 1
	s_mov_b32 s16, 0x7060302
	s_add_u32 s8, s8, s34
	s_addc_u32 s9, s9, s35
	s_mov_b32 s11, 0x20000
	s_and_b32 s9, s9, 0xffff
	v_perm_b32 v5, v23, v22, s16
	v_perm_b32 v4, v21, v20, s16
	;; [unrolled: 1-line block ×4, first 2 shown]
	v_lshlrev_b32_e32 v6, 5, v0
	buffer_store_dwordx4 v[2:5], v6, s[8:11], 0 offen
	;;#ASMSTART
	s_nop 0
	;;#ASMEND
	s_nop 0
	v_perm_b32 v5, v29, v28, s16
	v_perm_b32 v4, v27, v26, s16
	;; [unrolled: 1-line block ×4, first 2 shown]
	buffer_store_dwordx4 v[2:5], v6, s[8:11], 16 offen
	;;#ASMSTART
	s_nop 0
	;;#ASMEND
	s_nop 0
	v_mov_b32_e32 v2, 0x2edbe6ff
.LBB1024_18:
	s_or_b64 exec, exec, s[14:15]
	s_and_saveexec_b64 s[8:9], s[2:3]
	s_cbranch_execz .LBB1024_20
; %bb.19:
	v_and_b32_e32 v3, 0x7fffffff, v18
	v_and_b32_e32 v4, 0x7fffffff, v19
	;;#ASMSTART
	v_max3_f32 v2, v2, v3, v4

	;;#ASMEND
	v_and_b32_e32 v3, 0x7fffffff, v24
	v_and_b32_e32 v4, 0x7fffffff, v25
	;;#ASMSTART
	v_max3_f32 v2, v2, v3, v4

	;;#ASMEND
	;; [unrolled: 6-line block ×8, first 2 shown]
.LBB1024_20:
	s_or_b64 exec, exec, s[8:9]
	;;#ASMSTART
	v_max_f32 v3, v2, v2 quad_perm:[1,0,3,2] row_mask:0xf bank_mask:0xf bound_ctrl:1
	;;#ASMEND
	v_and_b32_e32 v2, 1, v0
	v_cmp_eq_u32_e32 vcc, 0, v2
	v_cmp_gt_i32_e64 s[8:9], s19, v1
	s_and_b64 s[10:11], vcc, s[8:9]
	s_and_saveexec_b64 s[8:9], s[10:11]
	s_cbranch_execz .LBB1024_22
; %bb.21:
	s_load_dwordx2 s[10:11], s[4:5], 0x8
	v_mul_f32_e32 v2, 0x3e2aaaab, v3
	v_lshrrev_b32_e32 v3, 23, v2
	v_and_b32_e32 v4, 0x7f800000, v2
	v_and_b32_e32 v2, 0x7fffff, v2
	v_cmp_ne_u32_e32 vcc, 0, v2
	s_waitcnt lgkmcnt(0)
	s_mul_i32 s16, s25, s6
	s_mov_b32 s14, 0x7f800000
	v_addc_co_u32_e32 v2, vcc, 0, v3, vcc
	s_mul_hi_i32 s15, s25, s6
	s_add_u32 s10, s10, s16
	v_cmp_ne_u32_e32 vcc, s14, v4
	s_addc_u32 s11, s11, s15
	v_lshrrev_b32_e32 v5, 1, v0
	v_cndmask_b32_e32 v4, -1, v2, vcc
	v_pk_mov_b32 v[2:3], s[10:11], s[10:11] op_sel:[0,1]
	v_mad_i64_i32 v[2:3], s[10:11], s26, v5, v[2:3]
	global_store_byte v[2:3], v4, off
.LBB1024_22:
	s_or_b64 exec, exec, s[8:9]
	s_and_saveexec_b64 s[8:9], s[2:3]
	s_cbranch_execz .LBB1024_24
; %bb.23:
	s_load_dwordx2 s[2:3], s[4:5], 0x0
	s_waitcnt lgkmcnt(0)
	s_mul_i32 s11, s24, s6
	s_mul_hi_i32 s10, s24, s6
	v_mov_b32_e32 v2, 0
	v_lshlrev_b32_e32 v4, 3, v0
	s_add_u32 s24, s2, s11
	s_addc_u32 s2, s3, s10
	s_lshr_b32 s3, s19, 31
	s_add_i32 s3, s19, s3
	s_ashr_i32 s3, s3, 1
	s_add_i32 s3, s3, 3
	s_ashr_i32 s10, s3, 31
	s_lshr_b32 s10, s10, 30
	s_add_i32 s3, s3, s10
	s_and_b32 s26, s3, -4
	s_and_b32 s25, s2, 0xffff
	s_mov_b32 s27, 0x20000
	v_mov_b32_e32 v3, v2
	buffer_store_dwordx2 v[2:3], v4, s[24:27], 0 offen
	;;#ASMSTART
	s_nop 0
	;;#ASMEND
.LBB1024_24:
	s_or_b64 exec, exec, s[8:9]
	s_cmp_lt_i32 s20, 1
	s_cbranch_scc1 .LBB1024_12
.LBB1024_25:
	s_load_dword s2, s[4:5], 0x94
	s_waitcnt lgkmcnt(0)
	s_cmp_lg_u32 s2, 1
	s_cbranch_scc1 .LBB1024_12
; %bb.26:
	s_lshl_b32 s2, s20, 1
	s_add_i32 s2, s2, 2
	v_cmp_gt_u32_e32 vcc, s20, v1
	s_and_b32 s14, s2, -4
	v_mov_b32_e32 v18, 0
	v_lshlrev_b32_e32 v1, 5, v0
	v_mov_b32_e32 v14, 0
	v_mov_b32_e32 v15, 0
	;; [unrolled: 1-line block ×8, first 2 shown]
	s_waitcnt vmcnt(1)
	v_mov_b32_e32 v6, 0
	v_mov_b32_e32 v7, 0
	;; [unrolled: 1-line block ×4, first 2 shown]
	s_waitcnt vmcnt(0)
	v_mov_b32_e32 v2, 0
	v_mov_b32_e32 v3, 0
	;; [unrolled: 1-line block ×4, first 2 shown]
	s_barrier
	s_and_saveexec_b64 s[2:3], vcc
	s_cbranch_execz .LBB1024_28
; %bb.27:
	s_mul_hi_i32 s5, s22, s6
	s_mul_i32 s4, s22, s6
	s_and_b32 s13, s13, 0xffff
	s_lshl_b64 s[4:5], s[4:5], 1
	s_add_u32 s8, s30, s4
	s_mov_b32 s15, 0x20000
	s_addc_u32 s4, s31, s5
	s_and_b32 s9, s4, 0xffff
	s_mov_b32 s10, s14
	s_mov_b32 s11, s15
	buffer_load_dwordx4 v[14:17], v1, s[8:11], 0 offen
	buffer_load_dwordx4 v[10:13], v1, s[8:11], 16 offen
	;; [unrolled: 1-line block ×4, first 2 shown]
.LBB1024_28:
	s_or_b64 exec, exec, s[2:3]
	v_mov_b32_e32 v19, 0
	v_mov_b32_e32 v32, 0
	;; [unrolled: 1-line block ×15, first 2 shown]
	s_and_saveexec_b64 s[2:3], vcc
	s_cbranch_execz .LBB1024_30
; %bb.29:
	s_waitcnt vmcnt(3)
	v_cvt_f32_u32_sdwa v18, v14 dst_sel:DWORD dst_unused:UNUSED_PAD src0_sel:WORD_0
	v_cvt_f32_u32_sdwa v19, v14 dst_sel:DWORD dst_unused:UNUSED_PAD src0_sel:WORD_1
	v_cvt_f32_u32_sdwa v32, v15 dst_sel:DWORD dst_unused:UNUSED_PAD src0_sel:WORD_0
	v_cvt_f32_u32_sdwa v33, v15 dst_sel:DWORD dst_unused:UNUSED_PAD src0_sel:WORD_1
	;; [unrolled: 2-line block ×4, first 2 shown]
	s_waitcnt vmcnt(2)
	v_cvt_f32_u32_sdwa v26, v10 dst_sel:DWORD dst_unused:UNUSED_PAD src0_sel:WORD_0
	v_cvt_f32_u32_sdwa v27, v10 dst_sel:DWORD dst_unused:UNUSED_PAD src0_sel:WORD_1
	v_cvt_f32_u32_sdwa v24, v11 dst_sel:DWORD dst_unused:UNUSED_PAD src0_sel:WORD_0
	v_cvt_f32_u32_sdwa v25, v11 dst_sel:DWORD dst_unused:UNUSED_PAD src0_sel:WORD_1
	;; [unrolled: 2-line block ×4, first 2 shown]
.LBB1024_30:
	s_or_b64 exec, exec, s[2:3]
	s_waitcnt vmcnt(2)
	v_mul_f32_e32 v10, v19, v19
	v_fmac_f32_e32 v10, v18, v18
	v_fmac_f32_e32 v10, v32, v32
	;; [unrolled: 1-line block ×15, first 2 shown]
	s_nop 1
	v_mov_b32_dpp v11, v10 quad_perm:[1,0,3,2] row_mask:0xf bank_mask:0xf
	v_add_f32_e32 v10, v10, v11
	s_nop 1
	v_mov_b32_dpp v11, v10 quad_perm:[2,3,0,1] row_mask:0xf bank_mask:0xf
	v_add_f32_e32 v10, v10, v11
	s_nop 1
	v_mov_b32_dpp v11, v10 row_half_mirror row_mask:0xf bank_mask:0xf
	v_add_f32_e32 v10, v10, v11
	s_nop 1
	v_mov_b32_dpp v11, v10 row_mirror row_mask:0xf bank_mask:0xf
	v_add_f32_e32 v10, v10, v11
	s_nop 1
	v_mov_b32_dpp v11, v10 row_bcast:15 row_mask:0xf bank_mask:0xf
	v_add_f32_e32 v10, v10, v11
	s_nop 1
	v_mov_b32_dpp v11, v10 row_bcast:31 row_mask:0xf bank_mask:0xf
	s_and_saveexec_b64 s[2:3], s[0:1]
	s_cbranch_execz .LBB1024_32
; %bb.31:
	v_lshrrev_b32_e32 v0, 4, v0
	v_add_f32_e32 v10, v10, v11
	v_and_b32_e32 v0, 60, v0
	ds_write_b32 v0, v10
.LBB1024_32:
	s_or_b64 exec, exec, s[2:3]
	s_waitcnt lgkmcnt(0)
	s_barrier
	ds_read_b32 v0, v34
	s_waitcnt lgkmcnt(0)
	s_nop 0
	v_mov_b32_dpp v10, v0 quad_perm:[1,0,3,2] row_mask:0xf bank_mask:0xf
	v_add_f32_e32 v0, v0, v10
	s_nop 1
	v_mov_b32_dpp v10, v0 quad_perm:[2,3,0,1] row_mask:0xf bank_mask:0xf
	v_add_f32_e32 v0, v0, v10
	s_nop 1
	v_mov_b32_dpp v10, v0 row_half_mirror row_mask:0xf bank_mask:0xf
	s_and_saveexec_b64 s[0:1], vcc
	s_cbranch_execz .LBB1024_12
; %bb.33:
	v_cvt_f32_u32_e32 v11, s20
	v_add_f32_e32 v0, v0, v10
	s_mov_b32 s15, 0x20000
	v_div_scale_f32 v10, s[0:1], v11, v11, v0
	v_rcp_f32_e32 v12, v10
	v_div_scale_f32 v13, vcc, v0, v11, v0
	s_mov_b32 s0, 0x800000
	v_fma_f32 v14, -v10, v12, 1.0
	v_fmac_f32_e32 v12, v14, v12
	v_mul_f32_e32 v14, v13, v12
	v_fma_f32 v15, -v10, v14, v13
	v_fmac_f32_e32 v14, v15, v12
	v_fma_f32 v10, -v10, v14, v13
	v_div_fmas_f32 v10, v10, v12, v14
	v_div_fixup_f32 v0, v10, v11, v0
	v_add_f32_e32 v0, s17, v0
	v_mul_f32_e32 v10, 0x4b800000, v0
	v_cmp_gt_f32_e32 vcc, s0, v0
	v_cndmask_b32_e32 v0, v0, v10, vcc
	v_rsq_f32_e32 v0, v0
	s_mul_hi_i32 s1, s7, s6
	s_mul_i32 s0, s7, s6
	s_lshl_b64 s[0:1], s[0:1], 1
	v_mul_f32_e32 v10, 0x45800000, v0
	v_cndmask_b32_e32 v10, v0, v10, vcc
	v_mov_b32_e32 v11, v10
	s_add_u32 s12, s28, s0
	;;#ASMSTART
	v_pk_mul_f32 v[12:13], v[18:19], v[10:11]
	;;#ASMEND
	;;#ASMSTART
	v_pk_mul_f32 v[14:15], v[32:33], v[10:11]
	;;#ASMEND
	;; [unrolled: 3-line block ×8, first 2 shown]
	s_waitcnt vmcnt(1)
	v_cvt_f32_u32_sdwa v21, v6 dst_sel:DWORD dst_unused:UNUSED_PAD src0_sel:WORD_1
	v_cvt_f32_u32_sdwa v20, v6 dst_sel:DWORD dst_unused:UNUSED_PAD src0_sel:WORD_0
	v_cvt_f32_u32_sdwa v29, v7 dst_sel:DWORD dst_unused:UNUSED_PAD src0_sel:WORD_1
	v_cvt_f32_u32_sdwa v28, v7 dst_sel:DWORD dst_unused:UNUSED_PAD src0_sel:WORD_0
	;; [unrolled: 2-line block ×3, first 2 shown]
	s_addc_u32 s0, s29, s1
	v_cvt_f32_u32_sdwa v31, v9 dst_sel:DWORD dst_unused:UNUSED_PAD src0_sel:WORD_1
	v_cvt_f32_u32_sdwa v30, v9 dst_sel:DWORD dst_unused:UNUSED_PAD src0_sel:WORD_0
	;;#ASMSTART
	v_pk_mul_f32 v[8:9], v[12:13], v[20:21]
	;;#ASMEND
	;;#ASMSTART
	v_pk_mul_f32 v[12:13], v[14:15], v[28:29]
	;;#ASMEND
	;; [unrolled: 3-line block ×4, first 2 shown]
	s_waitcnt vmcnt(0)
	v_cvt_f32_u32_sdwa v17, v2 dst_sel:DWORD dst_unused:UNUSED_PAD src0_sel:WORD_1
	v_cvt_f32_u32_sdwa v16, v2 dst_sel:DWORD dst_unused:UNUSED_PAD src0_sel:WORD_0
	v_cvt_f32_u32_sdwa v19, v3 dst_sel:DWORD dst_unused:UNUSED_PAD src0_sel:WORD_1
	v_cvt_f32_u32_sdwa v18, v3 dst_sel:DWORD dst_unused:UNUSED_PAD src0_sel:WORD_0
	;; [unrolled: 2-line block ×3, first 2 shown]
	s_and_b32 s13, s0, 0xffff
	s_mov_b32 s0, 0x7060302
	v_cvt_f32_u32_sdwa v21, v5 dst_sel:DWORD dst_unused:UNUSED_PAD src0_sel:WORD_1
	v_cvt_f32_u32_sdwa v20, v5 dst_sel:DWORD dst_unused:UNUSED_PAD src0_sel:WORD_0
	;;#ASMSTART
	v_pk_mul_f32 v[16:17], v[26:27], v[16:17]
	;;#ASMEND
	;;#ASMSTART
	v_pk_mul_f32 v[18:19], v[24:25], v[18:19]
	;;#ASMEND
	;; [unrolled: 3-line block ×3, first 2 shown]
	v_perm_b32 v2, v9, v8, s0
	v_perm_b32 v3, v13, v12, s0
	;; [unrolled: 1-line block ×4, first 2 shown]
	;;#ASMSTART
	v_pk_mul_f32 v[10:11], v[10:11], v[20:21]
	;;#ASMEND
	buffer_store_dwordx4 v[2:5], v1, s[12:15], 0 offen
	;;#ASMSTART
	s_nop 0
	;;#ASMEND
	s_nop 0
	v_perm_b32 v2, v17, v16, s0
	v_perm_b32 v3, v19, v18, s0
	;; [unrolled: 1-line block ×4, first 2 shown]
	buffer_store_dwordx4 v[2:5], v1, s[12:15], 16 offen
	;;#ASMSTART
	s_nop 0
	;;#ASMEND
	s_endpgm
	.section	.rodata,"a",@progbits
	.p2align	6, 0x0
	.amdhsa_kernel _ZN5aiter35fused_qk_rmsnorm_group_quant_kernelItN4opus5fp4_tELi512ELi16ELi2ELb0ELb1ELb0ELb0ELb0ELb0EEEvPT0_PvPT_S7_S7_PKS6_S9_S9_S9_S9_ffiiiiiiiiiiiii
		.amdhsa_group_segment_fixed_size 64
		.amdhsa_private_segment_fixed_size 0
		.amdhsa_kernarg_size 400
		.amdhsa_user_sgpr_count 6
		.amdhsa_user_sgpr_private_segment_buffer 1
		.amdhsa_user_sgpr_dispatch_ptr 0
		.amdhsa_user_sgpr_queue_ptr 0
		.amdhsa_user_sgpr_kernarg_segment_ptr 1
		.amdhsa_user_sgpr_dispatch_id 0
		.amdhsa_user_sgpr_flat_scratch_init 0
		.amdhsa_user_sgpr_kernarg_preload_length 0
		.amdhsa_user_sgpr_kernarg_preload_offset 0
		.amdhsa_user_sgpr_private_segment_size 0
		.amdhsa_uses_dynamic_stack 0
		.amdhsa_system_sgpr_private_segment_wavefront_offset 0
		.amdhsa_system_sgpr_workgroup_id_x 1
		.amdhsa_system_sgpr_workgroup_id_y 1
		.amdhsa_system_sgpr_workgroup_id_z 0
		.amdhsa_system_sgpr_workgroup_info 0
		.amdhsa_system_vgpr_workitem_id 0
		.amdhsa_next_free_vgpr 35
		.amdhsa_next_free_sgpr 36
		.amdhsa_accum_offset 36
		.amdhsa_reserve_vcc 1
		.amdhsa_reserve_flat_scratch 0
		.amdhsa_float_round_mode_32 0
		.amdhsa_float_round_mode_16_64 0
		.amdhsa_float_denorm_mode_32 3
		.amdhsa_float_denorm_mode_16_64 3
		.amdhsa_dx10_clamp 1
		.amdhsa_ieee_mode 1
		.amdhsa_fp16_overflow 0
		.amdhsa_tg_split 0
		.amdhsa_exception_fp_ieee_invalid_op 0
		.amdhsa_exception_fp_denorm_src 0
		.amdhsa_exception_fp_ieee_div_zero 0
		.amdhsa_exception_fp_ieee_overflow 0
		.amdhsa_exception_fp_ieee_underflow 0
		.amdhsa_exception_fp_ieee_inexact 0
		.amdhsa_exception_int_div_zero 0
	.end_amdhsa_kernel
	.section	.text._ZN5aiter35fused_qk_rmsnorm_group_quant_kernelItN4opus5fp4_tELi512ELi16ELi2ELb0ELb1ELb0ELb0ELb0ELb0EEEvPT0_PvPT_S7_S7_PKS6_S9_S9_S9_S9_ffiiiiiiiiiiiii,"axG",@progbits,_ZN5aiter35fused_qk_rmsnorm_group_quant_kernelItN4opus5fp4_tELi512ELi16ELi2ELb0ELb1ELb0ELb0ELb0ELb0EEEvPT0_PvPT_S7_S7_PKS6_S9_S9_S9_S9_ffiiiiiiiiiiiii,comdat
.Lfunc_end1024:
	.size	_ZN5aiter35fused_qk_rmsnorm_group_quant_kernelItN4opus5fp4_tELi512ELi16ELi2ELb0ELb1ELb0ELb0ELb0ELb0EEEvPT0_PvPT_S7_S7_PKS6_S9_S9_S9_S9_ffiiiiiiiiiiiii, .Lfunc_end1024-_ZN5aiter35fused_qk_rmsnorm_group_quant_kernelItN4opus5fp4_tELi512ELi16ELi2ELb0ELb1ELb0ELb0ELb0ELb0EEEvPT0_PvPT_S7_S7_PKS6_S9_S9_S9_S9_ffiiiiiiiiiiiii
                                        ; -- End function
	.section	.AMDGPU.csdata,"",@progbits
; Kernel info:
; codeLenInByte = 3336
; NumSgprs: 40
; NumVgprs: 35
; NumAgprs: 0
; TotalNumVgprs: 35
; ScratchSize: 0
; MemoryBound: 0
; FloatMode: 240
; IeeeMode: 1
; LDSByteSize: 64 bytes/workgroup (compile time only)
; SGPRBlocks: 4
; VGPRBlocks: 4
; NumSGPRsForWavesPerEU: 40
; NumVGPRsForWavesPerEU: 35
; AccumOffset: 36
; Occupancy: 8
; WaveLimiterHint : 0
; COMPUTE_PGM_RSRC2:SCRATCH_EN: 0
; COMPUTE_PGM_RSRC2:USER_SGPR: 6
; COMPUTE_PGM_RSRC2:TRAP_HANDLER: 0
; COMPUTE_PGM_RSRC2:TGID_X_EN: 1
; COMPUTE_PGM_RSRC2:TGID_Y_EN: 1
; COMPUTE_PGM_RSRC2:TGID_Z_EN: 0
; COMPUTE_PGM_RSRC2:TIDIG_COMP_CNT: 0
; COMPUTE_PGM_RSRC3_GFX90A:ACCUM_OFFSET: 8
; COMPUTE_PGM_RSRC3_GFX90A:TG_SPLIT: 0
	.section	.text._ZN5aiter35fused_qk_rmsnorm_group_quant_kernelIDF16_DB8_Li512ELi16ELi2ELb0ELb0ELb1ELb0ELb0ELb0EEEvPT0_PvPT_S6_S6_PKS5_S8_S8_S8_S8_ffiiiiiiiiiiiii,"axG",@progbits,_ZN5aiter35fused_qk_rmsnorm_group_quant_kernelIDF16_DB8_Li512ELi16ELi2ELb0ELb0ELb1ELb0ELb0ELb0EEEvPT0_PvPT_S6_S6_PKS5_S8_S8_S8_S8_ffiiiiiiiiiiiii,comdat
	.protected	_ZN5aiter35fused_qk_rmsnorm_group_quant_kernelIDF16_DB8_Li512ELi16ELi2ELb0ELb0ELb1ELb0ELb0ELb0EEEvPT0_PvPT_S6_S6_PKS5_S8_S8_S8_S8_ffiiiiiiiiiiiii ; -- Begin function _ZN5aiter35fused_qk_rmsnorm_group_quant_kernelIDF16_DB8_Li512ELi16ELi2ELb0ELb0ELb1ELb0ELb0ELb0EEEvPT0_PvPT_S6_S6_PKS5_S8_S8_S8_S8_ffiiiiiiiiiiiii
	.globl	_ZN5aiter35fused_qk_rmsnorm_group_quant_kernelIDF16_DB8_Li512ELi16ELi2ELb0ELb0ELb1ELb0ELb0ELb0EEEvPT0_PvPT_S6_S6_PKS5_S8_S8_S8_S8_ffiiiiiiiiiiiii
	.p2align	8
	.type	_ZN5aiter35fused_qk_rmsnorm_group_quant_kernelIDF16_DB8_Li512ELi16ELi2ELb0ELb0ELb1ELb0ELb0ELb0EEEvPT0_PvPT_S6_S6_PKS5_S8_S8_S8_S8_ffiiiiiiiiiiiii,@function
_ZN5aiter35fused_qk_rmsnorm_group_quant_kernelIDF16_DB8_Li512ELi16ELi2ELb0ELb0ELb1ELb0ELb0ELb0EEEvPT0_PvPT_S6_S6_PKS5_S8_S8_S8_S8_ffiiiiiiiiiiiii: ; @_ZN5aiter35fused_qk_rmsnorm_group_quant_kernelIDF16_DB8_Li512ELi16ELi2ELb0ELb0ELb1ELb0ELb0ELb0EEEvPT0_PvPT_S6_S6_PKS5_S8_S8_S8_S8_ffiiiiiiiiiiiii
; %bb.0:
	s_load_dwordx4 s[16:19], s[4:5], 0x50
	s_waitcnt lgkmcnt(0)
	s_cmp_ge_i32 s6, s18
	s_cbranch_scc1 .LBB1025_12
; %bb.1:
	s_load_dwordx2 s[12:13], s[4:5], 0x48
	s_load_dwordx2 s[30:31], s[4:5], 0x30
	s_load_dwordx4 s[20:23], s[4:5], 0x60
	s_cmp_lg_u32 s7, 0
	s_cselect_b64 s[14:15], -1, 0
	s_cmp_eq_u32 s7, 0
	s_cselect_b64 vcc, -1, 0
	s_and_b64 s[0:1], vcc, exec
	s_waitcnt lgkmcnt(0)
	s_cselect_b32 s7, s19, s20
	s_add_i32 s0, s7, 1
	s_lshr_b32 s1, s0, 31
	s_add_i32 s0, s0, s1
	s_lshl_b32 s0, s0, 1
	v_lshlrev_b32_e32 v1, 4, v0
	s_and_b32 s10, s0, -4
	v_cmp_gt_i32_e64 s[2:3], s7, v1
	v_mov_b32_e32 v18, 0
	v_mov_b32_e32 v6, 0
	v_mov_b32_e32 v7, 0
	v_mov_b32_e32 v8, 0
	v_mov_b32_e32 v9, 0
	v_mov_b32_e32 v2, 0
	v_mov_b32_e32 v3, 0
	v_mov_b32_e32 v4, 0
	v_mov_b32_e32 v5, 0
	v_mov_b32_e32 v14, 0
	v_mov_b32_e32 v15, 0
	v_mov_b32_e32 v16, 0
	v_mov_b32_e32 v17, 0
	v_mov_b32_e32 v10, 0
	v_mov_b32_e32 v11, 0
	v_mov_b32_e32 v12, 0
	v_mov_b32_e32 v13, 0
	s_and_saveexec_b64 s[0:1], s[2:3]
	s_cbranch_execz .LBB1025_3
; %bb.2:
	s_load_dwordx2 s[8:9], s[4:5], 0x28
	s_load_dwordx2 s[26:27], s[4:5], 0x40
	s_and_b64 s[24:25], vcc, exec
	s_cselect_b32 s11, s21, s22
	v_lshlrev_b32_e32 v19, 5, v0
	s_waitcnt lgkmcnt(0)
	s_cselect_b32 s18, s9, s31
	s_cselect_b32 s21, s8, s30
	s_mul_hi_i32 s9, s11, s6
	s_mul_i32 s8, s11, s6
	s_lshl_b64 s[8:9], s[8:9], 1
	s_add_u32 s24, s21, s8
	s_addc_u32 s18, s18, s9
	s_and_b64 s[8:9], vcc, exec
	s_mov_b32 s11, 0x20000
	s_cselect_b32 s8, s26, s12
	s_cselect_b32 s9, s27, s13
	s_and_b32 s25, s18, 0xffff
	s_mov_b32 s26, s10
	s_mov_b32 s27, s11
	s_and_b32 s9, s9, 0xffff
	buffer_load_dwordx4 v[14:17], v19, s[24:27], 0 offen
	buffer_load_dwordx4 v[10:13], v19, s[24:27], 16 offen
	;; [unrolled: 1-line block ×4, first 2 shown]
.LBB1025_3:
	s_or_b64 exec, exec, s[0:1]
	v_mov_b32_e32 v19, 0
	v_mov_b32_e32 v32, 0
	;; [unrolled: 1-line block ×15, first 2 shown]
	s_and_saveexec_b64 s[0:1], s[2:3]
	s_cbranch_execz .LBB1025_5
; %bb.4:
	s_waitcnt vmcnt(3)
	v_cvt_f32_f16_sdwa v19, v14 dst_sel:DWORD dst_unused:UNUSED_PAD src0_sel:WORD_1
	v_cvt_f32_f16_e32 v18, v14
	v_cvt_f32_f16_sdwa v33, v15 dst_sel:DWORD dst_unused:UNUSED_PAD src0_sel:WORD_1
	v_cvt_f32_f16_e32 v32, v15
	v_cvt_f32_f16_sdwa v27, v16 dst_sel:DWORD dst_unused:UNUSED_PAD src0_sel:WORD_1
	v_cvt_f32_f16_e32 v26, v16
	v_cvt_f32_f16_sdwa v31, v17 dst_sel:DWORD dst_unused:UNUSED_PAD src0_sel:WORD_1
	v_cvt_f32_f16_e32 v30, v17
	s_waitcnt vmcnt(2)
	v_cvt_f32_f16_sdwa v25, v10 dst_sel:DWORD dst_unused:UNUSED_PAD src0_sel:WORD_1
	v_cvt_f32_f16_e32 v24, v10
	v_cvt_f32_f16_sdwa v29, v11 dst_sel:DWORD dst_unused:UNUSED_PAD src0_sel:WORD_1
	v_cvt_f32_f16_e32 v28, v11
	;; [unrolled: 2-line block ×4, first 2 shown]
.LBB1025_5:
	s_or_b64 exec, exec, s[0:1]
	s_waitcnt vmcnt(2)
	v_mul_f32_e32 v10, v19, v19
	v_fmac_f32_e32 v10, v18, v18
	v_fmac_f32_e32 v10, v32, v32
	;; [unrolled: 1-line block ×15, first 2 shown]
	v_and_b32_e32 v12, 63, v0
	v_cmp_eq_u32_e64 s[0:1], 63, v12
	v_mov_b32_dpp v11, v10 quad_perm:[1,0,3,2] row_mask:0xf bank_mask:0xf
	v_add_f32_e32 v10, v10, v11
	s_nop 1
	v_mov_b32_dpp v11, v10 quad_perm:[2,3,0,1] row_mask:0xf bank_mask:0xf
	v_add_f32_e32 v10, v10, v11
	s_nop 1
	v_mov_b32_dpp v11, v10 row_half_mirror row_mask:0xf bank_mask:0xf
	v_add_f32_e32 v10, v10, v11
	s_nop 1
	v_mov_b32_dpp v11, v10 row_mirror row_mask:0xf bank_mask:0xf
	v_add_f32_e32 v10, v10, v11
	s_nop 1
	v_mov_b32_dpp v11, v10 row_bcast:15 row_mask:0xf bank_mask:0xf
	v_add_f32_e32 v10, v10, v11
	s_nop 1
	v_mov_b32_dpp v11, v10 row_bcast:31 row_mask:0xf bank_mask:0xf
	s_and_saveexec_b64 s[8:9], s[0:1]
	s_cbranch_execz .LBB1025_7
; %bb.6:
	v_add_f32_e32 v10, v10, v11
	v_lshrrev_b32_e32 v11, 4, v0
	v_and_b32_e32 v11, 60, v11
	ds_write_b32 v11, v10 offset:32
.LBB1025_7:
	s_or_b64 exec, exec, s[8:9]
	v_and_b32_e32 v10, 7, v0
	v_lshlrev_b32_e32 v34, 2, v10
	s_waitcnt lgkmcnt(0)
	s_barrier
	ds_read_b32 v10, v34 offset:32
	s_load_dwordx2 s[28:29], s[4:5], 0x18
	s_waitcnt lgkmcnt(0)
	v_mov_b32_dpp v11, v10 quad_perm:[1,0,3,2] row_mask:0xf bank_mask:0xf
	v_add_f32_e32 v10, v10, v11
	s_nop 1
	v_mov_b32_dpp v11, v10 quad_perm:[2,3,0,1] row_mask:0xf bank_mask:0xf
	v_add_f32_e32 v10, v10, v11
	s_nop 1
	v_mov_b32_dpp v11, v10 row_half_mirror row_mask:0xf bank_mask:0xf
	s_and_saveexec_b64 s[8:9], s[2:3]
	s_cbranch_execz .LBB1025_9
; %bb.8:
	v_cvt_f32_u32_e32 v12, s7
	v_add_f32_e32 v10, v10, v11
	v_mov_b32_e32 v14, s17
	v_mov_b32_e32 v15, s16
	v_div_scale_f32 v11, s[24:25], v12, v12, v10
	v_rcp_f32_e32 v13, v11
	v_cndmask_b32_e32 v14, v14, v15, vcc
	s_mov_b32 s7, 0x800000
	v_fma_f32 v15, -v11, v13, 1.0
	v_fmac_f32_e32 v13, v15, v13
	v_div_scale_f32 v15, vcc, v10, v12, v10
	v_mul_f32_e32 v16, v15, v13
	v_fma_f32 v17, -v11, v16, v15
	v_fmac_f32_e32 v16, v17, v13
	v_fma_f32 v11, -v11, v16, v15
	v_div_fmas_f32 v11, v11, v13, v16
	v_div_fixup_f32 v10, v11, v12, v10
	v_add_f32_e32 v10, v14, v10
	v_mul_f32_e32 v11, 0x4b800000, v10
	v_cmp_gt_f32_e32 vcc, s7, v10
	v_cndmask_b32_e32 v10, v10, v11, vcc
	v_rsq_f32_e32 v10, v10
	v_mul_f32_e32 v11, 0x45800000, v10
	v_cndmask_b32_e32 v10, v10, v11, vcc
	v_mov_b32_e32 v11, v10
	;;#ASMSTART
	v_pk_mul_f32 v[12:13], v[18:19], v[10:11]
	;;#ASMEND
	s_waitcnt vmcnt(1)
	v_cvt_f32_f16_sdwa v19, v6 dst_sel:DWORD dst_unused:UNUSED_PAD src0_sel:WORD_1
	v_cvt_f32_f16_e32 v18, v6
	;;#ASMSTART
	v_pk_mul_f32 v[14:15], v[32:33], v[10:11]
	;;#ASMEND
	;;#ASMSTART
	v_pk_mul_f32 v[16:17], v[26:27], v[10:11]
	;;#ASMEND
	v_cvt_f32_f16_sdwa v27, v7 dst_sel:DWORD dst_unused:UNUSED_PAD src0_sel:WORD_1
	v_cvt_f32_f16_e32 v26, v7
	;;#ASMSTART
	v_pk_mul_f32 v[30:31], v[30:31], v[10:11]
	;;#ASMEND
	;;#ASMSTART
	v_pk_mul_f32 v[24:25], v[24:25], v[10:11]
	;;#ASMEND
	;; [unrolled: 3-line block ×5, first 2 shown]
	v_pk_add_f32 v[10:11], v[18:19], 1.0 op_sel_hi:[1,0]
	;;#ASMSTART
	v_pk_mul_f32 v[18:19], v[12:13], v[10:11]
	;;#ASMEND
	v_cvt_f32_f16_sdwa v13, v8 dst_sel:DWORD dst_unused:UNUSED_PAD src0_sel:WORD_1
	v_cvt_f32_f16_e32 v12, v8
	v_cvt_f32_f16_sdwa v21, v9 dst_sel:DWORD dst_unused:UNUSED_PAD src0_sel:WORD_1
	v_cvt_f32_f16_e32 v20, v9
	v_pk_add_f32 v[10:11], v[26:27], 1.0 op_sel_hi:[1,0]
	;;#ASMSTART
	v_pk_mul_f32 v[32:33], v[14:15], v[10:11]
	;;#ASMEND
	s_waitcnt vmcnt(0)
	v_cvt_f32_f16_sdwa v11, v2 dst_sel:DWORD dst_unused:UNUSED_PAD src0_sel:WORD_1
	v_cvt_f32_f16_e32 v10, v2
	v_pk_add_f32 v[8:9], v[12:13], 1.0 op_sel_hi:[1,0]
	;;#ASMSTART
	v_pk_mul_f32 v[26:27], v[16:17], v[8:9]
	;;#ASMEND
	v_pk_add_f32 v[8:9], v[20:21], 1.0 op_sel_hi:[1,0]
	v_cvt_f32_f16_sdwa v13, v3 dst_sel:DWORD dst_unused:UNUSED_PAD src0_sel:WORD_1
	v_cvt_f32_f16_e32 v12, v3
	;;#ASMSTART
	v_pk_mul_f32 v[30:31], v[30:31], v[8:9]
	;;#ASMEND
	v_cvt_f32_f16_sdwa v9, v4 dst_sel:DWORD dst_unused:UNUSED_PAD src0_sel:WORD_1
	v_cvt_f32_f16_e32 v8, v4
	v_pk_add_f32 v[2:3], v[10:11], 1.0 op_sel_hi:[1,0]
	v_cvt_f32_f16_sdwa v11, v5 dst_sel:DWORD dst_unused:UNUSED_PAD src0_sel:WORD_1
	v_cvt_f32_f16_e32 v10, v5
	;;#ASMSTART
	v_pk_mul_f32 v[24:25], v[24:25], v[2:3]
	;;#ASMEND
	v_pk_add_f32 v[2:3], v[12:13], 1.0 op_sel_hi:[1,0]
	;;#ASMSTART
	v_pk_mul_f32 v[28:29], v[28:29], v[2:3]
	;;#ASMEND
	v_pk_add_f32 v[2:3], v[8:9], 1.0 op_sel_hi:[1,0]
	;; [unrolled: 4-line block ×3, first 2 shown]
	;;#ASMSTART
	v_pk_mul_f32 v[20:21], v[6:7], v[2:3]
	;;#ASMEND
.LBB1025_9:
	s_or_b64 exec, exec, s[8:9]
	s_load_dword s7, s[4:5], 0x80
	s_mov_b64 s[8:9], -1
	s_and_b64 vcc, exec, s[14:15]
	s_cbranch_vccnz .LBB1025_13
; %bb.10:
	s_andn2_b64 vcc, exec, s[8:9]
	s_cbranch_vccz .LBB1025_16
.LBB1025_11:
	s_cmp_lt_i32 s20, 1
	s_cbranch_scc0 .LBB1025_23
.LBB1025_12:
	s_endpgm
.LBB1025_13:
	s_and_saveexec_b64 s[14:15], s[2:3]
	s_cbranch_execz .LBB1025_15
; %bb.14:
	s_waitcnt lgkmcnt(0)
	s_mul_hi_i32 s9, s7, s6
	s_mul_i32 s8, s7, s6
	s_waitcnt vmcnt(0)
	v_cvt_f16_f32_e32 v2, v18
	v_cvt_f16_f32_e32 v3, v32
	;; [unrolled: 1-line block ×8, first 2 shown]
	s_lshl_b64 s[8:9], s[8:9], 1
	s_add_u32 s8, s28, s8
	s_addc_u32 s9, s29, s9
	s_and_b32 s9, s9, 0xffff
	s_mov_b32 s11, 0x20000
	v_pack_b32_f16 v5, v5, v6
	v_pack_b32_f16 v4, v4, v7
	;; [unrolled: 1-line block ×4, first 2 shown]
	v_lshlrev_b32_e32 v6, 5, v0
	buffer_store_dwordx4 v[2:5], v6, s[8:11], 0 offen
	v_cvt_f16_f32_e32 v7, v21
	v_cvt_f16_f32_e32 v2, v24
	;; [unrolled: 1-line block ×8, first 2 shown]
	v_pack_b32_f16 v5, v5, v7
	v_pack_b32_f16 v4, v4, v8
	;; [unrolled: 1-line block ×4, first 2 shown]
	;;#ASMSTART
	s_nop 0
	;;#ASMEND
	buffer_store_dwordx4 v[2:5], v6, s[8:11], 16 offen
	;;#ASMSTART
	s_nop 0
	;;#ASMEND
.LBB1025_15:
	s_or_b64 exec, exec, s[14:15]
	s_cbranch_execnz .LBB1025_11
.LBB1025_16:
	s_waitcnt vmcnt(0)
	v_mov_b32_e32 v2, 0
	s_and_saveexec_b64 s[8:9], s[2:3]
	s_cbranch_execz .LBB1025_18
; %bb.17:
	v_and_b32_e32 v2, 0x7fffffff, v18
	v_and_b32_e32 v3, 0x7fffffff, v19
	v_mov_b32_e32 v4, 0x2edbe6ff
	;;#ASMSTART
	v_max3_f32 v2, v4, v2, v3

	;;#ASMEND
	v_and_b32_e32 v3, 0x7fffffff, v32
	v_and_b32_e32 v4, 0x7fffffff, v33
	;;#ASMSTART
	v_max3_f32 v2, v2, v3, v4

	;;#ASMEND
	v_and_b32_e32 v3, 0x7fffffff, v26
	v_and_b32_e32 v4, 0x7fffffff, v27
	;; [unrolled: 6-line block ×7, first 2 shown]
	;;#ASMSTART
	v_max3_f32 v2, v2, v3, v4

	;;#ASMEND
.LBB1025_18:
	s_or_b64 exec, exec, s[8:9]
	s_load_dwordx4 s[24:27], s[4:5], 0x70
	;;#ASMSTART
	v_max_f32 v3, v2, v2 quad_perm:[1,0,3,2] row_mask:0xf bank_mask:0xf bound_ctrl:1
	;;#ASMEND
	v_mul_f32_e32 v2, 0x3b124925, v3
	v_and_b32_e32 v3, 1, v0
	v_cmp_eq_u32_e32 vcc, 0, v3
	v_cmp_gt_i32_e64 s[8:9], s19, v1
	s_and_b64 s[10:11], vcc, s[8:9]
	s_and_saveexec_b64 s[8:9], s[10:11]
	s_cbranch_execz .LBB1025_20
; %bb.19:
	s_load_dwordx2 s[10:11], s[4:5], 0x8
	s_waitcnt lgkmcnt(0)
	s_mul_hi_i32 s15, s25, s6
	s_mul_i32 s14, s25, s6
	v_lshrrev_b32_e32 v3, 1, v0
	s_lshl_b64 s[14:15], s[14:15], 2
	v_mad_i64_i32 v[4:5], s[26:27], s26, v3, 0
	s_add_u32 s10, s10, s14
	s_addc_u32 s11, s11, s15
	v_lshlrev_b64 v[4:5], 2, v[4:5]
	v_mov_b32_e32 v3, s11
	v_add_co_u32_e32 v4, vcc, s10, v4
	v_addc_co_u32_e32 v5, vcc, v3, v5, vcc
	global_store_dword v[4:5], v2, off
.LBB1025_20:
	s_or_b64 exec, exec, s[8:9]
	;;#ASMSTART
	v_rcp_f32 v2, v2
	;;#ASMEND
	s_and_saveexec_b64 s[14:15], s[2:3]
	s_cbranch_execz .LBB1025_22
; %bb.21:
	s_load_dwordx2 s[2:3], s[4:5], 0x0
	s_waitcnt lgkmcnt(0)
	s_mul_i32 s8, s24, s6
	s_mul_hi_i32 s9, s24, s6
	v_mov_b32_e32 v3, v2
	;;#ASMSTART
	v_pk_mul_f32 v[4:5], v[18:19], v[2:3]
	;;#ASMEND
	s_add_u32 s8, s2, s8
	s_addc_u32 s2, s3, s9
	s_add_i32 s3, s19, 3
	s_ashr_i32 s10, s3, 31
	v_mov_b32_e32 v10, 0xc3e00000
	v_mov_b32_e32 v11, 0x43e00000
	;;#ASMSTART
	v_med3_f32 v4, v4, v10, v11
v_med3_f32 v5, v5, v10, v11
v_cvt_pk_fp8_f32 v6, v4, v5
	;;#ASMEND
	s_and_b32 s9, s2, 0xffff
	s_lshr_b32 s2, s10, 30
	;;#ASMSTART
	v_pk_mul_f32 v[4:5], v[32:33], v[2:3]
	;;#ASMEND
	s_add_i32 s3, s3, s2
	;;#ASMSTART
	v_med3_f32 v4, v4, v10, v11
v_med3_f32 v5, v5, v10, v11
v_cvt_pk_fp8_f32 v7, v4, v5
	;;#ASMEND
	s_mov_b32 s2, 0x5040100
	v_perm_b32 v4, v7, v6, s2
	s_mov_b32 s2, 0x1060504
	v_perm_b32 v4, v4, v7, s2
	;;#ASMSTART
	v_pk_mul_f32 v[6:7], v[26:27], v[2:3]
	;;#ASMEND
	v_mov_b32_e32 v5, v6
	;;#ASMSTART
	v_med3_f32 v5, v5, v10, v11
v_med3_f32 v7, v7, v10, v11
v_cvt_pk_fp8_f32 v8, v5, v7
	;;#ASMEND
	;;#ASMSTART
	v_pk_mul_f32 v[6:7], v[30:31], v[2:3]
	;;#ASMEND
	v_mov_b32_e32 v5, v7
	;;#ASMSTART
	v_med3_f32 v6, v6, v10, v11
v_med3_f32 v5, v5, v10, v11
v_cvt_pk_fp8_f32 v7, v6, v5
	;;#ASMEND
	s_mov_b32 s2, 0x1000504
	v_perm_b32 v5, v8, v7, s2
	;;#ASMSTART
	v_pk_mul_f32 v[6:7], v[24:25], v[2:3]
	;;#ASMEND
	;;#ASMSTART
	v_med3_f32 v6, v6, v10, v11
v_med3_f32 v7, v7, v10, v11
v_cvt_pk_fp8_f32 v8, v6, v7
	;;#ASMEND
	;;#ASMSTART
	v_pk_mul_f32 v[6:7], v[28:29], v[2:3]
	;;#ASMEND
	;;#ASMSTART
	v_med3_f32 v6, v6, v10, v11
v_med3_f32 v7, v7, v10, v11
v_cvt_pk_fp8_f32 v9, v6, v7
	;;#ASMEND
	v_perm_b32 v6, v8, v9, s2
	;;#ASMSTART
	v_pk_mul_f32 v[8:9], v[22:23], v[2:3]
	;;#ASMEND
	v_mov_b32_e32 v7, v8
	;;#ASMSTART
	v_med3_f32 v7, v7, v10, v11
v_med3_f32 v9, v9, v10, v11
v_cvt_pk_fp8_f32 v8, v7, v9
	;;#ASMEND
	;;#ASMSTART
	v_pk_mul_f32 v[2:3], v[20:21], v[2:3]
	;;#ASMEND
	;;#ASMSTART
	v_med3_f32 v2, v2, v10, v11
v_med3_f32 v3, v3, v10, v11
v_cvt_pk_fp8_f32 v7, v2, v3
	;;#ASMEND
	s_and_b32 s10, s3, -4
	s_mov_b32 s11, 0x20000
	v_perm_b32 v7, v8, v7, s2
	buffer_store_dwordx4 v[4:7], v1, s[8:11], 0 offen
	;;#ASMSTART
	s_nop 0
	;;#ASMEND
.LBB1025_22:
	s_or_b64 exec, exec, s[14:15]
	s_cmp_lt_i32 s20, 1
	s_cbranch_scc1 .LBB1025_12
.LBB1025_23:
	s_load_dword s2, s[4:5], 0x94
	s_waitcnt lgkmcnt(0)
	s_cmp_lg_u32 s2, 1
	s_cbranch_scc1 .LBB1025_12
; %bb.24:
	s_lshl_b32 s2, s20, 1
	s_add_i32 s2, s2, 2
	v_cmp_gt_u32_e32 vcc, s20, v1
	s_and_b32 s14, s2, -4
	v_mov_b32_e32 v18, 0
	v_lshlrev_b32_e32 v1, 5, v0
	v_mov_b32_e32 v14, 0
	v_mov_b32_e32 v15, 0
	;; [unrolled: 1-line block ×8, first 2 shown]
	s_waitcnt vmcnt(1)
	v_mov_b32_e32 v6, 0
	v_mov_b32_e32 v7, 0
	;; [unrolled: 1-line block ×4, first 2 shown]
	s_waitcnt vmcnt(0)
	v_mov_b32_e32 v2, 0
	v_mov_b32_e32 v3, 0
	;; [unrolled: 1-line block ×4, first 2 shown]
	s_barrier
	s_and_saveexec_b64 s[2:3], vcc
	s_cbranch_execz .LBB1025_26
; %bb.25:
	s_mul_hi_i32 s5, s22, s6
	s_mul_i32 s4, s22, s6
	s_and_b32 s13, s13, 0xffff
	s_lshl_b64 s[4:5], s[4:5], 1
	s_add_u32 s8, s30, s4
	s_mov_b32 s15, 0x20000
	s_addc_u32 s4, s31, s5
	s_and_b32 s9, s4, 0xffff
	s_mov_b32 s10, s14
	s_mov_b32 s11, s15
	buffer_load_dwordx4 v[14:17], v1, s[8:11], 0 offen
	buffer_load_dwordx4 v[10:13], v1, s[8:11], 16 offen
	;; [unrolled: 1-line block ×4, first 2 shown]
.LBB1025_26:
	s_or_b64 exec, exec, s[2:3]
	v_mov_b32_e32 v19, 0
	v_mov_b32_e32 v32, 0
	;; [unrolled: 1-line block ×15, first 2 shown]
	s_and_saveexec_b64 s[2:3], vcc
	s_cbranch_execz .LBB1025_28
; %bb.27:
	s_waitcnt vmcnt(3)
	v_cvt_f32_f16_sdwa v19, v14 dst_sel:DWORD dst_unused:UNUSED_PAD src0_sel:WORD_1
	v_cvt_f32_f16_e32 v18, v14
	v_cvt_f32_f16_sdwa v33, v15 dst_sel:DWORD dst_unused:UNUSED_PAD src0_sel:WORD_1
	v_cvt_f32_f16_e32 v32, v15
	;; [unrolled: 2-line block ×4, first 2 shown]
	s_waitcnt vmcnt(2)
	v_cvt_f32_f16_sdwa v27, v10 dst_sel:DWORD dst_unused:UNUSED_PAD src0_sel:WORD_1
	v_cvt_f32_f16_e32 v26, v10
	v_cvt_f32_f16_sdwa v25, v11 dst_sel:DWORD dst_unused:UNUSED_PAD src0_sel:WORD_1
	v_cvt_f32_f16_e32 v24, v11
	;; [unrolled: 2-line block ×4, first 2 shown]
.LBB1025_28:
	s_or_b64 exec, exec, s[2:3]
	s_waitcnt vmcnt(2)
	v_mul_f32_e32 v10, v19, v19
	v_fmac_f32_e32 v10, v18, v18
	v_fmac_f32_e32 v10, v32, v32
	;; [unrolled: 1-line block ×15, first 2 shown]
	s_nop 1
	v_mov_b32_dpp v11, v10 quad_perm:[1,0,3,2] row_mask:0xf bank_mask:0xf
	v_add_f32_e32 v10, v10, v11
	s_nop 1
	v_mov_b32_dpp v11, v10 quad_perm:[2,3,0,1] row_mask:0xf bank_mask:0xf
	v_add_f32_e32 v10, v10, v11
	s_nop 1
	v_mov_b32_dpp v11, v10 row_half_mirror row_mask:0xf bank_mask:0xf
	v_add_f32_e32 v10, v10, v11
	s_nop 1
	v_mov_b32_dpp v11, v10 row_mirror row_mask:0xf bank_mask:0xf
	v_add_f32_e32 v10, v10, v11
	s_nop 1
	v_mov_b32_dpp v11, v10 row_bcast:15 row_mask:0xf bank_mask:0xf
	v_add_f32_e32 v10, v10, v11
	s_nop 1
	v_mov_b32_dpp v11, v10 row_bcast:31 row_mask:0xf bank_mask:0xf
	s_and_saveexec_b64 s[2:3], s[0:1]
	s_cbranch_execz .LBB1025_30
; %bb.29:
	v_lshrrev_b32_e32 v0, 4, v0
	v_add_f32_e32 v10, v10, v11
	v_and_b32_e32 v0, 60, v0
	ds_write_b32 v0, v10
.LBB1025_30:
	s_or_b64 exec, exec, s[2:3]
	s_waitcnt lgkmcnt(0)
	s_barrier
	ds_read_b32 v0, v34
	s_waitcnt lgkmcnt(0)
	s_nop 0
	v_mov_b32_dpp v10, v0 quad_perm:[1,0,3,2] row_mask:0xf bank_mask:0xf
	v_add_f32_e32 v0, v0, v10
	s_nop 1
	v_mov_b32_dpp v10, v0 quad_perm:[2,3,0,1] row_mask:0xf bank_mask:0xf
	v_add_f32_e32 v0, v0, v10
	s_nop 1
	v_mov_b32_dpp v10, v0 row_half_mirror row_mask:0xf bank_mask:0xf
	s_and_saveexec_b64 s[0:1], vcc
	s_cbranch_execz .LBB1025_12
; %bb.31:
	v_cvt_f32_u32_e32 v11, s20
	v_add_f32_e32 v0, v0, v10
	s_mov_b32 s15, 0x20000
	v_div_scale_f32 v10, s[0:1], v11, v11, v0
	v_rcp_f32_e32 v12, v10
	v_div_scale_f32 v13, vcc, v0, v11, v0
	s_mov_b32 s0, 0x800000
	v_fma_f32 v14, -v10, v12, 1.0
	v_fmac_f32_e32 v12, v14, v12
	v_mul_f32_e32 v14, v13, v12
	v_fma_f32 v15, -v10, v14, v13
	v_fmac_f32_e32 v14, v15, v12
	v_fma_f32 v10, -v10, v14, v13
	v_div_fmas_f32 v10, v10, v12, v14
	v_div_fixup_f32 v0, v10, v11, v0
	v_add_f32_e32 v0, s17, v0
	v_mul_f32_e32 v10, 0x4b800000, v0
	v_cmp_gt_f32_e32 vcc, s0, v0
	v_cndmask_b32_e32 v0, v0, v10, vcc
	v_rsq_f32_e32 v0, v0
	s_mul_hi_i32 s1, s7, s6
	s_mul_i32 s0, s7, s6
	s_lshl_b64 s[0:1], s[0:1], 1
	v_mul_f32_e32 v10, 0x45800000, v0
	v_cndmask_b32_e32 v10, v0, v10, vcc
	v_mov_b32_e32 v11, v10
	;;#ASMSTART
	v_pk_mul_f32 v[12:13], v[18:19], v[10:11]
	;;#ASMEND
	;;#ASMSTART
	v_pk_mul_f32 v[14:15], v[32:33], v[10:11]
	;;#ASMEND
	;; [unrolled: 3-line block ×4, first 2 shown]
	s_waitcnt vmcnt(1)
	v_cvt_f32_f16_sdwa v29, v6 dst_sel:DWORD dst_unused:UNUSED_PAD src0_sel:WORD_1
	v_cvt_f32_f16_e32 v28, v6
	v_cvt_f32_f16_sdwa v31, v7 dst_sel:DWORD dst_unused:UNUSED_PAD src0_sel:WORD_1
	v_cvt_f32_f16_e32 v30, v7
	;;#ASMSTART
	v_pk_mul_f32 v[26:27], v[26:27], v[10:11]
	;;#ASMEND
	;;#ASMSTART
	v_pk_mul_f32 v[24:25], v[24:25], v[10:11]
	;;#ASMEND
	;; [unrolled: 3-line block ×4, first 2 shown]
	v_cvt_f32_f16_sdwa v21, v8 dst_sel:DWORD dst_unused:UNUSED_PAD src0_sel:WORD_1
	v_cvt_f32_f16_e32 v20, v8
	v_pk_add_f32 v[10:11], v[28:29], 1.0 op_sel_hi:[1,0]
	;;#ASMSTART
	v_pk_mul_f32 v[10:11], v[12:13], v[10:11]
	;;#ASMEND
	v_pk_add_f32 v[12:13], v[30:31], 1.0 op_sel_hi:[1,0]
	v_cvt_f32_f16_sdwa v29, v9 dst_sel:DWORD dst_unused:UNUSED_PAD src0_sel:WORD_1
	v_cvt_f32_f16_e32 v28, v9
	;;#ASMSTART
	v_pk_mul_f32 v[8:9], v[14:15], v[12:13]
	;;#ASMEND
	v_pk_add_f32 v[12:13], v[20:21], 1.0 op_sel_hi:[1,0]
	;;#ASMSTART
	v_pk_mul_f32 v[12:13], v[16:17], v[12:13]
	;;#ASMEND
	s_waitcnt vmcnt(0)
	v_cvt_f32_f16_sdwa v17, v2 dst_sel:DWORD dst_unused:UNUSED_PAD src0_sel:WORD_1
	v_cvt_f32_f16_e32 v16, v2
	v_cvt_f32_f16_sdwa v21, v3 dst_sel:DWORD dst_unused:UNUSED_PAD src0_sel:WORD_1
	v_cvt_f32_f16_e32 v20, v3
	v_pk_add_f32 v[14:15], v[28:29], 1.0 op_sel_hi:[1,0]
	;;#ASMSTART
	v_pk_mul_f32 v[2:3], v[18:19], v[14:15]
	;;#ASMEND
	v_cvt_f32_f16_sdwa v19, v4 dst_sel:DWORD dst_unused:UNUSED_PAD src0_sel:WORD_1
	v_cvt_f32_f16_e32 v18, v4
	v_pk_add_f32 v[14:15], v[16:17], 1.0 op_sel_hi:[1,0]
	v_pk_add_f32 v[16:17], v[20:21], 1.0 op_sel_hi:[1,0]
	v_cvt_f32_f16_sdwa v21, v5 dst_sel:DWORD dst_unused:UNUSED_PAD src0_sel:WORD_1
	v_cvt_f32_f16_e32 v20, v5
	v_pk_add_f32 v[4:5], v[18:19], 1.0 op_sel_hi:[1,0]
	;;#ASMSTART
	v_pk_mul_f32 v[14:15], v[26:27], v[14:15]
	;;#ASMEND
	;;#ASMSTART
	v_pk_mul_f32 v[16:17], v[24:25], v[16:17]
	;;#ASMEND
	;; [unrolled: 3-line block ×3, first 2 shown]
	v_pk_add_f32 v[4:5], v[20:21], 1.0 op_sel_hi:[1,0]
	;;#ASMSTART
	v_pk_mul_f32 v[6:7], v[6:7], v[4:5]
	;;#ASMEND
	v_cvt_f16_f32_e32 v0, v10
	v_cvt_f16_f32_e32 v4, v11
	;; [unrolled: 1-line block ×8, first 2 shown]
	s_add_u32 s12, s28, s0
	s_addc_u32 s0, s29, s1
	s_and_b32 s13, s0, 0xffff
	v_pack_b32_f16 v2, v0, v4
	v_pack_b32_f16 v3, v5, v8
	;; [unrolled: 1-line block ×4, first 2 shown]
	buffer_store_dwordx4 v[2:5], v1, s[12:15], 0 offen
	v_cvt_f16_f32_e32 v0, v14
	v_cvt_f16_f32_e32 v2, v15
	;; [unrolled: 1-line block ×8, first 2 shown]
	v_pack_b32_f16 v2, v0, v2
	v_pack_b32_f16 v3, v3, v4
	;; [unrolled: 1-line block ×4, first 2 shown]
	;;#ASMSTART
	s_nop 0
	;;#ASMEND
	buffer_store_dwordx4 v[2:5], v1, s[12:15], 16 offen
	;;#ASMSTART
	s_nop 0
	;;#ASMEND
	s_endpgm
	.section	.rodata,"a",@progbits
	.p2align	6, 0x0
	.amdhsa_kernel _ZN5aiter35fused_qk_rmsnorm_group_quant_kernelIDF16_DB8_Li512ELi16ELi2ELb0ELb0ELb1ELb0ELb0ELb0EEEvPT0_PvPT_S6_S6_PKS5_S8_S8_S8_S8_ffiiiiiiiiiiiii
		.amdhsa_group_segment_fixed_size 64
		.amdhsa_private_segment_fixed_size 0
		.amdhsa_kernarg_size 400
		.amdhsa_user_sgpr_count 6
		.amdhsa_user_sgpr_private_segment_buffer 1
		.amdhsa_user_sgpr_dispatch_ptr 0
		.amdhsa_user_sgpr_queue_ptr 0
		.amdhsa_user_sgpr_kernarg_segment_ptr 1
		.amdhsa_user_sgpr_dispatch_id 0
		.amdhsa_user_sgpr_flat_scratch_init 0
		.amdhsa_user_sgpr_kernarg_preload_length 0
		.amdhsa_user_sgpr_kernarg_preload_offset 0
		.amdhsa_user_sgpr_private_segment_size 0
		.amdhsa_uses_dynamic_stack 0
		.amdhsa_system_sgpr_private_segment_wavefront_offset 0
		.amdhsa_system_sgpr_workgroup_id_x 1
		.amdhsa_system_sgpr_workgroup_id_y 1
		.amdhsa_system_sgpr_workgroup_id_z 0
		.amdhsa_system_sgpr_workgroup_info 0
		.amdhsa_system_vgpr_workitem_id 0
		.amdhsa_next_free_vgpr 35
		.amdhsa_next_free_sgpr 32
		.amdhsa_accum_offset 36
		.amdhsa_reserve_vcc 1
		.amdhsa_reserve_flat_scratch 0
		.amdhsa_float_round_mode_32 0
		.amdhsa_float_round_mode_16_64 0
		.amdhsa_float_denorm_mode_32 3
		.amdhsa_float_denorm_mode_16_64 3
		.amdhsa_dx10_clamp 1
		.amdhsa_ieee_mode 1
		.amdhsa_fp16_overflow 0
		.amdhsa_tg_split 0
		.amdhsa_exception_fp_ieee_invalid_op 0
		.amdhsa_exception_fp_denorm_src 0
		.amdhsa_exception_fp_ieee_div_zero 0
		.amdhsa_exception_fp_ieee_overflow 0
		.amdhsa_exception_fp_ieee_underflow 0
		.amdhsa_exception_fp_ieee_inexact 0
		.amdhsa_exception_int_div_zero 0
	.end_amdhsa_kernel
	.section	.text._ZN5aiter35fused_qk_rmsnorm_group_quant_kernelIDF16_DB8_Li512ELi16ELi2ELb0ELb0ELb1ELb0ELb0ELb0EEEvPT0_PvPT_S6_S6_PKS5_S8_S8_S8_S8_ffiiiiiiiiiiiii,"axG",@progbits,_ZN5aiter35fused_qk_rmsnorm_group_quant_kernelIDF16_DB8_Li512ELi16ELi2ELb0ELb0ELb1ELb0ELb0ELb0EEEvPT0_PvPT_S6_S6_PKS5_S8_S8_S8_S8_ffiiiiiiiiiiiii,comdat
.Lfunc_end1025:
	.size	_ZN5aiter35fused_qk_rmsnorm_group_quant_kernelIDF16_DB8_Li512ELi16ELi2ELb0ELb0ELb1ELb0ELb0ELb0EEEvPT0_PvPT_S6_S6_PKS5_S8_S8_S8_S8_ffiiiiiiiiiiiii, .Lfunc_end1025-_ZN5aiter35fused_qk_rmsnorm_group_quant_kernelIDF16_DB8_Li512ELi16ELi2ELb0ELb0ELb1ELb0ELb0ELb0EEEvPT0_PvPT_S6_S6_PKS5_S8_S8_S8_S8_ffiiiiiiiiiiiii
                                        ; -- End function
	.section	.AMDGPU.csdata,"",@progbits
; Kernel info:
; codeLenInByte = 3572
; NumSgprs: 36
; NumVgprs: 35
; NumAgprs: 0
; TotalNumVgprs: 35
; ScratchSize: 0
; MemoryBound: 0
; FloatMode: 240
; IeeeMode: 1
; LDSByteSize: 64 bytes/workgroup (compile time only)
; SGPRBlocks: 4
; VGPRBlocks: 4
; NumSGPRsForWavesPerEU: 36
; NumVGPRsForWavesPerEU: 35
; AccumOffset: 36
; Occupancy: 8
; WaveLimiterHint : 0
; COMPUTE_PGM_RSRC2:SCRATCH_EN: 0
; COMPUTE_PGM_RSRC2:USER_SGPR: 6
; COMPUTE_PGM_RSRC2:TRAP_HANDLER: 0
; COMPUTE_PGM_RSRC2:TGID_X_EN: 1
; COMPUTE_PGM_RSRC2:TGID_Y_EN: 1
; COMPUTE_PGM_RSRC2:TGID_Z_EN: 0
; COMPUTE_PGM_RSRC2:TIDIG_COMP_CNT: 0
; COMPUTE_PGM_RSRC3_GFX90A:ACCUM_OFFSET: 8
; COMPUTE_PGM_RSRC3_GFX90A:TG_SPLIT: 0
	.section	.text._ZN5aiter35fused_qk_rmsnorm_group_quant_kernelItDB8_Li512ELi16ELi2ELb0ELb0ELb1ELb0ELb0ELb0EEEvPT0_PvPT_S6_S6_PKS5_S8_S8_S8_S8_ffiiiiiiiiiiiii,"axG",@progbits,_ZN5aiter35fused_qk_rmsnorm_group_quant_kernelItDB8_Li512ELi16ELi2ELb0ELb0ELb1ELb0ELb0ELb0EEEvPT0_PvPT_S6_S6_PKS5_S8_S8_S8_S8_ffiiiiiiiiiiiii,comdat
	.protected	_ZN5aiter35fused_qk_rmsnorm_group_quant_kernelItDB8_Li512ELi16ELi2ELb0ELb0ELb1ELb0ELb0ELb0EEEvPT0_PvPT_S6_S6_PKS5_S8_S8_S8_S8_ffiiiiiiiiiiiii ; -- Begin function _ZN5aiter35fused_qk_rmsnorm_group_quant_kernelItDB8_Li512ELi16ELi2ELb0ELb0ELb1ELb0ELb0ELb0EEEvPT0_PvPT_S6_S6_PKS5_S8_S8_S8_S8_ffiiiiiiiiiiiii
	.globl	_ZN5aiter35fused_qk_rmsnorm_group_quant_kernelItDB8_Li512ELi16ELi2ELb0ELb0ELb1ELb0ELb0ELb0EEEvPT0_PvPT_S6_S6_PKS5_S8_S8_S8_S8_ffiiiiiiiiiiiii
	.p2align	8
	.type	_ZN5aiter35fused_qk_rmsnorm_group_quant_kernelItDB8_Li512ELi16ELi2ELb0ELb0ELb1ELb0ELb0ELb0EEEvPT0_PvPT_S6_S6_PKS5_S8_S8_S8_S8_ffiiiiiiiiiiiii,@function
_ZN5aiter35fused_qk_rmsnorm_group_quant_kernelItDB8_Li512ELi16ELi2ELb0ELb0ELb1ELb0ELb0ELb0EEEvPT0_PvPT_S6_S6_PKS5_S8_S8_S8_S8_ffiiiiiiiiiiiii: ; @_ZN5aiter35fused_qk_rmsnorm_group_quant_kernelItDB8_Li512ELi16ELi2ELb0ELb0ELb1ELb0ELb0ELb0EEEvPT0_PvPT_S6_S6_PKS5_S8_S8_S8_S8_ffiiiiiiiiiiiii
; %bb.0:
	s_load_dwordx4 s[16:19], s[4:5], 0x50
	s_waitcnt lgkmcnt(0)
	s_cmp_ge_i32 s6, s18
	s_cbranch_scc1 .LBB1026_12
; %bb.1:
	s_load_dwordx2 s[12:13], s[4:5], 0x48
	s_load_dwordx2 s[30:31], s[4:5], 0x30
	s_load_dwordx4 s[20:23], s[4:5], 0x60
	s_cmp_lg_u32 s7, 0
	s_cselect_b64 s[14:15], -1, 0
	s_cmp_eq_u32 s7, 0
	s_cselect_b64 vcc, -1, 0
	s_and_b64 s[0:1], vcc, exec
	s_waitcnt lgkmcnt(0)
	s_cselect_b32 s7, s19, s20
	s_add_i32 s0, s7, 1
	s_lshr_b32 s1, s0, 31
	s_add_i32 s0, s0, s1
	s_lshl_b32 s0, s0, 1
	v_lshlrev_b32_e32 v1, 4, v0
	s_and_b32 s10, s0, -4
	v_cmp_gt_i32_e64 s[2:3], s7, v1
	v_mov_b32_e32 v18, 0
	v_mov_b32_e32 v6, 0
	;; [unrolled: 1-line block ×17, first 2 shown]
	s_and_saveexec_b64 s[0:1], s[2:3]
	s_cbranch_execz .LBB1026_3
; %bb.2:
	s_load_dwordx2 s[8:9], s[4:5], 0x28
	s_load_dwordx2 s[26:27], s[4:5], 0x40
	s_and_b64 s[24:25], vcc, exec
	s_cselect_b32 s11, s21, s22
	v_lshlrev_b32_e32 v19, 5, v0
	s_waitcnt lgkmcnt(0)
	s_cselect_b32 s18, s9, s31
	s_cselect_b32 s21, s8, s30
	s_mul_hi_i32 s9, s11, s6
	s_mul_i32 s8, s11, s6
	s_lshl_b64 s[8:9], s[8:9], 1
	s_add_u32 s24, s21, s8
	s_addc_u32 s18, s18, s9
	s_and_b64 s[8:9], vcc, exec
	s_mov_b32 s11, 0x20000
	s_cselect_b32 s8, s26, s12
	s_cselect_b32 s9, s27, s13
	s_and_b32 s25, s18, 0xffff
	s_mov_b32 s26, s10
	s_mov_b32 s27, s11
	s_and_b32 s9, s9, 0xffff
	buffer_load_dwordx4 v[14:17], v19, s[24:27], 0 offen
	buffer_load_dwordx4 v[10:13], v19, s[24:27], 16 offen
	;; [unrolled: 1-line block ×4, first 2 shown]
.LBB1026_3:
	s_or_b64 exec, exec, s[0:1]
	v_mov_b32_e32 v19, 0
	v_mov_b32_e32 v32, 0
	v_mov_b32_e32 v33, 0
	v_mov_b32_e32 v26, 0
	v_mov_b32_e32 v27, 0
	v_mov_b32_e32 v30, 0
	v_mov_b32_e32 v31, 0
	v_mov_b32_e32 v24, 0
	v_mov_b32_e32 v25, 0
	v_mov_b32_e32 v28, 0
	v_mov_b32_e32 v29, 0
	v_mov_b32_e32 v22, 0
	v_mov_b32_e32 v23, 0
	v_mov_b32_e32 v20, 0
	v_mov_b32_e32 v21, 0
	s_and_saveexec_b64 s[0:1], s[2:3]
	s_cbranch_execz .LBB1026_5
; %bb.4:
	s_waitcnt vmcnt(3)
	v_cvt_f32_u32_sdwa v18, v14 dst_sel:DWORD dst_unused:UNUSED_PAD src0_sel:WORD_0
	v_cvt_f32_u32_sdwa v19, v14 dst_sel:DWORD dst_unused:UNUSED_PAD src0_sel:WORD_1
	v_cvt_f32_u32_sdwa v32, v15 dst_sel:DWORD dst_unused:UNUSED_PAD src0_sel:WORD_0
	v_cvt_f32_u32_sdwa v33, v15 dst_sel:DWORD dst_unused:UNUSED_PAD src0_sel:WORD_1
	v_cvt_f32_u32_sdwa v26, v16 dst_sel:DWORD dst_unused:UNUSED_PAD src0_sel:WORD_0
	v_cvt_f32_u32_sdwa v27, v16 dst_sel:DWORD dst_unused:UNUSED_PAD src0_sel:WORD_1
	v_cvt_f32_u32_sdwa v30, v17 dst_sel:DWORD dst_unused:UNUSED_PAD src0_sel:WORD_0
	v_cvt_f32_u32_sdwa v31, v17 dst_sel:DWORD dst_unused:UNUSED_PAD src0_sel:WORD_1
	s_waitcnt vmcnt(2)
	v_cvt_f32_u32_sdwa v24, v10 dst_sel:DWORD dst_unused:UNUSED_PAD src0_sel:WORD_0
	v_cvt_f32_u32_sdwa v25, v10 dst_sel:DWORD dst_unused:UNUSED_PAD src0_sel:WORD_1
	v_cvt_f32_u32_sdwa v28, v11 dst_sel:DWORD dst_unused:UNUSED_PAD src0_sel:WORD_0
	v_cvt_f32_u32_sdwa v29, v11 dst_sel:DWORD dst_unused:UNUSED_PAD src0_sel:WORD_1
	;; [unrolled: 2-line block ×4, first 2 shown]
.LBB1026_5:
	s_or_b64 exec, exec, s[0:1]
	s_waitcnt vmcnt(2)
	v_mul_f32_e32 v10, v19, v19
	v_fmac_f32_e32 v10, v18, v18
	v_fmac_f32_e32 v10, v32, v32
	;; [unrolled: 1-line block ×15, first 2 shown]
	v_and_b32_e32 v12, 63, v0
	v_cmp_eq_u32_e64 s[0:1], 63, v12
	v_mov_b32_dpp v11, v10 quad_perm:[1,0,3,2] row_mask:0xf bank_mask:0xf
	v_add_f32_e32 v10, v10, v11
	s_nop 1
	v_mov_b32_dpp v11, v10 quad_perm:[2,3,0,1] row_mask:0xf bank_mask:0xf
	v_add_f32_e32 v10, v10, v11
	s_nop 1
	v_mov_b32_dpp v11, v10 row_half_mirror row_mask:0xf bank_mask:0xf
	v_add_f32_e32 v10, v10, v11
	s_nop 1
	v_mov_b32_dpp v11, v10 row_mirror row_mask:0xf bank_mask:0xf
	v_add_f32_e32 v10, v10, v11
	s_nop 1
	v_mov_b32_dpp v11, v10 row_bcast:15 row_mask:0xf bank_mask:0xf
	v_add_f32_e32 v10, v10, v11
	s_nop 1
	v_mov_b32_dpp v11, v10 row_bcast:31 row_mask:0xf bank_mask:0xf
	s_and_saveexec_b64 s[8:9], s[0:1]
	s_cbranch_execz .LBB1026_7
; %bb.6:
	v_add_f32_e32 v10, v10, v11
	v_lshrrev_b32_e32 v11, 4, v0
	v_and_b32_e32 v11, 60, v11
	ds_write_b32 v11, v10 offset:32
.LBB1026_7:
	s_or_b64 exec, exec, s[8:9]
	v_and_b32_e32 v10, 7, v0
	v_lshlrev_b32_e32 v34, 2, v10
	s_waitcnt lgkmcnt(0)
	s_barrier
	ds_read_b32 v10, v34 offset:32
	s_load_dwordx2 s[28:29], s[4:5], 0x18
	s_waitcnt lgkmcnt(0)
	v_mov_b32_dpp v11, v10 quad_perm:[1,0,3,2] row_mask:0xf bank_mask:0xf
	v_add_f32_e32 v10, v10, v11
	s_nop 1
	v_mov_b32_dpp v11, v10 quad_perm:[2,3,0,1] row_mask:0xf bank_mask:0xf
	v_add_f32_e32 v10, v10, v11
	s_nop 1
	v_mov_b32_dpp v11, v10 row_half_mirror row_mask:0xf bank_mask:0xf
	s_and_saveexec_b64 s[8:9], s[2:3]
	s_cbranch_execz .LBB1026_9
; %bb.8:
	v_cvt_f32_u32_e32 v12, s7
	v_add_f32_e32 v10, v10, v11
	v_mov_b32_e32 v14, s17
	v_mov_b32_e32 v15, s16
	v_div_scale_f32 v11, s[24:25], v12, v12, v10
	v_rcp_f32_e32 v13, v11
	v_cndmask_b32_e32 v14, v14, v15, vcc
	s_mov_b32 s7, 0x800000
	v_fma_f32 v15, -v11, v13, 1.0
	v_fmac_f32_e32 v13, v15, v13
	v_div_scale_f32 v15, vcc, v10, v12, v10
	v_mul_f32_e32 v16, v15, v13
	v_fma_f32 v17, -v11, v16, v15
	v_fmac_f32_e32 v16, v17, v13
	v_fma_f32 v11, -v11, v16, v15
	v_div_fmas_f32 v11, v11, v13, v16
	v_div_fixup_f32 v10, v11, v12, v10
	v_add_f32_e32 v10, v14, v10
	v_mul_f32_e32 v11, 0x4b800000, v10
	v_cmp_gt_f32_e32 vcc, s7, v10
	v_cndmask_b32_e32 v10, v10, v11, vcc
	v_rsq_f32_e32 v10, v10
	v_mul_f32_e32 v11, 0x45800000, v10
	v_cndmask_b32_e32 v10, v10, v11, vcc
	v_mov_b32_e32 v11, v10
	;;#ASMSTART
	v_pk_mul_f32 v[12:13], v[18:19], v[10:11]
	;;#ASMEND
	s_waitcnt vmcnt(1)
	v_cvt_f32_u32_sdwa v19, v6 dst_sel:DWORD dst_unused:UNUSED_PAD src0_sel:WORD_1
	v_cvt_f32_u32_sdwa v18, v6 dst_sel:DWORD dst_unused:UNUSED_PAD src0_sel:WORD_0
	;;#ASMSTART
	v_pk_mul_f32 v[14:15], v[32:33], v[10:11]
	;;#ASMEND
	;;#ASMSTART
	v_pk_mul_f32 v[16:17], v[26:27], v[10:11]
	;;#ASMEND
	v_cvt_f32_u32_sdwa v27, v7 dst_sel:DWORD dst_unused:UNUSED_PAD src0_sel:WORD_1
	v_cvt_f32_u32_sdwa v26, v7 dst_sel:DWORD dst_unused:UNUSED_PAD src0_sel:WORD_0
	;;#ASMSTART
	v_pk_mul_f32 v[30:31], v[30:31], v[10:11]
	;;#ASMEND
	;;#ASMSTART
	v_pk_mul_f32 v[24:25], v[24:25], v[10:11]
	;;#ASMEND
	;; [unrolled: 3-line block ×5, first 2 shown]
	v_pk_add_f32 v[10:11], v[18:19], 1.0 op_sel_hi:[1,0]
	;;#ASMSTART
	v_pk_mul_f32 v[18:19], v[12:13], v[10:11]
	;;#ASMEND
	v_cvt_f32_u32_sdwa v13, v8 dst_sel:DWORD dst_unused:UNUSED_PAD src0_sel:WORD_1
	v_cvt_f32_u32_sdwa v12, v8 dst_sel:DWORD dst_unused:UNUSED_PAD src0_sel:WORD_0
	v_cvt_f32_u32_sdwa v21, v9 dst_sel:DWORD dst_unused:UNUSED_PAD src0_sel:WORD_1
	v_cvt_f32_u32_sdwa v20, v9 dst_sel:DWORD dst_unused:UNUSED_PAD src0_sel:WORD_0
	v_pk_add_f32 v[10:11], v[26:27], 1.0 op_sel_hi:[1,0]
	;;#ASMSTART
	v_pk_mul_f32 v[32:33], v[14:15], v[10:11]
	;;#ASMEND
	s_waitcnt vmcnt(0)
	v_cvt_f32_u32_sdwa v11, v2 dst_sel:DWORD dst_unused:UNUSED_PAD src0_sel:WORD_1
	v_cvt_f32_u32_sdwa v10, v2 dst_sel:DWORD dst_unused:UNUSED_PAD src0_sel:WORD_0
	v_pk_add_f32 v[8:9], v[12:13], 1.0 op_sel_hi:[1,0]
	;;#ASMSTART
	v_pk_mul_f32 v[26:27], v[16:17], v[8:9]
	;;#ASMEND
	v_pk_add_f32 v[8:9], v[20:21], 1.0 op_sel_hi:[1,0]
	v_cvt_f32_u32_sdwa v13, v3 dst_sel:DWORD dst_unused:UNUSED_PAD src0_sel:WORD_1
	v_cvt_f32_u32_sdwa v12, v3 dst_sel:DWORD dst_unused:UNUSED_PAD src0_sel:WORD_0
	;;#ASMSTART
	v_pk_mul_f32 v[30:31], v[30:31], v[8:9]
	;;#ASMEND
	v_cvt_f32_u32_sdwa v9, v4 dst_sel:DWORD dst_unused:UNUSED_PAD src0_sel:WORD_1
	v_cvt_f32_u32_sdwa v8, v4 dst_sel:DWORD dst_unused:UNUSED_PAD src0_sel:WORD_0
	v_pk_add_f32 v[2:3], v[10:11], 1.0 op_sel_hi:[1,0]
	v_cvt_f32_u32_sdwa v11, v5 dst_sel:DWORD dst_unused:UNUSED_PAD src0_sel:WORD_1
	v_cvt_f32_u32_sdwa v10, v5 dst_sel:DWORD dst_unused:UNUSED_PAD src0_sel:WORD_0
	;;#ASMSTART
	v_pk_mul_f32 v[24:25], v[24:25], v[2:3]
	;;#ASMEND
	v_pk_add_f32 v[2:3], v[12:13], 1.0 op_sel_hi:[1,0]
	;;#ASMSTART
	v_pk_mul_f32 v[28:29], v[28:29], v[2:3]
	;;#ASMEND
	v_pk_add_f32 v[2:3], v[8:9], 1.0 op_sel_hi:[1,0]
	;; [unrolled: 4-line block ×3, first 2 shown]
	;;#ASMSTART
	v_pk_mul_f32 v[20:21], v[6:7], v[2:3]
	;;#ASMEND
.LBB1026_9:
	s_or_b64 exec, exec, s[8:9]
	s_load_dword s7, s[4:5], 0x80
	s_mov_b64 s[8:9], -1
	s_and_b64 vcc, exec, s[14:15]
	s_cbranch_vccnz .LBB1026_13
; %bb.10:
	s_andn2_b64 vcc, exec, s[8:9]
	s_cbranch_vccz .LBB1026_16
.LBB1026_11:
	s_cmp_lt_i32 s20, 1
	s_cbranch_scc0 .LBB1026_23
.LBB1026_12:
	s_endpgm
.LBB1026_13:
	s_and_saveexec_b64 s[14:15], s[2:3]
	s_cbranch_execz .LBB1026_15
; %bb.14:
	s_waitcnt lgkmcnt(0)
	s_mul_hi_i32 s9, s7, s6
	s_mul_i32 s8, s7, s6
	s_lshl_b64 s[8:9], s[8:9], 1
	s_add_u32 s8, s28, s8
	s_addc_u32 s9, s29, s9
	s_mov_b32 s16, 0x7060302
	s_and_b32 s9, s9, 0xffff
	s_mov_b32 s11, 0x20000
	s_waitcnt vmcnt(0)
	v_perm_b32 v5, v31, v30, s16
	v_perm_b32 v4, v27, v26, s16
	;; [unrolled: 1-line block ×4, first 2 shown]
	v_lshlrev_b32_e32 v6, 5, v0
	buffer_store_dwordx4 v[2:5], v6, s[8:11], 0 offen
	;;#ASMSTART
	s_nop 0
	;;#ASMEND
	s_nop 0
	v_perm_b32 v5, v21, v20, s16
	v_perm_b32 v4, v23, v22, s16
	;; [unrolled: 1-line block ×4, first 2 shown]
	buffer_store_dwordx4 v[2:5], v6, s[8:11], 16 offen
	;;#ASMSTART
	s_nop 0
	;;#ASMEND
.LBB1026_15:
	s_or_b64 exec, exec, s[14:15]
	s_cbranch_execnz .LBB1026_11
.LBB1026_16:
	s_waitcnt vmcnt(0)
	v_mov_b32_e32 v2, 0
	s_and_saveexec_b64 s[8:9], s[2:3]
	s_cbranch_execz .LBB1026_18
; %bb.17:
	v_and_b32_e32 v2, 0x7fffffff, v18
	v_and_b32_e32 v3, 0x7fffffff, v19
	v_mov_b32_e32 v4, 0x2edbe6ff
	;;#ASMSTART
	v_max3_f32 v2, v4, v2, v3

	;;#ASMEND
	v_and_b32_e32 v3, 0x7fffffff, v32
	v_and_b32_e32 v4, 0x7fffffff, v33
	;;#ASMSTART
	v_max3_f32 v2, v2, v3, v4

	;;#ASMEND
	v_and_b32_e32 v3, 0x7fffffff, v26
	v_and_b32_e32 v4, 0x7fffffff, v27
	;; [unrolled: 6-line block ×7, first 2 shown]
	;;#ASMSTART
	v_max3_f32 v2, v2, v3, v4

	;;#ASMEND
.LBB1026_18:
	s_or_b64 exec, exec, s[8:9]
	s_load_dwordx4 s[24:27], s[4:5], 0x70
	;;#ASMSTART
	v_max_f32 v3, v2, v2 quad_perm:[1,0,3,2] row_mask:0xf bank_mask:0xf bound_ctrl:1
	;;#ASMEND
	v_mul_f32_e32 v2, 0x3b124925, v3
	v_and_b32_e32 v3, 1, v0
	v_cmp_eq_u32_e32 vcc, 0, v3
	v_cmp_gt_i32_e64 s[8:9], s19, v1
	s_and_b64 s[10:11], vcc, s[8:9]
	s_and_saveexec_b64 s[8:9], s[10:11]
	s_cbranch_execz .LBB1026_20
; %bb.19:
	s_load_dwordx2 s[10:11], s[4:5], 0x8
	s_waitcnt lgkmcnt(0)
	s_mul_hi_i32 s15, s25, s6
	s_mul_i32 s14, s25, s6
	v_lshrrev_b32_e32 v3, 1, v0
	s_lshl_b64 s[14:15], s[14:15], 2
	v_mad_i64_i32 v[4:5], s[26:27], s26, v3, 0
	s_add_u32 s10, s10, s14
	s_addc_u32 s11, s11, s15
	v_lshlrev_b64 v[4:5], 2, v[4:5]
	v_mov_b32_e32 v3, s11
	v_add_co_u32_e32 v4, vcc, s10, v4
	v_addc_co_u32_e32 v5, vcc, v3, v5, vcc
	global_store_dword v[4:5], v2, off
.LBB1026_20:
	s_or_b64 exec, exec, s[8:9]
	;;#ASMSTART
	v_rcp_f32 v2, v2
	;;#ASMEND
	s_and_saveexec_b64 s[14:15], s[2:3]
	s_cbranch_execz .LBB1026_22
; %bb.21:
	s_load_dwordx2 s[2:3], s[4:5], 0x0
	s_waitcnt lgkmcnt(0)
	s_mul_i32 s8, s24, s6
	s_mul_hi_i32 s9, s24, s6
	v_mov_b32_e32 v3, v2
	;;#ASMSTART
	v_pk_mul_f32 v[4:5], v[18:19], v[2:3]
	;;#ASMEND
	s_add_u32 s8, s2, s8
	s_addc_u32 s2, s3, s9
	s_add_i32 s3, s19, 3
	s_ashr_i32 s10, s3, 31
	v_mov_b32_e32 v10, 0xc3e00000
	v_mov_b32_e32 v11, 0x43e00000
	;;#ASMSTART
	v_med3_f32 v4, v4, v10, v11
v_med3_f32 v5, v5, v10, v11
v_cvt_pk_fp8_f32 v6, v4, v5
	;;#ASMEND
	s_and_b32 s9, s2, 0xffff
	s_lshr_b32 s2, s10, 30
	;;#ASMSTART
	v_pk_mul_f32 v[4:5], v[32:33], v[2:3]
	;;#ASMEND
	s_add_i32 s3, s3, s2
	;;#ASMSTART
	v_med3_f32 v4, v4, v10, v11
v_med3_f32 v5, v5, v10, v11
v_cvt_pk_fp8_f32 v7, v4, v5
	;;#ASMEND
	s_mov_b32 s2, 0x5040100
	v_perm_b32 v4, v7, v6, s2
	s_mov_b32 s2, 0x1060504
	v_perm_b32 v4, v4, v7, s2
	;;#ASMSTART
	v_pk_mul_f32 v[6:7], v[26:27], v[2:3]
	;;#ASMEND
	v_mov_b32_e32 v5, v7
	;;#ASMSTART
	v_med3_f32 v6, v6, v10, v11
v_med3_f32 v5, v5, v10, v11
v_cvt_pk_fp8_f32 v8, v6, v5
	;;#ASMEND
	;;#ASMSTART
	v_pk_mul_f32 v[6:7], v[30:31], v[2:3]
	;;#ASMEND
	v_mov_b32_e32 v5, v7
	;;#ASMSTART
	v_med3_f32 v6, v6, v10, v11
v_med3_f32 v5, v5, v10, v11
v_cvt_pk_fp8_f32 v7, v6, v5
	;;#ASMEND
	s_mov_b32 s2, 0x1000504
	v_perm_b32 v5, v8, v7, s2
	;;#ASMSTART
	v_pk_mul_f32 v[6:7], v[24:25], v[2:3]
	;;#ASMEND
	;;#ASMSTART
	v_med3_f32 v6, v6, v10, v11
v_med3_f32 v7, v7, v10, v11
v_cvt_pk_fp8_f32 v8, v6, v7
	;;#ASMEND
	;;#ASMSTART
	v_pk_mul_f32 v[6:7], v[28:29], v[2:3]
	;;#ASMEND
	;;#ASMSTART
	v_med3_f32 v6, v6, v10, v11
v_med3_f32 v7, v7, v10, v11
v_cvt_pk_fp8_f32 v9, v6, v7
	;;#ASMEND
	v_perm_b32 v6, v8, v9, s2
	;;#ASMSTART
	v_pk_mul_f32 v[8:9], v[22:23], v[2:3]
	;;#ASMEND
	v_mov_b32_e32 v7, v9
	;;#ASMSTART
	v_med3_f32 v8, v8, v10, v11
v_med3_f32 v7, v7, v10, v11
v_cvt_pk_fp8_f32 v9, v8, v7
	;;#ASMEND
	;;#ASMSTART
	v_pk_mul_f32 v[2:3], v[20:21], v[2:3]
	;;#ASMEND
	;;#ASMSTART
	v_med3_f32 v2, v2, v10, v11
v_med3_f32 v3, v3, v10, v11
v_cvt_pk_fp8_f32 v7, v2, v3
	;;#ASMEND
	s_and_b32 s10, s3, -4
	s_mov_b32 s11, 0x20000
	v_perm_b32 v7, v9, v7, s2
	buffer_store_dwordx4 v[4:7], v1, s[8:11], 0 offen
	;;#ASMSTART
	s_nop 0
	;;#ASMEND
.LBB1026_22:
	s_or_b64 exec, exec, s[14:15]
	s_cmp_lt_i32 s20, 1
	s_cbranch_scc1 .LBB1026_12
.LBB1026_23:
	s_load_dword s2, s[4:5], 0x94
	s_waitcnt lgkmcnt(0)
	s_cmp_lg_u32 s2, 1
	s_cbranch_scc1 .LBB1026_12
; %bb.24:
	s_lshl_b32 s2, s20, 1
	s_add_i32 s2, s2, 2
	v_cmp_gt_u32_e32 vcc, s20, v1
	s_and_b32 s14, s2, -4
	v_mov_b32_e32 v18, 0
	v_lshlrev_b32_e32 v1, 5, v0
	v_mov_b32_e32 v14, 0
	v_mov_b32_e32 v15, 0
	v_mov_b32_e32 v16, 0
	v_mov_b32_e32 v17, 0
	v_mov_b32_e32 v10, 0
	v_mov_b32_e32 v11, 0
	v_mov_b32_e32 v12, 0
	v_mov_b32_e32 v13, 0
	s_waitcnt vmcnt(1)
	v_mov_b32_e32 v6, 0
	v_mov_b32_e32 v7, 0
	;; [unrolled: 1-line block ×4, first 2 shown]
	s_waitcnt vmcnt(0)
	v_mov_b32_e32 v2, 0
	v_mov_b32_e32 v3, 0
	;; [unrolled: 1-line block ×4, first 2 shown]
	s_barrier
	s_and_saveexec_b64 s[2:3], vcc
	s_cbranch_execz .LBB1026_26
; %bb.25:
	s_mul_hi_i32 s5, s22, s6
	s_mul_i32 s4, s22, s6
	s_and_b32 s13, s13, 0xffff
	s_lshl_b64 s[4:5], s[4:5], 1
	s_add_u32 s8, s30, s4
	s_mov_b32 s15, 0x20000
	s_addc_u32 s4, s31, s5
	s_and_b32 s9, s4, 0xffff
	s_mov_b32 s10, s14
	s_mov_b32 s11, s15
	buffer_load_dwordx4 v[14:17], v1, s[8:11], 0 offen
	buffer_load_dwordx4 v[10:13], v1, s[8:11], 16 offen
	;; [unrolled: 1-line block ×4, first 2 shown]
.LBB1026_26:
	s_or_b64 exec, exec, s[2:3]
	v_mov_b32_e32 v19, 0
	v_mov_b32_e32 v32, 0
	;; [unrolled: 1-line block ×15, first 2 shown]
	s_and_saveexec_b64 s[2:3], vcc
	s_cbranch_execz .LBB1026_28
; %bb.27:
	s_waitcnt vmcnt(3)
	v_cvt_f32_u32_sdwa v18, v14 dst_sel:DWORD dst_unused:UNUSED_PAD src0_sel:WORD_0
	v_cvt_f32_u32_sdwa v19, v14 dst_sel:DWORD dst_unused:UNUSED_PAD src0_sel:WORD_1
	v_cvt_f32_u32_sdwa v32, v15 dst_sel:DWORD dst_unused:UNUSED_PAD src0_sel:WORD_0
	v_cvt_f32_u32_sdwa v33, v15 dst_sel:DWORD dst_unused:UNUSED_PAD src0_sel:WORD_1
	;; [unrolled: 2-line block ×4, first 2 shown]
	s_waitcnt vmcnt(2)
	v_cvt_f32_u32_sdwa v26, v10 dst_sel:DWORD dst_unused:UNUSED_PAD src0_sel:WORD_0
	v_cvt_f32_u32_sdwa v27, v10 dst_sel:DWORD dst_unused:UNUSED_PAD src0_sel:WORD_1
	v_cvt_f32_u32_sdwa v24, v11 dst_sel:DWORD dst_unused:UNUSED_PAD src0_sel:WORD_0
	v_cvt_f32_u32_sdwa v25, v11 dst_sel:DWORD dst_unused:UNUSED_PAD src0_sel:WORD_1
	;; [unrolled: 2-line block ×4, first 2 shown]
.LBB1026_28:
	s_or_b64 exec, exec, s[2:3]
	s_waitcnt vmcnt(2)
	v_mul_f32_e32 v10, v19, v19
	v_fmac_f32_e32 v10, v18, v18
	v_fmac_f32_e32 v10, v32, v32
	;; [unrolled: 1-line block ×15, first 2 shown]
	s_nop 1
	v_mov_b32_dpp v11, v10 quad_perm:[1,0,3,2] row_mask:0xf bank_mask:0xf
	v_add_f32_e32 v10, v10, v11
	s_nop 1
	v_mov_b32_dpp v11, v10 quad_perm:[2,3,0,1] row_mask:0xf bank_mask:0xf
	v_add_f32_e32 v10, v10, v11
	s_nop 1
	v_mov_b32_dpp v11, v10 row_half_mirror row_mask:0xf bank_mask:0xf
	v_add_f32_e32 v10, v10, v11
	s_nop 1
	v_mov_b32_dpp v11, v10 row_mirror row_mask:0xf bank_mask:0xf
	v_add_f32_e32 v10, v10, v11
	s_nop 1
	v_mov_b32_dpp v11, v10 row_bcast:15 row_mask:0xf bank_mask:0xf
	v_add_f32_e32 v10, v10, v11
	s_nop 1
	v_mov_b32_dpp v11, v10 row_bcast:31 row_mask:0xf bank_mask:0xf
	s_and_saveexec_b64 s[2:3], s[0:1]
	s_cbranch_execz .LBB1026_30
; %bb.29:
	v_lshrrev_b32_e32 v0, 4, v0
	v_add_f32_e32 v10, v10, v11
	v_and_b32_e32 v0, 60, v0
	ds_write_b32 v0, v10
.LBB1026_30:
	s_or_b64 exec, exec, s[2:3]
	s_waitcnt lgkmcnt(0)
	s_barrier
	ds_read_b32 v0, v34
	s_waitcnt lgkmcnt(0)
	s_nop 0
	v_mov_b32_dpp v10, v0 quad_perm:[1,0,3,2] row_mask:0xf bank_mask:0xf
	v_add_f32_e32 v0, v0, v10
	s_nop 1
	v_mov_b32_dpp v10, v0 quad_perm:[2,3,0,1] row_mask:0xf bank_mask:0xf
	v_add_f32_e32 v0, v0, v10
	s_nop 1
	v_mov_b32_dpp v10, v0 row_half_mirror row_mask:0xf bank_mask:0xf
	s_and_saveexec_b64 s[0:1], vcc
	s_cbranch_execz .LBB1026_12
; %bb.31:
	v_cvt_f32_u32_e32 v11, s20
	v_add_f32_e32 v0, v0, v10
	s_mov_b32 s15, 0x20000
	v_div_scale_f32 v10, s[0:1], v11, v11, v0
	v_rcp_f32_e32 v12, v10
	v_div_scale_f32 v13, vcc, v0, v11, v0
	s_mov_b32 s0, 0x800000
	v_fma_f32 v14, -v10, v12, 1.0
	v_fmac_f32_e32 v12, v14, v12
	v_mul_f32_e32 v14, v13, v12
	v_fma_f32 v15, -v10, v14, v13
	v_fmac_f32_e32 v14, v15, v12
	v_fma_f32 v10, -v10, v14, v13
	v_div_fmas_f32 v10, v10, v12, v14
	v_div_fixup_f32 v0, v10, v11, v0
	v_add_f32_e32 v0, s17, v0
	v_mul_f32_e32 v10, 0x4b800000, v0
	v_cmp_gt_f32_e32 vcc, s0, v0
	v_cndmask_b32_e32 v0, v0, v10, vcc
	v_rsq_f32_e32 v0, v0
	s_mul_hi_i32 s1, s7, s6
	s_mul_i32 s0, s7, s6
	s_lshl_b64 s[0:1], s[0:1], 1
	v_mul_f32_e32 v10, 0x45800000, v0
	v_cndmask_b32_e32 v10, v0, v10, vcc
	v_mov_b32_e32 v11, v10
	;;#ASMSTART
	v_pk_mul_f32 v[12:13], v[18:19], v[10:11]
	;;#ASMEND
	;;#ASMSTART
	v_pk_mul_f32 v[14:15], v[32:33], v[10:11]
	;;#ASMEND
	;; [unrolled: 3-line block ×4, first 2 shown]
	s_waitcnt vmcnt(1)
	v_cvt_f32_u32_sdwa v29, v6 dst_sel:DWORD dst_unused:UNUSED_PAD src0_sel:WORD_1
	v_cvt_f32_u32_sdwa v28, v6 dst_sel:DWORD dst_unused:UNUSED_PAD src0_sel:WORD_0
	v_cvt_f32_u32_sdwa v31, v7 dst_sel:DWORD dst_unused:UNUSED_PAD src0_sel:WORD_1
	v_cvt_f32_u32_sdwa v30, v7 dst_sel:DWORD dst_unused:UNUSED_PAD src0_sel:WORD_0
	;;#ASMSTART
	v_pk_mul_f32 v[26:27], v[26:27], v[10:11]
	;;#ASMEND
	;;#ASMSTART
	v_pk_mul_f32 v[24:25], v[24:25], v[10:11]
	;;#ASMEND
	;; [unrolled: 3-line block ×4, first 2 shown]
	v_cvt_f32_u32_sdwa v21, v8 dst_sel:DWORD dst_unused:UNUSED_PAD src0_sel:WORD_1
	v_cvt_f32_u32_sdwa v20, v8 dst_sel:DWORD dst_unused:UNUSED_PAD src0_sel:WORD_0
	v_pk_add_f32 v[10:11], v[28:29], 1.0 op_sel_hi:[1,0]
	;;#ASMSTART
	v_pk_mul_f32 v[10:11], v[12:13], v[10:11]
	;;#ASMEND
	v_pk_add_f32 v[12:13], v[30:31], 1.0 op_sel_hi:[1,0]
	v_cvt_f32_u32_sdwa v29, v9 dst_sel:DWORD dst_unused:UNUSED_PAD src0_sel:WORD_1
	v_cvt_f32_u32_sdwa v28, v9 dst_sel:DWORD dst_unused:UNUSED_PAD src0_sel:WORD_0
	;;#ASMSTART
	v_pk_mul_f32 v[8:9], v[14:15], v[12:13]
	;;#ASMEND
	v_pk_add_f32 v[12:13], v[20:21], 1.0 op_sel_hi:[1,0]
	;;#ASMSTART
	v_pk_mul_f32 v[12:13], v[16:17], v[12:13]
	;;#ASMEND
	s_waitcnt vmcnt(0)
	v_cvt_f32_u32_sdwa v17, v2 dst_sel:DWORD dst_unused:UNUSED_PAD src0_sel:WORD_1
	v_cvt_f32_u32_sdwa v16, v2 dst_sel:DWORD dst_unused:UNUSED_PAD src0_sel:WORD_0
	v_cvt_f32_u32_sdwa v21, v3 dst_sel:DWORD dst_unused:UNUSED_PAD src0_sel:WORD_1
	v_cvt_f32_u32_sdwa v20, v3 dst_sel:DWORD dst_unused:UNUSED_PAD src0_sel:WORD_0
	v_pk_add_f32 v[14:15], v[28:29], 1.0 op_sel_hi:[1,0]
	;;#ASMSTART
	v_pk_mul_f32 v[14:15], v[18:19], v[14:15]
	;;#ASMEND
	v_pk_add_f32 v[2:3], v[16:17], 1.0 op_sel_hi:[1,0]
	v_cvt_f32_u32_sdwa v19, v4 dst_sel:DWORD dst_unused:UNUSED_PAD src0_sel:WORD_1
	v_cvt_f32_u32_sdwa v18, v4 dst_sel:DWORD dst_unused:UNUSED_PAD src0_sel:WORD_0
	;;#ASMSTART
	v_pk_mul_f32 v[16:17], v[26:27], v[2:3]
	;;#ASMEND
	v_pk_add_f32 v[2:3], v[20:21], 1.0 op_sel_hi:[1,0]
	v_cvt_f32_u32_sdwa v21, v5 dst_sel:DWORD dst_unused:UNUSED_PAD src0_sel:WORD_1
	v_cvt_f32_u32_sdwa v20, v5 dst_sel:DWORD dst_unused:UNUSED_PAD src0_sel:WORD_0
	s_add_u32 s12, s28, s0
	;;#ASMSTART
	v_pk_mul_f32 v[24:25], v[24:25], v[2:3]
	;;#ASMEND
	v_pk_add_f32 v[2:3], v[18:19], 1.0 op_sel_hi:[1,0]
	s_addc_u32 s0, s29, s1
	;;#ASMSTART
	v_pk_mul_f32 v[18:19], v[22:23], v[2:3]
	;;#ASMEND
	v_pk_add_f32 v[2:3], v[20:21], 1.0 op_sel_hi:[1,0]
	s_and_b32 s13, s0, 0xffff
	s_mov_b32 s0, 0x7060302
	;;#ASMSTART
	v_pk_mul_f32 v[6:7], v[6:7], v[2:3]
	;;#ASMEND
	v_perm_b32 v2, v11, v10, s0
	v_perm_b32 v3, v9, v8, s0
	;; [unrolled: 1-line block ×4, first 2 shown]
	buffer_store_dwordx4 v[2:5], v1, s[12:15], 0 offen
	;;#ASMSTART
	s_nop 0
	;;#ASMEND
	s_nop 0
	v_perm_b32 v2, v17, v16, s0
	v_perm_b32 v3, v25, v24, s0
	;; [unrolled: 1-line block ×4, first 2 shown]
	buffer_store_dwordx4 v[2:5], v1, s[12:15], 16 offen
	;;#ASMSTART
	s_nop 0
	;;#ASMEND
	s_endpgm
	.section	.rodata,"a",@progbits
	.p2align	6, 0x0
	.amdhsa_kernel _ZN5aiter35fused_qk_rmsnorm_group_quant_kernelItDB8_Li512ELi16ELi2ELb0ELb0ELb1ELb0ELb0ELb0EEEvPT0_PvPT_S6_S6_PKS5_S8_S8_S8_S8_ffiiiiiiiiiiiii
		.amdhsa_group_segment_fixed_size 64
		.amdhsa_private_segment_fixed_size 0
		.amdhsa_kernarg_size 400
		.amdhsa_user_sgpr_count 6
		.amdhsa_user_sgpr_private_segment_buffer 1
		.amdhsa_user_sgpr_dispatch_ptr 0
		.amdhsa_user_sgpr_queue_ptr 0
		.amdhsa_user_sgpr_kernarg_segment_ptr 1
		.amdhsa_user_sgpr_dispatch_id 0
		.amdhsa_user_sgpr_flat_scratch_init 0
		.amdhsa_user_sgpr_kernarg_preload_length 0
		.amdhsa_user_sgpr_kernarg_preload_offset 0
		.amdhsa_user_sgpr_private_segment_size 0
		.amdhsa_uses_dynamic_stack 0
		.amdhsa_system_sgpr_private_segment_wavefront_offset 0
		.amdhsa_system_sgpr_workgroup_id_x 1
		.amdhsa_system_sgpr_workgroup_id_y 1
		.amdhsa_system_sgpr_workgroup_id_z 0
		.amdhsa_system_sgpr_workgroup_info 0
		.amdhsa_system_vgpr_workitem_id 0
		.amdhsa_next_free_vgpr 35
		.amdhsa_next_free_sgpr 32
		.amdhsa_accum_offset 36
		.amdhsa_reserve_vcc 1
		.amdhsa_reserve_flat_scratch 0
		.amdhsa_float_round_mode_32 0
		.amdhsa_float_round_mode_16_64 0
		.amdhsa_float_denorm_mode_32 3
		.amdhsa_float_denorm_mode_16_64 3
		.amdhsa_dx10_clamp 1
		.amdhsa_ieee_mode 1
		.amdhsa_fp16_overflow 0
		.amdhsa_tg_split 0
		.amdhsa_exception_fp_ieee_invalid_op 0
		.amdhsa_exception_fp_denorm_src 0
		.amdhsa_exception_fp_ieee_div_zero 0
		.amdhsa_exception_fp_ieee_overflow 0
		.amdhsa_exception_fp_ieee_underflow 0
		.amdhsa_exception_fp_ieee_inexact 0
		.amdhsa_exception_int_div_zero 0
	.end_amdhsa_kernel
	.section	.text._ZN5aiter35fused_qk_rmsnorm_group_quant_kernelItDB8_Li512ELi16ELi2ELb0ELb0ELb1ELb0ELb0ELb0EEEvPT0_PvPT_S6_S6_PKS5_S8_S8_S8_S8_ffiiiiiiiiiiiii,"axG",@progbits,_ZN5aiter35fused_qk_rmsnorm_group_quant_kernelItDB8_Li512ELi16ELi2ELb0ELb0ELb1ELb0ELb0ELb0EEEvPT0_PvPT_S6_S6_PKS5_S8_S8_S8_S8_ffiiiiiiiiiiiii,comdat
.Lfunc_end1026:
	.size	_ZN5aiter35fused_qk_rmsnorm_group_quant_kernelItDB8_Li512ELi16ELi2ELb0ELb0ELb1ELb0ELb0ELb0EEEvPT0_PvPT_S6_S6_PKS5_S8_S8_S8_S8_ffiiiiiiiiiiiii, .Lfunc_end1026-_ZN5aiter35fused_qk_rmsnorm_group_quant_kernelItDB8_Li512ELi16ELi2ELb0ELb0ELb1ELb0ELb0ELb0EEEvPT0_PvPT_S6_S6_PKS5_S8_S8_S8_S8_ffiiiiiiiiiiiii
                                        ; -- End function
	.section	.AMDGPU.csdata,"",@progbits
; Kernel info:
; codeLenInByte = 3596
; NumSgprs: 36
; NumVgprs: 35
; NumAgprs: 0
; TotalNumVgprs: 35
; ScratchSize: 0
; MemoryBound: 0
; FloatMode: 240
; IeeeMode: 1
; LDSByteSize: 64 bytes/workgroup (compile time only)
; SGPRBlocks: 4
; VGPRBlocks: 4
; NumSGPRsForWavesPerEU: 36
; NumVGPRsForWavesPerEU: 35
; AccumOffset: 36
; Occupancy: 8
; WaveLimiterHint : 0
; COMPUTE_PGM_RSRC2:SCRATCH_EN: 0
; COMPUTE_PGM_RSRC2:USER_SGPR: 6
; COMPUTE_PGM_RSRC2:TRAP_HANDLER: 0
; COMPUTE_PGM_RSRC2:TGID_X_EN: 1
; COMPUTE_PGM_RSRC2:TGID_Y_EN: 1
; COMPUTE_PGM_RSRC2:TGID_Z_EN: 0
; COMPUTE_PGM_RSRC2:TIDIG_COMP_CNT: 0
; COMPUTE_PGM_RSRC3_GFX90A:ACCUM_OFFSET: 8
; COMPUTE_PGM_RSRC3_GFX90A:TG_SPLIT: 0
	.section	.text._ZN5aiter35fused_qk_rmsnorm_group_quant_kernelIDF16_N4opus5fp4_tELi512ELi16ELi2ELb0ELb0ELb1ELb0ELb0ELb0EEEvPT0_PvPT_S7_S7_PKS6_S9_S9_S9_S9_ffiiiiiiiiiiiii,"axG",@progbits,_ZN5aiter35fused_qk_rmsnorm_group_quant_kernelIDF16_N4opus5fp4_tELi512ELi16ELi2ELb0ELb0ELb1ELb0ELb0ELb0EEEvPT0_PvPT_S7_S7_PKS6_S9_S9_S9_S9_ffiiiiiiiiiiiii,comdat
	.protected	_ZN5aiter35fused_qk_rmsnorm_group_quant_kernelIDF16_N4opus5fp4_tELi512ELi16ELi2ELb0ELb0ELb1ELb0ELb0ELb0EEEvPT0_PvPT_S7_S7_PKS6_S9_S9_S9_S9_ffiiiiiiiiiiiii ; -- Begin function _ZN5aiter35fused_qk_rmsnorm_group_quant_kernelIDF16_N4opus5fp4_tELi512ELi16ELi2ELb0ELb0ELb1ELb0ELb0ELb0EEEvPT0_PvPT_S7_S7_PKS6_S9_S9_S9_S9_ffiiiiiiiiiiiii
	.globl	_ZN5aiter35fused_qk_rmsnorm_group_quant_kernelIDF16_N4opus5fp4_tELi512ELi16ELi2ELb0ELb0ELb1ELb0ELb0ELb0EEEvPT0_PvPT_S7_S7_PKS6_S9_S9_S9_S9_ffiiiiiiiiiiiii
	.p2align	8
	.type	_ZN5aiter35fused_qk_rmsnorm_group_quant_kernelIDF16_N4opus5fp4_tELi512ELi16ELi2ELb0ELb0ELb1ELb0ELb0ELb0EEEvPT0_PvPT_S7_S7_PKS6_S9_S9_S9_S9_ffiiiiiiiiiiiii,@function
_ZN5aiter35fused_qk_rmsnorm_group_quant_kernelIDF16_N4opus5fp4_tELi512ELi16ELi2ELb0ELb0ELb1ELb0ELb0ELb0EEEvPT0_PvPT_S7_S7_PKS6_S9_S9_S9_S9_ffiiiiiiiiiiiii: ; @_ZN5aiter35fused_qk_rmsnorm_group_quant_kernelIDF16_N4opus5fp4_tELi512ELi16ELi2ELb0ELb0ELb1ELb0ELb0ELb0EEEvPT0_PvPT_S7_S7_PKS6_S9_S9_S9_S9_ffiiiiiiiiiiiii
; %bb.0:
	s_load_dwordx4 s[16:19], s[4:5], 0x50
	s_waitcnt lgkmcnt(0)
	s_cmp_ge_i32 s6, s18
	s_cbranch_scc1 .LBB1027_12
; %bb.1:
	s_load_dwordx2 s[12:13], s[4:5], 0x48
	s_load_dwordx2 s[30:31], s[4:5], 0x30
	s_load_dwordx4 s[20:23], s[4:5], 0x60
	s_cmp_lg_u32 s7, 0
	s_cselect_b64 s[14:15], -1, 0
	s_cmp_eq_u32 s7, 0
	s_cselect_b64 vcc, -1, 0
	s_and_b64 s[0:1], vcc, exec
	s_waitcnt lgkmcnt(0)
	s_cselect_b32 s7, s19, s20
	s_add_i32 s0, s7, 1
	s_lshr_b32 s1, s0, 31
	s_add_i32 s0, s0, s1
	s_lshl_b32 s0, s0, 1
	v_lshlrev_b32_e32 v1, 4, v0
	s_and_b32 s10, s0, -4
	v_cmp_gt_i32_e64 s[2:3], s7, v1
	v_mov_b32_e32 v18, 0
	v_mov_b32_e32 v6, 0
	v_mov_b32_e32 v7, 0
	v_mov_b32_e32 v8, 0
	v_mov_b32_e32 v9, 0
	v_mov_b32_e32 v2, 0
	v_mov_b32_e32 v3, 0
	v_mov_b32_e32 v4, 0
	v_mov_b32_e32 v5, 0
	v_mov_b32_e32 v14, 0
	v_mov_b32_e32 v15, 0
	v_mov_b32_e32 v16, 0
	v_mov_b32_e32 v17, 0
	v_mov_b32_e32 v10, 0
	v_mov_b32_e32 v11, 0
	v_mov_b32_e32 v12, 0
	v_mov_b32_e32 v13, 0
	s_and_saveexec_b64 s[0:1], s[2:3]
	s_cbranch_execz .LBB1027_3
; %bb.2:
	s_load_dwordx2 s[8:9], s[4:5], 0x28
	s_load_dwordx2 s[26:27], s[4:5], 0x40
	s_and_b64 s[24:25], vcc, exec
	s_cselect_b32 s11, s21, s22
	v_lshlrev_b32_e32 v19, 5, v0
	s_waitcnt lgkmcnt(0)
	s_cselect_b32 s18, s9, s31
	s_cselect_b32 s21, s8, s30
	s_mul_hi_i32 s9, s11, s6
	s_mul_i32 s8, s11, s6
	s_lshl_b64 s[8:9], s[8:9], 1
	s_add_u32 s24, s21, s8
	s_addc_u32 s18, s18, s9
	s_and_b64 s[8:9], vcc, exec
	s_mov_b32 s11, 0x20000
	s_cselect_b32 s8, s26, s12
	s_cselect_b32 s9, s27, s13
	s_and_b32 s25, s18, 0xffff
	s_mov_b32 s26, s10
	s_mov_b32 s27, s11
	s_and_b32 s9, s9, 0xffff
	buffer_load_dwordx4 v[14:17], v19, s[24:27], 0 offen
	buffer_load_dwordx4 v[10:13], v19, s[24:27], 16 offen
	;; [unrolled: 1-line block ×4, first 2 shown]
.LBB1027_3:
	s_or_b64 exec, exec, s[0:1]
	v_mov_b32_e32 v19, 0
	v_mov_b32_e32 v22, 0
	;; [unrolled: 1-line block ×15, first 2 shown]
	s_and_saveexec_b64 s[0:1], s[2:3]
	s_cbranch_execz .LBB1027_5
; %bb.4:
	s_waitcnt vmcnt(3)
	v_cvt_f32_f16_sdwa v19, v14 dst_sel:DWORD dst_unused:UNUSED_PAD src0_sel:WORD_1
	v_cvt_f32_f16_e32 v18, v14
	v_cvt_f32_f16_sdwa v23, v15 dst_sel:DWORD dst_unused:UNUSED_PAD src0_sel:WORD_1
	v_cvt_f32_f16_e32 v22, v15
	;; [unrolled: 2-line block ×4, first 2 shown]
	s_waitcnt vmcnt(2)
	v_cvt_f32_f16_sdwa v27, v10 dst_sel:DWORD dst_unused:UNUSED_PAD src0_sel:WORD_1
	v_cvt_f32_f16_e32 v26, v10
	v_cvt_f32_f16_sdwa v33, v11 dst_sel:DWORD dst_unused:UNUSED_PAD src0_sel:WORD_1
	v_cvt_f32_f16_e32 v32, v11
	;; [unrolled: 2-line block ×4, first 2 shown]
.LBB1027_5:
	s_or_b64 exec, exec, s[0:1]
	s_waitcnt vmcnt(2)
	v_mul_f32_e32 v10, v19, v19
	v_fmac_f32_e32 v10, v18, v18
	v_fmac_f32_e32 v10, v22, v22
	;; [unrolled: 1-line block ×15, first 2 shown]
	v_and_b32_e32 v12, 63, v0
	v_cmp_eq_u32_e64 s[0:1], 63, v12
	v_mov_b32_dpp v11, v10 quad_perm:[1,0,3,2] row_mask:0xf bank_mask:0xf
	v_add_f32_e32 v10, v10, v11
	s_nop 1
	v_mov_b32_dpp v11, v10 quad_perm:[2,3,0,1] row_mask:0xf bank_mask:0xf
	v_add_f32_e32 v10, v10, v11
	s_nop 1
	v_mov_b32_dpp v11, v10 row_half_mirror row_mask:0xf bank_mask:0xf
	v_add_f32_e32 v10, v10, v11
	s_nop 1
	v_mov_b32_dpp v11, v10 row_mirror row_mask:0xf bank_mask:0xf
	v_add_f32_e32 v10, v10, v11
	s_nop 1
	v_mov_b32_dpp v11, v10 row_bcast:15 row_mask:0xf bank_mask:0xf
	v_add_f32_e32 v10, v10, v11
	s_nop 1
	v_mov_b32_dpp v11, v10 row_bcast:31 row_mask:0xf bank_mask:0xf
	s_and_saveexec_b64 s[8:9], s[0:1]
	s_cbranch_execz .LBB1027_7
; %bb.6:
	v_add_f32_e32 v10, v10, v11
	v_lshrrev_b32_e32 v11, 4, v0
	v_and_b32_e32 v11, 60, v11
	ds_write_b32 v11, v10 offset:32
.LBB1027_7:
	s_or_b64 exec, exec, s[8:9]
	v_and_b32_e32 v10, 7, v0
	v_lshlrev_b32_e32 v34, 2, v10
	s_waitcnt lgkmcnt(0)
	s_barrier
	ds_read_b32 v10, v34 offset:32
	s_load_dwordx2 s[28:29], s[4:5], 0x18
	s_waitcnt lgkmcnt(0)
	v_mov_b32_dpp v11, v10 quad_perm:[1,0,3,2] row_mask:0xf bank_mask:0xf
	v_add_f32_e32 v10, v10, v11
	s_nop 1
	v_mov_b32_dpp v11, v10 quad_perm:[2,3,0,1] row_mask:0xf bank_mask:0xf
	v_add_f32_e32 v10, v10, v11
	s_nop 1
	v_mov_b32_dpp v11, v10 row_half_mirror row_mask:0xf bank_mask:0xf
	s_and_saveexec_b64 s[8:9], s[2:3]
	s_cbranch_execz .LBB1027_9
; %bb.8:
	v_cvt_f32_u32_e32 v12, s7
	v_add_f32_e32 v10, v10, v11
	v_mov_b32_e32 v14, s17
	v_mov_b32_e32 v15, s16
	v_div_scale_f32 v11, s[24:25], v12, v12, v10
	v_rcp_f32_e32 v13, v11
	v_cndmask_b32_e32 v14, v14, v15, vcc
	s_mov_b32 s7, 0x800000
	v_fma_f32 v15, -v11, v13, 1.0
	v_fmac_f32_e32 v13, v15, v13
	v_div_scale_f32 v15, vcc, v10, v12, v10
	v_mul_f32_e32 v16, v15, v13
	v_fma_f32 v17, -v11, v16, v15
	v_fmac_f32_e32 v16, v17, v13
	v_fma_f32 v11, -v11, v16, v15
	v_div_fmas_f32 v11, v11, v13, v16
	v_div_fixup_f32 v10, v11, v12, v10
	v_add_f32_e32 v10, v14, v10
	v_mul_f32_e32 v11, 0x4b800000, v10
	v_cmp_gt_f32_e32 vcc, s7, v10
	v_cndmask_b32_e32 v10, v10, v11, vcc
	v_rsq_f32_e32 v10, v10
	v_mul_f32_e32 v11, 0x45800000, v10
	v_cndmask_b32_e32 v10, v10, v11, vcc
	v_mov_b32_e32 v11, v10
	;;#ASMSTART
	v_pk_mul_f32 v[12:13], v[18:19], v[10:11]
	;;#ASMEND
	s_waitcnt vmcnt(1)
	v_cvt_f32_f16_sdwa v19, v6 dst_sel:DWORD dst_unused:UNUSED_PAD src0_sel:WORD_1
	v_cvt_f32_f16_e32 v18, v6
	;;#ASMSTART
	v_pk_mul_f32 v[14:15], v[22:23], v[10:11]
	;;#ASMEND
	;;#ASMSTART
	v_pk_mul_f32 v[16:17], v[20:21], v[10:11]
	;;#ASMEND
	v_cvt_f32_f16_sdwa v21, v7 dst_sel:DWORD dst_unused:UNUSED_PAD src0_sel:WORD_1
	v_cvt_f32_f16_e32 v20, v7
	;;#ASMSTART
	v_pk_mul_f32 v[28:29], v[28:29], v[10:11]
	;;#ASMEND
	;;#ASMSTART
	v_pk_mul_f32 v[26:27], v[26:27], v[10:11]
	;;#ASMEND
	;; [unrolled: 3-line block ×5, first 2 shown]
	v_pk_add_f32 v[10:11], v[18:19], 1.0 op_sel_hi:[1,0]
	;;#ASMSTART
	v_pk_mul_f32 v[18:19], v[12:13], v[10:11]
	;;#ASMEND
	v_cvt_f32_f16_sdwa v13, v8 dst_sel:DWORD dst_unused:UNUSED_PAD src0_sel:WORD_1
	v_cvt_f32_f16_e32 v12, v8
	v_cvt_f32_f16_sdwa v25, v9 dst_sel:DWORD dst_unused:UNUSED_PAD src0_sel:WORD_1
	v_cvt_f32_f16_e32 v24, v9
	v_pk_add_f32 v[10:11], v[20:21], 1.0 op_sel_hi:[1,0]
	;;#ASMSTART
	v_pk_mul_f32 v[22:23], v[14:15], v[10:11]
	;;#ASMEND
	s_waitcnt vmcnt(0)
	v_cvt_f32_f16_sdwa v11, v2 dst_sel:DWORD dst_unused:UNUSED_PAD src0_sel:WORD_1
	v_cvt_f32_f16_e32 v10, v2
	v_pk_add_f32 v[8:9], v[12:13], 1.0 op_sel_hi:[1,0]
	;;#ASMSTART
	v_pk_mul_f32 v[20:21], v[16:17], v[8:9]
	;;#ASMEND
	v_pk_add_f32 v[8:9], v[24:25], 1.0 op_sel_hi:[1,0]
	v_cvt_f32_f16_sdwa v13, v3 dst_sel:DWORD dst_unused:UNUSED_PAD src0_sel:WORD_1
	v_cvt_f32_f16_e32 v12, v3
	;;#ASMSTART
	v_pk_mul_f32 v[28:29], v[28:29], v[8:9]
	;;#ASMEND
	v_cvt_f32_f16_sdwa v9, v4 dst_sel:DWORD dst_unused:UNUSED_PAD src0_sel:WORD_1
	v_cvt_f32_f16_e32 v8, v4
	v_pk_add_f32 v[2:3], v[10:11], 1.0 op_sel_hi:[1,0]
	v_cvt_f32_f16_sdwa v11, v5 dst_sel:DWORD dst_unused:UNUSED_PAD src0_sel:WORD_1
	v_cvt_f32_f16_e32 v10, v5
	;;#ASMSTART
	v_pk_mul_f32 v[26:27], v[26:27], v[2:3]
	;;#ASMEND
	v_pk_add_f32 v[2:3], v[12:13], 1.0 op_sel_hi:[1,0]
	;;#ASMSTART
	v_pk_mul_f32 v[32:33], v[32:33], v[2:3]
	;;#ASMEND
	v_pk_add_f32 v[2:3], v[8:9], 1.0 op_sel_hi:[1,0]
	;; [unrolled: 4-line block ×3, first 2 shown]
	;;#ASMSTART
	v_pk_mul_f32 v[24:25], v[6:7], v[2:3]
	;;#ASMEND
.LBB1027_9:
	s_or_b64 exec, exec, s[8:9]
	s_load_dword s7, s[4:5], 0x80
	s_mov_b64 s[8:9], -1
	s_and_b64 vcc, exec, s[14:15]
	s_cbranch_vccnz .LBB1027_13
; %bb.10:
	s_andn2_b64 vcc, exec, s[8:9]
	s_cbranch_vccz .LBB1027_16
.LBB1027_11:
	s_cmp_lt_i32 s20, 1
	s_cbranch_scc0 .LBB1027_23
.LBB1027_12:
	s_endpgm
.LBB1027_13:
	s_and_saveexec_b64 s[14:15], s[2:3]
	s_cbranch_execz .LBB1027_15
; %bb.14:
	s_waitcnt lgkmcnt(0)
	s_mul_hi_i32 s9, s7, s6
	s_mul_i32 s8, s7, s6
	s_waitcnt vmcnt(0)
	v_cvt_f16_f32_e32 v2, v18
	v_cvt_f16_f32_e32 v3, v22
	;; [unrolled: 1-line block ×8, first 2 shown]
	s_lshl_b64 s[8:9], s[8:9], 1
	s_add_u32 s8, s28, s8
	s_addc_u32 s9, s29, s9
	s_and_b32 s9, s9, 0xffff
	s_mov_b32 s11, 0x20000
	v_pack_b32_f16 v5, v5, v6
	v_pack_b32_f16 v4, v4, v7
	;; [unrolled: 1-line block ×4, first 2 shown]
	v_lshlrev_b32_e32 v6, 5, v0
	buffer_store_dwordx4 v[2:5], v6, s[8:11], 0 offen
	v_cvt_f16_f32_e32 v7, v25
	v_cvt_f16_f32_e32 v2, v26
	;; [unrolled: 1-line block ×8, first 2 shown]
	v_pack_b32_f16 v5, v5, v7
	v_pack_b32_f16 v4, v4, v8
	;; [unrolled: 1-line block ×4, first 2 shown]
	;;#ASMSTART
	s_nop 0
	;;#ASMEND
	buffer_store_dwordx4 v[2:5], v6, s[8:11], 16 offen
	;;#ASMSTART
	s_nop 0
	;;#ASMEND
.LBB1027_15:
	s_or_b64 exec, exec, s[14:15]
	s_cbranch_execnz .LBB1027_11
.LBB1027_16:
	s_waitcnt vmcnt(0)
	v_mov_b32_e32 v2, 0
	s_and_saveexec_b64 s[8:9], s[2:3]
	s_cbranch_execz .LBB1027_18
; %bb.17:
	v_and_b32_e32 v2, 0x7fffffff, v18
	v_and_b32_e32 v3, 0x7fffffff, v19
	v_mov_b32_e32 v4, 0x2edbe6ff
	;;#ASMSTART
	v_max3_f32 v2, v4, v2, v3

	;;#ASMEND
	v_and_b32_e32 v3, 0x7fffffff, v22
	v_and_b32_e32 v4, 0x7fffffff, v23
	;;#ASMSTART
	v_max3_f32 v2, v2, v3, v4

	;;#ASMEND
	v_and_b32_e32 v3, 0x7fffffff, v20
	v_and_b32_e32 v4, 0x7fffffff, v21
	;; [unrolled: 6-line block ×7, first 2 shown]
	;;#ASMSTART
	v_max3_f32 v2, v2, v3, v4

	;;#ASMEND
.LBB1027_18:
	s_or_b64 exec, exec, s[8:9]
	s_load_dwordx4 s[24:27], s[4:5], 0x70
	;;#ASMSTART
	v_max_f32 v3, v2, v2 quad_perm:[1,0,3,2] row_mask:0xf bank_mask:0xf bound_ctrl:1
	;;#ASMEND
	v_and_b32_e32 v2, 1, v0
	v_cmp_eq_u32_e32 vcc, 0, v2
	v_cmp_gt_i32_e64 s[8:9], s19, v1
	s_and_b64 s[10:11], vcc, s[8:9]
	s_and_saveexec_b64 s[8:9], s[10:11]
	s_cbranch_execz .LBB1027_20
; %bb.19:
	s_load_dwordx2 s[10:11], s[4:5], 0x8
	v_mul_f32_e32 v2, 0x3e2aaaab, v3
	v_lshrrev_b32_e32 v3, 23, v2
	v_and_b32_e32 v4, 0x7f800000, v2
	v_and_b32_e32 v2, 0x7fffff, v2
	v_cmp_ne_u32_e32 vcc, 0, v2
	s_waitcnt lgkmcnt(0)
	s_mul_i32 s16, s25, s6
	s_mov_b32 s14, 0x7f800000
	v_addc_co_u32_e32 v2, vcc, 0, v3, vcc
	s_mul_hi_i32 s15, s25, s6
	s_add_u32 s10, s10, s16
	v_cmp_ne_u32_e32 vcc, s14, v4
	s_addc_u32 s11, s11, s15
	v_lshrrev_b32_e32 v5, 1, v0
	v_cndmask_b32_e32 v4, -1, v2, vcc
	v_pk_mov_b32 v[2:3], s[10:11], s[10:11] op_sel:[0,1]
	v_mad_i64_i32 v[2:3], s[10:11], s26, v5, v[2:3]
	global_store_byte v[2:3], v4, off
.LBB1027_20:
	s_or_b64 exec, exec, s[8:9]
	s_and_saveexec_b64 s[8:9], s[2:3]
	s_cbranch_execz .LBB1027_22
; %bb.21:
	s_load_dwordx2 s[2:3], s[4:5], 0x0
	s_waitcnt lgkmcnt(0)
	s_mul_i32 s11, s24, s6
	s_mul_hi_i32 s10, s24, s6
	v_mov_b32_e32 v2, 0
	v_lshlrev_b32_e32 v4, 3, v0
	s_add_u32 s24, s2, s11
	s_addc_u32 s2, s3, s10
	s_lshr_b32 s3, s19, 31
	s_add_i32 s3, s19, s3
	s_ashr_i32 s3, s3, 1
	s_add_i32 s3, s3, 3
	s_ashr_i32 s10, s3, 31
	s_lshr_b32 s10, s10, 30
	s_add_i32 s3, s3, s10
	s_and_b32 s26, s3, -4
	s_and_b32 s25, s2, 0xffff
	s_mov_b32 s27, 0x20000
	v_mov_b32_e32 v3, v2
	buffer_store_dwordx2 v[2:3], v4, s[24:27], 0 offen
	;;#ASMSTART
	s_nop 0
	;;#ASMEND
.LBB1027_22:
	s_or_b64 exec, exec, s[8:9]
	s_cmp_lt_i32 s20, 1
	s_cbranch_scc1 .LBB1027_12
.LBB1027_23:
	s_load_dword s2, s[4:5], 0x94
	s_waitcnt lgkmcnt(0)
	s_cmp_lg_u32 s2, 1
	s_cbranch_scc1 .LBB1027_12
; %bb.24:
	s_lshl_b32 s2, s20, 1
	s_add_i32 s2, s2, 2
	v_cmp_gt_u32_e32 vcc, s20, v1
	s_and_b32 s14, s2, -4
	v_mov_b32_e32 v18, 0
	v_lshlrev_b32_e32 v1, 5, v0
	v_mov_b32_e32 v14, 0
	v_mov_b32_e32 v15, 0
	;; [unrolled: 1-line block ×8, first 2 shown]
	s_waitcnt vmcnt(1)
	v_mov_b32_e32 v6, 0
	v_mov_b32_e32 v7, 0
	;; [unrolled: 1-line block ×4, first 2 shown]
	s_waitcnt vmcnt(0)
	v_mov_b32_e32 v2, 0
	v_mov_b32_e32 v3, 0
	;; [unrolled: 1-line block ×4, first 2 shown]
	s_barrier
	s_and_saveexec_b64 s[2:3], vcc
	s_cbranch_execz .LBB1027_26
; %bb.25:
	s_mul_hi_i32 s5, s22, s6
	s_mul_i32 s4, s22, s6
	s_and_b32 s13, s13, 0xffff
	s_lshl_b64 s[4:5], s[4:5], 1
	s_add_u32 s8, s30, s4
	s_mov_b32 s15, 0x20000
	s_addc_u32 s4, s31, s5
	s_and_b32 s9, s4, 0xffff
	s_mov_b32 s10, s14
	s_mov_b32 s11, s15
	buffer_load_dwordx4 v[14:17], v1, s[8:11], 0 offen
	buffer_load_dwordx4 v[10:13], v1, s[8:11], 16 offen
	;; [unrolled: 1-line block ×4, first 2 shown]
.LBB1027_26:
	s_or_b64 exec, exec, s[2:3]
	v_mov_b32_e32 v19, 0
	v_mov_b32_e32 v32, 0
	;; [unrolled: 1-line block ×15, first 2 shown]
	s_and_saveexec_b64 s[2:3], vcc
	s_cbranch_execz .LBB1027_28
; %bb.27:
	s_waitcnt vmcnt(3)
	v_cvt_f32_f16_sdwa v19, v14 dst_sel:DWORD dst_unused:UNUSED_PAD src0_sel:WORD_1
	v_cvt_f32_f16_e32 v18, v14
	v_cvt_f32_f16_sdwa v33, v15 dst_sel:DWORD dst_unused:UNUSED_PAD src0_sel:WORD_1
	v_cvt_f32_f16_e32 v32, v15
	;; [unrolled: 2-line block ×4, first 2 shown]
	s_waitcnt vmcnt(2)
	v_cvt_f32_f16_sdwa v27, v10 dst_sel:DWORD dst_unused:UNUSED_PAD src0_sel:WORD_1
	v_cvt_f32_f16_e32 v26, v10
	v_cvt_f32_f16_sdwa v25, v11 dst_sel:DWORD dst_unused:UNUSED_PAD src0_sel:WORD_1
	v_cvt_f32_f16_e32 v24, v11
	;; [unrolled: 2-line block ×4, first 2 shown]
.LBB1027_28:
	s_or_b64 exec, exec, s[2:3]
	s_waitcnt vmcnt(2)
	v_mul_f32_e32 v10, v19, v19
	v_fmac_f32_e32 v10, v18, v18
	v_fmac_f32_e32 v10, v32, v32
	;; [unrolled: 1-line block ×15, first 2 shown]
	s_nop 1
	v_mov_b32_dpp v11, v10 quad_perm:[1,0,3,2] row_mask:0xf bank_mask:0xf
	v_add_f32_e32 v10, v10, v11
	s_nop 1
	v_mov_b32_dpp v11, v10 quad_perm:[2,3,0,1] row_mask:0xf bank_mask:0xf
	v_add_f32_e32 v10, v10, v11
	s_nop 1
	v_mov_b32_dpp v11, v10 row_half_mirror row_mask:0xf bank_mask:0xf
	v_add_f32_e32 v10, v10, v11
	s_nop 1
	v_mov_b32_dpp v11, v10 row_mirror row_mask:0xf bank_mask:0xf
	v_add_f32_e32 v10, v10, v11
	s_nop 1
	v_mov_b32_dpp v11, v10 row_bcast:15 row_mask:0xf bank_mask:0xf
	v_add_f32_e32 v10, v10, v11
	s_nop 1
	v_mov_b32_dpp v11, v10 row_bcast:31 row_mask:0xf bank_mask:0xf
	s_and_saveexec_b64 s[2:3], s[0:1]
	s_cbranch_execz .LBB1027_30
; %bb.29:
	v_lshrrev_b32_e32 v0, 4, v0
	v_add_f32_e32 v10, v10, v11
	v_and_b32_e32 v0, 60, v0
	ds_write_b32 v0, v10
.LBB1027_30:
	s_or_b64 exec, exec, s[2:3]
	s_waitcnt lgkmcnt(0)
	s_barrier
	ds_read_b32 v0, v34
	s_waitcnt lgkmcnt(0)
	s_nop 0
	v_mov_b32_dpp v10, v0 quad_perm:[1,0,3,2] row_mask:0xf bank_mask:0xf
	v_add_f32_e32 v0, v0, v10
	s_nop 1
	v_mov_b32_dpp v10, v0 quad_perm:[2,3,0,1] row_mask:0xf bank_mask:0xf
	v_add_f32_e32 v0, v0, v10
	s_nop 1
	v_mov_b32_dpp v10, v0 row_half_mirror row_mask:0xf bank_mask:0xf
	s_and_saveexec_b64 s[0:1], vcc
	s_cbranch_execz .LBB1027_12
; %bb.31:
	v_cvt_f32_u32_e32 v11, s20
	v_add_f32_e32 v0, v0, v10
	s_mov_b32 s15, 0x20000
	v_div_scale_f32 v10, s[0:1], v11, v11, v0
	v_rcp_f32_e32 v12, v10
	v_div_scale_f32 v13, vcc, v0, v11, v0
	s_mov_b32 s0, 0x800000
	v_fma_f32 v14, -v10, v12, 1.0
	v_fmac_f32_e32 v12, v14, v12
	v_mul_f32_e32 v14, v13, v12
	v_fma_f32 v15, -v10, v14, v13
	v_fmac_f32_e32 v14, v15, v12
	v_fma_f32 v10, -v10, v14, v13
	v_div_fmas_f32 v10, v10, v12, v14
	v_div_fixup_f32 v0, v10, v11, v0
	v_add_f32_e32 v0, s17, v0
	v_mul_f32_e32 v10, 0x4b800000, v0
	v_cmp_gt_f32_e32 vcc, s0, v0
	v_cndmask_b32_e32 v0, v0, v10, vcc
	v_rsq_f32_e32 v0, v0
	s_mul_hi_i32 s1, s7, s6
	s_mul_i32 s0, s7, s6
	s_lshl_b64 s[0:1], s[0:1], 1
	v_mul_f32_e32 v10, 0x45800000, v0
	v_cndmask_b32_e32 v10, v0, v10, vcc
	v_mov_b32_e32 v11, v10
	;;#ASMSTART
	v_pk_mul_f32 v[12:13], v[18:19], v[10:11]
	;;#ASMEND
	;;#ASMSTART
	v_pk_mul_f32 v[14:15], v[32:33], v[10:11]
	;;#ASMEND
	;; [unrolled: 3-line block ×4, first 2 shown]
	s_waitcnt vmcnt(1)
	v_cvt_f32_f16_sdwa v29, v6 dst_sel:DWORD dst_unused:UNUSED_PAD src0_sel:WORD_1
	v_cvt_f32_f16_e32 v28, v6
	v_cvt_f32_f16_sdwa v31, v7 dst_sel:DWORD dst_unused:UNUSED_PAD src0_sel:WORD_1
	v_cvt_f32_f16_e32 v30, v7
	;;#ASMSTART
	v_pk_mul_f32 v[26:27], v[26:27], v[10:11]
	;;#ASMEND
	;;#ASMSTART
	v_pk_mul_f32 v[24:25], v[24:25], v[10:11]
	;;#ASMEND
	;; [unrolled: 3-line block ×4, first 2 shown]
	v_cvt_f32_f16_sdwa v21, v8 dst_sel:DWORD dst_unused:UNUSED_PAD src0_sel:WORD_1
	v_cvt_f32_f16_e32 v20, v8
	v_pk_add_f32 v[10:11], v[28:29], 1.0 op_sel_hi:[1,0]
	;;#ASMSTART
	v_pk_mul_f32 v[10:11], v[12:13], v[10:11]
	;;#ASMEND
	v_pk_add_f32 v[12:13], v[30:31], 1.0 op_sel_hi:[1,0]
	v_cvt_f32_f16_sdwa v29, v9 dst_sel:DWORD dst_unused:UNUSED_PAD src0_sel:WORD_1
	v_cvt_f32_f16_e32 v28, v9
	;;#ASMSTART
	v_pk_mul_f32 v[8:9], v[14:15], v[12:13]
	;;#ASMEND
	v_pk_add_f32 v[12:13], v[20:21], 1.0 op_sel_hi:[1,0]
	;;#ASMSTART
	v_pk_mul_f32 v[12:13], v[16:17], v[12:13]
	;;#ASMEND
	s_waitcnt vmcnt(0)
	v_cvt_f32_f16_sdwa v17, v2 dst_sel:DWORD dst_unused:UNUSED_PAD src0_sel:WORD_1
	v_cvt_f32_f16_e32 v16, v2
	v_cvt_f32_f16_sdwa v21, v3 dst_sel:DWORD dst_unused:UNUSED_PAD src0_sel:WORD_1
	v_cvt_f32_f16_e32 v20, v3
	v_pk_add_f32 v[14:15], v[28:29], 1.0 op_sel_hi:[1,0]
	;;#ASMSTART
	v_pk_mul_f32 v[2:3], v[18:19], v[14:15]
	;;#ASMEND
	v_cvt_f32_f16_sdwa v19, v4 dst_sel:DWORD dst_unused:UNUSED_PAD src0_sel:WORD_1
	v_cvt_f32_f16_e32 v18, v4
	v_pk_add_f32 v[14:15], v[16:17], 1.0 op_sel_hi:[1,0]
	v_pk_add_f32 v[16:17], v[20:21], 1.0 op_sel_hi:[1,0]
	v_cvt_f32_f16_sdwa v21, v5 dst_sel:DWORD dst_unused:UNUSED_PAD src0_sel:WORD_1
	v_cvt_f32_f16_e32 v20, v5
	v_pk_add_f32 v[4:5], v[18:19], 1.0 op_sel_hi:[1,0]
	;;#ASMSTART
	v_pk_mul_f32 v[14:15], v[26:27], v[14:15]
	;;#ASMEND
	;;#ASMSTART
	v_pk_mul_f32 v[16:17], v[24:25], v[16:17]
	;;#ASMEND
	;; [unrolled: 3-line block ×3, first 2 shown]
	v_pk_add_f32 v[4:5], v[20:21], 1.0 op_sel_hi:[1,0]
	;;#ASMSTART
	v_pk_mul_f32 v[6:7], v[6:7], v[4:5]
	;;#ASMEND
	v_cvt_f16_f32_e32 v0, v10
	v_cvt_f16_f32_e32 v4, v11
	;; [unrolled: 1-line block ×8, first 2 shown]
	s_add_u32 s12, s28, s0
	s_addc_u32 s0, s29, s1
	s_and_b32 s13, s0, 0xffff
	v_pack_b32_f16 v2, v0, v4
	v_pack_b32_f16 v3, v5, v8
	;; [unrolled: 1-line block ×4, first 2 shown]
	buffer_store_dwordx4 v[2:5], v1, s[12:15], 0 offen
	v_cvt_f16_f32_e32 v0, v14
	v_cvt_f16_f32_e32 v2, v15
	;; [unrolled: 1-line block ×8, first 2 shown]
	v_pack_b32_f16 v2, v0, v2
	v_pack_b32_f16 v3, v3, v4
	;; [unrolled: 1-line block ×4, first 2 shown]
	;;#ASMSTART
	s_nop 0
	;;#ASMEND
	buffer_store_dwordx4 v[2:5], v1, s[12:15], 16 offen
	;;#ASMSTART
	s_nop 0
	;;#ASMEND
	s_endpgm
	.section	.rodata,"a",@progbits
	.p2align	6, 0x0
	.amdhsa_kernel _ZN5aiter35fused_qk_rmsnorm_group_quant_kernelIDF16_N4opus5fp4_tELi512ELi16ELi2ELb0ELb0ELb1ELb0ELb0ELb0EEEvPT0_PvPT_S7_S7_PKS6_S9_S9_S9_S9_ffiiiiiiiiiiiii
		.amdhsa_group_segment_fixed_size 64
		.amdhsa_private_segment_fixed_size 0
		.amdhsa_kernarg_size 400
		.amdhsa_user_sgpr_count 6
		.amdhsa_user_sgpr_private_segment_buffer 1
		.amdhsa_user_sgpr_dispatch_ptr 0
		.amdhsa_user_sgpr_queue_ptr 0
		.amdhsa_user_sgpr_kernarg_segment_ptr 1
		.amdhsa_user_sgpr_dispatch_id 0
		.amdhsa_user_sgpr_flat_scratch_init 0
		.amdhsa_user_sgpr_kernarg_preload_length 0
		.amdhsa_user_sgpr_kernarg_preload_offset 0
		.amdhsa_user_sgpr_private_segment_size 0
		.amdhsa_uses_dynamic_stack 0
		.amdhsa_system_sgpr_private_segment_wavefront_offset 0
		.amdhsa_system_sgpr_workgroup_id_x 1
		.amdhsa_system_sgpr_workgroup_id_y 1
		.amdhsa_system_sgpr_workgroup_id_z 0
		.amdhsa_system_sgpr_workgroup_info 0
		.amdhsa_system_vgpr_workitem_id 0
		.amdhsa_next_free_vgpr 35
		.amdhsa_next_free_sgpr 32
		.amdhsa_accum_offset 36
		.amdhsa_reserve_vcc 1
		.amdhsa_reserve_flat_scratch 0
		.amdhsa_float_round_mode_32 0
		.amdhsa_float_round_mode_16_64 0
		.amdhsa_float_denorm_mode_32 3
		.amdhsa_float_denorm_mode_16_64 3
		.amdhsa_dx10_clamp 1
		.amdhsa_ieee_mode 1
		.amdhsa_fp16_overflow 0
		.amdhsa_tg_split 0
		.amdhsa_exception_fp_ieee_invalid_op 0
		.amdhsa_exception_fp_denorm_src 0
		.amdhsa_exception_fp_ieee_div_zero 0
		.amdhsa_exception_fp_ieee_overflow 0
		.amdhsa_exception_fp_ieee_underflow 0
		.amdhsa_exception_fp_ieee_inexact 0
		.amdhsa_exception_int_div_zero 0
	.end_amdhsa_kernel
	.section	.text._ZN5aiter35fused_qk_rmsnorm_group_quant_kernelIDF16_N4opus5fp4_tELi512ELi16ELi2ELb0ELb0ELb1ELb0ELb0ELb0EEEvPT0_PvPT_S7_S7_PKS6_S9_S9_S9_S9_ffiiiiiiiiiiiii,"axG",@progbits,_ZN5aiter35fused_qk_rmsnorm_group_quant_kernelIDF16_N4opus5fp4_tELi512ELi16ELi2ELb0ELb0ELb1ELb0ELb0ELb0EEEvPT0_PvPT_S7_S7_PKS6_S9_S9_S9_S9_ffiiiiiiiiiiiii,comdat
.Lfunc_end1027:
	.size	_ZN5aiter35fused_qk_rmsnorm_group_quant_kernelIDF16_N4opus5fp4_tELi512ELi16ELi2ELb0ELb0ELb1ELb0ELb0ELb0EEEvPT0_PvPT_S7_S7_PKS6_S9_S9_S9_S9_ffiiiiiiiiiiiii, .Lfunc_end1027-_ZN5aiter35fused_qk_rmsnorm_group_quant_kernelIDF16_N4opus5fp4_tELi512ELi16ELi2ELb0ELb0ELb1ELb0ELb0ELb0EEEvPT0_PvPT_S7_S7_PKS6_S9_S9_S9_S9_ffiiiiiiiiiiiii
                                        ; -- End function
	.section	.AMDGPU.csdata,"",@progbits
; Kernel info:
; codeLenInByte = 3264
; NumSgprs: 36
; NumVgprs: 35
; NumAgprs: 0
; TotalNumVgprs: 35
; ScratchSize: 0
; MemoryBound: 0
; FloatMode: 240
; IeeeMode: 1
; LDSByteSize: 64 bytes/workgroup (compile time only)
; SGPRBlocks: 4
; VGPRBlocks: 4
; NumSGPRsForWavesPerEU: 36
; NumVGPRsForWavesPerEU: 35
; AccumOffset: 36
; Occupancy: 8
; WaveLimiterHint : 0
; COMPUTE_PGM_RSRC2:SCRATCH_EN: 0
; COMPUTE_PGM_RSRC2:USER_SGPR: 6
; COMPUTE_PGM_RSRC2:TRAP_HANDLER: 0
; COMPUTE_PGM_RSRC2:TGID_X_EN: 1
; COMPUTE_PGM_RSRC2:TGID_Y_EN: 1
; COMPUTE_PGM_RSRC2:TGID_Z_EN: 0
; COMPUTE_PGM_RSRC2:TIDIG_COMP_CNT: 0
; COMPUTE_PGM_RSRC3_GFX90A:ACCUM_OFFSET: 8
; COMPUTE_PGM_RSRC3_GFX90A:TG_SPLIT: 0
	.section	.text._ZN5aiter35fused_qk_rmsnorm_group_quant_kernelItN4opus5fp4_tELi512ELi16ELi2ELb0ELb0ELb1ELb0ELb0ELb0EEEvPT0_PvPT_S7_S7_PKS6_S9_S9_S9_S9_ffiiiiiiiiiiiii,"axG",@progbits,_ZN5aiter35fused_qk_rmsnorm_group_quant_kernelItN4opus5fp4_tELi512ELi16ELi2ELb0ELb0ELb1ELb0ELb0ELb0EEEvPT0_PvPT_S7_S7_PKS6_S9_S9_S9_S9_ffiiiiiiiiiiiii,comdat
	.protected	_ZN5aiter35fused_qk_rmsnorm_group_quant_kernelItN4opus5fp4_tELi512ELi16ELi2ELb0ELb0ELb1ELb0ELb0ELb0EEEvPT0_PvPT_S7_S7_PKS6_S9_S9_S9_S9_ffiiiiiiiiiiiii ; -- Begin function _ZN5aiter35fused_qk_rmsnorm_group_quant_kernelItN4opus5fp4_tELi512ELi16ELi2ELb0ELb0ELb1ELb0ELb0ELb0EEEvPT0_PvPT_S7_S7_PKS6_S9_S9_S9_S9_ffiiiiiiiiiiiii
	.globl	_ZN5aiter35fused_qk_rmsnorm_group_quant_kernelItN4opus5fp4_tELi512ELi16ELi2ELb0ELb0ELb1ELb0ELb0ELb0EEEvPT0_PvPT_S7_S7_PKS6_S9_S9_S9_S9_ffiiiiiiiiiiiii
	.p2align	8
	.type	_ZN5aiter35fused_qk_rmsnorm_group_quant_kernelItN4opus5fp4_tELi512ELi16ELi2ELb0ELb0ELb1ELb0ELb0ELb0EEEvPT0_PvPT_S7_S7_PKS6_S9_S9_S9_S9_ffiiiiiiiiiiiii,@function
_ZN5aiter35fused_qk_rmsnorm_group_quant_kernelItN4opus5fp4_tELi512ELi16ELi2ELb0ELb0ELb1ELb0ELb0ELb0EEEvPT0_PvPT_S7_S7_PKS6_S9_S9_S9_S9_ffiiiiiiiiiiiii: ; @_ZN5aiter35fused_qk_rmsnorm_group_quant_kernelItN4opus5fp4_tELi512ELi16ELi2ELb0ELb0ELb1ELb0ELb0ELb0EEEvPT0_PvPT_S7_S7_PKS6_S9_S9_S9_S9_ffiiiiiiiiiiiii
; %bb.0:
	s_load_dwordx4 s[16:19], s[4:5], 0x50
	s_waitcnt lgkmcnt(0)
	s_cmp_ge_i32 s6, s18
	s_cbranch_scc1 .LBB1028_12
; %bb.1:
	s_load_dwordx2 s[12:13], s[4:5], 0x48
	s_load_dwordx2 s[30:31], s[4:5], 0x30
	s_load_dwordx4 s[20:23], s[4:5], 0x60
	s_cmp_lg_u32 s7, 0
	s_cselect_b64 s[14:15], -1, 0
	s_cmp_eq_u32 s7, 0
	s_cselect_b64 vcc, -1, 0
	s_and_b64 s[0:1], vcc, exec
	s_waitcnt lgkmcnt(0)
	s_cselect_b32 s7, s19, s20
	s_add_i32 s0, s7, 1
	s_lshr_b32 s1, s0, 31
	s_add_i32 s0, s0, s1
	s_lshl_b32 s0, s0, 1
	v_lshlrev_b32_e32 v1, 4, v0
	s_and_b32 s10, s0, -4
	v_cmp_gt_i32_e64 s[2:3], s7, v1
	v_mov_b32_e32 v18, 0
	v_mov_b32_e32 v6, 0
	;; [unrolled: 1-line block ×17, first 2 shown]
	s_and_saveexec_b64 s[0:1], s[2:3]
	s_cbranch_execz .LBB1028_3
; %bb.2:
	s_load_dwordx2 s[8:9], s[4:5], 0x28
	s_load_dwordx2 s[26:27], s[4:5], 0x40
	s_and_b64 s[24:25], vcc, exec
	s_cselect_b32 s11, s21, s22
	v_lshlrev_b32_e32 v19, 5, v0
	s_waitcnt lgkmcnt(0)
	s_cselect_b32 s18, s9, s31
	s_cselect_b32 s21, s8, s30
	s_mul_hi_i32 s9, s11, s6
	s_mul_i32 s8, s11, s6
	s_lshl_b64 s[8:9], s[8:9], 1
	s_add_u32 s24, s21, s8
	s_addc_u32 s18, s18, s9
	s_and_b64 s[8:9], vcc, exec
	s_mov_b32 s11, 0x20000
	s_cselect_b32 s8, s26, s12
	s_cselect_b32 s9, s27, s13
	s_and_b32 s25, s18, 0xffff
	s_mov_b32 s26, s10
	s_mov_b32 s27, s11
	s_and_b32 s9, s9, 0xffff
	buffer_load_dwordx4 v[14:17], v19, s[24:27], 0 offen
	buffer_load_dwordx4 v[10:13], v19, s[24:27], 16 offen
	;; [unrolled: 1-line block ×4, first 2 shown]
.LBB1028_3:
	s_or_b64 exec, exec, s[0:1]
	v_mov_b32_e32 v19, 0
	v_mov_b32_e32 v22, 0
	;; [unrolled: 1-line block ×15, first 2 shown]
	s_and_saveexec_b64 s[0:1], s[2:3]
	s_cbranch_execz .LBB1028_5
; %bb.4:
	s_waitcnt vmcnt(3)
	v_cvt_f32_u32_sdwa v18, v14 dst_sel:DWORD dst_unused:UNUSED_PAD src0_sel:WORD_0
	v_cvt_f32_u32_sdwa v19, v14 dst_sel:DWORD dst_unused:UNUSED_PAD src0_sel:WORD_1
	v_cvt_f32_u32_sdwa v22, v15 dst_sel:DWORD dst_unused:UNUSED_PAD src0_sel:WORD_0
	v_cvt_f32_u32_sdwa v23, v15 dst_sel:DWORD dst_unused:UNUSED_PAD src0_sel:WORD_1
	;; [unrolled: 2-line block ×4, first 2 shown]
	s_waitcnt vmcnt(2)
	v_cvt_f32_u32_sdwa v24, v10 dst_sel:DWORD dst_unused:UNUSED_PAD src0_sel:WORD_0
	v_cvt_f32_u32_sdwa v25, v10 dst_sel:DWORD dst_unused:UNUSED_PAD src0_sel:WORD_1
	v_cvt_f32_u32_sdwa v32, v11 dst_sel:DWORD dst_unused:UNUSED_PAD src0_sel:WORD_0
	v_cvt_f32_u32_sdwa v33, v11 dst_sel:DWORD dst_unused:UNUSED_PAD src0_sel:WORD_1
	;; [unrolled: 2-line block ×4, first 2 shown]
.LBB1028_5:
	s_or_b64 exec, exec, s[0:1]
	s_waitcnt vmcnt(2)
	v_mul_f32_e32 v10, v19, v19
	v_fmac_f32_e32 v10, v18, v18
	v_fmac_f32_e32 v10, v22, v22
	;; [unrolled: 1-line block ×15, first 2 shown]
	v_and_b32_e32 v12, 63, v0
	v_cmp_eq_u32_e64 s[0:1], 63, v12
	v_mov_b32_dpp v11, v10 quad_perm:[1,0,3,2] row_mask:0xf bank_mask:0xf
	v_add_f32_e32 v10, v10, v11
	s_nop 1
	v_mov_b32_dpp v11, v10 quad_perm:[2,3,0,1] row_mask:0xf bank_mask:0xf
	v_add_f32_e32 v10, v10, v11
	s_nop 1
	v_mov_b32_dpp v11, v10 row_half_mirror row_mask:0xf bank_mask:0xf
	v_add_f32_e32 v10, v10, v11
	s_nop 1
	v_mov_b32_dpp v11, v10 row_mirror row_mask:0xf bank_mask:0xf
	v_add_f32_e32 v10, v10, v11
	s_nop 1
	v_mov_b32_dpp v11, v10 row_bcast:15 row_mask:0xf bank_mask:0xf
	v_add_f32_e32 v10, v10, v11
	s_nop 1
	v_mov_b32_dpp v11, v10 row_bcast:31 row_mask:0xf bank_mask:0xf
	s_and_saveexec_b64 s[8:9], s[0:1]
	s_cbranch_execz .LBB1028_7
; %bb.6:
	v_add_f32_e32 v10, v10, v11
	v_lshrrev_b32_e32 v11, 4, v0
	v_and_b32_e32 v11, 60, v11
	ds_write_b32 v11, v10 offset:32
.LBB1028_7:
	s_or_b64 exec, exec, s[8:9]
	v_and_b32_e32 v10, 7, v0
	v_lshlrev_b32_e32 v34, 2, v10
	s_waitcnt lgkmcnt(0)
	s_barrier
	ds_read_b32 v10, v34 offset:32
	s_load_dwordx2 s[28:29], s[4:5], 0x18
	s_waitcnt lgkmcnt(0)
	v_mov_b32_dpp v11, v10 quad_perm:[1,0,3,2] row_mask:0xf bank_mask:0xf
	v_add_f32_e32 v10, v10, v11
	s_nop 1
	v_mov_b32_dpp v11, v10 quad_perm:[2,3,0,1] row_mask:0xf bank_mask:0xf
	v_add_f32_e32 v10, v10, v11
	s_nop 1
	v_mov_b32_dpp v11, v10 row_half_mirror row_mask:0xf bank_mask:0xf
	s_and_saveexec_b64 s[8:9], s[2:3]
	s_cbranch_execz .LBB1028_9
; %bb.8:
	v_cvt_f32_u32_e32 v12, s7
	v_add_f32_e32 v10, v10, v11
	v_mov_b32_e32 v14, s17
	v_mov_b32_e32 v15, s16
	v_div_scale_f32 v11, s[24:25], v12, v12, v10
	v_rcp_f32_e32 v13, v11
	v_cndmask_b32_e32 v14, v14, v15, vcc
	s_mov_b32 s7, 0x800000
	v_fma_f32 v15, -v11, v13, 1.0
	v_fmac_f32_e32 v13, v15, v13
	v_div_scale_f32 v15, vcc, v10, v12, v10
	v_mul_f32_e32 v16, v15, v13
	v_fma_f32 v17, -v11, v16, v15
	v_fmac_f32_e32 v16, v17, v13
	v_fma_f32 v11, -v11, v16, v15
	v_div_fmas_f32 v11, v11, v13, v16
	v_div_fixup_f32 v10, v11, v12, v10
	v_add_f32_e32 v10, v14, v10
	v_mul_f32_e32 v11, 0x4b800000, v10
	v_cmp_gt_f32_e32 vcc, s7, v10
	v_cndmask_b32_e32 v10, v10, v11, vcc
	v_rsq_f32_e32 v10, v10
	v_mul_f32_e32 v11, 0x45800000, v10
	v_cndmask_b32_e32 v10, v10, v11, vcc
	v_mov_b32_e32 v11, v10
	;;#ASMSTART
	v_pk_mul_f32 v[12:13], v[18:19], v[10:11]
	;;#ASMEND
	s_waitcnt vmcnt(1)
	v_cvt_f32_u32_sdwa v19, v6 dst_sel:DWORD dst_unused:UNUSED_PAD src0_sel:WORD_1
	v_cvt_f32_u32_sdwa v18, v6 dst_sel:DWORD dst_unused:UNUSED_PAD src0_sel:WORD_0
	;;#ASMSTART
	v_pk_mul_f32 v[14:15], v[22:23], v[10:11]
	;;#ASMEND
	;;#ASMSTART
	v_pk_mul_f32 v[16:17], v[20:21], v[10:11]
	;;#ASMEND
	v_cvt_f32_u32_sdwa v21, v7 dst_sel:DWORD dst_unused:UNUSED_PAD src0_sel:WORD_1
	v_cvt_f32_u32_sdwa v20, v7 dst_sel:DWORD dst_unused:UNUSED_PAD src0_sel:WORD_0
	;;#ASMSTART
	v_pk_mul_f32 v[28:29], v[28:29], v[10:11]
	;;#ASMEND
	;;#ASMSTART
	v_pk_mul_f32 v[24:25], v[24:25], v[10:11]
	;;#ASMEND
	;; [unrolled: 3-line block ×5, first 2 shown]
	v_pk_add_f32 v[10:11], v[18:19], 1.0 op_sel_hi:[1,0]
	;;#ASMSTART
	v_pk_mul_f32 v[18:19], v[12:13], v[10:11]
	;;#ASMEND
	v_cvt_f32_u32_sdwa v13, v8 dst_sel:DWORD dst_unused:UNUSED_PAD src0_sel:WORD_1
	v_cvt_f32_u32_sdwa v12, v8 dst_sel:DWORD dst_unused:UNUSED_PAD src0_sel:WORD_0
	v_cvt_f32_u32_sdwa v27, v9 dst_sel:DWORD dst_unused:UNUSED_PAD src0_sel:WORD_1
	v_cvt_f32_u32_sdwa v26, v9 dst_sel:DWORD dst_unused:UNUSED_PAD src0_sel:WORD_0
	v_pk_add_f32 v[10:11], v[20:21], 1.0 op_sel_hi:[1,0]
	;;#ASMSTART
	v_pk_mul_f32 v[22:23], v[14:15], v[10:11]
	;;#ASMEND
	s_waitcnt vmcnt(0)
	v_cvt_f32_u32_sdwa v11, v2 dst_sel:DWORD dst_unused:UNUSED_PAD src0_sel:WORD_1
	v_cvt_f32_u32_sdwa v10, v2 dst_sel:DWORD dst_unused:UNUSED_PAD src0_sel:WORD_0
	v_pk_add_f32 v[8:9], v[12:13], 1.0 op_sel_hi:[1,0]
	;;#ASMSTART
	v_pk_mul_f32 v[20:21], v[16:17], v[8:9]
	;;#ASMEND
	v_pk_add_f32 v[8:9], v[26:27], 1.0 op_sel_hi:[1,0]
	v_cvt_f32_u32_sdwa v13, v3 dst_sel:DWORD dst_unused:UNUSED_PAD src0_sel:WORD_1
	v_cvt_f32_u32_sdwa v12, v3 dst_sel:DWORD dst_unused:UNUSED_PAD src0_sel:WORD_0
	;;#ASMSTART
	v_pk_mul_f32 v[28:29], v[28:29], v[8:9]
	;;#ASMEND
	v_cvt_f32_u32_sdwa v9, v4 dst_sel:DWORD dst_unused:UNUSED_PAD src0_sel:WORD_1
	v_cvt_f32_u32_sdwa v8, v4 dst_sel:DWORD dst_unused:UNUSED_PAD src0_sel:WORD_0
	v_pk_add_f32 v[2:3], v[10:11], 1.0 op_sel_hi:[1,0]
	v_cvt_f32_u32_sdwa v11, v5 dst_sel:DWORD dst_unused:UNUSED_PAD src0_sel:WORD_1
	v_cvt_f32_u32_sdwa v10, v5 dst_sel:DWORD dst_unused:UNUSED_PAD src0_sel:WORD_0
	;;#ASMSTART
	v_pk_mul_f32 v[24:25], v[24:25], v[2:3]
	;;#ASMEND
	v_pk_add_f32 v[2:3], v[12:13], 1.0 op_sel_hi:[1,0]
	;;#ASMSTART
	v_pk_mul_f32 v[32:33], v[32:33], v[2:3]
	;;#ASMEND
	v_pk_add_f32 v[2:3], v[8:9], 1.0 op_sel_hi:[1,0]
	;; [unrolled: 4-line block ×3, first 2 shown]
	;;#ASMSTART
	v_pk_mul_f32 v[26:27], v[6:7], v[2:3]
	;;#ASMEND
.LBB1028_9:
	s_or_b64 exec, exec, s[8:9]
	s_load_dword s7, s[4:5], 0x80
	s_mov_b64 s[8:9], -1
	s_and_b64 vcc, exec, s[14:15]
	s_cbranch_vccnz .LBB1028_13
; %bb.10:
	s_andn2_b64 vcc, exec, s[8:9]
	s_cbranch_vccz .LBB1028_16
.LBB1028_11:
	s_cmp_lt_i32 s20, 1
	s_cbranch_scc0 .LBB1028_23
.LBB1028_12:
	s_endpgm
.LBB1028_13:
	s_and_saveexec_b64 s[14:15], s[2:3]
	s_cbranch_execz .LBB1028_15
; %bb.14:
	s_waitcnt lgkmcnt(0)
	s_mul_hi_i32 s9, s7, s6
	s_mul_i32 s8, s7, s6
	s_lshl_b64 s[8:9], s[8:9], 1
	s_add_u32 s8, s28, s8
	s_addc_u32 s9, s29, s9
	s_mov_b32 s16, 0x7060302
	s_and_b32 s9, s9, 0xffff
	s_mov_b32 s11, 0x20000
	s_waitcnt vmcnt(0)
	v_perm_b32 v5, v29, v28, s16
	v_perm_b32 v4, v21, v20, s16
	;; [unrolled: 1-line block ×4, first 2 shown]
	v_lshlrev_b32_e32 v6, 5, v0
	buffer_store_dwordx4 v[2:5], v6, s[8:11], 0 offen
	;;#ASMSTART
	s_nop 0
	;;#ASMEND
	s_nop 0
	v_perm_b32 v5, v27, v26, s16
	v_perm_b32 v4, v31, v30, s16
	;; [unrolled: 1-line block ×4, first 2 shown]
	buffer_store_dwordx4 v[2:5], v6, s[8:11], 16 offen
	;;#ASMSTART
	s_nop 0
	;;#ASMEND
.LBB1028_15:
	s_or_b64 exec, exec, s[14:15]
	s_cbranch_execnz .LBB1028_11
.LBB1028_16:
	s_waitcnt vmcnt(0)
	v_mov_b32_e32 v2, 0
	s_and_saveexec_b64 s[8:9], s[2:3]
	s_cbranch_execz .LBB1028_18
; %bb.17:
	v_and_b32_e32 v2, 0x7fffffff, v18
	v_and_b32_e32 v3, 0x7fffffff, v19
	v_mov_b32_e32 v4, 0x2edbe6ff
	;;#ASMSTART
	v_max3_f32 v2, v4, v2, v3

	;;#ASMEND
	v_and_b32_e32 v3, 0x7fffffff, v22
	v_and_b32_e32 v4, 0x7fffffff, v23
	;;#ASMSTART
	v_max3_f32 v2, v2, v3, v4

	;;#ASMEND
	v_and_b32_e32 v3, 0x7fffffff, v20
	v_and_b32_e32 v4, 0x7fffffff, v21
	;; [unrolled: 6-line block ×7, first 2 shown]
	;;#ASMSTART
	v_max3_f32 v2, v2, v3, v4

	;;#ASMEND
.LBB1028_18:
	s_or_b64 exec, exec, s[8:9]
	s_load_dwordx4 s[24:27], s[4:5], 0x70
	;;#ASMSTART
	v_max_f32 v3, v2, v2 quad_perm:[1,0,3,2] row_mask:0xf bank_mask:0xf bound_ctrl:1
	;;#ASMEND
	v_and_b32_e32 v2, 1, v0
	v_cmp_eq_u32_e32 vcc, 0, v2
	v_cmp_gt_i32_e64 s[8:9], s19, v1
	s_and_b64 s[10:11], vcc, s[8:9]
	s_and_saveexec_b64 s[8:9], s[10:11]
	s_cbranch_execz .LBB1028_20
; %bb.19:
	s_load_dwordx2 s[10:11], s[4:5], 0x8
	v_mul_f32_e32 v2, 0x3e2aaaab, v3
	v_lshrrev_b32_e32 v3, 23, v2
	v_and_b32_e32 v4, 0x7f800000, v2
	v_and_b32_e32 v2, 0x7fffff, v2
	v_cmp_ne_u32_e32 vcc, 0, v2
	s_waitcnt lgkmcnt(0)
	s_mul_i32 s16, s25, s6
	s_mov_b32 s14, 0x7f800000
	v_addc_co_u32_e32 v2, vcc, 0, v3, vcc
	s_mul_hi_i32 s15, s25, s6
	s_add_u32 s10, s10, s16
	v_cmp_ne_u32_e32 vcc, s14, v4
	s_addc_u32 s11, s11, s15
	v_lshrrev_b32_e32 v5, 1, v0
	v_cndmask_b32_e32 v4, -1, v2, vcc
	v_pk_mov_b32 v[2:3], s[10:11], s[10:11] op_sel:[0,1]
	v_mad_i64_i32 v[2:3], s[10:11], s26, v5, v[2:3]
	global_store_byte v[2:3], v4, off
.LBB1028_20:
	s_or_b64 exec, exec, s[8:9]
	s_and_saveexec_b64 s[8:9], s[2:3]
	s_cbranch_execz .LBB1028_22
; %bb.21:
	s_load_dwordx2 s[2:3], s[4:5], 0x0
	s_waitcnt lgkmcnt(0)
	s_mul_i32 s11, s24, s6
	s_mul_hi_i32 s10, s24, s6
	v_mov_b32_e32 v2, 0
	v_lshlrev_b32_e32 v4, 3, v0
	s_add_u32 s24, s2, s11
	s_addc_u32 s2, s3, s10
	s_lshr_b32 s3, s19, 31
	s_add_i32 s3, s19, s3
	s_ashr_i32 s3, s3, 1
	s_add_i32 s3, s3, 3
	s_ashr_i32 s10, s3, 31
	s_lshr_b32 s10, s10, 30
	s_add_i32 s3, s3, s10
	s_and_b32 s26, s3, -4
	s_and_b32 s25, s2, 0xffff
	s_mov_b32 s27, 0x20000
	v_mov_b32_e32 v3, v2
	buffer_store_dwordx2 v[2:3], v4, s[24:27], 0 offen
	;;#ASMSTART
	s_nop 0
	;;#ASMEND
.LBB1028_22:
	s_or_b64 exec, exec, s[8:9]
	s_cmp_lt_i32 s20, 1
	s_cbranch_scc1 .LBB1028_12
.LBB1028_23:
	s_load_dword s2, s[4:5], 0x94
	s_waitcnt lgkmcnt(0)
	s_cmp_lg_u32 s2, 1
	s_cbranch_scc1 .LBB1028_12
; %bb.24:
	s_lshl_b32 s2, s20, 1
	s_add_i32 s2, s2, 2
	v_cmp_gt_u32_e32 vcc, s20, v1
	s_and_b32 s14, s2, -4
	v_mov_b32_e32 v18, 0
	v_lshlrev_b32_e32 v1, 5, v0
	v_mov_b32_e32 v14, 0
	v_mov_b32_e32 v15, 0
	;; [unrolled: 1-line block ×8, first 2 shown]
	s_waitcnt vmcnt(1)
	v_mov_b32_e32 v6, 0
	v_mov_b32_e32 v7, 0
	;; [unrolled: 1-line block ×4, first 2 shown]
	s_waitcnt vmcnt(0)
	v_mov_b32_e32 v2, 0
	v_mov_b32_e32 v3, 0
	;; [unrolled: 1-line block ×4, first 2 shown]
	s_barrier
	s_and_saveexec_b64 s[2:3], vcc
	s_cbranch_execz .LBB1028_26
; %bb.25:
	s_mul_hi_i32 s5, s22, s6
	s_mul_i32 s4, s22, s6
	s_and_b32 s13, s13, 0xffff
	s_lshl_b64 s[4:5], s[4:5], 1
	s_add_u32 s8, s30, s4
	s_mov_b32 s15, 0x20000
	s_addc_u32 s4, s31, s5
	s_and_b32 s9, s4, 0xffff
	s_mov_b32 s10, s14
	s_mov_b32 s11, s15
	buffer_load_dwordx4 v[14:17], v1, s[8:11], 0 offen
	buffer_load_dwordx4 v[10:13], v1, s[8:11], 16 offen
	;; [unrolled: 1-line block ×4, first 2 shown]
.LBB1028_26:
	s_or_b64 exec, exec, s[2:3]
	v_mov_b32_e32 v19, 0
	v_mov_b32_e32 v32, 0
	;; [unrolled: 1-line block ×15, first 2 shown]
	s_and_saveexec_b64 s[2:3], vcc
	s_cbranch_execz .LBB1028_28
; %bb.27:
	s_waitcnt vmcnt(3)
	v_cvt_f32_u32_sdwa v18, v14 dst_sel:DWORD dst_unused:UNUSED_PAD src0_sel:WORD_0
	v_cvt_f32_u32_sdwa v19, v14 dst_sel:DWORD dst_unused:UNUSED_PAD src0_sel:WORD_1
	v_cvt_f32_u32_sdwa v32, v15 dst_sel:DWORD dst_unused:UNUSED_PAD src0_sel:WORD_0
	v_cvt_f32_u32_sdwa v33, v15 dst_sel:DWORD dst_unused:UNUSED_PAD src0_sel:WORD_1
	;; [unrolled: 2-line block ×4, first 2 shown]
	s_waitcnt vmcnt(2)
	v_cvt_f32_u32_sdwa v26, v10 dst_sel:DWORD dst_unused:UNUSED_PAD src0_sel:WORD_0
	v_cvt_f32_u32_sdwa v27, v10 dst_sel:DWORD dst_unused:UNUSED_PAD src0_sel:WORD_1
	v_cvt_f32_u32_sdwa v24, v11 dst_sel:DWORD dst_unused:UNUSED_PAD src0_sel:WORD_0
	v_cvt_f32_u32_sdwa v25, v11 dst_sel:DWORD dst_unused:UNUSED_PAD src0_sel:WORD_1
	;; [unrolled: 2-line block ×4, first 2 shown]
.LBB1028_28:
	s_or_b64 exec, exec, s[2:3]
	s_waitcnt vmcnt(2)
	v_mul_f32_e32 v10, v19, v19
	v_fmac_f32_e32 v10, v18, v18
	v_fmac_f32_e32 v10, v32, v32
	v_fmac_f32_e32 v10, v33, v33
	v_fmac_f32_e32 v10, v30, v30
	v_fmac_f32_e32 v10, v31, v31
	v_fmac_f32_e32 v10, v28, v28
	v_fmac_f32_e32 v10, v29, v29
	v_fmac_f32_e32 v10, v26, v26
	v_fmac_f32_e32 v10, v27, v27
	v_fmac_f32_e32 v10, v24, v24
	v_fmac_f32_e32 v10, v25, v25
	v_fmac_f32_e32 v10, v22, v22
	v_fmac_f32_e32 v10, v23, v23
	v_fmac_f32_e32 v10, v20, v20
	v_fmac_f32_e32 v10, v21, v21
	s_nop 1
	v_mov_b32_dpp v11, v10 quad_perm:[1,0,3,2] row_mask:0xf bank_mask:0xf
	v_add_f32_e32 v10, v10, v11
	s_nop 1
	v_mov_b32_dpp v11, v10 quad_perm:[2,3,0,1] row_mask:0xf bank_mask:0xf
	v_add_f32_e32 v10, v10, v11
	s_nop 1
	v_mov_b32_dpp v11, v10 row_half_mirror row_mask:0xf bank_mask:0xf
	v_add_f32_e32 v10, v10, v11
	s_nop 1
	v_mov_b32_dpp v11, v10 row_mirror row_mask:0xf bank_mask:0xf
	v_add_f32_e32 v10, v10, v11
	s_nop 1
	v_mov_b32_dpp v11, v10 row_bcast:15 row_mask:0xf bank_mask:0xf
	v_add_f32_e32 v10, v10, v11
	s_nop 1
	v_mov_b32_dpp v11, v10 row_bcast:31 row_mask:0xf bank_mask:0xf
	s_and_saveexec_b64 s[2:3], s[0:1]
	s_cbranch_execz .LBB1028_30
; %bb.29:
	v_lshrrev_b32_e32 v0, 4, v0
	v_add_f32_e32 v10, v10, v11
	v_and_b32_e32 v0, 60, v0
	ds_write_b32 v0, v10
.LBB1028_30:
	s_or_b64 exec, exec, s[2:3]
	s_waitcnt lgkmcnt(0)
	s_barrier
	ds_read_b32 v0, v34
	s_waitcnt lgkmcnt(0)
	s_nop 0
	v_mov_b32_dpp v10, v0 quad_perm:[1,0,3,2] row_mask:0xf bank_mask:0xf
	v_add_f32_e32 v0, v0, v10
	s_nop 1
	v_mov_b32_dpp v10, v0 quad_perm:[2,3,0,1] row_mask:0xf bank_mask:0xf
	v_add_f32_e32 v0, v0, v10
	s_nop 1
	v_mov_b32_dpp v10, v0 row_half_mirror row_mask:0xf bank_mask:0xf
	s_and_saveexec_b64 s[0:1], vcc
	s_cbranch_execz .LBB1028_12
; %bb.31:
	v_cvt_f32_u32_e32 v11, s20
	v_add_f32_e32 v0, v0, v10
	s_mov_b32 s15, 0x20000
	v_div_scale_f32 v10, s[0:1], v11, v11, v0
	v_rcp_f32_e32 v12, v10
	v_div_scale_f32 v13, vcc, v0, v11, v0
	s_mov_b32 s0, 0x800000
	v_fma_f32 v14, -v10, v12, 1.0
	v_fmac_f32_e32 v12, v14, v12
	v_mul_f32_e32 v14, v13, v12
	v_fma_f32 v15, -v10, v14, v13
	v_fmac_f32_e32 v14, v15, v12
	v_fma_f32 v10, -v10, v14, v13
	v_div_fmas_f32 v10, v10, v12, v14
	v_div_fixup_f32 v0, v10, v11, v0
	v_add_f32_e32 v0, s17, v0
	v_mul_f32_e32 v10, 0x4b800000, v0
	v_cmp_gt_f32_e32 vcc, s0, v0
	v_cndmask_b32_e32 v0, v0, v10, vcc
	v_rsq_f32_e32 v0, v0
	s_mul_hi_i32 s1, s7, s6
	s_mul_i32 s0, s7, s6
	s_lshl_b64 s[0:1], s[0:1], 1
	v_mul_f32_e32 v10, 0x45800000, v0
	v_cndmask_b32_e32 v10, v0, v10, vcc
	v_mov_b32_e32 v11, v10
	;;#ASMSTART
	v_pk_mul_f32 v[12:13], v[18:19], v[10:11]
	;;#ASMEND
	;;#ASMSTART
	v_pk_mul_f32 v[14:15], v[32:33], v[10:11]
	;;#ASMEND
	;; [unrolled: 3-line block ×4, first 2 shown]
	s_waitcnt vmcnt(1)
	v_cvt_f32_u32_sdwa v29, v6 dst_sel:DWORD dst_unused:UNUSED_PAD src0_sel:WORD_1
	v_cvt_f32_u32_sdwa v28, v6 dst_sel:DWORD dst_unused:UNUSED_PAD src0_sel:WORD_0
	v_cvt_f32_u32_sdwa v31, v7 dst_sel:DWORD dst_unused:UNUSED_PAD src0_sel:WORD_1
	v_cvt_f32_u32_sdwa v30, v7 dst_sel:DWORD dst_unused:UNUSED_PAD src0_sel:WORD_0
	;;#ASMSTART
	v_pk_mul_f32 v[26:27], v[26:27], v[10:11]
	;;#ASMEND
	;;#ASMSTART
	v_pk_mul_f32 v[24:25], v[24:25], v[10:11]
	;;#ASMEND
	;;#ASMSTART
	v_pk_mul_f32 v[22:23], v[22:23], v[10:11]
	;;#ASMEND
	;;#ASMSTART
	v_pk_mul_f32 v[6:7], v[20:21], v[10:11]
	;;#ASMEND
	v_cvt_f32_u32_sdwa v21, v8 dst_sel:DWORD dst_unused:UNUSED_PAD src0_sel:WORD_1
	v_cvt_f32_u32_sdwa v20, v8 dst_sel:DWORD dst_unused:UNUSED_PAD src0_sel:WORD_0
	v_pk_add_f32 v[10:11], v[28:29], 1.0 op_sel_hi:[1,0]
	;;#ASMSTART
	v_pk_mul_f32 v[10:11], v[12:13], v[10:11]
	;;#ASMEND
	v_pk_add_f32 v[12:13], v[30:31], 1.0 op_sel_hi:[1,0]
	v_cvt_f32_u32_sdwa v29, v9 dst_sel:DWORD dst_unused:UNUSED_PAD src0_sel:WORD_1
	v_cvt_f32_u32_sdwa v28, v9 dst_sel:DWORD dst_unused:UNUSED_PAD src0_sel:WORD_0
	;;#ASMSTART
	v_pk_mul_f32 v[8:9], v[14:15], v[12:13]
	;;#ASMEND
	v_pk_add_f32 v[12:13], v[20:21], 1.0 op_sel_hi:[1,0]
	;;#ASMSTART
	v_pk_mul_f32 v[12:13], v[16:17], v[12:13]
	;;#ASMEND
	s_waitcnt vmcnt(0)
	v_cvt_f32_u32_sdwa v17, v2 dst_sel:DWORD dst_unused:UNUSED_PAD src0_sel:WORD_1
	v_cvt_f32_u32_sdwa v16, v2 dst_sel:DWORD dst_unused:UNUSED_PAD src0_sel:WORD_0
	v_cvt_f32_u32_sdwa v21, v3 dst_sel:DWORD dst_unused:UNUSED_PAD src0_sel:WORD_1
	v_cvt_f32_u32_sdwa v20, v3 dst_sel:DWORD dst_unused:UNUSED_PAD src0_sel:WORD_0
	v_pk_add_f32 v[14:15], v[28:29], 1.0 op_sel_hi:[1,0]
	;;#ASMSTART
	v_pk_mul_f32 v[14:15], v[18:19], v[14:15]
	;;#ASMEND
	v_pk_add_f32 v[2:3], v[16:17], 1.0 op_sel_hi:[1,0]
	v_cvt_f32_u32_sdwa v19, v4 dst_sel:DWORD dst_unused:UNUSED_PAD src0_sel:WORD_1
	v_cvt_f32_u32_sdwa v18, v4 dst_sel:DWORD dst_unused:UNUSED_PAD src0_sel:WORD_0
	;;#ASMSTART
	v_pk_mul_f32 v[16:17], v[26:27], v[2:3]
	;;#ASMEND
	v_pk_add_f32 v[2:3], v[20:21], 1.0 op_sel_hi:[1,0]
	v_cvt_f32_u32_sdwa v21, v5 dst_sel:DWORD dst_unused:UNUSED_PAD src0_sel:WORD_1
	v_cvt_f32_u32_sdwa v20, v5 dst_sel:DWORD dst_unused:UNUSED_PAD src0_sel:WORD_0
	s_add_u32 s12, s28, s0
	;;#ASMSTART
	v_pk_mul_f32 v[24:25], v[24:25], v[2:3]
	;;#ASMEND
	v_pk_add_f32 v[2:3], v[18:19], 1.0 op_sel_hi:[1,0]
	s_addc_u32 s0, s29, s1
	;;#ASMSTART
	v_pk_mul_f32 v[18:19], v[22:23], v[2:3]
	;;#ASMEND
	v_pk_add_f32 v[2:3], v[20:21], 1.0 op_sel_hi:[1,0]
	s_and_b32 s13, s0, 0xffff
	s_mov_b32 s0, 0x7060302
	;;#ASMSTART
	v_pk_mul_f32 v[6:7], v[6:7], v[2:3]
	;;#ASMEND
	v_perm_b32 v2, v11, v10, s0
	v_perm_b32 v3, v9, v8, s0
	;; [unrolled: 1-line block ×4, first 2 shown]
	buffer_store_dwordx4 v[2:5], v1, s[12:15], 0 offen
	;;#ASMSTART
	s_nop 0
	;;#ASMEND
	s_nop 0
	v_perm_b32 v2, v17, v16, s0
	v_perm_b32 v3, v25, v24, s0
	;; [unrolled: 1-line block ×4, first 2 shown]
	buffer_store_dwordx4 v[2:5], v1, s[12:15], 16 offen
	;;#ASMSTART
	s_nop 0
	;;#ASMEND
	s_endpgm
	.section	.rodata,"a",@progbits
	.p2align	6, 0x0
	.amdhsa_kernel _ZN5aiter35fused_qk_rmsnorm_group_quant_kernelItN4opus5fp4_tELi512ELi16ELi2ELb0ELb0ELb1ELb0ELb0ELb0EEEvPT0_PvPT_S7_S7_PKS6_S9_S9_S9_S9_ffiiiiiiiiiiiii
		.amdhsa_group_segment_fixed_size 64
		.amdhsa_private_segment_fixed_size 0
		.amdhsa_kernarg_size 400
		.amdhsa_user_sgpr_count 6
		.amdhsa_user_sgpr_private_segment_buffer 1
		.amdhsa_user_sgpr_dispatch_ptr 0
		.amdhsa_user_sgpr_queue_ptr 0
		.amdhsa_user_sgpr_kernarg_segment_ptr 1
		.amdhsa_user_sgpr_dispatch_id 0
		.amdhsa_user_sgpr_flat_scratch_init 0
		.amdhsa_user_sgpr_kernarg_preload_length 0
		.amdhsa_user_sgpr_kernarg_preload_offset 0
		.amdhsa_user_sgpr_private_segment_size 0
		.amdhsa_uses_dynamic_stack 0
		.amdhsa_system_sgpr_private_segment_wavefront_offset 0
		.amdhsa_system_sgpr_workgroup_id_x 1
		.amdhsa_system_sgpr_workgroup_id_y 1
		.amdhsa_system_sgpr_workgroup_id_z 0
		.amdhsa_system_sgpr_workgroup_info 0
		.amdhsa_system_vgpr_workitem_id 0
		.amdhsa_next_free_vgpr 35
		.amdhsa_next_free_sgpr 32
		.amdhsa_accum_offset 36
		.amdhsa_reserve_vcc 1
		.amdhsa_reserve_flat_scratch 0
		.amdhsa_float_round_mode_32 0
		.amdhsa_float_round_mode_16_64 0
		.amdhsa_float_denorm_mode_32 3
		.amdhsa_float_denorm_mode_16_64 3
		.amdhsa_dx10_clamp 1
		.amdhsa_ieee_mode 1
		.amdhsa_fp16_overflow 0
		.amdhsa_tg_split 0
		.amdhsa_exception_fp_ieee_invalid_op 0
		.amdhsa_exception_fp_denorm_src 0
		.amdhsa_exception_fp_ieee_div_zero 0
		.amdhsa_exception_fp_ieee_overflow 0
		.amdhsa_exception_fp_ieee_underflow 0
		.amdhsa_exception_fp_ieee_inexact 0
		.amdhsa_exception_int_div_zero 0
	.end_amdhsa_kernel
	.section	.text._ZN5aiter35fused_qk_rmsnorm_group_quant_kernelItN4opus5fp4_tELi512ELi16ELi2ELb0ELb0ELb1ELb0ELb0ELb0EEEvPT0_PvPT_S7_S7_PKS6_S9_S9_S9_S9_ffiiiiiiiiiiiii,"axG",@progbits,_ZN5aiter35fused_qk_rmsnorm_group_quant_kernelItN4opus5fp4_tELi512ELi16ELi2ELb0ELb0ELb1ELb0ELb0ELb0EEEvPT0_PvPT_S7_S7_PKS6_S9_S9_S9_S9_ffiiiiiiiiiiiii,comdat
.Lfunc_end1028:
	.size	_ZN5aiter35fused_qk_rmsnorm_group_quant_kernelItN4opus5fp4_tELi512ELi16ELi2ELb0ELb0ELb1ELb0ELb0ELb0EEEvPT0_PvPT_S7_S7_PKS6_S9_S9_S9_S9_ffiiiiiiiiiiiii, .Lfunc_end1028-_ZN5aiter35fused_qk_rmsnorm_group_quant_kernelItN4opus5fp4_tELi512ELi16ELi2ELb0ELb0ELb1ELb0ELb0ELb0EEEvPT0_PvPT_S7_S7_PKS6_S9_S9_S9_S9_ffiiiiiiiiiiiii
                                        ; -- End function
	.section	.AMDGPU.csdata,"",@progbits
; Kernel info:
; codeLenInByte = 3288
; NumSgprs: 36
; NumVgprs: 35
; NumAgprs: 0
; TotalNumVgprs: 35
; ScratchSize: 0
; MemoryBound: 0
; FloatMode: 240
; IeeeMode: 1
; LDSByteSize: 64 bytes/workgroup (compile time only)
; SGPRBlocks: 4
; VGPRBlocks: 4
; NumSGPRsForWavesPerEU: 36
; NumVGPRsForWavesPerEU: 35
; AccumOffset: 36
; Occupancy: 8
; WaveLimiterHint : 0
; COMPUTE_PGM_RSRC2:SCRATCH_EN: 0
; COMPUTE_PGM_RSRC2:USER_SGPR: 6
; COMPUTE_PGM_RSRC2:TRAP_HANDLER: 0
; COMPUTE_PGM_RSRC2:TGID_X_EN: 1
; COMPUTE_PGM_RSRC2:TGID_Y_EN: 1
; COMPUTE_PGM_RSRC2:TGID_Z_EN: 0
; COMPUTE_PGM_RSRC2:TIDIG_COMP_CNT: 0
; COMPUTE_PGM_RSRC3_GFX90A:ACCUM_OFFSET: 8
; COMPUTE_PGM_RSRC3_GFX90A:TG_SPLIT: 0
	.section	.text._ZN5aiter35fused_qk_rmsnorm_group_quant_kernelIDF16_DB8_Li512ELi16ELi2ELb0ELb0ELb0ELb0ELb0ELb0EEEvPT0_PvPT_S6_S6_PKS5_S8_S8_S8_S8_ffiiiiiiiiiiiii,"axG",@progbits,_ZN5aiter35fused_qk_rmsnorm_group_quant_kernelIDF16_DB8_Li512ELi16ELi2ELb0ELb0ELb0ELb0ELb0ELb0EEEvPT0_PvPT_S6_S6_PKS5_S8_S8_S8_S8_ffiiiiiiiiiiiii,comdat
	.protected	_ZN5aiter35fused_qk_rmsnorm_group_quant_kernelIDF16_DB8_Li512ELi16ELi2ELb0ELb0ELb0ELb0ELb0ELb0EEEvPT0_PvPT_S6_S6_PKS5_S8_S8_S8_S8_ffiiiiiiiiiiiii ; -- Begin function _ZN5aiter35fused_qk_rmsnorm_group_quant_kernelIDF16_DB8_Li512ELi16ELi2ELb0ELb0ELb0ELb0ELb0ELb0EEEvPT0_PvPT_S6_S6_PKS5_S8_S8_S8_S8_ffiiiiiiiiiiiii
	.globl	_ZN5aiter35fused_qk_rmsnorm_group_quant_kernelIDF16_DB8_Li512ELi16ELi2ELb0ELb0ELb0ELb0ELb0ELb0EEEvPT0_PvPT_S6_S6_PKS5_S8_S8_S8_S8_ffiiiiiiiiiiiii
	.p2align	8
	.type	_ZN5aiter35fused_qk_rmsnorm_group_quant_kernelIDF16_DB8_Li512ELi16ELi2ELb0ELb0ELb0ELb0ELb0ELb0EEEvPT0_PvPT_S6_S6_PKS5_S8_S8_S8_S8_ffiiiiiiiiiiiii,@function
_ZN5aiter35fused_qk_rmsnorm_group_quant_kernelIDF16_DB8_Li512ELi16ELi2ELb0ELb0ELb0ELb0ELb0ELb0EEEvPT0_PvPT_S6_S6_PKS5_S8_S8_S8_S8_ffiiiiiiiiiiiii: ; @_ZN5aiter35fused_qk_rmsnorm_group_quant_kernelIDF16_DB8_Li512ELi16ELi2ELb0ELb0ELb0ELb0ELb0ELb0EEEvPT0_PvPT_S6_S6_PKS5_S8_S8_S8_S8_ffiiiiiiiiiiiii
; %bb.0:
	s_load_dwordx4 s[16:19], s[4:5], 0x50
	s_waitcnt lgkmcnt(0)
	s_cmp_ge_i32 s6, s18
	s_cbranch_scc1 .LBB1029_12
; %bb.1:
	s_load_dwordx2 s[12:13], s[4:5], 0x48
	s_load_dwordx2 s[30:31], s[4:5], 0x30
	s_load_dwordx4 s[20:23], s[4:5], 0x60
	s_cmp_lg_u32 s7, 0
	s_cselect_b64 s[14:15], -1, 0
	s_cmp_eq_u32 s7, 0
	s_cselect_b64 vcc, -1, 0
	s_and_b64 s[0:1], vcc, exec
	s_waitcnt lgkmcnt(0)
	s_cselect_b32 s7, s19, s20
	s_add_i32 s0, s7, 1
	s_lshr_b32 s1, s0, 31
	s_add_i32 s0, s0, s1
	s_lshl_b32 s0, s0, 1
	v_lshlrev_b32_e32 v1, 4, v0
	s_and_b32 s10, s0, -4
	v_cmp_gt_i32_e64 s[2:3], s7, v1
	v_mov_b32_e32 v18, 0
	v_mov_b32_e32 v6, 0
	;; [unrolled: 1-line block ×17, first 2 shown]
	s_and_saveexec_b64 s[0:1], s[2:3]
	s_cbranch_execz .LBB1029_3
; %bb.2:
	s_load_dwordx2 s[8:9], s[4:5], 0x28
	s_load_dwordx2 s[26:27], s[4:5], 0x40
	s_and_b64 s[24:25], vcc, exec
	s_cselect_b32 s11, s21, s22
	v_lshlrev_b32_e32 v19, 5, v0
	s_waitcnt lgkmcnt(0)
	s_cselect_b32 s18, s9, s31
	s_cselect_b32 s21, s8, s30
	s_mul_hi_i32 s9, s11, s6
	s_mul_i32 s8, s11, s6
	s_lshl_b64 s[8:9], s[8:9], 1
	s_add_u32 s24, s21, s8
	s_addc_u32 s18, s18, s9
	s_and_b64 s[8:9], vcc, exec
	s_mov_b32 s11, 0x20000
	s_cselect_b32 s8, s26, s12
	s_cselect_b32 s9, s27, s13
	s_and_b32 s25, s18, 0xffff
	s_mov_b32 s26, s10
	s_mov_b32 s27, s11
	s_and_b32 s9, s9, 0xffff
	buffer_load_dwordx4 v[14:17], v19, s[24:27], 0 offen
	buffer_load_dwordx4 v[10:13], v19, s[24:27], 16 offen
	;; [unrolled: 1-line block ×4, first 2 shown]
.LBB1029_3:
	s_or_b64 exec, exec, s[0:1]
	v_mov_b32_e32 v19, 0
	v_mov_b32_e32 v32, 0
	;; [unrolled: 1-line block ×15, first 2 shown]
	s_and_saveexec_b64 s[0:1], s[2:3]
	s_cbranch_execz .LBB1029_5
; %bb.4:
	s_waitcnt vmcnt(3)
	v_cvt_f32_f16_sdwa v19, v14 dst_sel:DWORD dst_unused:UNUSED_PAD src0_sel:WORD_1
	v_cvt_f32_f16_e32 v18, v14
	v_cvt_f32_f16_sdwa v33, v15 dst_sel:DWORD dst_unused:UNUSED_PAD src0_sel:WORD_1
	v_cvt_f32_f16_e32 v32, v15
	;; [unrolled: 2-line block ×4, first 2 shown]
	s_waitcnt vmcnt(2)
	v_cvt_f32_f16_sdwa v31, v10 dst_sel:DWORD dst_unused:UNUSED_PAD src0_sel:WORD_1
	v_cvt_f32_f16_e32 v30, v10
	v_cvt_f32_f16_sdwa v29, v11 dst_sel:DWORD dst_unused:UNUSED_PAD src0_sel:WORD_1
	v_cvt_f32_f16_e32 v28, v11
	;; [unrolled: 2-line block ×4, first 2 shown]
.LBB1029_5:
	s_or_b64 exec, exec, s[0:1]
	s_waitcnt vmcnt(2)
	v_mul_f32_e32 v10, v19, v19
	v_fmac_f32_e32 v10, v18, v18
	v_fmac_f32_e32 v10, v32, v32
	;; [unrolled: 1-line block ×15, first 2 shown]
	v_and_b32_e32 v12, 63, v0
	v_cmp_eq_u32_e64 s[0:1], 63, v12
	v_mov_b32_dpp v11, v10 quad_perm:[1,0,3,2] row_mask:0xf bank_mask:0xf
	v_add_f32_e32 v10, v10, v11
	s_nop 1
	v_mov_b32_dpp v11, v10 quad_perm:[2,3,0,1] row_mask:0xf bank_mask:0xf
	v_add_f32_e32 v10, v10, v11
	s_nop 1
	v_mov_b32_dpp v11, v10 row_half_mirror row_mask:0xf bank_mask:0xf
	v_add_f32_e32 v10, v10, v11
	s_nop 1
	v_mov_b32_dpp v11, v10 row_mirror row_mask:0xf bank_mask:0xf
	v_add_f32_e32 v10, v10, v11
	s_nop 1
	v_mov_b32_dpp v11, v10 row_bcast:15 row_mask:0xf bank_mask:0xf
	v_add_f32_e32 v10, v10, v11
	s_nop 1
	v_mov_b32_dpp v11, v10 row_bcast:31 row_mask:0xf bank_mask:0xf
	s_and_saveexec_b64 s[8:9], s[0:1]
	s_cbranch_execz .LBB1029_7
; %bb.6:
	v_add_f32_e32 v10, v10, v11
	v_lshrrev_b32_e32 v11, 4, v0
	v_and_b32_e32 v11, 60, v11
	ds_write_b32 v11, v10 offset:32
.LBB1029_7:
	s_or_b64 exec, exec, s[8:9]
	v_and_b32_e32 v10, 7, v0
	v_lshlrev_b32_e32 v34, 2, v10
	s_waitcnt lgkmcnt(0)
	s_barrier
	ds_read_b32 v10, v34 offset:32
	s_load_dwordx2 s[28:29], s[4:5], 0x18
	s_waitcnt lgkmcnt(0)
	v_mov_b32_dpp v11, v10 quad_perm:[1,0,3,2] row_mask:0xf bank_mask:0xf
	v_add_f32_e32 v10, v10, v11
	s_nop 1
	v_mov_b32_dpp v11, v10 quad_perm:[2,3,0,1] row_mask:0xf bank_mask:0xf
	v_add_f32_e32 v10, v10, v11
	s_nop 1
	v_mov_b32_dpp v11, v10 row_half_mirror row_mask:0xf bank_mask:0xf
	s_and_saveexec_b64 s[8:9], s[2:3]
	s_cbranch_execz .LBB1029_9
; %bb.8:
	v_cvt_f32_u32_e32 v12, s7
	v_add_f32_e32 v10, v10, v11
	v_mov_b32_e32 v14, s17
	v_mov_b32_e32 v15, s16
	v_div_scale_f32 v11, s[24:25], v12, v12, v10
	v_rcp_f32_e32 v13, v11
	v_cndmask_b32_e32 v14, v14, v15, vcc
	s_mov_b32 s7, 0x800000
	s_waitcnt vmcnt(1)
	v_cvt_f32_f16_sdwa v37, v9 dst_sel:DWORD dst_unused:UNUSED_PAD src0_sel:WORD_1
	v_fma_f32 v15, -v11, v13, 1.0
	v_fmac_f32_e32 v13, v15, v13
	v_div_scale_f32 v15, vcc, v10, v12, v10
	v_mul_f32_e32 v16, v15, v13
	v_fma_f32 v17, -v11, v16, v15
	v_fmac_f32_e32 v16, v17, v13
	v_fma_f32 v11, -v11, v16, v15
	v_div_fmas_f32 v11, v11, v13, v16
	v_div_fixup_f32 v10, v11, v12, v10
	v_add_f32_e32 v10, v14, v10
	v_mul_f32_e32 v11, 0x4b800000, v10
	v_cmp_gt_f32_e32 vcc, s7, v10
	v_cndmask_b32_e32 v10, v10, v11, vcc
	v_rsq_f32_e32 v10, v10
	v_cvt_f32_f16_e32 v36, v9
	s_waitcnt vmcnt(0)
	v_cvt_f32_f16_sdwa v9, v3 dst_sel:DWORD dst_unused:UNUSED_PAD src0_sel:WORD_1
	v_mul_f32_e32 v11, 0x45800000, v10
	v_cndmask_b32_e32 v10, v10, v11, vcc
	v_mov_b32_e32 v11, v10
	;;#ASMSTART
	v_pk_mul_f32 v[12:13], v[18:19], v[10:11]
	;;#ASMEND
	;;#ASMSTART
	v_pk_mul_f32 v[14:15], v[32:33], v[10:11]
	;;#ASMEND
	;; [unrolled: 3-line block ×8, first 2 shown]
	v_cvt_f32_f16_sdwa v19, v6 dst_sel:DWORD dst_unused:UNUSED_PAD src0_sel:WORD_1
	v_cvt_f32_f16_e32 v18, v6
	v_cvt_f32_f16_sdwa v21, v7 dst_sel:DWORD dst_unused:UNUSED_PAD src0_sel:WORD_1
	v_cvt_f32_f16_e32 v20, v7
	;; [unrolled: 2-line block ×3, first 2 shown]
	;;#ASMSTART
	v_pk_mul_f32 v[18:19], v[12:13], v[18:19]
	;;#ASMEND
	;;#ASMSTART
	v_pk_mul_f32 v[32:33], v[14:15], v[20:21]
	;;#ASMEND
	;; [unrolled: 3-line block ×4, first 2 shown]
	v_cvt_f32_f16_sdwa v7, v2 dst_sel:DWORD dst_unused:UNUSED_PAD src0_sel:WORD_1
	v_cvt_f32_f16_e32 v6, v2
	v_cvt_f32_f16_e32 v8, v3
	v_cvt_f32_f16_sdwa v3, v4 dst_sel:DWORD dst_unused:UNUSED_PAD src0_sel:WORD_1
	v_cvt_f32_f16_e32 v2, v4
	v_cvt_f32_f16_sdwa v13, v5 dst_sel:DWORD dst_unused:UNUSED_PAD src0_sel:WORD_1
	v_cvt_f32_f16_e32 v12, v5
	;;#ASMSTART
	v_pk_mul_f32 v[30:31], v[30:31], v[6:7]
	;;#ASMEND
	;;#ASMSTART
	v_pk_mul_f32 v[28:29], v[28:29], v[8:9]
	;;#ASMEND
	;; [unrolled: 3-line block ×4, first 2 shown]
.LBB1029_9:
	s_or_b64 exec, exec, s[8:9]
	s_load_dword s7, s[4:5], 0x80
	s_mov_b64 s[8:9], -1
	s_and_b64 vcc, exec, s[14:15]
	s_cbranch_vccnz .LBB1029_13
; %bb.10:
	s_andn2_b64 vcc, exec, s[8:9]
	s_cbranch_vccz .LBB1029_16
.LBB1029_11:
	s_cmp_lt_i32 s20, 1
	s_cbranch_scc0 .LBB1029_23
.LBB1029_12:
	s_endpgm
.LBB1029_13:
	s_and_saveexec_b64 s[14:15], s[2:3]
	s_cbranch_execz .LBB1029_15
; %bb.14:
	s_waitcnt lgkmcnt(0)
	s_mul_hi_i32 s9, s7, s6
	s_mul_i32 s8, s7, s6
	s_waitcnt vmcnt(0)
	v_cvt_f16_f32_e32 v2, v18
	v_cvt_f16_f32_e32 v3, v32
	v_cvt_f16_f32_e32 v4, v26
	v_cvt_f16_f32_e32 v5, v24
	v_cvt_f16_f32_e32 v6, v25
	v_cvt_f16_f32_e32 v7, v27
	v_cvt_f16_f32_e32 v8, v33
	v_cvt_f16_f32_e32 v9, v19
	s_lshl_b64 s[8:9], s[8:9], 1
	s_add_u32 s8, s28, s8
	s_addc_u32 s9, s29, s9
	s_and_b32 s9, s9, 0xffff
	s_mov_b32 s11, 0x20000
	v_pack_b32_f16 v5, v5, v6
	v_pack_b32_f16 v4, v4, v7
	;; [unrolled: 1-line block ×4, first 2 shown]
	v_lshlrev_b32_e32 v6, 5, v0
	buffer_store_dwordx4 v[2:5], v6, s[8:11], 0 offen
	v_cvt_f16_f32_e32 v7, v21
	v_cvt_f16_f32_e32 v2, v30
	;; [unrolled: 1-line block ×8, first 2 shown]
	v_pack_b32_f16 v5, v5, v7
	v_pack_b32_f16 v4, v4, v8
	;; [unrolled: 1-line block ×4, first 2 shown]
	;;#ASMSTART
	s_nop 0
	;;#ASMEND
	buffer_store_dwordx4 v[2:5], v6, s[8:11], 16 offen
	;;#ASMSTART
	s_nop 0
	;;#ASMEND
.LBB1029_15:
	s_or_b64 exec, exec, s[14:15]
	s_cbranch_execnz .LBB1029_11
.LBB1029_16:
	s_waitcnt vmcnt(0)
	v_mov_b32_e32 v2, 0
	s_and_saveexec_b64 s[8:9], s[2:3]
	s_cbranch_execz .LBB1029_18
; %bb.17:
	v_and_b32_e32 v2, 0x7fffffff, v18
	v_and_b32_e32 v3, 0x7fffffff, v19
	v_mov_b32_e32 v4, 0x2edbe6ff
	;;#ASMSTART
	v_max3_f32 v2, v4, v2, v3

	;;#ASMEND
	v_and_b32_e32 v3, 0x7fffffff, v32
	v_and_b32_e32 v4, 0x7fffffff, v33
	;;#ASMSTART
	v_max3_f32 v2, v2, v3, v4

	;;#ASMEND
	v_and_b32_e32 v3, 0x7fffffff, v26
	v_and_b32_e32 v4, 0x7fffffff, v27
	;; [unrolled: 6-line block ×7, first 2 shown]
	;;#ASMSTART
	v_max3_f32 v2, v2, v3, v4

	;;#ASMEND
.LBB1029_18:
	s_or_b64 exec, exec, s[8:9]
	s_load_dwordx4 s[24:27], s[4:5], 0x70
	;;#ASMSTART
	v_max_f32 v3, v2, v2 quad_perm:[1,0,3,2] row_mask:0xf bank_mask:0xf bound_ctrl:1
	;;#ASMEND
	v_mul_f32_e32 v2, 0x3b124925, v3
	v_and_b32_e32 v3, 1, v0
	v_cmp_eq_u32_e32 vcc, 0, v3
	v_cmp_gt_i32_e64 s[8:9], s19, v1
	s_and_b64 s[10:11], vcc, s[8:9]
	s_and_saveexec_b64 s[8:9], s[10:11]
	s_cbranch_execz .LBB1029_20
; %bb.19:
	s_load_dwordx2 s[10:11], s[4:5], 0x8
	s_waitcnt lgkmcnt(0)
	s_mul_hi_i32 s15, s25, s6
	s_mul_i32 s14, s25, s6
	v_lshrrev_b32_e32 v3, 1, v0
	s_lshl_b64 s[14:15], s[14:15], 2
	v_mad_i64_i32 v[4:5], s[26:27], s26, v3, 0
	s_add_u32 s10, s10, s14
	s_addc_u32 s11, s11, s15
	v_lshlrev_b64 v[4:5], 2, v[4:5]
	v_mov_b32_e32 v3, s11
	v_add_co_u32_e32 v4, vcc, s10, v4
	v_addc_co_u32_e32 v5, vcc, v3, v5, vcc
	global_store_dword v[4:5], v2, off
.LBB1029_20:
	s_or_b64 exec, exec, s[8:9]
	;;#ASMSTART
	v_rcp_f32 v2, v2
	;;#ASMEND
	s_and_saveexec_b64 s[14:15], s[2:3]
	s_cbranch_execz .LBB1029_22
; %bb.21:
	s_load_dwordx2 s[2:3], s[4:5], 0x0
	s_waitcnt lgkmcnt(0)
	s_mul_i32 s8, s24, s6
	s_mul_hi_i32 s9, s24, s6
	v_mov_b32_e32 v3, v2
	;;#ASMSTART
	v_pk_mul_f32 v[4:5], v[18:19], v[2:3]
	;;#ASMEND
	s_add_u32 s8, s2, s8
	s_addc_u32 s2, s3, s9
	s_add_i32 s3, s19, 3
	s_ashr_i32 s10, s3, 31
	v_mov_b32_e32 v10, 0xc3e00000
	v_mov_b32_e32 v11, 0x43e00000
	;;#ASMSTART
	v_med3_f32 v4, v4, v10, v11
v_med3_f32 v5, v5, v10, v11
v_cvt_pk_fp8_f32 v6, v4, v5
	;;#ASMEND
	s_and_b32 s9, s2, 0xffff
	s_lshr_b32 s2, s10, 30
	;;#ASMSTART
	v_pk_mul_f32 v[4:5], v[32:33], v[2:3]
	;;#ASMEND
	s_add_i32 s3, s3, s2
	;;#ASMSTART
	v_med3_f32 v4, v4, v10, v11
v_med3_f32 v5, v5, v10, v11
v_cvt_pk_fp8_f32 v7, v4, v5
	;;#ASMEND
	s_mov_b32 s2, 0x5040100
	v_perm_b32 v4, v7, v6, s2
	s_mov_b32 s2, 0x1060504
	v_perm_b32 v4, v4, v7, s2
	;;#ASMSTART
	v_pk_mul_f32 v[6:7], v[26:27], v[2:3]
	;;#ASMEND
	v_mov_b32_e32 v5, v6
	;;#ASMSTART
	v_med3_f32 v5, v5, v10, v11
v_med3_f32 v7, v7, v10, v11
v_cvt_pk_fp8_f32 v8, v5, v7
	;;#ASMEND
	;;#ASMSTART
	v_pk_mul_f32 v[6:7], v[24:25], v[2:3]
	;;#ASMEND
	v_mov_b32_e32 v5, v7
	;;#ASMSTART
	v_med3_f32 v6, v6, v10, v11
v_med3_f32 v5, v5, v10, v11
v_cvt_pk_fp8_f32 v7, v6, v5
	;;#ASMEND
	s_mov_b32 s2, 0x1000504
	v_perm_b32 v5, v8, v7, s2
	;;#ASMSTART
	v_pk_mul_f32 v[6:7], v[30:31], v[2:3]
	;;#ASMEND
	;;#ASMSTART
	v_med3_f32 v6, v6, v10, v11
v_med3_f32 v7, v7, v10, v11
v_cvt_pk_fp8_f32 v8, v6, v7
	;;#ASMEND
	;;#ASMSTART
	v_pk_mul_f32 v[6:7], v[28:29], v[2:3]
	;;#ASMEND
	;;#ASMSTART
	v_med3_f32 v6, v6, v10, v11
v_med3_f32 v7, v7, v10, v11
v_cvt_pk_fp8_f32 v9, v6, v7
	;;#ASMEND
	v_perm_b32 v6, v8, v9, s2
	;;#ASMSTART
	v_pk_mul_f32 v[8:9], v[22:23], v[2:3]
	;;#ASMEND
	v_mov_b32_e32 v7, v8
	;;#ASMSTART
	v_med3_f32 v7, v7, v10, v11
v_med3_f32 v9, v9, v10, v11
v_cvt_pk_fp8_f32 v8, v7, v9
	;;#ASMEND
	;;#ASMSTART
	v_pk_mul_f32 v[2:3], v[20:21], v[2:3]
	;;#ASMEND
	;;#ASMSTART
	v_med3_f32 v2, v2, v10, v11
v_med3_f32 v3, v3, v10, v11
v_cvt_pk_fp8_f32 v7, v2, v3
	;;#ASMEND
	s_and_b32 s10, s3, -4
	s_mov_b32 s11, 0x20000
	v_perm_b32 v7, v8, v7, s2
	buffer_store_dwordx4 v[4:7], v1, s[8:11], 0 offen
	;;#ASMSTART
	s_nop 0
	;;#ASMEND
.LBB1029_22:
	s_or_b64 exec, exec, s[14:15]
	s_cmp_lt_i32 s20, 1
	s_cbranch_scc1 .LBB1029_12
.LBB1029_23:
	s_load_dword s2, s[4:5], 0x94
	s_waitcnt lgkmcnt(0)
	s_cmp_lg_u32 s2, 1
	s_cbranch_scc1 .LBB1029_12
; %bb.24:
	s_lshl_b32 s2, s20, 1
	s_add_i32 s2, s2, 2
	v_cmp_gt_u32_e32 vcc, s20, v1
	s_and_b32 s14, s2, -4
	v_mov_b32_e32 v18, 0
	v_lshlrev_b32_e32 v1, 5, v0
	v_mov_b32_e32 v14, 0
	v_mov_b32_e32 v15, 0
	;; [unrolled: 1-line block ×8, first 2 shown]
	s_waitcnt vmcnt(1)
	v_mov_b32_e32 v6, 0
	v_mov_b32_e32 v7, 0
	;; [unrolled: 1-line block ×4, first 2 shown]
	s_waitcnt vmcnt(0)
	v_mov_b32_e32 v2, 0
	v_mov_b32_e32 v3, 0
	;; [unrolled: 1-line block ×4, first 2 shown]
	s_barrier
	s_and_saveexec_b64 s[2:3], vcc
	s_cbranch_execz .LBB1029_26
; %bb.25:
	s_mul_hi_i32 s5, s22, s6
	s_mul_i32 s4, s22, s6
	s_and_b32 s13, s13, 0xffff
	s_lshl_b64 s[4:5], s[4:5], 1
	s_add_u32 s8, s30, s4
	s_mov_b32 s15, 0x20000
	s_addc_u32 s4, s31, s5
	s_and_b32 s9, s4, 0xffff
	s_mov_b32 s10, s14
	s_mov_b32 s11, s15
	buffer_load_dwordx4 v[14:17], v1, s[8:11], 0 offen
	buffer_load_dwordx4 v[10:13], v1, s[8:11], 16 offen
	;; [unrolled: 1-line block ×4, first 2 shown]
.LBB1029_26:
	s_or_b64 exec, exec, s[2:3]
	v_mov_b32_e32 v19, 0
	v_mov_b32_e32 v32, 0
	;; [unrolled: 1-line block ×15, first 2 shown]
	s_and_saveexec_b64 s[2:3], vcc
	s_cbranch_execz .LBB1029_28
; %bb.27:
	s_waitcnt vmcnt(3)
	v_cvt_f32_f16_sdwa v19, v14 dst_sel:DWORD dst_unused:UNUSED_PAD src0_sel:WORD_1
	v_cvt_f32_f16_e32 v18, v14
	v_cvt_f32_f16_sdwa v33, v15 dst_sel:DWORD dst_unused:UNUSED_PAD src0_sel:WORD_1
	v_cvt_f32_f16_e32 v32, v15
	;; [unrolled: 2-line block ×4, first 2 shown]
	s_waitcnt vmcnt(2)
	v_cvt_f32_f16_sdwa v27, v10 dst_sel:DWORD dst_unused:UNUSED_PAD src0_sel:WORD_1
	v_cvt_f32_f16_e32 v26, v10
	v_cvt_f32_f16_sdwa v25, v11 dst_sel:DWORD dst_unused:UNUSED_PAD src0_sel:WORD_1
	v_cvt_f32_f16_e32 v24, v11
	;; [unrolled: 2-line block ×4, first 2 shown]
.LBB1029_28:
	s_or_b64 exec, exec, s[2:3]
	s_waitcnt vmcnt(2)
	v_mul_f32_e32 v10, v19, v19
	v_fmac_f32_e32 v10, v18, v18
	v_fmac_f32_e32 v10, v32, v32
	;; [unrolled: 1-line block ×15, first 2 shown]
	s_nop 1
	v_mov_b32_dpp v11, v10 quad_perm:[1,0,3,2] row_mask:0xf bank_mask:0xf
	v_add_f32_e32 v10, v10, v11
	s_nop 1
	v_mov_b32_dpp v11, v10 quad_perm:[2,3,0,1] row_mask:0xf bank_mask:0xf
	v_add_f32_e32 v10, v10, v11
	s_nop 1
	v_mov_b32_dpp v11, v10 row_half_mirror row_mask:0xf bank_mask:0xf
	v_add_f32_e32 v10, v10, v11
	s_nop 1
	v_mov_b32_dpp v11, v10 row_mirror row_mask:0xf bank_mask:0xf
	v_add_f32_e32 v10, v10, v11
	s_nop 1
	v_mov_b32_dpp v11, v10 row_bcast:15 row_mask:0xf bank_mask:0xf
	v_add_f32_e32 v10, v10, v11
	s_nop 1
	v_mov_b32_dpp v11, v10 row_bcast:31 row_mask:0xf bank_mask:0xf
	s_and_saveexec_b64 s[2:3], s[0:1]
	s_cbranch_execz .LBB1029_30
; %bb.29:
	v_lshrrev_b32_e32 v0, 4, v0
	v_add_f32_e32 v10, v10, v11
	v_and_b32_e32 v0, 60, v0
	ds_write_b32 v0, v10
.LBB1029_30:
	s_or_b64 exec, exec, s[2:3]
	s_waitcnt lgkmcnt(0)
	s_barrier
	ds_read_b32 v0, v34
	s_waitcnt lgkmcnt(0)
	s_nop 0
	v_mov_b32_dpp v10, v0 quad_perm:[1,0,3,2] row_mask:0xf bank_mask:0xf
	v_add_f32_e32 v0, v0, v10
	s_nop 1
	v_mov_b32_dpp v10, v0 quad_perm:[2,3,0,1] row_mask:0xf bank_mask:0xf
	v_add_f32_e32 v0, v0, v10
	s_nop 1
	v_mov_b32_dpp v10, v0 row_half_mirror row_mask:0xf bank_mask:0xf
	s_and_saveexec_b64 s[0:1], vcc
	s_cbranch_execz .LBB1029_12
; %bb.31:
	v_cvt_f32_u32_e32 v11, s20
	v_add_f32_e32 v0, v0, v10
	s_mov_b32 s15, 0x20000
	v_div_scale_f32 v10, s[0:1], v11, v11, v0
	v_rcp_f32_e32 v12, v10
	v_div_scale_f32 v13, vcc, v0, v11, v0
	s_mov_b32 s0, 0x800000
	v_fma_f32 v14, -v10, v12, 1.0
	v_fmac_f32_e32 v12, v14, v12
	v_mul_f32_e32 v14, v13, v12
	v_fma_f32 v15, -v10, v14, v13
	v_fmac_f32_e32 v14, v15, v12
	v_fma_f32 v10, -v10, v14, v13
	v_div_fmas_f32 v10, v10, v12, v14
	v_div_fixup_f32 v0, v10, v11, v0
	v_add_f32_e32 v0, s17, v0
	v_mul_f32_e32 v10, 0x4b800000, v0
	v_cmp_gt_f32_e32 vcc, s0, v0
	v_cndmask_b32_e32 v0, v0, v10, vcc
	v_rsq_f32_e32 v0, v0
	s_mul_hi_i32 s1, s7, s6
	s_mul_i32 s0, s7, s6
	s_lshl_b64 s[0:1], s[0:1], 1
	v_mul_f32_e32 v10, 0x45800000, v0
	v_cndmask_b32_e32 v10, v0, v10, vcc
	v_mov_b32_e32 v11, v10
	;;#ASMSTART
	v_pk_mul_f32 v[12:13], v[18:19], v[10:11]
	;;#ASMEND
	;;#ASMSTART
	v_pk_mul_f32 v[14:15], v[32:33], v[10:11]
	;;#ASMEND
	;; [unrolled: 3-line block ×8, first 2 shown]
	s_waitcnt vmcnt(1)
	v_cvt_f32_f16_sdwa v21, v6 dst_sel:DWORD dst_unused:UNUSED_PAD src0_sel:WORD_1
	v_cvt_f32_f16_e32 v20, v6
	v_cvt_f32_f16_sdwa v29, v7 dst_sel:DWORD dst_unused:UNUSED_PAD src0_sel:WORD_1
	v_cvt_f32_f16_e32 v28, v7
	;; [unrolled: 2-line block ×4, first 2 shown]
	;;#ASMSTART
	v_pk_mul_f32 v[8:9], v[12:13], v[20:21]
	;;#ASMEND
	;;#ASMSTART
	v_pk_mul_f32 v[12:13], v[14:15], v[28:29]
	;;#ASMEND
	;; [unrolled: 3-line block ×4, first 2 shown]
	s_waitcnt vmcnt(0)
	v_cvt_f32_f16_sdwa v17, v2 dst_sel:DWORD dst_unused:UNUSED_PAD src0_sel:WORD_1
	v_cvt_f32_f16_e32 v16, v2
	v_cvt_f32_f16_sdwa v19, v3 dst_sel:DWORD dst_unused:UNUSED_PAD src0_sel:WORD_1
	v_cvt_f32_f16_e32 v18, v3
	;; [unrolled: 2-line block ×4, first 2 shown]
	;;#ASMSTART
	v_pk_mul_f32 v[16:17], v[26:27], v[16:17]
	;;#ASMEND
	;;#ASMSTART
	v_pk_mul_f32 v[18:19], v[24:25], v[18:19]
	;;#ASMEND
	;; [unrolled: 3-line block ×3, first 2 shown]
	v_cvt_f16_f32_e32 v0, v8
	v_cvt_f16_f32_e32 v2, v9
	;; [unrolled: 1-line block ×8, first 2 shown]
	s_add_u32 s12, s28, s0
	s_addc_u32 s0, s29, s1
	s_and_b32 s13, s0, 0xffff
	v_pack_b32_f16 v2, v0, v2
	v_pack_b32_f16 v3, v3, v4
	;; [unrolled: 1-line block ×4, first 2 shown]
	;;#ASMSTART
	v_pk_mul_f32 v[10:11], v[10:11], v[20:21]
	;;#ASMEND
	buffer_store_dwordx4 v[2:5], v1, s[12:15], 0 offen
	v_cvt_f16_f32_e32 v0, v16
	v_cvt_f16_f32_e32 v2, v17
	;; [unrolled: 1-line block ×8, first 2 shown]
	v_pack_b32_f16 v2, v0, v2
	v_pack_b32_f16 v3, v3, v4
	;; [unrolled: 1-line block ×4, first 2 shown]
	;;#ASMSTART
	s_nop 0
	;;#ASMEND
	buffer_store_dwordx4 v[2:5], v1, s[12:15], 16 offen
	;;#ASMSTART
	s_nop 0
	;;#ASMEND
	s_endpgm
	.section	.rodata,"a",@progbits
	.p2align	6, 0x0
	.amdhsa_kernel _ZN5aiter35fused_qk_rmsnorm_group_quant_kernelIDF16_DB8_Li512ELi16ELi2ELb0ELb0ELb0ELb0ELb0ELb0EEEvPT0_PvPT_S6_S6_PKS5_S8_S8_S8_S8_ffiiiiiiiiiiiii
		.amdhsa_group_segment_fixed_size 64
		.amdhsa_private_segment_fixed_size 0
		.amdhsa_kernarg_size 400
		.amdhsa_user_sgpr_count 6
		.amdhsa_user_sgpr_private_segment_buffer 1
		.amdhsa_user_sgpr_dispatch_ptr 0
		.amdhsa_user_sgpr_queue_ptr 0
		.amdhsa_user_sgpr_kernarg_segment_ptr 1
		.amdhsa_user_sgpr_dispatch_id 0
		.amdhsa_user_sgpr_flat_scratch_init 0
		.amdhsa_user_sgpr_kernarg_preload_length 0
		.amdhsa_user_sgpr_kernarg_preload_offset 0
		.amdhsa_user_sgpr_private_segment_size 0
		.amdhsa_uses_dynamic_stack 0
		.amdhsa_system_sgpr_private_segment_wavefront_offset 0
		.amdhsa_system_sgpr_workgroup_id_x 1
		.amdhsa_system_sgpr_workgroup_id_y 1
		.amdhsa_system_sgpr_workgroup_id_z 0
		.amdhsa_system_sgpr_workgroup_info 0
		.amdhsa_system_vgpr_workitem_id 0
		.amdhsa_next_free_vgpr 38
		.amdhsa_next_free_sgpr 32
		.amdhsa_accum_offset 40
		.amdhsa_reserve_vcc 1
		.amdhsa_reserve_flat_scratch 0
		.amdhsa_float_round_mode_32 0
		.amdhsa_float_round_mode_16_64 0
		.amdhsa_float_denorm_mode_32 3
		.amdhsa_float_denorm_mode_16_64 3
		.amdhsa_dx10_clamp 1
		.amdhsa_ieee_mode 1
		.amdhsa_fp16_overflow 0
		.amdhsa_tg_split 0
		.amdhsa_exception_fp_ieee_invalid_op 0
		.amdhsa_exception_fp_denorm_src 0
		.amdhsa_exception_fp_ieee_div_zero 0
		.amdhsa_exception_fp_ieee_overflow 0
		.amdhsa_exception_fp_ieee_underflow 0
		.amdhsa_exception_fp_ieee_inexact 0
		.amdhsa_exception_int_div_zero 0
	.end_amdhsa_kernel
	.section	.text._ZN5aiter35fused_qk_rmsnorm_group_quant_kernelIDF16_DB8_Li512ELi16ELi2ELb0ELb0ELb0ELb0ELb0ELb0EEEvPT0_PvPT_S6_S6_PKS5_S8_S8_S8_S8_ffiiiiiiiiiiiii,"axG",@progbits,_ZN5aiter35fused_qk_rmsnorm_group_quant_kernelIDF16_DB8_Li512ELi16ELi2ELb0ELb0ELb0ELb0ELb0ELb0EEEvPT0_PvPT_S6_S6_PKS5_S8_S8_S8_S8_ffiiiiiiiiiiiii,comdat
.Lfunc_end1029:
	.size	_ZN5aiter35fused_qk_rmsnorm_group_quant_kernelIDF16_DB8_Li512ELi16ELi2ELb0ELb0ELb0ELb0ELb0ELb0EEEvPT0_PvPT_S6_S6_PKS5_S8_S8_S8_S8_ffiiiiiiiiiiiii, .Lfunc_end1029-_ZN5aiter35fused_qk_rmsnorm_group_quant_kernelIDF16_DB8_Li512ELi16ELi2ELb0ELb0ELb0ELb0ELb0ELb0EEEvPT0_PvPT_S6_S6_PKS5_S8_S8_S8_S8_ffiiiiiiiiiiiii
                                        ; -- End function
	.section	.AMDGPU.csdata,"",@progbits
; Kernel info:
; codeLenInByte = 3444
; NumSgprs: 36
; NumVgprs: 38
; NumAgprs: 0
; TotalNumVgprs: 38
; ScratchSize: 0
; MemoryBound: 0
; FloatMode: 240
; IeeeMode: 1
; LDSByteSize: 64 bytes/workgroup (compile time only)
; SGPRBlocks: 4
; VGPRBlocks: 4
; NumSGPRsForWavesPerEU: 36
; NumVGPRsForWavesPerEU: 38
; AccumOffset: 40
; Occupancy: 8
; WaveLimiterHint : 0
; COMPUTE_PGM_RSRC2:SCRATCH_EN: 0
; COMPUTE_PGM_RSRC2:USER_SGPR: 6
; COMPUTE_PGM_RSRC2:TRAP_HANDLER: 0
; COMPUTE_PGM_RSRC2:TGID_X_EN: 1
; COMPUTE_PGM_RSRC2:TGID_Y_EN: 1
; COMPUTE_PGM_RSRC2:TGID_Z_EN: 0
; COMPUTE_PGM_RSRC2:TIDIG_COMP_CNT: 0
; COMPUTE_PGM_RSRC3_GFX90A:ACCUM_OFFSET: 9
; COMPUTE_PGM_RSRC3_GFX90A:TG_SPLIT: 0
	.section	.text._ZN5aiter35fused_qk_rmsnorm_group_quant_kernelItDB8_Li512ELi16ELi2ELb0ELb0ELb0ELb0ELb0ELb0EEEvPT0_PvPT_S6_S6_PKS5_S8_S8_S8_S8_ffiiiiiiiiiiiii,"axG",@progbits,_ZN5aiter35fused_qk_rmsnorm_group_quant_kernelItDB8_Li512ELi16ELi2ELb0ELb0ELb0ELb0ELb0ELb0EEEvPT0_PvPT_S6_S6_PKS5_S8_S8_S8_S8_ffiiiiiiiiiiiii,comdat
	.protected	_ZN5aiter35fused_qk_rmsnorm_group_quant_kernelItDB8_Li512ELi16ELi2ELb0ELb0ELb0ELb0ELb0ELb0EEEvPT0_PvPT_S6_S6_PKS5_S8_S8_S8_S8_ffiiiiiiiiiiiii ; -- Begin function _ZN5aiter35fused_qk_rmsnorm_group_quant_kernelItDB8_Li512ELi16ELi2ELb0ELb0ELb0ELb0ELb0ELb0EEEvPT0_PvPT_S6_S6_PKS5_S8_S8_S8_S8_ffiiiiiiiiiiiii
	.globl	_ZN5aiter35fused_qk_rmsnorm_group_quant_kernelItDB8_Li512ELi16ELi2ELb0ELb0ELb0ELb0ELb0ELb0EEEvPT0_PvPT_S6_S6_PKS5_S8_S8_S8_S8_ffiiiiiiiiiiiii
	.p2align	8
	.type	_ZN5aiter35fused_qk_rmsnorm_group_quant_kernelItDB8_Li512ELi16ELi2ELb0ELb0ELb0ELb0ELb0ELb0EEEvPT0_PvPT_S6_S6_PKS5_S8_S8_S8_S8_ffiiiiiiiiiiiii,@function
_ZN5aiter35fused_qk_rmsnorm_group_quant_kernelItDB8_Li512ELi16ELi2ELb0ELb0ELb0ELb0ELb0ELb0EEEvPT0_PvPT_S6_S6_PKS5_S8_S8_S8_S8_ffiiiiiiiiiiiii: ; @_ZN5aiter35fused_qk_rmsnorm_group_quant_kernelItDB8_Li512ELi16ELi2ELb0ELb0ELb0ELb0ELb0ELb0EEEvPT0_PvPT_S6_S6_PKS5_S8_S8_S8_S8_ffiiiiiiiiiiiii
; %bb.0:
	s_load_dwordx4 s[16:19], s[4:5], 0x50
	s_waitcnt lgkmcnt(0)
	s_cmp_ge_i32 s6, s18
	s_cbranch_scc1 .LBB1030_12
; %bb.1:
	s_load_dwordx2 s[12:13], s[4:5], 0x48
	s_load_dwordx2 s[30:31], s[4:5], 0x30
	s_load_dwordx4 s[20:23], s[4:5], 0x60
	s_cmp_lg_u32 s7, 0
	s_cselect_b64 s[14:15], -1, 0
	s_cmp_eq_u32 s7, 0
	s_cselect_b64 vcc, -1, 0
	s_and_b64 s[0:1], vcc, exec
	s_waitcnt lgkmcnt(0)
	s_cselect_b32 s7, s19, s20
	s_add_i32 s0, s7, 1
	s_lshr_b32 s1, s0, 31
	s_add_i32 s0, s0, s1
	s_lshl_b32 s0, s0, 1
	v_lshlrev_b32_e32 v1, 4, v0
	s_and_b32 s10, s0, -4
	v_cmp_gt_i32_e64 s[2:3], s7, v1
	v_mov_b32_e32 v18, 0
	v_mov_b32_e32 v6, 0
	;; [unrolled: 1-line block ×17, first 2 shown]
	s_and_saveexec_b64 s[0:1], s[2:3]
	s_cbranch_execz .LBB1030_3
; %bb.2:
	s_load_dwordx2 s[8:9], s[4:5], 0x28
	s_load_dwordx2 s[26:27], s[4:5], 0x40
	s_and_b64 s[24:25], vcc, exec
	s_cselect_b32 s11, s21, s22
	v_lshlrev_b32_e32 v19, 5, v0
	s_waitcnt lgkmcnt(0)
	s_cselect_b32 s18, s9, s31
	s_cselect_b32 s21, s8, s30
	s_mul_hi_i32 s9, s11, s6
	s_mul_i32 s8, s11, s6
	s_lshl_b64 s[8:9], s[8:9], 1
	s_add_u32 s24, s21, s8
	s_addc_u32 s18, s18, s9
	s_and_b64 s[8:9], vcc, exec
	s_mov_b32 s11, 0x20000
	s_cselect_b32 s8, s26, s12
	s_cselect_b32 s9, s27, s13
	s_and_b32 s25, s18, 0xffff
	s_mov_b32 s26, s10
	s_mov_b32 s27, s11
	s_and_b32 s9, s9, 0xffff
	buffer_load_dwordx4 v[14:17], v19, s[24:27], 0 offen
	buffer_load_dwordx4 v[10:13], v19, s[24:27], 16 offen
	;; [unrolled: 1-line block ×4, first 2 shown]
.LBB1030_3:
	s_or_b64 exec, exec, s[0:1]
	v_mov_b32_e32 v19, 0
	v_mov_b32_e32 v32, 0
	;; [unrolled: 1-line block ×15, first 2 shown]
	s_and_saveexec_b64 s[0:1], s[2:3]
	s_cbranch_execz .LBB1030_5
; %bb.4:
	s_waitcnt vmcnt(3)
	v_cvt_f32_u32_sdwa v18, v14 dst_sel:DWORD dst_unused:UNUSED_PAD src0_sel:WORD_0
	v_cvt_f32_u32_sdwa v19, v14 dst_sel:DWORD dst_unused:UNUSED_PAD src0_sel:WORD_1
	v_cvt_f32_u32_sdwa v32, v15 dst_sel:DWORD dst_unused:UNUSED_PAD src0_sel:WORD_0
	v_cvt_f32_u32_sdwa v33, v15 dst_sel:DWORD dst_unused:UNUSED_PAD src0_sel:WORD_1
	;; [unrolled: 2-line block ×4, first 2 shown]
	s_waitcnt vmcnt(2)
	v_cvt_f32_u32_sdwa v30, v10 dst_sel:DWORD dst_unused:UNUSED_PAD src0_sel:WORD_0
	v_cvt_f32_u32_sdwa v31, v10 dst_sel:DWORD dst_unused:UNUSED_PAD src0_sel:WORD_1
	v_cvt_f32_u32_sdwa v28, v11 dst_sel:DWORD dst_unused:UNUSED_PAD src0_sel:WORD_0
	v_cvt_f32_u32_sdwa v29, v11 dst_sel:DWORD dst_unused:UNUSED_PAD src0_sel:WORD_1
	;; [unrolled: 2-line block ×4, first 2 shown]
.LBB1030_5:
	s_or_b64 exec, exec, s[0:1]
	s_waitcnt vmcnt(2)
	v_mul_f32_e32 v10, v19, v19
	v_fmac_f32_e32 v10, v18, v18
	v_fmac_f32_e32 v10, v32, v32
	;; [unrolled: 1-line block ×15, first 2 shown]
	v_and_b32_e32 v12, 63, v0
	v_cmp_eq_u32_e64 s[0:1], 63, v12
	v_mov_b32_dpp v11, v10 quad_perm:[1,0,3,2] row_mask:0xf bank_mask:0xf
	v_add_f32_e32 v10, v10, v11
	s_nop 1
	v_mov_b32_dpp v11, v10 quad_perm:[2,3,0,1] row_mask:0xf bank_mask:0xf
	v_add_f32_e32 v10, v10, v11
	s_nop 1
	v_mov_b32_dpp v11, v10 row_half_mirror row_mask:0xf bank_mask:0xf
	v_add_f32_e32 v10, v10, v11
	s_nop 1
	v_mov_b32_dpp v11, v10 row_mirror row_mask:0xf bank_mask:0xf
	v_add_f32_e32 v10, v10, v11
	s_nop 1
	v_mov_b32_dpp v11, v10 row_bcast:15 row_mask:0xf bank_mask:0xf
	v_add_f32_e32 v10, v10, v11
	s_nop 1
	v_mov_b32_dpp v11, v10 row_bcast:31 row_mask:0xf bank_mask:0xf
	s_and_saveexec_b64 s[8:9], s[0:1]
	s_cbranch_execz .LBB1030_7
; %bb.6:
	v_add_f32_e32 v10, v10, v11
	v_lshrrev_b32_e32 v11, 4, v0
	v_and_b32_e32 v11, 60, v11
	ds_write_b32 v11, v10 offset:32
.LBB1030_7:
	s_or_b64 exec, exec, s[8:9]
	v_and_b32_e32 v10, 7, v0
	v_lshlrev_b32_e32 v34, 2, v10
	s_waitcnt lgkmcnt(0)
	s_barrier
	ds_read_b32 v10, v34 offset:32
	s_load_dwordx2 s[28:29], s[4:5], 0x18
	s_waitcnt lgkmcnt(0)
	v_mov_b32_dpp v11, v10 quad_perm:[1,0,3,2] row_mask:0xf bank_mask:0xf
	v_add_f32_e32 v10, v10, v11
	s_nop 1
	v_mov_b32_dpp v11, v10 quad_perm:[2,3,0,1] row_mask:0xf bank_mask:0xf
	v_add_f32_e32 v10, v10, v11
	s_nop 1
	v_mov_b32_dpp v11, v10 row_half_mirror row_mask:0xf bank_mask:0xf
	s_and_saveexec_b64 s[8:9], s[2:3]
	s_cbranch_execz .LBB1030_9
; %bb.8:
	v_cvt_f32_u32_e32 v12, s7
	v_add_f32_e32 v10, v10, v11
	v_mov_b32_e32 v14, s17
	v_mov_b32_e32 v15, s16
	v_div_scale_f32 v11, s[24:25], v12, v12, v10
	v_rcp_f32_e32 v13, v11
	v_cndmask_b32_e32 v14, v14, v15, vcc
	s_mov_b32 s7, 0x800000
	s_waitcnt vmcnt(1)
	v_cvt_f32_u32_sdwa v37, v9 dst_sel:DWORD dst_unused:UNUSED_PAD src0_sel:WORD_1
	v_fma_f32 v15, -v11, v13, 1.0
	v_fmac_f32_e32 v13, v15, v13
	v_div_scale_f32 v15, vcc, v10, v12, v10
	v_mul_f32_e32 v16, v15, v13
	v_fma_f32 v17, -v11, v16, v15
	v_fmac_f32_e32 v16, v17, v13
	v_fma_f32 v11, -v11, v16, v15
	v_div_fmas_f32 v11, v11, v13, v16
	v_div_fixup_f32 v10, v11, v12, v10
	v_add_f32_e32 v10, v14, v10
	v_mul_f32_e32 v11, 0x4b800000, v10
	v_cmp_gt_f32_e32 vcc, s7, v10
	v_cndmask_b32_e32 v10, v10, v11, vcc
	v_rsq_f32_e32 v10, v10
	v_cvt_f32_u32_sdwa v36, v9 dst_sel:DWORD dst_unused:UNUSED_PAD src0_sel:WORD_0
	s_waitcnt vmcnt(0)
	v_cvt_f32_u32_sdwa v9, v3 dst_sel:DWORD dst_unused:UNUSED_PAD src0_sel:WORD_1
	v_mul_f32_e32 v11, 0x45800000, v10
	v_cndmask_b32_e32 v10, v10, v11, vcc
	v_mov_b32_e32 v11, v10
	;;#ASMSTART
	v_pk_mul_f32 v[12:13], v[18:19], v[10:11]
	;;#ASMEND
	;;#ASMSTART
	v_pk_mul_f32 v[14:15], v[32:33], v[10:11]
	;;#ASMEND
	;; [unrolled: 3-line block ×8, first 2 shown]
	v_cvt_f32_u32_sdwa v19, v6 dst_sel:DWORD dst_unused:UNUSED_PAD src0_sel:WORD_1
	v_cvt_f32_u32_sdwa v18, v6 dst_sel:DWORD dst_unused:UNUSED_PAD src0_sel:WORD_0
	v_cvt_f32_u32_sdwa v21, v7 dst_sel:DWORD dst_unused:UNUSED_PAD src0_sel:WORD_1
	v_cvt_f32_u32_sdwa v20, v7 dst_sel:DWORD dst_unused:UNUSED_PAD src0_sel:WORD_0
	;; [unrolled: 2-line block ×3, first 2 shown]
	;;#ASMSTART
	v_pk_mul_f32 v[18:19], v[12:13], v[18:19]
	;;#ASMEND
	;;#ASMSTART
	v_pk_mul_f32 v[32:33], v[14:15], v[20:21]
	;;#ASMEND
	;; [unrolled: 3-line block ×4, first 2 shown]
	v_cvt_f32_u32_sdwa v7, v2 dst_sel:DWORD dst_unused:UNUSED_PAD src0_sel:WORD_1
	v_cvt_f32_u32_sdwa v6, v2 dst_sel:DWORD dst_unused:UNUSED_PAD src0_sel:WORD_0
	v_cvt_f32_u32_sdwa v8, v3 dst_sel:DWORD dst_unused:UNUSED_PAD src0_sel:WORD_0
	v_cvt_f32_u32_sdwa v3, v4 dst_sel:DWORD dst_unused:UNUSED_PAD src0_sel:WORD_1
	v_cvt_f32_u32_sdwa v2, v4 dst_sel:DWORD dst_unused:UNUSED_PAD src0_sel:WORD_0
	v_cvt_f32_u32_sdwa v13, v5 dst_sel:DWORD dst_unused:UNUSED_PAD src0_sel:WORD_1
	v_cvt_f32_u32_sdwa v12, v5 dst_sel:DWORD dst_unused:UNUSED_PAD src0_sel:WORD_0
	;;#ASMSTART
	v_pk_mul_f32 v[30:31], v[30:31], v[6:7]
	;;#ASMEND
	;;#ASMSTART
	v_pk_mul_f32 v[28:29], v[28:29], v[8:9]
	;;#ASMEND
	;; [unrolled: 3-line block ×4, first 2 shown]
.LBB1030_9:
	s_or_b64 exec, exec, s[8:9]
	s_load_dword s7, s[4:5], 0x80
	s_mov_b64 s[8:9], -1
	s_and_b64 vcc, exec, s[14:15]
	s_cbranch_vccnz .LBB1030_13
; %bb.10:
	s_andn2_b64 vcc, exec, s[8:9]
	s_cbranch_vccz .LBB1030_16
.LBB1030_11:
	s_cmp_lt_i32 s20, 1
	s_cbranch_scc0 .LBB1030_23
.LBB1030_12:
	s_endpgm
.LBB1030_13:
	s_and_saveexec_b64 s[14:15], s[2:3]
	s_cbranch_execz .LBB1030_15
; %bb.14:
	s_waitcnt lgkmcnt(0)
	s_mul_hi_i32 s9, s7, s6
	s_mul_i32 s8, s7, s6
	s_lshl_b64 s[8:9], s[8:9], 1
	s_add_u32 s8, s28, s8
	s_addc_u32 s9, s29, s9
	s_mov_b32 s16, 0x7060302
	s_and_b32 s9, s9, 0xffff
	s_mov_b32 s11, 0x20000
	s_waitcnt vmcnt(0)
	v_perm_b32 v5, v25, v24, s16
	v_perm_b32 v4, v27, v26, s16
	;; [unrolled: 1-line block ×4, first 2 shown]
	v_lshlrev_b32_e32 v6, 5, v0
	buffer_store_dwordx4 v[2:5], v6, s[8:11], 0 offen
	;;#ASMSTART
	s_nop 0
	;;#ASMEND
	s_nop 0
	v_perm_b32 v5, v21, v20, s16
	v_perm_b32 v4, v23, v22, s16
	;; [unrolled: 1-line block ×4, first 2 shown]
	buffer_store_dwordx4 v[2:5], v6, s[8:11], 16 offen
	;;#ASMSTART
	s_nop 0
	;;#ASMEND
.LBB1030_15:
	s_or_b64 exec, exec, s[14:15]
	s_cbranch_execnz .LBB1030_11
.LBB1030_16:
	s_waitcnt vmcnt(0)
	v_mov_b32_e32 v2, 0
	s_and_saveexec_b64 s[8:9], s[2:3]
	s_cbranch_execz .LBB1030_18
; %bb.17:
	v_and_b32_e32 v2, 0x7fffffff, v18
	v_and_b32_e32 v3, 0x7fffffff, v19
	v_mov_b32_e32 v4, 0x2edbe6ff
	;;#ASMSTART
	v_max3_f32 v2, v4, v2, v3

	;;#ASMEND
	v_and_b32_e32 v3, 0x7fffffff, v32
	v_and_b32_e32 v4, 0x7fffffff, v33
	;;#ASMSTART
	v_max3_f32 v2, v2, v3, v4

	;;#ASMEND
	v_and_b32_e32 v3, 0x7fffffff, v26
	v_and_b32_e32 v4, 0x7fffffff, v27
	;;#ASMSTART
	v_max3_f32 v2, v2, v3, v4

	;;#ASMEND
	v_and_b32_e32 v3, 0x7fffffff, v24
	v_and_b32_e32 v4, 0x7fffffff, v25
	;;#ASMSTART
	v_max3_f32 v2, v2, v3, v4

	;;#ASMEND
	v_and_b32_e32 v3, 0x7fffffff, v30
	v_and_b32_e32 v4, 0x7fffffff, v31
	;;#ASMSTART
	v_max3_f32 v2, v2, v3, v4

	;;#ASMEND
	v_and_b32_e32 v3, 0x7fffffff, v28
	v_and_b32_e32 v4, 0x7fffffff, v29
	;;#ASMSTART
	v_max3_f32 v2, v2, v3, v4

	;;#ASMEND
	v_and_b32_e32 v3, 0x7fffffff, v22
	v_and_b32_e32 v4, 0x7fffffff, v23
	;;#ASMSTART
	v_max3_f32 v2, v2, v3, v4

	;;#ASMEND
	v_and_b32_e32 v3, 0x7fffffff, v20
	v_and_b32_e32 v4, 0x7fffffff, v21
	;;#ASMSTART
	v_max3_f32 v2, v2, v3, v4

	;;#ASMEND
.LBB1030_18:
	s_or_b64 exec, exec, s[8:9]
	s_load_dwordx4 s[24:27], s[4:5], 0x70
	;;#ASMSTART
	v_max_f32 v3, v2, v2 quad_perm:[1,0,3,2] row_mask:0xf bank_mask:0xf bound_ctrl:1
	;;#ASMEND
	v_mul_f32_e32 v2, 0x3b124925, v3
	v_and_b32_e32 v3, 1, v0
	v_cmp_eq_u32_e32 vcc, 0, v3
	v_cmp_gt_i32_e64 s[8:9], s19, v1
	s_and_b64 s[10:11], vcc, s[8:9]
	s_and_saveexec_b64 s[8:9], s[10:11]
	s_cbranch_execz .LBB1030_20
; %bb.19:
	s_load_dwordx2 s[10:11], s[4:5], 0x8
	s_waitcnt lgkmcnt(0)
	s_mul_hi_i32 s15, s25, s6
	s_mul_i32 s14, s25, s6
	v_lshrrev_b32_e32 v3, 1, v0
	s_lshl_b64 s[14:15], s[14:15], 2
	v_mad_i64_i32 v[4:5], s[26:27], s26, v3, 0
	s_add_u32 s10, s10, s14
	s_addc_u32 s11, s11, s15
	v_lshlrev_b64 v[4:5], 2, v[4:5]
	v_mov_b32_e32 v3, s11
	v_add_co_u32_e32 v4, vcc, s10, v4
	v_addc_co_u32_e32 v5, vcc, v3, v5, vcc
	global_store_dword v[4:5], v2, off
.LBB1030_20:
	s_or_b64 exec, exec, s[8:9]
	;;#ASMSTART
	v_rcp_f32 v2, v2
	;;#ASMEND
	s_and_saveexec_b64 s[14:15], s[2:3]
	s_cbranch_execz .LBB1030_22
; %bb.21:
	s_load_dwordx2 s[2:3], s[4:5], 0x0
	s_waitcnt lgkmcnt(0)
	s_mul_i32 s8, s24, s6
	s_mul_hi_i32 s9, s24, s6
	v_mov_b32_e32 v3, v2
	;;#ASMSTART
	v_pk_mul_f32 v[4:5], v[18:19], v[2:3]
	;;#ASMEND
	s_add_u32 s8, s2, s8
	s_addc_u32 s2, s3, s9
	s_add_i32 s3, s19, 3
	s_ashr_i32 s10, s3, 31
	v_mov_b32_e32 v10, 0xc3e00000
	v_mov_b32_e32 v11, 0x43e00000
	;;#ASMSTART
	v_med3_f32 v4, v4, v10, v11
v_med3_f32 v5, v5, v10, v11
v_cvt_pk_fp8_f32 v6, v4, v5
	;;#ASMEND
	s_and_b32 s9, s2, 0xffff
	s_lshr_b32 s2, s10, 30
	;;#ASMSTART
	v_pk_mul_f32 v[4:5], v[32:33], v[2:3]
	;;#ASMEND
	s_add_i32 s3, s3, s2
	;;#ASMSTART
	v_med3_f32 v4, v4, v10, v11
v_med3_f32 v5, v5, v10, v11
v_cvt_pk_fp8_f32 v7, v4, v5
	;;#ASMEND
	s_mov_b32 s2, 0x5040100
	v_perm_b32 v4, v7, v6, s2
	s_mov_b32 s2, 0x1060504
	v_perm_b32 v4, v4, v7, s2
	;;#ASMSTART
	v_pk_mul_f32 v[6:7], v[26:27], v[2:3]
	;;#ASMEND
	v_mov_b32_e32 v5, v7
	;;#ASMSTART
	v_med3_f32 v6, v6, v10, v11
v_med3_f32 v5, v5, v10, v11
v_cvt_pk_fp8_f32 v8, v6, v5
	;;#ASMEND
	;;#ASMSTART
	v_pk_mul_f32 v[6:7], v[24:25], v[2:3]
	;;#ASMEND
	v_mov_b32_e32 v5, v7
	;;#ASMSTART
	v_med3_f32 v6, v6, v10, v11
v_med3_f32 v5, v5, v10, v11
v_cvt_pk_fp8_f32 v7, v6, v5
	;;#ASMEND
	s_mov_b32 s2, 0x1000504
	v_perm_b32 v5, v8, v7, s2
	;;#ASMSTART
	v_pk_mul_f32 v[6:7], v[30:31], v[2:3]
	;;#ASMEND
	;;#ASMSTART
	v_med3_f32 v6, v6, v10, v11
v_med3_f32 v7, v7, v10, v11
v_cvt_pk_fp8_f32 v8, v6, v7
	;;#ASMEND
	;;#ASMSTART
	v_pk_mul_f32 v[6:7], v[28:29], v[2:3]
	;;#ASMEND
	;;#ASMSTART
	v_med3_f32 v6, v6, v10, v11
v_med3_f32 v7, v7, v10, v11
v_cvt_pk_fp8_f32 v9, v6, v7
	;;#ASMEND
	v_perm_b32 v6, v8, v9, s2
	;;#ASMSTART
	v_pk_mul_f32 v[8:9], v[22:23], v[2:3]
	;;#ASMEND
	v_mov_b32_e32 v7, v9
	;;#ASMSTART
	v_med3_f32 v8, v8, v10, v11
v_med3_f32 v7, v7, v10, v11
v_cvt_pk_fp8_f32 v9, v8, v7
	;;#ASMEND
	;;#ASMSTART
	v_pk_mul_f32 v[2:3], v[20:21], v[2:3]
	;;#ASMEND
	;;#ASMSTART
	v_med3_f32 v2, v2, v10, v11
v_med3_f32 v3, v3, v10, v11
v_cvt_pk_fp8_f32 v7, v2, v3
	;;#ASMEND
	s_and_b32 s10, s3, -4
	s_mov_b32 s11, 0x20000
	v_perm_b32 v7, v9, v7, s2
	buffer_store_dwordx4 v[4:7], v1, s[8:11], 0 offen
	;;#ASMSTART
	s_nop 0
	;;#ASMEND
.LBB1030_22:
	s_or_b64 exec, exec, s[14:15]
	s_cmp_lt_i32 s20, 1
	s_cbranch_scc1 .LBB1030_12
.LBB1030_23:
	s_load_dword s2, s[4:5], 0x94
	s_waitcnt lgkmcnt(0)
	s_cmp_lg_u32 s2, 1
	s_cbranch_scc1 .LBB1030_12
; %bb.24:
	s_lshl_b32 s2, s20, 1
	s_add_i32 s2, s2, 2
	v_cmp_gt_u32_e32 vcc, s20, v1
	s_and_b32 s14, s2, -4
	v_mov_b32_e32 v18, 0
	v_lshlrev_b32_e32 v1, 5, v0
	v_mov_b32_e32 v14, 0
	v_mov_b32_e32 v15, 0
	;; [unrolled: 1-line block ×8, first 2 shown]
	s_waitcnt vmcnt(1)
	v_mov_b32_e32 v6, 0
	v_mov_b32_e32 v7, 0
	;; [unrolled: 1-line block ×4, first 2 shown]
	s_waitcnt vmcnt(0)
	v_mov_b32_e32 v2, 0
	v_mov_b32_e32 v3, 0
	;; [unrolled: 1-line block ×4, first 2 shown]
	s_barrier
	s_and_saveexec_b64 s[2:3], vcc
	s_cbranch_execz .LBB1030_26
; %bb.25:
	s_mul_hi_i32 s5, s22, s6
	s_mul_i32 s4, s22, s6
	s_and_b32 s13, s13, 0xffff
	s_lshl_b64 s[4:5], s[4:5], 1
	s_add_u32 s8, s30, s4
	s_mov_b32 s15, 0x20000
	s_addc_u32 s4, s31, s5
	s_and_b32 s9, s4, 0xffff
	s_mov_b32 s10, s14
	s_mov_b32 s11, s15
	buffer_load_dwordx4 v[14:17], v1, s[8:11], 0 offen
	buffer_load_dwordx4 v[10:13], v1, s[8:11], 16 offen
	;; [unrolled: 1-line block ×4, first 2 shown]
.LBB1030_26:
	s_or_b64 exec, exec, s[2:3]
	v_mov_b32_e32 v19, 0
	v_mov_b32_e32 v32, 0
	;; [unrolled: 1-line block ×15, first 2 shown]
	s_and_saveexec_b64 s[2:3], vcc
	s_cbranch_execz .LBB1030_28
; %bb.27:
	s_waitcnt vmcnt(3)
	v_cvt_f32_u32_sdwa v18, v14 dst_sel:DWORD dst_unused:UNUSED_PAD src0_sel:WORD_0
	v_cvt_f32_u32_sdwa v19, v14 dst_sel:DWORD dst_unused:UNUSED_PAD src0_sel:WORD_1
	v_cvt_f32_u32_sdwa v32, v15 dst_sel:DWORD dst_unused:UNUSED_PAD src0_sel:WORD_0
	v_cvt_f32_u32_sdwa v33, v15 dst_sel:DWORD dst_unused:UNUSED_PAD src0_sel:WORD_1
	v_cvt_f32_u32_sdwa v30, v16 dst_sel:DWORD dst_unused:UNUSED_PAD src0_sel:WORD_0
	v_cvt_f32_u32_sdwa v31, v16 dst_sel:DWORD dst_unused:UNUSED_PAD src0_sel:WORD_1
	v_cvt_f32_u32_sdwa v28, v17 dst_sel:DWORD dst_unused:UNUSED_PAD src0_sel:WORD_0
	v_cvt_f32_u32_sdwa v29, v17 dst_sel:DWORD dst_unused:UNUSED_PAD src0_sel:WORD_1
	s_waitcnt vmcnt(2)
	v_cvt_f32_u32_sdwa v26, v10 dst_sel:DWORD dst_unused:UNUSED_PAD src0_sel:WORD_0
	v_cvt_f32_u32_sdwa v27, v10 dst_sel:DWORD dst_unused:UNUSED_PAD src0_sel:WORD_1
	v_cvt_f32_u32_sdwa v24, v11 dst_sel:DWORD dst_unused:UNUSED_PAD src0_sel:WORD_0
	v_cvt_f32_u32_sdwa v25, v11 dst_sel:DWORD dst_unused:UNUSED_PAD src0_sel:WORD_1
	;; [unrolled: 2-line block ×4, first 2 shown]
.LBB1030_28:
	s_or_b64 exec, exec, s[2:3]
	s_waitcnt vmcnt(2)
	v_mul_f32_e32 v10, v19, v19
	v_fmac_f32_e32 v10, v18, v18
	v_fmac_f32_e32 v10, v32, v32
	;; [unrolled: 1-line block ×15, first 2 shown]
	s_nop 1
	v_mov_b32_dpp v11, v10 quad_perm:[1,0,3,2] row_mask:0xf bank_mask:0xf
	v_add_f32_e32 v10, v10, v11
	s_nop 1
	v_mov_b32_dpp v11, v10 quad_perm:[2,3,0,1] row_mask:0xf bank_mask:0xf
	v_add_f32_e32 v10, v10, v11
	s_nop 1
	v_mov_b32_dpp v11, v10 row_half_mirror row_mask:0xf bank_mask:0xf
	v_add_f32_e32 v10, v10, v11
	s_nop 1
	v_mov_b32_dpp v11, v10 row_mirror row_mask:0xf bank_mask:0xf
	v_add_f32_e32 v10, v10, v11
	s_nop 1
	v_mov_b32_dpp v11, v10 row_bcast:15 row_mask:0xf bank_mask:0xf
	v_add_f32_e32 v10, v10, v11
	s_nop 1
	v_mov_b32_dpp v11, v10 row_bcast:31 row_mask:0xf bank_mask:0xf
	s_and_saveexec_b64 s[2:3], s[0:1]
	s_cbranch_execz .LBB1030_30
; %bb.29:
	v_lshrrev_b32_e32 v0, 4, v0
	v_add_f32_e32 v10, v10, v11
	v_and_b32_e32 v0, 60, v0
	ds_write_b32 v0, v10
.LBB1030_30:
	s_or_b64 exec, exec, s[2:3]
	s_waitcnt lgkmcnt(0)
	s_barrier
	ds_read_b32 v0, v34
	s_waitcnt lgkmcnt(0)
	s_nop 0
	v_mov_b32_dpp v10, v0 quad_perm:[1,0,3,2] row_mask:0xf bank_mask:0xf
	v_add_f32_e32 v0, v0, v10
	s_nop 1
	v_mov_b32_dpp v10, v0 quad_perm:[2,3,0,1] row_mask:0xf bank_mask:0xf
	v_add_f32_e32 v0, v0, v10
	s_nop 1
	v_mov_b32_dpp v10, v0 row_half_mirror row_mask:0xf bank_mask:0xf
	s_and_saveexec_b64 s[0:1], vcc
	s_cbranch_execz .LBB1030_12
; %bb.31:
	v_cvt_f32_u32_e32 v11, s20
	v_add_f32_e32 v0, v0, v10
	s_mov_b32 s15, 0x20000
	v_div_scale_f32 v10, s[0:1], v11, v11, v0
	v_rcp_f32_e32 v12, v10
	v_div_scale_f32 v13, vcc, v0, v11, v0
	s_mov_b32 s0, 0x800000
	v_fma_f32 v14, -v10, v12, 1.0
	v_fmac_f32_e32 v12, v14, v12
	v_mul_f32_e32 v14, v13, v12
	v_fma_f32 v15, -v10, v14, v13
	v_fmac_f32_e32 v14, v15, v12
	v_fma_f32 v10, -v10, v14, v13
	v_div_fmas_f32 v10, v10, v12, v14
	v_div_fixup_f32 v0, v10, v11, v0
	v_add_f32_e32 v0, s17, v0
	v_mul_f32_e32 v10, 0x4b800000, v0
	v_cmp_gt_f32_e32 vcc, s0, v0
	v_cndmask_b32_e32 v0, v0, v10, vcc
	v_rsq_f32_e32 v0, v0
	s_mul_hi_i32 s1, s7, s6
	s_mul_i32 s0, s7, s6
	s_lshl_b64 s[0:1], s[0:1], 1
	v_mul_f32_e32 v10, 0x45800000, v0
	v_cndmask_b32_e32 v10, v0, v10, vcc
	v_mov_b32_e32 v11, v10
	s_add_u32 s12, s28, s0
	;;#ASMSTART
	v_pk_mul_f32 v[12:13], v[18:19], v[10:11]
	;;#ASMEND
	;;#ASMSTART
	v_pk_mul_f32 v[14:15], v[32:33], v[10:11]
	;;#ASMEND
	;; [unrolled: 3-line block ×8, first 2 shown]
	s_waitcnt vmcnt(1)
	v_cvt_f32_u32_sdwa v21, v6 dst_sel:DWORD dst_unused:UNUSED_PAD src0_sel:WORD_1
	v_cvt_f32_u32_sdwa v20, v6 dst_sel:DWORD dst_unused:UNUSED_PAD src0_sel:WORD_0
	v_cvt_f32_u32_sdwa v29, v7 dst_sel:DWORD dst_unused:UNUSED_PAD src0_sel:WORD_1
	v_cvt_f32_u32_sdwa v28, v7 dst_sel:DWORD dst_unused:UNUSED_PAD src0_sel:WORD_0
	;; [unrolled: 2-line block ×3, first 2 shown]
	s_addc_u32 s0, s29, s1
	v_cvt_f32_u32_sdwa v31, v9 dst_sel:DWORD dst_unused:UNUSED_PAD src0_sel:WORD_1
	v_cvt_f32_u32_sdwa v30, v9 dst_sel:DWORD dst_unused:UNUSED_PAD src0_sel:WORD_0
	;;#ASMSTART
	v_pk_mul_f32 v[8:9], v[12:13], v[20:21]
	;;#ASMEND
	;;#ASMSTART
	v_pk_mul_f32 v[12:13], v[14:15], v[28:29]
	;;#ASMEND
	;; [unrolled: 3-line block ×4, first 2 shown]
	s_waitcnt vmcnt(0)
	v_cvt_f32_u32_sdwa v17, v2 dst_sel:DWORD dst_unused:UNUSED_PAD src0_sel:WORD_1
	v_cvt_f32_u32_sdwa v16, v2 dst_sel:DWORD dst_unused:UNUSED_PAD src0_sel:WORD_0
	v_cvt_f32_u32_sdwa v19, v3 dst_sel:DWORD dst_unused:UNUSED_PAD src0_sel:WORD_1
	v_cvt_f32_u32_sdwa v18, v3 dst_sel:DWORD dst_unused:UNUSED_PAD src0_sel:WORD_0
	;; [unrolled: 2-line block ×3, first 2 shown]
	s_and_b32 s13, s0, 0xffff
	s_mov_b32 s0, 0x7060302
	v_cvt_f32_u32_sdwa v21, v5 dst_sel:DWORD dst_unused:UNUSED_PAD src0_sel:WORD_1
	v_cvt_f32_u32_sdwa v20, v5 dst_sel:DWORD dst_unused:UNUSED_PAD src0_sel:WORD_0
	;;#ASMSTART
	v_pk_mul_f32 v[16:17], v[26:27], v[16:17]
	;;#ASMEND
	;;#ASMSTART
	v_pk_mul_f32 v[18:19], v[24:25], v[18:19]
	;;#ASMEND
	;; [unrolled: 3-line block ×3, first 2 shown]
	v_perm_b32 v2, v9, v8, s0
	v_perm_b32 v3, v13, v12, s0
	;; [unrolled: 1-line block ×4, first 2 shown]
	;;#ASMSTART
	v_pk_mul_f32 v[10:11], v[10:11], v[20:21]
	;;#ASMEND
	buffer_store_dwordx4 v[2:5], v1, s[12:15], 0 offen
	;;#ASMSTART
	s_nop 0
	;;#ASMEND
	s_nop 0
	v_perm_b32 v2, v17, v16, s0
	v_perm_b32 v3, v19, v18, s0
	;; [unrolled: 1-line block ×4, first 2 shown]
	buffer_store_dwordx4 v[2:5], v1, s[12:15], 16 offen
	;;#ASMSTART
	s_nop 0
	;;#ASMEND
	s_endpgm
	.section	.rodata,"a",@progbits
	.p2align	6, 0x0
	.amdhsa_kernel _ZN5aiter35fused_qk_rmsnorm_group_quant_kernelItDB8_Li512ELi16ELi2ELb0ELb0ELb0ELb0ELb0ELb0EEEvPT0_PvPT_S6_S6_PKS5_S8_S8_S8_S8_ffiiiiiiiiiiiii
		.amdhsa_group_segment_fixed_size 64
		.amdhsa_private_segment_fixed_size 0
		.amdhsa_kernarg_size 400
		.amdhsa_user_sgpr_count 6
		.amdhsa_user_sgpr_private_segment_buffer 1
		.amdhsa_user_sgpr_dispatch_ptr 0
		.amdhsa_user_sgpr_queue_ptr 0
		.amdhsa_user_sgpr_kernarg_segment_ptr 1
		.amdhsa_user_sgpr_dispatch_id 0
		.amdhsa_user_sgpr_flat_scratch_init 0
		.amdhsa_user_sgpr_kernarg_preload_length 0
		.amdhsa_user_sgpr_kernarg_preload_offset 0
		.amdhsa_user_sgpr_private_segment_size 0
		.amdhsa_uses_dynamic_stack 0
		.amdhsa_system_sgpr_private_segment_wavefront_offset 0
		.amdhsa_system_sgpr_workgroup_id_x 1
		.amdhsa_system_sgpr_workgroup_id_y 1
		.amdhsa_system_sgpr_workgroup_id_z 0
		.amdhsa_system_sgpr_workgroup_info 0
		.amdhsa_system_vgpr_workitem_id 0
		.amdhsa_next_free_vgpr 38
		.amdhsa_next_free_sgpr 32
		.amdhsa_accum_offset 40
		.amdhsa_reserve_vcc 1
		.amdhsa_reserve_flat_scratch 0
		.amdhsa_float_round_mode_32 0
		.amdhsa_float_round_mode_16_64 0
		.amdhsa_float_denorm_mode_32 3
		.amdhsa_float_denorm_mode_16_64 3
		.amdhsa_dx10_clamp 1
		.amdhsa_ieee_mode 1
		.amdhsa_fp16_overflow 0
		.amdhsa_tg_split 0
		.amdhsa_exception_fp_ieee_invalid_op 0
		.amdhsa_exception_fp_denorm_src 0
		.amdhsa_exception_fp_ieee_div_zero 0
		.amdhsa_exception_fp_ieee_overflow 0
		.amdhsa_exception_fp_ieee_underflow 0
		.amdhsa_exception_fp_ieee_inexact 0
		.amdhsa_exception_int_div_zero 0
	.end_amdhsa_kernel
	.section	.text._ZN5aiter35fused_qk_rmsnorm_group_quant_kernelItDB8_Li512ELi16ELi2ELb0ELb0ELb0ELb0ELb0ELb0EEEvPT0_PvPT_S6_S6_PKS5_S8_S8_S8_S8_ffiiiiiiiiiiiii,"axG",@progbits,_ZN5aiter35fused_qk_rmsnorm_group_quant_kernelItDB8_Li512ELi16ELi2ELb0ELb0ELb0ELb0ELb0ELb0EEEvPT0_PvPT_S6_S6_PKS5_S8_S8_S8_S8_ffiiiiiiiiiiiii,comdat
.Lfunc_end1030:
	.size	_ZN5aiter35fused_qk_rmsnorm_group_quant_kernelItDB8_Li512ELi16ELi2ELb0ELb0ELb0ELb0ELb0ELb0EEEvPT0_PvPT_S6_S6_PKS5_S8_S8_S8_S8_ffiiiiiiiiiiiii, .Lfunc_end1030-_ZN5aiter35fused_qk_rmsnorm_group_quant_kernelItDB8_Li512ELi16ELi2ELb0ELb0ELb0ELb0ELb0ELb0EEEvPT0_PvPT_S6_S6_PKS5_S8_S8_S8_S8_ffiiiiiiiiiiiii
                                        ; -- End function
	.section	.AMDGPU.csdata,"",@progbits
; Kernel info:
; codeLenInByte = 3468
; NumSgprs: 36
; NumVgprs: 38
; NumAgprs: 0
; TotalNumVgprs: 38
; ScratchSize: 0
; MemoryBound: 0
; FloatMode: 240
; IeeeMode: 1
; LDSByteSize: 64 bytes/workgroup (compile time only)
; SGPRBlocks: 4
; VGPRBlocks: 4
; NumSGPRsForWavesPerEU: 36
; NumVGPRsForWavesPerEU: 38
; AccumOffset: 40
; Occupancy: 8
; WaveLimiterHint : 0
; COMPUTE_PGM_RSRC2:SCRATCH_EN: 0
; COMPUTE_PGM_RSRC2:USER_SGPR: 6
; COMPUTE_PGM_RSRC2:TRAP_HANDLER: 0
; COMPUTE_PGM_RSRC2:TGID_X_EN: 1
; COMPUTE_PGM_RSRC2:TGID_Y_EN: 1
; COMPUTE_PGM_RSRC2:TGID_Z_EN: 0
; COMPUTE_PGM_RSRC2:TIDIG_COMP_CNT: 0
; COMPUTE_PGM_RSRC3_GFX90A:ACCUM_OFFSET: 9
; COMPUTE_PGM_RSRC3_GFX90A:TG_SPLIT: 0
	.section	.text._ZN5aiter35fused_qk_rmsnorm_group_quant_kernelIDF16_N4opus5fp4_tELi512ELi16ELi2ELb0ELb0ELb0ELb0ELb0ELb0EEEvPT0_PvPT_S7_S7_PKS6_S9_S9_S9_S9_ffiiiiiiiiiiiii,"axG",@progbits,_ZN5aiter35fused_qk_rmsnorm_group_quant_kernelIDF16_N4opus5fp4_tELi512ELi16ELi2ELb0ELb0ELb0ELb0ELb0ELb0EEEvPT0_PvPT_S7_S7_PKS6_S9_S9_S9_S9_ffiiiiiiiiiiiii,comdat
	.protected	_ZN5aiter35fused_qk_rmsnorm_group_quant_kernelIDF16_N4opus5fp4_tELi512ELi16ELi2ELb0ELb0ELb0ELb0ELb0ELb0EEEvPT0_PvPT_S7_S7_PKS6_S9_S9_S9_S9_ffiiiiiiiiiiiii ; -- Begin function _ZN5aiter35fused_qk_rmsnorm_group_quant_kernelIDF16_N4opus5fp4_tELi512ELi16ELi2ELb0ELb0ELb0ELb0ELb0ELb0EEEvPT0_PvPT_S7_S7_PKS6_S9_S9_S9_S9_ffiiiiiiiiiiiii
	.globl	_ZN5aiter35fused_qk_rmsnorm_group_quant_kernelIDF16_N4opus5fp4_tELi512ELi16ELi2ELb0ELb0ELb0ELb0ELb0ELb0EEEvPT0_PvPT_S7_S7_PKS6_S9_S9_S9_S9_ffiiiiiiiiiiiii
	.p2align	8
	.type	_ZN5aiter35fused_qk_rmsnorm_group_quant_kernelIDF16_N4opus5fp4_tELi512ELi16ELi2ELb0ELb0ELb0ELb0ELb0ELb0EEEvPT0_PvPT_S7_S7_PKS6_S9_S9_S9_S9_ffiiiiiiiiiiiii,@function
_ZN5aiter35fused_qk_rmsnorm_group_quant_kernelIDF16_N4opus5fp4_tELi512ELi16ELi2ELb0ELb0ELb0ELb0ELb0ELb0EEEvPT0_PvPT_S7_S7_PKS6_S9_S9_S9_S9_ffiiiiiiiiiiiii: ; @_ZN5aiter35fused_qk_rmsnorm_group_quant_kernelIDF16_N4opus5fp4_tELi512ELi16ELi2ELb0ELb0ELb0ELb0ELb0ELb0EEEvPT0_PvPT_S7_S7_PKS6_S9_S9_S9_S9_ffiiiiiiiiiiiii
; %bb.0:
	s_load_dwordx4 s[16:19], s[4:5], 0x50
	s_waitcnt lgkmcnt(0)
	s_cmp_ge_i32 s6, s18
	s_cbranch_scc1 .LBB1031_12
; %bb.1:
	s_load_dwordx2 s[12:13], s[4:5], 0x48
	s_load_dwordx2 s[30:31], s[4:5], 0x30
	s_load_dwordx4 s[20:23], s[4:5], 0x60
	s_cmp_lg_u32 s7, 0
	s_cselect_b64 s[14:15], -1, 0
	s_cmp_eq_u32 s7, 0
	s_cselect_b64 vcc, -1, 0
	s_and_b64 s[0:1], vcc, exec
	s_waitcnt lgkmcnt(0)
	s_cselect_b32 s7, s19, s20
	s_add_i32 s0, s7, 1
	s_lshr_b32 s1, s0, 31
	s_add_i32 s0, s0, s1
	s_lshl_b32 s0, s0, 1
	v_lshlrev_b32_e32 v1, 4, v0
	s_and_b32 s10, s0, -4
	v_cmp_gt_i32_e64 s[2:3], s7, v1
	v_mov_b32_e32 v18, 0
	v_mov_b32_e32 v6, 0
	;; [unrolled: 1-line block ×17, first 2 shown]
	s_and_saveexec_b64 s[0:1], s[2:3]
	s_cbranch_execz .LBB1031_3
; %bb.2:
	s_load_dwordx2 s[8:9], s[4:5], 0x28
	s_load_dwordx2 s[26:27], s[4:5], 0x40
	s_and_b64 s[24:25], vcc, exec
	s_cselect_b32 s11, s21, s22
	v_lshlrev_b32_e32 v19, 5, v0
	s_waitcnt lgkmcnt(0)
	s_cselect_b32 s18, s9, s31
	s_cselect_b32 s21, s8, s30
	s_mul_hi_i32 s9, s11, s6
	s_mul_i32 s8, s11, s6
	s_lshl_b64 s[8:9], s[8:9], 1
	s_add_u32 s24, s21, s8
	s_addc_u32 s18, s18, s9
	s_and_b64 s[8:9], vcc, exec
	s_mov_b32 s11, 0x20000
	s_cselect_b32 s8, s26, s12
	s_cselect_b32 s9, s27, s13
	s_and_b32 s25, s18, 0xffff
	s_mov_b32 s26, s10
	s_mov_b32 s27, s11
	s_and_b32 s9, s9, 0xffff
	buffer_load_dwordx4 v[14:17], v19, s[24:27], 0 offen
	buffer_load_dwordx4 v[10:13], v19, s[24:27], 16 offen
	;; [unrolled: 1-line block ×4, first 2 shown]
.LBB1031_3:
	s_or_b64 exec, exec, s[0:1]
	v_mov_b32_e32 v19, 0
	v_mov_b32_e32 v24, 0
	;; [unrolled: 1-line block ×15, first 2 shown]
	s_and_saveexec_b64 s[0:1], s[2:3]
	s_cbranch_execz .LBB1031_5
; %bb.4:
	s_waitcnt vmcnt(3)
	v_cvt_f32_f16_sdwa v19, v14 dst_sel:DWORD dst_unused:UNUSED_PAD src0_sel:WORD_1
	v_cvt_f32_f16_e32 v18, v14
	v_cvt_f32_f16_sdwa v25, v15 dst_sel:DWORD dst_unused:UNUSED_PAD src0_sel:WORD_1
	v_cvt_f32_f16_e32 v24, v15
	;; [unrolled: 2-line block ×4, first 2 shown]
	s_waitcnt vmcnt(2)
	v_cvt_f32_f16_sdwa v33, v10 dst_sel:DWORD dst_unused:UNUSED_PAD src0_sel:WORD_1
	v_cvt_f32_f16_e32 v32, v10
	v_cvt_f32_f16_sdwa v31, v11 dst_sel:DWORD dst_unused:UNUSED_PAD src0_sel:WORD_1
	v_cvt_f32_f16_e32 v30, v11
	;; [unrolled: 2-line block ×4, first 2 shown]
.LBB1031_5:
	s_or_b64 exec, exec, s[0:1]
	s_waitcnt vmcnt(2)
	v_mul_f32_e32 v10, v19, v19
	v_fmac_f32_e32 v10, v18, v18
	v_fmac_f32_e32 v10, v24, v24
	v_fmac_f32_e32 v10, v25, v25
	v_fmac_f32_e32 v10, v20, v20
	v_fmac_f32_e32 v10, v21, v21
	v_fmac_f32_e32 v10, v22, v22
	v_fmac_f32_e32 v10, v23, v23
	v_fmac_f32_e32 v10, v32, v32
	v_fmac_f32_e32 v10, v33, v33
	v_fmac_f32_e32 v10, v30, v30
	v_fmac_f32_e32 v10, v31, v31
	v_fmac_f32_e32 v10, v26, v26
	v_fmac_f32_e32 v10, v27, v27
	v_fmac_f32_e32 v10, v28, v28
	v_fmac_f32_e32 v10, v29, v29
	v_and_b32_e32 v12, 63, v0
	v_cmp_eq_u32_e64 s[0:1], 63, v12
	v_mov_b32_dpp v11, v10 quad_perm:[1,0,3,2] row_mask:0xf bank_mask:0xf
	v_add_f32_e32 v10, v10, v11
	s_nop 1
	v_mov_b32_dpp v11, v10 quad_perm:[2,3,0,1] row_mask:0xf bank_mask:0xf
	v_add_f32_e32 v10, v10, v11
	s_nop 1
	v_mov_b32_dpp v11, v10 row_half_mirror row_mask:0xf bank_mask:0xf
	v_add_f32_e32 v10, v10, v11
	s_nop 1
	v_mov_b32_dpp v11, v10 row_mirror row_mask:0xf bank_mask:0xf
	v_add_f32_e32 v10, v10, v11
	s_nop 1
	v_mov_b32_dpp v11, v10 row_bcast:15 row_mask:0xf bank_mask:0xf
	v_add_f32_e32 v10, v10, v11
	s_nop 1
	v_mov_b32_dpp v11, v10 row_bcast:31 row_mask:0xf bank_mask:0xf
	s_and_saveexec_b64 s[8:9], s[0:1]
	s_cbranch_execz .LBB1031_7
; %bb.6:
	v_add_f32_e32 v10, v10, v11
	v_lshrrev_b32_e32 v11, 4, v0
	v_and_b32_e32 v11, 60, v11
	ds_write_b32 v11, v10 offset:32
.LBB1031_7:
	s_or_b64 exec, exec, s[8:9]
	v_and_b32_e32 v10, 7, v0
	v_lshlrev_b32_e32 v34, 2, v10
	s_waitcnt lgkmcnt(0)
	s_barrier
	ds_read_b32 v10, v34 offset:32
	s_load_dwordx2 s[28:29], s[4:5], 0x18
	s_waitcnt lgkmcnt(0)
	v_mov_b32_dpp v11, v10 quad_perm:[1,0,3,2] row_mask:0xf bank_mask:0xf
	v_add_f32_e32 v10, v10, v11
	s_nop 1
	v_mov_b32_dpp v11, v10 quad_perm:[2,3,0,1] row_mask:0xf bank_mask:0xf
	v_add_f32_e32 v10, v10, v11
	s_nop 1
	v_mov_b32_dpp v11, v10 row_half_mirror row_mask:0xf bank_mask:0xf
	s_and_saveexec_b64 s[8:9], s[2:3]
	s_cbranch_execz .LBB1031_9
; %bb.8:
	v_cvt_f32_u32_e32 v12, s7
	v_add_f32_e32 v10, v10, v11
	v_mov_b32_e32 v14, s17
	v_mov_b32_e32 v15, s16
	v_div_scale_f32 v11, s[24:25], v12, v12, v10
	v_rcp_f32_e32 v13, v11
	v_cndmask_b32_e32 v14, v14, v15, vcc
	s_mov_b32 s7, 0x800000
	v_fma_f32 v15, -v11, v13, 1.0
	v_fmac_f32_e32 v13, v15, v13
	v_div_scale_f32 v15, vcc, v10, v12, v10
	v_mul_f32_e32 v16, v15, v13
	v_fma_f32 v17, -v11, v16, v15
	v_fmac_f32_e32 v16, v17, v13
	v_fma_f32 v11, -v11, v16, v15
	v_div_fmas_f32 v11, v11, v13, v16
	v_div_fixup_f32 v10, v11, v12, v10
	v_add_f32_e32 v10, v14, v10
	v_mul_f32_e32 v11, 0x4b800000, v10
	v_cmp_gt_f32_e32 vcc, s7, v10
	v_cndmask_b32_e32 v10, v10, v11, vcc
	v_rsq_f32_e32 v10, v10
	v_mul_f32_e32 v11, 0x45800000, v10
	v_cndmask_b32_e32 v10, v10, v11, vcc
	v_mov_b32_e32 v11, v10
	;;#ASMSTART
	v_pk_mul_f32 v[12:13], v[18:19], v[10:11]
	;;#ASMEND
	;;#ASMSTART
	v_pk_mul_f32 v[14:15], v[24:25], v[10:11]
	;;#ASMEND
	;; [unrolled: 3-line block ×8, first 2 shown]
	s_waitcnt vmcnt(1)
	v_cvt_f32_f16_sdwa v19, v6 dst_sel:DWORD dst_unused:UNUSED_PAD src0_sel:WORD_1
	v_cvt_f32_f16_e32 v18, v6
	v_cvt_f32_f16_sdwa v21, v7 dst_sel:DWORD dst_unused:UNUSED_PAD src0_sel:WORD_1
	v_cvt_f32_f16_e32 v20, v7
	;; [unrolled: 2-line block ×4, first 2 shown]
	;;#ASMSTART
	v_pk_mul_f32 v[18:19], v[12:13], v[18:19]
	;;#ASMEND
	;;#ASMSTART
	v_pk_mul_f32 v[24:25], v[14:15], v[20:21]
	;;#ASMEND
	;;#ASMSTART
	v_pk_mul_f32 v[20:21], v[16:17], v[6:7]
	;;#ASMEND
	;;#ASMSTART
	v_pk_mul_f32 v[22:23], v[22:23], v[28:29]
	;;#ASMEND
	s_waitcnt vmcnt(0)
	v_cvt_f32_f16_sdwa v7, v2 dst_sel:DWORD dst_unused:UNUSED_PAD src0_sel:WORD_1
	v_cvt_f32_f16_e32 v6, v2
	v_cvt_f32_f16_sdwa v9, v3 dst_sel:DWORD dst_unused:UNUSED_PAD src0_sel:WORD_1
	v_cvt_f32_f16_e32 v8, v3
	;; [unrolled: 2-line block ×4, first 2 shown]
	;;#ASMSTART
	v_pk_mul_f32 v[32:33], v[32:33], v[6:7]
	;;#ASMEND
	;;#ASMSTART
	v_pk_mul_f32 v[30:31], v[30:31], v[8:9]
	;;#ASMEND
	;; [unrolled: 3-line block ×4, first 2 shown]
.LBB1031_9:
	s_or_b64 exec, exec, s[8:9]
	s_load_dword s7, s[4:5], 0x80
	s_mov_b64 s[8:9], -1
	s_and_b64 vcc, exec, s[14:15]
	s_cbranch_vccnz .LBB1031_13
; %bb.10:
	s_andn2_b64 vcc, exec, s[8:9]
	s_cbranch_vccz .LBB1031_16
.LBB1031_11:
	s_cmp_lt_i32 s20, 1
	s_cbranch_scc0 .LBB1031_23
.LBB1031_12:
	s_endpgm
.LBB1031_13:
	s_and_saveexec_b64 s[14:15], s[2:3]
	s_cbranch_execz .LBB1031_15
; %bb.14:
	s_waitcnt lgkmcnt(0)
	s_mul_hi_i32 s9, s7, s6
	s_mul_i32 s8, s7, s6
	s_waitcnt vmcnt(0)
	v_cvt_f16_f32_e32 v2, v18
	v_cvt_f16_f32_e32 v3, v24
	;; [unrolled: 1-line block ×8, first 2 shown]
	s_lshl_b64 s[8:9], s[8:9], 1
	s_add_u32 s8, s28, s8
	s_addc_u32 s9, s29, s9
	s_and_b32 s9, s9, 0xffff
	s_mov_b32 s11, 0x20000
	v_pack_b32_f16 v5, v5, v6
	v_pack_b32_f16 v4, v4, v7
	;; [unrolled: 1-line block ×4, first 2 shown]
	v_lshlrev_b32_e32 v6, 5, v0
	buffer_store_dwordx4 v[2:5], v6, s[8:11], 0 offen
	v_cvt_f16_f32_e32 v7, v29
	v_cvt_f16_f32_e32 v2, v32
	;; [unrolled: 1-line block ×8, first 2 shown]
	v_pack_b32_f16 v5, v5, v7
	v_pack_b32_f16 v4, v4, v8
	;; [unrolled: 1-line block ×4, first 2 shown]
	;;#ASMSTART
	s_nop 0
	;;#ASMEND
	buffer_store_dwordx4 v[2:5], v6, s[8:11], 16 offen
	;;#ASMSTART
	s_nop 0
	;;#ASMEND
.LBB1031_15:
	s_or_b64 exec, exec, s[14:15]
	s_cbranch_execnz .LBB1031_11
.LBB1031_16:
	s_waitcnt vmcnt(0)
	v_mov_b32_e32 v2, 0
	s_and_saveexec_b64 s[8:9], s[2:3]
	s_cbranch_execz .LBB1031_18
; %bb.17:
	v_and_b32_e32 v2, 0x7fffffff, v18
	v_and_b32_e32 v3, 0x7fffffff, v19
	v_mov_b32_e32 v4, 0x2edbe6ff
	;;#ASMSTART
	v_max3_f32 v2, v4, v2, v3

	;;#ASMEND
	v_and_b32_e32 v3, 0x7fffffff, v24
	v_and_b32_e32 v4, 0x7fffffff, v25
	;;#ASMSTART
	v_max3_f32 v2, v2, v3, v4

	;;#ASMEND
	v_and_b32_e32 v3, 0x7fffffff, v20
	v_and_b32_e32 v4, 0x7fffffff, v21
	;; [unrolled: 6-line block ×7, first 2 shown]
	;;#ASMSTART
	v_max3_f32 v2, v2, v3, v4

	;;#ASMEND
.LBB1031_18:
	s_or_b64 exec, exec, s[8:9]
	s_load_dwordx4 s[24:27], s[4:5], 0x70
	;;#ASMSTART
	v_max_f32 v3, v2, v2 quad_perm:[1,0,3,2] row_mask:0xf bank_mask:0xf bound_ctrl:1
	;;#ASMEND
	v_and_b32_e32 v2, 1, v0
	v_cmp_eq_u32_e32 vcc, 0, v2
	v_cmp_gt_i32_e64 s[8:9], s19, v1
	s_and_b64 s[10:11], vcc, s[8:9]
	s_and_saveexec_b64 s[8:9], s[10:11]
	s_cbranch_execz .LBB1031_20
; %bb.19:
	s_load_dwordx2 s[10:11], s[4:5], 0x8
	v_mul_f32_e32 v2, 0x3e2aaaab, v3
	v_lshrrev_b32_e32 v3, 23, v2
	v_and_b32_e32 v4, 0x7f800000, v2
	v_and_b32_e32 v2, 0x7fffff, v2
	v_cmp_ne_u32_e32 vcc, 0, v2
	s_waitcnt lgkmcnt(0)
	s_mul_i32 s16, s25, s6
	s_mov_b32 s14, 0x7f800000
	v_addc_co_u32_e32 v2, vcc, 0, v3, vcc
	s_mul_hi_i32 s15, s25, s6
	s_add_u32 s10, s10, s16
	v_cmp_ne_u32_e32 vcc, s14, v4
	s_addc_u32 s11, s11, s15
	v_lshrrev_b32_e32 v5, 1, v0
	v_cndmask_b32_e32 v4, -1, v2, vcc
	v_pk_mov_b32 v[2:3], s[10:11], s[10:11] op_sel:[0,1]
	v_mad_i64_i32 v[2:3], s[10:11], s26, v5, v[2:3]
	global_store_byte v[2:3], v4, off
.LBB1031_20:
	s_or_b64 exec, exec, s[8:9]
	s_and_saveexec_b64 s[8:9], s[2:3]
	s_cbranch_execz .LBB1031_22
; %bb.21:
	s_load_dwordx2 s[2:3], s[4:5], 0x0
	s_waitcnt lgkmcnt(0)
	s_mul_i32 s11, s24, s6
	s_mul_hi_i32 s10, s24, s6
	v_mov_b32_e32 v2, 0
	v_lshlrev_b32_e32 v4, 3, v0
	s_add_u32 s24, s2, s11
	s_addc_u32 s2, s3, s10
	s_lshr_b32 s3, s19, 31
	s_add_i32 s3, s19, s3
	s_ashr_i32 s3, s3, 1
	s_add_i32 s3, s3, 3
	s_ashr_i32 s10, s3, 31
	s_lshr_b32 s10, s10, 30
	s_add_i32 s3, s3, s10
	s_and_b32 s26, s3, -4
	s_and_b32 s25, s2, 0xffff
	s_mov_b32 s27, 0x20000
	v_mov_b32_e32 v3, v2
	buffer_store_dwordx2 v[2:3], v4, s[24:27], 0 offen
	;;#ASMSTART
	s_nop 0
	;;#ASMEND
.LBB1031_22:
	s_or_b64 exec, exec, s[8:9]
	s_cmp_lt_i32 s20, 1
	s_cbranch_scc1 .LBB1031_12
.LBB1031_23:
	s_load_dword s2, s[4:5], 0x94
	s_waitcnt lgkmcnt(0)
	s_cmp_lg_u32 s2, 1
	s_cbranch_scc1 .LBB1031_12
; %bb.24:
	s_lshl_b32 s2, s20, 1
	s_add_i32 s2, s2, 2
	v_cmp_gt_u32_e32 vcc, s20, v1
	s_and_b32 s14, s2, -4
	v_mov_b32_e32 v18, 0
	v_lshlrev_b32_e32 v1, 5, v0
	v_mov_b32_e32 v14, 0
	v_mov_b32_e32 v15, 0
	;; [unrolled: 1-line block ×8, first 2 shown]
	s_waitcnt vmcnt(1)
	v_mov_b32_e32 v6, 0
	v_mov_b32_e32 v7, 0
	;; [unrolled: 1-line block ×4, first 2 shown]
	s_waitcnt vmcnt(0)
	v_mov_b32_e32 v2, 0
	v_mov_b32_e32 v3, 0
	;; [unrolled: 1-line block ×4, first 2 shown]
	s_barrier
	s_and_saveexec_b64 s[2:3], vcc
	s_cbranch_execz .LBB1031_26
; %bb.25:
	s_mul_hi_i32 s5, s22, s6
	s_mul_i32 s4, s22, s6
	s_and_b32 s13, s13, 0xffff
	s_lshl_b64 s[4:5], s[4:5], 1
	s_add_u32 s8, s30, s4
	s_mov_b32 s15, 0x20000
	s_addc_u32 s4, s31, s5
	s_and_b32 s9, s4, 0xffff
	s_mov_b32 s10, s14
	s_mov_b32 s11, s15
	buffer_load_dwordx4 v[14:17], v1, s[8:11], 0 offen
	buffer_load_dwordx4 v[10:13], v1, s[8:11], 16 offen
	;; [unrolled: 1-line block ×4, first 2 shown]
.LBB1031_26:
	s_or_b64 exec, exec, s[2:3]
	v_mov_b32_e32 v19, 0
	v_mov_b32_e32 v32, 0
	;; [unrolled: 1-line block ×15, first 2 shown]
	s_and_saveexec_b64 s[2:3], vcc
	s_cbranch_execz .LBB1031_28
; %bb.27:
	s_waitcnt vmcnt(3)
	v_cvt_f32_f16_sdwa v19, v14 dst_sel:DWORD dst_unused:UNUSED_PAD src0_sel:WORD_1
	v_cvt_f32_f16_e32 v18, v14
	v_cvt_f32_f16_sdwa v33, v15 dst_sel:DWORD dst_unused:UNUSED_PAD src0_sel:WORD_1
	v_cvt_f32_f16_e32 v32, v15
	;; [unrolled: 2-line block ×4, first 2 shown]
	s_waitcnt vmcnt(2)
	v_cvt_f32_f16_sdwa v27, v10 dst_sel:DWORD dst_unused:UNUSED_PAD src0_sel:WORD_1
	v_cvt_f32_f16_e32 v26, v10
	v_cvt_f32_f16_sdwa v25, v11 dst_sel:DWORD dst_unused:UNUSED_PAD src0_sel:WORD_1
	v_cvt_f32_f16_e32 v24, v11
	v_cvt_f32_f16_sdwa v23, v12 dst_sel:DWORD dst_unused:UNUSED_PAD src0_sel:WORD_1
	v_cvt_f32_f16_e32 v22, v12
	v_cvt_f32_f16_sdwa v21, v13 dst_sel:DWORD dst_unused:UNUSED_PAD src0_sel:WORD_1
	v_cvt_f32_f16_e32 v20, v13
.LBB1031_28:
	s_or_b64 exec, exec, s[2:3]
	s_waitcnt vmcnt(2)
	v_mul_f32_e32 v10, v19, v19
	v_fmac_f32_e32 v10, v18, v18
	v_fmac_f32_e32 v10, v32, v32
	;; [unrolled: 1-line block ×15, first 2 shown]
	s_nop 1
	v_mov_b32_dpp v11, v10 quad_perm:[1,0,3,2] row_mask:0xf bank_mask:0xf
	v_add_f32_e32 v10, v10, v11
	s_nop 1
	v_mov_b32_dpp v11, v10 quad_perm:[2,3,0,1] row_mask:0xf bank_mask:0xf
	v_add_f32_e32 v10, v10, v11
	s_nop 1
	v_mov_b32_dpp v11, v10 row_half_mirror row_mask:0xf bank_mask:0xf
	v_add_f32_e32 v10, v10, v11
	s_nop 1
	v_mov_b32_dpp v11, v10 row_mirror row_mask:0xf bank_mask:0xf
	v_add_f32_e32 v10, v10, v11
	s_nop 1
	v_mov_b32_dpp v11, v10 row_bcast:15 row_mask:0xf bank_mask:0xf
	v_add_f32_e32 v10, v10, v11
	s_nop 1
	v_mov_b32_dpp v11, v10 row_bcast:31 row_mask:0xf bank_mask:0xf
	s_and_saveexec_b64 s[2:3], s[0:1]
	s_cbranch_execz .LBB1031_30
; %bb.29:
	v_lshrrev_b32_e32 v0, 4, v0
	v_add_f32_e32 v10, v10, v11
	v_and_b32_e32 v0, 60, v0
	ds_write_b32 v0, v10
.LBB1031_30:
	s_or_b64 exec, exec, s[2:3]
	s_waitcnt lgkmcnt(0)
	s_barrier
	ds_read_b32 v0, v34
	s_waitcnt lgkmcnt(0)
	s_nop 0
	v_mov_b32_dpp v10, v0 quad_perm:[1,0,3,2] row_mask:0xf bank_mask:0xf
	v_add_f32_e32 v0, v0, v10
	s_nop 1
	v_mov_b32_dpp v10, v0 quad_perm:[2,3,0,1] row_mask:0xf bank_mask:0xf
	v_add_f32_e32 v0, v0, v10
	s_nop 1
	v_mov_b32_dpp v10, v0 row_half_mirror row_mask:0xf bank_mask:0xf
	s_and_saveexec_b64 s[0:1], vcc
	s_cbranch_execz .LBB1031_12
; %bb.31:
	v_cvt_f32_u32_e32 v11, s20
	v_add_f32_e32 v0, v0, v10
	s_mov_b32 s15, 0x20000
	v_div_scale_f32 v10, s[0:1], v11, v11, v0
	v_rcp_f32_e32 v12, v10
	v_div_scale_f32 v13, vcc, v0, v11, v0
	s_mov_b32 s0, 0x800000
	v_fma_f32 v14, -v10, v12, 1.0
	v_fmac_f32_e32 v12, v14, v12
	v_mul_f32_e32 v14, v13, v12
	v_fma_f32 v15, -v10, v14, v13
	v_fmac_f32_e32 v14, v15, v12
	v_fma_f32 v10, -v10, v14, v13
	v_div_fmas_f32 v10, v10, v12, v14
	v_div_fixup_f32 v0, v10, v11, v0
	v_add_f32_e32 v0, s17, v0
	v_mul_f32_e32 v10, 0x4b800000, v0
	v_cmp_gt_f32_e32 vcc, s0, v0
	v_cndmask_b32_e32 v0, v0, v10, vcc
	v_rsq_f32_e32 v0, v0
	s_mul_hi_i32 s1, s7, s6
	s_mul_i32 s0, s7, s6
	s_lshl_b64 s[0:1], s[0:1], 1
	v_mul_f32_e32 v10, 0x45800000, v0
	v_cndmask_b32_e32 v10, v0, v10, vcc
	v_mov_b32_e32 v11, v10
	;;#ASMSTART
	v_pk_mul_f32 v[12:13], v[18:19], v[10:11]
	;;#ASMEND
	;;#ASMSTART
	v_pk_mul_f32 v[14:15], v[32:33], v[10:11]
	;;#ASMEND
	;; [unrolled: 3-line block ×8, first 2 shown]
	s_waitcnt vmcnt(1)
	v_cvt_f32_f16_sdwa v21, v6 dst_sel:DWORD dst_unused:UNUSED_PAD src0_sel:WORD_1
	v_cvt_f32_f16_e32 v20, v6
	v_cvt_f32_f16_sdwa v29, v7 dst_sel:DWORD dst_unused:UNUSED_PAD src0_sel:WORD_1
	v_cvt_f32_f16_e32 v28, v7
	;; [unrolled: 2-line block ×4, first 2 shown]
	;;#ASMSTART
	v_pk_mul_f32 v[8:9], v[12:13], v[20:21]
	;;#ASMEND
	;;#ASMSTART
	v_pk_mul_f32 v[12:13], v[14:15], v[28:29]
	;;#ASMEND
	;; [unrolled: 3-line block ×4, first 2 shown]
	s_waitcnt vmcnt(0)
	v_cvt_f32_f16_sdwa v17, v2 dst_sel:DWORD dst_unused:UNUSED_PAD src0_sel:WORD_1
	v_cvt_f32_f16_e32 v16, v2
	v_cvt_f32_f16_sdwa v19, v3 dst_sel:DWORD dst_unused:UNUSED_PAD src0_sel:WORD_1
	v_cvt_f32_f16_e32 v18, v3
	;; [unrolled: 2-line block ×4, first 2 shown]
	;;#ASMSTART
	v_pk_mul_f32 v[16:17], v[26:27], v[16:17]
	;;#ASMEND
	;;#ASMSTART
	v_pk_mul_f32 v[18:19], v[24:25], v[18:19]
	;;#ASMEND
	;; [unrolled: 3-line block ×3, first 2 shown]
	v_cvt_f16_f32_e32 v0, v8
	v_cvt_f16_f32_e32 v2, v9
	;; [unrolled: 1-line block ×8, first 2 shown]
	s_add_u32 s12, s28, s0
	s_addc_u32 s0, s29, s1
	s_and_b32 s13, s0, 0xffff
	v_pack_b32_f16 v2, v0, v2
	v_pack_b32_f16 v3, v3, v4
	;; [unrolled: 1-line block ×4, first 2 shown]
	;;#ASMSTART
	v_pk_mul_f32 v[10:11], v[10:11], v[20:21]
	;;#ASMEND
	buffer_store_dwordx4 v[2:5], v1, s[12:15], 0 offen
	v_cvt_f16_f32_e32 v0, v16
	v_cvt_f16_f32_e32 v2, v17
	;; [unrolled: 1-line block ×8, first 2 shown]
	v_pack_b32_f16 v2, v0, v2
	v_pack_b32_f16 v3, v3, v4
	;; [unrolled: 1-line block ×4, first 2 shown]
	;;#ASMSTART
	s_nop 0
	;;#ASMEND
	buffer_store_dwordx4 v[2:5], v1, s[12:15], 16 offen
	;;#ASMSTART
	s_nop 0
	;;#ASMEND
	s_endpgm
	.section	.rodata,"a",@progbits
	.p2align	6, 0x0
	.amdhsa_kernel _ZN5aiter35fused_qk_rmsnorm_group_quant_kernelIDF16_N4opus5fp4_tELi512ELi16ELi2ELb0ELb0ELb0ELb0ELb0ELb0EEEvPT0_PvPT_S7_S7_PKS6_S9_S9_S9_S9_ffiiiiiiiiiiiii
		.amdhsa_group_segment_fixed_size 64
		.amdhsa_private_segment_fixed_size 0
		.amdhsa_kernarg_size 400
		.amdhsa_user_sgpr_count 6
		.amdhsa_user_sgpr_private_segment_buffer 1
		.amdhsa_user_sgpr_dispatch_ptr 0
		.amdhsa_user_sgpr_queue_ptr 0
		.amdhsa_user_sgpr_kernarg_segment_ptr 1
		.amdhsa_user_sgpr_dispatch_id 0
		.amdhsa_user_sgpr_flat_scratch_init 0
		.amdhsa_user_sgpr_kernarg_preload_length 0
		.amdhsa_user_sgpr_kernarg_preload_offset 0
		.amdhsa_user_sgpr_private_segment_size 0
		.amdhsa_uses_dynamic_stack 0
		.amdhsa_system_sgpr_private_segment_wavefront_offset 0
		.amdhsa_system_sgpr_workgroup_id_x 1
		.amdhsa_system_sgpr_workgroup_id_y 1
		.amdhsa_system_sgpr_workgroup_id_z 0
		.amdhsa_system_sgpr_workgroup_info 0
		.amdhsa_system_vgpr_workitem_id 0
		.amdhsa_next_free_vgpr 35
		.amdhsa_next_free_sgpr 32
		.amdhsa_accum_offset 36
		.amdhsa_reserve_vcc 1
		.amdhsa_reserve_flat_scratch 0
		.amdhsa_float_round_mode_32 0
		.amdhsa_float_round_mode_16_64 0
		.amdhsa_float_denorm_mode_32 3
		.amdhsa_float_denorm_mode_16_64 3
		.amdhsa_dx10_clamp 1
		.amdhsa_ieee_mode 1
		.amdhsa_fp16_overflow 0
		.amdhsa_tg_split 0
		.amdhsa_exception_fp_ieee_invalid_op 0
		.amdhsa_exception_fp_denorm_src 0
		.amdhsa_exception_fp_ieee_div_zero 0
		.amdhsa_exception_fp_ieee_overflow 0
		.amdhsa_exception_fp_ieee_underflow 0
		.amdhsa_exception_fp_ieee_inexact 0
		.amdhsa_exception_int_div_zero 0
	.end_amdhsa_kernel
	.section	.text._ZN5aiter35fused_qk_rmsnorm_group_quant_kernelIDF16_N4opus5fp4_tELi512ELi16ELi2ELb0ELb0ELb0ELb0ELb0ELb0EEEvPT0_PvPT_S7_S7_PKS6_S9_S9_S9_S9_ffiiiiiiiiiiiii,"axG",@progbits,_ZN5aiter35fused_qk_rmsnorm_group_quant_kernelIDF16_N4opus5fp4_tELi512ELi16ELi2ELb0ELb0ELb0ELb0ELb0ELb0EEEvPT0_PvPT_S7_S7_PKS6_S9_S9_S9_S9_ffiiiiiiiiiiiii,comdat
.Lfunc_end1031:
	.size	_ZN5aiter35fused_qk_rmsnorm_group_quant_kernelIDF16_N4opus5fp4_tELi512ELi16ELi2ELb0ELb0ELb0ELb0ELb0ELb0EEEvPT0_PvPT_S7_S7_PKS6_S9_S9_S9_S9_ffiiiiiiiiiiiii, .Lfunc_end1031-_ZN5aiter35fused_qk_rmsnorm_group_quant_kernelIDF16_N4opus5fp4_tELi512ELi16ELi2ELb0ELb0ELb0ELb0ELb0ELb0EEEvPT0_PvPT_S7_S7_PKS6_S9_S9_S9_S9_ffiiiiiiiiiiiii
                                        ; -- End function
	.section	.AMDGPU.csdata,"",@progbits
; Kernel info:
; codeLenInByte = 3136
; NumSgprs: 36
; NumVgprs: 35
; NumAgprs: 0
; TotalNumVgprs: 35
; ScratchSize: 0
; MemoryBound: 0
; FloatMode: 240
; IeeeMode: 1
; LDSByteSize: 64 bytes/workgroup (compile time only)
; SGPRBlocks: 4
; VGPRBlocks: 4
; NumSGPRsForWavesPerEU: 36
; NumVGPRsForWavesPerEU: 35
; AccumOffset: 36
; Occupancy: 8
; WaveLimiterHint : 0
; COMPUTE_PGM_RSRC2:SCRATCH_EN: 0
; COMPUTE_PGM_RSRC2:USER_SGPR: 6
; COMPUTE_PGM_RSRC2:TRAP_HANDLER: 0
; COMPUTE_PGM_RSRC2:TGID_X_EN: 1
; COMPUTE_PGM_RSRC2:TGID_Y_EN: 1
; COMPUTE_PGM_RSRC2:TGID_Z_EN: 0
; COMPUTE_PGM_RSRC2:TIDIG_COMP_CNT: 0
; COMPUTE_PGM_RSRC3_GFX90A:ACCUM_OFFSET: 8
; COMPUTE_PGM_RSRC3_GFX90A:TG_SPLIT: 0
	.section	.text._ZN5aiter35fused_qk_rmsnorm_group_quant_kernelItN4opus5fp4_tELi512ELi16ELi2ELb0ELb0ELb0ELb0ELb0ELb0EEEvPT0_PvPT_S7_S7_PKS6_S9_S9_S9_S9_ffiiiiiiiiiiiii,"axG",@progbits,_ZN5aiter35fused_qk_rmsnorm_group_quant_kernelItN4opus5fp4_tELi512ELi16ELi2ELb0ELb0ELb0ELb0ELb0ELb0EEEvPT0_PvPT_S7_S7_PKS6_S9_S9_S9_S9_ffiiiiiiiiiiiii,comdat
	.protected	_ZN5aiter35fused_qk_rmsnorm_group_quant_kernelItN4opus5fp4_tELi512ELi16ELi2ELb0ELb0ELb0ELb0ELb0ELb0EEEvPT0_PvPT_S7_S7_PKS6_S9_S9_S9_S9_ffiiiiiiiiiiiii ; -- Begin function _ZN5aiter35fused_qk_rmsnorm_group_quant_kernelItN4opus5fp4_tELi512ELi16ELi2ELb0ELb0ELb0ELb0ELb0ELb0EEEvPT0_PvPT_S7_S7_PKS6_S9_S9_S9_S9_ffiiiiiiiiiiiii
	.globl	_ZN5aiter35fused_qk_rmsnorm_group_quant_kernelItN4opus5fp4_tELi512ELi16ELi2ELb0ELb0ELb0ELb0ELb0ELb0EEEvPT0_PvPT_S7_S7_PKS6_S9_S9_S9_S9_ffiiiiiiiiiiiii
	.p2align	8
	.type	_ZN5aiter35fused_qk_rmsnorm_group_quant_kernelItN4opus5fp4_tELi512ELi16ELi2ELb0ELb0ELb0ELb0ELb0ELb0EEEvPT0_PvPT_S7_S7_PKS6_S9_S9_S9_S9_ffiiiiiiiiiiiii,@function
_ZN5aiter35fused_qk_rmsnorm_group_quant_kernelItN4opus5fp4_tELi512ELi16ELi2ELb0ELb0ELb0ELb0ELb0ELb0EEEvPT0_PvPT_S7_S7_PKS6_S9_S9_S9_S9_ffiiiiiiiiiiiii: ; @_ZN5aiter35fused_qk_rmsnorm_group_quant_kernelItN4opus5fp4_tELi512ELi16ELi2ELb0ELb0ELb0ELb0ELb0ELb0EEEvPT0_PvPT_S7_S7_PKS6_S9_S9_S9_S9_ffiiiiiiiiiiiii
; %bb.0:
	s_load_dwordx4 s[16:19], s[4:5], 0x50
	s_waitcnt lgkmcnt(0)
	s_cmp_ge_i32 s6, s18
	s_cbranch_scc1 .LBB1032_12
; %bb.1:
	s_load_dwordx2 s[12:13], s[4:5], 0x48
	s_load_dwordx2 s[30:31], s[4:5], 0x30
	s_load_dwordx4 s[20:23], s[4:5], 0x60
	s_cmp_lg_u32 s7, 0
	s_cselect_b64 s[14:15], -1, 0
	s_cmp_eq_u32 s7, 0
	s_cselect_b64 vcc, -1, 0
	s_and_b64 s[0:1], vcc, exec
	s_waitcnt lgkmcnt(0)
	s_cselect_b32 s7, s19, s20
	s_add_i32 s0, s7, 1
	s_lshr_b32 s1, s0, 31
	s_add_i32 s0, s0, s1
	s_lshl_b32 s0, s0, 1
	v_lshlrev_b32_e32 v1, 4, v0
	s_and_b32 s10, s0, -4
	v_cmp_gt_i32_e64 s[2:3], s7, v1
	v_mov_b32_e32 v18, 0
	v_mov_b32_e32 v6, 0
	;; [unrolled: 1-line block ×17, first 2 shown]
	s_and_saveexec_b64 s[0:1], s[2:3]
	s_cbranch_execz .LBB1032_3
; %bb.2:
	s_load_dwordx2 s[8:9], s[4:5], 0x28
	s_load_dwordx2 s[26:27], s[4:5], 0x40
	s_and_b64 s[24:25], vcc, exec
	s_cselect_b32 s11, s21, s22
	v_lshlrev_b32_e32 v19, 5, v0
	s_waitcnt lgkmcnt(0)
	s_cselect_b32 s18, s9, s31
	s_cselect_b32 s21, s8, s30
	s_mul_hi_i32 s9, s11, s6
	s_mul_i32 s8, s11, s6
	s_lshl_b64 s[8:9], s[8:9], 1
	s_add_u32 s24, s21, s8
	s_addc_u32 s18, s18, s9
	s_and_b64 s[8:9], vcc, exec
	s_mov_b32 s11, 0x20000
	s_cselect_b32 s8, s26, s12
	s_cselect_b32 s9, s27, s13
	s_and_b32 s25, s18, 0xffff
	s_mov_b32 s26, s10
	s_mov_b32 s27, s11
	s_and_b32 s9, s9, 0xffff
	buffer_load_dwordx4 v[14:17], v19, s[24:27], 0 offen
	buffer_load_dwordx4 v[10:13], v19, s[24:27], 16 offen
	;; [unrolled: 1-line block ×4, first 2 shown]
.LBB1032_3:
	s_or_b64 exec, exec, s[0:1]
	v_mov_b32_e32 v19, 0
	v_mov_b32_e32 v24, 0
	;; [unrolled: 1-line block ×15, first 2 shown]
	s_and_saveexec_b64 s[0:1], s[2:3]
	s_cbranch_execz .LBB1032_5
; %bb.4:
	s_waitcnt vmcnt(3)
	v_cvt_f32_u32_sdwa v18, v14 dst_sel:DWORD dst_unused:UNUSED_PAD src0_sel:WORD_0
	v_cvt_f32_u32_sdwa v19, v14 dst_sel:DWORD dst_unused:UNUSED_PAD src0_sel:WORD_1
	v_cvt_f32_u32_sdwa v24, v15 dst_sel:DWORD dst_unused:UNUSED_PAD src0_sel:WORD_0
	v_cvt_f32_u32_sdwa v25, v15 dst_sel:DWORD dst_unused:UNUSED_PAD src0_sel:WORD_1
	;; [unrolled: 2-line block ×4, first 2 shown]
	s_waitcnt vmcnt(2)
	v_cvt_f32_u32_sdwa v32, v10 dst_sel:DWORD dst_unused:UNUSED_PAD src0_sel:WORD_0
	v_cvt_f32_u32_sdwa v33, v10 dst_sel:DWORD dst_unused:UNUSED_PAD src0_sel:WORD_1
	v_cvt_f32_u32_sdwa v30, v11 dst_sel:DWORD dst_unused:UNUSED_PAD src0_sel:WORD_0
	v_cvt_f32_u32_sdwa v31, v11 dst_sel:DWORD dst_unused:UNUSED_PAD src0_sel:WORD_1
	;; [unrolled: 2-line block ×4, first 2 shown]
.LBB1032_5:
	s_or_b64 exec, exec, s[0:1]
	s_waitcnt vmcnt(2)
	v_mul_f32_e32 v10, v19, v19
	v_fmac_f32_e32 v10, v18, v18
	v_fmac_f32_e32 v10, v24, v24
	v_fmac_f32_e32 v10, v25, v25
	v_fmac_f32_e32 v10, v20, v20
	v_fmac_f32_e32 v10, v21, v21
	v_fmac_f32_e32 v10, v22, v22
	v_fmac_f32_e32 v10, v23, v23
	v_fmac_f32_e32 v10, v32, v32
	v_fmac_f32_e32 v10, v33, v33
	v_fmac_f32_e32 v10, v30, v30
	v_fmac_f32_e32 v10, v31, v31
	v_fmac_f32_e32 v10, v26, v26
	v_fmac_f32_e32 v10, v27, v27
	v_fmac_f32_e32 v10, v28, v28
	v_fmac_f32_e32 v10, v29, v29
	v_and_b32_e32 v12, 63, v0
	v_cmp_eq_u32_e64 s[0:1], 63, v12
	v_mov_b32_dpp v11, v10 quad_perm:[1,0,3,2] row_mask:0xf bank_mask:0xf
	v_add_f32_e32 v10, v10, v11
	s_nop 1
	v_mov_b32_dpp v11, v10 quad_perm:[2,3,0,1] row_mask:0xf bank_mask:0xf
	v_add_f32_e32 v10, v10, v11
	s_nop 1
	v_mov_b32_dpp v11, v10 row_half_mirror row_mask:0xf bank_mask:0xf
	v_add_f32_e32 v10, v10, v11
	s_nop 1
	v_mov_b32_dpp v11, v10 row_mirror row_mask:0xf bank_mask:0xf
	v_add_f32_e32 v10, v10, v11
	s_nop 1
	v_mov_b32_dpp v11, v10 row_bcast:15 row_mask:0xf bank_mask:0xf
	v_add_f32_e32 v10, v10, v11
	s_nop 1
	v_mov_b32_dpp v11, v10 row_bcast:31 row_mask:0xf bank_mask:0xf
	s_and_saveexec_b64 s[8:9], s[0:1]
	s_cbranch_execz .LBB1032_7
; %bb.6:
	v_add_f32_e32 v10, v10, v11
	v_lshrrev_b32_e32 v11, 4, v0
	v_and_b32_e32 v11, 60, v11
	ds_write_b32 v11, v10 offset:32
.LBB1032_7:
	s_or_b64 exec, exec, s[8:9]
	v_and_b32_e32 v10, 7, v0
	v_lshlrev_b32_e32 v34, 2, v10
	s_waitcnt lgkmcnt(0)
	s_barrier
	ds_read_b32 v10, v34 offset:32
	s_load_dwordx2 s[28:29], s[4:5], 0x18
	s_waitcnt lgkmcnt(0)
	v_mov_b32_dpp v11, v10 quad_perm:[1,0,3,2] row_mask:0xf bank_mask:0xf
	v_add_f32_e32 v10, v10, v11
	s_nop 1
	v_mov_b32_dpp v11, v10 quad_perm:[2,3,0,1] row_mask:0xf bank_mask:0xf
	v_add_f32_e32 v10, v10, v11
	s_nop 1
	v_mov_b32_dpp v11, v10 row_half_mirror row_mask:0xf bank_mask:0xf
	s_and_saveexec_b64 s[8:9], s[2:3]
	s_cbranch_execz .LBB1032_9
; %bb.8:
	v_cvt_f32_u32_e32 v12, s7
	v_add_f32_e32 v10, v10, v11
	v_mov_b32_e32 v14, s17
	v_mov_b32_e32 v15, s16
	v_div_scale_f32 v11, s[24:25], v12, v12, v10
	v_rcp_f32_e32 v13, v11
	v_cndmask_b32_e32 v14, v14, v15, vcc
	s_mov_b32 s7, 0x800000
	v_fma_f32 v15, -v11, v13, 1.0
	v_fmac_f32_e32 v13, v15, v13
	v_div_scale_f32 v15, vcc, v10, v12, v10
	v_mul_f32_e32 v16, v15, v13
	v_fma_f32 v17, -v11, v16, v15
	v_fmac_f32_e32 v16, v17, v13
	v_fma_f32 v11, -v11, v16, v15
	v_div_fmas_f32 v11, v11, v13, v16
	v_div_fixup_f32 v10, v11, v12, v10
	v_add_f32_e32 v10, v14, v10
	v_mul_f32_e32 v11, 0x4b800000, v10
	v_cmp_gt_f32_e32 vcc, s7, v10
	v_cndmask_b32_e32 v10, v10, v11, vcc
	v_rsq_f32_e32 v10, v10
	v_mul_f32_e32 v11, 0x45800000, v10
	v_cndmask_b32_e32 v10, v10, v11, vcc
	v_mov_b32_e32 v11, v10
	;;#ASMSTART
	v_pk_mul_f32 v[12:13], v[18:19], v[10:11]
	;;#ASMEND
	;;#ASMSTART
	v_pk_mul_f32 v[14:15], v[24:25], v[10:11]
	;;#ASMEND
	;; [unrolled: 3-line block ×8, first 2 shown]
	s_waitcnt vmcnt(1)
	v_cvt_f32_u32_sdwa v19, v6 dst_sel:DWORD dst_unused:UNUSED_PAD src0_sel:WORD_1
	v_cvt_f32_u32_sdwa v18, v6 dst_sel:DWORD dst_unused:UNUSED_PAD src0_sel:WORD_0
	v_cvt_f32_u32_sdwa v21, v7 dst_sel:DWORD dst_unused:UNUSED_PAD src0_sel:WORD_1
	v_cvt_f32_u32_sdwa v20, v7 dst_sel:DWORD dst_unused:UNUSED_PAD src0_sel:WORD_0
	;; [unrolled: 2-line block ×4, first 2 shown]
	;;#ASMSTART
	v_pk_mul_f32 v[18:19], v[12:13], v[18:19]
	;;#ASMEND
	;;#ASMSTART
	v_pk_mul_f32 v[24:25], v[14:15], v[20:21]
	;;#ASMEND
	;; [unrolled: 3-line block ×4, first 2 shown]
	s_waitcnt vmcnt(0)
	v_cvt_f32_u32_sdwa v7, v2 dst_sel:DWORD dst_unused:UNUSED_PAD src0_sel:WORD_1
	v_cvt_f32_u32_sdwa v6, v2 dst_sel:DWORD dst_unused:UNUSED_PAD src0_sel:WORD_0
	v_cvt_f32_u32_sdwa v9, v3 dst_sel:DWORD dst_unused:UNUSED_PAD src0_sel:WORD_1
	v_cvt_f32_u32_sdwa v8, v3 dst_sel:DWORD dst_unused:UNUSED_PAD src0_sel:WORD_0
	;; [unrolled: 2-line block ×4, first 2 shown]
	;;#ASMSTART
	v_pk_mul_f32 v[32:33], v[32:33], v[6:7]
	;;#ASMEND
	;;#ASMSTART
	v_pk_mul_f32 v[30:31], v[30:31], v[8:9]
	;;#ASMEND
	;; [unrolled: 3-line block ×4, first 2 shown]
.LBB1032_9:
	s_or_b64 exec, exec, s[8:9]
	s_load_dword s7, s[4:5], 0x80
	s_mov_b64 s[8:9], -1
	s_and_b64 vcc, exec, s[14:15]
	s_cbranch_vccnz .LBB1032_13
; %bb.10:
	s_andn2_b64 vcc, exec, s[8:9]
	s_cbranch_vccz .LBB1032_16
.LBB1032_11:
	s_cmp_lt_i32 s20, 1
	s_cbranch_scc0 .LBB1032_23
.LBB1032_12:
	s_endpgm
.LBB1032_13:
	s_and_saveexec_b64 s[14:15], s[2:3]
	s_cbranch_execz .LBB1032_15
; %bb.14:
	s_waitcnt lgkmcnt(0)
	s_mul_hi_i32 s9, s7, s6
	s_mul_i32 s8, s7, s6
	s_lshl_b64 s[8:9], s[8:9], 1
	s_add_u32 s8, s28, s8
	s_addc_u32 s9, s29, s9
	s_mov_b32 s16, 0x7060302
	s_and_b32 s9, s9, 0xffff
	s_mov_b32 s11, 0x20000
	s_waitcnt vmcnt(0)
	v_perm_b32 v5, v23, v22, s16
	v_perm_b32 v4, v21, v20, s16
	;; [unrolled: 1-line block ×4, first 2 shown]
	v_lshlrev_b32_e32 v6, 5, v0
	buffer_store_dwordx4 v[2:5], v6, s[8:11], 0 offen
	;;#ASMSTART
	s_nop 0
	;;#ASMEND
	s_nop 0
	v_perm_b32 v5, v29, v28, s16
	v_perm_b32 v4, v27, v26, s16
	;; [unrolled: 1-line block ×4, first 2 shown]
	buffer_store_dwordx4 v[2:5], v6, s[8:11], 16 offen
	;;#ASMSTART
	s_nop 0
	;;#ASMEND
.LBB1032_15:
	s_or_b64 exec, exec, s[14:15]
	s_cbranch_execnz .LBB1032_11
.LBB1032_16:
	s_waitcnt vmcnt(0)
	v_mov_b32_e32 v2, 0
	s_and_saveexec_b64 s[8:9], s[2:3]
	s_cbranch_execz .LBB1032_18
; %bb.17:
	v_and_b32_e32 v2, 0x7fffffff, v18
	v_and_b32_e32 v3, 0x7fffffff, v19
	v_mov_b32_e32 v4, 0x2edbe6ff
	;;#ASMSTART
	v_max3_f32 v2, v4, v2, v3

	;;#ASMEND
	v_and_b32_e32 v3, 0x7fffffff, v24
	v_and_b32_e32 v4, 0x7fffffff, v25
	;;#ASMSTART
	v_max3_f32 v2, v2, v3, v4

	;;#ASMEND
	v_and_b32_e32 v3, 0x7fffffff, v20
	v_and_b32_e32 v4, 0x7fffffff, v21
	;; [unrolled: 6-line block ×7, first 2 shown]
	;;#ASMSTART
	v_max3_f32 v2, v2, v3, v4

	;;#ASMEND
.LBB1032_18:
	s_or_b64 exec, exec, s[8:9]
	s_load_dwordx4 s[24:27], s[4:5], 0x70
	;;#ASMSTART
	v_max_f32 v3, v2, v2 quad_perm:[1,0,3,2] row_mask:0xf bank_mask:0xf bound_ctrl:1
	;;#ASMEND
	v_and_b32_e32 v2, 1, v0
	v_cmp_eq_u32_e32 vcc, 0, v2
	v_cmp_gt_i32_e64 s[8:9], s19, v1
	s_and_b64 s[10:11], vcc, s[8:9]
	s_and_saveexec_b64 s[8:9], s[10:11]
	s_cbranch_execz .LBB1032_20
; %bb.19:
	s_load_dwordx2 s[10:11], s[4:5], 0x8
	v_mul_f32_e32 v2, 0x3e2aaaab, v3
	v_lshrrev_b32_e32 v3, 23, v2
	v_and_b32_e32 v4, 0x7f800000, v2
	v_and_b32_e32 v2, 0x7fffff, v2
	v_cmp_ne_u32_e32 vcc, 0, v2
	s_waitcnt lgkmcnt(0)
	s_mul_i32 s16, s25, s6
	s_mov_b32 s14, 0x7f800000
	v_addc_co_u32_e32 v2, vcc, 0, v3, vcc
	s_mul_hi_i32 s15, s25, s6
	s_add_u32 s10, s10, s16
	v_cmp_ne_u32_e32 vcc, s14, v4
	s_addc_u32 s11, s11, s15
	v_lshrrev_b32_e32 v5, 1, v0
	v_cndmask_b32_e32 v4, -1, v2, vcc
	v_pk_mov_b32 v[2:3], s[10:11], s[10:11] op_sel:[0,1]
	v_mad_i64_i32 v[2:3], s[10:11], s26, v5, v[2:3]
	global_store_byte v[2:3], v4, off
.LBB1032_20:
	s_or_b64 exec, exec, s[8:9]
	s_and_saveexec_b64 s[8:9], s[2:3]
	s_cbranch_execz .LBB1032_22
; %bb.21:
	s_load_dwordx2 s[2:3], s[4:5], 0x0
	s_waitcnt lgkmcnt(0)
	s_mul_i32 s11, s24, s6
	s_mul_hi_i32 s10, s24, s6
	v_mov_b32_e32 v2, 0
	v_lshlrev_b32_e32 v4, 3, v0
	s_add_u32 s24, s2, s11
	s_addc_u32 s2, s3, s10
	s_lshr_b32 s3, s19, 31
	s_add_i32 s3, s19, s3
	s_ashr_i32 s3, s3, 1
	s_add_i32 s3, s3, 3
	s_ashr_i32 s10, s3, 31
	s_lshr_b32 s10, s10, 30
	s_add_i32 s3, s3, s10
	s_and_b32 s26, s3, -4
	s_and_b32 s25, s2, 0xffff
	s_mov_b32 s27, 0x20000
	v_mov_b32_e32 v3, v2
	buffer_store_dwordx2 v[2:3], v4, s[24:27], 0 offen
	;;#ASMSTART
	s_nop 0
	;;#ASMEND
.LBB1032_22:
	s_or_b64 exec, exec, s[8:9]
	s_cmp_lt_i32 s20, 1
	s_cbranch_scc1 .LBB1032_12
.LBB1032_23:
	s_load_dword s2, s[4:5], 0x94
	s_waitcnt lgkmcnt(0)
	s_cmp_lg_u32 s2, 1
	s_cbranch_scc1 .LBB1032_12
; %bb.24:
	s_lshl_b32 s2, s20, 1
	s_add_i32 s2, s2, 2
	v_cmp_gt_u32_e32 vcc, s20, v1
	s_and_b32 s14, s2, -4
	v_mov_b32_e32 v18, 0
	v_lshlrev_b32_e32 v1, 5, v0
	v_mov_b32_e32 v14, 0
	v_mov_b32_e32 v15, 0
	;; [unrolled: 1-line block ×8, first 2 shown]
	s_waitcnt vmcnt(1)
	v_mov_b32_e32 v6, 0
	v_mov_b32_e32 v7, 0
	;; [unrolled: 1-line block ×4, first 2 shown]
	s_waitcnt vmcnt(0)
	v_mov_b32_e32 v2, 0
	v_mov_b32_e32 v3, 0
	;; [unrolled: 1-line block ×4, first 2 shown]
	s_barrier
	s_and_saveexec_b64 s[2:3], vcc
	s_cbranch_execz .LBB1032_26
; %bb.25:
	s_mul_hi_i32 s5, s22, s6
	s_mul_i32 s4, s22, s6
	s_and_b32 s13, s13, 0xffff
	s_lshl_b64 s[4:5], s[4:5], 1
	s_add_u32 s8, s30, s4
	s_mov_b32 s15, 0x20000
	s_addc_u32 s4, s31, s5
	s_and_b32 s9, s4, 0xffff
	s_mov_b32 s10, s14
	s_mov_b32 s11, s15
	buffer_load_dwordx4 v[14:17], v1, s[8:11], 0 offen
	buffer_load_dwordx4 v[10:13], v1, s[8:11], 16 offen
	;; [unrolled: 1-line block ×4, first 2 shown]
.LBB1032_26:
	s_or_b64 exec, exec, s[2:3]
	v_mov_b32_e32 v19, 0
	v_mov_b32_e32 v32, 0
	;; [unrolled: 1-line block ×15, first 2 shown]
	s_and_saveexec_b64 s[2:3], vcc
	s_cbranch_execz .LBB1032_28
; %bb.27:
	s_waitcnt vmcnt(3)
	v_cvt_f32_u32_sdwa v18, v14 dst_sel:DWORD dst_unused:UNUSED_PAD src0_sel:WORD_0
	v_cvt_f32_u32_sdwa v19, v14 dst_sel:DWORD dst_unused:UNUSED_PAD src0_sel:WORD_1
	v_cvt_f32_u32_sdwa v32, v15 dst_sel:DWORD dst_unused:UNUSED_PAD src0_sel:WORD_0
	v_cvt_f32_u32_sdwa v33, v15 dst_sel:DWORD dst_unused:UNUSED_PAD src0_sel:WORD_1
	;; [unrolled: 2-line block ×4, first 2 shown]
	s_waitcnt vmcnt(2)
	v_cvt_f32_u32_sdwa v26, v10 dst_sel:DWORD dst_unused:UNUSED_PAD src0_sel:WORD_0
	v_cvt_f32_u32_sdwa v27, v10 dst_sel:DWORD dst_unused:UNUSED_PAD src0_sel:WORD_1
	v_cvt_f32_u32_sdwa v24, v11 dst_sel:DWORD dst_unused:UNUSED_PAD src0_sel:WORD_0
	v_cvt_f32_u32_sdwa v25, v11 dst_sel:DWORD dst_unused:UNUSED_PAD src0_sel:WORD_1
	;; [unrolled: 2-line block ×4, first 2 shown]
.LBB1032_28:
	s_or_b64 exec, exec, s[2:3]
	s_waitcnt vmcnt(2)
	v_mul_f32_e32 v10, v19, v19
	v_fmac_f32_e32 v10, v18, v18
	v_fmac_f32_e32 v10, v32, v32
	v_fmac_f32_e32 v10, v33, v33
	v_fmac_f32_e32 v10, v30, v30
	v_fmac_f32_e32 v10, v31, v31
	v_fmac_f32_e32 v10, v28, v28
	v_fmac_f32_e32 v10, v29, v29
	v_fmac_f32_e32 v10, v26, v26
	v_fmac_f32_e32 v10, v27, v27
	v_fmac_f32_e32 v10, v24, v24
	v_fmac_f32_e32 v10, v25, v25
	v_fmac_f32_e32 v10, v22, v22
	v_fmac_f32_e32 v10, v23, v23
	v_fmac_f32_e32 v10, v20, v20
	v_fmac_f32_e32 v10, v21, v21
	s_nop 1
	v_mov_b32_dpp v11, v10 quad_perm:[1,0,3,2] row_mask:0xf bank_mask:0xf
	v_add_f32_e32 v10, v10, v11
	s_nop 1
	v_mov_b32_dpp v11, v10 quad_perm:[2,3,0,1] row_mask:0xf bank_mask:0xf
	v_add_f32_e32 v10, v10, v11
	s_nop 1
	v_mov_b32_dpp v11, v10 row_half_mirror row_mask:0xf bank_mask:0xf
	v_add_f32_e32 v10, v10, v11
	s_nop 1
	v_mov_b32_dpp v11, v10 row_mirror row_mask:0xf bank_mask:0xf
	v_add_f32_e32 v10, v10, v11
	s_nop 1
	v_mov_b32_dpp v11, v10 row_bcast:15 row_mask:0xf bank_mask:0xf
	v_add_f32_e32 v10, v10, v11
	s_nop 1
	v_mov_b32_dpp v11, v10 row_bcast:31 row_mask:0xf bank_mask:0xf
	s_and_saveexec_b64 s[2:3], s[0:1]
	s_cbranch_execz .LBB1032_30
; %bb.29:
	v_lshrrev_b32_e32 v0, 4, v0
	v_add_f32_e32 v10, v10, v11
	v_and_b32_e32 v0, 60, v0
	ds_write_b32 v0, v10
.LBB1032_30:
	s_or_b64 exec, exec, s[2:3]
	s_waitcnt lgkmcnt(0)
	s_barrier
	ds_read_b32 v0, v34
	s_waitcnt lgkmcnt(0)
	s_nop 0
	v_mov_b32_dpp v10, v0 quad_perm:[1,0,3,2] row_mask:0xf bank_mask:0xf
	v_add_f32_e32 v0, v0, v10
	s_nop 1
	v_mov_b32_dpp v10, v0 quad_perm:[2,3,0,1] row_mask:0xf bank_mask:0xf
	v_add_f32_e32 v0, v0, v10
	s_nop 1
	v_mov_b32_dpp v10, v0 row_half_mirror row_mask:0xf bank_mask:0xf
	s_and_saveexec_b64 s[0:1], vcc
	s_cbranch_execz .LBB1032_12
; %bb.31:
	v_cvt_f32_u32_e32 v11, s20
	v_add_f32_e32 v0, v0, v10
	s_mov_b32 s15, 0x20000
	v_div_scale_f32 v10, s[0:1], v11, v11, v0
	v_rcp_f32_e32 v12, v10
	v_div_scale_f32 v13, vcc, v0, v11, v0
	s_mov_b32 s0, 0x800000
	v_fma_f32 v14, -v10, v12, 1.0
	v_fmac_f32_e32 v12, v14, v12
	v_mul_f32_e32 v14, v13, v12
	v_fma_f32 v15, -v10, v14, v13
	v_fmac_f32_e32 v14, v15, v12
	v_fma_f32 v10, -v10, v14, v13
	v_div_fmas_f32 v10, v10, v12, v14
	v_div_fixup_f32 v0, v10, v11, v0
	v_add_f32_e32 v0, s17, v0
	v_mul_f32_e32 v10, 0x4b800000, v0
	v_cmp_gt_f32_e32 vcc, s0, v0
	v_cndmask_b32_e32 v0, v0, v10, vcc
	v_rsq_f32_e32 v0, v0
	s_mul_hi_i32 s1, s7, s6
	s_mul_i32 s0, s7, s6
	s_lshl_b64 s[0:1], s[0:1], 1
	v_mul_f32_e32 v10, 0x45800000, v0
	v_cndmask_b32_e32 v10, v0, v10, vcc
	v_mov_b32_e32 v11, v10
	s_add_u32 s12, s28, s0
	;;#ASMSTART
	v_pk_mul_f32 v[12:13], v[18:19], v[10:11]
	;;#ASMEND
	;;#ASMSTART
	v_pk_mul_f32 v[14:15], v[32:33], v[10:11]
	;;#ASMEND
	;; [unrolled: 3-line block ×8, first 2 shown]
	s_waitcnt vmcnt(1)
	v_cvt_f32_u32_sdwa v21, v6 dst_sel:DWORD dst_unused:UNUSED_PAD src0_sel:WORD_1
	v_cvt_f32_u32_sdwa v20, v6 dst_sel:DWORD dst_unused:UNUSED_PAD src0_sel:WORD_0
	v_cvt_f32_u32_sdwa v29, v7 dst_sel:DWORD dst_unused:UNUSED_PAD src0_sel:WORD_1
	v_cvt_f32_u32_sdwa v28, v7 dst_sel:DWORD dst_unused:UNUSED_PAD src0_sel:WORD_0
	;; [unrolled: 2-line block ×3, first 2 shown]
	s_addc_u32 s0, s29, s1
	v_cvt_f32_u32_sdwa v31, v9 dst_sel:DWORD dst_unused:UNUSED_PAD src0_sel:WORD_1
	v_cvt_f32_u32_sdwa v30, v9 dst_sel:DWORD dst_unused:UNUSED_PAD src0_sel:WORD_0
	;;#ASMSTART
	v_pk_mul_f32 v[8:9], v[12:13], v[20:21]
	;;#ASMEND
	;;#ASMSTART
	v_pk_mul_f32 v[12:13], v[14:15], v[28:29]
	;;#ASMEND
	;; [unrolled: 3-line block ×4, first 2 shown]
	s_waitcnt vmcnt(0)
	v_cvt_f32_u32_sdwa v17, v2 dst_sel:DWORD dst_unused:UNUSED_PAD src0_sel:WORD_1
	v_cvt_f32_u32_sdwa v16, v2 dst_sel:DWORD dst_unused:UNUSED_PAD src0_sel:WORD_0
	v_cvt_f32_u32_sdwa v19, v3 dst_sel:DWORD dst_unused:UNUSED_PAD src0_sel:WORD_1
	v_cvt_f32_u32_sdwa v18, v3 dst_sel:DWORD dst_unused:UNUSED_PAD src0_sel:WORD_0
	;; [unrolled: 2-line block ×3, first 2 shown]
	s_and_b32 s13, s0, 0xffff
	s_mov_b32 s0, 0x7060302
	v_cvt_f32_u32_sdwa v21, v5 dst_sel:DWORD dst_unused:UNUSED_PAD src0_sel:WORD_1
	v_cvt_f32_u32_sdwa v20, v5 dst_sel:DWORD dst_unused:UNUSED_PAD src0_sel:WORD_0
	;;#ASMSTART
	v_pk_mul_f32 v[16:17], v[26:27], v[16:17]
	;;#ASMEND
	;;#ASMSTART
	v_pk_mul_f32 v[18:19], v[24:25], v[18:19]
	;;#ASMEND
	;; [unrolled: 3-line block ×3, first 2 shown]
	v_perm_b32 v2, v9, v8, s0
	v_perm_b32 v3, v13, v12, s0
	;; [unrolled: 1-line block ×4, first 2 shown]
	;;#ASMSTART
	v_pk_mul_f32 v[10:11], v[10:11], v[20:21]
	;;#ASMEND
	buffer_store_dwordx4 v[2:5], v1, s[12:15], 0 offen
	;;#ASMSTART
	s_nop 0
	;;#ASMEND
	s_nop 0
	v_perm_b32 v2, v17, v16, s0
	v_perm_b32 v3, v19, v18, s0
	;; [unrolled: 1-line block ×4, first 2 shown]
	buffer_store_dwordx4 v[2:5], v1, s[12:15], 16 offen
	;;#ASMSTART
	s_nop 0
	;;#ASMEND
	s_endpgm
	.section	.rodata,"a",@progbits
	.p2align	6, 0x0
	.amdhsa_kernel _ZN5aiter35fused_qk_rmsnorm_group_quant_kernelItN4opus5fp4_tELi512ELi16ELi2ELb0ELb0ELb0ELb0ELb0ELb0EEEvPT0_PvPT_S7_S7_PKS6_S9_S9_S9_S9_ffiiiiiiiiiiiii
		.amdhsa_group_segment_fixed_size 64
		.amdhsa_private_segment_fixed_size 0
		.amdhsa_kernarg_size 400
		.amdhsa_user_sgpr_count 6
		.amdhsa_user_sgpr_private_segment_buffer 1
		.amdhsa_user_sgpr_dispatch_ptr 0
		.amdhsa_user_sgpr_queue_ptr 0
		.amdhsa_user_sgpr_kernarg_segment_ptr 1
		.amdhsa_user_sgpr_dispatch_id 0
		.amdhsa_user_sgpr_flat_scratch_init 0
		.amdhsa_user_sgpr_kernarg_preload_length 0
		.amdhsa_user_sgpr_kernarg_preload_offset 0
		.amdhsa_user_sgpr_private_segment_size 0
		.amdhsa_uses_dynamic_stack 0
		.amdhsa_system_sgpr_private_segment_wavefront_offset 0
		.amdhsa_system_sgpr_workgroup_id_x 1
		.amdhsa_system_sgpr_workgroup_id_y 1
		.amdhsa_system_sgpr_workgroup_id_z 0
		.amdhsa_system_sgpr_workgroup_info 0
		.amdhsa_system_vgpr_workitem_id 0
		.amdhsa_next_free_vgpr 35
		.amdhsa_next_free_sgpr 32
		.amdhsa_accum_offset 36
		.amdhsa_reserve_vcc 1
		.amdhsa_reserve_flat_scratch 0
		.amdhsa_float_round_mode_32 0
		.amdhsa_float_round_mode_16_64 0
		.amdhsa_float_denorm_mode_32 3
		.amdhsa_float_denorm_mode_16_64 3
		.amdhsa_dx10_clamp 1
		.amdhsa_ieee_mode 1
		.amdhsa_fp16_overflow 0
		.amdhsa_tg_split 0
		.amdhsa_exception_fp_ieee_invalid_op 0
		.amdhsa_exception_fp_denorm_src 0
		.amdhsa_exception_fp_ieee_div_zero 0
		.amdhsa_exception_fp_ieee_overflow 0
		.amdhsa_exception_fp_ieee_underflow 0
		.amdhsa_exception_fp_ieee_inexact 0
		.amdhsa_exception_int_div_zero 0
	.end_amdhsa_kernel
	.section	.text._ZN5aiter35fused_qk_rmsnorm_group_quant_kernelItN4opus5fp4_tELi512ELi16ELi2ELb0ELb0ELb0ELb0ELb0ELb0EEEvPT0_PvPT_S7_S7_PKS6_S9_S9_S9_S9_ffiiiiiiiiiiiii,"axG",@progbits,_ZN5aiter35fused_qk_rmsnorm_group_quant_kernelItN4opus5fp4_tELi512ELi16ELi2ELb0ELb0ELb0ELb0ELb0ELb0EEEvPT0_PvPT_S7_S7_PKS6_S9_S9_S9_S9_ffiiiiiiiiiiiii,comdat
.Lfunc_end1032:
	.size	_ZN5aiter35fused_qk_rmsnorm_group_quant_kernelItN4opus5fp4_tELi512ELi16ELi2ELb0ELb0ELb0ELb0ELb0ELb0EEEvPT0_PvPT_S7_S7_PKS6_S9_S9_S9_S9_ffiiiiiiiiiiiii, .Lfunc_end1032-_ZN5aiter35fused_qk_rmsnorm_group_quant_kernelItN4opus5fp4_tELi512ELi16ELi2ELb0ELb0ELb0ELb0ELb0ELb0EEEvPT0_PvPT_S7_S7_PKS6_S9_S9_S9_S9_ffiiiiiiiiiiiii
                                        ; -- End function
	.section	.AMDGPU.csdata,"",@progbits
; Kernel info:
; codeLenInByte = 3160
; NumSgprs: 36
; NumVgprs: 35
; NumAgprs: 0
; TotalNumVgprs: 35
; ScratchSize: 0
; MemoryBound: 0
; FloatMode: 240
; IeeeMode: 1
; LDSByteSize: 64 bytes/workgroup (compile time only)
; SGPRBlocks: 4
; VGPRBlocks: 4
; NumSGPRsForWavesPerEU: 36
; NumVGPRsForWavesPerEU: 35
; AccumOffset: 36
; Occupancy: 8
; WaveLimiterHint : 0
; COMPUTE_PGM_RSRC2:SCRATCH_EN: 0
; COMPUTE_PGM_RSRC2:USER_SGPR: 6
; COMPUTE_PGM_RSRC2:TRAP_HANDLER: 0
; COMPUTE_PGM_RSRC2:TGID_X_EN: 1
; COMPUTE_PGM_RSRC2:TGID_Y_EN: 1
; COMPUTE_PGM_RSRC2:TGID_Z_EN: 0
; COMPUTE_PGM_RSRC2:TIDIG_COMP_CNT: 0
; COMPUTE_PGM_RSRC3_GFX90A:ACCUM_OFFSET: 8
; COMPUTE_PGM_RSRC3_GFX90A:TG_SPLIT: 0
	.text
	.p2alignl 6, 3212836864
	.fill 256, 4, 3212836864
	.type	__hip_cuid_71a75907495bd7f4,@object ; @__hip_cuid_71a75907495bd7f4
	.section	.bss,"aw",@nobits
	.globl	__hip_cuid_71a75907495bd7f4
__hip_cuid_71a75907495bd7f4:
	.byte	0                               ; 0x0
	.size	__hip_cuid_71a75907495bd7f4, 1

	.ident	"AMD clang version 19.0.0git (https://github.com/RadeonOpenCompute/llvm-project roc-6.4.0 25133 c7fe45cf4b819c5991fe208aaa96edf142730f1d)"
	.section	".note.GNU-stack","",@progbits
	.addrsig
	.addrsig_sym __hip_cuid_71a75907495bd7f4
	.amdgpu_metadata
---
amdhsa.kernels:
  - .agpr_count:     0
    .args:           []
    .group_segment_fixed_size: 0
    .kernarg_segment_align: 4
    .kernarg_segment_size: 0
    .language:       OpenCL C
    .language_version:
      - 2
      - 0
    .max_flat_workgroup_size: 1024
    .name:           _ZN7ck_tileL11flush_cacheEv
    .private_segment_fixed_size: 0
    .sgpr_count:     4
    .sgpr_spill_count: 0
    .symbol:         _ZN7ck_tileL11flush_cacheEv.kd
    .uniform_work_group_size: 1
    .uses_dynamic_stack: false
    .vgpr_count:     0
    .vgpr_spill_count: 0
    .wavefront_size: 64
  - .agpr_count:     0
    .args:
      - .actual_access:  write_only
        .address_space:  global
        .offset:         0
        .size:           8
        .value_kind:     global_buffer
      - .actual_access:  write_only
        .address_space:  global
        .offset:         8
        .size:           8
        .value_kind:     global_buffer
      - .actual_access:  write_only
        .address_space:  global
        .offset:         16
        .size:           8
        .value_kind:     global_buffer
      - .actual_access:  write_only
        .address_space:  global
        .offset:         24
        .size:           8
        .value_kind:     global_buffer
      - .actual_access:  write_only
        .address_space:  global
        .offset:         32
        .size:           8
        .value_kind:     global_buffer
      - .actual_access:  read_only
        .address_space:  global
        .offset:         40
        .size:           8
        .value_kind:     global_buffer
      - .actual_access:  read_only
        .address_space:  global
        .offset:         48
        .size:           8
        .value_kind:     global_buffer
      - .actual_access:  read_only
        .address_space:  global
        .offset:         56
        .size:           8
        .value_kind:     global_buffer
      - .actual_access:  read_only
        .address_space:  global
        .offset:         64
        .size:           8
        .value_kind:     global_buffer
      - .actual_access:  read_only
        .address_space:  global
        .offset:         72
        .size:           8
        .value_kind:     global_buffer
      - .offset:         80
        .size:           4
        .value_kind:     by_value
      - .offset:         84
        .size:           4
        .value_kind:     by_value
      - .offset:         88
        .size:           4
        .value_kind:     by_value
      - .offset:         92
        .size:           4
        .value_kind:     by_value
      - .offset:         96
        .size:           4
        .value_kind:     by_value
      - .offset:         100
        .size:           4
        .value_kind:     by_value
      - .offset:         104
        .size:           4
        .value_kind:     by_value
      - .offset:         108
        .size:           4
        .value_kind:     by_value
      - .offset:         112
        .size:           4
        .value_kind:     by_value
      - .offset:         116
        .size:           4
        .value_kind:     by_value
      - .offset:         120
        .size:           4
        .value_kind:     by_value
      - .offset:         124
        .size:           4
        .value_kind:     by_value
      - .offset:         128
        .size:           4
        .value_kind:     by_value
      - .offset:         132
        .size:           4
        .value_kind:     by_value
      - .offset:         136
        .size:           4
        .value_kind:     by_value
      - .offset:         144
        .size:           4
        .value_kind:     hidden_block_count_x
      - .offset:         148
        .size:           4
        .value_kind:     hidden_block_count_y
      - .offset:         152
        .size:           4
        .value_kind:     hidden_block_count_z
      - .offset:         156
        .size:           2
        .value_kind:     hidden_group_size_x
      - .offset:         158
        .size:           2
        .value_kind:     hidden_group_size_y
      - .offset:         160
        .size:           2
        .value_kind:     hidden_group_size_z
      - .offset:         162
        .size:           2
        .value_kind:     hidden_remainder_x
      - .offset:         164
        .size:           2
        .value_kind:     hidden_remainder_y
      - .offset:         166
        .size:           2
        .value_kind:     hidden_remainder_z
      - .offset:         184
        .size:           8
        .value_kind:     hidden_global_offset_x
      - .offset:         192
        .size:           8
        .value_kind:     hidden_global_offset_y
      - .offset:         200
        .size:           8
        .value_kind:     hidden_global_offset_z
      - .offset:         208
        .size:           2
        .value_kind:     hidden_grid_dims
    .group_segment_fixed_size: 0
    .kernarg_segment_align: 8
    .kernarg_segment_size: 400
    .language:       OpenCL C
    .language_version:
      - 2
      - 0
    .max_flat_workgroup_size: 1024
    .name:           _ZN5aiter35fused_qk_rmsnorm_group_quant_kernelIDF16_DB8_Li64ELi8ELi1ELb1ELb1ELb1ELb0ELb1ELb1EEEvPT0_PvPT_S6_S6_PKS5_S8_S8_S8_S8_ffiiiiiiiiiiiii
    .private_segment_fixed_size: 0
    .sgpr_count:     44
    .sgpr_spill_count: 0
    .symbol:         _ZN5aiter35fused_qk_rmsnorm_group_quant_kernelIDF16_DB8_Li64ELi8ELi1ELb1ELb1ELb1ELb0ELb1ELb1EEEvPT0_PvPT_S6_S6_PKS5_S8_S8_S8_S8_ffiiiiiiiiiiiii.kd
    .uniform_work_group_size: 1
    .uses_dynamic_stack: false
    .vgpr_count:     31
    .vgpr_spill_count: 0
    .wavefront_size: 64
  - .agpr_count:     0
    .args:
      - .actual_access:  write_only
        .address_space:  global
        .offset:         0
        .size:           8
        .value_kind:     global_buffer
      - .actual_access:  write_only
        .address_space:  global
        .offset:         8
        .size:           8
        .value_kind:     global_buffer
      - .actual_access:  write_only
        .address_space:  global
        .offset:         16
        .size:           8
        .value_kind:     global_buffer
      - .actual_access:  write_only
        .address_space:  global
        .offset:         24
        .size:           8
        .value_kind:     global_buffer
      - .actual_access:  write_only
        .address_space:  global
        .offset:         32
        .size:           8
        .value_kind:     global_buffer
      - .actual_access:  read_only
        .address_space:  global
        .offset:         40
        .size:           8
        .value_kind:     global_buffer
      - .actual_access:  read_only
        .address_space:  global
        .offset:         48
        .size:           8
        .value_kind:     global_buffer
      - .actual_access:  read_only
        .address_space:  global
        .offset:         56
        .size:           8
        .value_kind:     global_buffer
      - .actual_access:  read_only
        .address_space:  global
        .offset:         64
        .size:           8
        .value_kind:     global_buffer
      - .actual_access:  read_only
        .address_space:  global
        .offset:         72
        .size:           8
        .value_kind:     global_buffer
      - .offset:         80
        .size:           4
        .value_kind:     by_value
      - .offset:         84
        .size:           4
        .value_kind:     by_value
      - .offset:         88
        .size:           4
        .value_kind:     by_value
      - .offset:         92
        .size:           4
        .value_kind:     by_value
      - .offset:         96
        .size:           4
        .value_kind:     by_value
      - .offset:         100
        .size:           4
        .value_kind:     by_value
      - .offset:         104
        .size:           4
        .value_kind:     by_value
      - .offset:         108
        .size:           4
        .value_kind:     by_value
      - .offset:         112
        .size:           4
        .value_kind:     by_value
      - .offset:         116
        .size:           4
        .value_kind:     by_value
      - .offset:         120
        .size:           4
        .value_kind:     by_value
      - .offset:         124
        .size:           4
        .value_kind:     by_value
      - .offset:         128
        .size:           4
        .value_kind:     by_value
      - .offset:         132
        .size:           4
        .value_kind:     by_value
      - .offset:         136
        .size:           4
        .value_kind:     by_value
      - .offset:         144
        .size:           4
        .value_kind:     hidden_block_count_x
      - .offset:         148
        .size:           4
        .value_kind:     hidden_block_count_y
      - .offset:         152
        .size:           4
        .value_kind:     hidden_block_count_z
      - .offset:         156
        .size:           2
        .value_kind:     hidden_group_size_x
      - .offset:         158
        .size:           2
        .value_kind:     hidden_group_size_y
      - .offset:         160
        .size:           2
        .value_kind:     hidden_group_size_z
      - .offset:         162
        .size:           2
        .value_kind:     hidden_remainder_x
      - .offset:         164
        .size:           2
        .value_kind:     hidden_remainder_y
      - .offset:         166
        .size:           2
        .value_kind:     hidden_remainder_z
      - .offset:         184
        .size:           8
        .value_kind:     hidden_global_offset_x
      - .offset:         192
        .size:           8
        .value_kind:     hidden_global_offset_y
      - .offset:         200
        .size:           8
        .value_kind:     hidden_global_offset_z
      - .offset:         208
        .size:           2
        .value_kind:     hidden_grid_dims
    .group_segment_fixed_size: 0
    .kernarg_segment_align: 8
    .kernarg_segment_size: 400
    .language:       OpenCL C
    .language_version:
      - 2
      - 0
    .max_flat_workgroup_size: 1024
    .name:           _ZN5aiter35fused_qk_rmsnorm_group_quant_kernelItDB8_Li64ELi8ELi1ELb1ELb1ELb1ELb0ELb1ELb1EEEvPT0_PvPT_S6_S6_PKS5_S8_S8_S8_S8_ffiiiiiiiiiiiii
    .private_segment_fixed_size: 0
    .sgpr_count:     48
    .sgpr_spill_count: 0
    .symbol:         _ZN5aiter35fused_qk_rmsnorm_group_quant_kernelItDB8_Li64ELi8ELi1ELb1ELb1ELb1ELb0ELb1ELb1EEEvPT0_PvPT_S6_S6_PKS5_S8_S8_S8_S8_ffiiiiiiiiiiiii.kd
    .uniform_work_group_size: 1
    .uses_dynamic_stack: false
    .vgpr_count:     27
    .vgpr_spill_count: 0
    .wavefront_size: 64
  - .agpr_count:     0
    .args:
      - .actual_access:  write_only
        .address_space:  global
        .offset:         0
        .size:           8
        .value_kind:     global_buffer
      - .actual_access:  write_only
        .address_space:  global
        .offset:         8
        .size:           8
        .value_kind:     global_buffer
      - .actual_access:  write_only
        .address_space:  global
        .offset:         16
        .size:           8
        .value_kind:     global_buffer
      - .actual_access:  write_only
        .address_space:  global
        .offset:         24
        .size:           8
        .value_kind:     global_buffer
      - .actual_access:  write_only
        .address_space:  global
        .offset:         32
        .size:           8
        .value_kind:     global_buffer
      - .actual_access:  read_only
        .address_space:  global
        .offset:         40
        .size:           8
        .value_kind:     global_buffer
      - .actual_access:  read_only
        .address_space:  global
        .offset:         48
        .size:           8
        .value_kind:     global_buffer
      - .actual_access:  read_only
        .address_space:  global
        .offset:         56
        .size:           8
        .value_kind:     global_buffer
      - .actual_access:  read_only
        .address_space:  global
        .offset:         64
        .size:           8
        .value_kind:     global_buffer
      - .actual_access:  read_only
        .address_space:  global
        .offset:         72
        .size:           8
        .value_kind:     global_buffer
      - .offset:         80
        .size:           4
        .value_kind:     by_value
      - .offset:         84
        .size:           4
        .value_kind:     by_value
      - .offset:         88
        .size:           4
        .value_kind:     by_value
      - .offset:         92
        .size:           4
        .value_kind:     by_value
      - .offset:         96
        .size:           4
        .value_kind:     by_value
      - .offset:         100
        .size:           4
        .value_kind:     by_value
      - .offset:         104
        .size:           4
        .value_kind:     by_value
      - .offset:         108
        .size:           4
        .value_kind:     by_value
      - .offset:         112
        .size:           4
        .value_kind:     by_value
      - .offset:         116
        .size:           4
        .value_kind:     by_value
      - .offset:         120
        .size:           4
        .value_kind:     by_value
      - .offset:         124
        .size:           4
        .value_kind:     by_value
      - .offset:         128
        .size:           4
        .value_kind:     by_value
      - .offset:         132
        .size:           4
        .value_kind:     by_value
      - .offset:         136
        .size:           4
        .value_kind:     by_value
      - .offset:         144
        .size:           4
        .value_kind:     hidden_block_count_x
      - .offset:         148
        .size:           4
        .value_kind:     hidden_block_count_y
      - .offset:         152
        .size:           4
        .value_kind:     hidden_block_count_z
      - .offset:         156
        .size:           2
        .value_kind:     hidden_group_size_x
      - .offset:         158
        .size:           2
        .value_kind:     hidden_group_size_y
      - .offset:         160
        .size:           2
        .value_kind:     hidden_group_size_z
      - .offset:         162
        .size:           2
        .value_kind:     hidden_remainder_x
      - .offset:         164
        .size:           2
        .value_kind:     hidden_remainder_y
      - .offset:         166
        .size:           2
        .value_kind:     hidden_remainder_z
      - .offset:         184
        .size:           8
        .value_kind:     hidden_global_offset_x
      - .offset:         192
        .size:           8
        .value_kind:     hidden_global_offset_y
      - .offset:         200
        .size:           8
        .value_kind:     hidden_global_offset_z
      - .offset:         208
        .size:           2
        .value_kind:     hidden_grid_dims
    .group_segment_fixed_size: 0
    .kernarg_segment_align: 8
    .kernarg_segment_size: 400
    .language:       OpenCL C
    .language_version:
      - 2
      - 0
    .max_flat_workgroup_size: 1024
    .name:           _ZN5aiter35fused_qk_rmsnorm_group_quant_kernelIDF16_DB8_Li64ELi8ELi1ELb1ELb1ELb0ELb0ELb1ELb1EEEvPT0_PvPT_S6_S6_PKS5_S8_S8_S8_S8_ffiiiiiiiiiiiii
    .private_segment_fixed_size: 0
    .sgpr_count:     44
    .sgpr_spill_count: 0
    .symbol:         _ZN5aiter35fused_qk_rmsnorm_group_quant_kernelIDF16_DB8_Li64ELi8ELi1ELb1ELb1ELb0ELb0ELb1ELb1EEEvPT0_PvPT_S6_S6_PKS5_S8_S8_S8_S8_ffiiiiiiiiiiiii.kd
    .uniform_work_group_size: 1
    .uses_dynamic_stack: false
    .vgpr_count:     34
    .vgpr_spill_count: 0
    .wavefront_size: 64
  - .agpr_count:     0
    .args:
      - .actual_access:  write_only
        .address_space:  global
        .offset:         0
        .size:           8
        .value_kind:     global_buffer
      - .actual_access:  write_only
        .address_space:  global
        .offset:         8
        .size:           8
        .value_kind:     global_buffer
      - .actual_access:  write_only
        .address_space:  global
        .offset:         16
        .size:           8
        .value_kind:     global_buffer
      - .actual_access:  write_only
        .address_space:  global
        .offset:         24
        .size:           8
        .value_kind:     global_buffer
      - .actual_access:  write_only
        .address_space:  global
        .offset:         32
        .size:           8
        .value_kind:     global_buffer
      - .actual_access:  read_only
        .address_space:  global
        .offset:         40
        .size:           8
        .value_kind:     global_buffer
      - .actual_access:  read_only
        .address_space:  global
        .offset:         48
        .size:           8
        .value_kind:     global_buffer
      - .actual_access:  read_only
        .address_space:  global
        .offset:         56
        .size:           8
        .value_kind:     global_buffer
      - .actual_access:  read_only
        .address_space:  global
        .offset:         64
        .size:           8
        .value_kind:     global_buffer
      - .actual_access:  read_only
        .address_space:  global
        .offset:         72
        .size:           8
        .value_kind:     global_buffer
      - .offset:         80
        .size:           4
        .value_kind:     by_value
      - .offset:         84
        .size:           4
        .value_kind:     by_value
      - .offset:         88
        .size:           4
        .value_kind:     by_value
      - .offset:         92
        .size:           4
        .value_kind:     by_value
      - .offset:         96
        .size:           4
        .value_kind:     by_value
      - .offset:         100
        .size:           4
        .value_kind:     by_value
      - .offset:         104
        .size:           4
        .value_kind:     by_value
      - .offset:         108
        .size:           4
        .value_kind:     by_value
      - .offset:         112
        .size:           4
        .value_kind:     by_value
      - .offset:         116
        .size:           4
        .value_kind:     by_value
      - .offset:         120
        .size:           4
        .value_kind:     by_value
      - .offset:         124
        .size:           4
        .value_kind:     by_value
      - .offset:         128
        .size:           4
        .value_kind:     by_value
      - .offset:         132
        .size:           4
        .value_kind:     by_value
      - .offset:         136
        .size:           4
        .value_kind:     by_value
      - .offset:         144
        .size:           4
        .value_kind:     hidden_block_count_x
      - .offset:         148
        .size:           4
        .value_kind:     hidden_block_count_y
      - .offset:         152
        .size:           4
        .value_kind:     hidden_block_count_z
      - .offset:         156
        .size:           2
        .value_kind:     hidden_group_size_x
      - .offset:         158
        .size:           2
        .value_kind:     hidden_group_size_y
      - .offset:         160
        .size:           2
        .value_kind:     hidden_group_size_z
      - .offset:         162
        .size:           2
        .value_kind:     hidden_remainder_x
      - .offset:         164
        .size:           2
        .value_kind:     hidden_remainder_y
      - .offset:         166
        .size:           2
        .value_kind:     hidden_remainder_z
      - .offset:         184
        .size:           8
        .value_kind:     hidden_global_offset_x
      - .offset:         192
        .size:           8
        .value_kind:     hidden_global_offset_y
      - .offset:         200
        .size:           8
        .value_kind:     hidden_global_offset_z
      - .offset:         208
        .size:           2
        .value_kind:     hidden_grid_dims
    .group_segment_fixed_size: 0
    .kernarg_segment_align: 8
    .kernarg_segment_size: 400
    .language:       OpenCL C
    .language_version:
      - 2
      - 0
    .max_flat_workgroup_size: 1024
    .name:           _ZN5aiter35fused_qk_rmsnorm_group_quant_kernelItDB8_Li64ELi8ELi1ELb1ELb1ELb0ELb0ELb1ELb1EEEvPT0_PvPT_S6_S6_PKS5_S8_S8_S8_S8_ffiiiiiiiiiiiii
    .private_segment_fixed_size: 0
    .sgpr_count:     48
    .sgpr_spill_count: 0
    .symbol:         _ZN5aiter35fused_qk_rmsnorm_group_quant_kernelItDB8_Li64ELi8ELi1ELb1ELb1ELb0ELb0ELb1ELb1EEEvPT0_PvPT_S6_S6_PKS5_S8_S8_S8_S8_ffiiiiiiiiiiiii.kd
    .uniform_work_group_size: 1
    .uses_dynamic_stack: false
    .vgpr_count:     27
    .vgpr_spill_count: 0
    .wavefront_size: 64
  - .agpr_count:     0
    .args:
      - .actual_access:  write_only
        .address_space:  global
        .offset:         0
        .size:           8
        .value_kind:     global_buffer
      - .actual_access:  write_only
        .address_space:  global
        .offset:         8
        .size:           8
        .value_kind:     global_buffer
      - .actual_access:  read_only
        .address_space:  global
        .offset:         16
        .size:           8
        .value_kind:     global_buffer
      - .actual_access:  write_only
        .address_space:  global
        .offset:         24
        .size:           8
        .value_kind:     global_buffer
      - .actual_access:  write_only
        .address_space:  global
        .offset:         32
        .size:           8
        .value_kind:     global_buffer
      - .actual_access:  read_only
        .address_space:  global
        .offset:         40
        .size:           8
        .value_kind:     global_buffer
      - .actual_access:  read_only
        .address_space:  global
        .offset:         48
        .size:           8
        .value_kind:     global_buffer
      - .actual_access:  read_only
        .address_space:  global
        .offset:         56
        .size:           8
        .value_kind:     global_buffer
      - .actual_access:  read_only
        .address_space:  global
        .offset:         64
        .size:           8
        .value_kind:     global_buffer
      - .actual_access:  read_only
        .address_space:  global
        .offset:         72
        .size:           8
        .value_kind:     global_buffer
      - .offset:         80
        .size:           4
        .value_kind:     by_value
      - .offset:         84
        .size:           4
        .value_kind:     by_value
      - .offset:         88
        .size:           4
        .value_kind:     by_value
      - .offset:         92
        .size:           4
        .value_kind:     by_value
      - .offset:         96
        .size:           4
        .value_kind:     by_value
      - .offset:         100
        .size:           4
        .value_kind:     by_value
      - .offset:         104
        .size:           4
        .value_kind:     by_value
      - .offset:         108
        .size:           4
        .value_kind:     by_value
      - .offset:         112
        .size:           4
        .value_kind:     by_value
      - .offset:         116
        .size:           4
        .value_kind:     by_value
      - .offset:         120
        .size:           4
        .value_kind:     by_value
      - .offset:         124
        .size:           4
        .value_kind:     by_value
      - .offset:         128
        .size:           4
        .value_kind:     by_value
      - .offset:         132
        .size:           4
        .value_kind:     by_value
      - .offset:         136
        .size:           4
        .value_kind:     by_value
      - .offset:         144
        .size:           4
        .value_kind:     hidden_block_count_x
      - .offset:         148
        .size:           4
        .value_kind:     hidden_block_count_y
      - .offset:         152
        .size:           4
        .value_kind:     hidden_block_count_z
      - .offset:         156
        .size:           2
        .value_kind:     hidden_group_size_x
      - .offset:         158
        .size:           2
        .value_kind:     hidden_group_size_y
      - .offset:         160
        .size:           2
        .value_kind:     hidden_group_size_z
      - .offset:         162
        .size:           2
        .value_kind:     hidden_remainder_x
      - .offset:         164
        .size:           2
        .value_kind:     hidden_remainder_y
      - .offset:         166
        .size:           2
        .value_kind:     hidden_remainder_z
      - .offset:         184
        .size:           8
        .value_kind:     hidden_global_offset_x
      - .offset:         192
        .size:           8
        .value_kind:     hidden_global_offset_y
      - .offset:         200
        .size:           8
        .value_kind:     hidden_global_offset_z
      - .offset:         208
        .size:           2
        .value_kind:     hidden_grid_dims
    .group_segment_fixed_size: 0
    .kernarg_segment_align: 8
    .kernarg_segment_size: 400
    .language:       OpenCL C
    .language_version:
      - 2
      - 0
    .max_flat_workgroup_size: 1024
    .name:           _ZN5aiter35fused_qk_rmsnorm_group_quant_kernelIDF16_DB8_Li64ELi8ELi1ELb1ELb0ELb1ELb0ELb1ELb1EEEvPT0_PvPT_S6_S6_PKS5_S8_S8_S8_S8_ffiiiiiiiiiiiii
    .private_segment_fixed_size: 0
    .sgpr_count:     40
    .sgpr_spill_count: 0
    .symbol:         _ZN5aiter35fused_qk_rmsnorm_group_quant_kernelIDF16_DB8_Li64ELi8ELi1ELb1ELb0ELb1ELb0ELb1ELb1EEEvPT0_PvPT_S6_S6_PKS5_S8_S8_S8_S8_ffiiiiiiiiiiiii.kd
    .uniform_work_group_size: 1
    .uses_dynamic_stack: false
    .vgpr_count:     31
    .vgpr_spill_count: 0
    .wavefront_size: 64
  - .agpr_count:     0
    .args:
      - .actual_access:  write_only
        .address_space:  global
        .offset:         0
        .size:           8
        .value_kind:     global_buffer
      - .actual_access:  write_only
        .address_space:  global
        .offset:         8
        .size:           8
        .value_kind:     global_buffer
      - .actual_access:  read_only
        .address_space:  global
        .offset:         16
        .size:           8
        .value_kind:     global_buffer
      - .actual_access:  write_only
        .address_space:  global
        .offset:         24
        .size:           8
        .value_kind:     global_buffer
      - .actual_access:  write_only
        .address_space:  global
        .offset:         32
        .size:           8
        .value_kind:     global_buffer
      - .actual_access:  read_only
        .address_space:  global
        .offset:         40
        .size:           8
        .value_kind:     global_buffer
      - .actual_access:  read_only
        .address_space:  global
        .offset:         48
        .size:           8
        .value_kind:     global_buffer
      - .actual_access:  read_only
        .address_space:  global
        .offset:         56
        .size:           8
        .value_kind:     global_buffer
      - .actual_access:  read_only
        .address_space:  global
        .offset:         64
        .size:           8
        .value_kind:     global_buffer
      - .actual_access:  read_only
        .address_space:  global
        .offset:         72
        .size:           8
        .value_kind:     global_buffer
      - .offset:         80
        .size:           4
        .value_kind:     by_value
      - .offset:         84
        .size:           4
        .value_kind:     by_value
      - .offset:         88
        .size:           4
        .value_kind:     by_value
      - .offset:         92
        .size:           4
        .value_kind:     by_value
      - .offset:         96
        .size:           4
        .value_kind:     by_value
      - .offset:         100
        .size:           4
        .value_kind:     by_value
      - .offset:         104
        .size:           4
        .value_kind:     by_value
      - .offset:         108
        .size:           4
        .value_kind:     by_value
      - .offset:         112
        .size:           4
        .value_kind:     by_value
      - .offset:         116
        .size:           4
        .value_kind:     by_value
      - .offset:         120
        .size:           4
        .value_kind:     by_value
      - .offset:         124
        .size:           4
        .value_kind:     by_value
      - .offset:         128
        .size:           4
        .value_kind:     by_value
      - .offset:         132
        .size:           4
        .value_kind:     by_value
      - .offset:         136
        .size:           4
        .value_kind:     by_value
      - .offset:         144
        .size:           4
        .value_kind:     hidden_block_count_x
      - .offset:         148
        .size:           4
        .value_kind:     hidden_block_count_y
      - .offset:         152
        .size:           4
        .value_kind:     hidden_block_count_z
      - .offset:         156
        .size:           2
        .value_kind:     hidden_group_size_x
      - .offset:         158
        .size:           2
        .value_kind:     hidden_group_size_y
      - .offset:         160
        .size:           2
        .value_kind:     hidden_group_size_z
      - .offset:         162
        .size:           2
        .value_kind:     hidden_remainder_x
      - .offset:         164
        .size:           2
        .value_kind:     hidden_remainder_y
      - .offset:         166
        .size:           2
        .value_kind:     hidden_remainder_z
      - .offset:         184
        .size:           8
        .value_kind:     hidden_global_offset_x
      - .offset:         192
        .size:           8
        .value_kind:     hidden_global_offset_y
      - .offset:         200
        .size:           8
        .value_kind:     hidden_global_offset_z
      - .offset:         208
        .size:           2
        .value_kind:     hidden_grid_dims
    .group_segment_fixed_size: 0
    .kernarg_segment_align: 8
    .kernarg_segment_size: 400
    .language:       OpenCL C
    .language_version:
      - 2
      - 0
    .max_flat_workgroup_size: 1024
    .name:           _ZN5aiter35fused_qk_rmsnorm_group_quant_kernelItDB8_Li64ELi8ELi1ELb1ELb0ELb1ELb0ELb1ELb1EEEvPT0_PvPT_S6_S6_PKS5_S8_S8_S8_S8_ffiiiiiiiiiiiii
    .private_segment_fixed_size: 0
    .sgpr_count:     48
    .sgpr_spill_count: 0
    .symbol:         _ZN5aiter35fused_qk_rmsnorm_group_quant_kernelItDB8_Li64ELi8ELi1ELb1ELb0ELb1ELb0ELb1ELb1EEEvPT0_PvPT_S6_S6_PKS5_S8_S8_S8_S8_ffiiiiiiiiiiiii.kd
    .uniform_work_group_size: 1
    .uses_dynamic_stack: false
    .vgpr_count:     27
    .vgpr_spill_count: 0
    .wavefront_size: 64
  - .agpr_count:     0
    .args:
      - .actual_access:  write_only
        .address_space:  global
        .offset:         0
        .size:           8
        .value_kind:     global_buffer
      - .actual_access:  write_only
        .address_space:  global
        .offset:         8
        .size:           8
        .value_kind:     global_buffer
      - .actual_access:  read_only
        .address_space:  global
        .offset:         16
        .size:           8
        .value_kind:     global_buffer
      - .actual_access:  write_only
        .address_space:  global
        .offset:         24
        .size:           8
        .value_kind:     global_buffer
      - .actual_access:  write_only
        .address_space:  global
        .offset:         32
        .size:           8
        .value_kind:     global_buffer
      - .actual_access:  read_only
        .address_space:  global
        .offset:         40
        .size:           8
        .value_kind:     global_buffer
      - .actual_access:  read_only
        .address_space:  global
        .offset:         48
        .size:           8
        .value_kind:     global_buffer
      - .actual_access:  read_only
        .address_space:  global
        .offset:         56
        .size:           8
        .value_kind:     global_buffer
      - .actual_access:  read_only
        .address_space:  global
        .offset:         64
        .size:           8
        .value_kind:     global_buffer
      - .actual_access:  read_only
        .address_space:  global
        .offset:         72
        .size:           8
        .value_kind:     global_buffer
      - .offset:         80
        .size:           4
        .value_kind:     by_value
      - .offset:         84
        .size:           4
        .value_kind:     by_value
      - .offset:         88
        .size:           4
        .value_kind:     by_value
      - .offset:         92
        .size:           4
        .value_kind:     by_value
      - .offset:         96
        .size:           4
        .value_kind:     by_value
      - .offset:         100
        .size:           4
        .value_kind:     by_value
      - .offset:         104
        .size:           4
        .value_kind:     by_value
      - .offset:         108
        .size:           4
        .value_kind:     by_value
      - .offset:         112
        .size:           4
        .value_kind:     by_value
      - .offset:         116
        .size:           4
        .value_kind:     by_value
      - .offset:         120
        .size:           4
        .value_kind:     by_value
      - .offset:         124
        .size:           4
        .value_kind:     by_value
      - .offset:         128
        .size:           4
        .value_kind:     by_value
      - .offset:         132
        .size:           4
        .value_kind:     by_value
      - .offset:         136
        .size:           4
        .value_kind:     by_value
      - .offset:         144
        .size:           4
        .value_kind:     hidden_block_count_x
      - .offset:         148
        .size:           4
        .value_kind:     hidden_block_count_y
      - .offset:         152
        .size:           4
        .value_kind:     hidden_block_count_z
      - .offset:         156
        .size:           2
        .value_kind:     hidden_group_size_x
      - .offset:         158
        .size:           2
        .value_kind:     hidden_group_size_y
      - .offset:         160
        .size:           2
        .value_kind:     hidden_group_size_z
      - .offset:         162
        .size:           2
        .value_kind:     hidden_remainder_x
      - .offset:         164
        .size:           2
        .value_kind:     hidden_remainder_y
      - .offset:         166
        .size:           2
        .value_kind:     hidden_remainder_z
      - .offset:         184
        .size:           8
        .value_kind:     hidden_global_offset_x
      - .offset:         192
        .size:           8
        .value_kind:     hidden_global_offset_y
      - .offset:         200
        .size:           8
        .value_kind:     hidden_global_offset_z
      - .offset:         208
        .size:           2
        .value_kind:     hidden_grid_dims
    .group_segment_fixed_size: 0
    .kernarg_segment_align: 8
    .kernarg_segment_size: 400
    .language:       OpenCL C
    .language_version:
      - 2
      - 0
    .max_flat_workgroup_size: 1024
    .name:           _ZN5aiter35fused_qk_rmsnorm_group_quant_kernelIDF16_DB8_Li64ELi8ELi1ELb1ELb0ELb0ELb0ELb1ELb1EEEvPT0_PvPT_S6_S6_PKS5_S8_S8_S8_S8_ffiiiiiiiiiiiii
    .private_segment_fixed_size: 0
    .sgpr_count:     40
    .sgpr_spill_count: 0
    .symbol:         _ZN5aiter35fused_qk_rmsnorm_group_quant_kernelIDF16_DB8_Li64ELi8ELi1ELb1ELb0ELb0ELb0ELb1ELb1EEEvPT0_PvPT_S6_S6_PKS5_S8_S8_S8_S8_ffiiiiiiiiiiiii.kd
    .uniform_work_group_size: 1
    .uses_dynamic_stack: false
    .vgpr_count:     34
    .vgpr_spill_count: 0
    .wavefront_size: 64
  - .agpr_count:     0
    .args:
      - .actual_access:  write_only
        .address_space:  global
        .offset:         0
        .size:           8
        .value_kind:     global_buffer
      - .actual_access:  write_only
        .address_space:  global
        .offset:         8
        .size:           8
        .value_kind:     global_buffer
      - .actual_access:  read_only
        .address_space:  global
        .offset:         16
        .size:           8
        .value_kind:     global_buffer
      - .actual_access:  write_only
        .address_space:  global
        .offset:         24
        .size:           8
        .value_kind:     global_buffer
      - .actual_access:  write_only
        .address_space:  global
        .offset:         32
        .size:           8
        .value_kind:     global_buffer
      - .actual_access:  read_only
        .address_space:  global
        .offset:         40
        .size:           8
        .value_kind:     global_buffer
      - .actual_access:  read_only
        .address_space:  global
        .offset:         48
        .size:           8
        .value_kind:     global_buffer
      - .actual_access:  read_only
        .address_space:  global
        .offset:         56
        .size:           8
        .value_kind:     global_buffer
      - .actual_access:  read_only
        .address_space:  global
        .offset:         64
        .size:           8
        .value_kind:     global_buffer
      - .actual_access:  read_only
        .address_space:  global
        .offset:         72
        .size:           8
        .value_kind:     global_buffer
      - .offset:         80
        .size:           4
        .value_kind:     by_value
      - .offset:         84
        .size:           4
        .value_kind:     by_value
      - .offset:         88
        .size:           4
        .value_kind:     by_value
      - .offset:         92
        .size:           4
        .value_kind:     by_value
      - .offset:         96
        .size:           4
        .value_kind:     by_value
      - .offset:         100
        .size:           4
        .value_kind:     by_value
      - .offset:         104
        .size:           4
        .value_kind:     by_value
      - .offset:         108
        .size:           4
        .value_kind:     by_value
      - .offset:         112
        .size:           4
        .value_kind:     by_value
      - .offset:         116
        .size:           4
        .value_kind:     by_value
      - .offset:         120
        .size:           4
        .value_kind:     by_value
      - .offset:         124
        .size:           4
        .value_kind:     by_value
      - .offset:         128
        .size:           4
        .value_kind:     by_value
      - .offset:         132
        .size:           4
        .value_kind:     by_value
      - .offset:         136
        .size:           4
        .value_kind:     by_value
      - .offset:         144
        .size:           4
        .value_kind:     hidden_block_count_x
      - .offset:         148
        .size:           4
        .value_kind:     hidden_block_count_y
      - .offset:         152
        .size:           4
        .value_kind:     hidden_block_count_z
      - .offset:         156
        .size:           2
        .value_kind:     hidden_group_size_x
      - .offset:         158
        .size:           2
        .value_kind:     hidden_group_size_y
      - .offset:         160
        .size:           2
        .value_kind:     hidden_group_size_z
      - .offset:         162
        .size:           2
        .value_kind:     hidden_remainder_x
      - .offset:         164
        .size:           2
        .value_kind:     hidden_remainder_y
      - .offset:         166
        .size:           2
        .value_kind:     hidden_remainder_z
      - .offset:         184
        .size:           8
        .value_kind:     hidden_global_offset_x
      - .offset:         192
        .size:           8
        .value_kind:     hidden_global_offset_y
      - .offset:         200
        .size:           8
        .value_kind:     hidden_global_offset_z
      - .offset:         208
        .size:           2
        .value_kind:     hidden_grid_dims
    .group_segment_fixed_size: 0
    .kernarg_segment_align: 8
    .kernarg_segment_size: 400
    .language:       OpenCL C
    .language_version:
      - 2
      - 0
    .max_flat_workgroup_size: 1024
    .name:           _ZN5aiter35fused_qk_rmsnorm_group_quant_kernelItDB8_Li64ELi8ELi1ELb1ELb0ELb0ELb0ELb1ELb1EEEvPT0_PvPT_S6_S6_PKS5_S8_S8_S8_S8_ffiiiiiiiiiiiii
    .private_segment_fixed_size: 0
    .sgpr_count:     48
    .sgpr_spill_count: 0
    .symbol:         _ZN5aiter35fused_qk_rmsnorm_group_quant_kernelItDB8_Li64ELi8ELi1ELb1ELb0ELb0ELb0ELb1ELb1EEEvPT0_PvPT_S6_S6_PKS5_S8_S8_S8_S8_ffiiiiiiiiiiiii.kd
    .uniform_work_group_size: 1
    .uses_dynamic_stack: false
    .vgpr_count:     27
    .vgpr_spill_count: 0
    .wavefront_size: 64
  - .agpr_count:     0
    .args:
      - .actual_access:  write_only
        .address_space:  global
        .offset:         0
        .size:           8
        .value_kind:     global_buffer
      - .actual_access:  write_only
        .address_space:  global
        .offset:         8
        .size:           8
        .value_kind:     global_buffer
      - .actual_access:  write_only
        .address_space:  global
        .offset:         16
        .size:           8
        .value_kind:     global_buffer
      - .actual_access:  write_only
        .address_space:  global
        .offset:         24
        .size:           8
        .value_kind:     global_buffer
      - .actual_access:  read_only
        .address_space:  global
        .offset:         32
        .size:           8
        .value_kind:     global_buffer
      - .actual_access:  read_only
        .address_space:  global
        .offset:         40
        .size:           8
        .value_kind:     global_buffer
      - .actual_access:  read_only
        .address_space:  global
        .offset:         48
        .size:           8
        .value_kind:     global_buffer
      - .actual_access:  read_only
        .address_space:  global
        .offset:         56
        .size:           8
        .value_kind:     global_buffer
      - .actual_access:  read_only
        .address_space:  global
        .offset:         64
        .size:           8
        .value_kind:     global_buffer
      - .actual_access:  read_only
        .address_space:  global
        .offset:         72
        .size:           8
        .value_kind:     global_buffer
      - .offset:         80
        .size:           4
        .value_kind:     by_value
      - .offset:         84
        .size:           4
        .value_kind:     by_value
      - .offset:         88
        .size:           4
        .value_kind:     by_value
      - .offset:         92
        .size:           4
        .value_kind:     by_value
      - .offset:         96
        .size:           4
        .value_kind:     by_value
      - .offset:         100
        .size:           4
        .value_kind:     by_value
      - .offset:         104
        .size:           4
        .value_kind:     by_value
      - .offset:         108
        .size:           4
        .value_kind:     by_value
      - .offset:         112
        .size:           4
        .value_kind:     by_value
      - .offset:         116
        .size:           4
        .value_kind:     by_value
      - .offset:         120
        .size:           4
        .value_kind:     by_value
      - .offset:         124
        .size:           4
        .value_kind:     by_value
      - .offset:         128
        .size:           4
        .value_kind:     by_value
      - .offset:         132
        .size:           4
        .value_kind:     by_value
      - .offset:         136
        .size:           4
        .value_kind:     by_value
      - .offset:         144
        .size:           4
        .value_kind:     hidden_block_count_x
      - .offset:         148
        .size:           4
        .value_kind:     hidden_block_count_y
      - .offset:         152
        .size:           4
        .value_kind:     hidden_block_count_z
      - .offset:         156
        .size:           2
        .value_kind:     hidden_group_size_x
      - .offset:         158
        .size:           2
        .value_kind:     hidden_group_size_y
      - .offset:         160
        .size:           2
        .value_kind:     hidden_group_size_z
      - .offset:         162
        .size:           2
        .value_kind:     hidden_remainder_x
      - .offset:         164
        .size:           2
        .value_kind:     hidden_remainder_y
      - .offset:         166
        .size:           2
        .value_kind:     hidden_remainder_z
      - .offset:         184
        .size:           8
        .value_kind:     hidden_global_offset_x
      - .offset:         192
        .size:           8
        .value_kind:     hidden_global_offset_y
      - .offset:         200
        .size:           8
        .value_kind:     hidden_global_offset_z
      - .offset:         208
        .size:           2
        .value_kind:     hidden_grid_dims
    .group_segment_fixed_size: 0
    .kernarg_segment_align: 8
    .kernarg_segment_size: 400
    .language:       OpenCL C
    .language_version:
      - 2
      - 0
    .max_flat_workgroup_size: 1024
    .name:           _ZN5aiter35fused_qk_rmsnorm_group_quant_kernelIDF16_DB8_Li64ELi8ELi1ELb0ELb1ELb1ELb0ELb1ELb1EEEvPT0_PvPT_S6_S6_PKS5_S8_S8_S8_S8_ffiiiiiiiiiiiii
    .private_segment_fixed_size: 0
    .sgpr_count:     36
    .sgpr_spill_count: 0
    .symbol:         _ZN5aiter35fused_qk_rmsnorm_group_quant_kernelIDF16_DB8_Li64ELi8ELi1ELb0ELb1ELb1ELb0ELb1ELb1EEEvPT0_PvPT_S6_S6_PKS5_S8_S8_S8_S8_ffiiiiiiiiiiiii.kd
    .uniform_work_group_size: 1
    .uses_dynamic_stack: false
    .vgpr_count:     23
    .vgpr_spill_count: 0
    .wavefront_size: 64
  - .agpr_count:     0
    .args:
      - .actual_access:  write_only
        .address_space:  global
        .offset:         0
        .size:           8
        .value_kind:     global_buffer
      - .actual_access:  write_only
        .address_space:  global
        .offset:         8
        .size:           8
        .value_kind:     global_buffer
      - .actual_access:  write_only
        .address_space:  global
        .offset:         16
        .size:           8
        .value_kind:     global_buffer
      - .actual_access:  write_only
        .address_space:  global
        .offset:         24
        .size:           8
        .value_kind:     global_buffer
      - .actual_access:  read_only
        .address_space:  global
        .offset:         32
        .size:           8
        .value_kind:     global_buffer
      - .actual_access:  read_only
        .address_space:  global
        .offset:         40
        .size:           8
        .value_kind:     global_buffer
      - .actual_access:  read_only
        .address_space:  global
        .offset:         48
        .size:           8
        .value_kind:     global_buffer
      - .actual_access:  read_only
        .address_space:  global
        .offset:         56
        .size:           8
        .value_kind:     global_buffer
      - .actual_access:  read_only
        .address_space:  global
        .offset:         64
        .size:           8
        .value_kind:     global_buffer
      - .actual_access:  read_only
        .address_space:  global
        .offset:         72
        .size:           8
        .value_kind:     global_buffer
      - .offset:         80
        .size:           4
        .value_kind:     by_value
      - .offset:         84
        .size:           4
        .value_kind:     by_value
      - .offset:         88
        .size:           4
        .value_kind:     by_value
      - .offset:         92
        .size:           4
        .value_kind:     by_value
      - .offset:         96
        .size:           4
        .value_kind:     by_value
      - .offset:         100
        .size:           4
        .value_kind:     by_value
      - .offset:         104
        .size:           4
        .value_kind:     by_value
      - .offset:         108
        .size:           4
        .value_kind:     by_value
      - .offset:         112
        .size:           4
        .value_kind:     by_value
      - .offset:         116
        .size:           4
        .value_kind:     by_value
      - .offset:         120
        .size:           4
        .value_kind:     by_value
      - .offset:         124
        .size:           4
        .value_kind:     by_value
      - .offset:         128
        .size:           4
        .value_kind:     by_value
      - .offset:         132
        .size:           4
        .value_kind:     by_value
      - .offset:         136
        .size:           4
        .value_kind:     by_value
      - .offset:         144
        .size:           4
        .value_kind:     hidden_block_count_x
      - .offset:         148
        .size:           4
        .value_kind:     hidden_block_count_y
      - .offset:         152
        .size:           4
        .value_kind:     hidden_block_count_z
      - .offset:         156
        .size:           2
        .value_kind:     hidden_group_size_x
      - .offset:         158
        .size:           2
        .value_kind:     hidden_group_size_y
      - .offset:         160
        .size:           2
        .value_kind:     hidden_group_size_z
      - .offset:         162
        .size:           2
        .value_kind:     hidden_remainder_x
      - .offset:         164
        .size:           2
        .value_kind:     hidden_remainder_y
      - .offset:         166
        .size:           2
        .value_kind:     hidden_remainder_z
      - .offset:         184
        .size:           8
        .value_kind:     hidden_global_offset_x
      - .offset:         192
        .size:           8
        .value_kind:     hidden_global_offset_y
      - .offset:         200
        .size:           8
        .value_kind:     hidden_global_offset_z
      - .offset:         208
        .size:           2
        .value_kind:     hidden_grid_dims
    .group_segment_fixed_size: 0
    .kernarg_segment_align: 8
    .kernarg_segment_size: 400
    .language:       OpenCL C
    .language_version:
      - 2
      - 0
    .max_flat_workgroup_size: 1024
    .name:           _ZN5aiter35fused_qk_rmsnorm_group_quant_kernelItDB8_Li64ELi8ELi1ELb0ELb1ELb1ELb0ELb1ELb1EEEvPT0_PvPT_S6_S6_PKS5_S8_S8_S8_S8_ffiiiiiiiiiiiii
    .private_segment_fixed_size: 0
    .sgpr_count:     36
    .sgpr_spill_count: 0
    .symbol:         _ZN5aiter35fused_qk_rmsnorm_group_quant_kernelItDB8_Li64ELi8ELi1ELb0ELb1ELb1ELb0ELb1ELb1EEEvPT0_PvPT_S6_S6_PKS5_S8_S8_S8_S8_ffiiiiiiiiiiiii.kd
    .uniform_work_group_size: 1
    .uses_dynamic_stack: false
    .vgpr_count:     23
    .vgpr_spill_count: 0
    .wavefront_size: 64
  - .agpr_count:     0
    .args:
      - .actual_access:  write_only
        .address_space:  global
        .offset:         0
        .size:           8
        .value_kind:     global_buffer
      - .actual_access:  write_only
        .address_space:  global
        .offset:         8
        .size:           8
        .value_kind:     global_buffer
      - .actual_access:  write_only
        .address_space:  global
        .offset:         16
        .size:           8
        .value_kind:     global_buffer
      - .actual_access:  write_only
        .address_space:  global
        .offset:         24
        .size:           8
        .value_kind:     global_buffer
      - .actual_access:  read_only
        .address_space:  global
        .offset:         32
        .size:           8
        .value_kind:     global_buffer
      - .actual_access:  read_only
        .address_space:  global
        .offset:         40
        .size:           8
        .value_kind:     global_buffer
      - .actual_access:  read_only
        .address_space:  global
        .offset:         48
        .size:           8
        .value_kind:     global_buffer
      - .actual_access:  read_only
        .address_space:  global
        .offset:         56
        .size:           8
        .value_kind:     global_buffer
      - .actual_access:  read_only
        .address_space:  global
        .offset:         64
        .size:           8
        .value_kind:     global_buffer
      - .actual_access:  read_only
        .address_space:  global
        .offset:         72
        .size:           8
        .value_kind:     global_buffer
      - .offset:         80
        .size:           4
        .value_kind:     by_value
      - .offset:         84
        .size:           4
        .value_kind:     by_value
      - .offset:         88
        .size:           4
        .value_kind:     by_value
      - .offset:         92
        .size:           4
        .value_kind:     by_value
      - .offset:         96
        .size:           4
        .value_kind:     by_value
      - .offset:         100
        .size:           4
        .value_kind:     by_value
      - .offset:         104
        .size:           4
        .value_kind:     by_value
      - .offset:         108
        .size:           4
        .value_kind:     by_value
      - .offset:         112
        .size:           4
        .value_kind:     by_value
      - .offset:         116
        .size:           4
        .value_kind:     by_value
      - .offset:         120
        .size:           4
        .value_kind:     by_value
      - .offset:         124
        .size:           4
        .value_kind:     by_value
      - .offset:         128
        .size:           4
        .value_kind:     by_value
      - .offset:         132
        .size:           4
        .value_kind:     by_value
      - .offset:         136
        .size:           4
        .value_kind:     by_value
      - .offset:         144
        .size:           4
        .value_kind:     hidden_block_count_x
      - .offset:         148
        .size:           4
        .value_kind:     hidden_block_count_y
      - .offset:         152
        .size:           4
        .value_kind:     hidden_block_count_z
      - .offset:         156
        .size:           2
        .value_kind:     hidden_group_size_x
      - .offset:         158
        .size:           2
        .value_kind:     hidden_group_size_y
      - .offset:         160
        .size:           2
        .value_kind:     hidden_group_size_z
      - .offset:         162
        .size:           2
        .value_kind:     hidden_remainder_x
      - .offset:         164
        .size:           2
        .value_kind:     hidden_remainder_y
      - .offset:         166
        .size:           2
        .value_kind:     hidden_remainder_z
      - .offset:         184
        .size:           8
        .value_kind:     hidden_global_offset_x
      - .offset:         192
        .size:           8
        .value_kind:     hidden_global_offset_y
      - .offset:         200
        .size:           8
        .value_kind:     hidden_global_offset_z
      - .offset:         208
        .size:           2
        .value_kind:     hidden_grid_dims
    .group_segment_fixed_size: 0
    .kernarg_segment_align: 8
    .kernarg_segment_size: 400
    .language:       OpenCL C
    .language_version:
      - 2
      - 0
    .max_flat_workgroup_size: 1024
    .name:           _ZN5aiter35fused_qk_rmsnorm_group_quant_kernelIDF16_DB8_Li64ELi8ELi1ELb0ELb1ELb0ELb0ELb1ELb1EEEvPT0_PvPT_S6_S6_PKS5_S8_S8_S8_S8_ffiiiiiiiiiiiii
    .private_segment_fixed_size: 0
    .sgpr_count:     36
    .sgpr_spill_count: 0
    .symbol:         _ZN5aiter35fused_qk_rmsnorm_group_quant_kernelIDF16_DB8_Li64ELi8ELi1ELb0ELb1ELb0ELb0ELb1ELb1EEEvPT0_PvPT_S6_S6_PKS5_S8_S8_S8_S8_ffiiiiiiiiiiiii.kd
    .uniform_work_group_size: 1
    .uses_dynamic_stack: false
    .vgpr_count:     23
    .vgpr_spill_count: 0
    .wavefront_size: 64
  - .agpr_count:     0
    .args:
      - .actual_access:  write_only
        .address_space:  global
        .offset:         0
        .size:           8
        .value_kind:     global_buffer
      - .actual_access:  write_only
        .address_space:  global
        .offset:         8
        .size:           8
        .value_kind:     global_buffer
      - .actual_access:  write_only
        .address_space:  global
        .offset:         16
        .size:           8
        .value_kind:     global_buffer
      - .actual_access:  write_only
        .address_space:  global
        .offset:         24
        .size:           8
        .value_kind:     global_buffer
      - .actual_access:  read_only
        .address_space:  global
        .offset:         32
        .size:           8
        .value_kind:     global_buffer
      - .actual_access:  read_only
        .address_space:  global
        .offset:         40
        .size:           8
        .value_kind:     global_buffer
      - .actual_access:  read_only
        .address_space:  global
        .offset:         48
        .size:           8
        .value_kind:     global_buffer
      - .actual_access:  read_only
        .address_space:  global
        .offset:         56
        .size:           8
        .value_kind:     global_buffer
      - .actual_access:  read_only
        .address_space:  global
        .offset:         64
        .size:           8
        .value_kind:     global_buffer
      - .actual_access:  read_only
        .address_space:  global
        .offset:         72
        .size:           8
        .value_kind:     global_buffer
      - .offset:         80
        .size:           4
        .value_kind:     by_value
      - .offset:         84
        .size:           4
        .value_kind:     by_value
      - .offset:         88
        .size:           4
        .value_kind:     by_value
      - .offset:         92
        .size:           4
        .value_kind:     by_value
      - .offset:         96
        .size:           4
        .value_kind:     by_value
      - .offset:         100
        .size:           4
        .value_kind:     by_value
      - .offset:         104
        .size:           4
        .value_kind:     by_value
      - .offset:         108
        .size:           4
        .value_kind:     by_value
      - .offset:         112
        .size:           4
        .value_kind:     by_value
      - .offset:         116
        .size:           4
        .value_kind:     by_value
      - .offset:         120
        .size:           4
        .value_kind:     by_value
      - .offset:         124
        .size:           4
        .value_kind:     by_value
      - .offset:         128
        .size:           4
        .value_kind:     by_value
      - .offset:         132
        .size:           4
        .value_kind:     by_value
      - .offset:         136
        .size:           4
        .value_kind:     by_value
      - .offset:         144
        .size:           4
        .value_kind:     hidden_block_count_x
      - .offset:         148
        .size:           4
        .value_kind:     hidden_block_count_y
      - .offset:         152
        .size:           4
        .value_kind:     hidden_block_count_z
      - .offset:         156
        .size:           2
        .value_kind:     hidden_group_size_x
      - .offset:         158
        .size:           2
        .value_kind:     hidden_group_size_y
      - .offset:         160
        .size:           2
        .value_kind:     hidden_group_size_z
      - .offset:         162
        .size:           2
        .value_kind:     hidden_remainder_x
      - .offset:         164
        .size:           2
        .value_kind:     hidden_remainder_y
      - .offset:         166
        .size:           2
        .value_kind:     hidden_remainder_z
      - .offset:         184
        .size:           8
        .value_kind:     hidden_global_offset_x
      - .offset:         192
        .size:           8
        .value_kind:     hidden_global_offset_y
      - .offset:         200
        .size:           8
        .value_kind:     hidden_global_offset_z
      - .offset:         208
        .size:           2
        .value_kind:     hidden_grid_dims
    .group_segment_fixed_size: 0
    .kernarg_segment_align: 8
    .kernarg_segment_size: 400
    .language:       OpenCL C
    .language_version:
      - 2
      - 0
    .max_flat_workgroup_size: 1024
    .name:           _ZN5aiter35fused_qk_rmsnorm_group_quant_kernelItDB8_Li64ELi8ELi1ELb0ELb1ELb0ELb0ELb1ELb1EEEvPT0_PvPT_S6_S6_PKS5_S8_S8_S8_S8_ffiiiiiiiiiiiii
    .private_segment_fixed_size: 0
    .sgpr_count:     36
    .sgpr_spill_count: 0
    .symbol:         _ZN5aiter35fused_qk_rmsnorm_group_quant_kernelItDB8_Li64ELi8ELi1ELb0ELb1ELb0ELb0ELb1ELb1EEEvPT0_PvPT_S6_S6_PKS5_S8_S8_S8_S8_ffiiiiiiiiiiiii.kd
    .uniform_work_group_size: 1
    .uses_dynamic_stack: false
    .vgpr_count:     23
    .vgpr_spill_count: 0
    .wavefront_size: 64
  - .agpr_count:     0
    .args:
      - .actual_access:  write_only
        .address_space:  global
        .offset:         0
        .size:           8
        .value_kind:     global_buffer
      - .actual_access:  write_only
        .address_space:  global
        .offset:         8
        .size:           8
        .value_kind:     global_buffer
      - .actual_access:  read_only
        .address_space:  global
        .offset:         16
        .size:           8
        .value_kind:     global_buffer
      - .actual_access:  write_only
        .address_space:  global
        .offset:         24
        .size:           8
        .value_kind:     global_buffer
      - .actual_access:  read_only
        .address_space:  global
        .offset:         32
        .size:           8
        .value_kind:     global_buffer
      - .actual_access:  read_only
        .address_space:  global
        .offset:         40
        .size:           8
        .value_kind:     global_buffer
      - .actual_access:  read_only
        .address_space:  global
        .offset:         48
        .size:           8
        .value_kind:     global_buffer
      - .actual_access:  read_only
        .address_space:  global
        .offset:         56
        .size:           8
        .value_kind:     global_buffer
      - .actual_access:  read_only
        .address_space:  global
        .offset:         64
        .size:           8
        .value_kind:     global_buffer
      - .actual_access:  read_only
        .address_space:  global
        .offset:         72
        .size:           8
        .value_kind:     global_buffer
      - .offset:         80
        .size:           4
        .value_kind:     by_value
      - .offset:         84
        .size:           4
        .value_kind:     by_value
      - .offset:         88
        .size:           4
        .value_kind:     by_value
      - .offset:         92
        .size:           4
        .value_kind:     by_value
      - .offset:         96
        .size:           4
        .value_kind:     by_value
      - .offset:         100
        .size:           4
        .value_kind:     by_value
      - .offset:         104
        .size:           4
        .value_kind:     by_value
      - .offset:         108
        .size:           4
        .value_kind:     by_value
      - .offset:         112
        .size:           4
        .value_kind:     by_value
      - .offset:         116
        .size:           4
        .value_kind:     by_value
      - .offset:         120
        .size:           4
        .value_kind:     by_value
      - .offset:         124
        .size:           4
        .value_kind:     by_value
      - .offset:         128
        .size:           4
        .value_kind:     by_value
      - .offset:         132
        .size:           4
        .value_kind:     by_value
      - .offset:         136
        .size:           4
        .value_kind:     by_value
      - .offset:         144
        .size:           4
        .value_kind:     hidden_block_count_x
      - .offset:         148
        .size:           4
        .value_kind:     hidden_block_count_y
      - .offset:         152
        .size:           4
        .value_kind:     hidden_block_count_z
      - .offset:         156
        .size:           2
        .value_kind:     hidden_group_size_x
      - .offset:         158
        .size:           2
        .value_kind:     hidden_group_size_y
      - .offset:         160
        .size:           2
        .value_kind:     hidden_group_size_z
      - .offset:         162
        .size:           2
        .value_kind:     hidden_remainder_x
      - .offset:         164
        .size:           2
        .value_kind:     hidden_remainder_y
      - .offset:         166
        .size:           2
        .value_kind:     hidden_remainder_z
      - .offset:         184
        .size:           8
        .value_kind:     hidden_global_offset_x
      - .offset:         192
        .size:           8
        .value_kind:     hidden_global_offset_y
      - .offset:         200
        .size:           8
        .value_kind:     hidden_global_offset_z
      - .offset:         208
        .size:           2
        .value_kind:     hidden_grid_dims
    .group_segment_fixed_size: 0
    .kernarg_segment_align: 8
    .kernarg_segment_size: 400
    .language:       OpenCL C
    .language_version:
      - 2
      - 0
    .max_flat_workgroup_size: 1024
    .name:           _ZN5aiter35fused_qk_rmsnorm_group_quant_kernelIDF16_DB8_Li64ELi8ELi1ELb0ELb0ELb1ELb0ELb1ELb1EEEvPT0_PvPT_S6_S6_PKS5_S8_S8_S8_S8_ffiiiiiiiiiiiii
    .private_segment_fixed_size: 0
    .sgpr_count:     36
    .sgpr_spill_count: 0
    .symbol:         _ZN5aiter35fused_qk_rmsnorm_group_quant_kernelIDF16_DB8_Li64ELi8ELi1ELb0ELb0ELb1ELb0ELb1ELb1EEEvPT0_PvPT_S6_S6_PKS5_S8_S8_S8_S8_ffiiiiiiiiiiiii.kd
    .uniform_work_group_size: 1
    .uses_dynamic_stack: false
    .vgpr_count:     23
    .vgpr_spill_count: 0
    .wavefront_size: 64
  - .agpr_count:     0
    .args:
      - .actual_access:  write_only
        .address_space:  global
        .offset:         0
        .size:           8
        .value_kind:     global_buffer
      - .actual_access:  write_only
        .address_space:  global
        .offset:         8
        .size:           8
        .value_kind:     global_buffer
      - .actual_access:  read_only
        .address_space:  global
        .offset:         16
        .size:           8
        .value_kind:     global_buffer
      - .actual_access:  write_only
        .address_space:  global
        .offset:         24
        .size:           8
        .value_kind:     global_buffer
      - .actual_access:  read_only
        .address_space:  global
        .offset:         32
        .size:           8
        .value_kind:     global_buffer
      - .actual_access:  read_only
        .address_space:  global
        .offset:         40
        .size:           8
        .value_kind:     global_buffer
      - .actual_access:  read_only
        .address_space:  global
        .offset:         48
        .size:           8
        .value_kind:     global_buffer
      - .actual_access:  read_only
        .address_space:  global
        .offset:         56
        .size:           8
        .value_kind:     global_buffer
      - .actual_access:  read_only
        .address_space:  global
        .offset:         64
        .size:           8
        .value_kind:     global_buffer
      - .actual_access:  read_only
        .address_space:  global
        .offset:         72
        .size:           8
        .value_kind:     global_buffer
      - .offset:         80
        .size:           4
        .value_kind:     by_value
      - .offset:         84
        .size:           4
        .value_kind:     by_value
      - .offset:         88
        .size:           4
        .value_kind:     by_value
      - .offset:         92
        .size:           4
        .value_kind:     by_value
      - .offset:         96
        .size:           4
        .value_kind:     by_value
      - .offset:         100
        .size:           4
        .value_kind:     by_value
      - .offset:         104
        .size:           4
        .value_kind:     by_value
      - .offset:         108
        .size:           4
        .value_kind:     by_value
      - .offset:         112
        .size:           4
        .value_kind:     by_value
      - .offset:         116
        .size:           4
        .value_kind:     by_value
      - .offset:         120
        .size:           4
        .value_kind:     by_value
      - .offset:         124
        .size:           4
        .value_kind:     by_value
      - .offset:         128
        .size:           4
        .value_kind:     by_value
      - .offset:         132
        .size:           4
        .value_kind:     by_value
      - .offset:         136
        .size:           4
        .value_kind:     by_value
      - .offset:         144
        .size:           4
        .value_kind:     hidden_block_count_x
      - .offset:         148
        .size:           4
        .value_kind:     hidden_block_count_y
      - .offset:         152
        .size:           4
        .value_kind:     hidden_block_count_z
      - .offset:         156
        .size:           2
        .value_kind:     hidden_group_size_x
      - .offset:         158
        .size:           2
        .value_kind:     hidden_group_size_y
      - .offset:         160
        .size:           2
        .value_kind:     hidden_group_size_z
      - .offset:         162
        .size:           2
        .value_kind:     hidden_remainder_x
      - .offset:         164
        .size:           2
        .value_kind:     hidden_remainder_y
      - .offset:         166
        .size:           2
        .value_kind:     hidden_remainder_z
      - .offset:         184
        .size:           8
        .value_kind:     hidden_global_offset_x
      - .offset:         192
        .size:           8
        .value_kind:     hidden_global_offset_y
      - .offset:         200
        .size:           8
        .value_kind:     hidden_global_offset_z
      - .offset:         208
        .size:           2
        .value_kind:     hidden_grid_dims
    .group_segment_fixed_size: 0
    .kernarg_segment_align: 8
    .kernarg_segment_size: 400
    .language:       OpenCL C
    .language_version:
      - 2
      - 0
    .max_flat_workgroup_size: 1024
    .name:           _ZN5aiter35fused_qk_rmsnorm_group_quant_kernelItDB8_Li64ELi8ELi1ELb0ELb0ELb1ELb0ELb1ELb1EEEvPT0_PvPT_S6_S6_PKS5_S8_S8_S8_S8_ffiiiiiiiiiiiii
    .private_segment_fixed_size: 0
    .sgpr_count:     36
    .sgpr_spill_count: 0
    .symbol:         _ZN5aiter35fused_qk_rmsnorm_group_quant_kernelItDB8_Li64ELi8ELi1ELb0ELb0ELb1ELb0ELb1ELb1EEEvPT0_PvPT_S6_S6_PKS5_S8_S8_S8_S8_ffiiiiiiiiiiiii.kd
    .uniform_work_group_size: 1
    .uses_dynamic_stack: false
    .vgpr_count:     23
    .vgpr_spill_count: 0
    .wavefront_size: 64
  - .agpr_count:     0
    .args:
      - .actual_access:  write_only
        .address_space:  global
        .offset:         0
        .size:           8
        .value_kind:     global_buffer
      - .actual_access:  write_only
        .address_space:  global
        .offset:         8
        .size:           8
        .value_kind:     global_buffer
      - .actual_access:  read_only
        .address_space:  global
        .offset:         16
        .size:           8
        .value_kind:     global_buffer
      - .actual_access:  write_only
        .address_space:  global
        .offset:         24
        .size:           8
        .value_kind:     global_buffer
      - .actual_access:  read_only
        .address_space:  global
        .offset:         32
        .size:           8
        .value_kind:     global_buffer
      - .actual_access:  read_only
        .address_space:  global
        .offset:         40
        .size:           8
        .value_kind:     global_buffer
      - .actual_access:  read_only
        .address_space:  global
        .offset:         48
        .size:           8
        .value_kind:     global_buffer
      - .actual_access:  read_only
        .address_space:  global
        .offset:         56
        .size:           8
        .value_kind:     global_buffer
      - .actual_access:  read_only
        .address_space:  global
        .offset:         64
        .size:           8
        .value_kind:     global_buffer
      - .actual_access:  read_only
        .address_space:  global
        .offset:         72
        .size:           8
        .value_kind:     global_buffer
      - .offset:         80
        .size:           4
        .value_kind:     by_value
      - .offset:         84
        .size:           4
        .value_kind:     by_value
      - .offset:         88
        .size:           4
        .value_kind:     by_value
      - .offset:         92
        .size:           4
        .value_kind:     by_value
      - .offset:         96
        .size:           4
        .value_kind:     by_value
      - .offset:         100
        .size:           4
        .value_kind:     by_value
      - .offset:         104
        .size:           4
        .value_kind:     by_value
      - .offset:         108
        .size:           4
        .value_kind:     by_value
      - .offset:         112
        .size:           4
        .value_kind:     by_value
      - .offset:         116
        .size:           4
        .value_kind:     by_value
      - .offset:         120
        .size:           4
        .value_kind:     by_value
      - .offset:         124
        .size:           4
        .value_kind:     by_value
      - .offset:         128
        .size:           4
        .value_kind:     by_value
      - .offset:         132
        .size:           4
        .value_kind:     by_value
      - .offset:         136
        .size:           4
        .value_kind:     by_value
      - .offset:         144
        .size:           4
        .value_kind:     hidden_block_count_x
      - .offset:         148
        .size:           4
        .value_kind:     hidden_block_count_y
      - .offset:         152
        .size:           4
        .value_kind:     hidden_block_count_z
      - .offset:         156
        .size:           2
        .value_kind:     hidden_group_size_x
      - .offset:         158
        .size:           2
        .value_kind:     hidden_group_size_y
      - .offset:         160
        .size:           2
        .value_kind:     hidden_group_size_z
      - .offset:         162
        .size:           2
        .value_kind:     hidden_remainder_x
      - .offset:         164
        .size:           2
        .value_kind:     hidden_remainder_y
      - .offset:         166
        .size:           2
        .value_kind:     hidden_remainder_z
      - .offset:         184
        .size:           8
        .value_kind:     hidden_global_offset_x
      - .offset:         192
        .size:           8
        .value_kind:     hidden_global_offset_y
      - .offset:         200
        .size:           8
        .value_kind:     hidden_global_offset_z
      - .offset:         208
        .size:           2
        .value_kind:     hidden_grid_dims
    .group_segment_fixed_size: 0
    .kernarg_segment_align: 8
    .kernarg_segment_size: 400
    .language:       OpenCL C
    .language_version:
      - 2
      - 0
    .max_flat_workgroup_size: 1024
    .name:           _ZN5aiter35fused_qk_rmsnorm_group_quant_kernelIDF16_DB8_Li64ELi8ELi1ELb0ELb0ELb0ELb0ELb1ELb1EEEvPT0_PvPT_S6_S6_PKS5_S8_S8_S8_S8_ffiiiiiiiiiiiii
    .private_segment_fixed_size: 0
    .sgpr_count:     36
    .sgpr_spill_count: 0
    .symbol:         _ZN5aiter35fused_qk_rmsnorm_group_quant_kernelIDF16_DB8_Li64ELi8ELi1ELb0ELb0ELb0ELb0ELb1ELb1EEEvPT0_PvPT_S6_S6_PKS5_S8_S8_S8_S8_ffiiiiiiiiiiiii.kd
    .uniform_work_group_size: 1
    .uses_dynamic_stack: false
    .vgpr_count:     23
    .vgpr_spill_count: 0
    .wavefront_size: 64
  - .agpr_count:     0
    .args:
      - .actual_access:  write_only
        .address_space:  global
        .offset:         0
        .size:           8
        .value_kind:     global_buffer
      - .actual_access:  write_only
        .address_space:  global
        .offset:         8
        .size:           8
        .value_kind:     global_buffer
      - .actual_access:  read_only
        .address_space:  global
        .offset:         16
        .size:           8
        .value_kind:     global_buffer
      - .actual_access:  write_only
        .address_space:  global
        .offset:         24
        .size:           8
        .value_kind:     global_buffer
      - .actual_access:  read_only
        .address_space:  global
        .offset:         32
        .size:           8
        .value_kind:     global_buffer
      - .actual_access:  read_only
        .address_space:  global
        .offset:         40
        .size:           8
        .value_kind:     global_buffer
      - .actual_access:  read_only
        .address_space:  global
        .offset:         48
        .size:           8
        .value_kind:     global_buffer
      - .actual_access:  read_only
        .address_space:  global
        .offset:         56
        .size:           8
        .value_kind:     global_buffer
      - .actual_access:  read_only
        .address_space:  global
        .offset:         64
        .size:           8
        .value_kind:     global_buffer
      - .actual_access:  read_only
        .address_space:  global
        .offset:         72
        .size:           8
        .value_kind:     global_buffer
      - .offset:         80
        .size:           4
        .value_kind:     by_value
      - .offset:         84
        .size:           4
        .value_kind:     by_value
      - .offset:         88
        .size:           4
        .value_kind:     by_value
      - .offset:         92
        .size:           4
        .value_kind:     by_value
      - .offset:         96
        .size:           4
        .value_kind:     by_value
      - .offset:         100
        .size:           4
        .value_kind:     by_value
      - .offset:         104
        .size:           4
        .value_kind:     by_value
      - .offset:         108
        .size:           4
        .value_kind:     by_value
      - .offset:         112
        .size:           4
        .value_kind:     by_value
      - .offset:         116
        .size:           4
        .value_kind:     by_value
      - .offset:         120
        .size:           4
        .value_kind:     by_value
      - .offset:         124
        .size:           4
        .value_kind:     by_value
      - .offset:         128
        .size:           4
        .value_kind:     by_value
      - .offset:         132
        .size:           4
        .value_kind:     by_value
      - .offset:         136
        .size:           4
        .value_kind:     by_value
      - .offset:         144
        .size:           4
        .value_kind:     hidden_block_count_x
      - .offset:         148
        .size:           4
        .value_kind:     hidden_block_count_y
      - .offset:         152
        .size:           4
        .value_kind:     hidden_block_count_z
      - .offset:         156
        .size:           2
        .value_kind:     hidden_group_size_x
      - .offset:         158
        .size:           2
        .value_kind:     hidden_group_size_y
      - .offset:         160
        .size:           2
        .value_kind:     hidden_group_size_z
      - .offset:         162
        .size:           2
        .value_kind:     hidden_remainder_x
      - .offset:         164
        .size:           2
        .value_kind:     hidden_remainder_y
      - .offset:         166
        .size:           2
        .value_kind:     hidden_remainder_z
      - .offset:         184
        .size:           8
        .value_kind:     hidden_global_offset_x
      - .offset:         192
        .size:           8
        .value_kind:     hidden_global_offset_y
      - .offset:         200
        .size:           8
        .value_kind:     hidden_global_offset_z
      - .offset:         208
        .size:           2
        .value_kind:     hidden_grid_dims
    .group_segment_fixed_size: 0
    .kernarg_segment_align: 8
    .kernarg_segment_size: 400
    .language:       OpenCL C
    .language_version:
      - 2
      - 0
    .max_flat_workgroup_size: 1024
    .name:           _ZN5aiter35fused_qk_rmsnorm_group_quant_kernelItDB8_Li64ELi8ELi1ELb0ELb0ELb0ELb0ELb1ELb1EEEvPT0_PvPT_S6_S6_PKS5_S8_S8_S8_S8_ffiiiiiiiiiiiii
    .private_segment_fixed_size: 0
    .sgpr_count:     36
    .sgpr_spill_count: 0
    .symbol:         _ZN5aiter35fused_qk_rmsnorm_group_quant_kernelItDB8_Li64ELi8ELi1ELb0ELb0ELb0ELb0ELb1ELb1EEEvPT0_PvPT_S6_S6_PKS5_S8_S8_S8_S8_ffiiiiiiiiiiiii.kd
    .uniform_work_group_size: 1
    .uses_dynamic_stack: false
    .vgpr_count:     23
    .vgpr_spill_count: 0
    .wavefront_size: 64
  - .agpr_count:     0
    .args:
      - .actual_access:  write_only
        .address_space:  global
        .offset:         0
        .size:           8
        .value_kind:     global_buffer
      - .actual_access:  write_only
        .address_space:  global
        .offset:         8
        .size:           8
        .value_kind:     global_buffer
      - .actual_access:  write_only
        .address_space:  global
        .offset:         16
        .size:           8
        .value_kind:     global_buffer
      - .actual_access:  write_only
        .address_space:  global
        .offset:         24
        .size:           8
        .value_kind:     global_buffer
      - .actual_access:  write_only
        .address_space:  global
        .offset:         32
        .size:           8
        .value_kind:     global_buffer
      - .actual_access:  read_only
        .address_space:  global
        .offset:         40
        .size:           8
        .value_kind:     global_buffer
      - .actual_access:  read_only
        .address_space:  global
        .offset:         48
        .size:           8
        .value_kind:     global_buffer
      - .actual_access:  read_only
        .address_space:  global
        .offset:         56
        .size:           8
        .value_kind:     global_buffer
      - .actual_access:  read_only
        .address_space:  global
        .offset:         64
        .size:           8
        .value_kind:     global_buffer
      - .actual_access:  read_only
        .address_space:  global
        .offset:         72
        .size:           8
        .value_kind:     global_buffer
      - .offset:         80
        .size:           4
        .value_kind:     by_value
      - .offset:         84
        .size:           4
        .value_kind:     by_value
      - .offset:         88
        .size:           4
        .value_kind:     by_value
      - .offset:         92
        .size:           4
        .value_kind:     by_value
      - .offset:         96
        .size:           4
        .value_kind:     by_value
      - .offset:         100
        .size:           4
        .value_kind:     by_value
      - .offset:         104
        .size:           4
        .value_kind:     by_value
      - .offset:         108
        .size:           4
        .value_kind:     by_value
      - .offset:         112
        .size:           4
        .value_kind:     by_value
      - .offset:         116
        .size:           4
        .value_kind:     by_value
      - .offset:         120
        .size:           4
        .value_kind:     by_value
      - .offset:         124
        .size:           4
        .value_kind:     by_value
      - .offset:         128
        .size:           4
        .value_kind:     by_value
      - .offset:         132
        .size:           4
        .value_kind:     by_value
      - .offset:         136
        .size:           4
        .value_kind:     by_value
      - .offset:         144
        .size:           4
        .value_kind:     hidden_block_count_x
      - .offset:         148
        .size:           4
        .value_kind:     hidden_block_count_y
      - .offset:         152
        .size:           4
        .value_kind:     hidden_block_count_z
      - .offset:         156
        .size:           2
        .value_kind:     hidden_group_size_x
      - .offset:         158
        .size:           2
        .value_kind:     hidden_group_size_y
      - .offset:         160
        .size:           2
        .value_kind:     hidden_group_size_z
      - .offset:         162
        .size:           2
        .value_kind:     hidden_remainder_x
      - .offset:         164
        .size:           2
        .value_kind:     hidden_remainder_y
      - .offset:         166
        .size:           2
        .value_kind:     hidden_remainder_z
      - .offset:         184
        .size:           8
        .value_kind:     hidden_global_offset_x
      - .offset:         192
        .size:           8
        .value_kind:     hidden_global_offset_y
      - .offset:         200
        .size:           8
        .value_kind:     hidden_global_offset_z
      - .offset:         208
        .size:           2
        .value_kind:     hidden_grid_dims
    .group_segment_fixed_size: 24
    .kernarg_segment_align: 8
    .kernarg_segment_size: 400
    .language:       OpenCL C
    .language_version:
      - 2
      - 0
    .max_flat_workgroup_size: 1024
    .name:           _ZN5aiter35fused_qk_rmsnorm_group_quant_kernelIDF16_DB8_Li128ELi8ELi1ELb1ELb1ELb1ELb0ELb1ELb1EEEvPT0_PvPT_S6_S6_PKS5_S8_S8_S8_S8_ffiiiiiiiiiiiii
    .private_segment_fixed_size: 0
    .sgpr_count:     42
    .sgpr_spill_count: 0
    .symbol:         _ZN5aiter35fused_qk_rmsnorm_group_quant_kernelIDF16_DB8_Li128ELi8ELi1ELb1ELb1ELb1ELb0ELb1ELb1EEEvPT0_PvPT_S6_S6_PKS5_S8_S8_S8_S8_ffiiiiiiiiiiiii.kd
    .uniform_work_group_size: 1
    .uses_dynamic_stack: false
    .vgpr_count:     31
    .vgpr_spill_count: 0
    .wavefront_size: 64
  - .agpr_count:     0
    .args:
      - .actual_access:  write_only
        .address_space:  global
        .offset:         0
        .size:           8
        .value_kind:     global_buffer
      - .actual_access:  write_only
        .address_space:  global
        .offset:         8
        .size:           8
        .value_kind:     global_buffer
      - .actual_access:  write_only
        .address_space:  global
        .offset:         16
        .size:           8
        .value_kind:     global_buffer
      - .actual_access:  write_only
        .address_space:  global
        .offset:         24
        .size:           8
        .value_kind:     global_buffer
      - .actual_access:  write_only
        .address_space:  global
        .offset:         32
        .size:           8
        .value_kind:     global_buffer
      - .actual_access:  read_only
        .address_space:  global
        .offset:         40
        .size:           8
        .value_kind:     global_buffer
      - .actual_access:  read_only
        .address_space:  global
        .offset:         48
        .size:           8
        .value_kind:     global_buffer
      - .actual_access:  read_only
        .address_space:  global
        .offset:         56
        .size:           8
        .value_kind:     global_buffer
      - .actual_access:  read_only
        .address_space:  global
        .offset:         64
        .size:           8
        .value_kind:     global_buffer
      - .actual_access:  read_only
        .address_space:  global
        .offset:         72
        .size:           8
        .value_kind:     global_buffer
      - .offset:         80
        .size:           4
        .value_kind:     by_value
      - .offset:         84
        .size:           4
        .value_kind:     by_value
      - .offset:         88
        .size:           4
        .value_kind:     by_value
      - .offset:         92
        .size:           4
        .value_kind:     by_value
      - .offset:         96
        .size:           4
        .value_kind:     by_value
      - .offset:         100
        .size:           4
        .value_kind:     by_value
      - .offset:         104
        .size:           4
        .value_kind:     by_value
      - .offset:         108
        .size:           4
        .value_kind:     by_value
      - .offset:         112
        .size:           4
        .value_kind:     by_value
      - .offset:         116
        .size:           4
        .value_kind:     by_value
      - .offset:         120
        .size:           4
        .value_kind:     by_value
      - .offset:         124
        .size:           4
        .value_kind:     by_value
      - .offset:         128
        .size:           4
        .value_kind:     by_value
      - .offset:         132
        .size:           4
        .value_kind:     by_value
      - .offset:         136
        .size:           4
        .value_kind:     by_value
      - .offset:         144
        .size:           4
        .value_kind:     hidden_block_count_x
      - .offset:         148
        .size:           4
        .value_kind:     hidden_block_count_y
      - .offset:         152
        .size:           4
        .value_kind:     hidden_block_count_z
      - .offset:         156
        .size:           2
        .value_kind:     hidden_group_size_x
      - .offset:         158
        .size:           2
        .value_kind:     hidden_group_size_y
      - .offset:         160
        .size:           2
        .value_kind:     hidden_group_size_z
      - .offset:         162
        .size:           2
        .value_kind:     hidden_remainder_x
      - .offset:         164
        .size:           2
        .value_kind:     hidden_remainder_y
      - .offset:         166
        .size:           2
        .value_kind:     hidden_remainder_z
      - .offset:         184
        .size:           8
        .value_kind:     hidden_global_offset_x
      - .offset:         192
        .size:           8
        .value_kind:     hidden_global_offset_y
      - .offset:         200
        .size:           8
        .value_kind:     hidden_global_offset_z
      - .offset:         208
        .size:           2
        .value_kind:     hidden_grid_dims
    .group_segment_fixed_size: 24
    .kernarg_segment_align: 8
    .kernarg_segment_size: 400
    .language:       OpenCL C
    .language_version:
      - 2
      - 0
    .max_flat_workgroup_size: 1024
    .name:           _ZN5aiter35fused_qk_rmsnorm_group_quant_kernelItDB8_Li128ELi8ELi1ELb1ELb1ELb1ELb0ELb1ELb1EEEvPT0_PvPT_S6_S6_PKS5_S8_S8_S8_S8_ffiiiiiiiiiiiii
    .private_segment_fixed_size: 0
    .sgpr_count:     48
    .sgpr_spill_count: 0
    .symbol:         _ZN5aiter35fused_qk_rmsnorm_group_quant_kernelItDB8_Li128ELi8ELi1ELb1ELb1ELb1ELb0ELb1ELb1EEEvPT0_PvPT_S6_S6_PKS5_S8_S8_S8_S8_ffiiiiiiiiiiiii.kd
    .uniform_work_group_size: 1
    .uses_dynamic_stack: false
    .vgpr_count:     27
    .vgpr_spill_count: 0
    .wavefront_size: 64
  - .agpr_count:     0
    .args:
      - .actual_access:  write_only
        .address_space:  global
        .offset:         0
        .size:           8
        .value_kind:     global_buffer
      - .actual_access:  write_only
        .address_space:  global
        .offset:         8
        .size:           8
        .value_kind:     global_buffer
      - .actual_access:  write_only
        .address_space:  global
        .offset:         16
        .size:           8
        .value_kind:     global_buffer
      - .actual_access:  write_only
        .address_space:  global
        .offset:         24
        .size:           8
        .value_kind:     global_buffer
      - .actual_access:  write_only
        .address_space:  global
        .offset:         32
        .size:           8
        .value_kind:     global_buffer
      - .actual_access:  read_only
        .address_space:  global
        .offset:         40
        .size:           8
        .value_kind:     global_buffer
      - .actual_access:  read_only
        .address_space:  global
        .offset:         48
        .size:           8
        .value_kind:     global_buffer
      - .actual_access:  read_only
        .address_space:  global
        .offset:         56
        .size:           8
        .value_kind:     global_buffer
      - .actual_access:  read_only
        .address_space:  global
        .offset:         64
        .size:           8
        .value_kind:     global_buffer
      - .actual_access:  read_only
        .address_space:  global
        .offset:         72
        .size:           8
        .value_kind:     global_buffer
      - .offset:         80
        .size:           4
        .value_kind:     by_value
      - .offset:         84
        .size:           4
        .value_kind:     by_value
      - .offset:         88
        .size:           4
        .value_kind:     by_value
      - .offset:         92
        .size:           4
        .value_kind:     by_value
      - .offset:         96
        .size:           4
        .value_kind:     by_value
      - .offset:         100
        .size:           4
        .value_kind:     by_value
      - .offset:         104
        .size:           4
        .value_kind:     by_value
      - .offset:         108
        .size:           4
        .value_kind:     by_value
      - .offset:         112
        .size:           4
        .value_kind:     by_value
      - .offset:         116
        .size:           4
        .value_kind:     by_value
      - .offset:         120
        .size:           4
        .value_kind:     by_value
      - .offset:         124
        .size:           4
        .value_kind:     by_value
      - .offset:         128
        .size:           4
        .value_kind:     by_value
      - .offset:         132
        .size:           4
        .value_kind:     by_value
      - .offset:         136
        .size:           4
        .value_kind:     by_value
      - .offset:         144
        .size:           4
        .value_kind:     hidden_block_count_x
      - .offset:         148
        .size:           4
        .value_kind:     hidden_block_count_y
      - .offset:         152
        .size:           4
        .value_kind:     hidden_block_count_z
      - .offset:         156
        .size:           2
        .value_kind:     hidden_group_size_x
      - .offset:         158
        .size:           2
        .value_kind:     hidden_group_size_y
      - .offset:         160
        .size:           2
        .value_kind:     hidden_group_size_z
      - .offset:         162
        .size:           2
        .value_kind:     hidden_remainder_x
      - .offset:         164
        .size:           2
        .value_kind:     hidden_remainder_y
      - .offset:         166
        .size:           2
        .value_kind:     hidden_remainder_z
      - .offset:         184
        .size:           8
        .value_kind:     hidden_global_offset_x
      - .offset:         192
        .size:           8
        .value_kind:     hidden_global_offset_y
      - .offset:         200
        .size:           8
        .value_kind:     hidden_global_offset_z
      - .offset:         208
        .size:           2
        .value_kind:     hidden_grid_dims
    .group_segment_fixed_size: 24
    .kernarg_segment_align: 8
    .kernarg_segment_size: 400
    .language:       OpenCL C
    .language_version:
      - 2
      - 0
    .max_flat_workgroup_size: 1024
    .name:           _ZN5aiter35fused_qk_rmsnorm_group_quant_kernelIDF16_DB8_Li128ELi8ELi1ELb1ELb1ELb0ELb0ELb1ELb1EEEvPT0_PvPT_S6_S6_PKS5_S8_S8_S8_S8_ffiiiiiiiiiiiii
    .private_segment_fixed_size: 0
    .sgpr_count:     42
    .sgpr_spill_count: 0
    .symbol:         _ZN5aiter35fused_qk_rmsnorm_group_quant_kernelIDF16_DB8_Li128ELi8ELi1ELb1ELb1ELb0ELb0ELb1ELb1EEEvPT0_PvPT_S6_S6_PKS5_S8_S8_S8_S8_ffiiiiiiiiiiiii.kd
    .uniform_work_group_size: 1
    .uses_dynamic_stack: false
    .vgpr_count:     34
    .vgpr_spill_count: 0
    .wavefront_size: 64
  - .agpr_count:     0
    .args:
      - .actual_access:  write_only
        .address_space:  global
        .offset:         0
        .size:           8
        .value_kind:     global_buffer
      - .actual_access:  write_only
        .address_space:  global
        .offset:         8
        .size:           8
        .value_kind:     global_buffer
      - .actual_access:  write_only
        .address_space:  global
        .offset:         16
        .size:           8
        .value_kind:     global_buffer
      - .actual_access:  write_only
        .address_space:  global
        .offset:         24
        .size:           8
        .value_kind:     global_buffer
      - .actual_access:  write_only
        .address_space:  global
        .offset:         32
        .size:           8
        .value_kind:     global_buffer
      - .actual_access:  read_only
        .address_space:  global
        .offset:         40
        .size:           8
        .value_kind:     global_buffer
      - .actual_access:  read_only
        .address_space:  global
        .offset:         48
        .size:           8
        .value_kind:     global_buffer
      - .actual_access:  read_only
        .address_space:  global
        .offset:         56
        .size:           8
        .value_kind:     global_buffer
      - .actual_access:  read_only
        .address_space:  global
        .offset:         64
        .size:           8
        .value_kind:     global_buffer
      - .actual_access:  read_only
        .address_space:  global
        .offset:         72
        .size:           8
        .value_kind:     global_buffer
      - .offset:         80
        .size:           4
        .value_kind:     by_value
      - .offset:         84
        .size:           4
        .value_kind:     by_value
      - .offset:         88
        .size:           4
        .value_kind:     by_value
      - .offset:         92
        .size:           4
        .value_kind:     by_value
      - .offset:         96
        .size:           4
        .value_kind:     by_value
      - .offset:         100
        .size:           4
        .value_kind:     by_value
      - .offset:         104
        .size:           4
        .value_kind:     by_value
      - .offset:         108
        .size:           4
        .value_kind:     by_value
      - .offset:         112
        .size:           4
        .value_kind:     by_value
      - .offset:         116
        .size:           4
        .value_kind:     by_value
      - .offset:         120
        .size:           4
        .value_kind:     by_value
      - .offset:         124
        .size:           4
        .value_kind:     by_value
      - .offset:         128
        .size:           4
        .value_kind:     by_value
      - .offset:         132
        .size:           4
        .value_kind:     by_value
      - .offset:         136
        .size:           4
        .value_kind:     by_value
      - .offset:         144
        .size:           4
        .value_kind:     hidden_block_count_x
      - .offset:         148
        .size:           4
        .value_kind:     hidden_block_count_y
      - .offset:         152
        .size:           4
        .value_kind:     hidden_block_count_z
      - .offset:         156
        .size:           2
        .value_kind:     hidden_group_size_x
      - .offset:         158
        .size:           2
        .value_kind:     hidden_group_size_y
      - .offset:         160
        .size:           2
        .value_kind:     hidden_group_size_z
      - .offset:         162
        .size:           2
        .value_kind:     hidden_remainder_x
      - .offset:         164
        .size:           2
        .value_kind:     hidden_remainder_y
      - .offset:         166
        .size:           2
        .value_kind:     hidden_remainder_z
      - .offset:         184
        .size:           8
        .value_kind:     hidden_global_offset_x
      - .offset:         192
        .size:           8
        .value_kind:     hidden_global_offset_y
      - .offset:         200
        .size:           8
        .value_kind:     hidden_global_offset_z
      - .offset:         208
        .size:           2
        .value_kind:     hidden_grid_dims
    .group_segment_fixed_size: 24
    .kernarg_segment_align: 8
    .kernarg_segment_size: 400
    .language:       OpenCL C
    .language_version:
      - 2
      - 0
    .max_flat_workgroup_size: 1024
    .name:           _ZN5aiter35fused_qk_rmsnorm_group_quant_kernelItDB8_Li128ELi8ELi1ELb1ELb1ELb0ELb0ELb1ELb1EEEvPT0_PvPT_S6_S6_PKS5_S8_S8_S8_S8_ffiiiiiiiiiiiii
    .private_segment_fixed_size: 0
    .sgpr_count:     48
    .sgpr_spill_count: 0
    .symbol:         _ZN5aiter35fused_qk_rmsnorm_group_quant_kernelItDB8_Li128ELi8ELi1ELb1ELb1ELb0ELb0ELb1ELb1EEEvPT0_PvPT_S6_S6_PKS5_S8_S8_S8_S8_ffiiiiiiiiiiiii.kd
    .uniform_work_group_size: 1
    .uses_dynamic_stack: false
    .vgpr_count:     27
    .vgpr_spill_count: 0
    .wavefront_size: 64
  - .agpr_count:     0
    .args:
      - .actual_access:  write_only
        .address_space:  global
        .offset:         0
        .size:           8
        .value_kind:     global_buffer
      - .actual_access:  write_only
        .address_space:  global
        .offset:         8
        .size:           8
        .value_kind:     global_buffer
      - .actual_access:  read_only
        .address_space:  global
        .offset:         16
        .size:           8
        .value_kind:     global_buffer
      - .actual_access:  write_only
        .address_space:  global
        .offset:         24
        .size:           8
        .value_kind:     global_buffer
      - .actual_access:  write_only
        .address_space:  global
        .offset:         32
        .size:           8
        .value_kind:     global_buffer
      - .actual_access:  read_only
        .address_space:  global
        .offset:         40
        .size:           8
        .value_kind:     global_buffer
      - .actual_access:  read_only
        .address_space:  global
        .offset:         48
        .size:           8
        .value_kind:     global_buffer
      - .actual_access:  read_only
        .address_space:  global
        .offset:         56
        .size:           8
        .value_kind:     global_buffer
      - .actual_access:  read_only
        .address_space:  global
        .offset:         64
        .size:           8
        .value_kind:     global_buffer
      - .actual_access:  read_only
        .address_space:  global
        .offset:         72
        .size:           8
        .value_kind:     global_buffer
      - .offset:         80
        .size:           4
        .value_kind:     by_value
      - .offset:         84
        .size:           4
        .value_kind:     by_value
      - .offset:         88
        .size:           4
        .value_kind:     by_value
      - .offset:         92
        .size:           4
        .value_kind:     by_value
      - .offset:         96
        .size:           4
        .value_kind:     by_value
      - .offset:         100
        .size:           4
        .value_kind:     by_value
      - .offset:         104
        .size:           4
        .value_kind:     by_value
      - .offset:         108
        .size:           4
        .value_kind:     by_value
      - .offset:         112
        .size:           4
        .value_kind:     by_value
      - .offset:         116
        .size:           4
        .value_kind:     by_value
      - .offset:         120
        .size:           4
        .value_kind:     by_value
      - .offset:         124
        .size:           4
        .value_kind:     by_value
      - .offset:         128
        .size:           4
        .value_kind:     by_value
      - .offset:         132
        .size:           4
        .value_kind:     by_value
      - .offset:         136
        .size:           4
        .value_kind:     by_value
      - .offset:         144
        .size:           4
        .value_kind:     hidden_block_count_x
      - .offset:         148
        .size:           4
        .value_kind:     hidden_block_count_y
      - .offset:         152
        .size:           4
        .value_kind:     hidden_block_count_z
      - .offset:         156
        .size:           2
        .value_kind:     hidden_group_size_x
      - .offset:         158
        .size:           2
        .value_kind:     hidden_group_size_y
      - .offset:         160
        .size:           2
        .value_kind:     hidden_group_size_z
      - .offset:         162
        .size:           2
        .value_kind:     hidden_remainder_x
      - .offset:         164
        .size:           2
        .value_kind:     hidden_remainder_y
      - .offset:         166
        .size:           2
        .value_kind:     hidden_remainder_z
      - .offset:         184
        .size:           8
        .value_kind:     hidden_global_offset_x
      - .offset:         192
        .size:           8
        .value_kind:     hidden_global_offset_y
      - .offset:         200
        .size:           8
        .value_kind:     hidden_global_offset_z
      - .offset:         208
        .size:           2
        .value_kind:     hidden_grid_dims
    .group_segment_fixed_size: 24
    .kernarg_segment_align: 8
    .kernarg_segment_size: 400
    .language:       OpenCL C
    .language_version:
      - 2
      - 0
    .max_flat_workgroup_size: 1024
    .name:           _ZN5aiter35fused_qk_rmsnorm_group_quant_kernelIDF16_DB8_Li128ELi8ELi1ELb1ELb0ELb1ELb0ELb1ELb1EEEvPT0_PvPT_S6_S6_PKS5_S8_S8_S8_S8_ffiiiiiiiiiiiii
    .private_segment_fixed_size: 0
    .sgpr_count:     44
    .sgpr_spill_count: 0
    .symbol:         _ZN5aiter35fused_qk_rmsnorm_group_quant_kernelIDF16_DB8_Li128ELi8ELi1ELb1ELb0ELb1ELb0ELb1ELb1EEEvPT0_PvPT_S6_S6_PKS5_S8_S8_S8_S8_ffiiiiiiiiiiiii.kd
    .uniform_work_group_size: 1
    .uses_dynamic_stack: false
    .vgpr_count:     31
    .vgpr_spill_count: 0
    .wavefront_size: 64
  - .agpr_count:     0
    .args:
      - .actual_access:  write_only
        .address_space:  global
        .offset:         0
        .size:           8
        .value_kind:     global_buffer
      - .actual_access:  write_only
        .address_space:  global
        .offset:         8
        .size:           8
        .value_kind:     global_buffer
      - .actual_access:  read_only
        .address_space:  global
        .offset:         16
        .size:           8
        .value_kind:     global_buffer
      - .actual_access:  write_only
        .address_space:  global
        .offset:         24
        .size:           8
        .value_kind:     global_buffer
      - .actual_access:  write_only
        .address_space:  global
        .offset:         32
        .size:           8
        .value_kind:     global_buffer
      - .actual_access:  read_only
        .address_space:  global
        .offset:         40
        .size:           8
        .value_kind:     global_buffer
      - .actual_access:  read_only
        .address_space:  global
        .offset:         48
        .size:           8
        .value_kind:     global_buffer
      - .actual_access:  read_only
        .address_space:  global
        .offset:         56
        .size:           8
        .value_kind:     global_buffer
      - .actual_access:  read_only
        .address_space:  global
        .offset:         64
        .size:           8
        .value_kind:     global_buffer
      - .actual_access:  read_only
        .address_space:  global
        .offset:         72
        .size:           8
        .value_kind:     global_buffer
      - .offset:         80
        .size:           4
        .value_kind:     by_value
      - .offset:         84
        .size:           4
        .value_kind:     by_value
      - .offset:         88
        .size:           4
        .value_kind:     by_value
      - .offset:         92
        .size:           4
        .value_kind:     by_value
      - .offset:         96
        .size:           4
        .value_kind:     by_value
      - .offset:         100
        .size:           4
        .value_kind:     by_value
      - .offset:         104
        .size:           4
        .value_kind:     by_value
      - .offset:         108
        .size:           4
        .value_kind:     by_value
      - .offset:         112
        .size:           4
        .value_kind:     by_value
      - .offset:         116
        .size:           4
        .value_kind:     by_value
      - .offset:         120
        .size:           4
        .value_kind:     by_value
      - .offset:         124
        .size:           4
        .value_kind:     by_value
      - .offset:         128
        .size:           4
        .value_kind:     by_value
      - .offset:         132
        .size:           4
        .value_kind:     by_value
      - .offset:         136
        .size:           4
        .value_kind:     by_value
      - .offset:         144
        .size:           4
        .value_kind:     hidden_block_count_x
      - .offset:         148
        .size:           4
        .value_kind:     hidden_block_count_y
      - .offset:         152
        .size:           4
        .value_kind:     hidden_block_count_z
      - .offset:         156
        .size:           2
        .value_kind:     hidden_group_size_x
      - .offset:         158
        .size:           2
        .value_kind:     hidden_group_size_y
      - .offset:         160
        .size:           2
        .value_kind:     hidden_group_size_z
      - .offset:         162
        .size:           2
        .value_kind:     hidden_remainder_x
      - .offset:         164
        .size:           2
        .value_kind:     hidden_remainder_y
      - .offset:         166
        .size:           2
        .value_kind:     hidden_remainder_z
      - .offset:         184
        .size:           8
        .value_kind:     hidden_global_offset_x
      - .offset:         192
        .size:           8
        .value_kind:     hidden_global_offset_y
      - .offset:         200
        .size:           8
        .value_kind:     hidden_global_offset_z
      - .offset:         208
        .size:           2
        .value_kind:     hidden_grid_dims
    .group_segment_fixed_size: 24
    .kernarg_segment_align: 8
    .kernarg_segment_size: 400
    .language:       OpenCL C
    .language_version:
      - 2
      - 0
    .max_flat_workgroup_size: 1024
    .name:           _ZN5aiter35fused_qk_rmsnorm_group_quant_kernelItDB8_Li128ELi8ELi1ELb1ELb0ELb1ELb0ELb1ELb1EEEvPT0_PvPT_S6_S6_PKS5_S8_S8_S8_S8_ffiiiiiiiiiiiii
    .private_segment_fixed_size: 0
    .sgpr_count:     48
    .sgpr_spill_count: 0
    .symbol:         _ZN5aiter35fused_qk_rmsnorm_group_quant_kernelItDB8_Li128ELi8ELi1ELb1ELb0ELb1ELb0ELb1ELb1EEEvPT0_PvPT_S6_S6_PKS5_S8_S8_S8_S8_ffiiiiiiiiiiiii.kd
    .uniform_work_group_size: 1
    .uses_dynamic_stack: false
    .vgpr_count:     27
    .vgpr_spill_count: 0
    .wavefront_size: 64
  - .agpr_count:     0
    .args:
      - .actual_access:  write_only
        .address_space:  global
        .offset:         0
        .size:           8
        .value_kind:     global_buffer
      - .actual_access:  write_only
        .address_space:  global
        .offset:         8
        .size:           8
        .value_kind:     global_buffer
      - .actual_access:  read_only
        .address_space:  global
        .offset:         16
        .size:           8
        .value_kind:     global_buffer
      - .actual_access:  write_only
        .address_space:  global
        .offset:         24
        .size:           8
        .value_kind:     global_buffer
      - .actual_access:  write_only
        .address_space:  global
        .offset:         32
        .size:           8
        .value_kind:     global_buffer
      - .actual_access:  read_only
        .address_space:  global
        .offset:         40
        .size:           8
        .value_kind:     global_buffer
      - .actual_access:  read_only
        .address_space:  global
        .offset:         48
        .size:           8
        .value_kind:     global_buffer
      - .actual_access:  read_only
        .address_space:  global
        .offset:         56
        .size:           8
        .value_kind:     global_buffer
      - .actual_access:  read_only
        .address_space:  global
        .offset:         64
        .size:           8
        .value_kind:     global_buffer
      - .actual_access:  read_only
        .address_space:  global
        .offset:         72
        .size:           8
        .value_kind:     global_buffer
      - .offset:         80
        .size:           4
        .value_kind:     by_value
      - .offset:         84
        .size:           4
        .value_kind:     by_value
      - .offset:         88
        .size:           4
        .value_kind:     by_value
      - .offset:         92
        .size:           4
        .value_kind:     by_value
      - .offset:         96
        .size:           4
        .value_kind:     by_value
      - .offset:         100
        .size:           4
        .value_kind:     by_value
      - .offset:         104
        .size:           4
        .value_kind:     by_value
      - .offset:         108
        .size:           4
        .value_kind:     by_value
      - .offset:         112
        .size:           4
        .value_kind:     by_value
      - .offset:         116
        .size:           4
        .value_kind:     by_value
      - .offset:         120
        .size:           4
        .value_kind:     by_value
      - .offset:         124
        .size:           4
        .value_kind:     by_value
      - .offset:         128
        .size:           4
        .value_kind:     by_value
      - .offset:         132
        .size:           4
        .value_kind:     by_value
      - .offset:         136
        .size:           4
        .value_kind:     by_value
      - .offset:         144
        .size:           4
        .value_kind:     hidden_block_count_x
      - .offset:         148
        .size:           4
        .value_kind:     hidden_block_count_y
      - .offset:         152
        .size:           4
        .value_kind:     hidden_block_count_z
      - .offset:         156
        .size:           2
        .value_kind:     hidden_group_size_x
      - .offset:         158
        .size:           2
        .value_kind:     hidden_group_size_y
      - .offset:         160
        .size:           2
        .value_kind:     hidden_group_size_z
      - .offset:         162
        .size:           2
        .value_kind:     hidden_remainder_x
      - .offset:         164
        .size:           2
        .value_kind:     hidden_remainder_y
      - .offset:         166
        .size:           2
        .value_kind:     hidden_remainder_z
      - .offset:         184
        .size:           8
        .value_kind:     hidden_global_offset_x
      - .offset:         192
        .size:           8
        .value_kind:     hidden_global_offset_y
      - .offset:         200
        .size:           8
        .value_kind:     hidden_global_offset_z
      - .offset:         208
        .size:           2
        .value_kind:     hidden_grid_dims
    .group_segment_fixed_size: 24
    .kernarg_segment_align: 8
    .kernarg_segment_size: 400
    .language:       OpenCL C
    .language_version:
      - 2
      - 0
    .max_flat_workgroup_size: 1024
    .name:           _ZN5aiter35fused_qk_rmsnorm_group_quant_kernelIDF16_DB8_Li128ELi8ELi1ELb1ELb0ELb0ELb0ELb1ELb1EEEvPT0_PvPT_S6_S6_PKS5_S8_S8_S8_S8_ffiiiiiiiiiiiii
    .private_segment_fixed_size: 0
    .sgpr_count:     44
    .sgpr_spill_count: 0
    .symbol:         _ZN5aiter35fused_qk_rmsnorm_group_quant_kernelIDF16_DB8_Li128ELi8ELi1ELb1ELb0ELb0ELb0ELb1ELb1EEEvPT0_PvPT_S6_S6_PKS5_S8_S8_S8_S8_ffiiiiiiiiiiiii.kd
    .uniform_work_group_size: 1
    .uses_dynamic_stack: false
    .vgpr_count:     34
    .vgpr_spill_count: 0
    .wavefront_size: 64
  - .agpr_count:     0
    .args:
      - .actual_access:  write_only
        .address_space:  global
        .offset:         0
        .size:           8
        .value_kind:     global_buffer
      - .actual_access:  write_only
        .address_space:  global
        .offset:         8
        .size:           8
        .value_kind:     global_buffer
      - .actual_access:  read_only
        .address_space:  global
        .offset:         16
        .size:           8
        .value_kind:     global_buffer
      - .actual_access:  write_only
        .address_space:  global
        .offset:         24
        .size:           8
        .value_kind:     global_buffer
      - .actual_access:  write_only
        .address_space:  global
        .offset:         32
        .size:           8
        .value_kind:     global_buffer
      - .actual_access:  read_only
        .address_space:  global
        .offset:         40
        .size:           8
        .value_kind:     global_buffer
      - .actual_access:  read_only
        .address_space:  global
        .offset:         48
        .size:           8
        .value_kind:     global_buffer
      - .actual_access:  read_only
        .address_space:  global
        .offset:         56
        .size:           8
        .value_kind:     global_buffer
      - .actual_access:  read_only
        .address_space:  global
        .offset:         64
        .size:           8
        .value_kind:     global_buffer
      - .actual_access:  read_only
        .address_space:  global
        .offset:         72
        .size:           8
        .value_kind:     global_buffer
      - .offset:         80
        .size:           4
        .value_kind:     by_value
      - .offset:         84
        .size:           4
        .value_kind:     by_value
      - .offset:         88
        .size:           4
        .value_kind:     by_value
      - .offset:         92
        .size:           4
        .value_kind:     by_value
      - .offset:         96
        .size:           4
        .value_kind:     by_value
      - .offset:         100
        .size:           4
        .value_kind:     by_value
      - .offset:         104
        .size:           4
        .value_kind:     by_value
      - .offset:         108
        .size:           4
        .value_kind:     by_value
      - .offset:         112
        .size:           4
        .value_kind:     by_value
      - .offset:         116
        .size:           4
        .value_kind:     by_value
      - .offset:         120
        .size:           4
        .value_kind:     by_value
      - .offset:         124
        .size:           4
        .value_kind:     by_value
      - .offset:         128
        .size:           4
        .value_kind:     by_value
      - .offset:         132
        .size:           4
        .value_kind:     by_value
      - .offset:         136
        .size:           4
        .value_kind:     by_value
      - .offset:         144
        .size:           4
        .value_kind:     hidden_block_count_x
      - .offset:         148
        .size:           4
        .value_kind:     hidden_block_count_y
      - .offset:         152
        .size:           4
        .value_kind:     hidden_block_count_z
      - .offset:         156
        .size:           2
        .value_kind:     hidden_group_size_x
      - .offset:         158
        .size:           2
        .value_kind:     hidden_group_size_y
      - .offset:         160
        .size:           2
        .value_kind:     hidden_group_size_z
      - .offset:         162
        .size:           2
        .value_kind:     hidden_remainder_x
      - .offset:         164
        .size:           2
        .value_kind:     hidden_remainder_y
      - .offset:         166
        .size:           2
        .value_kind:     hidden_remainder_z
      - .offset:         184
        .size:           8
        .value_kind:     hidden_global_offset_x
      - .offset:         192
        .size:           8
        .value_kind:     hidden_global_offset_y
      - .offset:         200
        .size:           8
        .value_kind:     hidden_global_offset_z
      - .offset:         208
        .size:           2
        .value_kind:     hidden_grid_dims
    .group_segment_fixed_size: 24
    .kernarg_segment_align: 8
    .kernarg_segment_size: 400
    .language:       OpenCL C
    .language_version:
      - 2
      - 0
    .max_flat_workgroup_size: 1024
    .name:           _ZN5aiter35fused_qk_rmsnorm_group_quant_kernelItDB8_Li128ELi8ELi1ELb1ELb0ELb0ELb0ELb1ELb1EEEvPT0_PvPT_S6_S6_PKS5_S8_S8_S8_S8_ffiiiiiiiiiiiii
    .private_segment_fixed_size: 0
    .sgpr_count:     48
    .sgpr_spill_count: 0
    .symbol:         _ZN5aiter35fused_qk_rmsnorm_group_quant_kernelItDB8_Li128ELi8ELi1ELb1ELb0ELb0ELb0ELb1ELb1EEEvPT0_PvPT_S6_S6_PKS5_S8_S8_S8_S8_ffiiiiiiiiiiiii.kd
    .uniform_work_group_size: 1
    .uses_dynamic_stack: false
    .vgpr_count:     27
    .vgpr_spill_count: 0
    .wavefront_size: 64
  - .agpr_count:     0
    .args:
      - .actual_access:  write_only
        .address_space:  global
        .offset:         0
        .size:           8
        .value_kind:     global_buffer
      - .actual_access:  write_only
        .address_space:  global
        .offset:         8
        .size:           8
        .value_kind:     global_buffer
      - .actual_access:  write_only
        .address_space:  global
        .offset:         16
        .size:           8
        .value_kind:     global_buffer
      - .actual_access:  write_only
        .address_space:  global
        .offset:         24
        .size:           8
        .value_kind:     global_buffer
      - .actual_access:  read_only
        .address_space:  global
        .offset:         32
        .size:           8
        .value_kind:     global_buffer
      - .actual_access:  read_only
        .address_space:  global
        .offset:         40
        .size:           8
        .value_kind:     global_buffer
      - .actual_access:  read_only
        .address_space:  global
        .offset:         48
        .size:           8
        .value_kind:     global_buffer
      - .actual_access:  read_only
        .address_space:  global
        .offset:         56
        .size:           8
        .value_kind:     global_buffer
      - .actual_access:  read_only
        .address_space:  global
        .offset:         64
        .size:           8
        .value_kind:     global_buffer
      - .actual_access:  read_only
        .address_space:  global
        .offset:         72
        .size:           8
        .value_kind:     global_buffer
      - .offset:         80
        .size:           4
        .value_kind:     by_value
      - .offset:         84
        .size:           4
        .value_kind:     by_value
      - .offset:         88
        .size:           4
        .value_kind:     by_value
      - .offset:         92
        .size:           4
        .value_kind:     by_value
      - .offset:         96
        .size:           4
        .value_kind:     by_value
      - .offset:         100
        .size:           4
        .value_kind:     by_value
      - .offset:         104
        .size:           4
        .value_kind:     by_value
      - .offset:         108
        .size:           4
        .value_kind:     by_value
      - .offset:         112
        .size:           4
        .value_kind:     by_value
      - .offset:         116
        .size:           4
        .value_kind:     by_value
      - .offset:         120
        .size:           4
        .value_kind:     by_value
      - .offset:         124
        .size:           4
        .value_kind:     by_value
      - .offset:         128
        .size:           4
        .value_kind:     by_value
      - .offset:         132
        .size:           4
        .value_kind:     by_value
      - .offset:         136
        .size:           4
        .value_kind:     by_value
      - .offset:         144
        .size:           4
        .value_kind:     hidden_block_count_x
      - .offset:         148
        .size:           4
        .value_kind:     hidden_block_count_y
      - .offset:         152
        .size:           4
        .value_kind:     hidden_block_count_z
      - .offset:         156
        .size:           2
        .value_kind:     hidden_group_size_x
      - .offset:         158
        .size:           2
        .value_kind:     hidden_group_size_y
      - .offset:         160
        .size:           2
        .value_kind:     hidden_group_size_z
      - .offset:         162
        .size:           2
        .value_kind:     hidden_remainder_x
      - .offset:         164
        .size:           2
        .value_kind:     hidden_remainder_y
      - .offset:         166
        .size:           2
        .value_kind:     hidden_remainder_z
      - .offset:         184
        .size:           8
        .value_kind:     hidden_global_offset_x
      - .offset:         192
        .size:           8
        .value_kind:     hidden_global_offset_y
      - .offset:         200
        .size:           8
        .value_kind:     hidden_global_offset_z
      - .offset:         208
        .size:           2
        .value_kind:     hidden_grid_dims
    .group_segment_fixed_size: 24
    .kernarg_segment_align: 8
    .kernarg_segment_size: 400
    .language:       OpenCL C
    .language_version:
      - 2
      - 0
    .max_flat_workgroup_size: 1024
    .name:           _ZN5aiter35fused_qk_rmsnorm_group_quant_kernelIDF16_DB8_Li128ELi8ELi1ELb0ELb1ELb1ELb0ELb1ELb1EEEvPT0_PvPT_S6_S6_PKS5_S8_S8_S8_S8_ffiiiiiiiiiiiii
    .private_segment_fixed_size: 0
    .sgpr_count:     36
    .sgpr_spill_count: 0
    .symbol:         _ZN5aiter35fused_qk_rmsnorm_group_quant_kernelIDF16_DB8_Li128ELi8ELi1ELb0ELb1ELb1ELb0ELb1ELb1EEEvPT0_PvPT_S6_S6_PKS5_S8_S8_S8_S8_ffiiiiiiiiiiiii.kd
    .uniform_work_group_size: 1
    .uses_dynamic_stack: false
    .vgpr_count:     23
    .vgpr_spill_count: 0
    .wavefront_size: 64
  - .agpr_count:     0
    .args:
      - .actual_access:  write_only
        .address_space:  global
        .offset:         0
        .size:           8
        .value_kind:     global_buffer
      - .actual_access:  write_only
        .address_space:  global
        .offset:         8
        .size:           8
        .value_kind:     global_buffer
      - .actual_access:  write_only
        .address_space:  global
        .offset:         16
        .size:           8
        .value_kind:     global_buffer
      - .actual_access:  write_only
        .address_space:  global
        .offset:         24
        .size:           8
        .value_kind:     global_buffer
      - .actual_access:  read_only
        .address_space:  global
        .offset:         32
        .size:           8
        .value_kind:     global_buffer
      - .actual_access:  read_only
        .address_space:  global
        .offset:         40
        .size:           8
        .value_kind:     global_buffer
      - .actual_access:  read_only
        .address_space:  global
        .offset:         48
        .size:           8
        .value_kind:     global_buffer
      - .actual_access:  read_only
        .address_space:  global
        .offset:         56
        .size:           8
        .value_kind:     global_buffer
      - .actual_access:  read_only
        .address_space:  global
        .offset:         64
        .size:           8
        .value_kind:     global_buffer
      - .actual_access:  read_only
        .address_space:  global
        .offset:         72
        .size:           8
        .value_kind:     global_buffer
      - .offset:         80
        .size:           4
        .value_kind:     by_value
      - .offset:         84
        .size:           4
        .value_kind:     by_value
      - .offset:         88
        .size:           4
        .value_kind:     by_value
      - .offset:         92
        .size:           4
        .value_kind:     by_value
      - .offset:         96
        .size:           4
        .value_kind:     by_value
      - .offset:         100
        .size:           4
        .value_kind:     by_value
      - .offset:         104
        .size:           4
        .value_kind:     by_value
      - .offset:         108
        .size:           4
        .value_kind:     by_value
      - .offset:         112
        .size:           4
        .value_kind:     by_value
      - .offset:         116
        .size:           4
        .value_kind:     by_value
      - .offset:         120
        .size:           4
        .value_kind:     by_value
      - .offset:         124
        .size:           4
        .value_kind:     by_value
      - .offset:         128
        .size:           4
        .value_kind:     by_value
      - .offset:         132
        .size:           4
        .value_kind:     by_value
      - .offset:         136
        .size:           4
        .value_kind:     by_value
      - .offset:         144
        .size:           4
        .value_kind:     hidden_block_count_x
      - .offset:         148
        .size:           4
        .value_kind:     hidden_block_count_y
      - .offset:         152
        .size:           4
        .value_kind:     hidden_block_count_z
      - .offset:         156
        .size:           2
        .value_kind:     hidden_group_size_x
      - .offset:         158
        .size:           2
        .value_kind:     hidden_group_size_y
      - .offset:         160
        .size:           2
        .value_kind:     hidden_group_size_z
      - .offset:         162
        .size:           2
        .value_kind:     hidden_remainder_x
      - .offset:         164
        .size:           2
        .value_kind:     hidden_remainder_y
      - .offset:         166
        .size:           2
        .value_kind:     hidden_remainder_z
      - .offset:         184
        .size:           8
        .value_kind:     hidden_global_offset_x
      - .offset:         192
        .size:           8
        .value_kind:     hidden_global_offset_y
      - .offset:         200
        .size:           8
        .value_kind:     hidden_global_offset_z
      - .offset:         208
        .size:           2
        .value_kind:     hidden_grid_dims
    .group_segment_fixed_size: 24
    .kernarg_segment_align: 8
    .kernarg_segment_size: 400
    .language:       OpenCL C
    .language_version:
      - 2
      - 0
    .max_flat_workgroup_size: 1024
    .name:           _ZN5aiter35fused_qk_rmsnorm_group_quant_kernelItDB8_Li128ELi8ELi1ELb0ELb1ELb1ELb0ELb1ELb1EEEvPT0_PvPT_S6_S6_PKS5_S8_S8_S8_S8_ffiiiiiiiiiiiii
    .private_segment_fixed_size: 0
    .sgpr_count:     36
    .sgpr_spill_count: 0
    .symbol:         _ZN5aiter35fused_qk_rmsnorm_group_quant_kernelItDB8_Li128ELi8ELi1ELb0ELb1ELb1ELb0ELb1ELb1EEEvPT0_PvPT_S6_S6_PKS5_S8_S8_S8_S8_ffiiiiiiiiiiiii.kd
    .uniform_work_group_size: 1
    .uses_dynamic_stack: false
    .vgpr_count:     23
    .vgpr_spill_count: 0
    .wavefront_size: 64
  - .agpr_count:     0
    .args:
      - .actual_access:  write_only
        .address_space:  global
        .offset:         0
        .size:           8
        .value_kind:     global_buffer
      - .actual_access:  write_only
        .address_space:  global
        .offset:         8
        .size:           8
        .value_kind:     global_buffer
      - .actual_access:  write_only
        .address_space:  global
        .offset:         16
        .size:           8
        .value_kind:     global_buffer
      - .actual_access:  write_only
        .address_space:  global
        .offset:         24
        .size:           8
        .value_kind:     global_buffer
      - .actual_access:  read_only
        .address_space:  global
        .offset:         32
        .size:           8
        .value_kind:     global_buffer
      - .actual_access:  read_only
        .address_space:  global
        .offset:         40
        .size:           8
        .value_kind:     global_buffer
      - .actual_access:  read_only
        .address_space:  global
        .offset:         48
        .size:           8
        .value_kind:     global_buffer
      - .actual_access:  read_only
        .address_space:  global
        .offset:         56
        .size:           8
        .value_kind:     global_buffer
      - .actual_access:  read_only
        .address_space:  global
        .offset:         64
        .size:           8
        .value_kind:     global_buffer
      - .actual_access:  read_only
        .address_space:  global
        .offset:         72
        .size:           8
        .value_kind:     global_buffer
      - .offset:         80
        .size:           4
        .value_kind:     by_value
      - .offset:         84
        .size:           4
        .value_kind:     by_value
      - .offset:         88
        .size:           4
        .value_kind:     by_value
      - .offset:         92
        .size:           4
        .value_kind:     by_value
      - .offset:         96
        .size:           4
        .value_kind:     by_value
      - .offset:         100
        .size:           4
        .value_kind:     by_value
      - .offset:         104
        .size:           4
        .value_kind:     by_value
      - .offset:         108
        .size:           4
        .value_kind:     by_value
      - .offset:         112
        .size:           4
        .value_kind:     by_value
      - .offset:         116
        .size:           4
        .value_kind:     by_value
      - .offset:         120
        .size:           4
        .value_kind:     by_value
      - .offset:         124
        .size:           4
        .value_kind:     by_value
      - .offset:         128
        .size:           4
        .value_kind:     by_value
      - .offset:         132
        .size:           4
        .value_kind:     by_value
      - .offset:         136
        .size:           4
        .value_kind:     by_value
      - .offset:         144
        .size:           4
        .value_kind:     hidden_block_count_x
      - .offset:         148
        .size:           4
        .value_kind:     hidden_block_count_y
      - .offset:         152
        .size:           4
        .value_kind:     hidden_block_count_z
      - .offset:         156
        .size:           2
        .value_kind:     hidden_group_size_x
      - .offset:         158
        .size:           2
        .value_kind:     hidden_group_size_y
      - .offset:         160
        .size:           2
        .value_kind:     hidden_group_size_z
      - .offset:         162
        .size:           2
        .value_kind:     hidden_remainder_x
      - .offset:         164
        .size:           2
        .value_kind:     hidden_remainder_y
      - .offset:         166
        .size:           2
        .value_kind:     hidden_remainder_z
      - .offset:         184
        .size:           8
        .value_kind:     hidden_global_offset_x
      - .offset:         192
        .size:           8
        .value_kind:     hidden_global_offset_y
      - .offset:         200
        .size:           8
        .value_kind:     hidden_global_offset_z
      - .offset:         208
        .size:           2
        .value_kind:     hidden_grid_dims
    .group_segment_fixed_size: 24
    .kernarg_segment_align: 8
    .kernarg_segment_size: 400
    .language:       OpenCL C
    .language_version:
      - 2
      - 0
    .max_flat_workgroup_size: 1024
    .name:           _ZN5aiter35fused_qk_rmsnorm_group_quant_kernelIDF16_DB8_Li128ELi8ELi1ELb0ELb1ELb0ELb0ELb1ELb1EEEvPT0_PvPT_S6_S6_PKS5_S8_S8_S8_S8_ffiiiiiiiiiiiii
    .private_segment_fixed_size: 0
    .sgpr_count:     36
    .sgpr_spill_count: 0
    .symbol:         _ZN5aiter35fused_qk_rmsnorm_group_quant_kernelIDF16_DB8_Li128ELi8ELi1ELb0ELb1ELb0ELb0ELb1ELb1EEEvPT0_PvPT_S6_S6_PKS5_S8_S8_S8_S8_ffiiiiiiiiiiiii.kd
    .uniform_work_group_size: 1
    .uses_dynamic_stack: false
    .vgpr_count:     23
    .vgpr_spill_count: 0
    .wavefront_size: 64
  - .agpr_count:     0
    .args:
      - .actual_access:  write_only
        .address_space:  global
        .offset:         0
        .size:           8
        .value_kind:     global_buffer
      - .actual_access:  write_only
        .address_space:  global
        .offset:         8
        .size:           8
        .value_kind:     global_buffer
      - .actual_access:  write_only
        .address_space:  global
        .offset:         16
        .size:           8
        .value_kind:     global_buffer
      - .actual_access:  write_only
        .address_space:  global
        .offset:         24
        .size:           8
        .value_kind:     global_buffer
      - .actual_access:  read_only
        .address_space:  global
        .offset:         32
        .size:           8
        .value_kind:     global_buffer
      - .actual_access:  read_only
        .address_space:  global
        .offset:         40
        .size:           8
        .value_kind:     global_buffer
      - .actual_access:  read_only
        .address_space:  global
        .offset:         48
        .size:           8
        .value_kind:     global_buffer
      - .actual_access:  read_only
        .address_space:  global
        .offset:         56
        .size:           8
        .value_kind:     global_buffer
      - .actual_access:  read_only
        .address_space:  global
        .offset:         64
        .size:           8
        .value_kind:     global_buffer
      - .actual_access:  read_only
        .address_space:  global
        .offset:         72
        .size:           8
        .value_kind:     global_buffer
      - .offset:         80
        .size:           4
        .value_kind:     by_value
      - .offset:         84
        .size:           4
        .value_kind:     by_value
      - .offset:         88
        .size:           4
        .value_kind:     by_value
      - .offset:         92
        .size:           4
        .value_kind:     by_value
      - .offset:         96
        .size:           4
        .value_kind:     by_value
      - .offset:         100
        .size:           4
        .value_kind:     by_value
      - .offset:         104
        .size:           4
        .value_kind:     by_value
      - .offset:         108
        .size:           4
        .value_kind:     by_value
      - .offset:         112
        .size:           4
        .value_kind:     by_value
      - .offset:         116
        .size:           4
        .value_kind:     by_value
      - .offset:         120
        .size:           4
        .value_kind:     by_value
      - .offset:         124
        .size:           4
        .value_kind:     by_value
      - .offset:         128
        .size:           4
        .value_kind:     by_value
      - .offset:         132
        .size:           4
        .value_kind:     by_value
      - .offset:         136
        .size:           4
        .value_kind:     by_value
      - .offset:         144
        .size:           4
        .value_kind:     hidden_block_count_x
      - .offset:         148
        .size:           4
        .value_kind:     hidden_block_count_y
      - .offset:         152
        .size:           4
        .value_kind:     hidden_block_count_z
      - .offset:         156
        .size:           2
        .value_kind:     hidden_group_size_x
      - .offset:         158
        .size:           2
        .value_kind:     hidden_group_size_y
      - .offset:         160
        .size:           2
        .value_kind:     hidden_group_size_z
      - .offset:         162
        .size:           2
        .value_kind:     hidden_remainder_x
      - .offset:         164
        .size:           2
        .value_kind:     hidden_remainder_y
      - .offset:         166
        .size:           2
        .value_kind:     hidden_remainder_z
      - .offset:         184
        .size:           8
        .value_kind:     hidden_global_offset_x
      - .offset:         192
        .size:           8
        .value_kind:     hidden_global_offset_y
      - .offset:         200
        .size:           8
        .value_kind:     hidden_global_offset_z
      - .offset:         208
        .size:           2
        .value_kind:     hidden_grid_dims
    .group_segment_fixed_size: 24
    .kernarg_segment_align: 8
    .kernarg_segment_size: 400
    .language:       OpenCL C
    .language_version:
      - 2
      - 0
    .max_flat_workgroup_size: 1024
    .name:           _ZN5aiter35fused_qk_rmsnorm_group_quant_kernelItDB8_Li128ELi8ELi1ELb0ELb1ELb0ELb0ELb1ELb1EEEvPT0_PvPT_S6_S6_PKS5_S8_S8_S8_S8_ffiiiiiiiiiiiii
    .private_segment_fixed_size: 0
    .sgpr_count:     36
    .sgpr_spill_count: 0
    .symbol:         _ZN5aiter35fused_qk_rmsnorm_group_quant_kernelItDB8_Li128ELi8ELi1ELb0ELb1ELb0ELb0ELb1ELb1EEEvPT0_PvPT_S6_S6_PKS5_S8_S8_S8_S8_ffiiiiiiiiiiiii.kd
    .uniform_work_group_size: 1
    .uses_dynamic_stack: false
    .vgpr_count:     23
    .vgpr_spill_count: 0
    .wavefront_size: 64
  - .agpr_count:     0
    .args:
      - .actual_access:  write_only
        .address_space:  global
        .offset:         0
        .size:           8
        .value_kind:     global_buffer
      - .actual_access:  write_only
        .address_space:  global
        .offset:         8
        .size:           8
        .value_kind:     global_buffer
      - .actual_access:  read_only
        .address_space:  global
        .offset:         16
        .size:           8
        .value_kind:     global_buffer
      - .actual_access:  write_only
        .address_space:  global
        .offset:         24
        .size:           8
        .value_kind:     global_buffer
      - .actual_access:  read_only
        .address_space:  global
        .offset:         32
        .size:           8
        .value_kind:     global_buffer
      - .actual_access:  read_only
        .address_space:  global
        .offset:         40
        .size:           8
        .value_kind:     global_buffer
      - .actual_access:  read_only
        .address_space:  global
        .offset:         48
        .size:           8
        .value_kind:     global_buffer
      - .actual_access:  read_only
        .address_space:  global
        .offset:         56
        .size:           8
        .value_kind:     global_buffer
      - .actual_access:  read_only
        .address_space:  global
        .offset:         64
        .size:           8
        .value_kind:     global_buffer
      - .actual_access:  read_only
        .address_space:  global
        .offset:         72
        .size:           8
        .value_kind:     global_buffer
      - .offset:         80
        .size:           4
        .value_kind:     by_value
      - .offset:         84
        .size:           4
        .value_kind:     by_value
      - .offset:         88
        .size:           4
        .value_kind:     by_value
      - .offset:         92
        .size:           4
        .value_kind:     by_value
      - .offset:         96
        .size:           4
        .value_kind:     by_value
      - .offset:         100
        .size:           4
        .value_kind:     by_value
      - .offset:         104
        .size:           4
        .value_kind:     by_value
      - .offset:         108
        .size:           4
        .value_kind:     by_value
      - .offset:         112
        .size:           4
        .value_kind:     by_value
      - .offset:         116
        .size:           4
        .value_kind:     by_value
      - .offset:         120
        .size:           4
        .value_kind:     by_value
      - .offset:         124
        .size:           4
        .value_kind:     by_value
      - .offset:         128
        .size:           4
        .value_kind:     by_value
      - .offset:         132
        .size:           4
        .value_kind:     by_value
      - .offset:         136
        .size:           4
        .value_kind:     by_value
      - .offset:         144
        .size:           4
        .value_kind:     hidden_block_count_x
      - .offset:         148
        .size:           4
        .value_kind:     hidden_block_count_y
      - .offset:         152
        .size:           4
        .value_kind:     hidden_block_count_z
      - .offset:         156
        .size:           2
        .value_kind:     hidden_group_size_x
      - .offset:         158
        .size:           2
        .value_kind:     hidden_group_size_y
      - .offset:         160
        .size:           2
        .value_kind:     hidden_group_size_z
      - .offset:         162
        .size:           2
        .value_kind:     hidden_remainder_x
      - .offset:         164
        .size:           2
        .value_kind:     hidden_remainder_y
      - .offset:         166
        .size:           2
        .value_kind:     hidden_remainder_z
      - .offset:         184
        .size:           8
        .value_kind:     hidden_global_offset_x
      - .offset:         192
        .size:           8
        .value_kind:     hidden_global_offset_y
      - .offset:         200
        .size:           8
        .value_kind:     hidden_global_offset_z
      - .offset:         208
        .size:           2
        .value_kind:     hidden_grid_dims
    .group_segment_fixed_size: 24
    .kernarg_segment_align: 8
    .kernarg_segment_size: 400
    .language:       OpenCL C
    .language_version:
      - 2
      - 0
    .max_flat_workgroup_size: 1024
    .name:           _ZN5aiter35fused_qk_rmsnorm_group_quant_kernelIDF16_DB8_Li128ELi8ELi1ELb0ELb0ELb1ELb0ELb1ELb1EEEvPT0_PvPT_S6_S6_PKS5_S8_S8_S8_S8_ffiiiiiiiiiiiii
    .private_segment_fixed_size: 0
    .sgpr_count:     36
    .sgpr_spill_count: 0
    .symbol:         _ZN5aiter35fused_qk_rmsnorm_group_quant_kernelIDF16_DB8_Li128ELi8ELi1ELb0ELb0ELb1ELb0ELb1ELb1EEEvPT0_PvPT_S6_S6_PKS5_S8_S8_S8_S8_ffiiiiiiiiiiiii.kd
    .uniform_work_group_size: 1
    .uses_dynamic_stack: false
    .vgpr_count:     23
    .vgpr_spill_count: 0
    .wavefront_size: 64
  - .agpr_count:     0
    .args:
      - .actual_access:  write_only
        .address_space:  global
        .offset:         0
        .size:           8
        .value_kind:     global_buffer
      - .actual_access:  write_only
        .address_space:  global
        .offset:         8
        .size:           8
        .value_kind:     global_buffer
      - .actual_access:  read_only
        .address_space:  global
        .offset:         16
        .size:           8
        .value_kind:     global_buffer
      - .actual_access:  write_only
        .address_space:  global
        .offset:         24
        .size:           8
        .value_kind:     global_buffer
      - .actual_access:  read_only
        .address_space:  global
        .offset:         32
        .size:           8
        .value_kind:     global_buffer
      - .actual_access:  read_only
        .address_space:  global
        .offset:         40
        .size:           8
        .value_kind:     global_buffer
      - .actual_access:  read_only
        .address_space:  global
        .offset:         48
        .size:           8
        .value_kind:     global_buffer
      - .actual_access:  read_only
        .address_space:  global
        .offset:         56
        .size:           8
        .value_kind:     global_buffer
      - .actual_access:  read_only
        .address_space:  global
        .offset:         64
        .size:           8
        .value_kind:     global_buffer
      - .actual_access:  read_only
        .address_space:  global
        .offset:         72
        .size:           8
        .value_kind:     global_buffer
      - .offset:         80
        .size:           4
        .value_kind:     by_value
      - .offset:         84
        .size:           4
        .value_kind:     by_value
      - .offset:         88
        .size:           4
        .value_kind:     by_value
      - .offset:         92
        .size:           4
        .value_kind:     by_value
      - .offset:         96
        .size:           4
        .value_kind:     by_value
      - .offset:         100
        .size:           4
        .value_kind:     by_value
      - .offset:         104
        .size:           4
        .value_kind:     by_value
      - .offset:         108
        .size:           4
        .value_kind:     by_value
      - .offset:         112
        .size:           4
        .value_kind:     by_value
      - .offset:         116
        .size:           4
        .value_kind:     by_value
      - .offset:         120
        .size:           4
        .value_kind:     by_value
      - .offset:         124
        .size:           4
        .value_kind:     by_value
      - .offset:         128
        .size:           4
        .value_kind:     by_value
      - .offset:         132
        .size:           4
        .value_kind:     by_value
      - .offset:         136
        .size:           4
        .value_kind:     by_value
      - .offset:         144
        .size:           4
        .value_kind:     hidden_block_count_x
      - .offset:         148
        .size:           4
        .value_kind:     hidden_block_count_y
      - .offset:         152
        .size:           4
        .value_kind:     hidden_block_count_z
      - .offset:         156
        .size:           2
        .value_kind:     hidden_group_size_x
      - .offset:         158
        .size:           2
        .value_kind:     hidden_group_size_y
      - .offset:         160
        .size:           2
        .value_kind:     hidden_group_size_z
      - .offset:         162
        .size:           2
        .value_kind:     hidden_remainder_x
      - .offset:         164
        .size:           2
        .value_kind:     hidden_remainder_y
      - .offset:         166
        .size:           2
        .value_kind:     hidden_remainder_z
      - .offset:         184
        .size:           8
        .value_kind:     hidden_global_offset_x
      - .offset:         192
        .size:           8
        .value_kind:     hidden_global_offset_y
      - .offset:         200
        .size:           8
        .value_kind:     hidden_global_offset_z
      - .offset:         208
        .size:           2
        .value_kind:     hidden_grid_dims
    .group_segment_fixed_size: 24
    .kernarg_segment_align: 8
    .kernarg_segment_size: 400
    .language:       OpenCL C
    .language_version:
      - 2
      - 0
    .max_flat_workgroup_size: 1024
    .name:           _ZN5aiter35fused_qk_rmsnorm_group_quant_kernelItDB8_Li128ELi8ELi1ELb0ELb0ELb1ELb0ELb1ELb1EEEvPT0_PvPT_S6_S6_PKS5_S8_S8_S8_S8_ffiiiiiiiiiiiii
    .private_segment_fixed_size: 0
    .sgpr_count:     36
    .sgpr_spill_count: 0
    .symbol:         _ZN5aiter35fused_qk_rmsnorm_group_quant_kernelItDB8_Li128ELi8ELi1ELb0ELb0ELb1ELb0ELb1ELb1EEEvPT0_PvPT_S6_S6_PKS5_S8_S8_S8_S8_ffiiiiiiiiiiiii.kd
    .uniform_work_group_size: 1
    .uses_dynamic_stack: false
    .vgpr_count:     23
    .vgpr_spill_count: 0
    .wavefront_size: 64
  - .agpr_count:     0
    .args:
      - .actual_access:  write_only
        .address_space:  global
        .offset:         0
        .size:           8
        .value_kind:     global_buffer
      - .actual_access:  write_only
        .address_space:  global
        .offset:         8
        .size:           8
        .value_kind:     global_buffer
      - .actual_access:  read_only
        .address_space:  global
        .offset:         16
        .size:           8
        .value_kind:     global_buffer
      - .actual_access:  write_only
        .address_space:  global
        .offset:         24
        .size:           8
        .value_kind:     global_buffer
      - .actual_access:  read_only
        .address_space:  global
        .offset:         32
        .size:           8
        .value_kind:     global_buffer
      - .actual_access:  read_only
        .address_space:  global
        .offset:         40
        .size:           8
        .value_kind:     global_buffer
      - .actual_access:  read_only
        .address_space:  global
        .offset:         48
        .size:           8
        .value_kind:     global_buffer
      - .actual_access:  read_only
        .address_space:  global
        .offset:         56
        .size:           8
        .value_kind:     global_buffer
      - .actual_access:  read_only
        .address_space:  global
        .offset:         64
        .size:           8
        .value_kind:     global_buffer
      - .actual_access:  read_only
        .address_space:  global
        .offset:         72
        .size:           8
        .value_kind:     global_buffer
      - .offset:         80
        .size:           4
        .value_kind:     by_value
      - .offset:         84
        .size:           4
        .value_kind:     by_value
      - .offset:         88
        .size:           4
        .value_kind:     by_value
      - .offset:         92
        .size:           4
        .value_kind:     by_value
      - .offset:         96
        .size:           4
        .value_kind:     by_value
      - .offset:         100
        .size:           4
        .value_kind:     by_value
      - .offset:         104
        .size:           4
        .value_kind:     by_value
      - .offset:         108
        .size:           4
        .value_kind:     by_value
      - .offset:         112
        .size:           4
        .value_kind:     by_value
      - .offset:         116
        .size:           4
        .value_kind:     by_value
      - .offset:         120
        .size:           4
        .value_kind:     by_value
      - .offset:         124
        .size:           4
        .value_kind:     by_value
      - .offset:         128
        .size:           4
        .value_kind:     by_value
      - .offset:         132
        .size:           4
        .value_kind:     by_value
      - .offset:         136
        .size:           4
        .value_kind:     by_value
      - .offset:         144
        .size:           4
        .value_kind:     hidden_block_count_x
      - .offset:         148
        .size:           4
        .value_kind:     hidden_block_count_y
      - .offset:         152
        .size:           4
        .value_kind:     hidden_block_count_z
      - .offset:         156
        .size:           2
        .value_kind:     hidden_group_size_x
      - .offset:         158
        .size:           2
        .value_kind:     hidden_group_size_y
      - .offset:         160
        .size:           2
        .value_kind:     hidden_group_size_z
      - .offset:         162
        .size:           2
        .value_kind:     hidden_remainder_x
      - .offset:         164
        .size:           2
        .value_kind:     hidden_remainder_y
      - .offset:         166
        .size:           2
        .value_kind:     hidden_remainder_z
      - .offset:         184
        .size:           8
        .value_kind:     hidden_global_offset_x
      - .offset:         192
        .size:           8
        .value_kind:     hidden_global_offset_y
      - .offset:         200
        .size:           8
        .value_kind:     hidden_global_offset_z
      - .offset:         208
        .size:           2
        .value_kind:     hidden_grid_dims
    .group_segment_fixed_size: 24
    .kernarg_segment_align: 8
    .kernarg_segment_size: 400
    .language:       OpenCL C
    .language_version:
      - 2
      - 0
    .max_flat_workgroup_size: 1024
    .name:           _ZN5aiter35fused_qk_rmsnorm_group_quant_kernelIDF16_DB8_Li128ELi8ELi1ELb0ELb0ELb0ELb0ELb1ELb1EEEvPT0_PvPT_S6_S6_PKS5_S8_S8_S8_S8_ffiiiiiiiiiiiii
    .private_segment_fixed_size: 0
    .sgpr_count:     36
    .sgpr_spill_count: 0
    .symbol:         _ZN5aiter35fused_qk_rmsnorm_group_quant_kernelIDF16_DB8_Li128ELi8ELi1ELb0ELb0ELb0ELb0ELb1ELb1EEEvPT0_PvPT_S6_S6_PKS5_S8_S8_S8_S8_ffiiiiiiiiiiiii.kd
    .uniform_work_group_size: 1
    .uses_dynamic_stack: false
    .vgpr_count:     23
    .vgpr_spill_count: 0
    .wavefront_size: 64
  - .agpr_count:     0
    .args:
      - .actual_access:  write_only
        .address_space:  global
        .offset:         0
        .size:           8
        .value_kind:     global_buffer
      - .actual_access:  write_only
        .address_space:  global
        .offset:         8
        .size:           8
        .value_kind:     global_buffer
      - .actual_access:  read_only
        .address_space:  global
        .offset:         16
        .size:           8
        .value_kind:     global_buffer
      - .actual_access:  write_only
        .address_space:  global
        .offset:         24
        .size:           8
        .value_kind:     global_buffer
      - .actual_access:  read_only
        .address_space:  global
        .offset:         32
        .size:           8
        .value_kind:     global_buffer
      - .actual_access:  read_only
        .address_space:  global
        .offset:         40
        .size:           8
        .value_kind:     global_buffer
      - .actual_access:  read_only
        .address_space:  global
        .offset:         48
        .size:           8
        .value_kind:     global_buffer
      - .actual_access:  read_only
        .address_space:  global
        .offset:         56
        .size:           8
        .value_kind:     global_buffer
      - .actual_access:  read_only
        .address_space:  global
        .offset:         64
        .size:           8
        .value_kind:     global_buffer
      - .actual_access:  read_only
        .address_space:  global
        .offset:         72
        .size:           8
        .value_kind:     global_buffer
      - .offset:         80
        .size:           4
        .value_kind:     by_value
      - .offset:         84
        .size:           4
        .value_kind:     by_value
      - .offset:         88
        .size:           4
        .value_kind:     by_value
      - .offset:         92
        .size:           4
        .value_kind:     by_value
      - .offset:         96
        .size:           4
        .value_kind:     by_value
      - .offset:         100
        .size:           4
        .value_kind:     by_value
      - .offset:         104
        .size:           4
        .value_kind:     by_value
      - .offset:         108
        .size:           4
        .value_kind:     by_value
      - .offset:         112
        .size:           4
        .value_kind:     by_value
      - .offset:         116
        .size:           4
        .value_kind:     by_value
      - .offset:         120
        .size:           4
        .value_kind:     by_value
      - .offset:         124
        .size:           4
        .value_kind:     by_value
      - .offset:         128
        .size:           4
        .value_kind:     by_value
      - .offset:         132
        .size:           4
        .value_kind:     by_value
      - .offset:         136
        .size:           4
        .value_kind:     by_value
      - .offset:         144
        .size:           4
        .value_kind:     hidden_block_count_x
      - .offset:         148
        .size:           4
        .value_kind:     hidden_block_count_y
      - .offset:         152
        .size:           4
        .value_kind:     hidden_block_count_z
      - .offset:         156
        .size:           2
        .value_kind:     hidden_group_size_x
      - .offset:         158
        .size:           2
        .value_kind:     hidden_group_size_y
      - .offset:         160
        .size:           2
        .value_kind:     hidden_group_size_z
      - .offset:         162
        .size:           2
        .value_kind:     hidden_remainder_x
      - .offset:         164
        .size:           2
        .value_kind:     hidden_remainder_y
      - .offset:         166
        .size:           2
        .value_kind:     hidden_remainder_z
      - .offset:         184
        .size:           8
        .value_kind:     hidden_global_offset_x
      - .offset:         192
        .size:           8
        .value_kind:     hidden_global_offset_y
      - .offset:         200
        .size:           8
        .value_kind:     hidden_global_offset_z
      - .offset:         208
        .size:           2
        .value_kind:     hidden_grid_dims
    .group_segment_fixed_size: 24
    .kernarg_segment_align: 8
    .kernarg_segment_size: 400
    .language:       OpenCL C
    .language_version:
      - 2
      - 0
    .max_flat_workgroup_size: 1024
    .name:           _ZN5aiter35fused_qk_rmsnorm_group_quant_kernelItDB8_Li128ELi8ELi1ELb0ELb0ELb0ELb0ELb1ELb1EEEvPT0_PvPT_S6_S6_PKS5_S8_S8_S8_S8_ffiiiiiiiiiiiii
    .private_segment_fixed_size: 0
    .sgpr_count:     36
    .sgpr_spill_count: 0
    .symbol:         _ZN5aiter35fused_qk_rmsnorm_group_quant_kernelItDB8_Li128ELi8ELi1ELb0ELb0ELb0ELb0ELb1ELb1EEEvPT0_PvPT_S6_S6_PKS5_S8_S8_S8_S8_ffiiiiiiiiiiiii.kd
    .uniform_work_group_size: 1
    .uses_dynamic_stack: false
    .vgpr_count:     23
    .vgpr_spill_count: 0
    .wavefront_size: 64
  - .agpr_count:     0
    .args:
      - .actual_access:  write_only
        .address_space:  global
        .offset:         0
        .size:           8
        .value_kind:     global_buffer
      - .actual_access:  write_only
        .address_space:  global
        .offset:         8
        .size:           8
        .value_kind:     global_buffer
      - .actual_access:  write_only
        .address_space:  global
        .offset:         16
        .size:           8
        .value_kind:     global_buffer
      - .actual_access:  write_only
        .address_space:  global
        .offset:         24
        .size:           8
        .value_kind:     global_buffer
      - .actual_access:  write_only
        .address_space:  global
        .offset:         32
        .size:           8
        .value_kind:     global_buffer
      - .actual_access:  read_only
        .address_space:  global
        .offset:         40
        .size:           8
        .value_kind:     global_buffer
      - .actual_access:  read_only
        .address_space:  global
        .offset:         48
        .size:           8
        .value_kind:     global_buffer
      - .actual_access:  read_only
        .address_space:  global
        .offset:         56
        .size:           8
        .value_kind:     global_buffer
      - .actual_access:  read_only
        .address_space:  global
        .offset:         64
        .size:           8
        .value_kind:     global_buffer
      - .actual_access:  read_only
        .address_space:  global
        .offset:         72
        .size:           8
        .value_kind:     global_buffer
      - .offset:         80
        .size:           4
        .value_kind:     by_value
      - .offset:         84
        .size:           4
        .value_kind:     by_value
      - .offset:         88
        .size:           4
        .value_kind:     by_value
      - .offset:         92
        .size:           4
        .value_kind:     by_value
      - .offset:         96
        .size:           4
        .value_kind:     by_value
      - .offset:         100
        .size:           4
        .value_kind:     by_value
      - .offset:         104
        .size:           4
        .value_kind:     by_value
      - .offset:         108
        .size:           4
        .value_kind:     by_value
      - .offset:         112
        .size:           4
        .value_kind:     by_value
      - .offset:         116
        .size:           4
        .value_kind:     by_value
      - .offset:         120
        .size:           4
        .value_kind:     by_value
      - .offset:         124
        .size:           4
        .value_kind:     by_value
      - .offset:         128
        .size:           4
        .value_kind:     by_value
      - .offset:         132
        .size:           4
        .value_kind:     by_value
      - .offset:         136
        .size:           4
        .value_kind:     by_value
      - .offset:         144
        .size:           4
        .value_kind:     hidden_block_count_x
      - .offset:         148
        .size:           4
        .value_kind:     hidden_block_count_y
      - .offset:         152
        .size:           4
        .value_kind:     hidden_block_count_z
      - .offset:         156
        .size:           2
        .value_kind:     hidden_group_size_x
      - .offset:         158
        .size:           2
        .value_kind:     hidden_group_size_y
      - .offset:         160
        .size:           2
        .value_kind:     hidden_group_size_z
      - .offset:         162
        .size:           2
        .value_kind:     hidden_remainder_x
      - .offset:         164
        .size:           2
        .value_kind:     hidden_remainder_y
      - .offset:         166
        .size:           2
        .value_kind:     hidden_remainder_z
      - .offset:         184
        .size:           8
        .value_kind:     hidden_global_offset_x
      - .offset:         192
        .size:           8
        .value_kind:     hidden_global_offset_y
      - .offset:         200
        .size:           8
        .value_kind:     hidden_global_offset_z
      - .offset:         208
        .size:           2
        .value_kind:     hidden_grid_dims
    .group_segment_fixed_size: 48
    .kernarg_segment_align: 8
    .kernarg_segment_size: 400
    .language:       OpenCL C
    .language_version:
      - 2
      - 0
    .max_flat_workgroup_size: 1024
    .name:           _ZN5aiter35fused_qk_rmsnorm_group_quant_kernelIDF16_DB8_Li256ELi8ELi1ELb1ELb1ELb1ELb0ELb1ELb1EEEvPT0_PvPT_S6_S6_PKS5_S8_S8_S8_S8_ffiiiiiiiiiiiii
    .private_segment_fixed_size: 0
    .sgpr_count:     42
    .sgpr_spill_count: 0
    .symbol:         _ZN5aiter35fused_qk_rmsnorm_group_quant_kernelIDF16_DB8_Li256ELi8ELi1ELb1ELb1ELb1ELb0ELb1ELb1EEEvPT0_PvPT_S6_S6_PKS5_S8_S8_S8_S8_ffiiiiiiiiiiiii.kd
    .uniform_work_group_size: 1
    .uses_dynamic_stack: false
    .vgpr_count:     31
    .vgpr_spill_count: 0
    .wavefront_size: 64
  - .agpr_count:     0
    .args:
      - .actual_access:  write_only
        .address_space:  global
        .offset:         0
        .size:           8
        .value_kind:     global_buffer
      - .actual_access:  write_only
        .address_space:  global
        .offset:         8
        .size:           8
        .value_kind:     global_buffer
      - .actual_access:  write_only
        .address_space:  global
        .offset:         16
        .size:           8
        .value_kind:     global_buffer
      - .actual_access:  write_only
        .address_space:  global
        .offset:         24
        .size:           8
        .value_kind:     global_buffer
      - .actual_access:  write_only
        .address_space:  global
        .offset:         32
        .size:           8
        .value_kind:     global_buffer
      - .actual_access:  read_only
        .address_space:  global
        .offset:         40
        .size:           8
        .value_kind:     global_buffer
      - .actual_access:  read_only
        .address_space:  global
        .offset:         48
        .size:           8
        .value_kind:     global_buffer
      - .actual_access:  read_only
        .address_space:  global
        .offset:         56
        .size:           8
        .value_kind:     global_buffer
      - .actual_access:  read_only
        .address_space:  global
        .offset:         64
        .size:           8
        .value_kind:     global_buffer
      - .actual_access:  read_only
        .address_space:  global
        .offset:         72
        .size:           8
        .value_kind:     global_buffer
      - .offset:         80
        .size:           4
        .value_kind:     by_value
      - .offset:         84
        .size:           4
        .value_kind:     by_value
      - .offset:         88
        .size:           4
        .value_kind:     by_value
      - .offset:         92
        .size:           4
        .value_kind:     by_value
      - .offset:         96
        .size:           4
        .value_kind:     by_value
      - .offset:         100
        .size:           4
        .value_kind:     by_value
      - .offset:         104
        .size:           4
        .value_kind:     by_value
      - .offset:         108
        .size:           4
        .value_kind:     by_value
      - .offset:         112
        .size:           4
        .value_kind:     by_value
      - .offset:         116
        .size:           4
        .value_kind:     by_value
      - .offset:         120
        .size:           4
        .value_kind:     by_value
      - .offset:         124
        .size:           4
        .value_kind:     by_value
      - .offset:         128
        .size:           4
        .value_kind:     by_value
      - .offset:         132
        .size:           4
        .value_kind:     by_value
      - .offset:         136
        .size:           4
        .value_kind:     by_value
      - .offset:         144
        .size:           4
        .value_kind:     hidden_block_count_x
      - .offset:         148
        .size:           4
        .value_kind:     hidden_block_count_y
      - .offset:         152
        .size:           4
        .value_kind:     hidden_block_count_z
      - .offset:         156
        .size:           2
        .value_kind:     hidden_group_size_x
      - .offset:         158
        .size:           2
        .value_kind:     hidden_group_size_y
      - .offset:         160
        .size:           2
        .value_kind:     hidden_group_size_z
      - .offset:         162
        .size:           2
        .value_kind:     hidden_remainder_x
      - .offset:         164
        .size:           2
        .value_kind:     hidden_remainder_y
      - .offset:         166
        .size:           2
        .value_kind:     hidden_remainder_z
      - .offset:         184
        .size:           8
        .value_kind:     hidden_global_offset_x
      - .offset:         192
        .size:           8
        .value_kind:     hidden_global_offset_y
      - .offset:         200
        .size:           8
        .value_kind:     hidden_global_offset_z
      - .offset:         208
        .size:           2
        .value_kind:     hidden_grid_dims
    .group_segment_fixed_size: 48
    .kernarg_segment_align: 8
    .kernarg_segment_size: 400
    .language:       OpenCL C
    .language_version:
      - 2
      - 0
    .max_flat_workgroup_size: 1024
    .name:           _ZN5aiter35fused_qk_rmsnorm_group_quant_kernelItDB8_Li256ELi8ELi1ELb1ELb1ELb1ELb0ELb1ELb1EEEvPT0_PvPT_S6_S6_PKS5_S8_S8_S8_S8_ffiiiiiiiiiiiii
    .private_segment_fixed_size: 0
    .sgpr_count:     48
    .sgpr_spill_count: 0
    .symbol:         _ZN5aiter35fused_qk_rmsnorm_group_quant_kernelItDB8_Li256ELi8ELi1ELb1ELb1ELb1ELb0ELb1ELb1EEEvPT0_PvPT_S6_S6_PKS5_S8_S8_S8_S8_ffiiiiiiiiiiiii.kd
    .uniform_work_group_size: 1
    .uses_dynamic_stack: false
    .vgpr_count:     27
    .vgpr_spill_count: 0
    .wavefront_size: 64
  - .agpr_count:     0
    .args:
      - .actual_access:  write_only
        .address_space:  global
        .offset:         0
        .size:           8
        .value_kind:     global_buffer
      - .actual_access:  write_only
        .address_space:  global
        .offset:         8
        .size:           8
        .value_kind:     global_buffer
      - .actual_access:  write_only
        .address_space:  global
        .offset:         16
        .size:           8
        .value_kind:     global_buffer
      - .actual_access:  write_only
        .address_space:  global
        .offset:         24
        .size:           8
        .value_kind:     global_buffer
      - .actual_access:  write_only
        .address_space:  global
        .offset:         32
        .size:           8
        .value_kind:     global_buffer
      - .actual_access:  read_only
        .address_space:  global
        .offset:         40
        .size:           8
        .value_kind:     global_buffer
      - .actual_access:  read_only
        .address_space:  global
        .offset:         48
        .size:           8
        .value_kind:     global_buffer
      - .actual_access:  read_only
        .address_space:  global
        .offset:         56
        .size:           8
        .value_kind:     global_buffer
      - .actual_access:  read_only
        .address_space:  global
        .offset:         64
        .size:           8
        .value_kind:     global_buffer
      - .actual_access:  read_only
        .address_space:  global
        .offset:         72
        .size:           8
        .value_kind:     global_buffer
      - .offset:         80
        .size:           4
        .value_kind:     by_value
      - .offset:         84
        .size:           4
        .value_kind:     by_value
      - .offset:         88
        .size:           4
        .value_kind:     by_value
      - .offset:         92
        .size:           4
        .value_kind:     by_value
      - .offset:         96
        .size:           4
        .value_kind:     by_value
      - .offset:         100
        .size:           4
        .value_kind:     by_value
      - .offset:         104
        .size:           4
        .value_kind:     by_value
      - .offset:         108
        .size:           4
        .value_kind:     by_value
      - .offset:         112
        .size:           4
        .value_kind:     by_value
      - .offset:         116
        .size:           4
        .value_kind:     by_value
      - .offset:         120
        .size:           4
        .value_kind:     by_value
      - .offset:         124
        .size:           4
        .value_kind:     by_value
      - .offset:         128
        .size:           4
        .value_kind:     by_value
      - .offset:         132
        .size:           4
        .value_kind:     by_value
      - .offset:         136
        .size:           4
        .value_kind:     by_value
      - .offset:         144
        .size:           4
        .value_kind:     hidden_block_count_x
      - .offset:         148
        .size:           4
        .value_kind:     hidden_block_count_y
      - .offset:         152
        .size:           4
        .value_kind:     hidden_block_count_z
      - .offset:         156
        .size:           2
        .value_kind:     hidden_group_size_x
      - .offset:         158
        .size:           2
        .value_kind:     hidden_group_size_y
      - .offset:         160
        .size:           2
        .value_kind:     hidden_group_size_z
      - .offset:         162
        .size:           2
        .value_kind:     hidden_remainder_x
      - .offset:         164
        .size:           2
        .value_kind:     hidden_remainder_y
      - .offset:         166
        .size:           2
        .value_kind:     hidden_remainder_z
      - .offset:         184
        .size:           8
        .value_kind:     hidden_global_offset_x
      - .offset:         192
        .size:           8
        .value_kind:     hidden_global_offset_y
      - .offset:         200
        .size:           8
        .value_kind:     hidden_global_offset_z
      - .offset:         208
        .size:           2
        .value_kind:     hidden_grid_dims
    .group_segment_fixed_size: 48
    .kernarg_segment_align: 8
    .kernarg_segment_size: 400
    .language:       OpenCL C
    .language_version:
      - 2
      - 0
    .max_flat_workgroup_size: 1024
    .name:           _ZN5aiter35fused_qk_rmsnorm_group_quant_kernelIDF16_DB8_Li256ELi8ELi1ELb1ELb1ELb0ELb0ELb1ELb1EEEvPT0_PvPT_S6_S6_PKS5_S8_S8_S8_S8_ffiiiiiiiiiiiii
    .private_segment_fixed_size: 0
    .sgpr_count:     42
    .sgpr_spill_count: 0
    .symbol:         _ZN5aiter35fused_qk_rmsnorm_group_quant_kernelIDF16_DB8_Li256ELi8ELi1ELb1ELb1ELb0ELb0ELb1ELb1EEEvPT0_PvPT_S6_S6_PKS5_S8_S8_S8_S8_ffiiiiiiiiiiiii.kd
    .uniform_work_group_size: 1
    .uses_dynamic_stack: false
    .vgpr_count:     34
    .vgpr_spill_count: 0
    .wavefront_size: 64
  - .agpr_count:     0
    .args:
      - .actual_access:  write_only
        .address_space:  global
        .offset:         0
        .size:           8
        .value_kind:     global_buffer
      - .actual_access:  write_only
        .address_space:  global
        .offset:         8
        .size:           8
        .value_kind:     global_buffer
      - .actual_access:  write_only
        .address_space:  global
        .offset:         16
        .size:           8
        .value_kind:     global_buffer
      - .actual_access:  write_only
        .address_space:  global
        .offset:         24
        .size:           8
        .value_kind:     global_buffer
      - .actual_access:  write_only
        .address_space:  global
        .offset:         32
        .size:           8
        .value_kind:     global_buffer
      - .actual_access:  read_only
        .address_space:  global
        .offset:         40
        .size:           8
        .value_kind:     global_buffer
      - .actual_access:  read_only
        .address_space:  global
        .offset:         48
        .size:           8
        .value_kind:     global_buffer
      - .actual_access:  read_only
        .address_space:  global
        .offset:         56
        .size:           8
        .value_kind:     global_buffer
      - .actual_access:  read_only
        .address_space:  global
        .offset:         64
        .size:           8
        .value_kind:     global_buffer
      - .actual_access:  read_only
        .address_space:  global
        .offset:         72
        .size:           8
        .value_kind:     global_buffer
      - .offset:         80
        .size:           4
        .value_kind:     by_value
      - .offset:         84
        .size:           4
        .value_kind:     by_value
      - .offset:         88
        .size:           4
        .value_kind:     by_value
      - .offset:         92
        .size:           4
        .value_kind:     by_value
      - .offset:         96
        .size:           4
        .value_kind:     by_value
      - .offset:         100
        .size:           4
        .value_kind:     by_value
      - .offset:         104
        .size:           4
        .value_kind:     by_value
      - .offset:         108
        .size:           4
        .value_kind:     by_value
      - .offset:         112
        .size:           4
        .value_kind:     by_value
      - .offset:         116
        .size:           4
        .value_kind:     by_value
      - .offset:         120
        .size:           4
        .value_kind:     by_value
      - .offset:         124
        .size:           4
        .value_kind:     by_value
      - .offset:         128
        .size:           4
        .value_kind:     by_value
      - .offset:         132
        .size:           4
        .value_kind:     by_value
      - .offset:         136
        .size:           4
        .value_kind:     by_value
      - .offset:         144
        .size:           4
        .value_kind:     hidden_block_count_x
      - .offset:         148
        .size:           4
        .value_kind:     hidden_block_count_y
      - .offset:         152
        .size:           4
        .value_kind:     hidden_block_count_z
      - .offset:         156
        .size:           2
        .value_kind:     hidden_group_size_x
      - .offset:         158
        .size:           2
        .value_kind:     hidden_group_size_y
      - .offset:         160
        .size:           2
        .value_kind:     hidden_group_size_z
      - .offset:         162
        .size:           2
        .value_kind:     hidden_remainder_x
      - .offset:         164
        .size:           2
        .value_kind:     hidden_remainder_y
      - .offset:         166
        .size:           2
        .value_kind:     hidden_remainder_z
      - .offset:         184
        .size:           8
        .value_kind:     hidden_global_offset_x
      - .offset:         192
        .size:           8
        .value_kind:     hidden_global_offset_y
      - .offset:         200
        .size:           8
        .value_kind:     hidden_global_offset_z
      - .offset:         208
        .size:           2
        .value_kind:     hidden_grid_dims
    .group_segment_fixed_size: 48
    .kernarg_segment_align: 8
    .kernarg_segment_size: 400
    .language:       OpenCL C
    .language_version:
      - 2
      - 0
    .max_flat_workgroup_size: 1024
    .name:           _ZN5aiter35fused_qk_rmsnorm_group_quant_kernelItDB8_Li256ELi8ELi1ELb1ELb1ELb0ELb0ELb1ELb1EEEvPT0_PvPT_S6_S6_PKS5_S8_S8_S8_S8_ffiiiiiiiiiiiii
    .private_segment_fixed_size: 0
    .sgpr_count:     48
    .sgpr_spill_count: 0
    .symbol:         _ZN5aiter35fused_qk_rmsnorm_group_quant_kernelItDB8_Li256ELi8ELi1ELb1ELb1ELb0ELb0ELb1ELb1EEEvPT0_PvPT_S6_S6_PKS5_S8_S8_S8_S8_ffiiiiiiiiiiiii.kd
    .uniform_work_group_size: 1
    .uses_dynamic_stack: false
    .vgpr_count:     27
    .vgpr_spill_count: 0
    .wavefront_size: 64
  - .agpr_count:     0
    .args:
      - .actual_access:  write_only
        .address_space:  global
        .offset:         0
        .size:           8
        .value_kind:     global_buffer
      - .actual_access:  write_only
        .address_space:  global
        .offset:         8
        .size:           8
        .value_kind:     global_buffer
      - .actual_access:  read_only
        .address_space:  global
        .offset:         16
        .size:           8
        .value_kind:     global_buffer
      - .actual_access:  write_only
        .address_space:  global
        .offset:         24
        .size:           8
        .value_kind:     global_buffer
      - .actual_access:  write_only
        .address_space:  global
        .offset:         32
        .size:           8
        .value_kind:     global_buffer
      - .actual_access:  read_only
        .address_space:  global
        .offset:         40
        .size:           8
        .value_kind:     global_buffer
      - .actual_access:  read_only
        .address_space:  global
        .offset:         48
        .size:           8
        .value_kind:     global_buffer
      - .actual_access:  read_only
        .address_space:  global
        .offset:         56
        .size:           8
        .value_kind:     global_buffer
      - .actual_access:  read_only
        .address_space:  global
        .offset:         64
        .size:           8
        .value_kind:     global_buffer
      - .actual_access:  read_only
        .address_space:  global
        .offset:         72
        .size:           8
        .value_kind:     global_buffer
      - .offset:         80
        .size:           4
        .value_kind:     by_value
      - .offset:         84
        .size:           4
        .value_kind:     by_value
      - .offset:         88
        .size:           4
        .value_kind:     by_value
      - .offset:         92
        .size:           4
        .value_kind:     by_value
      - .offset:         96
        .size:           4
        .value_kind:     by_value
      - .offset:         100
        .size:           4
        .value_kind:     by_value
      - .offset:         104
        .size:           4
        .value_kind:     by_value
      - .offset:         108
        .size:           4
        .value_kind:     by_value
      - .offset:         112
        .size:           4
        .value_kind:     by_value
      - .offset:         116
        .size:           4
        .value_kind:     by_value
      - .offset:         120
        .size:           4
        .value_kind:     by_value
      - .offset:         124
        .size:           4
        .value_kind:     by_value
      - .offset:         128
        .size:           4
        .value_kind:     by_value
      - .offset:         132
        .size:           4
        .value_kind:     by_value
      - .offset:         136
        .size:           4
        .value_kind:     by_value
      - .offset:         144
        .size:           4
        .value_kind:     hidden_block_count_x
      - .offset:         148
        .size:           4
        .value_kind:     hidden_block_count_y
      - .offset:         152
        .size:           4
        .value_kind:     hidden_block_count_z
      - .offset:         156
        .size:           2
        .value_kind:     hidden_group_size_x
      - .offset:         158
        .size:           2
        .value_kind:     hidden_group_size_y
      - .offset:         160
        .size:           2
        .value_kind:     hidden_group_size_z
      - .offset:         162
        .size:           2
        .value_kind:     hidden_remainder_x
      - .offset:         164
        .size:           2
        .value_kind:     hidden_remainder_y
      - .offset:         166
        .size:           2
        .value_kind:     hidden_remainder_z
      - .offset:         184
        .size:           8
        .value_kind:     hidden_global_offset_x
      - .offset:         192
        .size:           8
        .value_kind:     hidden_global_offset_y
      - .offset:         200
        .size:           8
        .value_kind:     hidden_global_offset_z
      - .offset:         208
        .size:           2
        .value_kind:     hidden_grid_dims
    .group_segment_fixed_size: 48
    .kernarg_segment_align: 8
    .kernarg_segment_size: 400
    .language:       OpenCL C
    .language_version:
      - 2
      - 0
    .max_flat_workgroup_size: 1024
    .name:           _ZN5aiter35fused_qk_rmsnorm_group_quant_kernelIDF16_DB8_Li256ELi8ELi1ELb1ELb0ELb1ELb0ELb1ELb1EEEvPT0_PvPT_S6_S6_PKS5_S8_S8_S8_S8_ffiiiiiiiiiiiii
    .private_segment_fixed_size: 0
    .sgpr_count:     44
    .sgpr_spill_count: 0
    .symbol:         _ZN5aiter35fused_qk_rmsnorm_group_quant_kernelIDF16_DB8_Li256ELi8ELi1ELb1ELb0ELb1ELb0ELb1ELb1EEEvPT0_PvPT_S6_S6_PKS5_S8_S8_S8_S8_ffiiiiiiiiiiiii.kd
    .uniform_work_group_size: 1
    .uses_dynamic_stack: false
    .vgpr_count:     31
    .vgpr_spill_count: 0
    .wavefront_size: 64
  - .agpr_count:     0
    .args:
      - .actual_access:  write_only
        .address_space:  global
        .offset:         0
        .size:           8
        .value_kind:     global_buffer
      - .actual_access:  write_only
        .address_space:  global
        .offset:         8
        .size:           8
        .value_kind:     global_buffer
      - .actual_access:  read_only
        .address_space:  global
        .offset:         16
        .size:           8
        .value_kind:     global_buffer
      - .actual_access:  write_only
        .address_space:  global
        .offset:         24
        .size:           8
        .value_kind:     global_buffer
      - .actual_access:  write_only
        .address_space:  global
        .offset:         32
        .size:           8
        .value_kind:     global_buffer
      - .actual_access:  read_only
        .address_space:  global
        .offset:         40
        .size:           8
        .value_kind:     global_buffer
      - .actual_access:  read_only
        .address_space:  global
        .offset:         48
        .size:           8
        .value_kind:     global_buffer
      - .actual_access:  read_only
        .address_space:  global
        .offset:         56
        .size:           8
        .value_kind:     global_buffer
      - .actual_access:  read_only
        .address_space:  global
        .offset:         64
        .size:           8
        .value_kind:     global_buffer
      - .actual_access:  read_only
        .address_space:  global
        .offset:         72
        .size:           8
        .value_kind:     global_buffer
      - .offset:         80
        .size:           4
        .value_kind:     by_value
      - .offset:         84
        .size:           4
        .value_kind:     by_value
      - .offset:         88
        .size:           4
        .value_kind:     by_value
      - .offset:         92
        .size:           4
        .value_kind:     by_value
      - .offset:         96
        .size:           4
        .value_kind:     by_value
      - .offset:         100
        .size:           4
        .value_kind:     by_value
      - .offset:         104
        .size:           4
        .value_kind:     by_value
      - .offset:         108
        .size:           4
        .value_kind:     by_value
      - .offset:         112
        .size:           4
        .value_kind:     by_value
      - .offset:         116
        .size:           4
        .value_kind:     by_value
      - .offset:         120
        .size:           4
        .value_kind:     by_value
      - .offset:         124
        .size:           4
        .value_kind:     by_value
      - .offset:         128
        .size:           4
        .value_kind:     by_value
      - .offset:         132
        .size:           4
        .value_kind:     by_value
      - .offset:         136
        .size:           4
        .value_kind:     by_value
      - .offset:         144
        .size:           4
        .value_kind:     hidden_block_count_x
      - .offset:         148
        .size:           4
        .value_kind:     hidden_block_count_y
      - .offset:         152
        .size:           4
        .value_kind:     hidden_block_count_z
      - .offset:         156
        .size:           2
        .value_kind:     hidden_group_size_x
      - .offset:         158
        .size:           2
        .value_kind:     hidden_group_size_y
      - .offset:         160
        .size:           2
        .value_kind:     hidden_group_size_z
      - .offset:         162
        .size:           2
        .value_kind:     hidden_remainder_x
      - .offset:         164
        .size:           2
        .value_kind:     hidden_remainder_y
      - .offset:         166
        .size:           2
        .value_kind:     hidden_remainder_z
      - .offset:         184
        .size:           8
        .value_kind:     hidden_global_offset_x
      - .offset:         192
        .size:           8
        .value_kind:     hidden_global_offset_y
      - .offset:         200
        .size:           8
        .value_kind:     hidden_global_offset_z
      - .offset:         208
        .size:           2
        .value_kind:     hidden_grid_dims
    .group_segment_fixed_size: 48
    .kernarg_segment_align: 8
    .kernarg_segment_size: 400
    .language:       OpenCL C
    .language_version:
      - 2
      - 0
    .max_flat_workgroup_size: 1024
    .name:           _ZN5aiter35fused_qk_rmsnorm_group_quant_kernelItDB8_Li256ELi8ELi1ELb1ELb0ELb1ELb0ELb1ELb1EEEvPT0_PvPT_S6_S6_PKS5_S8_S8_S8_S8_ffiiiiiiiiiiiii
    .private_segment_fixed_size: 0
    .sgpr_count:     48
    .sgpr_spill_count: 0
    .symbol:         _ZN5aiter35fused_qk_rmsnorm_group_quant_kernelItDB8_Li256ELi8ELi1ELb1ELb0ELb1ELb0ELb1ELb1EEEvPT0_PvPT_S6_S6_PKS5_S8_S8_S8_S8_ffiiiiiiiiiiiii.kd
    .uniform_work_group_size: 1
    .uses_dynamic_stack: false
    .vgpr_count:     27
    .vgpr_spill_count: 0
    .wavefront_size: 64
  - .agpr_count:     0
    .args:
      - .actual_access:  write_only
        .address_space:  global
        .offset:         0
        .size:           8
        .value_kind:     global_buffer
      - .actual_access:  write_only
        .address_space:  global
        .offset:         8
        .size:           8
        .value_kind:     global_buffer
      - .actual_access:  read_only
        .address_space:  global
        .offset:         16
        .size:           8
        .value_kind:     global_buffer
      - .actual_access:  write_only
        .address_space:  global
        .offset:         24
        .size:           8
        .value_kind:     global_buffer
      - .actual_access:  write_only
        .address_space:  global
        .offset:         32
        .size:           8
        .value_kind:     global_buffer
      - .actual_access:  read_only
        .address_space:  global
        .offset:         40
        .size:           8
        .value_kind:     global_buffer
      - .actual_access:  read_only
        .address_space:  global
        .offset:         48
        .size:           8
        .value_kind:     global_buffer
      - .actual_access:  read_only
        .address_space:  global
        .offset:         56
        .size:           8
        .value_kind:     global_buffer
      - .actual_access:  read_only
        .address_space:  global
        .offset:         64
        .size:           8
        .value_kind:     global_buffer
      - .actual_access:  read_only
        .address_space:  global
        .offset:         72
        .size:           8
        .value_kind:     global_buffer
      - .offset:         80
        .size:           4
        .value_kind:     by_value
      - .offset:         84
        .size:           4
        .value_kind:     by_value
      - .offset:         88
        .size:           4
        .value_kind:     by_value
      - .offset:         92
        .size:           4
        .value_kind:     by_value
      - .offset:         96
        .size:           4
        .value_kind:     by_value
      - .offset:         100
        .size:           4
        .value_kind:     by_value
      - .offset:         104
        .size:           4
        .value_kind:     by_value
      - .offset:         108
        .size:           4
        .value_kind:     by_value
      - .offset:         112
        .size:           4
        .value_kind:     by_value
      - .offset:         116
        .size:           4
        .value_kind:     by_value
      - .offset:         120
        .size:           4
        .value_kind:     by_value
      - .offset:         124
        .size:           4
        .value_kind:     by_value
      - .offset:         128
        .size:           4
        .value_kind:     by_value
      - .offset:         132
        .size:           4
        .value_kind:     by_value
      - .offset:         136
        .size:           4
        .value_kind:     by_value
      - .offset:         144
        .size:           4
        .value_kind:     hidden_block_count_x
      - .offset:         148
        .size:           4
        .value_kind:     hidden_block_count_y
      - .offset:         152
        .size:           4
        .value_kind:     hidden_block_count_z
      - .offset:         156
        .size:           2
        .value_kind:     hidden_group_size_x
      - .offset:         158
        .size:           2
        .value_kind:     hidden_group_size_y
      - .offset:         160
        .size:           2
        .value_kind:     hidden_group_size_z
      - .offset:         162
        .size:           2
        .value_kind:     hidden_remainder_x
      - .offset:         164
        .size:           2
        .value_kind:     hidden_remainder_y
      - .offset:         166
        .size:           2
        .value_kind:     hidden_remainder_z
      - .offset:         184
        .size:           8
        .value_kind:     hidden_global_offset_x
      - .offset:         192
        .size:           8
        .value_kind:     hidden_global_offset_y
      - .offset:         200
        .size:           8
        .value_kind:     hidden_global_offset_z
      - .offset:         208
        .size:           2
        .value_kind:     hidden_grid_dims
    .group_segment_fixed_size: 48
    .kernarg_segment_align: 8
    .kernarg_segment_size: 400
    .language:       OpenCL C
    .language_version:
      - 2
      - 0
    .max_flat_workgroup_size: 1024
    .name:           _ZN5aiter35fused_qk_rmsnorm_group_quant_kernelIDF16_DB8_Li256ELi8ELi1ELb1ELb0ELb0ELb0ELb1ELb1EEEvPT0_PvPT_S6_S6_PKS5_S8_S8_S8_S8_ffiiiiiiiiiiiii
    .private_segment_fixed_size: 0
    .sgpr_count:     44
    .sgpr_spill_count: 0
    .symbol:         _ZN5aiter35fused_qk_rmsnorm_group_quant_kernelIDF16_DB8_Li256ELi8ELi1ELb1ELb0ELb0ELb0ELb1ELb1EEEvPT0_PvPT_S6_S6_PKS5_S8_S8_S8_S8_ffiiiiiiiiiiiii.kd
    .uniform_work_group_size: 1
    .uses_dynamic_stack: false
    .vgpr_count:     34
    .vgpr_spill_count: 0
    .wavefront_size: 64
  - .agpr_count:     0
    .args:
      - .actual_access:  write_only
        .address_space:  global
        .offset:         0
        .size:           8
        .value_kind:     global_buffer
      - .actual_access:  write_only
        .address_space:  global
        .offset:         8
        .size:           8
        .value_kind:     global_buffer
      - .actual_access:  read_only
        .address_space:  global
        .offset:         16
        .size:           8
        .value_kind:     global_buffer
      - .actual_access:  write_only
        .address_space:  global
        .offset:         24
        .size:           8
        .value_kind:     global_buffer
      - .actual_access:  write_only
        .address_space:  global
        .offset:         32
        .size:           8
        .value_kind:     global_buffer
      - .actual_access:  read_only
        .address_space:  global
        .offset:         40
        .size:           8
        .value_kind:     global_buffer
      - .actual_access:  read_only
        .address_space:  global
        .offset:         48
        .size:           8
        .value_kind:     global_buffer
      - .actual_access:  read_only
        .address_space:  global
        .offset:         56
        .size:           8
        .value_kind:     global_buffer
      - .actual_access:  read_only
        .address_space:  global
        .offset:         64
        .size:           8
        .value_kind:     global_buffer
      - .actual_access:  read_only
        .address_space:  global
        .offset:         72
        .size:           8
        .value_kind:     global_buffer
      - .offset:         80
        .size:           4
        .value_kind:     by_value
      - .offset:         84
        .size:           4
        .value_kind:     by_value
      - .offset:         88
        .size:           4
        .value_kind:     by_value
      - .offset:         92
        .size:           4
        .value_kind:     by_value
      - .offset:         96
        .size:           4
        .value_kind:     by_value
      - .offset:         100
        .size:           4
        .value_kind:     by_value
      - .offset:         104
        .size:           4
        .value_kind:     by_value
      - .offset:         108
        .size:           4
        .value_kind:     by_value
      - .offset:         112
        .size:           4
        .value_kind:     by_value
      - .offset:         116
        .size:           4
        .value_kind:     by_value
      - .offset:         120
        .size:           4
        .value_kind:     by_value
      - .offset:         124
        .size:           4
        .value_kind:     by_value
      - .offset:         128
        .size:           4
        .value_kind:     by_value
      - .offset:         132
        .size:           4
        .value_kind:     by_value
      - .offset:         136
        .size:           4
        .value_kind:     by_value
      - .offset:         144
        .size:           4
        .value_kind:     hidden_block_count_x
      - .offset:         148
        .size:           4
        .value_kind:     hidden_block_count_y
      - .offset:         152
        .size:           4
        .value_kind:     hidden_block_count_z
      - .offset:         156
        .size:           2
        .value_kind:     hidden_group_size_x
      - .offset:         158
        .size:           2
        .value_kind:     hidden_group_size_y
      - .offset:         160
        .size:           2
        .value_kind:     hidden_group_size_z
      - .offset:         162
        .size:           2
        .value_kind:     hidden_remainder_x
      - .offset:         164
        .size:           2
        .value_kind:     hidden_remainder_y
      - .offset:         166
        .size:           2
        .value_kind:     hidden_remainder_z
      - .offset:         184
        .size:           8
        .value_kind:     hidden_global_offset_x
      - .offset:         192
        .size:           8
        .value_kind:     hidden_global_offset_y
      - .offset:         200
        .size:           8
        .value_kind:     hidden_global_offset_z
      - .offset:         208
        .size:           2
        .value_kind:     hidden_grid_dims
    .group_segment_fixed_size: 48
    .kernarg_segment_align: 8
    .kernarg_segment_size: 400
    .language:       OpenCL C
    .language_version:
      - 2
      - 0
    .max_flat_workgroup_size: 1024
    .name:           _ZN5aiter35fused_qk_rmsnorm_group_quant_kernelItDB8_Li256ELi8ELi1ELb1ELb0ELb0ELb0ELb1ELb1EEEvPT0_PvPT_S6_S6_PKS5_S8_S8_S8_S8_ffiiiiiiiiiiiii
    .private_segment_fixed_size: 0
    .sgpr_count:     48
    .sgpr_spill_count: 0
    .symbol:         _ZN5aiter35fused_qk_rmsnorm_group_quant_kernelItDB8_Li256ELi8ELi1ELb1ELb0ELb0ELb0ELb1ELb1EEEvPT0_PvPT_S6_S6_PKS5_S8_S8_S8_S8_ffiiiiiiiiiiiii.kd
    .uniform_work_group_size: 1
    .uses_dynamic_stack: false
    .vgpr_count:     27
    .vgpr_spill_count: 0
    .wavefront_size: 64
  - .agpr_count:     0
    .args:
      - .actual_access:  write_only
        .address_space:  global
        .offset:         0
        .size:           8
        .value_kind:     global_buffer
      - .actual_access:  write_only
        .address_space:  global
        .offset:         8
        .size:           8
        .value_kind:     global_buffer
      - .actual_access:  write_only
        .address_space:  global
        .offset:         16
        .size:           8
        .value_kind:     global_buffer
      - .actual_access:  write_only
        .address_space:  global
        .offset:         24
        .size:           8
        .value_kind:     global_buffer
      - .actual_access:  read_only
        .address_space:  global
        .offset:         32
        .size:           8
        .value_kind:     global_buffer
      - .actual_access:  read_only
        .address_space:  global
        .offset:         40
        .size:           8
        .value_kind:     global_buffer
      - .actual_access:  read_only
        .address_space:  global
        .offset:         48
        .size:           8
        .value_kind:     global_buffer
      - .actual_access:  read_only
        .address_space:  global
        .offset:         56
        .size:           8
        .value_kind:     global_buffer
      - .actual_access:  read_only
        .address_space:  global
        .offset:         64
        .size:           8
        .value_kind:     global_buffer
      - .actual_access:  read_only
        .address_space:  global
        .offset:         72
        .size:           8
        .value_kind:     global_buffer
      - .offset:         80
        .size:           4
        .value_kind:     by_value
      - .offset:         84
        .size:           4
        .value_kind:     by_value
      - .offset:         88
        .size:           4
        .value_kind:     by_value
      - .offset:         92
        .size:           4
        .value_kind:     by_value
      - .offset:         96
        .size:           4
        .value_kind:     by_value
      - .offset:         100
        .size:           4
        .value_kind:     by_value
      - .offset:         104
        .size:           4
        .value_kind:     by_value
      - .offset:         108
        .size:           4
        .value_kind:     by_value
      - .offset:         112
        .size:           4
        .value_kind:     by_value
      - .offset:         116
        .size:           4
        .value_kind:     by_value
      - .offset:         120
        .size:           4
        .value_kind:     by_value
      - .offset:         124
        .size:           4
        .value_kind:     by_value
      - .offset:         128
        .size:           4
        .value_kind:     by_value
      - .offset:         132
        .size:           4
        .value_kind:     by_value
      - .offset:         136
        .size:           4
        .value_kind:     by_value
      - .offset:         144
        .size:           4
        .value_kind:     hidden_block_count_x
      - .offset:         148
        .size:           4
        .value_kind:     hidden_block_count_y
      - .offset:         152
        .size:           4
        .value_kind:     hidden_block_count_z
      - .offset:         156
        .size:           2
        .value_kind:     hidden_group_size_x
      - .offset:         158
        .size:           2
        .value_kind:     hidden_group_size_y
      - .offset:         160
        .size:           2
        .value_kind:     hidden_group_size_z
      - .offset:         162
        .size:           2
        .value_kind:     hidden_remainder_x
      - .offset:         164
        .size:           2
        .value_kind:     hidden_remainder_y
      - .offset:         166
        .size:           2
        .value_kind:     hidden_remainder_z
      - .offset:         184
        .size:           8
        .value_kind:     hidden_global_offset_x
      - .offset:         192
        .size:           8
        .value_kind:     hidden_global_offset_y
      - .offset:         200
        .size:           8
        .value_kind:     hidden_global_offset_z
      - .offset:         208
        .size:           2
        .value_kind:     hidden_grid_dims
    .group_segment_fixed_size: 48
    .kernarg_segment_align: 8
    .kernarg_segment_size: 400
    .language:       OpenCL C
    .language_version:
      - 2
      - 0
    .max_flat_workgroup_size: 1024
    .name:           _ZN5aiter35fused_qk_rmsnorm_group_quant_kernelIDF16_DB8_Li256ELi8ELi1ELb0ELb1ELb1ELb0ELb1ELb1EEEvPT0_PvPT_S6_S6_PKS5_S8_S8_S8_S8_ffiiiiiiiiiiiii
    .private_segment_fixed_size: 0
    .sgpr_count:     36
    .sgpr_spill_count: 0
    .symbol:         _ZN5aiter35fused_qk_rmsnorm_group_quant_kernelIDF16_DB8_Li256ELi8ELi1ELb0ELb1ELb1ELb0ELb1ELb1EEEvPT0_PvPT_S6_S6_PKS5_S8_S8_S8_S8_ffiiiiiiiiiiiii.kd
    .uniform_work_group_size: 1
    .uses_dynamic_stack: false
    .vgpr_count:     23
    .vgpr_spill_count: 0
    .wavefront_size: 64
  - .agpr_count:     0
    .args:
      - .actual_access:  write_only
        .address_space:  global
        .offset:         0
        .size:           8
        .value_kind:     global_buffer
      - .actual_access:  write_only
        .address_space:  global
        .offset:         8
        .size:           8
        .value_kind:     global_buffer
      - .actual_access:  write_only
        .address_space:  global
        .offset:         16
        .size:           8
        .value_kind:     global_buffer
      - .actual_access:  write_only
        .address_space:  global
        .offset:         24
        .size:           8
        .value_kind:     global_buffer
      - .actual_access:  read_only
        .address_space:  global
        .offset:         32
        .size:           8
        .value_kind:     global_buffer
      - .actual_access:  read_only
        .address_space:  global
        .offset:         40
        .size:           8
        .value_kind:     global_buffer
      - .actual_access:  read_only
        .address_space:  global
        .offset:         48
        .size:           8
        .value_kind:     global_buffer
      - .actual_access:  read_only
        .address_space:  global
        .offset:         56
        .size:           8
        .value_kind:     global_buffer
      - .actual_access:  read_only
        .address_space:  global
        .offset:         64
        .size:           8
        .value_kind:     global_buffer
      - .actual_access:  read_only
        .address_space:  global
        .offset:         72
        .size:           8
        .value_kind:     global_buffer
      - .offset:         80
        .size:           4
        .value_kind:     by_value
      - .offset:         84
        .size:           4
        .value_kind:     by_value
      - .offset:         88
        .size:           4
        .value_kind:     by_value
      - .offset:         92
        .size:           4
        .value_kind:     by_value
      - .offset:         96
        .size:           4
        .value_kind:     by_value
      - .offset:         100
        .size:           4
        .value_kind:     by_value
      - .offset:         104
        .size:           4
        .value_kind:     by_value
      - .offset:         108
        .size:           4
        .value_kind:     by_value
      - .offset:         112
        .size:           4
        .value_kind:     by_value
      - .offset:         116
        .size:           4
        .value_kind:     by_value
      - .offset:         120
        .size:           4
        .value_kind:     by_value
      - .offset:         124
        .size:           4
        .value_kind:     by_value
      - .offset:         128
        .size:           4
        .value_kind:     by_value
      - .offset:         132
        .size:           4
        .value_kind:     by_value
      - .offset:         136
        .size:           4
        .value_kind:     by_value
      - .offset:         144
        .size:           4
        .value_kind:     hidden_block_count_x
      - .offset:         148
        .size:           4
        .value_kind:     hidden_block_count_y
      - .offset:         152
        .size:           4
        .value_kind:     hidden_block_count_z
      - .offset:         156
        .size:           2
        .value_kind:     hidden_group_size_x
      - .offset:         158
        .size:           2
        .value_kind:     hidden_group_size_y
      - .offset:         160
        .size:           2
        .value_kind:     hidden_group_size_z
      - .offset:         162
        .size:           2
        .value_kind:     hidden_remainder_x
      - .offset:         164
        .size:           2
        .value_kind:     hidden_remainder_y
      - .offset:         166
        .size:           2
        .value_kind:     hidden_remainder_z
      - .offset:         184
        .size:           8
        .value_kind:     hidden_global_offset_x
      - .offset:         192
        .size:           8
        .value_kind:     hidden_global_offset_y
      - .offset:         200
        .size:           8
        .value_kind:     hidden_global_offset_z
      - .offset:         208
        .size:           2
        .value_kind:     hidden_grid_dims
    .group_segment_fixed_size: 48
    .kernarg_segment_align: 8
    .kernarg_segment_size: 400
    .language:       OpenCL C
    .language_version:
      - 2
      - 0
    .max_flat_workgroup_size: 1024
    .name:           _ZN5aiter35fused_qk_rmsnorm_group_quant_kernelItDB8_Li256ELi8ELi1ELb0ELb1ELb1ELb0ELb1ELb1EEEvPT0_PvPT_S6_S6_PKS5_S8_S8_S8_S8_ffiiiiiiiiiiiii
    .private_segment_fixed_size: 0
    .sgpr_count:     36
    .sgpr_spill_count: 0
    .symbol:         _ZN5aiter35fused_qk_rmsnorm_group_quant_kernelItDB8_Li256ELi8ELi1ELb0ELb1ELb1ELb0ELb1ELb1EEEvPT0_PvPT_S6_S6_PKS5_S8_S8_S8_S8_ffiiiiiiiiiiiii.kd
    .uniform_work_group_size: 1
    .uses_dynamic_stack: false
    .vgpr_count:     23
    .vgpr_spill_count: 0
    .wavefront_size: 64
  - .agpr_count:     0
    .args:
      - .actual_access:  write_only
        .address_space:  global
        .offset:         0
        .size:           8
        .value_kind:     global_buffer
      - .actual_access:  write_only
        .address_space:  global
        .offset:         8
        .size:           8
        .value_kind:     global_buffer
      - .actual_access:  write_only
        .address_space:  global
        .offset:         16
        .size:           8
        .value_kind:     global_buffer
      - .actual_access:  write_only
        .address_space:  global
        .offset:         24
        .size:           8
        .value_kind:     global_buffer
      - .actual_access:  read_only
        .address_space:  global
        .offset:         32
        .size:           8
        .value_kind:     global_buffer
      - .actual_access:  read_only
        .address_space:  global
        .offset:         40
        .size:           8
        .value_kind:     global_buffer
      - .actual_access:  read_only
        .address_space:  global
        .offset:         48
        .size:           8
        .value_kind:     global_buffer
      - .actual_access:  read_only
        .address_space:  global
        .offset:         56
        .size:           8
        .value_kind:     global_buffer
      - .actual_access:  read_only
        .address_space:  global
        .offset:         64
        .size:           8
        .value_kind:     global_buffer
      - .actual_access:  read_only
        .address_space:  global
        .offset:         72
        .size:           8
        .value_kind:     global_buffer
      - .offset:         80
        .size:           4
        .value_kind:     by_value
      - .offset:         84
        .size:           4
        .value_kind:     by_value
      - .offset:         88
        .size:           4
        .value_kind:     by_value
      - .offset:         92
        .size:           4
        .value_kind:     by_value
      - .offset:         96
        .size:           4
        .value_kind:     by_value
      - .offset:         100
        .size:           4
        .value_kind:     by_value
      - .offset:         104
        .size:           4
        .value_kind:     by_value
      - .offset:         108
        .size:           4
        .value_kind:     by_value
      - .offset:         112
        .size:           4
        .value_kind:     by_value
      - .offset:         116
        .size:           4
        .value_kind:     by_value
      - .offset:         120
        .size:           4
        .value_kind:     by_value
      - .offset:         124
        .size:           4
        .value_kind:     by_value
      - .offset:         128
        .size:           4
        .value_kind:     by_value
      - .offset:         132
        .size:           4
        .value_kind:     by_value
      - .offset:         136
        .size:           4
        .value_kind:     by_value
      - .offset:         144
        .size:           4
        .value_kind:     hidden_block_count_x
      - .offset:         148
        .size:           4
        .value_kind:     hidden_block_count_y
      - .offset:         152
        .size:           4
        .value_kind:     hidden_block_count_z
      - .offset:         156
        .size:           2
        .value_kind:     hidden_group_size_x
      - .offset:         158
        .size:           2
        .value_kind:     hidden_group_size_y
      - .offset:         160
        .size:           2
        .value_kind:     hidden_group_size_z
      - .offset:         162
        .size:           2
        .value_kind:     hidden_remainder_x
      - .offset:         164
        .size:           2
        .value_kind:     hidden_remainder_y
      - .offset:         166
        .size:           2
        .value_kind:     hidden_remainder_z
      - .offset:         184
        .size:           8
        .value_kind:     hidden_global_offset_x
      - .offset:         192
        .size:           8
        .value_kind:     hidden_global_offset_y
      - .offset:         200
        .size:           8
        .value_kind:     hidden_global_offset_z
      - .offset:         208
        .size:           2
        .value_kind:     hidden_grid_dims
    .group_segment_fixed_size: 48
    .kernarg_segment_align: 8
    .kernarg_segment_size: 400
    .language:       OpenCL C
    .language_version:
      - 2
      - 0
    .max_flat_workgroup_size: 1024
    .name:           _ZN5aiter35fused_qk_rmsnorm_group_quant_kernelIDF16_DB8_Li256ELi8ELi1ELb0ELb1ELb0ELb0ELb1ELb1EEEvPT0_PvPT_S6_S6_PKS5_S8_S8_S8_S8_ffiiiiiiiiiiiii
    .private_segment_fixed_size: 0
    .sgpr_count:     36
    .sgpr_spill_count: 0
    .symbol:         _ZN5aiter35fused_qk_rmsnorm_group_quant_kernelIDF16_DB8_Li256ELi8ELi1ELb0ELb1ELb0ELb0ELb1ELb1EEEvPT0_PvPT_S6_S6_PKS5_S8_S8_S8_S8_ffiiiiiiiiiiiii.kd
    .uniform_work_group_size: 1
    .uses_dynamic_stack: false
    .vgpr_count:     23
    .vgpr_spill_count: 0
    .wavefront_size: 64
  - .agpr_count:     0
    .args:
      - .actual_access:  write_only
        .address_space:  global
        .offset:         0
        .size:           8
        .value_kind:     global_buffer
      - .actual_access:  write_only
        .address_space:  global
        .offset:         8
        .size:           8
        .value_kind:     global_buffer
      - .actual_access:  write_only
        .address_space:  global
        .offset:         16
        .size:           8
        .value_kind:     global_buffer
      - .actual_access:  write_only
        .address_space:  global
        .offset:         24
        .size:           8
        .value_kind:     global_buffer
      - .actual_access:  read_only
        .address_space:  global
        .offset:         32
        .size:           8
        .value_kind:     global_buffer
      - .actual_access:  read_only
        .address_space:  global
        .offset:         40
        .size:           8
        .value_kind:     global_buffer
      - .actual_access:  read_only
        .address_space:  global
        .offset:         48
        .size:           8
        .value_kind:     global_buffer
      - .actual_access:  read_only
        .address_space:  global
        .offset:         56
        .size:           8
        .value_kind:     global_buffer
      - .actual_access:  read_only
        .address_space:  global
        .offset:         64
        .size:           8
        .value_kind:     global_buffer
      - .actual_access:  read_only
        .address_space:  global
        .offset:         72
        .size:           8
        .value_kind:     global_buffer
      - .offset:         80
        .size:           4
        .value_kind:     by_value
      - .offset:         84
        .size:           4
        .value_kind:     by_value
      - .offset:         88
        .size:           4
        .value_kind:     by_value
      - .offset:         92
        .size:           4
        .value_kind:     by_value
      - .offset:         96
        .size:           4
        .value_kind:     by_value
      - .offset:         100
        .size:           4
        .value_kind:     by_value
      - .offset:         104
        .size:           4
        .value_kind:     by_value
      - .offset:         108
        .size:           4
        .value_kind:     by_value
      - .offset:         112
        .size:           4
        .value_kind:     by_value
      - .offset:         116
        .size:           4
        .value_kind:     by_value
      - .offset:         120
        .size:           4
        .value_kind:     by_value
      - .offset:         124
        .size:           4
        .value_kind:     by_value
      - .offset:         128
        .size:           4
        .value_kind:     by_value
      - .offset:         132
        .size:           4
        .value_kind:     by_value
      - .offset:         136
        .size:           4
        .value_kind:     by_value
      - .offset:         144
        .size:           4
        .value_kind:     hidden_block_count_x
      - .offset:         148
        .size:           4
        .value_kind:     hidden_block_count_y
      - .offset:         152
        .size:           4
        .value_kind:     hidden_block_count_z
      - .offset:         156
        .size:           2
        .value_kind:     hidden_group_size_x
      - .offset:         158
        .size:           2
        .value_kind:     hidden_group_size_y
      - .offset:         160
        .size:           2
        .value_kind:     hidden_group_size_z
      - .offset:         162
        .size:           2
        .value_kind:     hidden_remainder_x
      - .offset:         164
        .size:           2
        .value_kind:     hidden_remainder_y
      - .offset:         166
        .size:           2
        .value_kind:     hidden_remainder_z
      - .offset:         184
        .size:           8
        .value_kind:     hidden_global_offset_x
      - .offset:         192
        .size:           8
        .value_kind:     hidden_global_offset_y
      - .offset:         200
        .size:           8
        .value_kind:     hidden_global_offset_z
      - .offset:         208
        .size:           2
        .value_kind:     hidden_grid_dims
    .group_segment_fixed_size: 48
    .kernarg_segment_align: 8
    .kernarg_segment_size: 400
    .language:       OpenCL C
    .language_version:
      - 2
      - 0
    .max_flat_workgroup_size: 1024
    .name:           _ZN5aiter35fused_qk_rmsnorm_group_quant_kernelItDB8_Li256ELi8ELi1ELb0ELb1ELb0ELb0ELb1ELb1EEEvPT0_PvPT_S6_S6_PKS5_S8_S8_S8_S8_ffiiiiiiiiiiiii
    .private_segment_fixed_size: 0
    .sgpr_count:     36
    .sgpr_spill_count: 0
    .symbol:         _ZN5aiter35fused_qk_rmsnorm_group_quant_kernelItDB8_Li256ELi8ELi1ELb0ELb1ELb0ELb0ELb1ELb1EEEvPT0_PvPT_S6_S6_PKS5_S8_S8_S8_S8_ffiiiiiiiiiiiii.kd
    .uniform_work_group_size: 1
    .uses_dynamic_stack: false
    .vgpr_count:     23
    .vgpr_spill_count: 0
    .wavefront_size: 64
  - .agpr_count:     0
    .args:
      - .actual_access:  write_only
        .address_space:  global
        .offset:         0
        .size:           8
        .value_kind:     global_buffer
      - .actual_access:  write_only
        .address_space:  global
        .offset:         8
        .size:           8
        .value_kind:     global_buffer
      - .actual_access:  read_only
        .address_space:  global
        .offset:         16
        .size:           8
        .value_kind:     global_buffer
      - .actual_access:  write_only
        .address_space:  global
        .offset:         24
        .size:           8
        .value_kind:     global_buffer
      - .actual_access:  read_only
        .address_space:  global
        .offset:         32
        .size:           8
        .value_kind:     global_buffer
      - .actual_access:  read_only
        .address_space:  global
        .offset:         40
        .size:           8
        .value_kind:     global_buffer
      - .actual_access:  read_only
        .address_space:  global
        .offset:         48
        .size:           8
        .value_kind:     global_buffer
      - .actual_access:  read_only
        .address_space:  global
        .offset:         56
        .size:           8
        .value_kind:     global_buffer
      - .actual_access:  read_only
        .address_space:  global
        .offset:         64
        .size:           8
        .value_kind:     global_buffer
      - .actual_access:  read_only
        .address_space:  global
        .offset:         72
        .size:           8
        .value_kind:     global_buffer
      - .offset:         80
        .size:           4
        .value_kind:     by_value
      - .offset:         84
        .size:           4
        .value_kind:     by_value
      - .offset:         88
        .size:           4
        .value_kind:     by_value
      - .offset:         92
        .size:           4
        .value_kind:     by_value
      - .offset:         96
        .size:           4
        .value_kind:     by_value
      - .offset:         100
        .size:           4
        .value_kind:     by_value
      - .offset:         104
        .size:           4
        .value_kind:     by_value
      - .offset:         108
        .size:           4
        .value_kind:     by_value
      - .offset:         112
        .size:           4
        .value_kind:     by_value
      - .offset:         116
        .size:           4
        .value_kind:     by_value
      - .offset:         120
        .size:           4
        .value_kind:     by_value
      - .offset:         124
        .size:           4
        .value_kind:     by_value
      - .offset:         128
        .size:           4
        .value_kind:     by_value
      - .offset:         132
        .size:           4
        .value_kind:     by_value
      - .offset:         136
        .size:           4
        .value_kind:     by_value
      - .offset:         144
        .size:           4
        .value_kind:     hidden_block_count_x
      - .offset:         148
        .size:           4
        .value_kind:     hidden_block_count_y
      - .offset:         152
        .size:           4
        .value_kind:     hidden_block_count_z
      - .offset:         156
        .size:           2
        .value_kind:     hidden_group_size_x
      - .offset:         158
        .size:           2
        .value_kind:     hidden_group_size_y
      - .offset:         160
        .size:           2
        .value_kind:     hidden_group_size_z
      - .offset:         162
        .size:           2
        .value_kind:     hidden_remainder_x
      - .offset:         164
        .size:           2
        .value_kind:     hidden_remainder_y
      - .offset:         166
        .size:           2
        .value_kind:     hidden_remainder_z
      - .offset:         184
        .size:           8
        .value_kind:     hidden_global_offset_x
      - .offset:         192
        .size:           8
        .value_kind:     hidden_global_offset_y
      - .offset:         200
        .size:           8
        .value_kind:     hidden_global_offset_z
      - .offset:         208
        .size:           2
        .value_kind:     hidden_grid_dims
    .group_segment_fixed_size: 48
    .kernarg_segment_align: 8
    .kernarg_segment_size: 400
    .language:       OpenCL C
    .language_version:
      - 2
      - 0
    .max_flat_workgroup_size: 1024
    .name:           _ZN5aiter35fused_qk_rmsnorm_group_quant_kernelIDF16_DB8_Li256ELi8ELi1ELb0ELb0ELb1ELb0ELb1ELb1EEEvPT0_PvPT_S6_S6_PKS5_S8_S8_S8_S8_ffiiiiiiiiiiiii
    .private_segment_fixed_size: 0
    .sgpr_count:     36
    .sgpr_spill_count: 0
    .symbol:         _ZN5aiter35fused_qk_rmsnorm_group_quant_kernelIDF16_DB8_Li256ELi8ELi1ELb0ELb0ELb1ELb0ELb1ELb1EEEvPT0_PvPT_S6_S6_PKS5_S8_S8_S8_S8_ffiiiiiiiiiiiii.kd
    .uniform_work_group_size: 1
    .uses_dynamic_stack: false
    .vgpr_count:     23
    .vgpr_spill_count: 0
    .wavefront_size: 64
  - .agpr_count:     0
    .args:
      - .actual_access:  write_only
        .address_space:  global
        .offset:         0
        .size:           8
        .value_kind:     global_buffer
      - .actual_access:  write_only
        .address_space:  global
        .offset:         8
        .size:           8
        .value_kind:     global_buffer
      - .actual_access:  read_only
        .address_space:  global
        .offset:         16
        .size:           8
        .value_kind:     global_buffer
      - .actual_access:  write_only
        .address_space:  global
        .offset:         24
        .size:           8
        .value_kind:     global_buffer
      - .actual_access:  read_only
        .address_space:  global
        .offset:         32
        .size:           8
        .value_kind:     global_buffer
      - .actual_access:  read_only
        .address_space:  global
        .offset:         40
        .size:           8
        .value_kind:     global_buffer
      - .actual_access:  read_only
        .address_space:  global
        .offset:         48
        .size:           8
        .value_kind:     global_buffer
      - .actual_access:  read_only
        .address_space:  global
        .offset:         56
        .size:           8
        .value_kind:     global_buffer
      - .actual_access:  read_only
        .address_space:  global
        .offset:         64
        .size:           8
        .value_kind:     global_buffer
      - .actual_access:  read_only
        .address_space:  global
        .offset:         72
        .size:           8
        .value_kind:     global_buffer
      - .offset:         80
        .size:           4
        .value_kind:     by_value
      - .offset:         84
        .size:           4
        .value_kind:     by_value
      - .offset:         88
        .size:           4
        .value_kind:     by_value
      - .offset:         92
        .size:           4
        .value_kind:     by_value
      - .offset:         96
        .size:           4
        .value_kind:     by_value
      - .offset:         100
        .size:           4
        .value_kind:     by_value
      - .offset:         104
        .size:           4
        .value_kind:     by_value
      - .offset:         108
        .size:           4
        .value_kind:     by_value
      - .offset:         112
        .size:           4
        .value_kind:     by_value
      - .offset:         116
        .size:           4
        .value_kind:     by_value
      - .offset:         120
        .size:           4
        .value_kind:     by_value
      - .offset:         124
        .size:           4
        .value_kind:     by_value
      - .offset:         128
        .size:           4
        .value_kind:     by_value
      - .offset:         132
        .size:           4
        .value_kind:     by_value
      - .offset:         136
        .size:           4
        .value_kind:     by_value
      - .offset:         144
        .size:           4
        .value_kind:     hidden_block_count_x
      - .offset:         148
        .size:           4
        .value_kind:     hidden_block_count_y
      - .offset:         152
        .size:           4
        .value_kind:     hidden_block_count_z
      - .offset:         156
        .size:           2
        .value_kind:     hidden_group_size_x
      - .offset:         158
        .size:           2
        .value_kind:     hidden_group_size_y
      - .offset:         160
        .size:           2
        .value_kind:     hidden_group_size_z
      - .offset:         162
        .size:           2
        .value_kind:     hidden_remainder_x
      - .offset:         164
        .size:           2
        .value_kind:     hidden_remainder_y
      - .offset:         166
        .size:           2
        .value_kind:     hidden_remainder_z
      - .offset:         184
        .size:           8
        .value_kind:     hidden_global_offset_x
      - .offset:         192
        .size:           8
        .value_kind:     hidden_global_offset_y
      - .offset:         200
        .size:           8
        .value_kind:     hidden_global_offset_z
      - .offset:         208
        .size:           2
        .value_kind:     hidden_grid_dims
    .group_segment_fixed_size: 48
    .kernarg_segment_align: 8
    .kernarg_segment_size: 400
    .language:       OpenCL C
    .language_version:
      - 2
      - 0
    .max_flat_workgroup_size: 1024
    .name:           _ZN5aiter35fused_qk_rmsnorm_group_quant_kernelItDB8_Li256ELi8ELi1ELb0ELb0ELb1ELb0ELb1ELb1EEEvPT0_PvPT_S6_S6_PKS5_S8_S8_S8_S8_ffiiiiiiiiiiiii
    .private_segment_fixed_size: 0
    .sgpr_count:     36
    .sgpr_spill_count: 0
    .symbol:         _ZN5aiter35fused_qk_rmsnorm_group_quant_kernelItDB8_Li256ELi8ELi1ELb0ELb0ELb1ELb0ELb1ELb1EEEvPT0_PvPT_S6_S6_PKS5_S8_S8_S8_S8_ffiiiiiiiiiiiii.kd
    .uniform_work_group_size: 1
    .uses_dynamic_stack: false
    .vgpr_count:     23
    .vgpr_spill_count: 0
    .wavefront_size: 64
  - .agpr_count:     0
    .args:
      - .actual_access:  write_only
        .address_space:  global
        .offset:         0
        .size:           8
        .value_kind:     global_buffer
      - .actual_access:  write_only
        .address_space:  global
        .offset:         8
        .size:           8
        .value_kind:     global_buffer
      - .actual_access:  read_only
        .address_space:  global
        .offset:         16
        .size:           8
        .value_kind:     global_buffer
      - .actual_access:  write_only
        .address_space:  global
        .offset:         24
        .size:           8
        .value_kind:     global_buffer
      - .actual_access:  read_only
        .address_space:  global
        .offset:         32
        .size:           8
        .value_kind:     global_buffer
      - .actual_access:  read_only
        .address_space:  global
        .offset:         40
        .size:           8
        .value_kind:     global_buffer
      - .actual_access:  read_only
        .address_space:  global
        .offset:         48
        .size:           8
        .value_kind:     global_buffer
      - .actual_access:  read_only
        .address_space:  global
        .offset:         56
        .size:           8
        .value_kind:     global_buffer
      - .actual_access:  read_only
        .address_space:  global
        .offset:         64
        .size:           8
        .value_kind:     global_buffer
      - .actual_access:  read_only
        .address_space:  global
        .offset:         72
        .size:           8
        .value_kind:     global_buffer
      - .offset:         80
        .size:           4
        .value_kind:     by_value
      - .offset:         84
        .size:           4
        .value_kind:     by_value
      - .offset:         88
        .size:           4
        .value_kind:     by_value
      - .offset:         92
        .size:           4
        .value_kind:     by_value
      - .offset:         96
        .size:           4
        .value_kind:     by_value
      - .offset:         100
        .size:           4
        .value_kind:     by_value
      - .offset:         104
        .size:           4
        .value_kind:     by_value
      - .offset:         108
        .size:           4
        .value_kind:     by_value
      - .offset:         112
        .size:           4
        .value_kind:     by_value
      - .offset:         116
        .size:           4
        .value_kind:     by_value
      - .offset:         120
        .size:           4
        .value_kind:     by_value
      - .offset:         124
        .size:           4
        .value_kind:     by_value
      - .offset:         128
        .size:           4
        .value_kind:     by_value
      - .offset:         132
        .size:           4
        .value_kind:     by_value
      - .offset:         136
        .size:           4
        .value_kind:     by_value
      - .offset:         144
        .size:           4
        .value_kind:     hidden_block_count_x
      - .offset:         148
        .size:           4
        .value_kind:     hidden_block_count_y
      - .offset:         152
        .size:           4
        .value_kind:     hidden_block_count_z
      - .offset:         156
        .size:           2
        .value_kind:     hidden_group_size_x
      - .offset:         158
        .size:           2
        .value_kind:     hidden_group_size_y
      - .offset:         160
        .size:           2
        .value_kind:     hidden_group_size_z
      - .offset:         162
        .size:           2
        .value_kind:     hidden_remainder_x
      - .offset:         164
        .size:           2
        .value_kind:     hidden_remainder_y
      - .offset:         166
        .size:           2
        .value_kind:     hidden_remainder_z
      - .offset:         184
        .size:           8
        .value_kind:     hidden_global_offset_x
      - .offset:         192
        .size:           8
        .value_kind:     hidden_global_offset_y
      - .offset:         200
        .size:           8
        .value_kind:     hidden_global_offset_z
      - .offset:         208
        .size:           2
        .value_kind:     hidden_grid_dims
    .group_segment_fixed_size: 48
    .kernarg_segment_align: 8
    .kernarg_segment_size: 400
    .language:       OpenCL C
    .language_version:
      - 2
      - 0
    .max_flat_workgroup_size: 1024
    .name:           _ZN5aiter35fused_qk_rmsnorm_group_quant_kernelIDF16_DB8_Li256ELi8ELi1ELb0ELb0ELb0ELb0ELb1ELb1EEEvPT0_PvPT_S6_S6_PKS5_S8_S8_S8_S8_ffiiiiiiiiiiiii
    .private_segment_fixed_size: 0
    .sgpr_count:     36
    .sgpr_spill_count: 0
    .symbol:         _ZN5aiter35fused_qk_rmsnorm_group_quant_kernelIDF16_DB8_Li256ELi8ELi1ELb0ELb0ELb0ELb0ELb1ELb1EEEvPT0_PvPT_S6_S6_PKS5_S8_S8_S8_S8_ffiiiiiiiiiiiii.kd
    .uniform_work_group_size: 1
    .uses_dynamic_stack: false
    .vgpr_count:     23
    .vgpr_spill_count: 0
    .wavefront_size: 64
  - .agpr_count:     0
    .args:
      - .actual_access:  write_only
        .address_space:  global
        .offset:         0
        .size:           8
        .value_kind:     global_buffer
      - .actual_access:  write_only
        .address_space:  global
        .offset:         8
        .size:           8
        .value_kind:     global_buffer
      - .actual_access:  read_only
        .address_space:  global
        .offset:         16
        .size:           8
        .value_kind:     global_buffer
      - .actual_access:  write_only
        .address_space:  global
        .offset:         24
        .size:           8
        .value_kind:     global_buffer
      - .actual_access:  read_only
        .address_space:  global
        .offset:         32
        .size:           8
        .value_kind:     global_buffer
      - .actual_access:  read_only
        .address_space:  global
        .offset:         40
        .size:           8
        .value_kind:     global_buffer
      - .actual_access:  read_only
        .address_space:  global
        .offset:         48
        .size:           8
        .value_kind:     global_buffer
      - .actual_access:  read_only
        .address_space:  global
        .offset:         56
        .size:           8
        .value_kind:     global_buffer
      - .actual_access:  read_only
        .address_space:  global
        .offset:         64
        .size:           8
        .value_kind:     global_buffer
      - .actual_access:  read_only
        .address_space:  global
        .offset:         72
        .size:           8
        .value_kind:     global_buffer
      - .offset:         80
        .size:           4
        .value_kind:     by_value
      - .offset:         84
        .size:           4
        .value_kind:     by_value
      - .offset:         88
        .size:           4
        .value_kind:     by_value
      - .offset:         92
        .size:           4
        .value_kind:     by_value
      - .offset:         96
        .size:           4
        .value_kind:     by_value
      - .offset:         100
        .size:           4
        .value_kind:     by_value
      - .offset:         104
        .size:           4
        .value_kind:     by_value
      - .offset:         108
        .size:           4
        .value_kind:     by_value
      - .offset:         112
        .size:           4
        .value_kind:     by_value
      - .offset:         116
        .size:           4
        .value_kind:     by_value
      - .offset:         120
        .size:           4
        .value_kind:     by_value
      - .offset:         124
        .size:           4
        .value_kind:     by_value
      - .offset:         128
        .size:           4
        .value_kind:     by_value
      - .offset:         132
        .size:           4
        .value_kind:     by_value
      - .offset:         136
        .size:           4
        .value_kind:     by_value
      - .offset:         144
        .size:           4
        .value_kind:     hidden_block_count_x
      - .offset:         148
        .size:           4
        .value_kind:     hidden_block_count_y
      - .offset:         152
        .size:           4
        .value_kind:     hidden_block_count_z
      - .offset:         156
        .size:           2
        .value_kind:     hidden_group_size_x
      - .offset:         158
        .size:           2
        .value_kind:     hidden_group_size_y
      - .offset:         160
        .size:           2
        .value_kind:     hidden_group_size_z
      - .offset:         162
        .size:           2
        .value_kind:     hidden_remainder_x
      - .offset:         164
        .size:           2
        .value_kind:     hidden_remainder_y
      - .offset:         166
        .size:           2
        .value_kind:     hidden_remainder_z
      - .offset:         184
        .size:           8
        .value_kind:     hidden_global_offset_x
      - .offset:         192
        .size:           8
        .value_kind:     hidden_global_offset_y
      - .offset:         200
        .size:           8
        .value_kind:     hidden_global_offset_z
      - .offset:         208
        .size:           2
        .value_kind:     hidden_grid_dims
    .group_segment_fixed_size: 48
    .kernarg_segment_align: 8
    .kernarg_segment_size: 400
    .language:       OpenCL C
    .language_version:
      - 2
      - 0
    .max_flat_workgroup_size: 1024
    .name:           _ZN5aiter35fused_qk_rmsnorm_group_quant_kernelItDB8_Li256ELi8ELi1ELb0ELb0ELb0ELb0ELb1ELb1EEEvPT0_PvPT_S6_S6_PKS5_S8_S8_S8_S8_ffiiiiiiiiiiiii
    .private_segment_fixed_size: 0
    .sgpr_count:     36
    .sgpr_spill_count: 0
    .symbol:         _ZN5aiter35fused_qk_rmsnorm_group_quant_kernelItDB8_Li256ELi8ELi1ELb0ELb0ELb0ELb0ELb1ELb1EEEvPT0_PvPT_S6_S6_PKS5_S8_S8_S8_S8_ffiiiiiiiiiiiii.kd
    .uniform_work_group_size: 1
    .uses_dynamic_stack: false
    .vgpr_count:     23
    .vgpr_spill_count: 0
    .wavefront_size: 64
  - .agpr_count:     0
    .args:
      - .actual_access:  write_only
        .address_space:  global
        .offset:         0
        .size:           8
        .value_kind:     global_buffer
      - .actual_access:  write_only
        .address_space:  global
        .offset:         8
        .size:           8
        .value_kind:     global_buffer
      - .actual_access:  write_only
        .address_space:  global
        .offset:         16
        .size:           8
        .value_kind:     global_buffer
      - .actual_access:  write_only
        .address_space:  global
        .offset:         24
        .size:           8
        .value_kind:     global_buffer
      - .actual_access:  write_only
        .address_space:  global
        .offset:         32
        .size:           8
        .value_kind:     global_buffer
      - .actual_access:  read_only
        .address_space:  global
        .offset:         40
        .size:           8
        .value_kind:     global_buffer
      - .actual_access:  read_only
        .address_space:  global
        .offset:         48
        .size:           8
        .value_kind:     global_buffer
      - .actual_access:  read_only
        .address_space:  global
        .offset:         56
        .size:           8
        .value_kind:     global_buffer
      - .actual_access:  read_only
        .address_space:  global
        .offset:         64
        .size:           8
        .value_kind:     global_buffer
      - .actual_access:  read_only
        .address_space:  global
        .offset:         72
        .size:           8
        .value_kind:     global_buffer
      - .offset:         80
        .size:           4
        .value_kind:     by_value
      - .offset:         84
        .size:           4
        .value_kind:     by_value
      - .offset:         88
        .size:           4
        .value_kind:     by_value
      - .offset:         92
        .size:           4
        .value_kind:     by_value
      - .offset:         96
        .size:           4
        .value_kind:     by_value
      - .offset:         100
        .size:           4
        .value_kind:     by_value
      - .offset:         104
        .size:           4
        .value_kind:     by_value
      - .offset:         108
        .size:           4
        .value_kind:     by_value
      - .offset:         112
        .size:           4
        .value_kind:     by_value
      - .offset:         116
        .size:           4
        .value_kind:     by_value
      - .offset:         120
        .size:           4
        .value_kind:     by_value
      - .offset:         124
        .size:           4
        .value_kind:     by_value
      - .offset:         128
        .size:           4
        .value_kind:     by_value
      - .offset:         132
        .size:           4
        .value_kind:     by_value
      - .offset:         136
        .size:           4
        .value_kind:     by_value
      - .offset:         144
        .size:           4
        .value_kind:     hidden_block_count_x
      - .offset:         148
        .size:           4
        .value_kind:     hidden_block_count_y
      - .offset:         152
        .size:           4
        .value_kind:     hidden_block_count_z
      - .offset:         156
        .size:           2
        .value_kind:     hidden_group_size_x
      - .offset:         158
        .size:           2
        .value_kind:     hidden_group_size_y
      - .offset:         160
        .size:           2
        .value_kind:     hidden_group_size_z
      - .offset:         162
        .size:           2
        .value_kind:     hidden_remainder_x
      - .offset:         164
        .size:           2
        .value_kind:     hidden_remainder_y
      - .offset:         166
        .size:           2
        .value_kind:     hidden_remainder_z
      - .offset:         184
        .size:           8
        .value_kind:     hidden_global_offset_x
      - .offset:         192
        .size:           8
        .value_kind:     hidden_global_offset_y
      - .offset:         200
        .size:           8
        .value_kind:     hidden_global_offset_z
      - .offset:         208
        .size:           2
        .value_kind:     hidden_grid_dims
    .group_segment_fixed_size: 48
    .kernarg_segment_align: 8
    .kernarg_segment_size: 400
    .language:       OpenCL C
    .language_version:
      - 2
      - 0
    .max_flat_workgroup_size: 1024
    .name:           _ZN5aiter35fused_qk_rmsnorm_group_quant_kernelIDF16_DB8_Li256ELi16ELi1ELb1ELb1ELb1ELb0ELb1ELb1EEEvPT0_PvPT_S6_S6_PKS5_S8_S8_S8_S8_ffiiiiiiiiiiiii
    .private_segment_fixed_size: 0
    .sgpr_count:     42
    .sgpr_spill_count: 0
    .symbol:         _ZN5aiter35fused_qk_rmsnorm_group_quant_kernelIDF16_DB8_Li256ELi16ELi1ELb1ELb1ELb1ELb0ELb1ELb1EEEvPT0_PvPT_S6_S6_PKS5_S8_S8_S8_S8_ffiiiiiiiiiiiii.kd
    .uniform_work_group_size: 1
    .uses_dynamic_stack: false
    .vgpr_count:     90
    .vgpr_spill_count: 0
    .wavefront_size: 64
  - .agpr_count:     0
    .args:
      - .actual_access:  write_only
        .address_space:  global
        .offset:         0
        .size:           8
        .value_kind:     global_buffer
      - .actual_access:  write_only
        .address_space:  global
        .offset:         8
        .size:           8
        .value_kind:     global_buffer
      - .actual_access:  write_only
        .address_space:  global
        .offset:         16
        .size:           8
        .value_kind:     global_buffer
      - .actual_access:  write_only
        .address_space:  global
        .offset:         24
        .size:           8
        .value_kind:     global_buffer
      - .actual_access:  write_only
        .address_space:  global
        .offset:         32
        .size:           8
        .value_kind:     global_buffer
      - .actual_access:  read_only
        .address_space:  global
        .offset:         40
        .size:           8
        .value_kind:     global_buffer
      - .actual_access:  read_only
        .address_space:  global
        .offset:         48
        .size:           8
        .value_kind:     global_buffer
      - .actual_access:  read_only
        .address_space:  global
        .offset:         56
        .size:           8
        .value_kind:     global_buffer
      - .actual_access:  read_only
        .address_space:  global
        .offset:         64
        .size:           8
        .value_kind:     global_buffer
      - .actual_access:  read_only
        .address_space:  global
        .offset:         72
        .size:           8
        .value_kind:     global_buffer
      - .offset:         80
        .size:           4
        .value_kind:     by_value
      - .offset:         84
        .size:           4
        .value_kind:     by_value
      - .offset:         88
        .size:           4
        .value_kind:     by_value
      - .offset:         92
        .size:           4
        .value_kind:     by_value
      - .offset:         96
        .size:           4
        .value_kind:     by_value
      - .offset:         100
        .size:           4
        .value_kind:     by_value
      - .offset:         104
        .size:           4
        .value_kind:     by_value
      - .offset:         108
        .size:           4
        .value_kind:     by_value
      - .offset:         112
        .size:           4
        .value_kind:     by_value
      - .offset:         116
        .size:           4
        .value_kind:     by_value
      - .offset:         120
        .size:           4
        .value_kind:     by_value
      - .offset:         124
        .size:           4
        .value_kind:     by_value
      - .offset:         128
        .size:           4
        .value_kind:     by_value
      - .offset:         132
        .size:           4
        .value_kind:     by_value
      - .offset:         136
        .size:           4
        .value_kind:     by_value
      - .offset:         144
        .size:           4
        .value_kind:     hidden_block_count_x
      - .offset:         148
        .size:           4
        .value_kind:     hidden_block_count_y
      - .offset:         152
        .size:           4
        .value_kind:     hidden_block_count_z
      - .offset:         156
        .size:           2
        .value_kind:     hidden_group_size_x
      - .offset:         158
        .size:           2
        .value_kind:     hidden_group_size_y
      - .offset:         160
        .size:           2
        .value_kind:     hidden_group_size_z
      - .offset:         162
        .size:           2
        .value_kind:     hidden_remainder_x
      - .offset:         164
        .size:           2
        .value_kind:     hidden_remainder_y
      - .offset:         166
        .size:           2
        .value_kind:     hidden_remainder_z
      - .offset:         184
        .size:           8
        .value_kind:     hidden_global_offset_x
      - .offset:         192
        .size:           8
        .value_kind:     hidden_global_offset_y
      - .offset:         200
        .size:           8
        .value_kind:     hidden_global_offset_z
      - .offset:         208
        .size:           2
        .value_kind:     hidden_grid_dims
    .group_segment_fixed_size: 48
    .kernarg_segment_align: 8
    .kernarg_segment_size: 400
    .language:       OpenCL C
    .language_version:
      - 2
      - 0
    .max_flat_workgroup_size: 1024
    .name:           _ZN5aiter35fused_qk_rmsnorm_group_quant_kernelItDB8_Li256ELi16ELi1ELb1ELb1ELb1ELb0ELb1ELb1EEEvPT0_PvPT_S6_S6_PKS5_S8_S8_S8_S8_ffiiiiiiiiiiiii
    .private_segment_fixed_size: 0
    .sgpr_count:     42
    .sgpr_spill_count: 0
    .symbol:         _ZN5aiter35fused_qk_rmsnorm_group_quant_kernelItDB8_Li256ELi16ELi1ELb1ELb1ELb1ELb0ELb1ELb1EEEvPT0_PvPT_S6_S6_PKS5_S8_S8_S8_S8_ffiiiiiiiiiiiii.kd
    .uniform_work_group_size: 1
    .uses_dynamic_stack: false
    .vgpr_count:     92
    .vgpr_spill_count: 0
    .wavefront_size: 64
  - .agpr_count:     0
    .args:
      - .actual_access:  write_only
        .address_space:  global
        .offset:         0
        .size:           8
        .value_kind:     global_buffer
      - .actual_access:  write_only
        .address_space:  global
        .offset:         8
        .size:           8
        .value_kind:     global_buffer
      - .actual_access:  write_only
        .address_space:  global
        .offset:         16
        .size:           8
        .value_kind:     global_buffer
      - .actual_access:  write_only
        .address_space:  global
        .offset:         24
        .size:           8
        .value_kind:     global_buffer
      - .actual_access:  write_only
        .address_space:  global
        .offset:         32
        .size:           8
        .value_kind:     global_buffer
      - .actual_access:  read_only
        .address_space:  global
        .offset:         40
        .size:           8
        .value_kind:     global_buffer
      - .actual_access:  read_only
        .address_space:  global
        .offset:         48
        .size:           8
        .value_kind:     global_buffer
      - .actual_access:  read_only
        .address_space:  global
        .offset:         56
        .size:           8
        .value_kind:     global_buffer
      - .actual_access:  read_only
        .address_space:  global
        .offset:         64
        .size:           8
        .value_kind:     global_buffer
      - .actual_access:  read_only
        .address_space:  global
        .offset:         72
        .size:           8
        .value_kind:     global_buffer
      - .offset:         80
        .size:           4
        .value_kind:     by_value
      - .offset:         84
        .size:           4
        .value_kind:     by_value
      - .offset:         88
        .size:           4
        .value_kind:     by_value
      - .offset:         92
        .size:           4
        .value_kind:     by_value
      - .offset:         96
        .size:           4
        .value_kind:     by_value
      - .offset:         100
        .size:           4
        .value_kind:     by_value
      - .offset:         104
        .size:           4
        .value_kind:     by_value
      - .offset:         108
        .size:           4
        .value_kind:     by_value
      - .offset:         112
        .size:           4
        .value_kind:     by_value
      - .offset:         116
        .size:           4
        .value_kind:     by_value
      - .offset:         120
        .size:           4
        .value_kind:     by_value
      - .offset:         124
        .size:           4
        .value_kind:     by_value
      - .offset:         128
        .size:           4
        .value_kind:     by_value
      - .offset:         132
        .size:           4
        .value_kind:     by_value
      - .offset:         136
        .size:           4
        .value_kind:     by_value
      - .offset:         144
        .size:           4
        .value_kind:     hidden_block_count_x
      - .offset:         148
        .size:           4
        .value_kind:     hidden_block_count_y
      - .offset:         152
        .size:           4
        .value_kind:     hidden_block_count_z
      - .offset:         156
        .size:           2
        .value_kind:     hidden_group_size_x
      - .offset:         158
        .size:           2
        .value_kind:     hidden_group_size_y
      - .offset:         160
        .size:           2
        .value_kind:     hidden_group_size_z
      - .offset:         162
        .size:           2
        .value_kind:     hidden_remainder_x
      - .offset:         164
        .size:           2
        .value_kind:     hidden_remainder_y
      - .offset:         166
        .size:           2
        .value_kind:     hidden_remainder_z
      - .offset:         184
        .size:           8
        .value_kind:     hidden_global_offset_x
      - .offset:         192
        .size:           8
        .value_kind:     hidden_global_offset_y
      - .offset:         200
        .size:           8
        .value_kind:     hidden_global_offset_z
      - .offset:         208
        .size:           2
        .value_kind:     hidden_grid_dims
    .group_segment_fixed_size: 48
    .kernarg_segment_align: 8
    .kernarg_segment_size: 400
    .language:       OpenCL C
    .language_version:
      - 2
      - 0
    .max_flat_workgroup_size: 1024
    .name:           _ZN5aiter35fused_qk_rmsnorm_group_quant_kernelIDF16_DB8_Li256ELi16ELi1ELb1ELb1ELb0ELb0ELb1ELb1EEEvPT0_PvPT_S6_S6_PKS5_S8_S8_S8_S8_ffiiiiiiiiiiiii
    .private_segment_fixed_size: 0
    .sgpr_count:     42
    .sgpr_spill_count: 0
    .symbol:         _ZN5aiter35fused_qk_rmsnorm_group_quant_kernelIDF16_DB8_Li256ELi16ELi1ELb1ELb1ELb0ELb0ELb1ELb1EEEvPT0_PvPT_S6_S6_PKS5_S8_S8_S8_S8_ffiiiiiiiiiiiii.kd
    .uniform_work_group_size: 1
    .uses_dynamic_stack: false
    .vgpr_count:     92
    .vgpr_spill_count: 0
    .wavefront_size: 64
  - .agpr_count:     0
    .args:
      - .actual_access:  write_only
        .address_space:  global
        .offset:         0
        .size:           8
        .value_kind:     global_buffer
      - .actual_access:  write_only
        .address_space:  global
        .offset:         8
        .size:           8
        .value_kind:     global_buffer
      - .actual_access:  write_only
        .address_space:  global
        .offset:         16
        .size:           8
        .value_kind:     global_buffer
      - .actual_access:  write_only
        .address_space:  global
        .offset:         24
        .size:           8
        .value_kind:     global_buffer
      - .actual_access:  write_only
        .address_space:  global
        .offset:         32
        .size:           8
        .value_kind:     global_buffer
      - .actual_access:  read_only
        .address_space:  global
        .offset:         40
        .size:           8
        .value_kind:     global_buffer
      - .actual_access:  read_only
        .address_space:  global
        .offset:         48
        .size:           8
        .value_kind:     global_buffer
      - .actual_access:  read_only
        .address_space:  global
        .offset:         56
        .size:           8
        .value_kind:     global_buffer
      - .actual_access:  read_only
        .address_space:  global
        .offset:         64
        .size:           8
        .value_kind:     global_buffer
      - .actual_access:  read_only
        .address_space:  global
        .offset:         72
        .size:           8
        .value_kind:     global_buffer
      - .offset:         80
        .size:           4
        .value_kind:     by_value
      - .offset:         84
        .size:           4
        .value_kind:     by_value
      - .offset:         88
        .size:           4
        .value_kind:     by_value
      - .offset:         92
        .size:           4
        .value_kind:     by_value
      - .offset:         96
        .size:           4
        .value_kind:     by_value
      - .offset:         100
        .size:           4
        .value_kind:     by_value
      - .offset:         104
        .size:           4
        .value_kind:     by_value
      - .offset:         108
        .size:           4
        .value_kind:     by_value
      - .offset:         112
        .size:           4
        .value_kind:     by_value
      - .offset:         116
        .size:           4
        .value_kind:     by_value
      - .offset:         120
        .size:           4
        .value_kind:     by_value
      - .offset:         124
        .size:           4
        .value_kind:     by_value
      - .offset:         128
        .size:           4
        .value_kind:     by_value
      - .offset:         132
        .size:           4
        .value_kind:     by_value
      - .offset:         136
        .size:           4
        .value_kind:     by_value
      - .offset:         144
        .size:           4
        .value_kind:     hidden_block_count_x
      - .offset:         148
        .size:           4
        .value_kind:     hidden_block_count_y
      - .offset:         152
        .size:           4
        .value_kind:     hidden_block_count_z
      - .offset:         156
        .size:           2
        .value_kind:     hidden_group_size_x
      - .offset:         158
        .size:           2
        .value_kind:     hidden_group_size_y
      - .offset:         160
        .size:           2
        .value_kind:     hidden_group_size_z
      - .offset:         162
        .size:           2
        .value_kind:     hidden_remainder_x
      - .offset:         164
        .size:           2
        .value_kind:     hidden_remainder_y
      - .offset:         166
        .size:           2
        .value_kind:     hidden_remainder_z
      - .offset:         184
        .size:           8
        .value_kind:     hidden_global_offset_x
      - .offset:         192
        .size:           8
        .value_kind:     hidden_global_offset_y
      - .offset:         200
        .size:           8
        .value_kind:     hidden_global_offset_z
      - .offset:         208
        .size:           2
        .value_kind:     hidden_grid_dims
    .group_segment_fixed_size: 48
    .kernarg_segment_align: 8
    .kernarg_segment_size: 400
    .language:       OpenCL C
    .language_version:
      - 2
      - 0
    .max_flat_workgroup_size: 1024
    .name:           _ZN5aiter35fused_qk_rmsnorm_group_quant_kernelItDB8_Li256ELi16ELi1ELb1ELb1ELb0ELb0ELb1ELb1EEEvPT0_PvPT_S6_S6_PKS5_S8_S8_S8_S8_ffiiiiiiiiiiiii
    .private_segment_fixed_size: 0
    .sgpr_count:     42
    .sgpr_spill_count: 0
    .symbol:         _ZN5aiter35fused_qk_rmsnorm_group_quant_kernelItDB8_Li256ELi16ELi1ELb1ELb1ELb0ELb0ELb1ELb1EEEvPT0_PvPT_S6_S6_PKS5_S8_S8_S8_S8_ffiiiiiiiiiiiii.kd
    .uniform_work_group_size: 1
    .uses_dynamic_stack: false
    .vgpr_count:     94
    .vgpr_spill_count: 0
    .wavefront_size: 64
  - .agpr_count:     0
    .args:
      - .actual_access:  write_only
        .address_space:  global
        .offset:         0
        .size:           8
        .value_kind:     global_buffer
      - .actual_access:  write_only
        .address_space:  global
        .offset:         8
        .size:           8
        .value_kind:     global_buffer
      - .actual_access:  read_only
        .address_space:  global
        .offset:         16
        .size:           8
        .value_kind:     global_buffer
      - .actual_access:  write_only
        .address_space:  global
        .offset:         24
        .size:           8
        .value_kind:     global_buffer
      - .actual_access:  write_only
        .address_space:  global
        .offset:         32
        .size:           8
        .value_kind:     global_buffer
      - .actual_access:  read_only
        .address_space:  global
        .offset:         40
        .size:           8
        .value_kind:     global_buffer
      - .actual_access:  read_only
        .address_space:  global
        .offset:         48
        .size:           8
        .value_kind:     global_buffer
      - .actual_access:  read_only
        .address_space:  global
        .offset:         56
        .size:           8
        .value_kind:     global_buffer
      - .actual_access:  read_only
        .address_space:  global
        .offset:         64
        .size:           8
        .value_kind:     global_buffer
      - .actual_access:  read_only
        .address_space:  global
        .offset:         72
        .size:           8
        .value_kind:     global_buffer
      - .offset:         80
        .size:           4
        .value_kind:     by_value
      - .offset:         84
        .size:           4
        .value_kind:     by_value
      - .offset:         88
        .size:           4
        .value_kind:     by_value
      - .offset:         92
        .size:           4
        .value_kind:     by_value
      - .offset:         96
        .size:           4
        .value_kind:     by_value
      - .offset:         100
        .size:           4
        .value_kind:     by_value
      - .offset:         104
        .size:           4
        .value_kind:     by_value
      - .offset:         108
        .size:           4
        .value_kind:     by_value
      - .offset:         112
        .size:           4
        .value_kind:     by_value
      - .offset:         116
        .size:           4
        .value_kind:     by_value
      - .offset:         120
        .size:           4
        .value_kind:     by_value
      - .offset:         124
        .size:           4
        .value_kind:     by_value
      - .offset:         128
        .size:           4
        .value_kind:     by_value
      - .offset:         132
        .size:           4
        .value_kind:     by_value
      - .offset:         136
        .size:           4
        .value_kind:     by_value
      - .offset:         144
        .size:           4
        .value_kind:     hidden_block_count_x
      - .offset:         148
        .size:           4
        .value_kind:     hidden_block_count_y
      - .offset:         152
        .size:           4
        .value_kind:     hidden_block_count_z
      - .offset:         156
        .size:           2
        .value_kind:     hidden_group_size_x
      - .offset:         158
        .size:           2
        .value_kind:     hidden_group_size_y
      - .offset:         160
        .size:           2
        .value_kind:     hidden_group_size_z
      - .offset:         162
        .size:           2
        .value_kind:     hidden_remainder_x
      - .offset:         164
        .size:           2
        .value_kind:     hidden_remainder_y
      - .offset:         166
        .size:           2
        .value_kind:     hidden_remainder_z
      - .offset:         184
        .size:           8
        .value_kind:     hidden_global_offset_x
      - .offset:         192
        .size:           8
        .value_kind:     hidden_global_offset_y
      - .offset:         200
        .size:           8
        .value_kind:     hidden_global_offset_z
      - .offset:         208
        .size:           2
        .value_kind:     hidden_grid_dims
    .group_segment_fixed_size: 48
    .kernarg_segment_align: 8
    .kernarg_segment_size: 400
    .language:       OpenCL C
    .language_version:
      - 2
      - 0
    .max_flat_workgroup_size: 1024
    .name:           _ZN5aiter35fused_qk_rmsnorm_group_quant_kernelIDF16_DB8_Li256ELi16ELi1ELb1ELb0ELb1ELb0ELb1ELb1EEEvPT0_PvPT_S6_S6_PKS5_S8_S8_S8_S8_ffiiiiiiiiiiiii
    .private_segment_fixed_size: 0
    .sgpr_count:     44
    .sgpr_spill_count: 0
    .symbol:         _ZN5aiter35fused_qk_rmsnorm_group_quant_kernelIDF16_DB8_Li256ELi16ELi1ELb1ELb0ELb1ELb0ELb1ELb1EEEvPT0_PvPT_S6_S6_PKS5_S8_S8_S8_S8_ffiiiiiiiiiiiii.kd
    .uniform_work_group_size: 1
    .uses_dynamic_stack: false
    .vgpr_count:     90
    .vgpr_spill_count: 0
    .wavefront_size: 64
  - .agpr_count:     0
    .args:
      - .actual_access:  write_only
        .address_space:  global
        .offset:         0
        .size:           8
        .value_kind:     global_buffer
      - .actual_access:  write_only
        .address_space:  global
        .offset:         8
        .size:           8
        .value_kind:     global_buffer
      - .actual_access:  read_only
        .address_space:  global
        .offset:         16
        .size:           8
        .value_kind:     global_buffer
      - .actual_access:  write_only
        .address_space:  global
        .offset:         24
        .size:           8
        .value_kind:     global_buffer
      - .actual_access:  write_only
        .address_space:  global
        .offset:         32
        .size:           8
        .value_kind:     global_buffer
      - .actual_access:  read_only
        .address_space:  global
        .offset:         40
        .size:           8
        .value_kind:     global_buffer
      - .actual_access:  read_only
        .address_space:  global
        .offset:         48
        .size:           8
        .value_kind:     global_buffer
      - .actual_access:  read_only
        .address_space:  global
        .offset:         56
        .size:           8
        .value_kind:     global_buffer
      - .actual_access:  read_only
        .address_space:  global
        .offset:         64
        .size:           8
        .value_kind:     global_buffer
      - .actual_access:  read_only
        .address_space:  global
        .offset:         72
        .size:           8
        .value_kind:     global_buffer
      - .offset:         80
        .size:           4
        .value_kind:     by_value
      - .offset:         84
        .size:           4
        .value_kind:     by_value
      - .offset:         88
        .size:           4
        .value_kind:     by_value
      - .offset:         92
        .size:           4
        .value_kind:     by_value
      - .offset:         96
        .size:           4
        .value_kind:     by_value
      - .offset:         100
        .size:           4
        .value_kind:     by_value
      - .offset:         104
        .size:           4
        .value_kind:     by_value
      - .offset:         108
        .size:           4
        .value_kind:     by_value
      - .offset:         112
        .size:           4
        .value_kind:     by_value
      - .offset:         116
        .size:           4
        .value_kind:     by_value
      - .offset:         120
        .size:           4
        .value_kind:     by_value
      - .offset:         124
        .size:           4
        .value_kind:     by_value
      - .offset:         128
        .size:           4
        .value_kind:     by_value
      - .offset:         132
        .size:           4
        .value_kind:     by_value
      - .offset:         136
        .size:           4
        .value_kind:     by_value
      - .offset:         144
        .size:           4
        .value_kind:     hidden_block_count_x
      - .offset:         148
        .size:           4
        .value_kind:     hidden_block_count_y
      - .offset:         152
        .size:           4
        .value_kind:     hidden_block_count_z
      - .offset:         156
        .size:           2
        .value_kind:     hidden_group_size_x
      - .offset:         158
        .size:           2
        .value_kind:     hidden_group_size_y
      - .offset:         160
        .size:           2
        .value_kind:     hidden_group_size_z
      - .offset:         162
        .size:           2
        .value_kind:     hidden_remainder_x
      - .offset:         164
        .size:           2
        .value_kind:     hidden_remainder_y
      - .offset:         166
        .size:           2
        .value_kind:     hidden_remainder_z
      - .offset:         184
        .size:           8
        .value_kind:     hidden_global_offset_x
      - .offset:         192
        .size:           8
        .value_kind:     hidden_global_offset_y
      - .offset:         200
        .size:           8
        .value_kind:     hidden_global_offset_z
      - .offset:         208
        .size:           2
        .value_kind:     hidden_grid_dims
    .group_segment_fixed_size: 48
    .kernarg_segment_align: 8
    .kernarg_segment_size: 400
    .language:       OpenCL C
    .language_version:
      - 2
      - 0
    .max_flat_workgroup_size: 1024
    .name:           _ZN5aiter35fused_qk_rmsnorm_group_quant_kernelItDB8_Li256ELi16ELi1ELb1ELb0ELb1ELb0ELb1ELb1EEEvPT0_PvPT_S6_S6_PKS5_S8_S8_S8_S8_ffiiiiiiiiiiiii
    .private_segment_fixed_size: 0
    .sgpr_count:     44
    .sgpr_spill_count: 0
    .symbol:         _ZN5aiter35fused_qk_rmsnorm_group_quant_kernelItDB8_Li256ELi16ELi1ELb1ELb0ELb1ELb0ELb1ELb1EEEvPT0_PvPT_S6_S6_PKS5_S8_S8_S8_S8_ffiiiiiiiiiiiii.kd
    .uniform_work_group_size: 1
    .uses_dynamic_stack: false
    .vgpr_count:     92
    .vgpr_spill_count: 0
    .wavefront_size: 64
  - .agpr_count:     0
    .args:
      - .actual_access:  write_only
        .address_space:  global
        .offset:         0
        .size:           8
        .value_kind:     global_buffer
      - .actual_access:  write_only
        .address_space:  global
        .offset:         8
        .size:           8
        .value_kind:     global_buffer
      - .actual_access:  read_only
        .address_space:  global
        .offset:         16
        .size:           8
        .value_kind:     global_buffer
      - .actual_access:  write_only
        .address_space:  global
        .offset:         24
        .size:           8
        .value_kind:     global_buffer
      - .actual_access:  write_only
        .address_space:  global
        .offset:         32
        .size:           8
        .value_kind:     global_buffer
      - .actual_access:  read_only
        .address_space:  global
        .offset:         40
        .size:           8
        .value_kind:     global_buffer
      - .actual_access:  read_only
        .address_space:  global
        .offset:         48
        .size:           8
        .value_kind:     global_buffer
      - .actual_access:  read_only
        .address_space:  global
        .offset:         56
        .size:           8
        .value_kind:     global_buffer
      - .actual_access:  read_only
        .address_space:  global
        .offset:         64
        .size:           8
        .value_kind:     global_buffer
      - .actual_access:  read_only
        .address_space:  global
        .offset:         72
        .size:           8
        .value_kind:     global_buffer
      - .offset:         80
        .size:           4
        .value_kind:     by_value
      - .offset:         84
        .size:           4
        .value_kind:     by_value
      - .offset:         88
        .size:           4
        .value_kind:     by_value
      - .offset:         92
        .size:           4
        .value_kind:     by_value
      - .offset:         96
        .size:           4
        .value_kind:     by_value
      - .offset:         100
        .size:           4
        .value_kind:     by_value
      - .offset:         104
        .size:           4
        .value_kind:     by_value
      - .offset:         108
        .size:           4
        .value_kind:     by_value
      - .offset:         112
        .size:           4
        .value_kind:     by_value
      - .offset:         116
        .size:           4
        .value_kind:     by_value
      - .offset:         120
        .size:           4
        .value_kind:     by_value
      - .offset:         124
        .size:           4
        .value_kind:     by_value
      - .offset:         128
        .size:           4
        .value_kind:     by_value
      - .offset:         132
        .size:           4
        .value_kind:     by_value
      - .offset:         136
        .size:           4
        .value_kind:     by_value
      - .offset:         144
        .size:           4
        .value_kind:     hidden_block_count_x
      - .offset:         148
        .size:           4
        .value_kind:     hidden_block_count_y
      - .offset:         152
        .size:           4
        .value_kind:     hidden_block_count_z
      - .offset:         156
        .size:           2
        .value_kind:     hidden_group_size_x
      - .offset:         158
        .size:           2
        .value_kind:     hidden_group_size_y
      - .offset:         160
        .size:           2
        .value_kind:     hidden_group_size_z
      - .offset:         162
        .size:           2
        .value_kind:     hidden_remainder_x
      - .offset:         164
        .size:           2
        .value_kind:     hidden_remainder_y
      - .offset:         166
        .size:           2
        .value_kind:     hidden_remainder_z
      - .offset:         184
        .size:           8
        .value_kind:     hidden_global_offset_x
      - .offset:         192
        .size:           8
        .value_kind:     hidden_global_offset_y
      - .offset:         200
        .size:           8
        .value_kind:     hidden_global_offset_z
      - .offset:         208
        .size:           2
        .value_kind:     hidden_grid_dims
    .group_segment_fixed_size: 48
    .kernarg_segment_align: 8
    .kernarg_segment_size: 400
    .language:       OpenCL C
    .language_version:
      - 2
      - 0
    .max_flat_workgroup_size: 1024
    .name:           _ZN5aiter35fused_qk_rmsnorm_group_quant_kernelIDF16_DB8_Li256ELi16ELi1ELb1ELb0ELb0ELb0ELb1ELb1EEEvPT0_PvPT_S6_S6_PKS5_S8_S8_S8_S8_ffiiiiiiiiiiiii
    .private_segment_fixed_size: 0
    .sgpr_count:     44
    .sgpr_spill_count: 0
    .symbol:         _ZN5aiter35fused_qk_rmsnorm_group_quant_kernelIDF16_DB8_Li256ELi16ELi1ELb1ELb0ELb0ELb0ELb1ELb1EEEvPT0_PvPT_S6_S6_PKS5_S8_S8_S8_S8_ffiiiiiiiiiiiii.kd
    .uniform_work_group_size: 1
    .uses_dynamic_stack: false
    .vgpr_count:     92
    .vgpr_spill_count: 0
    .wavefront_size: 64
  - .agpr_count:     0
    .args:
      - .actual_access:  write_only
        .address_space:  global
        .offset:         0
        .size:           8
        .value_kind:     global_buffer
      - .actual_access:  write_only
        .address_space:  global
        .offset:         8
        .size:           8
        .value_kind:     global_buffer
      - .actual_access:  read_only
        .address_space:  global
        .offset:         16
        .size:           8
        .value_kind:     global_buffer
      - .actual_access:  write_only
        .address_space:  global
        .offset:         24
        .size:           8
        .value_kind:     global_buffer
      - .actual_access:  write_only
        .address_space:  global
        .offset:         32
        .size:           8
        .value_kind:     global_buffer
      - .actual_access:  read_only
        .address_space:  global
        .offset:         40
        .size:           8
        .value_kind:     global_buffer
      - .actual_access:  read_only
        .address_space:  global
        .offset:         48
        .size:           8
        .value_kind:     global_buffer
      - .actual_access:  read_only
        .address_space:  global
        .offset:         56
        .size:           8
        .value_kind:     global_buffer
      - .actual_access:  read_only
        .address_space:  global
        .offset:         64
        .size:           8
        .value_kind:     global_buffer
      - .actual_access:  read_only
        .address_space:  global
        .offset:         72
        .size:           8
        .value_kind:     global_buffer
      - .offset:         80
        .size:           4
        .value_kind:     by_value
      - .offset:         84
        .size:           4
        .value_kind:     by_value
      - .offset:         88
        .size:           4
        .value_kind:     by_value
      - .offset:         92
        .size:           4
        .value_kind:     by_value
      - .offset:         96
        .size:           4
        .value_kind:     by_value
      - .offset:         100
        .size:           4
        .value_kind:     by_value
      - .offset:         104
        .size:           4
        .value_kind:     by_value
      - .offset:         108
        .size:           4
        .value_kind:     by_value
      - .offset:         112
        .size:           4
        .value_kind:     by_value
      - .offset:         116
        .size:           4
        .value_kind:     by_value
      - .offset:         120
        .size:           4
        .value_kind:     by_value
      - .offset:         124
        .size:           4
        .value_kind:     by_value
      - .offset:         128
        .size:           4
        .value_kind:     by_value
      - .offset:         132
        .size:           4
        .value_kind:     by_value
      - .offset:         136
        .size:           4
        .value_kind:     by_value
      - .offset:         144
        .size:           4
        .value_kind:     hidden_block_count_x
      - .offset:         148
        .size:           4
        .value_kind:     hidden_block_count_y
      - .offset:         152
        .size:           4
        .value_kind:     hidden_block_count_z
      - .offset:         156
        .size:           2
        .value_kind:     hidden_group_size_x
      - .offset:         158
        .size:           2
        .value_kind:     hidden_group_size_y
      - .offset:         160
        .size:           2
        .value_kind:     hidden_group_size_z
      - .offset:         162
        .size:           2
        .value_kind:     hidden_remainder_x
      - .offset:         164
        .size:           2
        .value_kind:     hidden_remainder_y
      - .offset:         166
        .size:           2
        .value_kind:     hidden_remainder_z
      - .offset:         184
        .size:           8
        .value_kind:     hidden_global_offset_x
      - .offset:         192
        .size:           8
        .value_kind:     hidden_global_offset_y
      - .offset:         200
        .size:           8
        .value_kind:     hidden_global_offset_z
      - .offset:         208
        .size:           2
        .value_kind:     hidden_grid_dims
    .group_segment_fixed_size: 48
    .kernarg_segment_align: 8
    .kernarg_segment_size: 400
    .language:       OpenCL C
    .language_version:
      - 2
      - 0
    .max_flat_workgroup_size: 1024
    .name:           _ZN5aiter35fused_qk_rmsnorm_group_quant_kernelItDB8_Li256ELi16ELi1ELb1ELb0ELb0ELb0ELb1ELb1EEEvPT0_PvPT_S6_S6_PKS5_S8_S8_S8_S8_ffiiiiiiiiiiiii
    .private_segment_fixed_size: 0
    .sgpr_count:     44
    .sgpr_spill_count: 0
    .symbol:         _ZN5aiter35fused_qk_rmsnorm_group_quant_kernelItDB8_Li256ELi16ELi1ELb1ELb0ELb0ELb0ELb1ELb1EEEvPT0_PvPT_S6_S6_PKS5_S8_S8_S8_S8_ffiiiiiiiiiiiii.kd
    .uniform_work_group_size: 1
    .uses_dynamic_stack: false
    .vgpr_count:     94
    .vgpr_spill_count: 0
    .wavefront_size: 64
  - .agpr_count:     0
    .args:
      - .actual_access:  write_only
        .address_space:  global
        .offset:         0
        .size:           8
        .value_kind:     global_buffer
      - .actual_access:  write_only
        .address_space:  global
        .offset:         8
        .size:           8
        .value_kind:     global_buffer
      - .actual_access:  write_only
        .address_space:  global
        .offset:         16
        .size:           8
        .value_kind:     global_buffer
      - .actual_access:  write_only
        .address_space:  global
        .offset:         24
        .size:           8
        .value_kind:     global_buffer
      - .actual_access:  read_only
        .address_space:  global
        .offset:         32
        .size:           8
        .value_kind:     global_buffer
      - .actual_access:  read_only
        .address_space:  global
        .offset:         40
        .size:           8
        .value_kind:     global_buffer
      - .actual_access:  read_only
        .address_space:  global
        .offset:         48
        .size:           8
        .value_kind:     global_buffer
      - .actual_access:  read_only
        .address_space:  global
        .offset:         56
        .size:           8
        .value_kind:     global_buffer
      - .actual_access:  read_only
        .address_space:  global
        .offset:         64
        .size:           8
        .value_kind:     global_buffer
      - .actual_access:  read_only
        .address_space:  global
        .offset:         72
        .size:           8
        .value_kind:     global_buffer
      - .offset:         80
        .size:           4
        .value_kind:     by_value
      - .offset:         84
        .size:           4
        .value_kind:     by_value
      - .offset:         88
        .size:           4
        .value_kind:     by_value
      - .offset:         92
        .size:           4
        .value_kind:     by_value
      - .offset:         96
        .size:           4
        .value_kind:     by_value
      - .offset:         100
        .size:           4
        .value_kind:     by_value
      - .offset:         104
        .size:           4
        .value_kind:     by_value
      - .offset:         108
        .size:           4
        .value_kind:     by_value
      - .offset:         112
        .size:           4
        .value_kind:     by_value
      - .offset:         116
        .size:           4
        .value_kind:     by_value
      - .offset:         120
        .size:           4
        .value_kind:     by_value
      - .offset:         124
        .size:           4
        .value_kind:     by_value
      - .offset:         128
        .size:           4
        .value_kind:     by_value
      - .offset:         132
        .size:           4
        .value_kind:     by_value
      - .offset:         136
        .size:           4
        .value_kind:     by_value
      - .offset:         144
        .size:           4
        .value_kind:     hidden_block_count_x
      - .offset:         148
        .size:           4
        .value_kind:     hidden_block_count_y
      - .offset:         152
        .size:           4
        .value_kind:     hidden_block_count_z
      - .offset:         156
        .size:           2
        .value_kind:     hidden_group_size_x
      - .offset:         158
        .size:           2
        .value_kind:     hidden_group_size_y
      - .offset:         160
        .size:           2
        .value_kind:     hidden_group_size_z
      - .offset:         162
        .size:           2
        .value_kind:     hidden_remainder_x
      - .offset:         164
        .size:           2
        .value_kind:     hidden_remainder_y
      - .offset:         166
        .size:           2
        .value_kind:     hidden_remainder_z
      - .offset:         184
        .size:           8
        .value_kind:     hidden_global_offset_x
      - .offset:         192
        .size:           8
        .value_kind:     hidden_global_offset_y
      - .offset:         200
        .size:           8
        .value_kind:     hidden_global_offset_z
      - .offset:         208
        .size:           2
        .value_kind:     hidden_grid_dims
    .group_segment_fixed_size: 48
    .kernarg_segment_align: 8
    .kernarg_segment_size: 400
    .language:       OpenCL C
    .language_version:
      - 2
      - 0
    .max_flat_workgroup_size: 1024
    .name:           _ZN5aiter35fused_qk_rmsnorm_group_quant_kernelIDF16_DB8_Li256ELi16ELi1ELb0ELb1ELb1ELb0ELb1ELb1EEEvPT0_PvPT_S6_S6_PKS5_S8_S8_S8_S8_ffiiiiiiiiiiiii
    .private_segment_fixed_size: 0
    .sgpr_count:     36
    .sgpr_spill_count: 0
    .symbol:         _ZN5aiter35fused_qk_rmsnorm_group_quant_kernelIDF16_DB8_Li256ELi16ELi1ELb0ELb1ELb1ELb0ELb1ELb1EEEvPT0_PvPT_S6_S6_PKS5_S8_S8_S8_S8_ffiiiiiiiiiiiii.kd
    .uniform_work_group_size: 1
    .uses_dynamic_stack: false
    .vgpr_count:     35
    .vgpr_spill_count: 0
    .wavefront_size: 64
  - .agpr_count:     0
    .args:
      - .actual_access:  write_only
        .address_space:  global
        .offset:         0
        .size:           8
        .value_kind:     global_buffer
      - .actual_access:  write_only
        .address_space:  global
        .offset:         8
        .size:           8
        .value_kind:     global_buffer
      - .actual_access:  write_only
        .address_space:  global
        .offset:         16
        .size:           8
        .value_kind:     global_buffer
      - .actual_access:  write_only
        .address_space:  global
        .offset:         24
        .size:           8
        .value_kind:     global_buffer
      - .actual_access:  read_only
        .address_space:  global
        .offset:         32
        .size:           8
        .value_kind:     global_buffer
      - .actual_access:  read_only
        .address_space:  global
        .offset:         40
        .size:           8
        .value_kind:     global_buffer
      - .actual_access:  read_only
        .address_space:  global
        .offset:         48
        .size:           8
        .value_kind:     global_buffer
      - .actual_access:  read_only
        .address_space:  global
        .offset:         56
        .size:           8
        .value_kind:     global_buffer
      - .actual_access:  read_only
        .address_space:  global
        .offset:         64
        .size:           8
        .value_kind:     global_buffer
      - .actual_access:  read_only
        .address_space:  global
        .offset:         72
        .size:           8
        .value_kind:     global_buffer
      - .offset:         80
        .size:           4
        .value_kind:     by_value
      - .offset:         84
        .size:           4
        .value_kind:     by_value
      - .offset:         88
        .size:           4
        .value_kind:     by_value
      - .offset:         92
        .size:           4
        .value_kind:     by_value
      - .offset:         96
        .size:           4
        .value_kind:     by_value
      - .offset:         100
        .size:           4
        .value_kind:     by_value
      - .offset:         104
        .size:           4
        .value_kind:     by_value
      - .offset:         108
        .size:           4
        .value_kind:     by_value
      - .offset:         112
        .size:           4
        .value_kind:     by_value
      - .offset:         116
        .size:           4
        .value_kind:     by_value
      - .offset:         120
        .size:           4
        .value_kind:     by_value
      - .offset:         124
        .size:           4
        .value_kind:     by_value
      - .offset:         128
        .size:           4
        .value_kind:     by_value
      - .offset:         132
        .size:           4
        .value_kind:     by_value
      - .offset:         136
        .size:           4
        .value_kind:     by_value
      - .offset:         144
        .size:           4
        .value_kind:     hidden_block_count_x
      - .offset:         148
        .size:           4
        .value_kind:     hidden_block_count_y
      - .offset:         152
        .size:           4
        .value_kind:     hidden_block_count_z
      - .offset:         156
        .size:           2
        .value_kind:     hidden_group_size_x
      - .offset:         158
        .size:           2
        .value_kind:     hidden_group_size_y
      - .offset:         160
        .size:           2
        .value_kind:     hidden_group_size_z
      - .offset:         162
        .size:           2
        .value_kind:     hidden_remainder_x
      - .offset:         164
        .size:           2
        .value_kind:     hidden_remainder_y
      - .offset:         166
        .size:           2
        .value_kind:     hidden_remainder_z
      - .offset:         184
        .size:           8
        .value_kind:     hidden_global_offset_x
      - .offset:         192
        .size:           8
        .value_kind:     hidden_global_offset_y
      - .offset:         200
        .size:           8
        .value_kind:     hidden_global_offset_z
      - .offset:         208
        .size:           2
        .value_kind:     hidden_grid_dims
    .group_segment_fixed_size: 48
    .kernarg_segment_align: 8
    .kernarg_segment_size: 400
    .language:       OpenCL C
    .language_version:
      - 2
      - 0
    .max_flat_workgroup_size: 1024
    .name:           _ZN5aiter35fused_qk_rmsnorm_group_quant_kernelItDB8_Li256ELi16ELi1ELb0ELb1ELb1ELb0ELb1ELb1EEEvPT0_PvPT_S6_S6_PKS5_S8_S8_S8_S8_ffiiiiiiiiiiiii
    .private_segment_fixed_size: 0
    .sgpr_count:     36
    .sgpr_spill_count: 0
    .symbol:         _ZN5aiter35fused_qk_rmsnorm_group_quant_kernelItDB8_Li256ELi16ELi1ELb0ELb1ELb1ELb0ELb1ELb1EEEvPT0_PvPT_S6_S6_PKS5_S8_S8_S8_S8_ffiiiiiiiiiiiii.kd
    .uniform_work_group_size: 1
    .uses_dynamic_stack: false
    .vgpr_count:     35
    .vgpr_spill_count: 0
    .wavefront_size: 64
  - .agpr_count:     0
    .args:
      - .actual_access:  write_only
        .address_space:  global
        .offset:         0
        .size:           8
        .value_kind:     global_buffer
      - .actual_access:  write_only
        .address_space:  global
        .offset:         8
        .size:           8
        .value_kind:     global_buffer
      - .actual_access:  write_only
        .address_space:  global
        .offset:         16
        .size:           8
        .value_kind:     global_buffer
      - .actual_access:  write_only
        .address_space:  global
        .offset:         24
        .size:           8
        .value_kind:     global_buffer
      - .actual_access:  read_only
        .address_space:  global
        .offset:         32
        .size:           8
        .value_kind:     global_buffer
      - .actual_access:  read_only
        .address_space:  global
        .offset:         40
        .size:           8
        .value_kind:     global_buffer
      - .actual_access:  read_only
        .address_space:  global
        .offset:         48
        .size:           8
        .value_kind:     global_buffer
      - .actual_access:  read_only
        .address_space:  global
        .offset:         56
        .size:           8
        .value_kind:     global_buffer
      - .actual_access:  read_only
        .address_space:  global
        .offset:         64
        .size:           8
        .value_kind:     global_buffer
      - .actual_access:  read_only
        .address_space:  global
        .offset:         72
        .size:           8
        .value_kind:     global_buffer
      - .offset:         80
        .size:           4
        .value_kind:     by_value
      - .offset:         84
        .size:           4
        .value_kind:     by_value
      - .offset:         88
        .size:           4
        .value_kind:     by_value
      - .offset:         92
        .size:           4
        .value_kind:     by_value
      - .offset:         96
        .size:           4
        .value_kind:     by_value
      - .offset:         100
        .size:           4
        .value_kind:     by_value
      - .offset:         104
        .size:           4
        .value_kind:     by_value
      - .offset:         108
        .size:           4
        .value_kind:     by_value
      - .offset:         112
        .size:           4
        .value_kind:     by_value
      - .offset:         116
        .size:           4
        .value_kind:     by_value
      - .offset:         120
        .size:           4
        .value_kind:     by_value
      - .offset:         124
        .size:           4
        .value_kind:     by_value
      - .offset:         128
        .size:           4
        .value_kind:     by_value
      - .offset:         132
        .size:           4
        .value_kind:     by_value
      - .offset:         136
        .size:           4
        .value_kind:     by_value
      - .offset:         144
        .size:           4
        .value_kind:     hidden_block_count_x
      - .offset:         148
        .size:           4
        .value_kind:     hidden_block_count_y
      - .offset:         152
        .size:           4
        .value_kind:     hidden_block_count_z
      - .offset:         156
        .size:           2
        .value_kind:     hidden_group_size_x
      - .offset:         158
        .size:           2
        .value_kind:     hidden_group_size_y
      - .offset:         160
        .size:           2
        .value_kind:     hidden_group_size_z
      - .offset:         162
        .size:           2
        .value_kind:     hidden_remainder_x
      - .offset:         164
        .size:           2
        .value_kind:     hidden_remainder_y
      - .offset:         166
        .size:           2
        .value_kind:     hidden_remainder_z
      - .offset:         184
        .size:           8
        .value_kind:     hidden_global_offset_x
      - .offset:         192
        .size:           8
        .value_kind:     hidden_global_offset_y
      - .offset:         200
        .size:           8
        .value_kind:     hidden_global_offset_z
      - .offset:         208
        .size:           2
        .value_kind:     hidden_grid_dims
    .group_segment_fixed_size: 48
    .kernarg_segment_align: 8
    .kernarg_segment_size: 400
    .language:       OpenCL C
    .language_version:
      - 2
      - 0
    .max_flat_workgroup_size: 1024
    .name:           _ZN5aiter35fused_qk_rmsnorm_group_quant_kernelIDF16_DB8_Li256ELi16ELi1ELb0ELb1ELb0ELb0ELb1ELb1EEEvPT0_PvPT_S6_S6_PKS5_S8_S8_S8_S8_ffiiiiiiiiiiiii
    .private_segment_fixed_size: 0
    .sgpr_count:     36
    .sgpr_spill_count: 0
    .symbol:         _ZN5aiter35fused_qk_rmsnorm_group_quant_kernelIDF16_DB8_Li256ELi16ELi1ELb0ELb1ELb0ELb0ELb1ELb1EEEvPT0_PvPT_S6_S6_PKS5_S8_S8_S8_S8_ffiiiiiiiiiiiii.kd
    .uniform_work_group_size: 1
    .uses_dynamic_stack: false
    .vgpr_count:     38
    .vgpr_spill_count: 0
    .wavefront_size: 64
  - .agpr_count:     0
    .args:
      - .actual_access:  write_only
        .address_space:  global
        .offset:         0
        .size:           8
        .value_kind:     global_buffer
      - .actual_access:  write_only
        .address_space:  global
        .offset:         8
        .size:           8
        .value_kind:     global_buffer
      - .actual_access:  write_only
        .address_space:  global
        .offset:         16
        .size:           8
        .value_kind:     global_buffer
      - .actual_access:  write_only
        .address_space:  global
        .offset:         24
        .size:           8
        .value_kind:     global_buffer
      - .actual_access:  read_only
        .address_space:  global
        .offset:         32
        .size:           8
        .value_kind:     global_buffer
      - .actual_access:  read_only
        .address_space:  global
        .offset:         40
        .size:           8
        .value_kind:     global_buffer
      - .actual_access:  read_only
        .address_space:  global
        .offset:         48
        .size:           8
        .value_kind:     global_buffer
      - .actual_access:  read_only
        .address_space:  global
        .offset:         56
        .size:           8
        .value_kind:     global_buffer
      - .actual_access:  read_only
        .address_space:  global
        .offset:         64
        .size:           8
        .value_kind:     global_buffer
      - .actual_access:  read_only
        .address_space:  global
        .offset:         72
        .size:           8
        .value_kind:     global_buffer
      - .offset:         80
        .size:           4
        .value_kind:     by_value
      - .offset:         84
        .size:           4
        .value_kind:     by_value
      - .offset:         88
        .size:           4
        .value_kind:     by_value
      - .offset:         92
        .size:           4
        .value_kind:     by_value
      - .offset:         96
        .size:           4
        .value_kind:     by_value
      - .offset:         100
        .size:           4
        .value_kind:     by_value
      - .offset:         104
        .size:           4
        .value_kind:     by_value
      - .offset:         108
        .size:           4
        .value_kind:     by_value
      - .offset:         112
        .size:           4
        .value_kind:     by_value
      - .offset:         116
        .size:           4
        .value_kind:     by_value
      - .offset:         120
        .size:           4
        .value_kind:     by_value
      - .offset:         124
        .size:           4
        .value_kind:     by_value
      - .offset:         128
        .size:           4
        .value_kind:     by_value
      - .offset:         132
        .size:           4
        .value_kind:     by_value
      - .offset:         136
        .size:           4
        .value_kind:     by_value
      - .offset:         144
        .size:           4
        .value_kind:     hidden_block_count_x
      - .offset:         148
        .size:           4
        .value_kind:     hidden_block_count_y
      - .offset:         152
        .size:           4
        .value_kind:     hidden_block_count_z
      - .offset:         156
        .size:           2
        .value_kind:     hidden_group_size_x
      - .offset:         158
        .size:           2
        .value_kind:     hidden_group_size_y
      - .offset:         160
        .size:           2
        .value_kind:     hidden_group_size_z
      - .offset:         162
        .size:           2
        .value_kind:     hidden_remainder_x
      - .offset:         164
        .size:           2
        .value_kind:     hidden_remainder_y
      - .offset:         166
        .size:           2
        .value_kind:     hidden_remainder_z
      - .offset:         184
        .size:           8
        .value_kind:     hidden_global_offset_x
      - .offset:         192
        .size:           8
        .value_kind:     hidden_global_offset_y
      - .offset:         200
        .size:           8
        .value_kind:     hidden_global_offset_z
      - .offset:         208
        .size:           2
        .value_kind:     hidden_grid_dims
    .group_segment_fixed_size: 48
    .kernarg_segment_align: 8
    .kernarg_segment_size: 400
    .language:       OpenCL C
    .language_version:
      - 2
      - 0
    .max_flat_workgroup_size: 1024
    .name:           _ZN5aiter35fused_qk_rmsnorm_group_quant_kernelItDB8_Li256ELi16ELi1ELb0ELb1ELb0ELb0ELb1ELb1EEEvPT0_PvPT_S6_S6_PKS5_S8_S8_S8_S8_ffiiiiiiiiiiiii
    .private_segment_fixed_size: 0
    .sgpr_count:     36
    .sgpr_spill_count: 0
    .symbol:         _ZN5aiter35fused_qk_rmsnorm_group_quant_kernelItDB8_Li256ELi16ELi1ELb0ELb1ELb0ELb0ELb1ELb1EEEvPT0_PvPT_S6_S6_PKS5_S8_S8_S8_S8_ffiiiiiiiiiiiii.kd
    .uniform_work_group_size: 1
    .uses_dynamic_stack: false
    .vgpr_count:     38
    .vgpr_spill_count: 0
    .wavefront_size: 64
  - .agpr_count:     0
    .args:
      - .actual_access:  write_only
        .address_space:  global
        .offset:         0
        .size:           8
        .value_kind:     global_buffer
      - .actual_access:  write_only
        .address_space:  global
        .offset:         8
        .size:           8
        .value_kind:     global_buffer
      - .actual_access:  read_only
        .address_space:  global
        .offset:         16
        .size:           8
        .value_kind:     global_buffer
      - .actual_access:  write_only
        .address_space:  global
        .offset:         24
        .size:           8
        .value_kind:     global_buffer
      - .actual_access:  read_only
        .address_space:  global
        .offset:         32
        .size:           8
        .value_kind:     global_buffer
      - .actual_access:  read_only
        .address_space:  global
        .offset:         40
        .size:           8
        .value_kind:     global_buffer
      - .actual_access:  read_only
        .address_space:  global
        .offset:         48
        .size:           8
        .value_kind:     global_buffer
      - .actual_access:  read_only
        .address_space:  global
        .offset:         56
        .size:           8
        .value_kind:     global_buffer
      - .actual_access:  read_only
        .address_space:  global
        .offset:         64
        .size:           8
        .value_kind:     global_buffer
      - .actual_access:  read_only
        .address_space:  global
        .offset:         72
        .size:           8
        .value_kind:     global_buffer
      - .offset:         80
        .size:           4
        .value_kind:     by_value
      - .offset:         84
        .size:           4
        .value_kind:     by_value
      - .offset:         88
        .size:           4
        .value_kind:     by_value
      - .offset:         92
        .size:           4
        .value_kind:     by_value
      - .offset:         96
        .size:           4
        .value_kind:     by_value
      - .offset:         100
        .size:           4
        .value_kind:     by_value
      - .offset:         104
        .size:           4
        .value_kind:     by_value
      - .offset:         108
        .size:           4
        .value_kind:     by_value
      - .offset:         112
        .size:           4
        .value_kind:     by_value
      - .offset:         116
        .size:           4
        .value_kind:     by_value
      - .offset:         120
        .size:           4
        .value_kind:     by_value
      - .offset:         124
        .size:           4
        .value_kind:     by_value
      - .offset:         128
        .size:           4
        .value_kind:     by_value
      - .offset:         132
        .size:           4
        .value_kind:     by_value
      - .offset:         136
        .size:           4
        .value_kind:     by_value
      - .offset:         144
        .size:           4
        .value_kind:     hidden_block_count_x
      - .offset:         148
        .size:           4
        .value_kind:     hidden_block_count_y
      - .offset:         152
        .size:           4
        .value_kind:     hidden_block_count_z
      - .offset:         156
        .size:           2
        .value_kind:     hidden_group_size_x
      - .offset:         158
        .size:           2
        .value_kind:     hidden_group_size_y
      - .offset:         160
        .size:           2
        .value_kind:     hidden_group_size_z
      - .offset:         162
        .size:           2
        .value_kind:     hidden_remainder_x
      - .offset:         164
        .size:           2
        .value_kind:     hidden_remainder_y
      - .offset:         166
        .size:           2
        .value_kind:     hidden_remainder_z
      - .offset:         184
        .size:           8
        .value_kind:     hidden_global_offset_x
      - .offset:         192
        .size:           8
        .value_kind:     hidden_global_offset_y
      - .offset:         200
        .size:           8
        .value_kind:     hidden_global_offset_z
      - .offset:         208
        .size:           2
        .value_kind:     hidden_grid_dims
    .group_segment_fixed_size: 48
    .kernarg_segment_align: 8
    .kernarg_segment_size: 400
    .language:       OpenCL C
    .language_version:
      - 2
      - 0
    .max_flat_workgroup_size: 1024
    .name:           _ZN5aiter35fused_qk_rmsnorm_group_quant_kernelIDF16_DB8_Li256ELi16ELi1ELb0ELb0ELb1ELb0ELb1ELb1EEEvPT0_PvPT_S6_S6_PKS5_S8_S8_S8_S8_ffiiiiiiiiiiiii
    .private_segment_fixed_size: 0
    .sgpr_count:     36
    .sgpr_spill_count: 0
    .symbol:         _ZN5aiter35fused_qk_rmsnorm_group_quant_kernelIDF16_DB8_Li256ELi16ELi1ELb0ELb0ELb1ELb0ELb1ELb1EEEvPT0_PvPT_S6_S6_PKS5_S8_S8_S8_S8_ffiiiiiiiiiiiii.kd
    .uniform_work_group_size: 1
    .uses_dynamic_stack: false
    .vgpr_count:     35
    .vgpr_spill_count: 0
    .wavefront_size: 64
  - .agpr_count:     0
    .args:
      - .actual_access:  write_only
        .address_space:  global
        .offset:         0
        .size:           8
        .value_kind:     global_buffer
      - .actual_access:  write_only
        .address_space:  global
        .offset:         8
        .size:           8
        .value_kind:     global_buffer
      - .actual_access:  read_only
        .address_space:  global
        .offset:         16
        .size:           8
        .value_kind:     global_buffer
      - .actual_access:  write_only
        .address_space:  global
        .offset:         24
        .size:           8
        .value_kind:     global_buffer
      - .actual_access:  read_only
        .address_space:  global
        .offset:         32
        .size:           8
        .value_kind:     global_buffer
      - .actual_access:  read_only
        .address_space:  global
        .offset:         40
        .size:           8
        .value_kind:     global_buffer
      - .actual_access:  read_only
        .address_space:  global
        .offset:         48
        .size:           8
        .value_kind:     global_buffer
      - .actual_access:  read_only
        .address_space:  global
        .offset:         56
        .size:           8
        .value_kind:     global_buffer
      - .actual_access:  read_only
        .address_space:  global
        .offset:         64
        .size:           8
        .value_kind:     global_buffer
      - .actual_access:  read_only
        .address_space:  global
        .offset:         72
        .size:           8
        .value_kind:     global_buffer
      - .offset:         80
        .size:           4
        .value_kind:     by_value
      - .offset:         84
        .size:           4
        .value_kind:     by_value
      - .offset:         88
        .size:           4
        .value_kind:     by_value
      - .offset:         92
        .size:           4
        .value_kind:     by_value
      - .offset:         96
        .size:           4
        .value_kind:     by_value
      - .offset:         100
        .size:           4
        .value_kind:     by_value
      - .offset:         104
        .size:           4
        .value_kind:     by_value
      - .offset:         108
        .size:           4
        .value_kind:     by_value
      - .offset:         112
        .size:           4
        .value_kind:     by_value
      - .offset:         116
        .size:           4
        .value_kind:     by_value
      - .offset:         120
        .size:           4
        .value_kind:     by_value
      - .offset:         124
        .size:           4
        .value_kind:     by_value
      - .offset:         128
        .size:           4
        .value_kind:     by_value
      - .offset:         132
        .size:           4
        .value_kind:     by_value
      - .offset:         136
        .size:           4
        .value_kind:     by_value
      - .offset:         144
        .size:           4
        .value_kind:     hidden_block_count_x
      - .offset:         148
        .size:           4
        .value_kind:     hidden_block_count_y
      - .offset:         152
        .size:           4
        .value_kind:     hidden_block_count_z
      - .offset:         156
        .size:           2
        .value_kind:     hidden_group_size_x
      - .offset:         158
        .size:           2
        .value_kind:     hidden_group_size_y
      - .offset:         160
        .size:           2
        .value_kind:     hidden_group_size_z
      - .offset:         162
        .size:           2
        .value_kind:     hidden_remainder_x
      - .offset:         164
        .size:           2
        .value_kind:     hidden_remainder_y
      - .offset:         166
        .size:           2
        .value_kind:     hidden_remainder_z
      - .offset:         184
        .size:           8
        .value_kind:     hidden_global_offset_x
      - .offset:         192
        .size:           8
        .value_kind:     hidden_global_offset_y
      - .offset:         200
        .size:           8
        .value_kind:     hidden_global_offset_z
      - .offset:         208
        .size:           2
        .value_kind:     hidden_grid_dims
    .group_segment_fixed_size: 48
    .kernarg_segment_align: 8
    .kernarg_segment_size: 400
    .language:       OpenCL C
    .language_version:
      - 2
      - 0
    .max_flat_workgroup_size: 1024
    .name:           _ZN5aiter35fused_qk_rmsnorm_group_quant_kernelItDB8_Li256ELi16ELi1ELb0ELb0ELb1ELb0ELb1ELb1EEEvPT0_PvPT_S6_S6_PKS5_S8_S8_S8_S8_ffiiiiiiiiiiiii
    .private_segment_fixed_size: 0
    .sgpr_count:     36
    .sgpr_spill_count: 0
    .symbol:         _ZN5aiter35fused_qk_rmsnorm_group_quant_kernelItDB8_Li256ELi16ELi1ELb0ELb0ELb1ELb0ELb1ELb1EEEvPT0_PvPT_S6_S6_PKS5_S8_S8_S8_S8_ffiiiiiiiiiiiii.kd
    .uniform_work_group_size: 1
    .uses_dynamic_stack: false
    .vgpr_count:     35
    .vgpr_spill_count: 0
    .wavefront_size: 64
  - .agpr_count:     0
    .args:
      - .actual_access:  write_only
        .address_space:  global
        .offset:         0
        .size:           8
        .value_kind:     global_buffer
      - .actual_access:  write_only
        .address_space:  global
        .offset:         8
        .size:           8
        .value_kind:     global_buffer
      - .actual_access:  read_only
        .address_space:  global
        .offset:         16
        .size:           8
        .value_kind:     global_buffer
      - .actual_access:  write_only
        .address_space:  global
        .offset:         24
        .size:           8
        .value_kind:     global_buffer
      - .actual_access:  read_only
        .address_space:  global
        .offset:         32
        .size:           8
        .value_kind:     global_buffer
      - .actual_access:  read_only
        .address_space:  global
        .offset:         40
        .size:           8
        .value_kind:     global_buffer
      - .actual_access:  read_only
        .address_space:  global
        .offset:         48
        .size:           8
        .value_kind:     global_buffer
      - .actual_access:  read_only
        .address_space:  global
        .offset:         56
        .size:           8
        .value_kind:     global_buffer
      - .actual_access:  read_only
        .address_space:  global
        .offset:         64
        .size:           8
        .value_kind:     global_buffer
      - .actual_access:  read_only
        .address_space:  global
        .offset:         72
        .size:           8
        .value_kind:     global_buffer
      - .offset:         80
        .size:           4
        .value_kind:     by_value
      - .offset:         84
        .size:           4
        .value_kind:     by_value
      - .offset:         88
        .size:           4
        .value_kind:     by_value
      - .offset:         92
        .size:           4
        .value_kind:     by_value
      - .offset:         96
        .size:           4
        .value_kind:     by_value
      - .offset:         100
        .size:           4
        .value_kind:     by_value
      - .offset:         104
        .size:           4
        .value_kind:     by_value
      - .offset:         108
        .size:           4
        .value_kind:     by_value
      - .offset:         112
        .size:           4
        .value_kind:     by_value
      - .offset:         116
        .size:           4
        .value_kind:     by_value
      - .offset:         120
        .size:           4
        .value_kind:     by_value
      - .offset:         124
        .size:           4
        .value_kind:     by_value
      - .offset:         128
        .size:           4
        .value_kind:     by_value
      - .offset:         132
        .size:           4
        .value_kind:     by_value
      - .offset:         136
        .size:           4
        .value_kind:     by_value
      - .offset:         144
        .size:           4
        .value_kind:     hidden_block_count_x
      - .offset:         148
        .size:           4
        .value_kind:     hidden_block_count_y
      - .offset:         152
        .size:           4
        .value_kind:     hidden_block_count_z
      - .offset:         156
        .size:           2
        .value_kind:     hidden_group_size_x
      - .offset:         158
        .size:           2
        .value_kind:     hidden_group_size_y
      - .offset:         160
        .size:           2
        .value_kind:     hidden_group_size_z
      - .offset:         162
        .size:           2
        .value_kind:     hidden_remainder_x
      - .offset:         164
        .size:           2
        .value_kind:     hidden_remainder_y
      - .offset:         166
        .size:           2
        .value_kind:     hidden_remainder_z
      - .offset:         184
        .size:           8
        .value_kind:     hidden_global_offset_x
      - .offset:         192
        .size:           8
        .value_kind:     hidden_global_offset_y
      - .offset:         200
        .size:           8
        .value_kind:     hidden_global_offset_z
      - .offset:         208
        .size:           2
        .value_kind:     hidden_grid_dims
    .group_segment_fixed_size: 48
    .kernarg_segment_align: 8
    .kernarg_segment_size: 400
    .language:       OpenCL C
    .language_version:
      - 2
      - 0
    .max_flat_workgroup_size: 1024
    .name:           _ZN5aiter35fused_qk_rmsnorm_group_quant_kernelIDF16_DB8_Li256ELi16ELi1ELb0ELb0ELb0ELb0ELb1ELb1EEEvPT0_PvPT_S6_S6_PKS5_S8_S8_S8_S8_ffiiiiiiiiiiiii
    .private_segment_fixed_size: 0
    .sgpr_count:     36
    .sgpr_spill_count: 0
    .symbol:         _ZN5aiter35fused_qk_rmsnorm_group_quant_kernelIDF16_DB8_Li256ELi16ELi1ELb0ELb0ELb0ELb0ELb1ELb1EEEvPT0_PvPT_S6_S6_PKS5_S8_S8_S8_S8_ffiiiiiiiiiiiii.kd
    .uniform_work_group_size: 1
    .uses_dynamic_stack: false
    .vgpr_count:     38
    .vgpr_spill_count: 0
    .wavefront_size: 64
  - .agpr_count:     0
    .args:
      - .actual_access:  write_only
        .address_space:  global
        .offset:         0
        .size:           8
        .value_kind:     global_buffer
      - .actual_access:  write_only
        .address_space:  global
        .offset:         8
        .size:           8
        .value_kind:     global_buffer
      - .actual_access:  read_only
        .address_space:  global
        .offset:         16
        .size:           8
        .value_kind:     global_buffer
      - .actual_access:  write_only
        .address_space:  global
        .offset:         24
        .size:           8
        .value_kind:     global_buffer
      - .actual_access:  read_only
        .address_space:  global
        .offset:         32
        .size:           8
        .value_kind:     global_buffer
      - .actual_access:  read_only
        .address_space:  global
        .offset:         40
        .size:           8
        .value_kind:     global_buffer
      - .actual_access:  read_only
        .address_space:  global
        .offset:         48
        .size:           8
        .value_kind:     global_buffer
      - .actual_access:  read_only
        .address_space:  global
        .offset:         56
        .size:           8
        .value_kind:     global_buffer
      - .actual_access:  read_only
        .address_space:  global
        .offset:         64
        .size:           8
        .value_kind:     global_buffer
      - .actual_access:  read_only
        .address_space:  global
        .offset:         72
        .size:           8
        .value_kind:     global_buffer
      - .offset:         80
        .size:           4
        .value_kind:     by_value
      - .offset:         84
        .size:           4
        .value_kind:     by_value
      - .offset:         88
        .size:           4
        .value_kind:     by_value
      - .offset:         92
        .size:           4
        .value_kind:     by_value
      - .offset:         96
        .size:           4
        .value_kind:     by_value
      - .offset:         100
        .size:           4
        .value_kind:     by_value
      - .offset:         104
        .size:           4
        .value_kind:     by_value
      - .offset:         108
        .size:           4
        .value_kind:     by_value
      - .offset:         112
        .size:           4
        .value_kind:     by_value
      - .offset:         116
        .size:           4
        .value_kind:     by_value
      - .offset:         120
        .size:           4
        .value_kind:     by_value
      - .offset:         124
        .size:           4
        .value_kind:     by_value
      - .offset:         128
        .size:           4
        .value_kind:     by_value
      - .offset:         132
        .size:           4
        .value_kind:     by_value
      - .offset:         136
        .size:           4
        .value_kind:     by_value
      - .offset:         144
        .size:           4
        .value_kind:     hidden_block_count_x
      - .offset:         148
        .size:           4
        .value_kind:     hidden_block_count_y
      - .offset:         152
        .size:           4
        .value_kind:     hidden_block_count_z
      - .offset:         156
        .size:           2
        .value_kind:     hidden_group_size_x
      - .offset:         158
        .size:           2
        .value_kind:     hidden_group_size_y
      - .offset:         160
        .size:           2
        .value_kind:     hidden_group_size_z
      - .offset:         162
        .size:           2
        .value_kind:     hidden_remainder_x
      - .offset:         164
        .size:           2
        .value_kind:     hidden_remainder_y
      - .offset:         166
        .size:           2
        .value_kind:     hidden_remainder_z
      - .offset:         184
        .size:           8
        .value_kind:     hidden_global_offset_x
      - .offset:         192
        .size:           8
        .value_kind:     hidden_global_offset_y
      - .offset:         200
        .size:           8
        .value_kind:     hidden_global_offset_z
      - .offset:         208
        .size:           2
        .value_kind:     hidden_grid_dims
    .group_segment_fixed_size: 48
    .kernarg_segment_align: 8
    .kernarg_segment_size: 400
    .language:       OpenCL C
    .language_version:
      - 2
      - 0
    .max_flat_workgroup_size: 1024
    .name:           _ZN5aiter35fused_qk_rmsnorm_group_quant_kernelItDB8_Li256ELi16ELi1ELb0ELb0ELb0ELb0ELb1ELb1EEEvPT0_PvPT_S6_S6_PKS5_S8_S8_S8_S8_ffiiiiiiiiiiiii
    .private_segment_fixed_size: 0
    .sgpr_count:     36
    .sgpr_spill_count: 0
    .symbol:         _ZN5aiter35fused_qk_rmsnorm_group_quant_kernelItDB8_Li256ELi16ELi1ELb0ELb0ELb0ELb0ELb1ELb1EEEvPT0_PvPT_S6_S6_PKS5_S8_S8_S8_S8_ffiiiiiiiiiiiii.kd
    .uniform_work_group_size: 1
    .uses_dynamic_stack: false
    .vgpr_count:     38
    .vgpr_spill_count: 0
    .wavefront_size: 64
  - .agpr_count:     0
    .args:
      - .actual_access:  write_only
        .address_space:  global
        .offset:         0
        .size:           8
        .value_kind:     global_buffer
      - .actual_access:  write_only
        .address_space:  global
        .offset:         8
        .size:           8
        .value_kind:     global_buffer
      - .actual_access:  write_only
        .address_space:  global
        .offset:         16
        .size:           8
        .value_kind:     global_buffer
      - .actual_access:  write_only
        .address_space:  global
        .offset:         24
        .size:           8
        .value_kind:     global_buffer
      - .actual_access:  write_only
        .address_space:  global
        .offset:         32
        .size:           8
        .value_kind:     global_buffer
      - .actual_access:  read_only
        .address_space:  global
        .offset:         40
        .size:           8
        .value_kind:     global_buffer
      - .actual_access:  read_only
        .address_space:  global
        .offset:         48
        .size:           8
        .value_kind:     global_buffer
      - .actual_access:  read_only
        .address_space:  global
        .offset:         56
        .size:           8
        .value_kind:     global_buffer
      - .actual_access:  read_only
        .address_space:  global
        .offset:         64
        .size:           8
        .value_kind:     global_buffer
      - .actual_access:  read_only
        .address_space:  global
        .offset:         72
        .size:           8
        .value_kind:     global_buffer
      - .offset:         80
        .size:           4
        .value_kind:     by_value
      - .offset:         84
        .size:           4
        .value_kind:     by_value
      - .offset:         88
        .size:           4
        .value_kind:     by_value
      - .offset:         92
        .size:           4
        .value_kind:     by_value
      - .offset:         96
        .size:           4
        .value_kind:     by_value
      - .offset:         100
        .size:           4
        .value_kind:     by_value
      - .offset:         104
        .size:           4
        .value_kind:     by_value
      - .offset:         108
        .size:           4
        .value_kind:     by_value
      - .offset:         112
        .size:           4
        .value_kind:     by_value
      - .offset:         116
        .size:           4
        .value_kind:     by_value
      - .offset:         120
        .size:           4
        .value_kind:     by_value
      - .offset:         124
        .size:           4
        .value_kind:     by_value
      - .offset:         128
        .size:           4
        .value_kind:     by_value
      - .offset:         132
        .size:           4
        .value_kind:     by_value
      - .offset:         136
        .size:           4
        .value_kind:     by_value
      - .offset:         144
        .size:           4
        .value_kind:     hidden_block_count_x
      - .offset:         148
        .size:           4
        .value_kind:     hidden_block_count_y
      - .offset:         152
        .size:           4
        .value_kind:     hidden_block_count_z
      - .offset:         156
        .size:           2
        .value_kind:     hidden_group_size_x
      - .offset:         158
        .size:           2
        .value_kind:     hidden_group_size_y
      - .offset:         160
        .size:           2
        .value_kind:     hidden_group_size_z
      - .offset:         162
        .size:           2
        .value_kind:     hidden_remainder_x
      - .offset:         164
        .size:           2
        .value_kind:     hidden_remainder_y
      - .offset:         166
        .size:           2
        .value_kind:     hidden_remainder_z
      - .offset:         184
        .size:           8
        .value_kind:     hidden_global_offset_x
      - .offset:         192
        .size:           8
        .value_kind:     hidden_global_offset_y
      - .offset:         200
        .size:           8
        .value_kind:     hidden_global_offset_z
      - .offset:         208
        .size:           2
        .value_kind:     hidden_grid_dims
    .group_segment_fixed_size: 48
    .kernarg_segment_align: 8
    .kernarg_segment_size: 400
    .language:       OpenCL C
    .language_version:
      - 2
      - 0
    .max_flat_workgroup_size: 1024
    .name:           _ZN5aiter35fused_qk_rmsnorm_group_quant_kernelIDF16_DB8_Li256ELi24ELi1ELb1ELb1ELb1ELb0ELb1ELb1EEEvPT0_PvPT_S6_S6_PKS5_S8_S8_S8_S8_ffiiiiiiiiiiiii
    .private_segment_fixed_size: 1156
    .sgpr_count:     48
    .sgpr_spill_count: 0
    .symbol:         _ZN5aiter35fused_qk_rmsnorm_group_quant_kernelIDF16_DB8_Li256ELi24ELi1ELb1ELb1ELb1ELb0ELb1ELb1EEEvPT0_PvPT_S6_S6_PKS5_S8_S8_S8_S8_ffiiiiiiiiiiiii.kd
    .uniform_work_group_size: 1
    .uses_dynamic_stack: false
    .vgpr_count:     126
    .vgpr_spill_count: 1440
    .wavefront_size: 64
  - .agpr_count:     0
    .args:
      - .actual_access:  write_only
        .address_space:  global
        .offset:         0
        .size:           8
        .value_kind:     global_buffer
      - .actual_access:  write_only
        .address_space:  global
        .offset:         8
        .size:           8
        .value_kind:     global_buffer
      - .actual_access:  write_only
        .address_space:  global
        .offset:         16
        .size:           8
        .value_kind:     global_buffer
      - .actual_access:  write_only
        .address_space:  global
        .offset:         24
        .size:           8
        .value_kind:     global_buffer
      - .actual_access:  write_only
        .address_space:  global
        .offset:         32
        .size:           8
        .value_kind:     global_buffer
      - .actual_access:  read_only
        .address_space:  global
        .offset:         40
        .size:           8
        .value_kind:     global_buffer
      - .actual_access:  read_only
        .address_space:  global
        .offset:         48
        .size:           8
        .value_kind:     global_buffer
      - .actual_access:  read_only
        .address_space:  global
        .offset:         56
        .size:           8
        .value_kind:     global_buffer
      - .actual_access:  read_only
        .address_space:  global
        .offset:         64
        .size:           8
        .value_kind:     global_buffer
      - .actual_access:  read_only
        .address_space:  global
        .offset:         72
        .size:           8
        .value_kind:     global_buffer
      - .offset:         80
        .size:           4
        .value_kind:     by_value
      - .offset:         84
        .size:           4
        .value_kind:     by_value
      - .offset:         88
        .size:           4
        .value_kind:     by_value
      - .offset:         92
        .size:           4
        .value_kind:     by_value
      - .offset:         96
        .size:           4
        .value_kind:     by_value
      - .offset:         100
        .size:           4
        .value_kind:     by_value
      - .offset:         104
        .size:           4
        .value_kind:     by_value
      - .offset:         108
        .size:           4
        .value_kind:     by_value
      - .offset:         112
        .size:           4
        .value_kind:     by_value
      - .offset:         116
        .size:           4
        .value_kind:     by_value
      - .offset:         120
        .size:           4
        .value_kind:     by_value
      - .offset:         124
        .size:           4
        .value_kind:     by_value
      - .offset:         128
        .size:           4
        .value_kind:     by_value
      - .offset:         132
        .size:           4
        .value_kind:     by_value
      - .offset:         136
        .size:           4
        .value_kind:     by_value
      - .offset:         144
        .size:           4
        .value_kind:     hidden_block_count_x
      - .offset:         148
        .size:           4
        .value_kind:     hidden_block_count_y
      - .offset:         152
        .size:           4
        .value_kind:     hidden_block_count_z
      - .offset:         156
        .size:           2
        .value_kind:     hidden_group_size_x
      - .offset:         158
        .size:           2
        .value_kind:     hidden_group_size_y
      - .offset:         160
        .size:           2
        .value_kind:     hidden_group_size_z
      - .offset:         162
        .size:           2
        .value_kind:     hidden_remainder_x
      - .offset:         164
        .size:           2
        .value_kind:     hidden_remainder_y
      - .offset:         166
        .size:           2
        .value_kind:     hidden_remainder_z
      - .offset:         184
        .size:           8
        .value_kind:     hidden_global_offset_x
      - .offset:         192
        .size:           8
        .value_kind:     hidden_global_offset_y
      - .offset:         200
        .size:           8
        .value_kind:     hidden_global_offset_z
      - .offset:         208
        .size:           2
        .value_kind:     hidden_grid_dims
    .group_segment_fixed_size: 48
    .kernarg_segment_align: 8
    .kernarg_segment_size: 400
    .language:       OpenCL C
    .language_version:
      - 2
      - 0
    .max_flat_workgroup_size: 1024
    .name:           _ZN5aiter35fused_qk_rmsnorm_group_quant_kernelItDB8_Li256ELi24ELi1ELb1ELb1ELb1ELb0ELb1ELb1EEEvPT0_PvPT_S6_S6_PKS5_S8_S8_S8_S8_ffiiiiiiiiiiiii
    .private_segment_fixed_size: 900
    .sgpr_count:     48
    .sgpr_spill_count: 0
    .symbol:         _ZN5aiter35fused_qk_rmsnorm_group_quant_kernelItDB8_Li256ELi24ELi1ELb1ELb1ELb1ELb0ELb1ELb1EEEvPT0_PvPT_S6_S6_PKS5_S8_S8_S8_S8_ffiiiiiiiiiiiii.kd
    .uniform_work_group_size: 1
    .uses_dynamic_stack: false
    .vgpr_count:     128
    .vgpr_spill_count: 1088
    .wavefront_size: 64
  - .agpr_count:     0
    .args:
      - .actual_access:  write_only
        .address_space:  global
        .offset:         0
        .size:           8
        .value_kind:     global_buffer
      - .actual_access:  write_only
        .address_space:  global
        .offset:         8
        .size:           8
        .value_kind:     global_buffer
      - .actual_access:  write_only
        .address_space:  global
        .offset:         16
        .size:           8
        .value_kind:     global_buffer
      - .actual_access:  write_only
        .address_space:  global
        .offset:         24
        .size:           8
        .value_kind:     global_buffer
      - .actual_access:  write_only
        .address_space:  global
        .offset:         32
        .size:           8
        .value_kind:     global_buffer
      - .actual_access:  read_only
        .address_space:  global
        .offset:         40
        .size:           8
        .value_kind:     global_buffer
      - .actual_access:  read_only
        .address_space:  global
        .offset:         48
        .size:           8
        .value_kind:     global_buffer
      - .actual_access:  read_only
        .address_space:  global
        .offset:         56
        .size:           8
        .value_kind:     global_buffer
      - .actual_access:  read_only
        .address_space:  global
        .offset:         64
        .size:           8
        .value_kind:     global_buffer
      - .actual_access:  read_only
        .address_space:  global
        .offset:         72
        .size:           8
        .value_kind:     global_buffer
      - .offset:         80
        .size:           4
        .value_kind:     by_value
      - .offset:         84
        .size:           4
        .value_kind:     by_value
      - .offset:         88
        .size:           4
        .value_kind:     by_value
      - .offset:         92
        .size:           4
        .value_kind:     by_value
      - .offset:         96
        .size:           4
        .value_kind:     by_value
      - .offset:         100
        .size:           4
        .value_kind:     by_value
      - .offset:         104
        .size:           4
        .value_kind:     by_value
      - .offset:         108
        .size:           4
        .value_kind:     by_value
      - .offset:         112
        .size:           4
        .value_kind:     by_value
      - .offset:         116
        .size:           4
        .value_kind:     by_value
      - .offset:         120
        .size:           4
        .value_kind:     by_value
      - .offset:         124
        .size:           4
        .value_kind:     by_value
      - .offset:         128
        .size:           4
        .value_kind:     by_value
      - .offset:         132
        .size:           4
        .value_kind:     by_value
      - .offset:         136
        .size:           4
        .value_kind:     by_value
      - .offset:         144
        .size:           4
        .value_kind:     hidden_block_count_x
      - .offset:         148
        .size:           4
        .value_kind:     hidden_block_count_y
      - .offset:         152
        .size:           4
        .value_kind:     hidden_block_count_z
      - .offset:         156
        .size:           2
        .value_kind:     hidden_group_size_x
      - .offset:         158
        .size:           2
        .value_kind:     hidden_group_size_y
      - .offset:         160
        .size:           2
        .value_kind:     hidden_group_size_z
      - .offset:         162
        .size:           2
        .value_kind:     hidden_remainder_x
      - .offset:         164
        .size:           2
        .value_kind:     hidden_remainder_y
      - .offset:         166
        .size:           2
        .value_kind:     hidden_remainder_z
      - .offset:         184
        .size:           8
        .value_kind:     hidden_global_offset_x
      - .offset:         192
        .size:           8
        .value_kind:     hidden_global_offset_y
      - .offset:         200
        .size:           8
        .value_kind:     hidden_global_offset_z
      - .offset:         208
        .size:           2
        .value_kind:     hidden_grid_dims
    .group_segment_fixed_size: 48
    .kernarg_segment_align: 8
    .kernarg_segment_size: 400
    .language:       OpenCL C
    .language_version:
      - 2
      - 0
    .max_flat_workgroup_size: 1024
    .name:           _ZN5aiter35fused_qk_rmsnorm_group_quant_kernelIDF16_DB8_Li256ELi24ELi1ELb1ELb1ELb0ELb0ELb1ELb1EEEvPT0_PvPT_S6_S6_PKS5_S8_S8_S8_S8_ffiiiiiiiiiiiii
    .private_segment_fixed_size: 1156
    .sgpr_count:     48
    .sgpr_spill_count: 0
    .symbol:         _ZN5aiter35fused_qk_rmsnorm_group_quant_kernelIDF16_DB8_Li256ELi24ELi1ELb1ELb1ELb0ELb0ELb1ELb1EEEvPT0_PvPT_S6_S6_PKS5_S8_S8_S8_S8_ffiiiiiiiiiiiii.kd
    .uniform_work_group_size: 1
    .uses_dynamic_stack: false
    .vgpr_count:     126
    .vgpr_spill_count: 1440
    .wavefront_size: 64
  - .agpr_count:     0
    .args:
      - .actual_access:  write_only
        .address_space:  global
        .offset:         0
        .size:           8
        .value_kind:     global_buffer
      - .actual_access:  write_only
        .address_space:  global
        .offset:         8
        .size:           8
        .value_kind:     global_buffer
      - .actual_access:  write_only
        .address_space:  global
        .offset:         16
        .size:           8
        .value_kind:     global_buffer
      - .actual_access:  write_only
        .address_space:  global
        .offset:         24
        .size:           8
        .value_kind:     global_buffer
      - .actual_access:  write_only
        .address_space:  global
        .offset:         32
        .size:           8
        .value_kind:     global_buffer
      - .actual_access:  read_only
        .address_space:  global
        .offset:         40
        .size:           8
        .value_kind:     global_buffer
      - .actual_access:  read_only
        .address_space:  global
        .offset:         48
        .size:           8
        .value_kind:     global_buffer
      - .actual_access:  read_only
        .address_space:  global
        .offset:         56
        .size:           8
        .value_kind:     global_buffer
      - .actual_access:  read_only
        .address_space:  global
        .offset:         64
        .size:           8
        .value_kind:     global_buffer
      - .actual_access:  read_only
        .address_space:  global
        .offset:         72
        .size:           8
        .value_kind:     global_buffer
      - .offset:         80
        .size:           4
        .value_kind:     by_value
      - .offset:         84
        .size:           4
        .value_kind:     by_value
      - .offset:         88
        .size:           4
        .value_kind:     by_value
      - .offset:         92
        .size:           4
        .value_kind:     by_value
      - .offset:         96
        .size:           4
        .value_kind:     by_value
      - .offset:         100
        .size:           4
        .value_kind:     by_value
      - .offset:         104
        .size:           4
        .value_kind:     by_value
      - .offset:         108
        .size:           4
        .value_kind:     by_value
      - .offset:         112
        .size:           4
        .value_kind:     by_value
      - .offset:         116
        .size:           4
        .value_kind:     by_value
      - .offset:         120
        .size:           4
        .value_kind:     by_value
      - .offset:         124
        .size:           4
        .value_kind:     by_value
      - .offset:         128
        .size:           4
        .value_kind:     by_value
      - .offset:         132
        .size:           4
        .value_kind:     by_value
      - .offset:         136
        .size:           4
        .value_kind:     by_value
      - .offset:         144
        .size:           4
        .value_kind:     hidden_block_count_x
      - .offset:         148
        .size:           4
        .value_kind:     hidden_block_count_y
      - .offset:         152
        .size:           4
        .value_kind:     hidden_block_count_z
      - .offset:         156
        .size:           2
        .value_kind:     hidden_group_size_x
      - .offset:         158
        .size:           2
        .value_kind:     hidden_group_size_y
      - .offset:         160
        .size:           2
        .value_kind:     hidden_group_size_z
      - .offset:         162
        .size:           2
        .value_kind:     hidden_remainder_x
      - .offset:         164
        .size:           2
        .value_kind:     hidden_remainder_y
      - .offset:         166
        .size:           2
        .value_kind:     hidden_remainder_z
      - .offset:         184
        .size:           8
        .value_kind:     hidden_global_offset_x
      - .offset:         192
        .size:           8
        .value_kind:     hidden_global_offset_y
      - .offset:         200
        .size:           8
        .value_kind:     hidden_global_offset_z
      - .offset:         208
        .size:           2
        .value_kind:     hidden_grid_dims
    .group_segment_fixed_size: 48
    .kernarg_segment_align: 8
    .kernarg_segment_size: 400
    .language:       OpenCL C
    .language_version:
      - 2
      - 0
    .max_flat_workgroup_size: 1024
    .name:           _ZN5aiter35fused_qk_rmsnorm_group_quant_kernelItDB8_Li256ELi24ELi1ELb1ELb1ELb0ELb0ELb1ELb1EEEvPT0_PvPT_S6_S6_PKS5_S8_S8_S8_S8_ffiiiiiiiiiiiii
    .private_segment_fixed_size: 900
    .sgpr_count:     48
    .sgpr_spill_count: 0
    .symbol:         _ZN5aiter35fused_qk_rmsnorm_group_quant_kernelItDB8_Li256ELi24ELi1ELb1ELb1ELb0ELb0ELb1ELb1EEEvPT0_PvPT_S6_S6_PKS5_S8_S8_S8_S8_ffiiiiiiiiiiiii.kd
    .uniform_work_group_size: 1
    .uses_dynamic_stack: false
    .vgpr_count:     128
    .vgpr_spill_count: 1088
    .wavefront_size: 64
  - .agpr_count:     0
    .args:
      - .actual_access:  write_only
        .address_space:  global
        .offset:         0
        .size:           8
        .value_kind:     global_buffer
      - .actual_access:  write_only
        .address_space:  global
        .offset:         8
        .size:           8
        .value_kind:     global_buffer
      - .actual_access:  read_only
        .address_space:  global
        .offset:         16
        .size:           8
        .value_kind:     global_buffer
      - .actual_access:  write_only
        .address_space:  global
        .offset:         24
        .size:           8
        .value_kind:     global_buffer
      - .actual_access:  write_only
        .address_space:  global
        .offset:         32
        .size:           8
        .value_kind:     global_buffer
      - .actual_access:  read_only
        .address_space:  global
        .offset:         40
        .size:           8
        .value_kind:     global_buffer
      - .actual_access:  read_only
        .address_space:  global
        .offset:         48
        .size:           8
        .value_kind:     global_buffer
      - .actual_access:  read_only
        .address_space:  global
        .offset:         56
        .size:           8
        .value_kind:     global_buffer
      - .actual_access:  read_only
        .address_space:  global
        .offset:         64
        .size:           8
        .value_kind:     global_buffer
      - .actual_access:  read_only
        .address_space:  global
        .offset:         72
        .size:           8
        .value_kind:     global_buffer
      - .offset:         80
        .size:           4
        .value_kind:     by_value
      - .offset:         84
        .size:           4
        .value_kind:     by_value
      - .offset:         88
        .size:           4
        .value_kind:     by_value
      - .offset:         92
        .size:           4
        .value_kind:     by_value
      - .offset:         96
        .size:           4
        .value_kind:     by_value
      - .offset:         100
        .size:           4
        .value_kind:     by_value
      - .offset:         104
        .size:           4
        .value_kind:     by_value
      - .offset:         108
        .size:           4
        .value_kind:     by_value
      - .offset:         112
        .size:           4
        .value_kind:     by_value
      - .offset:         116
        .size:           4
        .value_kind:     by_value
      - .offset:         120
        .size:           4
        .value_kind:     by_value
      - .offset:         124
        .size:           4
        .value_kind:     by_value
      - .offset:         128
        .size:           4
        .value_kind:     by_value
      - .offset:         132
        .size:           4
        .value_kind:     by_value
      - .offset:         136
        .size:           4
        .value_kind:     by_value
      - .offset:         144
        .size:           4
        .value_kind:     hidden_block_count_x
      - .offset:         148
        .size:           4
        .value_kind:     hidden_block_count_y
      - .offset:         152
        .size:           4
        .value_kind:     hidden_block_count_z
      - .offset:         156
        .size:           2
        .value_kind:     hidden_group_size_x
      - .offset:         158
        .size:           2
        .value_kind:     hidden_group_size_y
      - .offset:         160
        .size:           2
        .value_kind:     hidden_group_size_z
      - .offset:         162
        .size:           2
        .value_kind:     hidden_remainder_x
      - .offset:         164
        .size:           2
        .value_kind:     hidden_remainder_y
      - .offset:         166
        .size:           2
        .value_kind:     hidden_remainder_z
      - .offset:         184
        .size:           8
        .value_kind:     hidden_global_offset_x
      - .offset:         192
        .size:           8
        .value_kind:     hidden_global_offset_y
      - .offset:         200
        .size:           8
        .value_kind:     hidden_global_offset_z
      - .offset:         208
        .size:           2
        .value_kind:     hidden_grid_dims
    .group_segment_fixed_size: 48
    .kernarg_segment_align: 8
    .kernarg_segment_size: 400
    .language:       OpenCL C
    .language_version:
      - 2
      - 0
    .max_flat_workgroup_size: 1024
    .name:           _ZN5aiter35fused_qk_rmsnorm_group_quant_kernelIDF16_DB8_Li256ELi24ELi1ELb1ELb0ELb1ELb0ELb1ELb1EEEvPT0_PvPT_S6_S6_PKS5_S8_S8_S8_S8_ffiiiiiiiiiiiii
    .private_segment_fixed_size: 1156
    .sgpr_count:     48
    .sgpr_spill_count: 0
    .symbol:         _ZN5aiter35fused_qk_rmsnorm_group_quant_kernelIDF16_DB8_Li256ELi24ELi1ELb1ELb0ELb1ELb0ELb1ELb1EEEvPT0_PvPT_S6_S6_PKS5_S8_S8_S8_S8_ffiiiiiiiiiiiii.kd
    .uniform_work_group_size: 1
    .uses_dynamic_stack: false
    .vgpr_count:     126
    .vgpr_spill_count: 1440
    .wavefront_size: 64
  - .agpr_count:     0
    .args:
      - .actual_access:  write_only
        .address_space:  global
        .offset:         0
        .size:           8
        .value_kind:     global_buffer
      - .actual_access:  write_only
        .address_space:  global
        .offset:         8
        .size:           8
        .value_kind:     global_buffer
      - .actual_access:  read_only
        .address_space:  global
        .offset:         16
        .size:           8
        .value_kind:     global_buffer
      - .actual_access:  write_only
        .address_space:  global
        .offset:         24
        .size:           8
        .value_kind:     global_buffer
      - .actual_access:  write_only
        .address_space:  global
        .offset:         32
        .size:           8
        .value_kind:     global_buffer
      - .actual_access:  read_only
        .address_space:  global
        .offset:         40
        .size:           8
        .value_kind:     global_buffer
      - .actual_access:  read_only
        .address_space:  global
        .offset:         48
        .size:           8
        .value_kind:     global_buffer
      - .actual_access:  read_only
        .address_space:  global
        .offset:         56
        .size:           8
        .value_kind:     global_buffer
      - .actual_access:  read_only
        .address_space:  global
        .offset:         64
        .size:           8
        .value_kind:     global_buffer
      - .actual_access:  read_only
        .address_space:  global
        .offset:         72
        .size:           8
        .value_kind:     global_buffer
      - .offset:         80
        .size:           4
        .value_kind:     by_value
      - .offset:         84
        .size:           4
        .value_kind:     by_value
      - .offset:         88
        .size:           4
        .value_kind:     by_value
      - .offset:         92
        .size:           4
        .value_kind:     by_value
      - .offset:         96
        .size:           4
        .value_kind:     by_value
      - .offset:         100
        .size:           4
        .value_kind:     by_value
      - .offset:         104
        .size:           4
        .value_kind:     by_value
      - .offset:         108
        .size:           4
        .value_kind:     by_value
      - .offset:         112
        .size:           4
        .value_kind:     by_value
      - .offset:         116
        .size:           4
        .value_kind:     by_value
      - .offset:         120
        .size:           4
        .value_kind:     by_value
      - .offset:         124
        .size:           4
        .value_kind:     by_value
      - .offset:         128
        .size:           4
        .value_kind:     by_value
      - .offset:         132
        .size:           4
        .value_kind:     by_value
      - .offset:         136
        .size:           4
        .value_kind:     by_value
      - .offset:         144
        .size:           4
        .value_kind:     hidden_block_count_x
      - .offset:         148
        .size:           4
        .value_kind:     hidden_block_count_y
      - .offset:         152
        .size:           4
        .value_kind:     hidden_block_count_z
      - .offset:         156
        .size:           2
        .value_kind:     hidden_group_size_x
      - .offset:         158
        .size:           2
        .value_kind:     hidden_group_size_y
      - .offset:         160
        .size:           2
        .value_kind:     hidden_group_size_z
      - .offset:         162
        .size:           2
        .value_kind:     hidden_remainder_x
      - .offset:         164
        .size:           2
        .value_kind:     hidden_remainder_y
      - .offset:         166
        .size:           2
        .value_kind:     hidden_remainder_z
      - .offset:         184
        .size:           8
        .value_kind:     hidden_global_offset_x
      - .offset:         192
        .size:           8
        .value_kind:     hidden_global_offset_y
      - .offset:         200
        .size:           8
        .value_kind:     hidden_global_offset_z
      - .offset:         208
        .size:           2
        .value_kind:     hidden_grid_dims
    .group_segment_fixed_size: 48
    .kernarg_segment_align: 8
    .kernarg_segment_size: 400
    .language:       OpenCL C
    .language_version:
      - 2
      - 0
    .max_flat_workgroup_size: 1024
    .name:           _ZN5aiter35fused_qk_rmsnorm_group_quant_kernelItDB8_Li256ELi24ELi1ELb1ELb0ELb1ELb0ELb1ELb1EEEvPT0_PvPT_S6_S6_PKS5_S8_S8_S8_S8_ffiiiiiiiiiiiii
    .private_segment_fixed_size: 900
    .sgpr_count:     48
    .sgpr_spill_count: 0
    .symbol:         _ZN5aiter35fused_qk_rmsnorm_group_quant_kernelItDB8_Li256ELi24ELi1ELb1ELb0ELb1ELb0ELb1ELb1EEEvPT0_PvPT_S6_S6_PKS5_S8_S8_S8_S8_ffiiiiiiiiiiiii.kd
    .uniform_work_group_size: 1
    .uses_dynamic_stack: false
    .vgpr_count:     128
    .vgpr_spill_count: 1088
    .wavefront_size: 64
  - .agpr_count:     0
    .args:
      - .actual_access:  write_only
        .address_space:  global
        .offset:         0
        .size:           8
        .value_kind:     global_buffer
      - .actual_access:  write_only
        .address_space:  global
        .offset:         8
        .size:           8
        .value_kind:     global_buffer
      - .actual_access:  read_only
        .address_space:  global
        .offset:         16
        .size:           8
        .value_kind:     global_buffer
      - .actual_access:  write_only
        .address_space:  global
        .offset:         24
        .size:           8
        .value_kind:     global_buffer
      - .actual_access:  write_only
        .address_space:  global
        .offset:         32
        .size:           8
        .value_kind:     global_buffer
      - .actual_access:  read_only
        .address_space:  global
        .offset:         40
        .size:           8
        .value_kind:     global_buffer
      - .actual_access:  read_only
        .address_space:  global
        .offset:         48
        .size:           8
        .value_kind:     global_buffer
      - .actual_access:  read_only
        .address_space:  global
        .offset:         56
        .size:           8
        .value_kind:     global_buffer
      - .actual_access:  read_only
        .address_space:  global
        .offset:         64
        .size:           8
        .value_kind:     global_buffer
      - .actual_access:  read_only
        .address_space:  global
        .offset:         72
        .size:           8
        .value_kind:     global_buffer
      - .offset:         80
        .size:           4
        .value_kind:     by_value
      - .offset:         84
        .size:           4
        .value_kind:     by_value
      - .offset:         88
        .size:           4
        .value_kind:     by_value
      - .offset:         92
        .size:           4
        .value_kind:     by_value
      - .offset:         96
        .size:           4
        .value_kind:     by_value
      - .offset:         100
        .size:           4
        .value_kind:     by_value
      - .offset:         104
        .size:           4
        .value_kind:     by_value
      - .offset:         108
        .size:           4
        .value_kind:     by_value
      - .offset:         112
        .size:           4
        .value_kind:     by_value
      - .offset:         116
        .size:           4
        .value_kind:     by_value
      - .offset:         120
        .size:           4
        .value_kind:     by_value
      - .offset:         124
        .size:           4
        .value_kind:     by_value
      - .offset:         128
        .size:           4
        .value_kind:     by_value
      - .offset:         132
        .size:           4
        .value_kind:     by_value
      - .offset:         136
        .size:           4
        .value_kind:     by_value
      - .offset:         144
        .size:           4
        .value_kind:     hidden_block_count_x
      - .offset:         148
        .size:           4
        .value_kind:     hidden_block_count_y
      - .offset:         152
        .size:           4
        .value_kind:     hidden_block_count_z
      - .offset:         156
        .size:           2
        .value_kind:     hidden_group_size_x
      - .offset:         158
        .size:           2
        .value_kind:     hidden_group_size_y
      - .offset:         160
        .size:           2
        .value_kind:     hidden_group_size_z
      - .offset:         162
        .size:           2
        .value_kind:     hidden_remainder_x
      - .offset:         164
        .size:           2
        .value_kind:     hidden_remainder_y
      - .offset:         166
        .size:           2
        .value_kind:     hidden_remainder_z
      - .offset:         184
        .size:           8
        .value_kind:     hidden_global_offset_x
      - .offset:         192
        .size:           8
        .value_kind:     hidden_global_offset_y
      - .offset:         200
        .size:           8
        .value_kind:     hidden_global_offset_z
      - .offset:         208
        .size:           2
        .value_kind:     hidden_grid_dims
    .group_segment_fixed_size: 48
    .kernarg_segment_align: 8
    .kernarg_segment_size: 400
    .language:       OpenCL C
    .language_version:
      - 2
      - 0
    .max_flat_workgroup_size: 1024
    .name:           _ZN5aiter35fused_qk_rmsnorm_group_quant_kernelIDF16_DB8_Li256ELi24ELi1ELb1ELb0ELb0ELb0ELb1ELb1EEEvPT0_PvPT_S6_S6_PKS5_S8_S8_S8_S8_ffiiiiiiiiiiiii
    .private_segment_fixed_size: 1156
    .sgpr_count:     48
    .sgpr_spill_count: 0
    .symbol:         _ZN5aiter35fused_qk_rmsnorm_group_quant_kernelIDF16_DB8_Li256ELi24ELi1ELb1ELb0ELb0ELb0ELb1ELb1EEEvPT0_PvPT_S6_S6_PKS5_S8_S8_S8_S8_ffiiiiiiiiiiiii.kd
    .uniform_work_group_size: 1
    .uses_dynamic_stack: false
    .vgpr_count:     126
    .vgpr_spill_count: 1440
    .wavefront_size: 64
  - .agpr_count:     0
    .args:
      - .actual_access:  write_only
        .address_space:  global
        .offset:         0
        .size:           8
        .value_kind:     global_buffer
      - .actual_access:  write_only
        .address_space:  global
        .offset:         8
        .size:           8
        .value_kind:     global_buffer
      - .actual_access:  read_only
        .address_space:  global
        .offset:         16
        .size:           8
        .value_kind:     global_buffer
      - .actual_access:  write_only
        .address_space:  global
        .offset:         24
        .size:           8
        .value_kind:     global_buffer
      - .actual_access:  write_only
        .address_space:  global
        .offset:         32
        .size:           8
        .value_kind:     global_buffer
      - .actual_access:  read_only
        .address_space:  global
        .offset:         40
        .size:           8
        .value_kind:     global_buffer
      - .actual_access:  read_only
        .address_space:  global
        .offset:         48
        .size:           8
        .value_kind:     global_buffer
      - .actual_access:  read_only
        .address_space:  global
        .offset:         56
        .size:           8
        .value_kind:     global_buffer
      - .actual_access:  read_only
        .address_space:  global
        .offset:         64
        .size:           8
        .value_kind:     global_buffer
      - .actual_access:  read_only
        .address_space:  global
        .offset:         72
        .size:           8
        .value_kind:     global_buffer
      - .offset:         80
        .size:           4
        .value_kind:     by_value
      - .offset:         84
        .size:           4
        .value_kind:     by_value
      - .offset:         88
        .size:           4
        .value_kind:     by_value
      - .offset:         92
        .size:           4
        .value_kind:     by_value
      - .offset:         96
        .size:           4
        .value_kind:     by_value
      - .offset:         100
        .size:           4
        .value_kind:     by_value
      - .offset:         104
        .size:           4
        .value_kind:     by_value
      - .offset:         108
        .size:           4
        .value_kind:     by_value
      - .offset:         112
        .size:           4
        .value_kind:     by_value
      - .offset:         116
        .size:           4
        .value_kind:     by_value
      - .offset:         120
        .size:           4
        .value_kind:     by_value
      - .offset:         124
        .size:           4
        .value_kind:     by_value
      - .offset:         128
        .size:           4
        .value_kind:     by_value
      - .offset:         132
        .size:           4
        .value_kind:     by_value
      - .offset:         136
        .size:           4
        .value_kind:     by_value
      - .offset:         144
        .size:           4
        .value_kind:     hidden_block_count_x
      - .offset:         148
        .size:           4
        .value_kind:     hidden_block_count_y
      - .offset:         152
        .size:           4
        .value_kind:     hidden_block_count_z
      - .offset:         156
        .size:           2
        .value_kind:     hidden_group_size_x
      - .offset:         158
        .size:           2
        .value_kind:     hidden_group_size_y
      - .offset:         160
        .size:           2
        .value_kind:     hidden_group_size_z
      - .offset:         162
        .size:           2
        .value_kind:     hidden_remainder_x
      - .offset:         164
        .size:           2
        .value_kind:     hidden_remainder_y
      - .offset:         166
        .size:           2
        .value_kind:     hidden_remainder_z
      - .offset:         184
        .size:           8
        .value_kind:     hidden_global_offset_x
      - .offset:         192
        .size:           8
        .value_kind:     hidden_global_offset_y
      - .offset:         200
        .size:           8
        .value_kind:     hidden_global_offset_z
      - .offset:         208
        .size:           2
        .value_kind:     hidden_grid_dims
    .group_segment_fixed_size: 48
    .kernarg_segment_align: 8
    .kernarg_segment_size: 400
    .language:       OpenCL C
    .language_version:
      - 2
      - 0
    .max_flat_workgroup_size: 1024
    .name:           _ZN5aiter35fused_qk_rmsnorm_group_quant_kernelItDB8_Li256ELi24ELi1ELb1ELb0ELb0ELb0ELb1ELb1EEEvPT0_PvPT_S6_S6_PKS5_S8_S8_S8_S8_ffiiiiiiiiiiiii
    .private_segment_fixed_size: 900
    .sgpr_count:     48
    .sgpr_spill_count: 0
    .symbol:         _ZN5aiter35fused_qk_rmsnorm_group_quant_kernelItDB8_Li256ELi24ELi1ELb1ELb0ELb0ELb0ELb1ELb1EEEvPT0_PvPT_S6_S6_PKS5_S8_S8_S8_S8_ffiiiiiiiiiiiii.kd
    .uniform_work_group_size: 1
    .uses_dynamic_stack: false
    .vgpr_count:     128
    .vgpr_spill_count: 1088
    .wavefront_size: 64
  - .agpr_count:     0
    .args:
      - .actual_access:  write_only
        .address_space:  global
        .offset:         0
        .size:           8
        .value_kind:     global_buffer
      - .actual_access:  write_only
        .address_space:  global
        .offset:         8
        .size:           8
        .value_kind:     global_buffer
      - .actual_access:  write_only
        .address_space:  global
        .offset:         16
        .size:           8
        .value_kind:     global_buffer
      - .actual_access:  write_only
        .address_space:  global
        .offset:         24
        .size:           8
        .value_kind:     global_buffer
      - .actual_access:  read_only
        .address_space:  global
        .offset:         32
        .size:           8
        .value_kind:     global_buffer
      - .actual_access:  read_only
        .address_space:  global
        .offset:         40
        .size:           8
        .value_kind:     global_buffer
      - .actual_access:  read_only
        .address_space:  global
        .offset:         48
        .size:           8
        .value_kind:     global_buffer
      - .actual_access:  read_only
        .address_space:  global
        .offset:         56
        .size:           8
        .value_kind:     global_buffer
      - .actual_access:  read_only
        .address_space:  global
        .offset:         64
        .size:           8
        .value_kind:     global_buffer
      - .actual_access:  read_only
        .address_space:  global
        .offset:         72
        .size:           8
        .value_kind:     global_buffer
      - .offset:         80
        .size:           4
        .value_kind:     by_value
      - .offset:         84
        .size:           4
        .value_kind:     by_value
      - .offset:         88
        .size:           4
        .value_kind:     by_value
      - .offset:         92
        .size:           4
        .value_kind:     by_value
      - .offset:         96
        .size:           4
        .value_kind:     by_value
      - .offset:         100
        .size:           4
        .value_kind:     by_value
      - .offset:         104
        .size:           4
        .value_kind:     by_value
      - .offset:         108
        .size:           4
        .value_kind:     by_value
      - .offset:         112
        .size:           4
        .value_kind:     by_value
      - .offset:         116
        .size:           4
        .value_kind:     by_value
      - .offset:         120
        .size:           4
        .value_kind:     by_value
      - .offset:         124
        .size:           4
        .value_kind:     by_value
      - .offset:         128
        .size:           4
        .value_kind:     by_value
      - .offset:         132
        .size:           4
        .value_kind:     by_value
      - .offset:         136
        .size:           4
        .value_kind:     by_value
      - .offset:         144
        .size:           4
        .value_kind:     hidden_block_count_x
      - .offset:         148
        .size:           4
        .value_kind:     hidden_block_count_y
      - .offset:         152
        .size:           4
        .value_kind:     hidden_block_count_z
      - .offset:         156
        .size:           2
        .value_kind:     hidden_group_size_x
      - .offset:         158
        .size:           2
        .value_kind:     hidden_group_size_y
      - .offset:         160
        .size:           2
        .value_kind:     hidden_group_size_z
      - .offset:         162
        .size:           2
        .value_kind:     hidden_remainder_x
      - .offset:         164
        .size:           2
        .value_kind:     hidden_remainder_y
      - .offset:         166
        .size:           2
        .value_kind:     hidden_remainder_z
      - .offset:         184
        .size:           8
        .value_kind:     hidden_global_offset_x
      - .offset:         192
        .size:           8
        .value_kind:     hidden_global_offset_y
      - .offset:         200
        .size:           8
        .value_kind:     hidden_global_offset_z
      - .offset:         208
        .size:           2
        .value_kind:     hidden_grid_dims
    .group_segment_fixed_size: 48
    .kernarg_segment_align: 8
    .kernarg_segment_size: 400
    .language:       OpenCL C
    .language_version:
      - 2
      - 0
    .max_flat_workgroup_size: 1024
    .name:           _ZN5aiter35fused_qk_rmsnorm_group_quant_kernelIDF16_DB8_Li256ELi24ELi1ELb0ELb1ELb1ELb0ELb1ELb1EEEvPT0_PvPT_S6_S6_PKS5_S8_S8_S8_S8_ffiiiiiiiiiiiii
    .private_segment_fixed_size: 0
    .sgpr_count:     36
    .sgpr_spill_count: 0
    .symbol:         _ZN5aiter35fused_qk_rmsnorm_group_quant_kernelIDF16_DB8_Li256ELi24ELi1ELb0ELb1ELb1ELb0ELb1ELb1EEEvPT0_PvPT_S6_S6_PKS5_S8_S8_S8_S8_ffiiiiiiiiiiiii.kd
    .uniform_work_group_size: 1
    .uses_dynamic_stack: false
    .vgpr_count:     51
    .vgpr_spill_count: 0
    .wavefront_size: 64
  - .agpr_count:     0
    .args:
      - .actual_access:  write_only
        .address_space:  global
        .offset:         0
        .size:           8
        .value_kind:     global_buffer
      - .actual_access:  write_only
        .address_space:  global
        .offset:         8
        .size:           8
        .value_kind:     global_buffer
      - .actual_access:  write_only
        .address_space:  global
        .offset:         16
        .size:           8
        .value_kind:     global_buffer
      - .actual_access:  write_only
        .address_space:  global
        .offset:         24
        .size:           8
        .value_kind:     global_buffer
      - .actual_access:  read_only
        .address_space:  global
        .offset:         32
        .size:           8
        .value_kind:     global_buffer
      - .actual_access:  read_only
        .address_space:  global
        .offset:         40
        .size:           8
        .value_kind:     global_buffer
      - .actual_access:  read_only
        .address_space:  global
        .offset:         48
        .size:           8
        .value_kind:     global_buffer
      - .actual_access:  read_only
        .address_space:  global
        .offset:         56
        .size:           8
        .value_kind:     global_buffer
      - .actual_access:  read_only
        .address_space:  global
        .offset:         64
        .size:           8
        .value_kind:     global_buffer
      - .actual_access:  read_only
        .address_space:  global
        .offset:         72
        .size:           8
        .value_kind:     global_buffer
      - .offset:         80
        .size:           4
        .value_kind:     by_value
      - .offset:         84
        .size:           4
        .value_kind:     by_value
      - .offset:         88
        .size:           4
        .value_kind:     by_value
      - .offset:         92
        .size:           4
        .value_kind:     by_value
      - .offset:         96
        .size:           4
        .value_kind:     by_value
      - .offset:         100
        .size:           4
        .value_kind:     by_value
      - .offset:         104
        .size:           4
        .value_kind:     by_value
      - .offset:         108
        .size:           4
        .value_kind:     by_value
      - .offset:         112
        .size:           4
        .value_kind:     by_value
      - .offset:         116
        .size:           4
        .value_kind:     by_value
      - .offset:         120
        .size:           4
        .value_kind:     by_value
      - .offset:         124
        .size:           4
        .value_kind:     by_value
      - .offset:         128
        .size:           4
        .value_kind:     by_value
      - .offset:         132
        .size:           4
        .value_kind:     by_value
      - .offset:         136
        .size:           4
        .value_kind:     by_value
      - .offset:         144
        .size:           4
        .value_kind:     hidden_block_count_x
      - .offset:         148
        .size:           4
        .value_kind:     hidden_block_count_y
      - .offset:         152
        .size:           4
        .value_kind:     hidden_block_count_z
      - .offset:         156
        .size:           2
        .value_kind:     hidden_group_size_x
      - .offset:         158
        .size:           2
        .value_kind:     hidden_group_size_y
      - .offset:         160
        .size:           2
        .value_kind:     hidden_group_size_z
      - .offset:         162
        .size:           2
        .value_kind:     hidden_remainder_x
      - .offset:         164
        .size:           2
        .value_kind:     hidden_remainder_y
      - .offset:         166
        .size:           2
        .value_kind:     hidden_remainder_z
      - .offset:         184
        .size:           8
        .value_kind:     hidden_global_offset_x
      - .offset:         192
        .size:           8
        .value_kind:     hidden_global_offset_y
      - .offset:         200
        .size:           8
        .value_kind:     hidden_global_offset_z
      - .offset:         208
        .size:           2
        .value_kind:     hidden_grid_dims
    .group_segment_fixed_size: 48
    .kernarg_segment_align: 8
    .kernarg_segment_size: 400
    .language:       OpenCL C
    .language_version:
      - 2
      - 0
    .max_flat_workgroup_size: 1024
    .name:           _ZN5aiter35fused_qk_rmsnorm_group_quant_kernelItDB8_Li256ELi24ELi1ELb0ELb1ELb1ELb0ELb1ELb1EEEvPT0_PvPT_S6_S6_PKS5_S8_S8_S8_S8_ffiiiiiiiiiiiii
    .private_segment_fixed_size: 0
    .sgpr_count:     36
    .sgpr_spill_count: 0
    .symbol:         _ZN5aiter35fused_qk_rmsnorm_group_quant_kernelItDB8_Li256ELi24ELi1ELb0ELb1ELb1ELb0ELb1ELb1EEEvPT0_PvPT_S6_S6_PKS5_S8_S8_S8_S8_ffiiiiiiiiiiiii.kd
    .uniform_work_group_size: 1
    .uses_dynamic_stack: false
    .vgpr_count:     51
    .vgpr_spill_count: 0
    .wavefront_size: 64
  - .agpr_count:     0
    .args:
      - .actual_access:  write_only
        .address_space:  global
        .offset:         0
        .size:           8
        .value_kind:     global_buffer
      - .actual_access:  write_only
        .address_space:  global
        .offset:         8
        .size:           8
        .value_kind:     global_buffer
      - .actual_access:  write_only
        .address_space:  global
        .offset:         16
        .size:           8
        .value_kind:     global_buffer
      - .actual_access:  write_only
        .address_space:  global
        .offset:         24
        .size:           8
        .value_kind:     global_buffer
      - .actual_access:  read_only
        .address_space:  global
        .offset:         32
        .size:           8
        .value_kind:     global_buffer
      - .actual_access:  read_only
        .address_space:  global
        .offset:         40
        .size:           8
        .value_kind:     global_buffer
      - .actual_access:  read_only
        .address_space:  global
        .offset:         48
        .size:           8
        .value_kind:     global_buffer
      - .actual_access:  read_only
        .address_space:  global
        .offset:         56
        .size:           8
        .value_kind:     global_buffer
      - .actual_access:  read_only
        .address_space:  global
        .offset:         64
        .size:           8
        .value_kind:     global_buffer
      - .actual_access:  read_only
        .address_space:  global
        .offset:         72
        .size:           8
        .value_kind:     global_buffer
      - .offset:         80
        .size:           4
        .value_kind:     by_value
      - .offset:         84
        .size:           4
        .value_kind:     by_value
      - .offset:         88
        .size:           4
        .value_kind:     by_value
      - .offset:         92
        .size:           4
        .value_kind:     by_value
      - .offset:         96
        .size:           4
        .value_kind:     by_value
      - .offset:         100
        .size:           4
        .value_kind:     by_value
      - .offset:         104
        .size:           4
        .value_kind:     by_value
      - .offset:         108
        .size:           4
        .value_kind:     by_value
      - .offset:         112
        .size:           4
        .value_kind:     by_value
      - .offset:         116
        .size:           4
        .value_kind:     by_value
      - .offset:         120
        .size:           4
        .value_kind:     by_value
      - .offset:         124
        .size:           4
        .value_kind:     by_value
      - .offset:         128
        .size:           4
        .value_kind:     by_value
      - .offset:         132
        .size:           4
        .value_kind:     by_value
      - .offset:         136
        .size:           4
        .value_kind:     by_value
      - .offset:         144
        .size:           4
        .value_kind:     hidden_block_count_x
      - .offset:         148
        .size:           4
        .value_kind:     hidden_block_count_y
      - .offset:         152
        .size:           4
        .value_kind:     hidden_block_count_z
      - .offset:         156
        .size:           2
        .value_kind:     hidden_group_size_x
      - .offset:         158
        .size:           2
        .value_kind:     hidden_group_size_y
      - .offset:         160
        .size:           2
        .value_kind:     hidden_group_size_z
      - .offset:         162
        .size:           2
        .value_kind:     hidden_remainder_x
      - .offset:         164
        .size:           2
        .value_kind:     hidden_remainder_y
      - .offset:         166
        .size:           2
        .value_kind:     hidden_remainder_z
      - .offset:         184
        .size:           8
        .value_kind:     hidden_global_offset_x
      - .offset:         192
        .size:           8
        .value_kind:     hidden_global_offset_y
      - .offset:         200
        .size:           8
        .value_kind:     hidden_global_offset_z
      - .offset:         208
        .size:           2
        .value_kind:     hidden_grid_dims
    .group_segment_fixed_size: 48
    .kernarg_segment_align: 8
    .kernarg_segment_size: 400
    .language:       OpenCL C
    .language_version:
      - 2
      - 0
    .max_flat_workgroup_size: 1024
    .name:           _ZN5aiter35fused_qk_rmsnorm_group_quant_kernelIDF16_DB8_Li256ELi24ELi1ELb0ELb1ELb0ELb0ELb1ELb1EEEvPT0_PvPT_S6_S6_PKS5_S8_S8_S8_S8_ffiiiiiiiiiiiii
    .private_segment_fixed_size: 0
    .sgpr_count:     36
    .sgpr_spill_count: 0
    .symbol:         _ZN5aiter35fused_qk_rmsnorm_group_quant_kernelIDF16_DB8_Li256ELi24ELi1ELb0ELb1ELb0ELb0ELb1ELb1EEEvPT0_PvPT_S6_S6_PKS5_S8_S8_S8_S8_ffiiiiiiiiiiiii.kd
    .uniform_work_group_size: 1
    .uses_dynamic_stack: false
    .vgpr_count:     51
    .vgpr_spill_count: 0
    .wavefront_size: 64
  - .agpr_count:     0
    .args:
      - .actual_access:  write_only
        .address_space:  global
        .offset:         0
        .size:           8
        .value_kind:     global_buffer
      - .actual_access:  write_only
        .address_space:  global
        .offset:         8
        .size:           8
        .value_kind:     global_buffer
      - .actual_access:  write_only
        .address_space:  global
        .offset:         16
        .size:           8
        .value_kind:     global_buffer
      - .actual_access:  write_only
        .address_space:  global
        .offset:         24
        .size:           8
        .value_kind:     global_buffer
      - .actual_access:  read_only
        .address_space:  global
        .offset:         32
        .size:           8
        .value_kind:     global_buffer
      - .actual_access:  read_only
        .address_space:  global
        .offset:         40
        .size:           8
        .value_kind:     global_buffer
      - .actual_access:  read_only
        .address_space:  global
        .offset:         48
        .size:           8
        .value_kind:     global_buffer
      - .actual_access:  read_only
        .address_space:  global
        .offset:         56
        .size:           8
        .value_kind:     global_buffer
      - .actual_access:  read_only
        .address_space:  global
        .offset:         64
        .size:           8
        .value_kind:     global_buffer
      - .actual_access:  read_only
        .address_space:  global
        .offset:         72
        .size:           8
        .value_kind:     global_buffer
      - .offset:         80
        .size:           4
        .value_kind:     by_value
      - .offset:         84
        .size:           4
        .value_kind:     by_value
      - .offset:         88
        .size:           4
        .value_kind:     by_value
      - .offset:         92
        .size:           4
        .value_kind:     by_value
      - .offset:         96
        .size:           4
        .value_kind:     by_value
      - .offset:         100
        .size:           4
        .value_kind:     by_value
      - .offset:         104
        .size:           4
        .value_kind:     by_value
      - .offset:         108
        .size:           4
        .value_kind:     by_value
      - .offset:         112
        .size:           4
        .value_kind:     by_value
      - .offset:         116
        .size:           4
        .value_kind:     by_value
      - .offset:         120
        .size:           4
        .value_kind:     by_value
      - .offset:         124
        .size:           4
        .value_kind:     by_value
      - .offset:         128
        .size:           4
        .value_kind:     by_value
      - .offset:         132
        .size:           4
        .value_kind:     by_value
      - .offset:         136
        .size:           4
        .value_kind:     by_value
      - .offset:         144
        .size:           4
        .value_kind:     hidden_block_count_x
      - .offset:         148
        .size:           4
        .value_kind:     hidden_block_count_y
      - .offset:         152
        .size:           4
        .value_kind:     hidden_block_count_z
      - .offset:         156
        .size:           2
        .value_kind:     hidden_group_size_x
      - .offset:         158
        .size:           2
        .value_kind:     hidden_group_size_y
      - .offset:         160
        .size:           2
        .value_kind:     hidden_group_size_z
      - .offset:         162
        .size:           2
        .value_kind:     hidden_remainder_x
      - .offset:         164
        .size:           2
        .value_kind:     hidden_remainder_y
      - .offset:         166
        .size:           2
        .value_kind:     hidden_remainder_z
      - .offset:         184
        .size:           8
        .value_kind:     hidden_global_offset_x
      - .offset:         192
        .size:           8
        .value_kind:     hidden_global_offset_y
      - .offset:         200
        .size:           8
        .value_kind:     hidden_global_offset_z
      - .offset:         208
        .size:           2
        .value_kind:     hidden_grid_dims
    .group_segment_fixed_size: 48
    .kernarg_segment_align: 8
    .kernarg_segment_size: 400
    .language:       OpenCL C
    .language_version:
      - 2
      - 0
    .max_flat_workgroup_size: 1024
    .name:           _ZN5aiter35fused_qk_rmsnorm_group_quant_kernelItDB8_Li256ELi24ELi1ELb0ELb1ELb0ELb0ELb1ELb1EEEvPT0_PvPT_S6_S6_PKS5_S8_S8_S8_S8_ffiiiiiiiiiiiii
    .private_segment_fixed_size: 0
    .sgpr_count:     36
    .sgpr_spill_count: 0
    .symbol:         _ZN5aiter35fused_qk_rmsnorm_group_quant_kernelItDB8_Li256ELi24ELi1ELb0ELb1ELb0ELb0ELb1ELb1EEEvPT0_PvPT_S6_S6_PKS5_S8_S8_S8_S8_ffiiiiiiiiiiiii.kd
    .uniform_work_group_size: 1
    .uses_dynamic_stack: false
    .vgpr_count:     51
    .vgpr_spill_count: 0
    .wavefront_size: 64
  - .agpr_count:     0
    .args:
      - .actual_access:  write_only
        .address_space:  global
        .offset:         0
        .size:           8
        .value_kind:     global_buffer
      - .actual_access:  write_only
        .address_space:  global
        .offset:         8
        .size:           8
        .value_kind:     global_buffer
      - .actual_access:  read_only
        .address_space:  global
        .offset:         16
        .size:           8
        .value_kind:     global_buffer
      - .actual_access:  write_only
        .address_space:  global
        .offset:         24
        .size:           8
        .value_kind:     global_buffer
      - .actual_access:  read_only
        .address_space:  global
        .offset:         32
        .size:           8
        .value_kind:     global_buffer
      - .actual_access:  read_only
        .address_space:  global
        .offset:         40
        .size:           8
        .value_kind:     global_buffer
      - .actual_access:  read_only
        .address_space:  global
        .offset:         48
        .size:           8
        .value_kind:     global_buffer
      - .actual_access:  read_only
        .address_space:  global
        .offset:         56
        .size:           8
        .value_kind:     global_buffer
      - .actual_access:  read_only
        .address_space:  global
        .offset:         64
        .size:           8
        .value_kind:     global_buffer
      - .actual_access:  read_only
        .address_space:  global
        .offset:         72
        .size:           8
        .value_kind:     global_buffer
      - .offset:         80
        .size:           4
        .value_kind:     by_value
      - .offset:         84
        .size:           4
        .value_kind:     by_value
      - .offset:         88
        .size:           4
        .value_kind:     by_value
      - .offset:         92
        .size:           4
        .value_kind:     by_value
      - .offset:         96
        .size:           4
        .value_kind:     by_value
      - .offset:         100
        .size:           4
        .value_kind:     by_value
      - .offset:         104
        .size:           4
        .value_kind:     by_value
      - .offset:         108
        .size:           4
        .value_kind:     by_value
      - .offset:         112
        .size:           4
        .value_kind:     by_value
      - .offset:         116
        .size:           4
        .value_kind:     by_value
      - .offset:         120
        .size:           4
        .value_kind:     by_value
      - .offset:         124
        .size:           4
        .value_kind:     by_value
      - .offset:         128
        .size:           4
        .value_kind:     by_value
      - .offset:         132
        .size:           4
        .value_kind:     by_value
      - .offset:         136
        .size:           4
        .value_kind:     by_value
      - .offset:         144
        .size:           4
        .value_kind:     hidden_block_count_x
      - .offset:         148
        .size:           4
        .value_kind:     hidden_block_count_y
      - .offset:         152
        .size:           4
        .value_kind:     hidden_block_count_z
      - .offset:         156
        .size:           2
        .value_kind:     hidden_group_size_x
      - .offset:         158
        .size:           2
        .value_kind:     hidden_group_size_y
      - .offset:         160
        .size:           2
        .value_kind:     hidden_group_size_z
      - .offset:         162
        .size:           2
        .value_kind:     hidden_remainder_x
      - .offset:         164
        .size:           2
        .value_kind:     hidden_remainder_y
      - .offset:         166
        .size:           2
        .value_kind:     hidden_remainder_z
      - .offset:         184
        .size:           8
        .value_kind:     hidden_global_offset_x
      - .offset:         192
        .size:           8
        .value_kind:     hidden_global_offset_y
      - .offset:         200
        .size:           8
        .value_kind:     hidden_global_offset_z
      - .offset:         208
        .size:           2
        .value_kind:     hidden_grid_dims
    .group_segment_fixed_size: 48
    .kernarg_segment_align: 8
    .kernarg_segment_size: 400
    .language:       OpenCL C
    .language_version:
      - 2
      - 0
    .max_flat_workgroup_size: 1024
    .name:           _ZN5aiter35fused_qk_rmsnorm_group_quant_kernelIDF16_DB8_Li256ELi24ELi1ELb0ELb0ELb1ELb0ELb1ELb1EEEvPT0_PvPT_S6_S6_PKS5_S8_S8_S8_S8_ffiiiiiiiiiiiii
    .private_segment_fixed_size: 0
    .sgpr_count:     34
    .sgpr_spill_count: 0
    .symbol:         _ZN5aiter35fused_qk_rmsnorm_group_quant_kernelIDF16_DB8_Li256ELi24ELi1ELb0ELb0ELb1ELb0ELb1ELb1EEEvPT0_PvPT_S6_S6_PKS5_S8_S8_S8_S8_ffiiiiiiiiiiiii.kd
    .uniform_work_group_size: 1
    .uses_dynamic_stack: false
    .vgpr_count:     51
    .vgpr_spill_count: 0
    .wavefront_size: 64
  - .agpr_count:     0
    .args:
      - .actual_access:  write_only
        .address_space:  global
        .offset:         0
        .size:           8
        .value_kind:     global_buffer
      - .actual_access:  write_only
        .address_space:  global
        .offset:         8
        .size:           8
        .value_kind:     global_buffer
      - .actual_access:  read_only
        .address_space:  global
        .offset:         16
        .size:           8
        .value_kind:     global_buffer
      - .actual_access:  write_only
        .address_space:  global
        .offset:         24
        .size:           8
        .value_kind:     global_buffer
      - .actual_access:  read_only
        .address_space:  global
        .offset:         32
        .size:           8
        .value_kind:     global_buffer
      - .actual_access:  read_only
        .address_space:  global
        .offset:         40
        .size:           8
        .value_kind:     global_buffer
      - .actual_access:  read_only
        .address_space:  global
        .offset:         48
        .size:           8
        .value_kind:     global_buffer
      - .actual_access:  read_only
        .address_space:  global
        .offset:         56
        .size:           8
        .value_kind:     global_buffer
      - .actual_access:  read_only
        .address_space:  global
        .offset:         64
        .size:           8
        .value_kind:     global_buffer
      - .actual_access:  read_only
        .address_space:  global
        .offset:         72
        .size:           8
        .value_kind:     global_buffer
      - .offset:         80
        .size:           4
        .value_kind:     by_value
      - .offset:         84
        .size:           4
        .value_kind:     by_value
      - .offset:         88
        .size:           4
        .value_kind:     by_value
      - .offset:         92
        .size:           4
        .value_kind:     by_value
      - .offset:         96
        .size:           4
        .value_kind:     by_value
      - .offset:         100
        .size:           4
        .value_kind:     by_value
      - .offset:         104
        .size:           4
        .value_kind:     by_value
      - .offset:         108
        .size:           4
        .value_kind:     by_value
      - .offset:         112
        .size:           4
        .value_kind:     by_value
      - .offset:         116
        .size:           4
        .value_kind:     by_value
      - .offset:         120
        .size:           4
        .value_kind:     by_value
      - .offset:         124
        .size:           4
        .value_kind:     by_value
      - .offset:         128
        .size:           4
        .value_kind:     by_value
      - .offset:         132
        .size:           4
        .value_kind:     by_value
      - .offset:         136
        .size:           4
        .value_kind:     by_value
      - .offset:         144
        .size:           4
        .value_kind:     hidden_block_count_x
      - .offset:         148
        .size:           4
        .value_kind:     hidden_block_count_y
      - .offset:         152
        .size:           4
        .value_kind:     hidden_block_count_z
      - .offset:         156
        .size:           2
        .value_kind:     hidden_group_size_x
      - .offset:         158
        .size:           2
        .value_kind:     hidden_group_size_y
      - .offset:         160
        .size:           2
        .value_kind:     hidden_group_size_z
      - .offset:         162
        .size:           2
        .value_kind:     hidden_remainder_x
      - .offset:         164
        .size:           2
        .value_kind:     hidden_remainder_y
      - .offset:         166
        .size:           2
        .value_kind:     hidden_remainder_z
      - .offset:         184
        .size:           8
        .value_kind:     hidden_global_offset_x
      - .offset:         192
        .size:           8
        .value_kind:     hidden_global_offset_y
      - .offset:         200
        .size:           8
        .value_kind:     hidden_global_offset_z
      - .offset:         208
        .size:           2
        .value_kind:     hidden_grid_dims
    .group_segment_fixed_size: 48
    .kernarg_segment_align: 8
    .kernarg_segment_size: 400
    .language:       OpenCL C
    .language_version:
      - 2
      - 0
    .max_flat_workgroup_size: 1024
    .name:           _ZN5aiter35fused_qk_rmsnorm_group_quant_kernelItDB8_Li256ELi24ELi1ELb0ELb0ELb1ELb0ELb1ELb1EEEvPT0_PvPT_S6_S6_PKS5_S8_S8_S8_S8_ffiiiiiiiiiiiii
    .private_segment_fixed_size: 0
    .sgpr_count:     34
    .sgpr_spill_count: 0
    .symbol:         _ZN5aiter35fused_qk_rmsnorm_group_quant_kernelItDB8_Li256ELi24ELi1ELb0ELb0ELb1ELb0ELb1ELb1EEEvPT0_PvPT_S6_S6_PKS5_S8_S8_S8_S8_ffiiiiiiiiiiiii.kd
    .uniform_work_group_size: 1
    .uses_dynamic_stack: false
    .vgpr_count:     51
    .vgpr_spill_count: 0
    .wavefront_size: 64
  - .agpr_count:     0
    .args:
      - .actual_access:  write_only
        .address_space:  global
        .offset:         0
        .size:           8
        .value_kind:     global_buffer
      - .actual_access:  write_only
        .address_space:  global
        .offset:         8
        .size:           8
        .value_kind:     global_buffer
      - .actual_access:  read_only
        .address_space:  global
        .offset:         16
        .size:           8
        .value_kind:     global_buffer
      - .actual_access:  write_only
        .address_space:  global
        .offset:         24
        .size:           8
        .value_kind:     global_buffer
      - .actual_access:  read_only
        .address_space:  global
        .offset:         32
        .size:           8
        .value_kind:     global_buffer
      - .actual_access:  read_only
        .address_space:  global
        .offset:         40
        .size:           8
        .value_kind:     global_buffer
      - .actual_access:  read_only
        .address_space:  global
        .offset:         48
        .size:           8
        .value_kind:     global_buffer
      - .actual_access:  read_only
        .address_space:  global
        .offset:         56
        .size:           8
        .value_kind:     global_buffer
      - .actual_access:  read_only
        .address_space:  global
        .offset:         64
        .size:           8
        .value_kind:     global_buffer
      - .actual_access:  read_only
        .address_space:  global
        .offset:         72
        .size:           8
        .value_kind:     global_buffer
      - .offset:         80
        .size:           4
        .value_kind:     by_value
      - .offset:         84
        .size:           4
        .value_kind:     by_value
      - .offset:         88
        .size:           4
        .value_kind:     by_value
      - .offset:         92
        .size:           4
        .value_kind:     by_value
      - .offset:         96
        .size:           4
        .value_kind:     by_value
      - .offset:         100
        .size:           4
        .value_kind:     by_value
      - .offset:         104
        .size:           4
        .value_kind:     by_value
      - .offset:         108
        .size:           4
        .value_kind:     by_value
      - .offset:         112
        .size:           4
        .value_kind:     by_value
      - .offset:         116
        .size:           4
        .value_kind:     by_value
      - .offset:         120
        .size:           4
        .value_kind:     by_value
      - .offset:         124
        .size:           4
        .value_kind:     by_value
      - .offset:         128
        .size:           4
        .value_kind:     by_value
      - .offset:         132
        .size:           4
        .value_kind:     by_value
      - .offset:         136
        .size:           4
        .value_kind:     by_value
      - .offset:         144
        .size:           4
        .value_kind:     hidden_block_count_x
      - .offset:         148
        .size:           4
        .value_kind:     hidden_block_count_y
      - .offset:         152
        .size:           4
        .value_kind:     hidden_block_count_z
      - .offset:         156
        .size:           2
        .value_kind:     hidden_group_size_x
      - .offset:         158
        .size:           2
        .value_kind:     hidden_group_size_y
      - .offset:         160
        .size:           2
        .value_kind:     hidden_group_size_z
      - .offset:         162
        .size:           2
        .value_kind:     hidden_remainder_x
      - .offset:         164
        .size:           2
        .value_kind:     hidden_remainder_y
      - .offset:         166
        .size:           2
        .value_kind:     hidden_remainder_z
      - .offset:         184
        .size:           8
        .value_kind:     hidden_global_offset_x
      - .offset:         192
        .size:           8
        .value_kind:     hidden_global_offset_y
      - .offset:         200
        .size:           8
        .value_kind:     hidden_global_offset_z
      - .offset:         208
        .size:           2
        .value_kind:     hidden_grid_dims
    .group_segment_fixed_size: 48
    .kernarg_segment_align: 8
    .kernarg_segment_size: 400
    .language:       OpenCL C
    .language_version:
      - 2
      - 0
    .max_flat_workgroup_size: 1024
    .name:           _ZN5aiter35fused_qk_rmsnorm_group_quant_kernelIDF16_DB8_Li256ELi24ELi1ELb0ELb0ELb0ELb0ELb1ELb1EEEvPT0_PvPT_S6_S6_PKS5_S8_S8_S8_S8_ffiiiiiiiiiiiii
    .private_segment_fixed_size: 0
    .sgpr_count:     34
    .sgpr_spill_count: 0
    .symbol:         _ZN5aiter35fused_qk_rmsnorm_group_quant_kernelIDF16_DB8_Li256ELi24ELi1ELb0ELb0ELb0ELb0ELb1ELb1EEEvPT0_PvPT_S6_S6_PKS5_S8_S8_S8_S8_ffiiiiiiiiiiiii.kd
    .uniform_work_group_size: 1
    .uses_dynamic_stack: false
    .vgpr_count:     51
    .vgpr_spill_count: 0
    .wavefront_size: 64
  - .agpr_count:     0
    .args:
      - .actual_access:  write_only
        .address_space:  global
        .offset:         0
        .size:           8
        .value_kind:     global_buffer
      - .actual_access:  write_only
        .address_space:  global
        .offset:         8
        .size:           8
        .value_kind:     global_buffer
      - .actual_access:  read_only
        .address_space:  global
        .offset:         16
        .size:           8
        .value_kind:     global_buffer
      - .actual_access:  write_only
        .address_space:  global
        .offset:         24
        .size:           8
        .value_kind:     global_buffer
      - .actual_access:  read_only
        .address_space:  global
        .offset:         32
        .size:           8
        .value_kind:     global_buffer
      - .actual_access:  read_only
        .address_space:  global
        .offset:         40
        .size:           8
        .value_kind:     global_buffer
      - .actual_access:  read_only
        .address_space:  global
        .offset:         48
        .size:           8
        .value_kind:     global_buffer
      - .actual_access:  read_only
        .address_space:  global
        .offset:         56
        .size:           8
        .value_kind:     global_buffer
      - .actual_access:  read_only
        .address_space:  global
        .offset:         64
        .size:           8
        .value_kind:     global_buffer
      - .actual_access:  read_only
        .address_space:  global
        .offset:         72
        .size:           8
        .value_kind:     global_buffer
      - .offset:         80
        .size:           4
        .value_kind:     by_value
      - .offset:         84
        .size:           4
        .value_kind:     by_value
      - .offset:         88
        .size:           4
        .value_kind:     by_value
      - .offset:         92
        .size:           4
        .value_kind:     by_value
      - .offset:         96
        .size:           4
        .value_kind:     by_value
      - .offset:         100
        .size:           4
        .value_kind:     by_value
      - .offset:         104
        .size:           4
        .value_kind:     by_value
      - .offset:         108
        .size:           4
        .value_kind:     by_value
      - .offset:         112
        .size:           4
        .value_kind:     by_value
      - .offset:         116
        .size:           4
        .value_kind:     by_value
      - .offset:         120
        .size:           4
        .value_kind:     by_value
      - .offset:         124
        .size:           4
        .value_kind:     by_value
      - .offset:         128
        .size:           4
        .value_kind:     by_value
      - .offset:         132
        .size:           4
        .value_kind:     by_value
      - .offset:         136
        .size:           4
        .value_kind:     by_value
      - .offset:         144
        .size:           4
        .value_kind:     hidden_block_count_x
      - .offset:         148
        .size:           4
        .value_kind:     hidden_block_count_y
      - .offset:         152
        .size:           4
        .value_kind:     hidden_block_count_z
      - .offset:         156
        .size:           2
        .value_kind:     hidden_group_size_x
      - .offset:         158
        .size:           2
        .value_kind:     hidden_group_size_y
      - .offset:         160
        .size:           2
        .value_kind:     hidden_group_size_z
      - .offset:         162
        .size:           2
        .value_kind:     hidden_remainder_x
      - .offset:         164
        .size:           2
        .value_kind:     hidden_remainder_y
      - .offset:         166
        .size:           2
        .value_kind:     hidden_remainder_z
      - .offset:         184
        .size:           8
        .value_kind:     hidden_global_offset_x
      - .offset:         192
        .size:           8
        .value_kind:     hidden_global_offset_y
      - .offset:         200
        .size:           8
        .value_kind:     hidden_global_offset_z
      - .offset:         208
        .size:           2
        .value_kind:     hidden_grid_dims
    .group_segment_fixed_size: 48
    .kernarg_segment_align: 8
    .kernarg_segment_size: 400
    .language:       OpenCL C
    .language_version:
      - 2
      - 0
    .max_flat_workgroup_size: 1024
    .name:           _ZN5aiter35fused_qk_rmsnorm_group_quant_kernelItDB8_Li256ELi24ELi1ELb0ELb0ELb0ELb0ELb1ELb1EEEvPT0_PvPT_S6_S6_PKS5_S8_S8_S8_S8_ffiiiiiiiiiiiii
    .private_segment_fixed_size: 0
    .sgpr_count:     34
    .sgpr_spill_count: 0
    .symbol:         _ZN5aiter35fused_qk_rmsnorm_group_quant_kernelItDB8_Li256ELi24ELi1ELb0ELb0ELb0ELb0ELb1ELb1EEEvPT0_PvPT_S6_S6_PKS5_S8_S8_S8_S8_ffiiiiiiiiiiiii.kd
    .uniform_work_group_size: 1
    .uses_dynamic_stack: false
    .vgpr_count:     51
    .vgpr_spill_count: 0
    .wavefront_size: 64
  - .agpr_count:     0
    .args:
      - .actual_access:  write_only
        .address_space:  global
        .offset:         0
        .size:           8
        .value_kind:     global_buffer
      - .actual_access:  write_only
        .address_space:  global
        .offset:         8
        .size:           8
        .value_kind:     global_buffer
      - .actual_access:  write_only
        .address_space:  global
        .offset:         16
        .size:           8
        .value_kind:     global_buffer
      - .actual_access:  write_only
        .address_space:  global
        .offset:         24
        .size:           8
        .value_kind:     global_buffer
      - .actual_access:  write_only
        .address_space:  global
        .offset:         32
        .size:           8
        .value_kind:     global_buffer
      - .actual_access:  read_only
        .address_space:  global
        .offset:         40
        .size:           8
        .value_kind:     global_buffer
      - .actual_access:  read_only
        .address_space:  global
        .offset:         48
        .size:           8
        .value_kind:     global_buffer
      - .actual_access:  read_only
        .address_space:  global
        .offset:         56
        .size:           8
        .value_kind:     global_buffer
      - .actual_access:  read_only
        .address_space:  global
        .offset:         64
        .size:           8
        .value_kind:     global_buffer
      - .actual_access:  read_only
        .address_space:  global
        .offset:         72
        .size:           8
        .value_kind:     global_buffer
      - .offset:         80
        .size:           4
        .value_kind:     by_value
      - .offset:         84
        .size:           4
        .value_kind:     by_value
      - .offset:         88
        .size:           4
        .value_kind:     by_value
      - .offset:         92
        .size:           4
        .value_kind:     by_value
      - .offset:         96
        .size:           4
        .value_kind:     by_value
      - .offset:         100
        .size:           4
        .value_kind:     by_value
      - .offset:         104
        .size:           4
        .value_kind:     by_value
      - .offset:         108
        .size:           4
        .value_kind:     by_value
      - .offset:         112
        .size:           4
        .value_kind:     by_value
      - .offset:         116
        .size:           4
        .value_kind:     by_value
      - .offset:         120
        .size:           4
        .value_kind:     by_value
      - .offset:         124
        .size:           4
        .value_kind:     by_value
      - .offset:         128
        .size:           4
        .value_kind:     by_value
      - .offset:         132
        .size:           4
        .value_kind:     by_value
      - .offset:         136
        .size:           4
        .value_kind:     by_value
      - .offset:         144
        .size:           4
        .value_kind:     hidden_block_count_x
      - .offset:         148
        .size:           4
        .value_kind:     hidden_block_count_y
      - .offset:         152
        .size:           4
        .value_kind:     hidden_block_count_z
      - .offset:         156
        .size:           2
        .value_kind:     hidden_group_size_x
      - .offset:         158
        .size:           2
        .value_kind:     hidden_group_size_y
      - .offset:         160
        .size:           2
        .value_kind:     hidden_group_size_z
      - .offset:         162
        .size:           2
        .value_kind:     hidden_remainder_x
      - .offset:         164
        .size:           2
        .value_kind:     hidden_remainder_y
      - .offset:         166
        .size:           2
        .value_kind:     hidden_remainder_z
      - .offset:         184
        .size:           8
        .value_kind:     hidden_global_offset_x
      - .offset:         192
        .size:           8
        .value_kind:     hidden_global_offset_y
      - .offset:         200
        .size:           8
        .value_kind:     hidden_global_offset_z
      - .offset:         208
        .size:           2
        .value_kind:     hidden_grid_dims
    .group_segment_fixed_size: 48
    .kernarg_segment_align: 8
    .kernarg_segment_size: 400
    .language:       OpenCL C
    .language_version:
      - 2
      - 0
    .max_flat_workgroup_size: 1024
    .name:           _ZN5aiter35fused_qk_rmsnorm_group_quant_kernelIDF16_DB8_Li256ELi32ELi1ELb1ELb1ELb1ELb0ELb1ELb1EEEvPT0_PvPT_S6_S6_PKS5_S8_S8_S8_S8_ffiiiiiiiiiiiii
    .private_segment_fixed_size: 1672
    .sgpr_count:     48
    .sgpr_spill_count: 0
    .symbol:         _ZN5aiter35fused_qk_rmsnorm_group_quant_kernelIDF16_DB8_Li256ELi32ELi1ELb1ELb1ELb1ELb0ELb1ELb1EEEvPT0_PvPT_S6_S6_PKS5_S8_S8_S8_S8_ffiiiiiiiiiiiii.kd
    .uniform_work_group_size: 1
    .uses_dynamic_stack: false
    .vgpr_count:     128
    .vgpr_spill_count: 2049
    .wavefront_size: 64
  - .agpr_count:     0
    .args:
      - .actual_access:  write_only
        .address_space:  global
        .offset:         0
        .size:           8
        .value_kind:     global_buffer
      - .actual_access:  write_only
        .address_space:  global
        .offset:         8
        .size:           8
        .value_kind:     global_buffer
      - .actual_access:  write_only
        .address_space:  global
        .offset:         16
        .size:           8
        .value_kind:     global_buffer
      - .actual_access:  write_only
        .address_space:  global
        .offset:         24
        .size:           8
        .value_kind:     global_buffer
      - .actual_access:  write_only
        .address_space:  global
        .offset:         32
        .size:           8
        .value_kind:     global_buffer
      - .actual_access:  read_only
        .address_space:  global
        .offset:         40
        .size:           8
        .value_kind:     global_buffer
      - .actual_access:  read_only
        .address_space:  global
        .offset:         48
        .size:           8
        .value_kind:     global_buffer
      - .actual_access:  read_only
        .address_space:  global
        .offset:         56
        .size:           8
        .value_kind:     global_buffer
      - .actual_access:  read_only
        .address_space:  global
        .offset:         64
        .size:           8
        .value_kind:     global_buffer
      - .actual_access:  read_only
        .address_space:  global
        .offset:         72
        .size:           8
        .value_kind:     global_buffer
      - .offset:         80
        .size:           4
        .value_kind:     by_value
      - .offset:         84
        .size:           4
        .value_kind:     by_value
      - .offset:         88
        .size:           4
        .value_kind:     by_value
      - .offset:         92
        .size:           4
        .value_kind:     by_value
      - .offset:         96
        .size:           4
        .value_kind:     by_value
      - .offset:         100
        .size:           4
        .value_kind:     by_value
      - .offset:         104
        .size:           4
        .value_kind:     by_value
      - .offset:         108
        .size:           4
        .value_kind:     by_value
      - .offset:         112
        .size:           4
        .value_kind:     by_value
      - .offset:         116
        .size:           4
        .value_kind:     by_value
      - .offset:         120
        .size:           4
        .value_kind:     by_value
      - .offset:         124
        .size:           4
        .value_kind:     by_value
      - .offset:         128
        .size:           4
        .value_kind:     by_value
      - .offset:         132
        .size:           4
        .value_kind:     by_value
      - .offset:         136
        .size:           4
        .value_kind:     by_value
      - .offset:         144
        .size:           4
        .value_kind:     hidden_block_count_x
      - .offset:         148
        .size:           4
        .value_kind:     hidden_block_count_y
      - .offset:         152
        .size:           4
        .value_kind:     hidden_block_count_z
      - .offset:         156
        .size:           2
        .value_kind:     hidden_group_size_x
      - .offset:         158
        .size:           2
        .value_kind:     hidden_group_size_y
      - .offset:         160
        .size:           2
        .value_kind:     hidden_group_size_z
      - .offset:         162
        .size:           2
        .value_kind:     hidden_remainder_x
      - .offset:         164
        .size:           2
        .value_kind:     hidden_remainder_y
      - .offset:         166
        .size:           2
        .value_kind:     hidden_remainder_z
      - .offset:         184
        .size:           8
        .value_kind:     hidden_global_offset_x
      - .offset:         192
        .size:           8
        .value_kind:     hidden_global_offset_y
      - .offset:         200
        .size:           8
        .value_kind:     hidden_global_offset_z
      - .offset:         208
        .size:           2
        .value_kind:     hidden_grid_dims
    .group_segment_fixed_size: 48
    .kernarg_segment_align: 8
    .kernarg_segment_size: 400
    .language:       OpenCL C
    .language_version:
      - 2
      - 0
    .max_flat_workgroup_size: 1024
    .name:           _ZN5aiter35fused_qk_rmsnorm_group_quant_kernelItDB8_Li256ELi32ELi1ELb1ELb1ELb1ELb0ELb1ELb1EEEvPT0_PvPT_S6_S6_PKS5_S8_S8_S8_S8_ffiiiiiiiiiiiii
    .private_segment_fixed_size: 1796
    .sgpr_count:     48
    .sgpr_spill_count: 0
    .symbol:         _ZN5aiter35fused_qk_rmsnorm_group_quant_kernelItDB8_Li256ELi32ELi1ELb1ELb1ELb1ELb0ELb1ELb1EEEvPT0_PvPT_S6_S6_PKS5_S8_S8_S8_S8_ffiiiiiiiiiiiii.kd
    .uniform_work_group_size: 1
    .uses_dynamic_stack: false
    .vgpr_count:     128
    .vgpr_spill_count: 1856
    .wavefront_size: 64
  - .agpr_count:     0
    .args:
      - .actual_access:  write_only
        .address_space:  global
        .offset:         0
        .size:           8
        .value_kind:     global_buffer
      - .actual_access:  write_only
        .address_space:  global
        .offset:         8
        .size:           8
        .value_kind:     global_buffer
      - .actual_access:  write_only
        .address_space:  global
        .offset:         16
        .size:           8
        .value_kind:     global_buffer
      - .actual_access:  write_only
        .address_space:  global
        .offset:         24
        .size:           8
        .value_kind:     global_buffer
      - .actual_access:  write_only
        .address_space:  global
        .offset:         32
        .size:           8
        .value_kind:     global_buffer
      - .actual_access:  read_only
        .address_space:  global
        .offset:         40
        .size:           8
        .value_kind:     global_buffer
      - .actual_access:  read_only
        .address_space:  global
        .offset:         48
        .size:           8
        .value_kind:     global_buffer
      - .actual_access:  read_only
        .address_space:  global
        .offset:         56
        .size:           8
        .value_kind:     global_buffer
      - .actual_access:  read_only
        .address_space:  global
        .offset:         64
        .size:           8
        .value_kind:     global_buffer
      - .actual_access:  read_only
        .address_space:  global
        .offset:         72
        .size:           8
        .value_kind:     global_buffer
      - .offset:         80
        .size:           4
        .value_kind:     by_value
      - .offset:         84
        .size:           4
        .value_kind:     by_value
      - .offset:         88
        .size:           4
        .value_kind:     by_value
      - .offset:         92
        .size:           4
        .value_kind:     by_value
      - .offset:         96
        .size:           4
        .value_kind:     by_value
      - .offset:         100
        .size:           4
        .value_kind:     by_value
      - .offset:         104
        .size:           4
        .value_kind:     by_value
      - .offset:         108
        .size:           4
        .value_kind:     by_value
      - .offset:         112
        .size:           4
        .value_kind:     by_value
      - .offset:         116
        .size:           4
        .value_kind:     by_value
      - .offset:         120
        .size:           4
        .value_kind:     by_value
      - .offset:         124
        .size:           4
        .value_kind:     by_value
      - .offset:         128
        .size:           4
        .value_kind:     by_value
      - .offset:         132
        .size:           4
        .value_kind:     by_value
      - .offset:         136
        .size:           4
        .value_kind:     by_value
      - .offset:         144
        .size:           4
        .value_kind:     hidden_block_count_x
      - .offset:         148
        .size:           4
        .value_kind:     hidden_block_count_y
      - .offset:         152
        .size:           4
        .value_kind:     hidden_block_count_z
      - .offset:         156
        .size:           2
        .value_kind:     hidden_group_size_x
      - .offset:         158
        .size:           2
        .value_kind:     hidden_group_size_y
      - .offset:         160
        .size:           2
        .value_kind:     hidden_group_size_z
      - .offset:         162
        .size:           2
        .value_kind:     hidden_remainder_x
      - .offset:         164
        .size:           2
        .value_kind:     hidden_remainder_y
      - .offset:         166
        .size:           2
        .value_kind:     hidden_remainder_z
      - .offset:         184
        .size:           8
        .value_kind:     hidden_global_offset_x
      - .offset:         192
        .size:           8
        .value_kind:     hidden_global_offset_y
      - .offset:         200
        .size:           8
        .value_kind:     hidden_global_offset_z
      - .offset:         208
        .size:           2
        .value_kind:     hidden_grid_dims
    .group_segment_fixed_size: 48
    .kernarg_segment_align: 8
    .kernarg_segment_size: 400
    .language:       OpenCL C
    .language_version:
      - 2
      - 0
    .max_flat_workgroup_size: 1024
    .name:           _ZN5aiter35fused_qk_rmsnorm_group_quant_kernelIDF16_DB8_Li256ELi32ELi1ELb1ELb1ELb0ELb0ELb1ELb1EEEvPT0_PvPT_S6_S6_PKS5_S8_S8_S8_S8_ffiiiiiiiiiiiii
    .private_segment_fixed_size: 1672
    .sgpr_count:     48
    .sgpr_spill_count: 0
    .symbol:         _ZN5aiter35fused_qk_rmsnorm_group_quant_kernelIDF16_DB8_Li256ELi32ELi1ELb1ELb1ELb0ELb0ELb1ELb1EEEvPT0_PvPT_S6_S6_PKS5_S8_S8_S8_S8_ffiiiiiiiiiiiii.kd
    .uniform_work_group_size: 1
    .uses_dynamic_stack: false
    .vgpr_count:     128
    .vgpr_spill_count: 2049
    .wavefront_size: 64
  - .agpr_count:     0
    .args:
      - .actual_access:  write_only
        .address_space:  global
        .offset:         0
        .size:           8
        .value_kind:     global_buffer
      - .actual_access:  write_only
        .address_space:  global
        .offset:         8
        .size:           8
        .value_kind:     global_buffer
      - .actual_access:  write_only
        .address_space:  global
        .offset:         16
        .size:           8
        .value_kind:     global_buffer
      - .actual_access:  write_only
        .address_space:  global
        .offset:         24
        .size:           8
        .value_kind:     global_buffer
      - .actual_access:  write_only
        .address_space:  global
        .offset:         32
        .size:           8
        .value_kind:     global_buffer
      - .actual_access:  read_only
        .address_space:  global
        .offset:         40
        .size:           8
        .value_kind:     global_buffer
      - .actual_access:  read_only
        .address_space:  global
        .offset:         48
        .size:           8
        .value_kind:     global_buffer
      - .actual_access:  read_only
        .address_space:  global
        .offset:         56
        .size:           8
        .value_kind:     global_buffer
      - .actual_access:  read_only
        .address_space:  global
        .offset:         64
        .size:           8
        .value_kind:     global_buffer
      - .actual_access:  read_only
        .address_space:  global
        .offset:         72
        .size:           8
        .value_kind:     global_buffer
      - .offset:         80
        .size:           4
        .value_kind:     by_value
      - .offset:         84
        .size:           4
        .value_kind:     by_value
      - .offset:         88
        .size:           4
        .value_kind:     by_value
      - .offset:         92
        .size:           4
        .value_kind:     by_value
      - .offset:         96
        .size:           4
        .value_kind:     by_value
      - .offset:         100
        .size:           4
        .value_kind:     by_value
      - .offset:         104
        .size:           4
        .value_kind:     by_value
      - .offset:         108
        .size:           4
        .value_kind:     by_value
      - .offset:         112
        .size:           4
        .value_kind:     by_value
      - .offset:         116
        .size:           4
        .value_kind:     by_value
      - .offset:         120
        .size:           4
        .value_kind:     by_value
      - .offset:         124
        .size:           4
        .value_kind:     by_value
      - .offset:         128
        .size:           4
        .value_kind:     by_value
      - .offset:         132
        .size:           4
        .value_kind:     by_value
      - .offset:         136
        .size:           4
        .value_kind:     by_value
      - .offset:         144
        .size:           4
        .value_kind:     hidden_block_count_x
      - .offset:         148
        .size:           4
        .value_kind:     hidden_block_count_y
      - .offset:         152
        .size:           4
        .value_kind:     hidden_block_count_z
      - .offset:         156
        .size:           2
        .value_kind:     hidden_group_size_x
      - .offset:         158
        .size:           2
        .value_kind:     hidden_group_size_y
      - .offset:         160
        .size:           2
        .value_kind:     hidden_group_size_z
      - .offset:         162
        .size:           2
        .value_kind:     hidden_remainder_x
      - .offset:         164
        .size:           2
        .value_kind:     hidden_remainder_y
      - .offset:         166
        .size:           2
        .value_kind:     hidden_remainder_z
      - .offset:         184
        .size:           8
        .value_kind:     hidden_global_offset_x
      - .offset:         192
        .size:           8
        .value_kind:     hidden_global_offset_y
      - .offset:         200
        .size:           8
        .value_kind:     hidden_global_offset_z
      - .offset:         208
        .size:           2
        .value_kind:     hidden_grid_dims
    .group_segment_fixed_size: 48
    .kernarg_segment_align: 8
    .kernarg_segment_size: 400
    .language:       OpenCL C
    .language_version:
      - 2
      - 0
    .max_flat_workgroup_size: 1024
    .name:           _ZN5aiter35fused_qk_rmsnorm_group_quant_kernelItDB8_Li256ELi32ELi1ELb1ELb1ELb0ELb0ELb1ELb1EEEvPT0_PvPT_S6_S6_PKS5_S8_S8_S8_S8_ffiiiiiiiiiiiii
    .private_segment_fixed_size: 1796
    .sgpr_count:     48
    .sgpr_spill_count: 0
    .symbol:         _ZN5aiter35fused_qk_rmsnorm_group_quant_kernelItDB8_Li256ELi32ELi1ELb1ELb1ELb0ELb0ELb1ELb1EEEvPT0_PvPT_S6_S6_PKS5_S8_S8_S8_S8_ffiiiiiiiiiiiii.kd
    .uniform_work_group_size: 1
    .uses_dynamic_stack: false
    .vgpr_count:     128
    .vgpr_spill_count: 1856
    .wavefront_size: 64
  - .agpr_count:     0
    .args:
      - .actual_access:  write_only
        .address_space:  global
        .offset:         0
        .size:           8
        .value_kind:     global_buffer
      - .actual_access:  write_only
        .address_space:  global
        .offset:         8
        .size:           8
        .value_kind:     global_buffer
      - .actual_access:  read_only
        .address_space:  global
        .offset:         16
        .size:           8
        .value_kind:     global_buffer
      - .actual_access:  write_only
        .address_space:  global
        .offset:         24
        .size:           8
        .value_kind:     global_buffer
      - .actual_access:  write_only
        .address_space:  global
        .offset:         32
        .size:           8
        .value_kind:     global_buffer
      - .actual_access:  read_only
        .address_space:  global
        .offset:         40
        .size:           8
        .value_kind:     global_buffer
      - .actual_access:  read_only
        .address_space:  global
        .offset:         48
        .size:           8
        .value_kind:     global_buffer
      - .actual_access:  read_only
        .address_space:  global
        .offset:         56
        .size:           8
        .value_kind:     global_buffer
      - .actual_access:  read_only
        .address_space:  global
        .offset:         64
        .size:           8
        .value_kind:     global_buffer
      - .actual_access:  read_only
        .address_space:  global
        .offset:         72
        .size:           8
        .value_kind:     global_buffer
      - .offset:         80
        .size:           4
        .value_kind:     by_value
      - .offset:         84
        .size:           4
        .value_kind:     by_value
      - .offset:         88
        .size:           4
        .value_kind:     by_value
      - .offset:         92
        .size:           4
        .value_kind:     by_value
      - .offset:         96
        .size:           4
        .value_kind:     by_value
      - .offset:         100
        .size:           4
        .value_kind:     by_value
      - .offset:         104
        .size:           4
        .value_kind:     by_value
      - .offset:         108
        .size:           4
        .value_kind:     by_value
      - .offset:         112
        .size:           4
        .value_kind:     by_value
      - .offset:         116
        .size:           4
        .value_kind:     by_value
      - .offset:         120
        .size:           4
        .value_kind:     by_value
      - .offset:         124
        .size:           4
        .value_kind:     by_value
      - .offset:         128
        .size:           4
        .value_kind:     by_value
      - .offset:         132
        .size:           4
        .value_kind:     by_value
      - .offset:         136
        .size:           4
        .value_kind:     by_value
      - .offset:         144
        .size:           4
        .value_kind:     hidden_block_count_x
      - .offset:         148
        .size:           4
        .value_kind:     hidden_block_count_y
      - .offset:         152
        .size:           4
        .value_kind:     hidden_block_count_z
      - .offset:         156
        .size:           2
        .value_kind:     hidden_group_size_x
      - .offset:         158
        .size:           2
        .value_kind:     hidden_group_size_y
      - .offset:         160
        .size:           2
        .value_kind:     hidden_group_size_z
      - .offset:         162
        .size:           2
        .value_kind:     hidden_remainder_x
      - .offset:         164
        .size:           2
        .value_kind:     hidden_remainder_y
      - .offset:         166
        .size:           2
        .value_kind:     hidden_remainder_z
      - .offset:         184
        .size:           8
        .value_kind:     hidden_global_offset_x
      - .offset:         192
        .size:           8
        .value_kind:     hidden_global_offset_y
      - .offset:         200
        .size:           8
        .value_kind:     hidden_global_offset_z
      - .offset:         208
        .size:           2
        .value_kind:     hidden_grid_dims
    .group_segment_fixed_size: 48
    .kernarg_segment_align: 8
    .kernarg_segment_size: 400
    .language:       OpenCL C
    .language_version:
      - 2
      - 0
    .max_flat_workgroup_size: 1024
    .name:           _ZN5aiter35fused_qk_rmsnorm_group_quant_kernelIDF16_DB8_Li256ELi32ELi1ELb1ELb0ELb1ELb0ELb1ELb1EEEvPT0_PvPT_S6_S6_PKS5_S8_S8_S8_S8_ffiiiiiiiiiiiii
    .private_segment_fixed_size: 1672
    .sgpr_count:     48
    .sgpr_spill_count: 0
    .symbol:         _ZN5aiter35fused_qk_rmsnorm_group_quant_kernelIDF16_DB8_Li256ELi32ELi1ELb1ELb0ELb1ELb0ELb1ELb1EEEvPT0_PvPT_S6_S6_PKS5_S8_S8_S8_S8_ffiiiiiiiiiiiii.kd
    .uniform_work_group_size: 1
    .uses_dynamic_stack: false
    .vgpr_count:     128
    .vgpr_spill_count: 2049
    .wavefront_size: 64
  - .agpr_count:     0
    .args:
      - .actual_access:  write_only
        .address_space:  global
        .offset:         0
        .size:           8
        .value_kind:     global_buffer
      - .actual_access:  write_only
        .address_space:  global
        .offset:         8
        .size:           8
        .value_kind:     global_buffer
      - .actual_access:  read_only
        .address_space:  global
        .offset:         16
        .size:           8
        .value_kind:     global_buffer
      - .actual_access:  write_only
        .address_space:  global
        .offset:         24
        .size:           8
        .value_kind:     global_buffer
      - .actual_access:  write_only
        .address_space:  global
        .offset:         32
        .size:           8
        .value_kind:     global_buffer
      - .actual_access:  read_only
        .address_space:  global
        .offset:         40
        .size:           8
        .value_kind:     global_buffer
      - .actual_access:  read_only
        .address_space:  global
        .offset:         48
        .size:           8
        .value_kind:     global_buffer
      - .actual_access:  read_only
        .address_space:  global
        .offset:         56
        .size:           8
        .value_kind:     global_buffer
      - .actual_access:  read_only
        .address_space:  global
        .offset:         64
        .size:           8
        .value_kind:     global_buffer
      - .actual_access:  read_only
        .address_space:  global
        .offset:         72
        .size:           8
        .value_kind:     global_buffer
      - .offset:         80
        .size:           4
        .value_kind:     by_value
      - .offset:         84
        .size:           4
        .value_kind:     by_value
      - .offset:         88
        .size:           4
        .value_kind:     by_value
      - .offset:         92
        .size:           4
        .value_kind:     by_value
      - .offset:         96
        .size:           4
        .value_kind:     by_value
      - .offset:         100
        .size:           4
        .value_kind:     by_value
      - .offset:         104
        .size:           4
        .value_kind:     by_value
      - .offset:         108
        .size:           4
        .value_kind:     by_value
      - .offset:         112
        .size:           4
        .value_kind:     by_value
      - .offset:         116
        .size:           4
        .value_kind:     by_value
      - .offset:         120
        .size:           4
        .value_kind:     by_value
      - .offset:         124
        .size:           4
        .value_kind:     by_value
      - .offset:         128
        .size:           4
        .value_kind:     by_value
      - .offset:         132
        .size:           4
        .value_kind:     by_value
      - .offset:         136
        .size:           4
        .value_kind:     by_value
      - .offset:         144
        .size:           4
        .value_kind:     hidden_block_count_x
      - .offset:         148
        .size:           4
        .value_kind:     hidden_block_count_y
      - .offset:         152
        .size:           4
        .value_kind:     hidden_block_count_z
      - .offset:         156
        .size:           2
        .value_kind:     hidden_group_size_x
      - .offset:         158
        .size:           2
        .value_kind:     hidden_group_size_y
      - .offset:         160
        .size:           2
        .value_kind:     hidden_group_size_z
      - .offset:         162
        .size:           2
        .value_kind:     hidden_remainder_x
      - .offset:         164
        .size:           2
        .value_kind:     hidden_remainder_y
      - .offset:         166
        .size:           2
        .value_kind:     hidden_remainder_z
      - .offset:         184
        .size:           8
        .value_kind:     hidden_global_offset_x
      - .offset:         192
        .size:           8
        .value_kind:     hidden_global_offset_y
      - .offset:         200
        .size:           8
        .value_kind:     hidden_global_offset_z
      - .offset:         208
        .size:           2
        .value_kind:     hidden_grid_dims
    .group_segment_fixed_size: 48
    .kernarg_segment_align: 8
    .kernarg_segment_size: 400
    .language:       OpenCL C
    .language_version:
      - 2
      - 0
    .max_flat_workgroup_size: 1024
    .name:           _ZN5aiter35fused_qk_rmsnorm_group_quant_kernelItDB8_Li256ELi32ELi1ELb1ELb0ELb1ELb0ELb1ELb1EEEvPT0_PvPT_S6_S6_PKS5_S8_S8_S8_S8_ffiiiiiiiiiiiii
    .private_segment_fixed_size: 1796
    .sgpr_count:     48
    .sgpr_spill_count: 0
    .symbol:         _ZN5aiter35fused_qk_rmsnorm_group_quant_kernelItDB8_Li256ELi32ELi1ELb1ELb0ELb1ELb0ELb1ELb1EEEvPT0_PvPT_S6_S6_PKS5_S8_S8_S8_S8_ffiiiiiiiiiiiii.kd
    .uniform_work_group_size: 1
    .uses_dynamic_stack: false
    .vgpr_count:     128
    .vgpr_spill_count: 1856
    .wavefront_size: 64
  - .agpr_count:     0
    .args:
      - .actual_access:  write_only
        .address_space:  global
        .offset:         0
        .size:           8
        .value_kind:     global_buffer
      - .actual_access:  write_only
        .address_space:  global
        .offset:         8
        .size:           8
        .value_kind:     global_buffer
      - .actual_access:  read_only
        .address_space:  global
        .offset:         16
        .size:           8
        .value_kind:     global_buffer
      - .actual_access:  write_only
        .address_space:  global
        .offset:         24
        .size:           8
        .value_kind:     global_buffer
      - .actual_access:  write_only
        .address_space:  global
        .offset:         32
        .size:           8
        .value_kind:     global_buffer
      - .actual_access:  read_only
        .address_space:  global
        .offset:         40
        .size:           8
        .value_kind:     global_buffer
      - .actual_access:  read_only
        .address_space:  global
        .offset:         48
        .size:           8
        .value_kind:     global_buffer
      - .actual_access:  read_only
        .address_space:  global
        .offset:         56
        .size:           8
        .value_kind:     global_buffer
      - .actual_access:  read_only
        .address_space:  global
        .offset:         64
        .size:           8
        .value_kind:     global_buffer
      - .actual_access:  read_only
        .address_space:  global
        .offset:         72
        .size:           8
        .value_kind:     global_buffer
      - .offset:         80
        .size:           4
        .value_kind:     by_value
      - .offset:         84
        .size:           4
        .value_kind:     by_value
      - .offset:         88
        .size:           4
        .value_kind:     by_value
      - .offset:         92
        .size:           4
        .value_kind:     by_value
      - .offset:         96
        .size:           4
        .value_kind:     by_value
      - .offset:         100
        .size:           4
        .value_kind:     by_value
      - .offset:         104
        .size:           4
        .value_kind:     by_value
      - .offset:         108
        .size:           4
        .value_kind:     by_value
      - .offset:         112
        .size:           4
        .value_kind:     by_value
      - .offset:         116
        .size:           4
        .value_kind:     by_value
      - .offset:         120
        .size:           4
        .value_kind:     by_value
      - .offset:         124
        .size:           4
        .value_kind:     by_value
      - .offset:         128
        .size:           4
        .value_kind:     by_value
      - .offset:         132
        .size:           4
        .value_kind:     by_value
      - .offset:         136
        .size:           4
        .value_kind:     by_value
      - .offset:         144
        .size:           4
        .value_kind:     hidden_block_count_x
      - .offset:         148
        .size:           4
        .value_kind:     hidden_block_count_y
      - .offset:         152
        .size:           4
        .value_kind:     hidden_block_count_z
      - .offset:         156
        .size:           2
        .value_kind:     hidden_group_size_x
      - .offset:         158
        .size:           2
        .value_kind:     hidden_group_size_y
      - .offset:         160
        .size:           2
        .value_kind:     hidden_group_size_z
      - .offset:         162
        .size:           2
        .value_kind:     hidden_remainder_x
      - .offset:         164
        .size:           2
        .value_kind:     hidden_remainder_y
      - .offset:         166
        .size:           2
        .value_kind:     hidden_remainder_z
      - .offset:         184
        .size:           8
        .value_kind:     hidden_global_offset_x
      - .offset:         192
        .size:           8
        .value_kind:     hidden_global_offset_y
      - .offset:         200
        .size:           8
        .value_kind:     hidden_global_offset_z
      - .offset:         208
        .size:           2
        .value_kind:     hidden_grid_dims
    .group_segment_fixed_size: 48
    .kernarg_segment_align: 8
    .kernarg_segment_size: 400
    .language:       OpenCL C
    .language_version:
      - 2
      - 0
    .max_flat_workgroup_size: 1024
    .name:           _ZN5aiter35fused_qk_rmsnorm_group_quant_kernelIDF16_DB8_Li256ELi32ELi1ELb1ELb0ELb0ELb0ELb1ELb1EEEvPT0_PvPT_S6_S6_PKS5_S8_S8_S8_S8_ffiiiiiiiiiiiii
    .private_segment_fixed_size: 1672
    .sgpr_count:     48
    .sgpr_spill_count: 0
    .symbol:         _ZN5aiter35fused_qk_rmsnorm_group_quant_kernelIDF16_DB8_Li256ELi32ELi1ELb1ELb0ELb0ELb0ELb1ELb1EEEvPT0_PvPT_S6_S6_PKS5_S8_S8_S8_S8_ffiiiiiiiiiiiii.kd
    .uniform_work_group_size: 1
    .uses_dynamic_stack: false
    .vgpr_count:     128
    .vgpr_spill_count: 2049
    .wavefront_size: 64
  - .agpr_count:     0
    .args:
      - .actual_access:  write_only
        .address_space:  global
        .offset:         0
        .size:           8
        .value_kind:     global_buffer
      - .actual_access:  write_only
        .address_space:  global
        .offset:         8
        .size:           8
        .value_kind:     global_buffer
      - .actual_access:  read_only
        .address_space:  global
        .offset:         16
        .size:           8
        .value_kind:     global_buffer
      - .actual_access:  write_only
        .address_space:  global
        .offset:         24
        .size:           8
        .value_kind:     global_buffer
      - .actual_access:  write_only
        .address_space:  global
        .offset:         32
        .size:           8
        .value_kind:     global_buffer
      - .actual_access:  read_only
        .address_space:  global
        .offset:         40
        .size:           8
        .value_kind:     global_buffer
      - .actual_access:  read_only
        .address_space:  global
        .offset:         48
        .size:           8
        .value_kind:     global_buffer
      - .actual_access:  read_only
        .address_space:  global
        .offset:         56
        .size:           8
        .value_kind:     global_buffer
      - .actual_access:  read_only
        .address_space:  global
        .offset:         64
        .size:           8
        .value_kind:     global_buffer
      - .actual_access:  read_only
        .address_space:  global
        .offset:         72
        .size:           8
        .value_kind:     global_buffer
      - .offset:         80
        .size:           4
        .value_kind:     by_value
      - .offset:         84
        .size:           4
        .value_kind:     by_value
      - .offset:         88
        .size:           4
        .value_kind:     by_value
      - .offset:         92
        .size:           4
        .value_kind:     by_value
      - .offset:         96
        .size:           4
        .value_kind:     by_value
      - .offset:         100
        .size:           4
        .value_kind:     by_value
      - .offset:         104
        .size:           4
        .value_kind:     by_value
      - .offset:         108
        .size:           4
        .value_kind:     by_value
      - .offset:         112
        .size:           4
        .value_kind:     by_value
      - .offset:         116
        .size:           4
        .value_kind:     by_value
      - .offset:         120
        .size:           4
        .value_kind:     by_value
      - .offset:         124
        .size:           4
        .value_kind:     by_value
      - .offset:         128
        .size:           4
        .value_kind:     by_value
      - .offset:         132
        .size:           4
        .value_kind:     by_value
      - .offset:         136
        .size:           4
        .value_kind:     by_value
      - .offset:         144
        .size:           4
        .value_kind:     hidden_block_count_x
      - .offset:         148
        .size:           4
        .value_kind:     hidden_block_count_y
      - .offset:         152
        .size:           4
        .value_kind:     hidden_block_count_z
      - .offset:         156
        .size:           2
        .value_kind:     hidden_group_size_x
      - .offset:         158
        .size:           2
        .value_kind:     hidden_group_size_y
      - .offset:         160
        .size:           2
        .value_kind:     hidden_group_size_z
      - .offset:         162
        .size:           2
        .value_kind:     hidden_remainder_x
      - .offset:         164
        .size:           2
        .value_kind:     hidden_remainder_y
      - .offset:         166
        .size:           2
        .value_kind:     hidden_remainder_z
      - .offset:         184
        .size:           8
        .value_kind:     hidden_global_offset_x
      - .offset:         192
        .size:           8
        .value_kind:     hidden_global_offset_y
      - .offset:         200
        .size:           8
        .value_kind:     hidden_global_offset_z
      - .offset:         208
        .size:           2
        .value_kind:     hidden_grid_dims
    .group_segment_fixed_size: 48
    .kernarg_segment_align: 8
    .kernarg_segment_size: 400
    .language:       OpenCL C
    .language_version:
      - 2
      - 0
    .max_flat_workgroup_size: 1024
    .name:           _ZN5aiter35fused_qk_rmsnorm_group_quant_kernelItDB8_Li256ELi32ELi1ELb1ELb0ELb0ELb0ELb1ELb1EEEvPT0_PvPT_S6_S6_PKS5_S8_S8_S8_S8_ffiiiiiiiiiiiii
    .private_segment_fixed_size: 1796
    .sgpr_count:     48
    .sgpr_spill_count: 0
    .symbol:         _ZN5aiter35fused_qk_rmsnorm_group_quant_kernelItDB8_Li256ELi32ELi1ELb1ELb0ELb0ELb0ELb1ELb1EEEvPT0_PvPT_S6_S6_PKS5_S8_S8_S8_S8_ffiiiiiiiiiiiii.kd
    .uniform_work_group_size: 1
    .uses_dynamic_stack: false
    .vgpr_count:     128
    .vgpr_spill_count: 1856
    .wavefront_size: 64
  - .agpr_count:     0
    .args:
      - .actual_access:  write_only
        .address_space:  global
        .offset:         0
        .size:           8
        .value_kind:     global_buffer
      - .actual_access:  write_only
        .address_space:  global
        .offset:         8
        .size:           8
        .value_kind:     global_buffer
      - .actual_access:  write_only
        .address_space:  global
        .offset:         16
        .size:           8
        .value_kind:     global_buffer
      - .actual_access:  write_only
        .address_space:  global
        .offset:         24
        .size:           8
        .value_kind:     global_buffer
      - .actual_access:  read_only
        .address_space:  global
        .offset:         32
        .size:           8
        .value_kind:     global_buffer
      - .actual_access:  read_only
        .address_space:  global
        .offset:         40
        .size:           8
        .value_kind:     global_buffer
      - .actual_access:  read_only
        .address_space:  global
        .offset:         48
        .size:           8
        .value_kind:     global_buffer
      - .actual_access:  read_only
        .address_space:  global
        .offset:         56
        .size:           8
        .value_kind:     global_buffer
      - .actual_access:  read_only
        .address_space:  global
        .offset:         64
        .size:           8
        .value_kind:     global_buffer
      - .actual_access:  read_only
        .address_space:  global
        .offset:         72
        .size:           8
        .value_kind:     global_buffer
      - .offset:         80
        .size:           4
        .value_kind:     by_value
      - .offset:         84
        .size:           4
        .value_kind:     by_value
      - .offset:         88
        .size:           4
        .value_kind:     by_value
      - .offset:         92
        .size:           4
        .value_kind:     by_value
      - .offset:         96
        .size:           4
        .value_kind:     by_value
      - .offset:         100
        .size:           4
        .value_kind:     by_value
      - .offset:         104
        .size:           4
        .value_kind:     by_value
      - .offset:         108
        .size:           4
        .value_kind:     by_value
      - .offset:         112
        .size:           4
        .value_kind:     by_value
      - .offset:         116
        .size:           4
        .value_kind:     by_value
      - .offset:         120
        .size:           4
        .value_kind:     by_value
      - .offset:         124
        .size:           4
        .value_kind:     by_value
      - .offset:         128
        .size:           4
        .value_kind:     by_value
      - .offset:         132
        .size:           4
        .value_kind:     by_value
      - .offset:         136
        .size:           4
        .value_kind:     by_value
      - .offset:         144
        .size:           4
        .value_kind:     hidden_block_count_x
      - .offset:         148
        .size:           4
        .value_kind:     hidden_block_count_y
      - .offset:         152
        .size:           4
        .value_kind:     hidden_block_count_z
      - .offset:         156
        .size:           2
        .value_kind:     hidden_group_size_x
      - .offset:         158
        .size:           2
        .value_kind:     hidden_group_size_y
      - .offset:         160
        .size:           2
        .value_kind:     hidden_group_size_z
      - .offset:         162
        .size:           2
        .value_kind:     hidden_remainder_x
      - .offset:         164
        .size:           2
        .value_kind:     hidden_remainder_y
      - .offset:         166
        .size:           2
        .value_kind:     hidden_remainder_z
      - .offset:         184
        .size:           8
        .value_kind:     hidden_global_offset_x
      - .offset:         192
        .size:           8
        .value_kind:     hidden_global_offset_y
      - .offset:         200
        .size:           8
        .value_kind:     hidden_global_offset_z
      - .offset:         208
        .size:           2
        .value_kind:     hidden_grid_dims
    .group_segment_fixed_size: 48
    .kernarg_segment_align: 8
    .kernarg_segment_size: 400
    .language:       OpenCL C
    .language_version:
      - 2
      - 0
    .max_flat_workgroup_size: 1024
    .name:           _ZN5aiter35fused_qk_rmsnorm_group_quant_kernelIDF16_DB8_Li256ELi32ELi1ELb0ELb1ELb1ELb0ELb1ELb1EEEvPT0_PvPT_S6_S6_PKS5_S8_S8_S8_S8_ffiiiiiiiiiiiii
    .private_segment_fixed_size: 0
    .sgpr_count:     36
    .sgpr_spill_count: 0
    .symbol:         _ZN5aiter35fused_qk_rmsnorm_group_quant_kernelIDF16_DB8_Li256ELi32ELi1ELb0ELb1ELb1ELb0ELb1ELb1EEEvPT0_PvPT_S6_S6_PKS5_S8_S8_S8_S8_ffiiiiiiiiiiiii.kd
    .uniform_work_group_size: 1
    .uses_dynamic_stack: false
    .vgpr_count:     68
    .vgpr_spill_count: 0
    .wavefront_size: 64
  - .agpr_count:     0
    .args:
      - .actual_access:  write_only
        .address_space:  global
        .offset:         0
        .size:           8
        .value_kind:     global_buffer
      - .actual_access:  write_only
        .address_space:  global
        .offset:         8
        .size:           8
        .value_kind:     global_buffer
      - .actual_access:  write_only
        .address_space:  global
        .offset:         16
        .size:           8
        .value_kind:     global_buffer
      - .actual_access:  write_only
        .address_space:  global
        .offset:         24
        .size:           8
        .value_kind:     global_buffer
      - .actual_access:  read_only
        .address_space:  global
        .offset:         32
        .size:           8
        .value_kind:     global_buffer
      - .actual_access:  read_only
        .address_space:  global
        .offset:         40
        .size:           8
        .value_kind:     global_buffer
      - .actual_access:  read_only
        .address_space:  global
        .offset:         48
        .size:           8
        .value_kind:     global_buffer
      - .actual_access:  read_only
        .address_space:  global
        .offset:         56
        .size:           8
        .value_kind:     global_buffer
      - .actual_access:  read_only
        .address_space:  global
        .offset:         64
        .size:           8
        .value_kind:     global_buffer
      - .actual_access:  read_only
        .address_space:  global
        .offset:         72
        .size:           8
        .value_kind:     global_buffer
      - .offset:         80
        .size:           4
        .value_kind:     by_value
      - .offset:         84
        .size:           4
        .value_kind:     by_value
      - .offset:         88
        .size:           4
        .value_kind:     by_value
      - .offset:         92
        .size:           4
        .value_kind:     by_value
      - .offset:         96
        .size:           4
        .value_kind:     by_value
      - .offset:         100
        .size:           4
        .value_kind:     by_value
      - .offset:         104
        .size:           4
        .value_kind:     by_value
      - .offset:         108
        .size:           4
        .value_kind:     by_value
      - .offset:         112
        .size:           4
        .value_kind:     by_value
      - .offset:         116
        .size:           4
        .value_kind:     by_value
      - .offset:         120
        .size:           4
        .value_kind:     by_value
      - .offset:         124
        .size:           4
        .value_kind:     by_value
      - .offset:         128
        .size:           4
        .value_kind:     by_value
      - .offset:         132
        .size:           4
        .value_kind:     by_value
      - .offset:         136
        .size:           4
        .value_kind:     by_value
      - .offset:         144
        .size:           4
        .value_kind:     hidden_block_count_x
      - .offset:         148
        .size:           4
        .value_kind:     hidden_block_count_y
      - .offset:         152
        .size:           4
        .value_kind:     hidden_block_count_z
      - .offset:         156
        .size:           2
        .value_kind:     hidden_group_size_x
      - .offset:         158
        .size:           2
        .value_kind:     hidden_group_size_y
      - .offset:         160
        .size:           2
        .value_kind:     hidden_group_size_z
      - .offset:         162
        .size:           2
        .value_kind:     hidden_remainder_x
      - .offset:         164
        .size:           2
        .value_kind:     hidden_remainder_y
      - .offset:         166
        .size:           2
        .value_kind:     hidden_remainder_z
      - .offset:         184
        .size:           8
        .value_kind:     hidden_global_offset_x
      - .offset:         192
        .size:           8
        .value_kind:     hidden_global_offset_y
      - .offset:         200
        .size:           8
        .value_kind:     hidden_global_offset_z
      - .offset:         208
        .size:           2
        .value_kind:     hidden_grid_dims
    .group_segment_fixed_size: 48
    .kernarg_segment_align: 8
    .kernarg_segment_size: 400
    .language:       OpenCL C
    .language_version:
      - 2
      - 0
    .max_flat_workgroup_size: 1024
    .name:           _ZN5aiter35fused_qk_rmsnorm_group_quant_kernelItDB8_Li256ELi32ELi1ELb0ELb1ELb1ELb0ELb1ELb1EEEvPT0_PvPT_S6_S6_PKS5_S8_S8_S8_S8_ffiiiiiiiiiiiii
    .private_segment_fixed_size: 0
    .sgpr_count:     36
    .sgpr_spill_count: 0
    .symbol:         _ZN5aiter35fused_qk_rmsnorm_group_quant_kernelItDB8_Li256ELi32ELi1ELb0ELb1ELb1ELb0ELb1ELb1EEEvPT0_PvPT_S6_S6_PKS5_S8_S8_S8_S8_ffiiiiiiiiiiiii.kd
    .uniform_work_group_size: 1
    .uses_dynamic_stack: false
    .vgpr_count:     68
    .vgpr_spill_count: 0
    .wavefront_size: 64
  - .agpr_count:     0
    .args:
      - .actual_access:  write_only
        .address_space:  global
        .offset:         0
        .size:           8
        .value_kind:     global_buffer
      - .actual_access:  write_only
        .address_space:  global
        .offset:         8
        .size:           8
        .value_kind:     global_buffer
      - .actual_access:  write_only
        .address_space:  global
        .offset:         16
        .size:           8
        .value_kind:     global_buffer
      - .actual_access:  write_only
        .address_space:  global
        .offset:         24
        .size:           8
        .value_kind:     global_buffer
      - .actual_access:  read_only
        .address_space:  global
        .offset:         32
        .size:           8
        .value_kind:     global_buffer
      - .actual_access:  read_only
        .address_space:  global
        .offset:         40
        .size:           8
        .value_kind:     global_buffer
      - .actual_access:  read_only
        .address_space:  global
        .offset:         48
        .size:           8
        .value_kind:     global_buffer
      - .actual_access:  read_only
        .address_space:  global
        .offset:         56
        .size:           8
        .value_kind:     global_buffer
      - .actual_access:  read_only
        .address_space:  global
        .offset:         64
        .size:           8
        .value_kind:     global_buffer
      - .actual_access:  read_only
        .address_space:  global
        .offset:         72
        .size:           8
        .value_kind:     global_buffer
      - .offset:         80
        .size:           4
        .value_kind:     by_value
      - .offset:         84
        .size:           4
        .value_kind:     by_value
      - .offset:         88
        .size:           4
        .value_kind:     by_value
      - .offset:         92
        .size:           4
        .value_kind:     by_value
      - .offset:         96
        .size:           4
        .value_kind:     by_value
      - .offset:         100
        .size:           4
        .value_kind:     by_value
      - .offset:         104
        .size:           4
        .value_kind:     by_value
      - .offset:         108
        .size:           4
        .value_kind:     by_value
      - .offset:         112
        .size:           4
        .value_kind:     by_value
      - .offset:         116
        .size:           4
        .value_kind:     by_value
      - .offset:         120
        .size:           4
        .value_kind:     by_value
      - .offset:         124
        .size:           4
        .value_kind:     by_value
      - .offset:         128
        .size:           4
        .value_kind:     by_value
      - .offset:         132
        .size:           4
        .value_kind:     by_value
      - .offset:         136
        .size:           4
        .value_kind:     by_value
      - .offset:         144
        .size:           4
        .value_kind:     hidden_block_count_x
      - .offset:         148
        .size:           4
        .value_kind:     hidden_block_count_y
      - .offset:         152
        .size:           4
        .value_kind:     hidden_block_count_z
      - .offset:         156
        .size:           2
        .value_kind:     hidden_group_size_x
      - .offset:         158
        .size:           2
        .value_kind:     hidden_group_size_y
      - .offset:         160
        .size:           2
        .value_kind:     hidden_group_size_z
      - .offset:         162
        .size:           2
        .value_kind:     hidden_remainder_x
      - .offset:         164
        .size:           2
        .value_kind:     hidden_remainder_y
      - .offset:         166
        .size:           2
        .value_kind:     hidden_remainder_z
      - .offset:         184
        .size:           8
        .value_kind:     hidden_global_offset_x
      - .offset:         192
        .size:           8
        .value_kind:     hidden_global_offset_y
      - .offset:         200
        .size:           8
        .value_kind:     hidden_global_offset_z
      - .offset:         208
        .size:           2
        .value_kind:     hidden_grid_dims
    .group_segment_fixed_size: 48
    .kernarg_segment_align: 8
    .kernarg_segment_size: 400
    .language:       OpenCL C
    .language_version:
      - 2
      - 0
    .max_flat_workgroup_size: 1024
    .name:           _ZN5aiter35fused_qk_rmsnorm_group_quant_kernelIDF16_DB8_Li256ELi32ELi1ELb0ELb1ELb0ELb0ELb1ELb1EEEvPT0_PvPT_S6_S6_PKS5_S8_S8_S8_S8_ffiiiiiiiiiiiii
    .private_segment_fixed_size: 0
    .sgpr_count:     36
    .sgpr_spill_count: 0
    .symbol:         _ZN5aiter35fused_qk_rmsnorm_group_quant_kernelIDF16_DB8_Li256ELi32ELi1ELb0ELb1ELb0ELb0ELb1ELb1EEEvPT0_PvPT_S6_S6_PKS5_S8_S8_S8_S8_ffiiiiiiiiiiiii.kd
    .uniform_work_group_size: 1
    .uses_dynamic_stack: false
    .vgpr_count:     68
    .vgpr_spill_count: 0
    .wavefront_size: 64
  - .agpr_count:     0
    .args:
      - .actual_access:  write_only
        .address_space:  global
        .offset:         0
        .size:           8
        .value_kind:     global_buffer
      - .actual_access:  write_only
        .address_space:  global
        .offset:         8
        .size:           8
        .value_kind:     global_buffer
      - .actual_access:  write_only
        .address_space:  global
        .offset:         16
        .size:           8
        .value_kind:     global_buffer
      - .actual_access:  write_only
        .address_space:  global
        .offset:         24
        .size:           8
        .value_kind:     global_buffer
      - .actual_access:  read_only
        .address_space:  global
        .offset:         32
        .size:           8
        .value_kind:     global_buffer
      - .actual_access:  read_only
        .address_space:  global
        .offset:         40
        .size:           8
        .value_kind:     global_buffer
      - .actual_access:  read_only
        .address_space:  global
        .offset:         48
        .size:           8
        .value_kind:     global_buffer
      - .actual_access:  read_only
        .address_space:  global
        .offset:         56
        .size:           8
        .value_kind:     global_buffer
      - .actual_access:  read_only
        .address_space:  global
        .offset:         64
        .size:           8
        .value_kind:     global_buffer
      - .actual_access:  read_only
        .address_space:  global
        .offset:         72
        .size:           8
        .value_kind:     global_buffer
      - .offset:         80
        .size:           4
        .value_kind:     by_value
      - .offset:         84
        .size:           4
        .value_kind:     by_value
      - .offset:         88
        .size:           4
        .value_kind:     by_value
      - .offset:         92
        .size:           4
        .value_kind:     by_value
      - .offset:         96
        .size:           4
        .value_kind:     by_value
      - .offset:         100
        .size:           4
        .value_kind:     by_value
      - .offset:         104
        .size:           4
        .value_kind:     by_value
      - .offset:         108
        .size:           4
        .value_kind:     by_value
      - .offset:         112
        .size:           4
        .value_kind:     by_value
      - .offset:         116
        .size:           4
        .value_kind:     by_value
      - .offset:         120
        .size:           4
        .value_kind:     by_value
      - .offset:         124
        .size:           4
        .value_kind:     by_value
      - .offset:         128
        .size:           4
        .value_kind:     by_value
      - .offset:         132
        .size:           4
        .value_kind:     by_value
      - .offset:         136
        .size:           4
        .value_kind:     by_value
      - .offset:         144
        .size:           4
        .value_kind:     hidden_block_count_x
      - .offset:         148
        .size:           4
        .value_kind:     hidden_block_count_y
      - .offset:         152
        .size:           4
        .value_kind:     hidden_block_count_z
      - .offset:         156
        .size:           2
        .value_kind:     hidden_group_size_x
      - .offset:         158
        .size:           2
        .value_kind:     hidden_group_size_y
      - .offset:         160
        .size:           2
        .value_kind:     hidden_group_size_z
      - .offset:         162
        .size:           2
        .value_kind:     hidden_remainder_x
      - .offset:         164
        .size:           2
        .value_kind:     hidden_remainder_y
      - .offset:         166
        .size:           2
        .value_kind:     hidden_remainder_z
      - .offset:         184
        .size:           8
        .value_kind:     hidden_global_offset_x
      - .offset:         192
        .size:           8
        .value_kind:     hidden_global_offset_y
      - .offset:         200
        .size:           8
        .value_kind:     hidden_global_offset_z
      - .offset:         208
        .size:           2
        .value_kind:     hidden_grid_dims
    .group_segment_fixed_size: 48
    .kernarg_segment_align: 8
    .kernarg_segment_size: 400
    .language:       OpenCL C
    .language_version:
      - 2
      - 0
    .max_flat_workgroup_size: 1024
    .name:           _ZN5aiter35fused_qk_rmsnorm_group_quant_kernelItDB8_Li256ELi32ELi1ELb0ELb1ELb0ELb0ELb1ELb1EEEvPT0_PvPT_S6_S6_PKS5_S8_S8_S8_S8_ffiiiiiiiiiiiii
    .private_segment_fixed_size: 0
    .sgpr_count:     36
    .sgpr_spill_count: 0
    .symbol:         _ZN5aiter35fused_qk_rmsnorm_group_quant_kernelItDB8_Li256ELi32ELi1ELb0ELb1ELb0ELb0ELb1ELb1EEEvPT0_PvPT_S6_S6_PKS5_S8_S8_S8_S8_ffiiiiiiiiiiiii.kd
    .uniform_work_group_size: 1
    .uses_dynamic_stack: false
    .vgpr_count:     68
    .vgpr_spill_count: 0
    .wavefront_size: 64
  - .agpr_count:     0
    .args:
      - .actual_access:  write_only
        .address_space:  global
        .offset:         0
        .size:           8
        .value_kind:     global_buffer
      - .actual_access:  write_only
        .address_space:  global
        .offset:         8
        .size:           8
        .value_kind:     global_buffer
      - .actual_access:  read_only
        .address_space:  global
        .offset:         16
        .size:           8
        .value_kind:     global_buffer
      - .actual_access:  write_only
        .address_space:  global
        .offset:         24
        .size:           8
        .value_kind:     global_buffer
      - .actual_access:  read_only
        .address_space:  global
        .offset:         32
        .size:           8
        .value_kind:     global_buffer
      - .actual_access:  read_only
        .address_space:  global
        .offset:         40
        .size:           8
        .value_kind:     global_buffer
      - .actual_access:  read_only
        .address_space:  global
        .offset:         48
        .size:           8
        .value_kind:     global_buffer
      - .actual_access:  read_only
        .address_space:  global
        .offset:         56
        .size:           8
        .value_kind:     global_buffer
      - .actual_access:  read_only
        .address_space:  global
        .offset:         64
        .size:           8
        .value_kind:     global_buffer
      - .actual_access:  read_only
        .address_space:  global
        .offset:         72
        .size:           8
        .value_kind:     global_buffer
      - .offset:         80
        .size:           4
        .value_kind:     by_value
      - .offset:         84
        .size:           4
        .value_kind:     by_value
      - .offset:         88
        .size:           4
        .value_kind:     by_value
      - .offset:         92
        .size:           4
        .value_kind:     by_value
      - .offset:         96
        .size:           4
        .value_kind:     by_value
      - .offset:         100
        .size:           4
        .value_kind:     by_value
      - .offset:         104
        .size:           4
        .value_kind:     by_value
      - .offset:         108
        .size:           4
        .value_kind:     by_value
      - .offset:         112
        .size:           4
        .value_kind:     by_value
      - .offset:         116
        .size:           4
        .value_kind:     by_value
      - .offset:         120
        .size:           4
        .value_kind:     by_value
      - .offset:         124
        .size:           4
        .value_kind:     by_value
      - .offset:         128
        .size:           4
        .value_kind:     by_value
      - .offset:         132
        .size:           4
        .value_kind:     by_value
      - .offset:         136
        .size:           4
        .value_kind:     by_value
      - .offset:         144
        .size:           4
        .value_kind:     hidden_block_count_x
      - .offset:         148
        .size:           4
        .value_kind:     hidden_block_count_y
      - .offset:         152
        .size:           4
        .value_kind:     hidden_block_count_z
      - .offset:         156
        .size:           2
        .value_kind:     hidden_group_size_x
      - .offset:         158
        .size:           2
        .value_kind:     hidden_group_size_y
      - .offset:         160
        .size:           2
        .value_kind:     hidden_group_size_z
      - .offset:         162
        .size:           2
        .value_kind:     hidden_remainder_x
      - .offset:         164
        .size:           2
        .value_kind:     hidden_remainder_y
      - .offset:         166
        .size:           2
        .value_kind:     hidden_remainder_z
      - .offset:         184
        .size:           8
        .value_kind:     hidden_global_offset_x
      - .offset:         192
        .size:           8
        .value_kind:     hidden_global_offset_y
      - .offset:         200
        .size:           8
        .value_kind:     hidden_global_offset_z
      - .offset:         208
        .size:           2
        .value_kind:     hidden_grid_dims
    .group_segment_fixed_size: 48
    .kernarg_segment_align: 8
    .kernarg_segment_size: 400
    .language:       OpenCL C
    .language_version:
      - 2
      - 0
    .max_flat_workgroup_size: 1024
    .name:           _ZN5aiter35fused_qk_rmsnorm_group_quant_kernelIDF16_DB8_Li256ELi32ELi1ELb0ELb0ELb1ELb0ELb1ELb1EEEvPT0_PvPT_S6_S6_PKS5_S8_S8_S8_S8_ffiiiiiiiiiiiii
    .private_segment_fixed_size: 0
    .sgpr_count:     36
    .sgpr_spill_count: 0
    .symbol:         _ZN5aiter35fused_qk_rmsnorm_group_quant_kernelIDF16_DB8_Li256ELi32ELi1ELb0ELb0ELb1ELb0ELb1ELb1EEEvPT0_PvPT_S6_S6_PKS5_S8_S8_S8_S8_ffiiiiiiiiiiiii.kd
    .uniform_work_group_size: 1
    .uses_dynamic_stack: false
    .vgpr_count:     68
    .vgpr_spill_count: 0
    .wavefront_size: 64
  - .agpr_count:     0
    .args:
      - .actual_access:  write_only
        .address_space:  global
        .offset:         0
        .size:           8
        .value_kind:     global_buffer
      - .actual_access:  write_only
        .address_space:  global
        .offset:         8
        .size:           8
        .value_kind:     global_buffer
      - .actual_access:  read_only
        .address_space:  global
        .offset:         16
        .size:           8
        .value_kind:     global_buffer
      - .actual_access:  write_only
        .address_space:  global
        .offset:         24
        .size:           8
        .value_kind:     global_buffer
      - .actual_access:  read_only
        .address_space:  global
        .offset:         32
        .size:           8
        .value_kind:     global_buffer
      - .actual_access:  read_only
        .address_space:  global
        .offset:         40
        .size:           8
        .value_kind:     global_buffer
      - .actual_access:  read_only
        .address_space:  global
        .offset:         48
        .size:           8
        .value_kind:     global_buffer
      - .actual_access:  read_only
        .address_space:  global
        .offset:         56
        .size:           8
        .value_kind:     global_buffer
      - .actual_access:  read_only
        .address_space:  global
        .offset:         64
        .size:           8
        .value_kind:     global_buffer
      - .actual_access:  read_only
        .address_space:  global
        .offset:         72
        .size:           8
        .value_kind:     global_buffer
      - .offset:         80
        .size:           4
        .value_kind:     by_value
      - .offset:         84
        .size:           4
        .value_kind:     by_value
      - .offset:         88
        .size:           4
        .value_kind:     by_value
      - .offset:         92
        .size:           4
        .value_kind:     by_value
      - .offset:         96
        .size:           4
        .value_kind:     by_value
      - .offset:         100
        .size:           4
        .value_kind:     by_value
      - .offset:         104
        .size:           4
        .value_kind:     by_value
      - .offset:         108
        .size:           4
        .value_kind:     by_value
      - .offset:         112
        .size:           4
        .value_kind:     by_value
      - .offset:         116
        .size:           4
        .value_kind:     by_value
      - .offset:         120
        .size:           4
        .value_kind:     by_value
      - .offset:         124
        .size:           4
        .value_kind:     by_value
      - .offset:         128
        .size:           4
        .value_kind:     by_value
      - .offset:         132
        .size:           4
        .value_kind:     by_value
      - .offset:         136
        .size:           4
        .value_kind:     by_value
      - .offset:         144
        .size:           4
        .value_kind:     hidden_block_count_x
      - .offset:         148
        .size:           4
        .value_kind:     hidden_block_count_y
      - .offset:         152
        .size:           4
        .value_kind:     hidden_block_count_z
      - .offset:         156
        .size:           2
        .value_kind:     hidden_group_size_x
      - .offset:         158
        .size:           2
        .value_kind:     hidden_group_size_y
      - .offset:         160
        .size:           2
        .value_kind:     hidden_group_size_z
      - .offset:         162
        .size:           2
        .value_kind:     hidden_remainder_x
      - .offset:         164
        .size:           2
        .value_kind:     hidden_remainder_y
      - .offset:         166
        .size:           2
        .value_kind:     hidden_remainder_z
      - .offset:         184
        .size:           8
        .value_kind:     hidden_global_offset_x
      - .offset:         192
        .size:           8
        .value_kind:     hidden_global_offset_y
      - .offset:         200
        .size:           8
        .value_kind:     hidden_global_offset_z
      - .offset:         208
        .size:           2
        .value_kind:     hidden_grid_dims
    .group_segment_fixed_size: 48
    .kernarg_segment_align: 8
    .kernarg_segment_size: 400
    .language:       OpenCL C
    .language_version:
      - 2
      - 0
    .max_flat_workgroup_size: 1024
    .name:           _ZN5aiter35fused_qk_rmsnorm_group_quant_kernelItDB8_Li256ELi32ELi1ELb0ELb0ELb1ELb0ELb1ELb1EEEvPT0_PvPT_S6_S6_PKS5_S8_S8_S8_S8_ffiiiiiiiiiiiii
    .private_segment_fixed_size: 0
    .sgpr_count:     36
    .sgpr_spill_count: 0
    .symbol:         _ZN5aiter35fused_qk_rmsnorm_group_quant_kernelItDB8_Li256ELi32ELi1ELb0ELb0ELb1ELb0ELb1ELb1EEEvPT0_PvPT_S6_S6_PKS5_S8_S8_S8_S8_ffiiiiiiiiiiiii.kd
    .uniform_work_group_size: 1
    .uses_dynamic_stack: false
    .vgpr_count:     68
    .vgpr_spill_count: 0
    .wavefront_size: 64
  - .agpr_count:     0
    .args:
      - .actual_access:  write_only
        .address_space:  global
        .offset:         0
        .size:           8
        .value_kind:     global_buffer
      - .actual_access:  write_only
        .address_space:  global
        .offset:         8
        .size:           8
        .value_kind:     global_buffer
      - .actual_access:  read_only
        .address_space:  global
        .offset:         16
        .size:           8
        .value_kind:     global_buffer
      - .actual_access:  write_only
        .address_space:  global
        .offset:         24
        .size:           8
        .value_kind:     global_buffer
      - .actual_access:  read_only
        .address_space:  global
        .offset:         32
        .size:           8
        .value_kind:     global_buffer
      - .actual_access:  read_only
        .address_space:  global
        .offset:         40
        .size:           8
        .value_kind:     global_buffer
      - .actual_access:  read_only
        .address_space:  global
        .offset:         48
        .size:           8
        .value_kind:     global_buffer
      - .actual_access:  read_only
        .address_space:  global
        .offset:         56
        .size:           8
        .value_kind:     global_buffer
      - .actual_access:  read_only
        .address_space:  global
        .offset:         64
        .size:           8
        .value_kind:     global_buffer
      - .actual_access:  read_only
        .address_space:  global
        .offset:         72
        .size:           8
        .value_kind:     global_buffer
      - .offset:         80
        .size:           4
        .value_kind:     by_value
      - .offset:         84
        .size:           4
        .value_kind:     by_value
      - .offset:         88
        .size:           4
        .value_kind:     by_value
      - .offset:         92
        .size:           4
        .value_kind:     by_value
      - .offset:         96
        .size:           4
        .value_kind:     by_value
      - .offset:         100
        .size:           4
        .value_kind:     by_value
      - .offset:         104
        .size:           4
        .value_kind:     by_value
      - .offset:         108
        .size:           4
        .value_kind:     by_value
      - .offset:         112
        .size:           4
        .value_kind:     by_value
      - .offset:         116
        .size:           4
        .value_kind:     by_value
      - .offset:         120
        .size:           4
        .value_kind:     by_value
      - .offset:         124
        .size:           4
        .value_kind:     by_value
      - .offset:         128
        .size:           4
        .value_kind:     by_value
      - .offset:         132
        .size:           4
        .value_kind:     by_value
      - .offset:         136
        .size:           4
        .value_kind:     by_value
      - .offset:         144
        .size:           4
        .value_kind:     hidden_block_count_x
      - .offset:         148
        .size:           4
        .value_kind:     hidden_block_count_y
      - .offset:         152
        .size:           4
        .value_kind:     hidden_block_count_z
      - .offset:         156
        .size:           2
        .value_kind:     hidden_group_size_x
      - .offset:         158
        .size:           2
        .value_kind:     hidden_group_size_y
      - .offset:         160
        .size:           2
        .value_kind:     hidden_group_size_z
      - .offset:         162
        .size:           2
        .value_kind:     hidden_remainder_x
      - .offset:         164
        .size:           2
        .value_kind:     hidden_remainder_y
      - .offset:         166
        .size:           2
        .value_kind:     hidden_remainder_z
      - .offset:         184
        .size:           8
        .value_kind:     hidden_global_offset_x
      - .offset:         192
        .size:           8
        .value_kind:     hidden_global_offset_y
      - .offset:         200
        .size:           8
        .value_kind:     hidden_global_offset_z
      - .offset:         208
        .size:           2
        .value_kind:     hidden_grid_dims
    .group_segment_fixed_size: 48
    .kernarg_segment_align: 8
    .kernarg_segment_size: 400
    .language:       OpenCL C
    .language_version:
      - 2
      - 0
    .max_flat_workgroup_size: 1024
    .name:           _ZN5aiter35fused_qk_rmsnorm_group_quant_kernelIDF16_DB8_Li256ELi32ELi1ELb0ELb0ELb0ELb0ELb1ELb1EEEvPT0_PvPT_S6_S6_PKS5_S8_S8_S8_S8_ffiiiiiiiiiiiii
    .private_segment_fixed_size: 0
    .sgpr_count:     36
    .sgpr_spill_count: 0
    .symbol:         _ZN5aiter35fused_qk_rmsnorm_group_quant_kernelIDF16_DB8_Li256ELi32ELi1ELb0ELb0ELb0ELb0ELb1ELb1EEEvPT0_PvPT_S6_S6_PKS5_S8_S8_S8_S8_ffiiiiiiiiiiiii.kd
    .uniform_work_group_size: 1
    .uses_dynamic_stack: false
    .vgpr_count:     68
    .vgpr_spill_count: 0
    .wavefront_size: 64
  - .agpr_count:     0
    .args:
      - .actual_access:  write_only
        .address_space:  global
        .offset:         0
        .size:           8
        .value_kind:     global_buffer
      - .actual_access:  write_only
        .address_space:  global
        .offset:         8
        .size:           8
        .value_kind:     global_buffer
      - .actual_access:  read_only
        .address_space:  global
        .offset:         16
        .size:           8
        .value_kind:     global_buffer
      - .actual_access:  write_only
        .address_space:  global
        .offset:         24
        .size:           8
        .value_kind:     global_buffer
      - .actual_access:  read_only
        .address_space:  global
        .offset:         32
        .size:           8
        .value_kind:     global_buffer
      - .actual_access:  read_only
        .address_space:  global
        .offset:         40
        .size:           8
        .value_kind:     global_buffer
      - .actual_access:  read_only
        .address_space:  global
        .offset:         48
        .size:           8
        .value_kind:     global_buffer
      - .actual_access:  read_only
        .address_space:  global
        .offset:         56
        .size:           8
        .value_kind:     global_buffer
      - .actual_access:  read_only
        .address_space:  global
        .offset:         64
        .size:           8
        .value_kind:     global_buffer
      - .actual_access:  read_only
        .address_space:  global
        .offset:         72
        .size:           8
        .value_kind:     global_buffer
      - .offset:         80
        .size:           4
        .value_kind:     by_value
      - .offset:         84
        .size:           4
        .value_kind:     by_value
      - .offset:         88
        .size:           4
        .value_kind:     by_value
      - .offset:         92
        .size:           4
        .value_kind:     by_value
      - .offset:         96
        .size:           4
        .value_kind:     by_value
      - .offset:         100
        .size:           4
        .value_kind:     by_value
      - .offset:         104
        .size:           4
        .value_kind:     by_value
      - .offset:         108
        .size:           4
        .value_kind:     by_value
      - .offset:         112
        .size:           4
        .value_kind:     by_value
      - .offset:         116
        .size:           4
        .value_kind:     by_value
      - .offset:         120
        .size:           4
        .value_kind:     by_value
      - .offset:         124
        .size:           4
        .value_kind:     by_value
      - .offset:         128
        .size:           4
        .value_kind:     by_value
      - .offset:         132
        .size:           4
        .value_kind:     by_value
      - .offset:         136
        .size:           4
        .value_kind:     by_value
      - .offset:         144
        .size:           4
        .value_kind:     hidden_block_count_x
      - .offset:         148
        .size:           4
        .value_kind:     hidden_block_count_y
      - .offset:         152
        .size:           4
        .value_kind:     hidden_block_count_z
      - .offset:         156
        .size:           2
        .value_kind:     hidden_group_size_x
      - .offset:         158
        .size:           2
        .value_kind:     hidden_group_size_y
      - .offset:         160
        .size:           2
        .value_kind:     hidden_group_size_z
      - .offset:         162
        .size:           2
        .value_kind:     hidden_remainder_x
      - .offset:         164
        .size:           2
        .value_kind:     hidden_remainder_y
      - .offset:         166
        .size:           2
        .value_kind:     hidden_remainder_z
      - .offset:         184
        .size:           8
        .value_kind:     hidden_global_offset_x
      - .offset:         192
        .size:           8
        .value_kind:     hidden_global_offset_y
      - .offset:         200
        .size:           8
        .value_kind:     hidden_global_offset_z
      - .offset:         208
        .size:           2
        .value_kind:     hidden_grid_dims
    .group_segment_fixed_size: 48
    .kernarg_segment_align: 8
    .kernarg_segment_size: 400
    .language:       OpenCL C
    .language_version:
      - 2
      - 0
    .max_flat_workgroup_size: 1024
    .name:           _ZN5aiter35fused_qk_rmsnorm_group_quant_kernelItDB8_Li256ELi32ELi1ELb0ELb0ELb0ELb0ELb1ELb1EEEvPT0_PvPT_S6_S6_PKS5_S8_S8_S8_S8_ffiiiiiiiiiiiii
    .private_segment_fixed_size: 0
    .sgpr_count:     36
    .sgpr_spill_count: 0
    .symbol:         _ZN5aiter35fused_qk_rmsnorm_group_quant_kernelItDB8_Li256ELi32ELi1ELb0ELb0ELb0ELb0ELb1ELb1EEEvPT0_PvPT_S6_S6_PKS5_S8_S8_S8_S8_ffiiiiiiiiiiiii.kd
    .uniform_work_group_size: 1
    .uses_dynamic_stack: false
    .vgpr_count:     68
    .vgpr_spill_count: 0
    .wavefront_size: 64
  - .agpr_count:     0
    .args:
      - .actual_access:  read_only
        .address_space:  global
        .offset:         0
        .size:           8
        .value_kind:     global_buffer
      - .actual_access:  read_only
        .address_space:  global
        .offset:         8
        .size:           8
        .value_kind:     global_buffer
      - .actual_access:  write_only
        .address_space:  global
        .offset:         16
        .size:           8
        .value_kind:     global_buffer
      - .actual_access:  write_only
        .address_space:  global
        .offset:         24
        .size:           8
        .value_kind:     global_buffer
      - .actual_access:  write_only
        .address_space:  global
        .offset:         32
        .size:           8
        .value_kind:     global_buffer
      - .actual_access:  read_only
        .address_space:  global
        .offset:         40
        .size:           8
        .value_kind:     global_buffer
      - .actual_access:  read_only
        .address_space:  global
        .offset:         48
        .size:           8
        .value_kind:     global_buffer
      - .actual_access:  read_only
        .address_space:  global
        .offset:         56
        .size:           8
        .value_kind:     global_buffer
      - .actual_access:  read_only
        .address_space:  global
        .offset:         64
        .size:           8
        .value_kind:     global_buffer
      - .actual_access:  read_only
        .address_space:  global
        .offset:         72
        .size:           8
        .value_kind:     global_buffer
      - .offset:         80
        .size:           4
        .value_kind:     by_value
      - .offset:         84
        .size:           4
        .value_kind:     by_value
      - .offset:         88
        .size:           4
        .value_kind:     by_value
      - .offset:         92
        .size:           4
        .value_kind:     by_value
      - .offset:         96
        .size:           4
        .value_kind:     by_value
      - .offset:         100
        .size:           4
        .value_kind:     by_value
      - .offset:         104
        .size:           4
        .value_kind:     by_value
      - .offset:         108
        .size:           4
        .value_kind:     by_value
      - .offset:         112
        .size:           4
        .value_kind:     by_value
      - .offset:         116
        .size:           4
        .value_kind:     by_value
      - .offset:         120
        .size:           4
        .value_kind:     by_value
      - .offset:         124
        .size:           4
        .value_kind:     by_value
      - .offset:         128
        .size:           4
        .value_kind:     by_value
      - .offset:         132
        .size:           4
        .value_kind:     by_value
      - .offset:         136
        .size:           4
        .value_kind:     by_value
      - .offset:         144
        .size:           4
        .value_kind:     hidden_block_count_x
      - .offset:         148
        .size:           4
        .value_kind:     hidden_block_count_y
      - .offset:         152
        .size:           4
        .value_kind:     hidden_block_count_z
      - .offset:         156
        .size:           2
        .value_kind:     hidden_group_size_x
      - .offset:         158
        .size:           2
        .value_kind:     hidden_group_size_y
      - .offset:         160
        .size:           2
        .value_kind:     hidden_group_size_z
      - .offset:         162
        .size:           2
        .value_kind:     hidden_remainder_x
      - .offset:         164
        .size:           2
        .value_kind:     hidden_remainder_y
      - .offset:         166
        .size:           2
        .value_kind:     hidden_remainder_z
      - .offset:         184
        .size:           8
        .value_kind:     hidden_global_offset_x
      - .offset:         192
        .size:           8
        .value_kind:     hidden_global_offset_y
      - .offset:         200
        .size:           8
        .value_kind:     hidden_global_offset_z
      - .offset:         208
        .size:           2
        .value_kind:     hidden_grid_dims
    .group_segment_fixed_size: 0
    .kernarg_segment_align: 8
    .kernarg_segment_size: 400
    .language:       OpenCL C
    .language_version:
      - 2
      - 0
    .max_flat_workgroup_size: 1024
    .name:           _ZN5aiter35fused_qk_rmsnorm_group_quant_kernelIDF16_DB8_Li64ELi8ELi16ELb1ELb1ELb1ELb1ELb0ELb0EEEvPT0_PvPT_S6_S6_PKS5_S8_S8_S8_S8_ffiiiiiiiiiiiii
    .private_segment_fixed_size: 0
    .sgpr_count:     36
    .sgpr_spill_count: 0
    .symbol:         _ZN5aiter35fused_qk_rmsnorm_group_quant_kernelIDF16_DB8_Li64ELi8ELi16ELb1ELb1ELb1ELb1ELb0ELb0EEEvPT0_PvPT_S6_S6_PKS5_S8_S8_S8_S8_ffiiiiiiiiiiiii.kd
    .uniform_work_group_size: 1
    .uses_dynamic_stack: false
    .vgpr_count:     25
    .vgpr_spill_count: 0
    .wavefront_size: 64
  - .agpr_count:     0
    .args:
      - .actual_access:  read_only
        .address_space:  global
        .offset:         0
        .size:           8
        .value_kind:     global_buffer
      - .actual_access:  read_only
        .address_space:  global
        .offset:         8
        .size:           8
        .value_kind:     global_buffer
      - .actual_access:  write_only
        .address_space:  global
        .offset:         16
        .size:           8
        .value_kind:     global_buffer
      - .actual_access:  write_only
        .address_space:  global
        .offset:         24
        .size:           8
        .value_kind:     global_buffer
      - .actual_access:  write_only
        .address_space:  global
        .offset:         32
        .size:           8
        .value_kind:     global_buffer
      - .actual_access:  read_only
        .address_space:  global
        .offset:         40
        .size:           8
        .value_kind:     global_buffer
      - .actual_access:  read_only
        .address_space:  global
        .offset:         48
        .size:           8
        .value_kind:     global_buffer
      - .actual_access:  read_only
        .address_space:  global
        .offset:         56
        .size:           8
        .value_kind:     global_buffer
      - .actual_access:  read_only
        .address_space:  global
        .offset:         64
        .size:           8
        .value_kind:     global_buffer
      - .actual_access:  read_only
        .address_space:  global
        .offset:         72
        .size:           8
        .value_kind:     global_buffer
      - .offset:         80
        .size:           4
        .value_kind:     by_value
      - .offset:         84
        .size:           4
        .value_kind:     by_value
      - .offset:         88
        .size:           4
        .value_kind:     by_value
      - .offset:         92
        .size:           4
        .value_kind:     by_value
      - .offset:         96
        .size:           4
        .value_kind:     by_value
      - .offset:         100
        .size:           4
        .value_kind:     by_value
      - .offset:         104
        .size:           4
        .value_kind:     by_value
      - .offset:         108
        .size:           4
        .value_kind:     by_value
      - .offset:         112
        .size:           4
        .value_kind:     by_value
      - .offset:         116
        .size:           4
        .value_kind:     by_value
      - .offset:         120
        .size:           4
        .value_kind:     by_value
      - .offset:         124
        .size:           4
        .value_kind:     by_value
      - .offset:         128
        .size:           4
        .value_kind:     by_value
      - .offset:         132
        .size:           4
        .value_kind:     by_value
      - .offset:         136
        .size:           4
        .value_kind:     by_value
      - .offset:         144
        .size:           4
        .value_kind:     hidden_block_count_x
      - .offset:         148
        .size:           4
        .value_kind:     hidden_block_count_y
      - .offset:         152
        .size:           4
        .value_kind:     hidden_block_count_z
      - .offset:         156
        .size:           2
        .value_kind:     hidden_group_size_x
      - .offset:         158
        .size:           2
        .value_kind:     hidden_group_size_y
      - .offset:         160
        .size:           2
        .value_kind:     hidden_group_size_z
      - .offset:         162
        .size:           2
        .value_kind:     hidden_remainder_x
      - .offset:         164
        .size:           2
        .value_kind:     hidden_remainder_y
      - .offset:         166
        .size:           2
        .value_kind:     hidden_remainder_z
      - .offset:         184
        .size:           8
        .value_kind:     hidden_global_offset_x
      - .offset:         192
        .size:           8
        .value_kind:     hidden_global_offset_y
      - .offset:         200
        .size:           8
        .value_kind:     hidden_global_offset_z
      - .offset:         208
        .size:           2
        .value_kind:     hidden_grid_dims
    .group_segment_fixed_size: 0
    .kernarg_segment_align: 8
    .kernarg_segment_size: 400
    .language:       OpenCL C
    .language_version:
      - 2
      - 0
    .max_flat_workgroup_size: 1024
    .name:           _ZN5aiter35fused_qk_rmsnorm_group_quant_kernelItDB8_Li64ELi8ELi16ELb1ELb1ELb1ELb1ELb0ELb0EEEvPT0_PvPT_S6_S6_PKS5_S8_S8_S8_S8_ffiiiiiiiiiiiii
    .private_segment_fixed_size: 0
    .sgpr_count:     48
    .sgpr_spill_count: 0
    .symbol:         _ZN5aiter35fused_qk_rmsnorm_group_quant_kernelItDB8_Li64ELi8ELi16ELb1ELb1ELb1ELb1ELb0ELb0EEEvPT0_PvPT_S6_S6_PKS5_S8_S8_S8_S8_ffiiiiiiiiiiiii.kd
    .uniform_work_group_size: 1
    .uses_dynamic_stack: false
    .vgpr_count:     27
    .vgpr_spill_count: 0
    .wavefront_size: 64
  - .agpr_count:     0
    .args:
      - .actual_access:  read_only
        .address_space:  global
        .offset:         0
        .size:           8
        .value_kind:     global_buffer
      - .actual_access:  read_only
        .address_space:  global
        .offset:         8
        .size:           8
        .value_kind:     global_buffer
      - .actual_access:  write_only
        .address_space:  global
        .offset:         16
        .size:           8
        .value_kind:     global_buffer
      - .actual_access:  write_only
        .address_space:  global
        .offset:         24
        .size:           8
        .value_kind:     global_buffer
      - .actual_access:  write_only
        .address_space:  global
        .offset:         32
        .size:           8
        .value_kind:     global_buffer
      - .actual_access:  read_only
        .address_space:  global
        .offset:         40
        .size:           8
        .value_kind:     global_buffer
      - .actual_access:  read_only
        .address_space:  global
        .offset:         48
        .size:           8
        .value_kind:     global_buffer
      - .actual_access:  read_only
        .address_space:  global
        .offset:         56
        .size:           8
        .value_kind:     global_buffer
      - .actual_access:  read_only
        .address_space:  global
        .offset:         64
        .size:           8
        .value_kind:     global_buffer
      - .actual_access:  read_only
        .address_space:  global
        .offset:         72
        .size:           8
        .value_kind:     global_buffer
      - .offset:         80
        .size:           4
        .value_kind:     by_value
      - .offset:         84
        .size:           4
        .value_kind:     by_value
      - .offset:         88
        .size:           4
        .value_kind:     by_value
      - .offset:         92
        .size:           4
        .value_kind:     by_value
      - .offset:         96
        .size:           4
        .value_kind:     by_value
      - .offset:         100
        .size:           4
        .value_kind:     by_value
      - .offset:         104
        .size:           4
        .value_kind:     by_value
      - .offset:         108
        .size:           4
        .value_kind:     by_value
      - .offset:         112
        .size:           4
        .value_kind:     by_value
      - .offset:         116
        .size:           4
        .value_kind:     by_value
      - .offset:         120
        .size:           4
        .value_kind:     by_value
      - .offset:         124
        .size:           4
        .value_kind:     by_value
      - .offset:         128
        .size:           4
        .value_kind:     by_value
      - .offset:         132
        .size:           4
        .value_kind:     by_value
      - .offset:         136
        .size:           4
        .value_kind:     by_value
      - .offset:         144
        .size:           4
        .value_kind:     hidden_block_count_x
      - .offset:         148
        .size:           4
        .value_kind:     hidden_block_count_y
      - .offset:         152
        .size:           4
        .value_kind:     hidden_block_count_z
      - .offset:         156
        .size:           2
        .value_kind:     hidden_group_size_x
      - .offset:         158
        .size:           2
        .value_kind:     hidden_group_size_y
      - .offset:         160
        .size:           2
        .value_kind:     hidden_group_size_z
      - .offset:         162
        .size:           2
        .value_kind:     hidden_remainder_x
      - .offset:         164
        .size:           2
        .value_kind:     hidden_remainder_y
      - .offset:         166
        .size:           2
        .value_kind:     hidden_remainder_z
      - .offset:         184
        .size:           8
        .value_kind:     hidden_global_offset_x
      - .offset:         192
        .size:           8
        .value_kind:     hidden_global_offset_y
      - .offset:         200
        .size:           8
        .value_kind:     hidden_global_offset_z
      - .offset:         208
        .size:           2
        .value_kind:     hidden_grid_dims
    .group_segment_fixed_size: 0
    .kernarg_segment_align: 8
    .kernarg_segment_size: 400
    .language:       OpenCL C
    .language_version:
      - 2
      - 0
    .max_flat_workgroup_size: 1024
    .name:           _ZN5aiter35fused_qk_rmsnorm_group_quant_kernelIDF16_N4opus5fp4_tELi64ELi8ELi16ELb1ELb1ELb1ELb1ELb0ELb0EEEvPT0_PvPT_S7_S7_PKS6_S9_S9_S9_S9_ffiiiiiiiiiiiii
    .private_segment_fixed_size: 0
    .sgpr_count:     36
    .sgpr_spill_count: 0
    .symbol:         _ZN5aiter35fused_qk_rmsnorm_group_quant_kernelIDF16_N4opus5fp4_tELi64ELi8ELi16ELb1ELb1ELb1ELb1ELb0ELb0EEEvPT0_PvPT_S7_S7_PKS6_S9_S9_S9_S9_ffiiiiiiiiiiiii.kd
    .uniform_work_group_size: 1
    .uses_dynamic_stack: false
    .vgpr_count:     25
    .vgpr_spill_count: 0
    .wavefront_size: 64
  - .agpr_count:     0
    .args:
      - .actual_access:  read_only
        .address_space:  global
        .offset:         0
        .size:           8
        .value_kind:     global_buffer
      - .actual_access:  read_only
        .address_space:  global
        .offset:         8
        .size:           8
        .value_kind:     global_buffer
      - .actual_access:  write_only
        .address_space:  global
        .offset:         16
        .size:           8
        .value_kind:     global_buffer
      - .actual_access:  write_only
        .address_space:  global
        .offset:         24
        .size:           8
        .value_kind:     global_buffer
      - .actual_access:  write_only
        .address_space:  global
        .offset:         32
        .size:           8
        .value_kind:     global_buffer
      - .actual_access:  read_only
        .address_space:  global
        .offset:         40
        .size:           8
        .value_kind:     global_buffer
      - .actual_access:  read_only
        .address_space:  global
        .offset:         48
        .size:           8
        .value_kind:     global_buffer
      - .actual_access:  read_only
        .address_space:  global
        .offset:         56
        .size:           8
        .value_kind:     global_buffer
      - .actual_access:  read_only
        .address_space:  global
        .offset:         64
        .size:           8
        .value_kind:     global_buffer
      - .actual_access:  read_only
        .address_space:  global
        .offset:         72
        .size:           8
        .value_kind:     global_buffer
      - .offset:         80
        .size:           4
        .value_kind:     by_value
      - .offset:         84
        .size:           4
        .value_kind:     by_value
      - .offset:         88
        .size:           4
        .value_kind:     by_value
      - .offset:         92
        .size:           4
        .value_kind:     by_value
      - .offset:         96
        .size:           4
        .value_kind:     by_value
      - .offset:         100
        .size:           4
        .value_kind:     by_value
      - .offset:         104
        .size:           4
        .value_kind:     by_value
      - .offset:         108
        .size:           4
        .value_kind:     by_value
      - .offset:         112
        .size:           4
        .value_kind:     by_value
      - .offset:         116
        .size:           4
        .value_kind:     by_value
      - .offset:         120
        .size:           4
        .value_kind:     by_value
      - .offset:         124
        .size:           4
        .value_kind:     by_value
      - .offset:         128
        .size:           4
        .value_kind:     by_value
      - .offset:         132
        .size:           4
        .value_kind:     by_value
      - .offset:         136
        .size:           4
        .value_kind:     by_value
      - .offset:         144
        .size:           4
        .value_kind:     hidden_block_count_x
      - .offset:         148
        .size:           4
        .value_kind:     hidden_block_count_y
      - .offset:         152
        .size:           4
        .value_kind:     hidden_block_count_z
      - .offset:         156
        .size:           2
        .value_kind:     hidden_group_size_x
      - .offset:         158
        .size:           2
        .value_kind:     hidden_group_size_y
      - .offset:         160
        .size:           2
        .value_kind:     hidden_group_size_z
      - .offset:         162
        .size:           2
        .value_kind:     hidden_remainder_x
      - .offset:         164
        .size:           2
        .value_kind:     hidden_remainder_y
      - .offset:         166
        .size:           2
        .value_kind:     hidden_remainder_z
      - .offset:         184
        .size:           8
        .value_kind:     hidden_global_offset_x
      - .offset:         192
        .size:           8
        .value_kind:     hidden_global_offset_y
      - .offset:         200
        .size:           8
        .value_kind:     hidden_global_offset_z
      - .offset:         208
        .size:           2
        .value_kind:     hidden_grid_dims
    .group_segment_fixed_size: 0
    .kernarg_segment_align: 8
    .kernarg_segment_size: 400
    .language:       OpenCL C
    .language_version:
      - 2
      - 0
    .max_flat_workgroup_size: 1024
    .name:           _ZN5aiter35fused_qk_rmsnorm_group_quant_kernelItN4opus5fp4_tELi64ELi8ELi16ELb1ELb1ELb1ELb1ELb0ELb0EEEvPT0_PvPT_S7_S7_PKS6_S9_S9_S9_S9_ffiiiiiiiiiiiii
    .private_segment_fixed_size: 0
    .sgpr_count:     48
    .sgpr_spill_count: 0
    .symbol:         _ZN5aiter35fused_qk_rmsnorm_group_quant_kernelItN4opus5fp4_tELi64ELi8ELi16ELb1ELb1ELb1ELb1ELb0ELb0EEEvPT0_PvPT_S7_S7_PKS6_S9_S9_S9_S9_ffiiiiiiiiiiiii.kd
    .uniform_work_group_size: 1
    .uses_dynamic_stack: false
    .vgpr_count:     27
    .vgpr_spill_count: 0
    .wavefront_size: 64
  - .agpr_count:     0
    .args:
      - .actual_access:  read_only
        .address_space:  global
        .offset:         0
        .size:           8
        .value_kind:     global_buffer
      - .actual_access:  read_only
        .address_space:  global
        .offset:         8
        .size:           8
        .value_kind:     global_buffer
      - .actual_access:  write_only
        .address_space:  global
        .offset:         16
        .size:           8
        .value_kind:     global_buffer
      - .actual_access:  write_only
        .address_space:  global
        .offset:         24
        .size:           8
        .value_kind:     global_buffer
      - .actual_access:  write_only
        .address_space:  global
        .offset:         32
        .size:           8
        .value_kind:     global_buffer
      - .actual_access:  read_only
        .address_space:  global
        .offset:         40
        .size:           8
        .value_kind:     global_buffer
      - .actual_access:  read_only
        .address_space:  global
        .offset:         48
        .size:           8
        .value_kind:     global_buffer
      - .actual_access:  read_only
        .address_space:  global
        .offset:         56
        .size:           8
        .value_kind:     global_buffer
      - .actual_access:  read_only
        .address_space:  global
        .offset:         64
        .size:           8
        .value_kind:     global_buffer
      - .actual_access:  read_only
        .address_space:  global
        .offset:         72
        .size:           8
        .value_kind:     global_buffer
      - .offset:         80
        .size:           4
        .value_kind:     by_value
      - .offset:         84
        .size:           4
        .value_kind:     by_value
      - .offset:         88
        .size:           4
        .value_kind:     by_value
      - .offset:         92
        .size:           4
        .value_kind:     by_value
      - .offset:         96
        .size:           4
        .value_kind:     by_value
      - .offset:         100
        .size:           4
        .value_kind:     by_value
      - .offset:         104
        .size:           4
        .value_kind:     by_value
      - .offset:         108
        .size:           4
        .value_kind:     by_value
      - .offset:         112
        .size:           4
        .value_kind:     by_value
      - .offset:         116
        .size:           4
        .value_kind:     by_value
      - .offset:         120
        .size:           4
        .value_kind:     by_value
      - .offset:         124
        .size:           4
        .value_kind:     by_value
      - .offset:         128
        .size:           4
        .value_kind:     by_value
      - .offset:         132
        .size:           4
        .value_kind:     by_value
      - .offset:         136
        .size:           4
        .value_kind:     by_value
      - .offset:         144
        .size:           4
        .value_kind:     hidden_block_count_x
      - .offset:         148
        .size:           4
        .value_kind:     hidden_block_count_y
      - .offset:         152
        .size:           4
        .value_kind:     hidden_block_count_z
      - .offset:         156
        .size:           2
        .value_kind:     hidden_group_size_x
      - .offset:         158
        .size:           2
        .value_kind:     hidden_group_size_y
      - .offset:         160
        .size:           2
        .value_kind:     hidden_group_size_z
      - .offset:         162
        .size:           2
        .value_kind:     hidden_remainder_x
      - .offset:         164
        .size:           2
        .value_kind:     hidden_remainder_y
      - .offset:         166
        .size:           2
        .value_kind:     hidden_remainder_z
      - .offset:         184
        .size:           8
        .value_kind:     hidden_global_offset_x
      - .offset:         192
        .size:           8
        .value_kind:     hidden_global_offset_y
      - .offset:         200
        .size:           8
        .value_kind:     hidden_global_offset_z
      - .offset:         208
        .size:           2
        .value_kind:     hidden_grid_dims
    .group_segment_fixed_size: 0
    .kernarg_segment_align: 8
    .kernarg_segment_size: 400
    .language:       OpenCL C
    .language_version:
      - 2
      - 0
    .max_flat_workgroup_size: 1024
    .name:           _ZN5aiter35fused_qk_rmsnorm_group_quant_kernelIDF16_DB8_Li64ELi8ELi16ELb1ELb1ELb0ELb1ELb0ELb0EEEvPT0_PvPT_S6_S6_PKS5_S8_S8_S8_S8_ffiiiiiiiiiiiii
    .private_segment_fixed_size: 0
    .sgpr_count:     36
    .sgpr_spill_count: 0
    .symbol:         _ZN5aiter35fused_qk_rmsnorm_group_quant_kernelIDF16_DB8_Li64ELi8ELi16ELb1ELb1ELb0ELb1ELb0ELb0EEEvPT0_PvPT_S6_S6_PKS5_S8_S8_S8_S8_ffiiiiiiiiiiiii.kd
    .uniform_work_group_size: 1
    .uses_dynamic_stack: false
    .vgpr_count:     27
    .vgpr_spill_count: 0
    .wavefront_size: 64
  - .agpr_count:     0
    .args:
      - .actual_access:  read_only
        .address_space:  global
        .offset:         0
        .size:           8
        .value_kind:     global_buffer
      - .actual_access:  read_only
        .address_space:  global
        .offset:         8
        .size:           8
        .value_kind:     global_buffer
      - .actual_access:  write_only
        .address_space:  global
        .offset:         16
        .size:           8
        .value_kind:     global_buffer
      - .actual_access:  write_only
        .address_space:  global
        .offset:         24
        .size:           8
        .value_kind:     global_buffer
      - .actual_access:  write_only
        .address_space:  global
        .offset:         32
        .size:           8
        .value_kind:     global_buffer
      - .actual_access:  read_only
        .address_space:  global
        .offset:         40
        .size:           8
        .value_kind:     global_buffer
      - .actual_access:  read_only
        .address_space:  global
        .offset:         48
        .size:           8
        .value_kind:     global_buffer
      - .actual_access:  read_only
        .address_space:  global
        .offset:         56
        .size:           8
        .value_kind:     global_buffer
      - .actual_access:  read_only
        .address_space:  global
        .offset:         64
        .size:           8
        .value_kind:     global_buffer
      - .actual_access:  read_only
        .address_space:  global
        .offset:         72
        .size:           8
        .value_kind:     global_buffer
      - .offset:         80
        .size:           4
        .value_kind:     by_value
      - .offset:         84
        .size:           4
        .value_kind:     by_value
      - .offset:         88
        .size:           4
        .value_kind:     by_value
      - .offset:         92
        .size:           4
        .value_kind:     by_value
      - .offset:         96
        .size:           4
        .value_kind:     by_value
      - .offset:         100
        .size:           4
        .value_kind:     by_value
      - .offset:         104
        .size:           4
        .value_kind:     by_value
      - .offset:         108
        .size:           4
        .value_kind:     by_value
      - .offset:         112
        .size:           4
        .value_kind:     by_value
      - .offset:         116
        .size:           4
        .value_kind:     by_value
      - .offset:         120
        .size:           4
        .value_kind:     by_value
      - .offset:         124
        .size:           4
        .value_kind:     by_value
      - .offset:         128
        .size:           4
        .value_kind:     by_value
      - .offset:         132
        .size:           4
        .value_kind:     by_value
      - .offset:         136
        .size:           4
        .value_kind:     by_value
      - .offset:         144
        .size:           4
        .value_kind:     hidden_block_count_x
      - .offset:         148
        .size:           4
        .value_kind:     hidden_block_count_y
      - .offset:         152
        .size:           4
        .value_kind:     hidden_block_count_z
      - .offset:         156
        .size:           2
        .value_kind:     hidden_group_size_x
      - .offset:         158
        .size:           2
        .value_kind:     hidden_group_size_y
      - .offset:         160
        .size:           2
        .value_kind:     hidden_group_size_z
      - .offset:         162
        .size:           2
        .value_kind:     hidden_remainder_x
      - .offset:         164
        .size:           2
        .value_kind:     hidden_remainder_y
      - .offset:         166
        .size:           2
        .value_kind:     hidden_remainder_z
      - .offset:         184
        .size:           8
        .value_kind:     hidden_global_offset_x
      - .offset:         192
        .size:           8
        .value_kind:     hidden_global_offset_y
      - .offset:         200
        .size:           8
        .value_kind:     hidden_global_offset_z
      - .offset:         208
        .size:           2
        .value_kind:     hidden_grid_dims
    .group_segment_fixed_size: 0
    .kernarg_segment_align: 8
    .kernarg_segment_size: 400
    .language:       OpenCL C
    .language_version:
      - 2
      - 0
    .max_flat_workgroup_size: 1024
    .name:           _ZN5aiter35fused_qk_rmsnorm_group_quant_kernelItDB8_Li64ELi8ELi16ELb1ELb1ELb0ELb1ELb0ELb0EEEvPT0_PvPT_S6_S6_PKS5_S8_S8_S8_S8_ffiiiiiiiiiiiii
    .private_segment_fixed_size: 0
    .sgpr_count:     48
    .sgpr_spill_count: 0
    .symbol:         _ZN5aiter35fused_qk_rmsnorm_group_quant_kernelItDB8_Li64ELi8ELi16ELb1ELb1ELb0ELb1ELb0ELb0EEEvPT0_PvPT_S6_S6_PKS5_S8_S8_S8_S8_ffiiiiiiiiiiiii.kd
    .uniform_work_group_size: 1
    .uses_dynamic_stack: false
    .vgpr_count:     27
    .vgpr_spill_count: 0
    .wavefront_size: 64
  - .agpr_count:     0
    .args:
      - .actual_access:  read_only
        .address_space:  global
        .offset:         0
        .size:           8
        .value_kind:     global_buffer
      - .actual_access:  read_only
        .address_space:  global
        .offset:         8
        .size:           8
        .value_kind:     global_buffer
      - .actual_access:  write_only
        .address_space:  global
        .offset:         16
        .size:           8
        .value_kind:     global_buffer
      - .actual_access:  write_only
        .address_space:  global
        .offset:         24
        .size:           8
        .value_kind:     global_buffer
      - .actual_access:  write_only
        .address_space:  global
        .offset:         32
        .size:           8
        .value_kind:     global_buffer
      - .actual_access:  read_only
        .address_space:  global
        .offset:         40
        .size:           8
        .value_kind:     global_buffer
      - .actual_access:  read_only
        .address_space:  global
        .offset:         48
        .size:           8
        .value_kind:     global_buffer
      - .actual_access:  read_only
        .address_space:  global
        .offset:         56
        .size:           8
        .value_kind:     global_buffer
      - .actual_access:  read_only
        .address_space:  global
        .offset:         64
        .size:           8
        .value_kind:     global_buffer
      - .actual_access:  read_only
        .address_space:  global
        .offset:         72
        .size:           8
        .value_kind:     global_buffer
      - .offset:         80
        .size:           4
        .value_kind:     by_value
      - .offset:         84
        .size:           4
        .value_kind:     by_value
      - .offset:         88
        .size:           4
        .value_kind:     by_value
      - .offset:         92
        .size:           4
        .value_kind:     by_value
      - .offset:         96
        .size:           4
        .value_kind:     by_value
      - .offset:         100
        .size:           4
        .value_kind:     by_value
      - .offset:         104
        .size:           4
        .value_kind:     by_value
      - .offset:         108
        .size:           4
        .value_kind:     by_value
      - .offset:         112
        .size:           4
        .value_kind:     by_value
      - .offset:         116
        .size:           4
        .value_kind:     by_value
      - .offset:         120
        .size:           4
        .value_kind:     by_value
      - .offset:         124
        .size:           4
        .value_kind:     by_value
      - .offset:         128
        .size:           4
        .value_kind:     by_value
      - .offset:         132
        .size:           4
        .value_kind:     by_value
      - .offset:         136
        .size:           4
        .value_kind:     by_value
      - .offset:         144
        .size:           4
        .value_kind:     hidden_block_count_x
      - .offset:         148
        .size:           4
        .value_kind:     hidden_block_count_y
      - .offset:         152
        .size:           4
        .value_kind:     hidden_block_count_z
      - .offset:         156
        .size:           2
        .value_kind:     hidden_group_size_x
      - .offset:         158
        .size:           2
        .value_kind:     hidden_group_size_y
      - .offset:         160
        .size:           2
        .value_kind:     hidden_group_size_z
      - .offset:         162
        .size:           2
        .value_kind:     hidden_remainder_x
      - .offset:         164
        .size:           2
        .value_kind:     hidden_remainder_y
      - .offset:         166
        .size:           2
        .value_kind:     hidden_remainder_z
      - .offset:         184
        .size:           8
        .value_kind:     hidden_global_offset_x
      - .offset:         192
        .size:           8
        .value_kind:     hidden_global_offset_y
      - .offset:         200
        .size:           8
        .value_kind:     hidden_global_offset_z
      - .offset:         208
        .size:           2
        .value_kind:     hidden_grid_dims
    .group_segment_fixed_size: 0
    .kernarg_segment_align: 8
    .kernarg_segment_size: 400
    .language:       OpenCL C
    .language_version:
      - 2
      - 0
    .max_flat_workgroup_size: 1024
    .name:           _ZN5aiter35fused_qk_rmsnorm_group_quant_kernelIDF16_N4opus5fp4_tELi64ELi8ELi16ELb1ELb1ELb0ELb1ELb0ELb0EEEvPT0_PvPT_S7_S7_PKS6_S9_S9_S9_S9_ffiiiiiiiiiiiii
    .private_segment_fixed_size: 0
    .sgpr_count:     36
    .sgpr_spill_count: 0
    .symbol:         _ZN5aiter35fused_qk_rmsnorm_group_quant_kernelIDF16_N4opus5fp4_tELi64ELi8ELi16ELb1ELb1ELb0ELb1ELb0ELb0EEEvPT0_PvPT_S7_S7_PKS6_S9_S9_S9_S9_ffiiiiiiiiiiiii.kd
    .uniform_work_group_size: 1
    .uses_dynamic_stack: false
    .vgpr_count:     27
    .vgpr_spill_count: 0
    .wavefront_size: 64
  - .agpr_count:     0
    .args:
      - .actual_access:  read_only
        .address_space:  global
        .offset:         0
        .size:           8
        .value_kind:     global_buffer
      - .actual_access:  read_only
        .address_space:  global
        .offset:         8
        .size:           8
        .value_kind:     global_buffer
      - .actual_access:  write_only
        .address_space:  global
        .offset:         16
        .size:           8
        .value_kind:     global_buffer
      - .actual_access:  write_only
        .address_space:  global
        .offset:         24
        .size:           8
        .value_kind:     global_buffer
      - .actual_access:  write_only
        .address_space:  global
        .offset:         32
        .size:           8
        .value_kind:     global_buffer
      - .actual_access:  read_only
        .address_space:  global
        .offset:         40
        .size:           8
        .value_kind:     global_buffer
      - .actual_access:  read_only
        .address_space:  global
        .offset:         48
        .size:           8
        .value_kind:     global_buffer
      - .actual_access:  read_only
        .address_space:  global
        .offset:         56
        .size:           8
        .value_kind:     global_buffer
      - .actual_access:  read_only
        .address_space:  global
        .offset:         64
        .size:           8
        .value_kind:     global_buffer
      - .actual_access:  read_only
        .address_space:  global
        .offset:         72
        .size:           8
        .value_kind:     global_buffer
      - .offset:         80
        .size:           4
        .value_kind:     by_value
      - .offset:         84
        .size:           4
        .value_kind:     by_value
      - .offset:         88
        .size:           4
        .value_kind:     by_value
      - .offset:         92
        .size:           4
        .value_kind:     by_value
      - .offset:         96
        .size:           4
        .value_kind:     by_value
      - .offset:         100
        .size:           4
        .value_kind:     by_value
      - .offset:         104
        .size:           4
        .value_kind:     by_value
      - .offset:         108
        .size:           4
        .value_kind:     by_value
      - .offset:         112
        .size:           4
        .value_kind:     by_value
      - .offset:         116
        .size:           4
        .value_kind:     by_value
      - .offset:         120
        .size:           4
        .value_kind:     by_value
      - .offset:         124
        .size:           4
        .value_kind:     by_value
      - .offset:         128
        .size:           4
        .value_kind:     by_value
      - .offset:         132
        .size:           4
        .value_kind:     by_value
      - .offset:         136
        .size:           4
        .value_kind:     by_value
      - .offset:         144
        .size:           4
        .value_kind:     hidden_block_count_x
      - .offset:         148
        .size:           4
        .value_kind:     hidden_block_count_y
      - .offset:         152
        .size:           4
        .value_kind:     hidden_block_count_z
      - .offset:         156
        .size:           2
        .value_kind:     hidden_group_size_x
      - .offset:         158
        .size:           2
        .value_kind:     hidden_group_size_y
      - .offset:         160
        .size:           2
        .value_kind:     hidden_group_size_z
      - .offset:         162
        .size:           2
        .value_kind:     hidden_remainder_x
      - .offset:         164
        .size:           2
        .value_kind:     hidden_remainder_y
      - .offset:         166
        .size:           2
        .value_kind:     hidden_remainder_z
      - .offset:         184
        .size:           8
        .value_kind:     hidden_global_offset_x
      - .offset:         192
        .size:           8
        .value_kind:     hidden_global_offset_y
      - .offset:         200
        .size:           8
        .value_kind:     hidden_global_offset_z
      - .offset:         208
        .size:           2
        .value_kind:     hidden_grid_dims
    .group_segment_fixed_size: 0
    .kernarg_segment_align: 8
    .kernarg_segment_size: 400
    .language:       OpenCL C
    .language_version:
      - 2
      - 0
    .max_flat_workgroup_size: 1024
    .name:           _ZN5aiter35fused_qk_rmsnorm_group_quant_kernelItN4opus5fp4_tELi64ELi8ELi16ELb1ELb1ELb0ELb1ELb0ELb0EEEvPT0_PvPT_S7_S7_PKS6_S9_S9_S9_S9_ffiiiiiiiiiiiii
    .private_segment_fixed_size: 0
    .sgpr_count:     48
    .sgpr_spill_count: 0
    .symbol:         _ZN5aiter35fused_qk_rmsnorm_group_quant_kernelItN4opus5fp4_tELi64ELi8ELi16ELb1ELb1ELb0ELb1ELb0ELb0EEEvPT0_PvPT_S7_S7_PKS6_S9_S9_S9_S9_ffiiiiiiiiiiiii.kd
    .uniform_work_group_size: 1
    .uses_dynamic_stack: false
    .vgpr_count:     27
    .vgpr_spill_count: 0
    .wavefront_size: 64
  - .agpr_count:     0
    .args:
      - .actual_access:  read_only
        .address_space:  global
        .offset:         0
        .size:           8
        .value_kind:     global_buffer
      - .actual_access:  read_only
        .address_space:  global
        .offset:         8
        .size:           8
        .value_kind:     global_buffer
      - .actual_access:  write_only
        .address_space:  global
        .offset:         16
        .size:           8
        .value_kind:     global_buffer
      - .actual_access:  write_only
        .address_space:  global
        .offset:         24
        .size:           8
        .value_kind:     global_buffer
      - .actual_access:  read_only
        .address_space:  global
        .offset:         32
        .size:           8
        .value_kind:     global_buffer
      - .actual_access:  read_only
        .address_space:  global
        .offset:         40
        .size:           8
        .value_kind:     global_buffer
      - .actual_access:  read_only
        .address_space:  global
        .offset:         48
        .size:           8
        .value_kind:     global_buffer
      - .actual_access:  read_only
        .address_space:  global
        .offset:         56
        .size:           8
        .value_kind:     global_buffer
      - .actual_access:  read_only
        .address_space:  global
        .offset:         64
        .size:           8
        .value_kind:     global_buffer
      - .actual_access:  read_only
        .address_space:  global
        .offset:         72
        .size:           8
        .value_kind:     global_buffer
      - .offset:         80
        .size:           4
        .value_kind:     by_value
      - .offset:         84
        .size:           4
        .value_kind:     by_value
      - .offset:         88
        .size:           4
        .value_kind:     by_value
      - .offset:         92
        .size:           4
        .value_kind:     by_value
      - .offset:         96
        .size:           4
        .value_kind:     by_value
      - .offset:         100
        .size:           4
        .value_kind:     by_value
      - .offset:         104
        .size:           4
        .value_kind:     by_value
      - .offset:         108
        .size:           4
        .value_kind:     by_value
      - .offset:         112
        .size:           4
        .value_kind:     by_value
      - .offset:         116
        .size:           4
        .value_kind:     by_value
      - .offset:         120
        .size:           4
        .value_kind:     by_value
      - .offset:         124
        .size:           4
        .value_kind:     by_value
      - .offset:         128
        .size:           4
        .value_kind:     by_value
      - .offset:         132
        .size:           4
        .value_kind:     by_value
      - .offset:         136
        .size:           4
        .value_kind:     by_value
      - .offset:         144
        .size:           4
        .value_kind:     hidden_block_count_x
      - .offset:         148
        .size:           4
        .value_kind:     hidden_block_count_y
      - .offset:         152
        .size:           4
        .value_kind:     hidden_block_count_z
      - .offset:         156
        .size:           2
        .value_kind:     hidden_group_size_x
      - .offset:         158
        .size:           2
        .value_kind:     hidden_group_size_y
      - .offset:         160
        .size:           2
        .value_kind:     hidden_group_size_z
      - .offset:         162
        .size:           2
        .value_kind:     hidden_remainder_x
      - .offset:         164
        .size:           2
        .value_kind:     hidden_remainder_y
      - .offset:         166
        .size:           2
        .value_kind:     hidden_remainder_z
      - .offset:         184
        .size:           8
        .value_kind:     hidden_global_offset_x
      - .offset:         192
        .size:           8
        .value_kind:     hidden_global_offset_y
      - .offset:         200
        .size:           8
        .value_kind:     hidden_global_offset_z
      - .offset:         208
        .size:           2
        .value_kind:     hidden_grid_dims
    .group_segment_fixed_size: 0
    .kernarg_segment_align: 8
    .kernarg_segment_size: 400
    .language:       OpenCL C
    .language_version:
      - 2
      - 0
    .max_flat_workgroup_size: 1024
    .name:           _ZN5aiter35fused_qk_rmsnorm_group_quant_kernelIDF16_DB8_Li64ELi8ELi16ELb0ELb1ELb1ELb1ELb0ELb0EEEvPT0_PvPT_S6_S6_PKS5_S8_S8_S8_S8_ffiiiiiiiiiiiii
    .private_segment_fixed_size: 0
    .sgpr_count:     36
    .sgpr_spill_count: 0
    .symbol:         _ZN5aiter35fused_qk_rmsnorm_group_quant_kernelIDF16_DB8_Li64ELi8ELi16ELb0ELb1ELb1ELb1ELb0ELb0EEEvPT0_PvPT_S6_S6_PKS5_S8_S8_S8_S8_ffiiiiiiiiiiiii.kd
    .uniform_work_group_size: 1
    .uses_dynamic_stack: false
    .vgpr_count:     23
    .vgpr_spill_count: 0
    .wavefront_size: 64
  - .agpr_count:     0
    .args:
      - .actual_access:  read_only
        .address_space:  global
        .offset:         0
        .size:           8
        .value_kind:     global_buffer
      - .actual_access:  read_only
        .address_space:  global
        .offset:         8
        .size:           8
        .value_kind:     global_buffer
      - .actual_access:  write_only
        .address_space:  global
        .offset:         16
        .size:           8
        .value_kind:     global_buffer
      - .actual_access:  write_only
        .address_space:  global
        .offset:         24
        .size:           8
        .value_kind:     global_buffer
      - .actual_access:  read_only
        .address_space:  global
        .offset:         32
        .size:           8
        .value_kind:     global_buffer
      - .actual_access:  read_only
        .address_space:  global
        .offset:         40
        .size:           8
        .value_kind:     global_buffer
      - .actual_access:  read_only
        .address_space:  global
        .offset:         48
        .size:           8
        .value_kind:     global_buffer
      - .actual_access:  read_only
        .address_space:  global
        .offset:         56
        .size:           8
        .value_kind:     global_buffer
      - .actual_access:  read_only
        .address_space:  global
        .offset:         64
        .size:           8
        .value_kind:     global_buffer
      - .actual_access:  read_only
        .address_space:  global
        .offset:         72
        .size:           8
        .value_kind:     global_buffer
      - .offset:         80
        .size:           4
        .value_kind:     by_value
      - .offset:         84
        .size:           4
        .value_kind:     by_value
      - .offset:         88
        .size:           4
        .value_kind:     by_value
      - .offset:         92
        .size:           4
        .value_kind:     by_value
      - .offset:         96
        .size:           4
        .value_kind:     by_value
      - .offset:         100
        .size:           4
        .value_kind:     by_value
      - .offset:         104
        .size:           4
        .value_kind:     by_value
      - .offset:         108
        .size:           4
        .value_kind:     by_value
      - .offset:         112
        .size:           4
        .value_kind:     by_value
      - .offset:         116
        .size:           4
        .value_kind:     by_value
      - .offset:         120
        .size:           4
        .value_kind:     by_value
      - .offset:         124
        .size:           4
        .value_kind:     by_value
      - .offset:         128
        .size:           4
        .value_kind:     by_value
      - .offset:         132
        .size:           4
        .value_kind:     by_value
      - .offset:         136
        .size:           4
        .value_kind:     by_value
      - .offset:         144
        .size:           4
        .value_kind:     hidden_block_count_x
      - .offset:         148
        .size:           4
        .value_kind:     hidden_block_count_y
      - .offset:         152
        .size:           4
        .value_kind:     hidden_block_count_z
      - .offset:         156
        .size:           2
        .value_kind:     hidden_group_size_x
      - .offset:         158
        .size:           2
        .value_kind:     hidden_group_size_y
      - .offset:         160
        .size:           2
        .value_kind:     hidden_group_size_z
      - .offset:         162
        .size:           2
        .value_kind:     hidden_remainder_x
      - .offset:         164
        .size:           2
        .value_kind:     hidden_remainder_y
      - .offset:         166
        .size:           2
        .value_kind:     hidden_remainder_z
      - .offset:         184
        .size:           8
        .value_kind:     hidden_global_offset_x
      - .offset:         192
        .size:           8
        .value_kind:     hidden_global_offset_y
      - .offset:         200
        .size:           8
        .value_kind:     hidden_global_offset_z
      - .offset:         208
        .size:           2
        .value_kind:     hidden_grid_dims
    .group_segment_fixed_size: 0
    .kernarg_segment_align: 8
    .kernarg_segment_size: 400
    .language:       OpenCL C
    .language_version:
      - 2
      - 0
    .max_flat_workgroup_size: 1024
    .name:           _ZN5aiter35fused_qk_rmsnorm_group_quant_kernelItDB8_Li64ELi8ELi16ELb0ELb1ELb1ELb1ELb0ELb0EEEvPT0_PvPT_S6_S6_PKS5_S8_S8_S8_S8_ffiiiiiiiiiiiii
    .private_segment_fixed_size: 0
    .sgpr_count:     36
    .sgpr_spill_count: 0
    .symbol:         _ZN5aiter35fused_qk_rmsnorm_group_quant_kernelItDB8_Li64ELi8ELi16ELb0ELb1ELb1ELb1ELb0ELb0EEEvPT0_PvPT_S6_S6_PKS5_S8_S8_S8_S8_ffiiiiiiiiiiiii.kd
    .uniform_work_group_size: 1
    .uses_dynamic_stack: false
    .vgpr_count:     23
    .vgpr_spill_count: 0
    .wavefront_size: 64
  - .agpr_count:     0
    .args:
      - .actual_access:  read_only
        .address_space:  global
        .offset:         0
        .size:           8
        .value_kind:     global_buffer
      - .actual_access:  read_only
        .address_space:  global
        .offset:         8
        .size:           8
        .value_kind:     global_buffer
      - .actual_access:  write_only
        .address_space:  global
        .offset:         16
        .size:           8
        .value_kind:     global_buffer
      - .actual_access:  write_only
        .address_space:  global
        .offset:         24
        .size:           8
        .value_kind:     global_buffer
      - .actual_access:  read_only
        .address_space:  global
        .offset:         32
        .size:           8
        .value_kind:     global_buffer
      - .actual_access:  read_only
        .address_space:  global
        .offset:         40
        .size:           8
        .value_kind:     global_buffer
      - .actual_access:  read_only
        .address_space:  global
        .offset:         48
        .size:           8
        .value_kind:     global_buffer
      - .actual_access:  read_only
        .address_space:  global
        .offset:         56
        .size:           8
        .value_kind:     global_buffer
      - .actual_access:  read_only
        .address_space:  global
        .offset:         64
        .size:           8
        .value_kind:     global_buffer
      - .actual_access:  read_only
        .address_space:  global
        .offset:         72
        .size:           8
        .value_kind:     global_buffer
      - .offset:         80
        .size:           4
        .value_kind:     by_value
      - .offset:         84
        .size:           4
        .value_kind:     by_value
      - .offset:         88
        .size:           4
        .value_kind:     by_value
      - .offset:         92
        .size:           4
        .value_kind:     by_value
      - .offset:         96
        .size:           4
        .value_kind:     by_value
      - .offset:         100
        .size:           4
        .value_kind:     by_value
      - .offset:         104
        .size:           4
        .value_kind:     by_value
      - .offset:         108
        .size:           4
        .value_kind:     by_value
      - .offset:         112
        .size:           4
        .value_kind:     by_value
      - .offset:         116
        .size:           4
        .value_kind:     by_value
      - .offset:         120
        .size:           4
        .value_kind:     by_value
      - .offset:         124
        .size:           4
        .value_kind:     by_value
      - .offset:         128
        .size:           4
        .value_kind:     by_value
      - .offset:         132
        .size:           4
        .value_kind:     by_value
      - .offset:         136
        .size:           4
        .value_kind:     by_value
      - .offset:         144
        .size:           4
        .value_kind:     hidden_block_count_x
      - .offset:         148
        .size:           4
        .value_kind:     hidden_block_count_y
      - .offset:         152
        .size:           4
        .value_kind:     hidden_block_count_z
      - .offset:         156
        .size:           2
        .value_kind:     hidden_group_size_x
      - .offset:         158
        .size:           2
        .value_kind:     hidden_group_size_y
      - .offset:         160
        .size:           2
        .value_kind:     hidden_group_size_z
      - .offset:         162
        .size:           2
        .value_kind:     hidden_remainder_x
      - .offset:         164
        .size:           2
        .value_kind:     hidden_remainder_y
      - .offset:         166
        .size:           2
        .value_kind:     hidden_remainder_z
      - .offset:         184
        .size:           8
        .value_kind:     hidden_global_offset_x
      - .offset:         192
        .size:           8
        .value_kind:     hidden_global_offset_y
      - .offset:         200
        .size:           8
        .value_kind:     hidden_global_offset_z
      - .offset:         208
        .size:           2
        .value_kind:     hidden_grid_dims
    .group_segment_fixed_size: 0
    .kernarg_segment_align: 8
    .kernarg_segment_size: 400
    .language:       OpenCL C
    .language_version:
      - 2
      - 0
    .max_flat_workgroup_size: 1024
    .name:           _ZN5aiter35fused_qk_rmsnorm_group_quant_kernelIDF16_N4opus5fp4_tELi64ELi8ELi16ELb0ELb1ELb1ELb1ELb0ELb0EEEvPT0_PvPT_S7_S7_PKS6_S9_S9_S9_S9_ffiiiiiiiiiiiii
    .private_segment_fixed_size: 0
    .sgpr_count:     36
    .sgpr_spill_count: 0
    .symbol:         _ZN5aiter35fused_qk_rmsnorm_group_quant_kernelIDF16_N4opus5fp4_tELi64ELi8ELi16ELb0ELb1ELb1ELb1ELb0ELb0EEEvPT0_PvPT_S7_S7_PKS6_S9_S9_S9_S9_ffiiiiiiiiiiiii.kd
    .uniform_work_group_size: 1
    .uses_dynamic_stack: false
    .vgpr_count:     23
    .vgpr_spill_count: 0
    .wavefront_size: 64
  - .agpr_count:     0
    .args:
      - .actual_access:  read_only
        .address_space:  global
        .offset:         0
        .size:           8
        .value_kind:     global_buffer
      - .actual_access:  read_only
        .address_space:  global
        .offset:         8
        .size:           8
        .value_kind:     global_buffer
      - .actual_access:  write_only
        .address_space:  global
        .offset:         16
        .size:           8
        .value_kind:     global_buffer
      - .actual_access:  write_only
        .address_space:  global
        .offset:         24
        .size:           8
        .value_kind:     global_buffer
      - .actual_access:  read_only
        .address_space:  global
        .offset:         32
        .size:           8
        .value_kind:     global_buffer
      - .actual_access:  read_only
        .address_space:  global
        .offset:         40
        .size:           8
        .value_kind:     global_buffer
      - .actual_access:  read_only
        .address_space:  global
        .offset:         48
        .size:           8
        .value_kind:     global_buffer
      - .actual_access:  read_only
        .address_space:  global
        .offset:         56
        .size:           8
        .value_kind:     global_buffer
      - .actual_access:  read_only
        .address_space:  global
        .offset:         64
        .size:           8
        .value_kind:     global_buffer
      - .actual_access:  read_only
        .address_space:  global
        .offset:         72
        .size:           8
        .value_kind:     global_buffer
      - .offset:         80
        .size:           4
        .value_kind:     by_value
      - .offset:         84
        .size:           4
        .value_kind:     by_value
      - .offset:         88
        .size:           4
        .value_kind:     by_value
      - .offset:         92
        .size:           4
        .value_kind:     by_value
      - .offset:         96
        .size:           4
        .value_kind:     by_value
      - .offset:         100
        .size:           4
        .value_kind:     by_value
      - .offset:         104
        .size:           4
        .value_kind:     by_value
      - .offset:         108
        .size:           4
        .value_kind:     by_value
      - .offset:         112
        .size:           4
        .value_kind:     by_value
      - .offset:         116
        .size:           4
        .value_kind:     by_value
      - .offset:         120
        .size:           4
        .value_kind:     by_value
      - .offset:         124
        .size:           4
        .value_kind:     by_value
      - .offset:         128
        .size:           4
        .value_kind:     by_value
      - .offset:         132
        .size:           4
        .value_kind:     by_value
      - .offset:         136
        .size:           4
        .value_kind:     by_value
      - .offset:         144
        .size:           4
        .value_kind:     hidden_block_count_x
      - .offset:         148
        .size:           4
        .value_kind:     hidden_block_count_y
      - .offset:         152
        .size:           4
        .value_kind:     hidden_block_count_z
      - .offset:         156
        .size:           2
        .value_kind:     hidden_group_size_x
      - .offset:         158
        .size:           2
        .value_kind:     hidden_group_size_y
      - .offset:         160
        .size:           2
        .value_kind:     hidden_group_size_z
      - .offset:         162
        .size:           2
        .value_kind:     hidden_remainder_x
      - .offset:         164
        .size:           2
        .value_kind:     hidden_remainder_y
      - .offset:         166
        .size:           2
        .value_kind:     hidden_remainder_z
      - .offset:         184
        .size:           8
        .value_kind:     hidden_global_offset_x
      - .offset:         192
        .size:           8
        .value_kind:     hidden_global_offset_y
      - .offset:         200
        .size:           8
        .value_kind:     hidden_global_offset_z
      - .offset:         208
        .size:           2
        .value_kind:     hidden_grid_dims
    .group_segment_fixed_size: 0
    .kernarg_segment_align: 8
    .kernarg_segment_size: 400
    .language:       OpenCL C
    .language_version:
      - 2
      - 0
    .max_flat_workgroup_size: 1024
    .name:           _ZN5aiter35fused_qk_rmsnorm_group_quant_kernelItN4opus5fp4_tELi64ELi8ELi16ELb0ELb1ELb1ELb1ELb0ELb0EEEvPT0_PvPT_S7_S7_PKS6_S9_S9_S9_S9_ffiiiiiiiiiiiii
    .private_segment_fixed_size: 0
    .sgpr_count:     36
    .sgpr_spill_count: 0
    .symbol:         _ZN5aiter35fused_qk_rmsnorm_group_quant_kernelItN4opus5fp4_tELi64ELi8ELi16ELb0ELb1ELb1ELb1ELb0ELb0EEEvPT0_PvPT_S7_S7_PKS6_S9_S9_S9_S9_ffiiiiiiiiiiiii.kd
    .uniform_work_group_size: 1
    .uses_dynamic_stack: false
    .vgpr_count:     23
    .vgpr_spill_count: 0
    .wavefront_size: 64
  - .agpr_count:     0
    .args:
      - .actual_access:  read_only
        .address_space:  global
        .offset:         0
        .size:           8
        .value_kind:     global_buffer
      - .actual_access:  read_only
        .address_space:  global
        .offset:         8
        .size:           8
        .value_kind:     global_buffer
      - .actual_access:  write_only
        .address_space:  global
        .offset:         16
        .size:           8
        .value_kind:     global_buffer
      - .actual_access:  write_only
        .address_space:  global
        .offset:         24
        .size:           8
        .value_kind:     global_buffer
      - .actual_access:  read_only
        .address_space:  global
        .offset:         32
        .size:           8
        .value_kind:     global_buffer
      - .actual_access:  read_only
        .address_space:  global
        .offset:         40
        .size:           8
        .value_kind:     global_buffer
      - .actual_access:  read_only
        .address_space:  global
        .offset:         48
        .size:           8
        .value_kind:     global_buffer
      - .actual_access:  read_only
        .address_space:  global
        .offset:         56
        .size:           8
        .value_kind:     global_buffer
      - .actual_access:  read_only
        .address_space:  global
        .offset:         64
        .size:           8
        .value_kind:     global_buffer
      - .actual_access:  read_only
        .address_space:  global
        .offset:         72
        .size:           8
        .value_kind:     global_buffer
      - .offset:         80
        .size:           4
        .value_kind:     by_value
      - .offset:         84
        .size:           4
        .value_kind:     by_value
      - .offset:         88
        .size:           4
        .value_kind:     by_value
      - .offset:         92
        .size:           4
        .value_kind:     by_value
      - .offset:         96
        .size:           4
        .value_kind:     by_value
      - .offset:         100
        .size:           4
        .value_kind:     by_value
      - .offset:         104
        .size:           4
        .value_kind:     by_value
      - .offset:         108
        .size:           4
        .value_kind:     by_value
      - .offset:         112
        .size:           4
        .value_kind:     by_value
      - .offset:         116
        .size:           4
        .value_kind:     by_value
      - .offset:         120
        .size:           4
        .value_kind:     by_value
      - .offset:         124
        .size:           4
        .value_kind:     by_value
      - .offset:         128
        .size:           4
        .value_kind:     by_value
      - .offset:         132
        .size:           4
        .value_kind:     by_value
      - .offset:         136
        .size:           4
        .value_kind:     by_value
      - .offset:         144
        .size:           4
        .value_kind:     hidden_block_count_x
      - .offset:         148
        .size:           4
        .value_kind:     hidden_block_count_y
      - .offset:         152
        .size:           4
        .value_kind:     hidden_block_count_z
      - .offset:         156
        .size:           2
        .value_kind:     hidden_group_size_x
      - .offset:         158
        .size:           2
        .value_kind:     hidden_group_size_y
      - .offset:         160
        .size:           2
        .value_kind:     hidden_group_size_z
      - .offset:         162
        .size:           2
        .value_kind:     hidden_remainder_x
      - .offset:         164
        .size:           2
        .value_kind:     hidden_remainder_y
      - .offset:         166
        .size:           2
        .value_kind:     hidden_remainder_z
      - .offset:         184
        .size:           8
        .value_kind:     hidden_global_offset_x
      - .offset:         192
        .size:           8
        .value_kind:     hidden_global_offset_y
      - .offset:         200
        .size:           8
        .value_kind:     hidden_global_offset_z
      - .offset:         208
        .size:           2
        .value_kind:     hidden_grid_dims
    .group_segment_fixed_size: 0
    .kernarg_segment_align: 8
    .kernarg_segment_size: 400
    .language:       OpenCL C
    .language_version:
      - 2
      - 0
    .max_flat_workgroup_size: 1024
    .name:           _ZN5aiter35fused_qk_rmsnorm_group_quant_kernelIDF16_DB8_Li64ELi8ELi16ELb0ELb1ELb0ELb1ELb0ELb0EEEvPT0_PvPT_S6_S6_PKS5_S8_S8_S8_S8_ffiiiiiiiiiiiii
    .private_segment_fixed_size: 0
    .sgpr_count:     36
    .sgpr_spill_count: 0
    .symbol:         _ZN5aiter35fused_qk_rmsnorm_group_quant_kernelIDF16_DB8_Li64ELi8ELi16ELb0ELb1ELb0ELb1ELb0ELb0EEEvPT0_PvPT_S6_S6_PKS5_S8_S8_S8_S8_ffiiiiiiiiiiiii.kd
    .uniform_work_group_size: 1
    .uses_dynamic_stack: false
    .vgpr_count:     23
    .vgpr_spill_count: 0
    .wavefront_size: 64
  - .agpr_count:     0
    .args:
      - .actual_access:  read_only
        .address_space:  global
        .offset:         0
        .size:           8
        .value_kind:     global_buffer
      - .actual_access:  read_only
        .address_space:  global
        .offset:         8
        .size:           8
        .value_kind:     global_buffer
      - .actual_access:  write_only
        .address_space:  global
        .offset:         16
        .size:           8
        .value_kind:     global_buffer
      - .actual_access:  write_only
        .address_space:  global
        .offset:         24
        .size:           8
        .value_kind:     global_buffer
      - .actual_access:  read_only
        .address_space:  global
        .offset:         32
        .size:           8
        .value_kind:     global_buffer
      - .actual_access:  read_only
        .address_space:  global
        .offset:         40
        .size:           8
        .value_kind:     global_buffer
      - .actual_access:  read_only
        .address_space:  global
        .offset:         48
        .size:           8
        .value_kind:     global_buffer
      - .actual_access:  read_only
        .address_space:  global
        .offset:         56
        .size:           8
        .value_kind:     global_buffer
      - .actual_access:  read_only
        .address_space:  global
        .offset:         64
        .size:           8
        .value_kind:     global_buffer
      - .actual_access:  read_only
        .address_space:  global
        .offset:         72
        .size:           8
        .value_kind:     global_buffer
      - .offset:         80
        .size:           4
        .value_kind:     by_value
      - .offset:         84
        .size:           4
        .value_kind:     by_value
      - .offset:         88
        .size:           4
        .value_kind:     by_value
      - .offset:         92
        .size:           4
        .value_kind:     by_value
      - .offset:         96
        .size:           4
        .value_kind:     by_value
      - .offset:         100
        .size:           4
        .value_kind:     by_value
      - .offset:         104
        .size:           4
        .value_kind:     by_value
      - .offset:         108
        .size:           4
        .value_kind:     by_value
      - .offset:         112
        .size:           4
        .value_kind:     by_value
      - .offset:         116
        .size:           4
        .value_kind:     by_value
      - .offset:         120
        .size:           4
        .value_kind:     by_value
      - .offset:         124
        .size:           4
        .value_kind:     by_value
      - .offset:         128
        .size:           4
        .value_kind:     by_value
      - .offset:         132
        .size:           4
        .value_kind:     by_value
      - .offset:         136
        .size:           4
        .value_kind:     by_value
      - .offset:         144
        .size:           4
        .value_kind:     hidden_block_count_x
      - .offset:         148
        .size:           4
        .value_kind:     hidden_block_count_y
      - .offset:         152
        .size:           4
        .value_kind:     hidden_block_count_z
      - .offset:         156
        .size:           2
        .value_kind:     hidden_group_size_x
      - .offset:         158
        .size:           2
        .value_kind:     hidden_group_size_y
      - .offset:         160
        .size:           2
        .value_kind:     hidden_group_size_z
      - .offset:         162
        .size:           2
        .value_kind:     hidden_remainder_x
      - .offset:         164
        .size:           2
        .value_kind:     hidden_remainder_y
      - .offset:         166
        .size:           2
        .value_kind:     hidden_remainder_z
      - .offset:         184
        .size:           8
        .value_kind:     hidden_global_offset_x
      - .offset:         192
        .size:           8
        .value_kind:     hidden_global_offset_y
      - .offset:         200
        .size:           8
        .value_kind:     hidden_global_offset_z
      - .offset:         208
        .size:           2
        .value_kind:     hidden_grid_dims
    .group_segment_fixed_size: 0
    .kernarg_segment_align: 8
    .kernarg_segment_size: 400
    .language:       OpenCL C
    .language_version:
      - 2
      - 0
    .max_flat_workgroup_size: 1024
    .name:           _ZN5aiter35fused_qk_rmsnorm_group_quant_kernelItDB8_Li64ELi8ELi16ELb0ELb1ELb0ELb1ELb0ELb0EEEvPT0_PvPT_S6_S6_PKS5_S8_S8_S8_S8_ffiiiiiiiiiiiii
    .private_segment_fixed_size: 0
    .sgpr_count:     36
    .sgpr_spill_count: 0
    .symbol:         _ZN5aiter35fused_qk_rmsnorm_group_quant_kernelItDB8_Li64ELi8ELi16ELb0ELb1ELb0ELb1ELb0ELb0EEEvPT0_PvPT_S6_S6_PKS5_S8_S8_S8_S8_ffiiiiiiiiiiiii.kd
    .uniform_work_group_size: 1
    .uses_dynamic_stack: false
    .vgpr_count:     23
    .vgpr_spill_count: 0
    .wavefront_size: 64
  - .agpr_count:     0
    .args:
      - .actual_access:  read_only
        .address_space:  global
        .offset:         0
        .size:           8
        .value_kind:     global_buffer
      - .actual_access:  read_only
        .address_space:  global
        .offset:         8
        .size:           8
        .value_kind:     global_buffer
      - .actual_access:  write_only
        .address_space:  global
        .offset:         16
        .size:           8
        .value_kind:     global_buffer
      - .actual_access:  write_only
        .address_space:  global
        .offset:         24
        .size:           8
        .value_kind:     global_buffer
      - .actual_access:  read_only
        .address_space:  global
        .offset:         32
        .size:           8
        .value_kind:     global_buffer
      - .actual_access:  read_only
        .address_space:  global
        .offset:         40
        .size:           8
        .value_kind:     global_buffer
      - .actual_access:  read_only
        .address_space:  global
        .offset:         48
        .size:           8
        .value_kind:     global_buffer
      - .actual_access:  read_only
        .address_space:  global
        .offset:         56
        .size:           8
        .value_kind:     global_buffer
      - .actual_access:  read_only
        .address_space:  global
        .offset:         64
        .size:           8
        .value_kind:     global_buffer
      - .actual_access:  read_only
        .address_space:  global
        .offset:         72
        .size:           8
        .value_kind:     global_buffer
      - .offset:         80
        .size:           4
        .value_kind:     by_value
      - .offset:         84
        .size:           4
        .value_kind:     by_value
      - .offset:         88
        .size:           4
        .value_kind:     by_value
      - .offset:         92
        .size:           4
        .value_kind:     by_value
      - .offset:         96
        .size:           4
        .value_kind:     by_value
      - .offset:         100
        .size:           4
        .value_kind:     by_value
      - .offset:         104
        .size:           4
        .value_kind:     by_value
      - .offset:         108
        .size:           4
        .value_kind:     by_value
      - .offset:         112
        .size:           4
        .value_kind:     by_value
      - .offset:         116
        .size:           4
        .value_kind:     by_value
      - .offset:         120
        .size:           4
        .value_kind:     by_value
      - .offset:         124
        .size:           4
        .value_kind:     by_value
      - .offset:         128
        .size:           4
        .value_kind:     by_value
      - .offset:         132
        .size:           4
        .value_kind:     by_value
      - .offset:         136
        .size:           4
        .value_kind:     by_value
      - .offset:         144
        .size:           4
        .value_kind:     hidden_block_count_x
      - .offset:         148
        .size:           4
        .value_kind:     hidden_block_count_y
      - .offset:         152
        .size:           4
        .value_kind:     hidden_block_count_z
      - .offset:         156
        .size:           2
        .value_kind:     hidden_group_size_x
      - .offset:         158
        .size:           2
        .value_kind:     hidden_group_size_y
      - .offset:         160
        .size:           2
        .value_kind:     hidden_group_size_z
      - .offset:         162
        .size:           2
        .value_kind:     hidden_remainder_x
      - .offset:         164
        .size:           2
        .value_kind:     hidden_remainder_y
      - .offset:         166
        .size:           2
        .value_kind:     hidden_remainder_z
      - .offset:         184
        .size:           8
        .value_kind:     hidden_global_offset_x
      - .offset:         192
        .size:           8
        .value_kind:     hidden_global_offset_y
      - .offset:         200
        .size:           8
        .value_kind:     hidden_global_offset_z
      - .offset:         208
        .size:           2
        .value_kind:     hidden_grid_dims
    .group_segment_fixed_size: 0
    .kernarg_segment_align: 8
    .kernarg_segment_size: 400
    .language:       OpenCL C
    .language_version:
      - 2
      - 0
    .max_flat_workgroup_size: 1024
    .name:           _ZN5aiter35fused_qk_rmsnorm_group_quant_kernelIDF16_N4opus5fp4_tELi64ELi8ELi16ELb0ELb1ELb0ELb1ELb0ELb0EEEvPT0_PvPT_S7_S7_PKS6_S9_S9_S9_S9_ffiiiiiiiiiiiii
    .private_segment_fixed_size: 0
    .sgpr_count:     36
    .sgpr_spill_count: 0
    .symbol:         _ZN5aiter35fused_qk_rmsnorm_group_quant_kernelIDF16_N4opus5fp4_tELi64ELi8ELi16ELb0ELb1ELb0ELb1ELb0ELb0EEEvPT0_PvPT_S7_S7_PKS6_S9_S9_S9_S9_ffiiiiiiiiiiiii.kd
    .uniform_work_group_size: 1
    .uses_dynamic_stack: false
    .vgpr_count:     23
    .vgpr_spill_count: 0
    .wavefront_size: 64
  - .agpr_count:     0
    .args:
      - .actual_access:  read_only
        .address_space:  global
        .offset:         0
        .size:           8
        .value_kind:     global_buffer
      - .actual_access:  read_only
        .address_space:  global
        .offset:         8
        .size:           8
        .value_kind:     global_buffer
      - .actual_access:  write_only
        .address_space:  global
        .offset:         16
        .size:           8
        .value_kind:     global_buffer
      - .actual_access:  write_only
        .address_space:  global
        .offset:         24
        .size:           8
        .value_kind:     global_buffer
      - .actual_access:  read_only
        .address_space:  global
        .offset:         32
        .size:           8
        .value_kind:     global_buffer
      - .actual_access:  read_only
        .address_space:  global
        .offset:         40
        .size:           8
        .value_kind:     global_buffer
      - .actual_access:  read_only
        .address_space:  global
        .offset:         48
        .size:           8
        .value_kind:     global_buffer
      - .actual_access:  read_only
        .address_space:  global
        .offset:         56
        .size:           8
        .value_kind:     global_buffer
      - .actual_access:  read_only
        .address_space:  global
        .offset:         64
        .size:           8
        .value_kind:     global_buffer
      - .actual_access:  read_only
        .address_space:  global
        .offset:         72
        .size:           8
        .value_kind:     global_buffer
      - .offset:         80
        .size:           4
        .value_kind:     by_value
      - .offset:         84
        .size:           4
        .value_kind:     by_value
      - .offset:         88
        .size:           4
        .value_kind:     by_value
      - .offset:         92
        .size:           4
        .value_kind:     by_value
      - .offset:         96
        .size:           4
        .value_kind:     by_value
      - .offset:         100
        .size:           4
        .value_kind:     by_value
      - .offset:         104
        .size:           4
        .value_kind:     by_value
      - .offset:         108
        .size:           4
        .value_kind:     by_value
      - .offset:         112
        .size:           4
        .value_kind:     by_value
      - .offset:         116
        .size:           4
        .value_kind:     by_value
      - .offset:         120
        .size:           4
        .value_kind:     by_value
      - .offset:         124
        .size:           4
        .value_kind:     by_value
      - .offset:         128
        .size:           4
        .value_kind:     by_value
      - .offset:         132
        .size:           4
        .value_kind:     by_value
      - .offset:         136
        .size:           4
        .value_kind:     by_value
      - .offset:         144
        .size:           4
        .value_kind:     hidden_block_count_x
      - .offset:         148
        .size:           4
        .value_kind:     hidden_block_count_y
      - .offset:         152
        .size:           4
        .value_kind:     hidden_block_count_z
      - .offset:         156
        .size:           2
        .value_kind:     hidden_group_size_x
      - .offset:         158
        .size:           2
        .value_kind:     hidden_group_size_y
      - .offset:         160
        .size:           2
        .value_kind:     hidden_group_size_z
      - .offset:         162
        .size:           2
        .value_kind:     hidden_remainder_x
      - .offset:         164
        .size:           2
        .value_kind:     hidden_remainder_y
      - .offset:         166
        .size:           2
        .value_kind:     hidden_remainder_z
      - .offset:         184
        .size:           8
        .value_kind:     hidden_global_offset_x
      - .offset:         192
        .size:           8
        .value_kind:     hidden_global_offset_y
      - .offset:         200
        .size:           8
        .value_kind:     hidden_global_offset_z
      - .offset:         208
        .size:           2
        .value_kind:     hidden_grid_dims
    .group_segment_fixed_size: 0
    .kernarg_segment_align: 8
    .kernarg_segment_size: 400
    .language:       OpenCL C
    .language_version:
      - 2
      - 0
    .max_flat_workgroup_size: 1024
    .name:           _ZN5aiter35fused_qk_rmsnorm_group_quant_kernelItN4opus5fp4_tELi64ELi8ELi16ELb0ELb1ELb0ELb1ELb0ELb0EEEvPT0_PvPT_S7_S7_PKS6_S9_S9_S9_S9_ffiiiiiiiiiiiii
    .private_segment_fixed_size: 0
    .sgpr_count:     36
    .sgpr_spill_count: 0
    .symbol:         _ZN5aiter35fused_qk_rmsnorm_group_quant_kernelItN4opus5fp4_tELi64ELi8ELi16ELb0ELb1ELb0ELb1ELb0ELb0EEEvPT0_PvPT_S7_S7_PKS6_S9_S9_S9_S9_ffiiiiiiiiiiiii.kd
    .uniform_work_group_size: 1
    .uses_dynamic_stack: false
    .vgpr_count:     23
    .vgpr_spill_count: 0
    .wavefront_size: 64
  - .agpr_count:     0
    .args:
      - .actual_access:  write_only
        .address_space:  global
        .offset:         0
        .size:           8
        .value_kind:     global_buffer
      - .actual_access:  write_only
        .address_space:  global
        .offset:         8
        .size:           8
        .value_kind:     global_buffer
      - .actual_access:  write_only
        .address_space:  global
        .offset:         16
        .size:           8
        .value_kind:     global_buffer
      - .actual_access:  write_only
        .address_space:  global
        .offset:         24
        .size:           8
        .value_kind:     global_buffer
      - .actual_access:  write_only
        .address_space:  global
        .offset:         32
        .size:           8
        .value_kind:     global_buffer
      - .actual_access:  read_only
        .address_space:  global
        .offset:         40
        .size:           8
        .value_kind:     global_buffer
      - .actual_access:  read_only
        .address_space:  global
        .offset:         48
        .size:           8
        .value_kind:     global_buffer
      - .actual_access:  read_only
        .address_space:  global
        .offset:         56
        .size:           8
        .value_kind:     global_buffer
      - .actual_access:  read_only
        .address_space:  global
        .offset:         64
        .size:           8
        .value_kind:     global_buffer
      - .actual_access:  read_only
        .address_space:  global
        .offset:         72
        .size:           8
        .value_kind:     global_buffer
      - .offset:         80
        .size:           4
        .value_kind:     by_value
      - .offset:         84
        .size:           4
        .value_kind:     by_value
      - .offset:         88
        .size:           4
        .value_kind:     by_value
      - .offset:         92
        .size:           4
        .value_kind:     by_value
      - .offset:         96
        .size:           4
        .value_kind:     by_value
      - .offset:         100
        .size:           4
        .value_kind:     by_value
      - .offset:         104
        .size:           4
        .value_kind:     by_value
      - .offset:         108
        .size:           4
        .value_kind:     by_value
      - .offset:         112
        .size:           4
        .value_kind:     by_value
      - .offset:         116
        .size:           4
        .value_kind:     by_value
      - .offset:         120
        .size:           4
        .value_kind:     by_value
      - .offset:         124
        .size:           4
        .value_kind:     by_value
      - .offset:         128
        .size:           4
        .value_kind:     by_value
      - .offset:         132
        .size:           4
        .value_kind:     by_value
      - .offset:         136
        .size:           4
        .value_kind:     by_value
      - .offset:         144
        .size:           4
        .value_kind:     hidden_block_count_x
      - .offset:         148
        .size:           4
        .value_kind:     hidden_block_count_y
      - .offset:         152
        .size:           4
        .value_kind:     hidden_block_count_z
      - .offset:         156
        .size:           2
        .value_kind:     hidden_group_size_x
      - .offset:         158
        .size:           2
        .value_kind:     hidden_group_size_y
      - .offset:         160
        .size:           2
        .value_kind:     hidden_group_size_z
      - .offset:         162
        .size:           2
        .value_kind:     hidden_remainder_x
      - .offset:         164
        .size:           2
        .value_kind:     hidden_remainder_y
      - .offset:         166
        .size:           2
        .value_kind:     hidden_remainder_z
      - .offset:         184
        .size:           8
        .value_kind:     hidden_global_offset_x
      - .offset:         192
        .size:           8
        .value_kind:     hidden_global_offset_y
      - .offset:         200
        .size:           8
        .value_kind:     hidden_global_offset_z
      - .offset:         208
        .size:           2
        .value_kind:     hidden_grid_dims
    .group_segment_fixed_size: 0
    .kernarg_segment_align: 8
    .kernarg_segment_size: 400
    .language:       OpenCL C
    .language_version:
      - 2
      - 0
    .max_flat_workgroup_size: 1024
    .name:           _ZN5aiter35fused_qk_rmsnorm_group_quant_kernelIDF16_DB8_Li64ELi8ELi16ELb1ELb1ELb1ELb0ELb0ELb0EEEvPT0_PvPT_S6_S6_PKS5_S8_S8_S8_S8_ffiiiiiiiiiiiii
    .private_segment_fixed_size: 0
    .sgpr_count:     44
    .sgpr_spill_count: 0
    .symbol:         _ZN5aiter35fused_qk_rmsnorm_group_quant_kernelIDF16_DB8_Li64ELi8ELi16ELb1ELb1ELb1ELb0ELb0ELb0EEEvPT0_PvPT_S6_S6_PKS5_S8_S8_S8_S8_ffiiiiiiiiiiiii.kd
    .uniform_work_group_size: 1
    .uses_dynamic_stack: false
    .vgpr_count:     31
    .vgpr_spill_count: 0
    .wavefront_size: 64
  - .agpr_count:     0
    .args:
      - .actual_access:  write_only
        .address_space:  global
        .offset:         0
        .size:           8
        .value_kind:     global_buffer
      - .actual_access:  write_only
        .address_space:  global
        .offset:         8
        .size:           8
        .value_kind:     global_buffer
      - .actual_access:  write_only
        .address_space:  global
        .offset:         16
        .size:           8
        .value_kind:     global_buffer
      - .actual_access:  write_only
        .address_space:  global
        .offset:         24
        .size:           8
        .value_kind:     global_buffer
      - .actual_access:  write_only
        .address_space:  global
        .offset:         32
        .size:           8
        .value_kind:     global_buffer
      - .actual_access:  read_only
        .address_space:  global
        .offset:         40
        .size:           8
        .value_kind:     global_buffer
      - .actual_access:  read_only
        .address_space:  global
        .offset:         48
        .size:           8
        .value_kind:     global_buffer
      - .actual_access:  read_only
        .address_space:  global
        .offset:         56
        .size:           8
        .value_kind:     global_buffer
      - .actual_access:  read_only
        .address_space:  global
        .offset:         64
        .size:           8
        .value_kind:     global_buffer
      - .actual_access:  read_only
        .address_space:  global
        .offset:         72
        .size:           8
        .value_kind:     global_buffer
      - .offset:         80
        .size:           4
        .value_kind:     by_value
      - .offset:         84
        .size:           4
        .value_kind:     by_value
      - .offset:         88
        .size:           4
        .value_kind:     by_value
      - .offset:         92
        .size:           4
        .value_kind:     by_value
      - .offset:         96
        .size:           4
        .value_kind:     by_value
      - .offset:         100
        .size:           4
        .value_kind:     by_value
      - .offset:         104
        .size:           4
        .value_kind:     by_value
      - .offset:         108
        .size:           4
        .value_kind:     by_value
      - .offset:         112
        .size:           4
        .value_kind:     by_value
      - .offset:         116
        .size:           4
        .value_kind:     by_value
      - .offset:         120
        .size:           4
        .value_kind:     by_value
      - .offset:         124
        .size:           4
        .value_kind:     by_value
      - .offset:         128
        .size:           4
        .value_kind:     by_value
      - .offset:         132
        .size:           4
        .value_kind:     by_value
      - .offset:         136
        .size:           4
        .value_kind:     by_value
      - .offset:         144
        .size:           4
        .value_kind:     hidden_block_count_x
      - .offset:         148
        .size:           4
        .value_kind:     hidden_block_count_y
      - .offset:         152
        .size:           4
        .value_kind:     hidden_block_count_z
      - .offset:         156
        .size:           2
        .value_kind:     hidden_group_size_x
      - .offset:         158
        .size:           2
        .value_kind:     hidden_group_size_y
      - .offset:         160
        .size:           2
        .value_kind:     hidden_group_size_z
      - .offset:         162
        .size:           2
        .value_kind:     hidden_remainder_x
      - .offset:         164
        .size:           2
        .value_kind:     hidden_remainder_y
      - .offset:         166
        .size:           2
        .value_kind:     hidden_remainder_z
      - .offset:         184
        .size:           8
        .value_kind:     hidden_global_offset_x
      - .offset:         192
        .size:           8
        .value_kind:     hidden_global_offset_y
      - .offset:         200
        .size:           8
        .value_kind:     hidden_global_offset_z
      - .offset:         208
        .size:           2
        .value_kind:     hidden_grid_dims
    .group_segment_fixed_size: 0
    .kernarg_segment_align: 8
    .kernarg_segment_size: 400
    .language:       OpenCL C
    .language_version:
      - 2
      - 0
    .max_flat_workgroup_size: 1024
    .name:           _ZN5aiter35fused_qk_rmsnorm_group_quant_kernelItDB8_Li64ELi8ELi16ELb1ELb1ELb1ELb0ELb0ELb0EEEvPT0_PvPT_S6_S6_PKS5_S8_S8_S8_S8_ffiiiiiiiiiiiii
    .private_segment_fixed_size: 0
    .sgpr_count:     48
    .sgpr_spill_count: 0
    .symbol:         _ZN5aiter35fused_qk_rmsnorm_group_quant_kernelItDB8_Li64ELi8ELi16ELb1ELb1ELb1ELb0ELb0ELb0EEEvPT0_PvPT_S6_S6_PKS5_S8_S8_S8_S8_ffiiiiiiiiiiiii.kd
    .uniform_work_group_size: 1
    .uses_dynamic_stack: false
    .vgpr_count:     27
    .vgpr_spill_count: 0
    .wavefront_size: 64
  - .agpr_count:     0
    .args:
      - .actual_access:  write_only
        .address_space:  global
        .offset:         0
        .size:           8
        .value_kind:     global_buffer
      - .actual_access:  write_only
        .address_space:  global
        .offset:         8
        .size:           8
        .value_kind:     global_buffer
      - .actual_access:  write_only
        .address_space:  global
        .offset:         16
        .size:           8
        .value_kind:     global_buffer
      - .actual_access:  write_only
        .address_space:  global
        .offset:         24
        .size:           8
        .value_kind:     global_buffer
      - .actual_access:  write_only
        .address_space:  global
        .offset:         32
        .size:           8
        .value_kind:     global_buffer
      - .actual_access:  read_only
        .address_space:  global
        .offset:         40
        .size:           8
        .value_kind:     global_buffer
      - .actual_access:  read_only
        .address_space:  global
        .offset:         48
        .size:           8
        .value_kind:     global_buffer
      - .actual_access:  read_only
        .address_space:  global
        .offset:         56
        .size:           8
        .value_kind:     global_buffer
      - .actual_access:  read_only
        .address_space:  global
        .offset:         64
        .size:           8
        .value_kind:     global_buffer
      - .actual_access:  read_only
        .address_space:  global
        .offset:         72
        .size:           8
        .value_kind:     global_buffer
      - .offset:         80
        .size:           4
        .value_kind:     by_value
      - .offset:         84
        .size:           4
        .value_kind:     by_value
      - .offset:         88
        .size:           4
        .value_kind:     by_value
      - .offset:         92
        .size:           4
        .value_kind:     by_value
      - .offset:         96
        .size:           4
        .value_kind:     by_value
      - .offset:         100
        .size:           4
        .value_kind:     by_value
      - .offset:         104
        .size:           4
        .value_kind:     by_value
      - .offset:         108
        .size:           4
        .value_kind:     by_value
      - .offset:         112
        .size:           4
        .value_kind:     by_value
      - .offset:         116
        .size:           4
        .value_kind:     by_value
      - .offset:         120
        .size:           4
        .value_kind:     by_value
      - .offset:         124
        .size:           4
        .value_kind:     by_value
      - .offset:         128
        .size:           4
        .value_kind:     by_value
      - .offset:         132
        .size:           4
        .value_kind:     by_value
      - .offset:         136
        .size:           4
        .value_kind:     by_value
      - .offset:         144
        .size:           4
        .value_kind:     hidden_block_count_x
      - .offset:         148
        .size:           4
        .value_kind:     hidden_block_count_y
      - .offset:         152
        .size:           4
        .value_kind:     hidden_block_count_z
      - .offset:         156
        .size:           2
        .value_kind:     hidden_group_size_x
      - .offset:         158
        .size:           2
        .value_kind:     hidden_group_size_y
      - .offset:         160
        .size:           2
        .value_kind:     hidden_group_size_z
      - .offset:         162
        .size:           2
        .value_kind:     hidden_remainder_x
      - .offset:         164
        .size:           2
        .value_kind:     hidden_remainder_y
      - .offset:         166
        .size:           2
        .value_kind:     hidden_remainder_z
      - .offset:         184
        .size:           8
        .value_kind:     hidden_global_offset_x
      - .offset:         192
        .size:           8
        .value_kind:     hidden_global_offset_y
      - .offset:         200
        .size:           8
        .value_kind:     hidden_global_offset_z
      - .offset:         208
        .size:           2
        .value_kind:     hidden_grid_dims
    .group_segment_fixed_size: 0
    .kernarg_segment_align: 8
    .kernarg_segment_size: 400
    .language:       OpenCL C
    .language_version:
      - 2
      - 0
    .max_flat_workgroup_size: 1024
    .name:           _ZN5aiter35fused_qk_rmsnorm_group_quant_kernelIDF16_N4opus5fp4_tELi64ELi8ELi16ELb1ELb1ELb1ELb0ELb0ELb0EEEvPT0_PvPT_S7_S7_PKS6_S9_S9_S9_S9_ffiiiiiiiiiiiii
    .private_segment_fixed_size: 0
    .sgpr_count:     44
    .sgpr_spill_count: 0
    .symbol:         _ZN5aiter35fused_qk_rmsnorm_group_quant_kernelIDF16_N4opus5fp4_tELi64ELi8ELi16ELb1ELb1ELb1ELb0ELb0ELb0EEEvPT0_PvPT_S7_S7_PKS6_S9_S9_S9_S9_ffiiiiiiiiiiiii.kd
    .uniform_work_group_size: 1
    .uses_dynamic_stack: false
    .vgpr_count:     25
    .vgpr_spill_count: 0
    .wavefront_size: 64
  - .agpr_count:     0
    .args:
      - .actual_access:  write_only
        .address_space:  global
        .offset:         0
        .size:           8
        .value_kind:     global_buffer
      - .actual_access:  write_only
        .address_space:  global
        .offset:         8
        .size:           8
        .value_kind:     global_buffer
      - .actual_access:  write_only
        .address_space:  global
        .offset:         16
        .size:           8
        .value_kind:     global_buffer
      - .actual_access:  write_only
        .address_space:  global
        .offset:         24
        .size:           8
        .value_kind:     global_buffer
      - .actual_access:  write_only
        .address_space:  global
        .offset:         32
        .size:           8
        .value_kind:     global_buffer
      - .actual_access:  read_only
        .address_space:  global
        .offset:         40
        .size:           8
        .value_kind:     global_buffer
      - .actual_access:  read_only
        .address_space:  global
        .offset:         48
        .size:           8
        .value_kind:     global_buffer
      - .actual_access:  read_only
        .address_space:  global
        .offset:         56
        .size:           8
        .value_kind:     global_buffer
      - .actual_access:  read_only
        .address_space:  global
        .offset:         64
        .size:           8
        .value_kind:     global_buffer
      - .actual_access:  read_only
        .address_space:  global
        .offset:         72
        .size:           8
        .value_kind:     global_buffer
      - .offset:         80
        .size:           4
        .value_kind:     by_value
      - .offset:         84
        .size:           4
        .value_kind:     by_value
      - .offset:         88
        .size:           4
        .value_kind:     by_value
      - .offset:         92
        .size:           4
        .value_kind:     by_value
      - .offset:         96
        .size:           4
        .value_kind:     by_value
      - .offset:         100
        .size:           4
        .value_kind:     by_value
      - .offset:         104
        .size:           4
        .value_kind:     by_value
      - .offset:         108
        .size:           4
        .value_kind:     by_value
      - .offset:         112
        .size:           4
        .value_kind:     by_value
      - .offset:         116
        .size:           4
        .value_kind:     by_value
      - .offset:         120
        .size:           4
        .value_kind:     by_value
      - .offset:         124
        .size:           4
        .value_kind:     by_value
      - .offset:         128
        .size:           4
        .value_kind:     by_value
      - .offset:         132
        .size:           4
        .value_kind:     by_value
      - .offset:         136
        .size:           4
        .value_kind:     by_value
      - .offset:         144
        .size:           4
        .value_kind:     hidden_block_count_x
      - .offset:         148
        .size:           4
        .value_kind:     hidden_block_count_y
      - .offset:         152
        .size:           4
        .value_kind:     hidden_block_count_z
      - .offset:         156
        .size:           2
        .value_kind:     hidden_group_size_x
      - .offset:         158
        .size:           2
        .value_kind:     hidden_group_size_y
      - .offset:         160
        .size:           2
        .value_kind:     hidden_group_size_z
      - .offset:         162
        .size:           2
        .value_kind:     hidden_remainder_x
      - .offset:         164
        .size:           2
        .value_kind:     hidden_remainder_y
      - .offset:         166
        .size:           2
        .value_kind:     hidden_remainder_z
      - .offset:         184
        .size:           8
        .value_kind:     hidden_global_offset_x
      - .offset:         192
        .size:           8
        .value_kind:     hidden_global_offset_y
      - .offset:         200
        .size:           8
        .value_kind:     hidden_global_offset_z
      - .offset:         208
        .size:           2
        .value_kind:     hidden_grid_dims
    .group_segment_fixed_size: 0
    .kernarg_segment_align: 8
    .kernarg_segment_size: 400
    .language:       OpenCL C
    .language_version:
      - 2
      - 0
    .max_flat_workgroup_size: 1024
    .name:           _ZN5aiter35fused_qk_rmsnorm_group_quant_kernelItN4opus5fp4_tELi64ELi8ELi16ELb1ELb1ELb1ELb0ELb0ELb0EEEvPT0_PvPT_S7_S7_PKS6_S9_S9_S9_S9_ffiiiiiiiiiiiii
    .private_segment_fixed_size: 0
    .sgpr_count:     48
    .sgpr_spill_count: 0
    .symbol:         _ZN5aiter35fused_qk_rmsnorm_group_quant_kernelItN4opus5fp4_tELi64ELi8ELi16ELb1ELb1ELb1ELb0ELb0ELb0EEEvPT0_PvPT_S7_S7_PKS6_S9_S9_S9_S9_ffiiiiiiiiiiiii.kd
    .uniform_work_group_size: 1
    .uses_dynamic_stack: false
    .vgpr_count:     27
    .vgpr_spill_count: 0
    .wavefront_size: 64
  - .agpr_count:     0
    .args:
      - .actual_access:  write_only
        .address_space:  global
        .offset:         0
        .size:           8
        .value_kind:     global_buffer
      - .actual_access:  write_only
        .address_space:  global
        .offset:         8
        .size:           8
        .value_kind:     global_buffer
      - .actual_access:  write_only
        .address_space:  global
        .offset:         16
        .size:           8
        .value_kind:     global_buffer
      - .actual_access:  write_only
        .address_space:  global
        .offset:         24
        .size:           8
        .value_kind:     global_buffer
      - .actual_access:  write_only
        .address_space:  global
        .offset:         32
        .size:           8
        .value_kind:     global_buffer
      - .actual_access:  read_only
        .address_space:  global
        .offset:         40
        .size:           8
        .value_kind:     global_buffer
      - .actual_access:  read_only
        .address_space:  global
        .offset:         48
        .size:           8
        .value_kind:     global_buffer
      - .actual_access:  read_only
        .address_space:  global
        .offset:         56
        .size:           8
        .value_kind:     global_buffer
      - .actual_access:  read_only
        .address_space:  global
        .offset:         64
        .size:           8
        .value_kind:     global_buffer
      - .actual_access:  read_only
        .address_space:  global
        .offset:         72
        .size:           8
        .value_kind:     global_buffer
      - .offset:         80
        .size:           4
        .value_kind:     by_value
      - .offset:         84
        .size:           4
        .value_kind:     by_value
      - .offset:         88
        .size:           4
        .value_kind:     by_value
      - .offset:         92
        .size:           4
        .value_kind:     by_value
      - .offset:         96
        .size:           4
        .value_kind:     by_value
      - .offset:         100
        .size:           4
        .value_kind:     by_value
      - .offset:         104
        .size:           4
        .value_kind:     by_value
      - .offset:         108
        .size:           4
        .value_kind:     by_value
      - .offset:         112
        .size:           4
        .value_kind:     by_value
      - .offset:         116
        .size:           4
        .value_kind:     by_value
      - .offset:         120
        .size:           4
        .value_kind:     by_value
      - .offset:         124
        .size:           4
        .value_kind:     by_value
      - .offset:         128
        .size:           4
        .value_kind:     by_value
      - .offset:         132
        .size:           4
        .value_kind:     by_value
      - .offset:         136
        .size:           4
        .value_kind:     by_value
      - .offset:         144
        .size:           4
        .value_kind:     hidden_block_count_x
      - .offset:         148
        .size:           4
        .value_kind:     hidden_block_count_y
      - .offset:         152
        .size:           4
        .value_kind:     hidden_block_count_z
      - .offset:         156
        .size:           2
        .value_kind:     hidden_group_size_x
      - .offset:         158
        .size:           2
        .value_kind:     hidden_group_size_y
      - .offset:         160
        .size:           2
        .value_kind:     hidden_group_size_z
      - .offset:         162
        .size:           2
        .value_kind:     hidden_remainder_x
      - .offset:         164
        .size:           2
        .value_kind:     hidden_remainder_y
      - .offset:         166
        .size:           2
        .value_kind:     hidden_remainder_z
      - .offset:         184
        .size:           8
        .value_kind:     hidden_global_offset_x
      - .offset:         192
        .size:           8
        .value_kind:     hidden_global_offset_y
      - .offset:         200
        .size:           8
        .value_kind:     hidden_global_offset_z
      - .offset:         208
        .size:           2
        .value_kind:     hidden_grid_dims
    .group_segment_fixed_size: 0
    .kernarg_segment_align: 8
    .kernarg_segment_size: 400
    .language:       OpenCL C
    .language_version:
      - 2
      - 0
    .max_flat_workgroup_size: 1024
    .name:           _ZN5aiter35fused_qk_rmsnorm_group_quant_kernelIDF16_DB8_Li64ELi8ELi16ELb1ELb1ELb0ELb0ELb0ELb0EEEvPT0_PvPT_S6_S6_PKS5_S8_S8_S8_S8_ffiiiiiiiiiiiii
    .private_segment_fixed_size: 0
    .sgpr_count:     44
    .sgpr_spill_count: 0
    .symbol:         _ZN5aiter35fused_qk_rmsnorm_group_quant_kernelIDF16_DB8_Li64ELi8ELi16ELb1ELb1ELb0ELb0ELb0ELb0EEEvPT0_PvPT_S6_S6_PKS5_S8_S8_S8_S8_ffiiiiiiiiiiiii.kd
    .uniform_work_group_size: 1
    .uses_dynamic_stack: false
    .vgpr_count:     34
    .vgpr_spill_count: 0
    .wavefront_size: 64
  - .agpr_count:     0
    .args:
      - .actual_access:  write_only
        .address_space:  global
        .offset:         0
        .size:           8
        .value_kind:     global_buffer
      - .actual_access:  write_only
        .address_space:  global
        .offset:         8
        .size:           8
        .value_kind:     global_buffer
      - .actual_access:  write_only
        .address_space:  global
        .offset:         16
        .size:           8
        .value_kind:     global_buffer
      - .actual_access:  write_only
        .address_space:  global
        .offset:         24
        .size:           8
        .value_kind:     global_buffer
      - .actual_access:  write_only
        .address_space:  global
        .offset:         32
        .size:           8
        .value_kind:     global_buffer
      - .actual_access:  read_only
        .address_space:  global
        .offset:         40
        .size:           8
        .value_kind:     global_buffer
      - .actual_access:  read_only
        .address_space:  global
        .offset:         48
        .size:           8
        .value_kind:     global_buffer
      - .actual_access:  read_only
        .address_space:  global
        .offset:         56
        .size:           8
        .value_kind:     global_buffer
      - .actual_access:  read_only
        .address_space:  global
        .offset:         64
        .size:           8
        .value_kind:     global_buffer
      - .actual_access:  read_only
        .address_space:  global
        .offset:         72
        .size:           8
        .value_kind:     global_buffer
      - .offset:         80
        .size:           4
        .value_kind:     by_value
      - .offset:         84
        .size:           4
        .value_kind:     by_value
      - .offset:         88
        .size:           4
        .value_kind:     by_value
      - .offset:         92
        .size:           4
        .value_kind:     by_value
      - .offset:         96
        .size:           4
        .value_kind:     by_value
      - .offset:         100
        .size:           4
        .value_kind:     by_value
      - .offset:         104
        .size:           4
        .value_kind:     by_value
      - .offset:         108
        .size:           4
        .value_kind:     by_value
      - .offset:         112
        .size:           4
        .value_kind:     by_value
      - .offset:         116
        .size:           4
        .value_kind:     by_value
      - .offset:         120
        .size:           4
        .value_kind:     by_value
      - .offset:         124
        .size:           4
        .value_kind:     by_value
      - .offset:         128
        .size:           4
        .value_kind:     by_value
      - .offset:         132
        .size:           4
        .value_kind:     by_value
      - .offset:         136
        .size:           4
        .value_kind:     by_value
      - .offset:         144
        .size:           4
        .value_kind:     hidden_block_count_x
      - .offset:         148
        .size:           4
        .value_kind:     hidden_block_count_y
      - .offset:         152
        .size:           4
        .value_kind:     hidden_block_count_z
      - .offset:         156
        .size:           2
        .value_kind:     hidden_group_size_x
      - .offset:         158
        .size:           2
        .value_kind:     hidden_group_size_y
      - .offset:         160
        .size:           2
        .value_kind:     hidden_group_size_z
      - .offset:         162
        .size:           2
        .value_kind:     hidden_remainder_x
      - .offset:         164
        .size:           2
        .value_kind:     hidden_remainder_y
      - .offset:         166
        .size:           2
        .value_kind:     hidden_remainder_z
      - .offset:         184
        .size:           8
        .value_kind:     hidden_global_offset_x
      - .offset:         192
        .size:           8
        .value_kind:     hidden_global_offset_y
      - .offset:         200
        .size:           8
        .value_kind:     hidden_global_offset_z
      - .offset:         208
        .size:           2
        .value_kind:     hidden_grid_dims
    .group_segment_fixed_size: 0
    .kernarg_segment_align: 8
    .kernarg_segment_size: 400
    .language:       OpenCL C
    .language_version:
      - 2
      - 0
    .max_flat_workgroup_size: 1024
    .name:           _ZN5aiter35fused_qk_rmsnorm_group_quant_kernelItDB8_Li64ELi8ELi16ELb1ELb1ELb0ELb0ELb0ELb0EEEvPT0_PvPT_S6_S6_PKS5_S8_S8_S8_S8_ffiiiiiiiiiiiii
    .private_segment_fixed_size: 0
    .sgpr_count:     48
    .sgpr_spill_count: 0
    .symbol:         _ZN5aiter35fused_qk_rmsnorm_group_quant_kernelItDB8_Li64ELi8ELi16ELb1ELb1ELb0ELb0ELb0ELb0EEEvPT0_PvPT_S6_S6_PKS5_S8_S8_S8_S8_ffiiiiiiiiiiiii.kd
    .uniform_work_group_size: 1
    .uses_dynamic_stack: false
    .vgpr_count:     27
    .vgpr_spill_count: 0
    .wavefront_size: 64
  - .agpr_count:     0
    .args:
      - .actual_access:  write_only
        .address_space:  global
        .offset:         0
        .size:           8
        .value_kind:     global_buffer
      - .actual_access:  write_only
        .address_space:  global
        .offset:         8
        .size:           8
        .value_kind:     global_buffer
      - .actual_access:  write_only
        .address_space:  global
        .offset:         16
        .size:           8
        .value_kind:     global_buffer
      - .actual_access:  write_only
        .address_space:  global
        .offset:         24
        .size:           8
        .value_kind:     global_buffer
      - .actual_access:  write_only
        .address_space:  global
        .offset:         32
        .size:           8
        .value_kind:     global_buffer
      - .actual_access:  read_only
        .address_space:  global
        .offset:         40
        .size:           8
        .value_kind:     global_buffer
      - .actual_access:  read_only
        .address_space:  global
        .offset:         48
        .size:           8
        .value_kind:     global_buffer
      - .actual_access:  read_only
        .address_space:  global
        .offset:         56
        .size:           8
        .value_kind:     global_buffer
      - .actual_access:  read_only
        .address_space:  global
        .offset:         64
        .size:           8
        .value_kind:     global_buffer
      - .actual_access:  read_only
        .address_space:  global
        .offset:         72
        .size:           8
        .value_kind:     global_buffer
      - .offset:         80
        .size:           4
        .value_kind:     by_value
      - .offset:         84
        .size:           4
        .value_kind:     by_value
      - .offset:         88
        .size:           4
        .value_kind:     by_value
      - .offset:         92
        .size:           4
        .value_kind:     by_value
      - .offset:         96
        .size:           4
        .value_kind:     by_value
      - .offset:         100
        .size:           4
        .value_kind:     by_value
      - .offset:         104
        .size:           4
        .value_kind:     by_value
      - .offset:         108
        .size:           4
        .value_kind:     by_value
      - .offset:         112
        .size:           4
        .value_kind:     by_value
      - .offset:         116
        .size:           4
        .value_kind:     by_value
      - .offset:         120
        .size:           4
        .value_kind:     by_value
      - .offset:         124
        .size:           4
        .value_kind:     by_value
      - .offset:         128
        .size:           4
        .value_kind:     by_value
      - .offset:         132
        .size:           4
        .value_kind:     by_value
      - .offset:         136
        .size:           4
        .value_kind:     by_value
      - .offset:         144
        .size:           4
        .value_kind:     hidden_block_count_x
      - .offset:         148
        .size:           4
        .value_kind:     hidden_block_count_y
      - .offset:         152
        .size:           4
        .value_kind:     hidden_block_count_z
      - .offset:         156
        .size:           2
        .value_kind:     hidden_group_size_x
      - .offset:         158
        .size:           2
        .value_kind:     hidden_group_size_y
      - .offset:         160
        .size:           2
        .value_kind:     hidden_group_size_z
      - .offset:         162
        .size:           2
        .value_kind:     hidden_remainder_x
      - .offset:         164
        .size:           2
        .value_kind:     hidden_remainder_y
      - .offset:         166
        .size:           2
        .value_kind:     hidden_remainder_z
      - .offset:         184
        .size:           8
        .value_kind:     hidden_global_offset_x
      - .offset:         192
        .size:           8
        .value_kind:     hidden_global_offset_y
      - .offset:         200
        .size:           8
        .value_kind:     hidden_global_offset_z
      - .offset:         208
        .size:           2
        .value_kind:     hidden_grid_dims
    .group_segment_fixed_size: 0
    .kernarg_segment_align: 8
    .kernarg_segment_size: 400
    .language:       OpenCL C
    .language_version:
      - 2
      - 0
    .max_flat_workgroup_size: 1024
    .name:           _ZN5aiter35fused_qk_rmsnorm_group_quant_kernelIDF16_N4opus5fp4_tELi64ELi8ELi16ELb1ELb1ELb0ELb0ELb0ELb0EEEvPT0_PvPT_S7_S7_PKS6_S9_S9_S9_S9_ffiiiiiiiiiiiii
    .private_segment_fixed_size: 0
    .sgpr_count:     44
    .sgpr_spill_count: 0
    .symbol:         _ZN5aiter35fused_qk_rmsnorm_group_quant_kernelIDF16_N4opus5fp4_tELi64ELi8ELi16ELb1ELb1ELb0ELb0ELb0ELb0EEEvPT0_PvPT_S7_S7_PKS6_S9_S9_S9_S9_ffiiiiiiiiiiiii.kd
    .uniform_work_group_size: 1
    .uses_dynamic_stack: false
    .vgpr_count:     27
    .vgpr_spill_count: 0
    .wavefront_size: 64
  - .agpr_count:     0
    .args:
      - .actual_access:  write_only
        .address_space:  global
        .offset:         0
        .size:           8
        .value_kind:     global_buffer
      - .actual_access:  write_only
        .address_space:  global
        .offset:         8
        .size:           8
        .value_kind:     global_buffer
      - .actual_access:  write_only
        .address_space:  global
        .offset:         16
        .size:           8
        .value_kind:     global_buffer
      - .actual_access:  write_only
        .address_space:  global
        .offset:         24
        .size:           8
        .value_kind:     global_buffer
      - .actual_access:  write_only
        .address_space:  global
        .offset:         32
        .size:           8
        .value_kind:     global_buffer
      - .actual_access:  read_only
        .address_space:  global
        .offset:         40
        .size:           8
        .value_kind:     global_buffer
      - .actual_access:  read_only
        .address_space:  global
        .offset:         48
        .size:           8
        .value_kind:     global_buffer
      - .actual_access:  read_only
        .address_space:  global
        .offset:         56
        .size:           8
        .value_kind:     global_buffer
      - .actual_access:  read_only
        .address_space:  global
        .offset:         64
        .size:           8
        .value_kind:     global_buffer
      - .actual_access:  read_only
        .address_space:  global
        .offset:         72
        .size:           8
        .value_kind:     global_buffer
      - .offset:         80
        .size:           4
        .value_kind:     by_value
      - .offset:         84
        .size:           4
        .value_kind:     by_value
      - .offset:         88
        .size:           4
        .value_kind:     by_value
      - .offset:         92
        .size:           4
        .value_kind:     by_value
      - .offset:         96
        .size:           4
        .value_kind:     by_value
      - .offset:         100
        .size:           4
        .value_kind:     by_value
      - .offset:         104
        .size:           4
        .value_kind:     by_value
      - .offset:         108
        .size:           4
        .value_kind:     by_value
      - .offset:         112
        .size:           4
        .value_kind:     by_value
      - .offset:         116
        .size:           4
        .value_kind:     by_value
      - .offset:         120
        .size:           4
        .value_kind:     by_value
      - .offset:         124
        .size:           4
        .value_kind:     by_value
      - .offset:         128
        .size:           4
        .value_kind:     by_value
      - .offset:         132
        .size:           4
        .value_kind:     by_value
      - .offset:         136
        .size:           4
        .value_kind:     by_value
      - .offset:         144
        .size:           4
        .value_kind:     hidden_block_count_x
      - .offset:         148
        .size:           4
        .value_kind:     hidden_block_count_y
      - .offset:         152
        .size:           4
        .value_kind:     hidden_block_count_z
      - .offset:         156
        .size:           2
        .value_kind:     hidden_group_size_x
      - .offset:         158
        .size:           2
        .value_kind:     hidden_group_size_y
      - .offset:         160
        .size:           2
        .value_kind:     hidden_group_size_z
      - .offset:         162
        .size:           2
        .value_kind:     hidden_remainder_x
      - .offset:         164
        .size:           2
        .value_kind:     hidden_remainder_y
      - .offset:         166
        .size:           2
        .value_kind:     hidden_remainder_z
      - .offset:         184
        .size:           8
        .value_kind:     hidden_global_offset_x
      - .offset:         192
        .size:           8
        .value_kind:     hidden_global_offset_y
      - .offset:         200
        .size:           8
        .value_kind:     hidden_global_offset_z
      - .offset:         208
        .size:           2
        .value_kind:     hidden_grid_dims
    .group_segment_fixed_size: 0
    .kernarg_segment_align: 8
    .kernarg_segment_size: 400
    .language:       OpenCL C
    .language_version:
      - 2
      - 0
    .max_flat_workgroup_size: 1024
    .name:           _ZN5aiter35fused_qk_rmsnorm_group_quant_kernelItN4opus5fp4_tELi64ELi8ELi16ELb1ELb1ELb0ELb0ELb0ELb0EEEvPT0_PvPT_S7_S7_PKS6_S9_S9_S9_S9_ffiiiiiiiiiiiii
    .private_segment_fixed_size: 0
    .sgpr_count:     48
    .sgpr_spill_count: 0
    .symbol:         _ZN5aiter35fused_qk_rmsnorm_group_quant_kernelItN4opus5fp4_tELi64ELi8ELi16ELb1ELb1ELb0ELb0ELb0ELb0EEEvPT0_PvPT_S7_S7_PKS6_S9_S9_S9_S9_ffiiiiiiiiiiiii.kd
    .uniform_work_group_size: 1
    .uses_dynamic_stack: false
    .vgpr_count:     27
    .vgpr_spill_count: 0
    .wavefront_size: 64
  - .agpr_count:     0
    .args:
      - .actual_access:  write_only
        .address_space:  global
        .offset:         0
        .size:           8
        .value_kind:     global_buffer
      - .actual_access:  write_only
        .address_space:  global
        .offset:         8
        .size:           8
        .value_kind:     global_buffer
      - .actual_access:  read_only
        .address_space:  global
        .offset:         16
        .size:           8
        .value_kind:     global_buffer
      - .actual_access:  write_only
        .address_space:  global
        .offset:         24
        .size:           8
        .value_kind:     global_buffer
      - .actual_access:  write_only
        .address_space:  global
        .offset:         32
        .size:           8
        .value_kind:     global_buffer
      - .actual_access:  read_only
        .address_space:  global
        .offset:         40
        .size:           8
        .value_kind:     global_buffer
      - .actual_access:  read_only
        .address_space:  global
        .offset:         48
        .size:           8
        .value_kind:     global_buffer
      - .actual_access:  read_only
        .address_space:  global
        .offset:         56
        .size:           8
        .value_kind:     global_buffer
      - .actual_access:  read_only
        .address_space:  global
        .offset:         64
        .size:           8
        .value_kind:     global_buffer
      - .actual_access:  read_only
        .address_space:  global
        .offset:         72
        .size:           8
        .value_kind:     global_buffer
      - .offset:         80
        .size:           4
        .value_kind:     by_value
      - .offset:         84
        .size:           4
        .value_kind:     by_value
      - .offset:         88
        .size:           4
        .value_kind:     by_value
      - .offset:         92
        .size:           4
        .value_kind:     by_value
      - .offset:         96
        .size:           4
        .value_kind:     by_value
      - .offset:         100
        .size:           4
        .value_kind:     by_value
      - .offset:         104
        .size:           4
        .value_kind:     by_value
      - .offset:         108
        .size:           4
        .value_kind:     by_value
      - .offset:         112
        .size:           4
        .value_kind:     by_value
      - .offset:         116
        .size:           4
        .value_kind:     by_value
      - .offset:         120
        .size:           4
        .value_kind:     by_value
      - .offset:         124
        .size:           4
        .value_kind:     by_value
      - .offset:         128
        .size:           4
        .value_kind:     by_value
      - .offset:         132
        .size:           4
        .value_kind:     by_value
      - .offset:         136
        .size:           4
        .value_kind:     by_value
      - .offset:         144
        .size:           4
        .value_kind:     hidden_block_count_x
      - .offset:         148
        .size:           4
        .value_kind:     hidden_block_count_y
      - .offset:         152
        .size:           4
        .value_kind:     hidden_block_count_z
      - .offset:         156
        .size:           2
        .value_kind:     hidden_group_size_x
      - .offset:         158
        .size:           2
        .value_kind:     hidden_group_size_y
      - .offset:         160
        .size:           2
        .value_kind:     hidden_group_size_z
      - .offset:         162
        .size:           2
        .value_kind:     hidden_remainder_x
      - .offset:         164
        .size:           2
        .value_kind:     hidden_remainder_y
      - .offset:         166
        .size:           2
        .value_kind:     hidden_remainder_z
      - .offset:         184
        .size:           8
        .value_kind:     hidden_global_offset_x
      - .offset:         192
        .size:           8
        .value_kind:     hidden_global_offset_y
      - .offset:         200
        .size:           8
        .value_kind:     hidden_global_offset_z
      - .offset:         208
        .size:           2
        .value_kind:     hidden_grid_dims
    .group_segment_fixed_size: 0
    .kernarg_segment_align: 8
    .kernarg_segment_size: 400
    .language:       OpenCL C
    .language_version:
      - 2
      - 0
    .max_flat_workgroup_size: 1024
    .name:           _ZN5aiter35fused_qk_rmsnorm_group_quant_kernelIDF16_DB8_Li64ELi8ELi16ELb1ELb0ELb1ELb0ELb0ELb0EEEvPT0_PvPT_S6_S6_PKS5_S8_S8_S8_S8_ffiiiiiiiiiiiii
    .private_segment_fixed_size: 0
    .sgpr_count:     44
    .sgpr_spill_count: 0
    .symbol:         _ZN5aiter35fused_qk_rmsnorm_group_quant_kernelIDF16_DB8_Li64ELi8ELi16ELb1ELb0ELb1ELb0ELb0ELb0EEEvPT0_PvPT_S6_S6_PKS5_S8_S8_S8_S8_ffiiiiiiiiiiiii.kd
    .uniform_work_group_size: 1
    .uses_dynamic_stack: false
    .vgpr_count:     31
    .vgpr_spill_count: 0
    .wavefront_size: 64
  - .agpr_count:     0
    .args:
      - .actual_access:  write_only
        .address_space:  global
        .offset:         0
        .size:           8
        .value_kind:     global_buffer
      - .actual_access:  write_only
        .address_space:  global
        .offset:         8
        .size:           8
        .value_kind:     global_buffer
      - .actual_access:  read_only
        .address_space:  global
        .offset:         16
        .size:           8
        .value_kind:     global_buffer
      - .actual_access:  write_only
        .address_space:  global
        .offset:         24
        .size:           8
        .value_kind:     global_buffer
      - .actual_access:  write_only
        .address_space:  global
        .offset:         32
        .size:           8
        .value_kind:     global_buffer
      - .actual_access:  read_only
        .address_space:  global
        .offset:         40
        .size:           8
        .value_kind:     global_buffer
      - .actual_access:  read_only
        .address_space:  global
        .offset:         48
        .size:           8
        .value_kind:     global_buffer
      - .actual_access:  read_only
        .address_space:  global
        .offset:         56
        .size:           8
        .value_kind:     global_buffer
      - .actual_access:  read_only
        .address_space:  global
        .offset:         64
        .size:           8
        .value_kind:     global_buffer
      - .actual_access:  read_only
        .address_space:  global
        .offset:         72
        .size:           8
        .value_kind:     global_buffer
      - .offset:         80
        .size:           4
        .value_kind:     by_value
      - .offset:         84
        .size:           4
        .value_kind:     by_value
      - .offset:         88
        .size:           4
        .value_kind:     by_value
      - .offset:         92
        .size:           4
        .value_kind:     by_value
      - .offset:         96
        .size:           4
        .value_kind:     by_value
      - .offset:         100
        .size:           4
        .value_kind:     by_value
      - .offset:         104
        .size:           4
        .value_kind:     by_value
      - .offset:         108
        .size:           4
        .value_kind:     by_value
      - .offset:         112
        .size:           4
        .value_kind:     by_value
      - .offset:         116
        .size:           4
        .value_kind:     by_value
      - .offset:         120
        .size:           4
        .value_kind:     by_value
      - .offset:         124
        .size:           4
        .value_kind:     by_value
      - .offset:         128
        .size:           4
        .value_kind:     by_value
      - .offset:         132
        .size:           4
        .value_kind:     by_value
      - .offset:         136
        .size:           4
        .value_kind:     by_value
      - .offset:         144
        .size:           4
        .value_kind:     hidden_block_count_x
      - .offset:         148
        .size:           4
        .value_kind:     hidden_block_count_y
      - .offset:         152
        .size:           4
        .value_kind:     hidden_block_count_z
      - .offset:         156
        .size:           2
        .value_kind:     hidden_group_size_x
      - .offset:         158
        .size:           2
        .value_kind:     hidden_group_size_y
      - .offset:         160
        .size:           2
        .value_kind:     hidden_group_size_z
      - .offset:         162
        .size:           2
        .value_kind:     hidden_remainder_x
      - .offset:         164
        .size:           2
        .value_kind:     hidden_remainder_y
      - .offset:         166
        .size:           2
        .value_kind:     hidden_remainder_z
      - .offset:         184
        .size:           8
        .value_kind:     hidden_global_offset_x
      - .offset:         192
        .size:           8
        .value_kind:     hidden_global_offset_y
      - .offset:         200
        .size:           8
        .value_kind:     hidden_global_offset_z
      - .offset:         208
        .size:           2
        .value_kind:     hidden_grid_dims
    .group_segment_fixed_size: 0
    .kernarg_segment_align: 8
    .kernarg_segment_size: 400
    .language:       OpenCL C
    .language_version:
      - 2
      - 0
    .max_flat_workgroup_size: 1024
    .name:           _ZN5aiter35fused_qk_rmsnorm_group_quant_kernelItDB8_Li64ELi8ELi16ELb1ELb0ELb1ELb0ELb0ELb0EEEvPT0_PvPT_S6_S6_PKS5_S8_S8_S8_S8_ffiiiiiiiiiiiii
    .private_segment_fixed_size: 0
    .sgpr_count:     48
    .sgpr_spill_count: 0
    .symbol:         _ZN5aiter35fused_qk_rmsnorm_group_quant_kernelItDB8_Li64ELi8ELi16ELb1ELb0ELb1ELb0ELb0ELb0EEEvPT0_PvPT_S6_S6_PKS5_S8_S8_S8_S8_ffiiiiiiiiiiiii.kd
    .uniform_work_group_size: 1
    .uses_dynamic_stack: false
    .vgpr_count:     27
    .vgpr_spill_count: 0
    .wavefront_size: 64
  - .agpr_count:     0
    .args:
      - .actual_access:  write_only
        .address_space:  global
        .offset:         0
        .size:           8
        .value_kind:     global_buffer
      - .actual_access:  write_only
        .address_space:  global
        .offset:         8
        .size:           8
        .value_kind:     global_buffer
      - .actual_access:  read_only
        .address_space:  global
        .offset:         16
        .size:           8
        .value_kind:     global_buffer
      - .actual_access:  write_only
        .address_space:  global
        .offset:         24
        .size:           8
        .value_kind:     global_buffer
      - .actual_access:  write_only
        .address_space:  global
        .offset:         32
        .size:           8
        .value_kind:     global_buffer
      - .actual_access:  read_only
        .address_space:  global
        .offset:         40
        .size:           8
        .value_kind:     global_buffer
      - .actual_access:  read_only
        .address_space:  global
        .offset:         48
        .size:           8
        .value_kind:     global_buffer
      - .actual_access:  read_only
        .address_space:  global
        .offset:         56
        .size:           8
        .value_kind:     global_buffer
      - .actual_access:  read_only
        .address_space:  global
        .offset:         64
        .size:           8
        .value_kind:     global_buffer
      - .actual_access:  read_only
        .address_space:  global
        .offset:         72
        .size:           8
        .value_kind:     global_buffer
      - .offset:         80
        .size:           4
        .value_kind:     by_value
      - .offset:         84
        .size:           4
        .value_kind:     by_value
      - .offset:         88
        .size:           4
        .value_kind:     by_value
      - .offset:         92
        .size:           4
        .value_kind:     by_value
      - .offset:         96
        .size:           4
        .value_kind:     by_value
      - .offset:         100
        .size:           4
        .value_kind:     by_value
      - .offset:         104
        .size:           4
        .value_kind:     by_value
      - .offset:         108
        .size:           4
        .value_kind:     by_value
      - .offset:         112
        .size:           4
        .value_kind:     by_value
      - .offset:         116
        .size:           4
        .value_kind:     by_value
      - .offset:         120
        .size:           4
        .value_kind:     by_value
      - .offset:         124
        .size:           4
        .value_kind:     by_value
      - .offset:         128
        .size:           4
        .value_kind:     by_value
      - .offset:         132
        .size:           4
        .value_kind:     by_value
      - .offset:         136
        .size:           4
        .value_kind:     by_value
      - .offset:         144
        .size:           4
        .value_kind:     hidden_block_count_x
      - .offset:         148
        .size:           4
        .value_kind:     hidden_block_count_y
      - .offset:         152
        .size:           4
        .value_kind:     hidden_block_count_z
      - .offset:         156
        .size:           2
        .value_kind:     hidden_group_size_x
      - .offset:         158
        .size:           2
        .value_kind:     hidden_group_size_y
      - .offset:         160
        .size:           2
        .value_kind:     hidden_group_size_z
      - .offset:         162
        .size:           2
        .value_kind:     hidden_remainder_x
      - .offset:         164
        .size:           2
        .value_kind:     hidden_remainder_y
      - .offset:         166
        .size:           2
        .value_kind:     hidden_remainder_z
      - .offset:         184
        .size:           8
        .value_kind:     hidden_global_offset_x
      - .offset:         192
        .size:           8
        .value_kind:     hidden_global_offset_y
      - .offset:         200
        .size:           8
        .value_kind:     hidden_global_offset_z
      - .offset:         208
        .size:           2
        .value_kind:     hidden_grid_dims
    .group_segment_fixed_size: 0
    .kernarg_segment_align: 8
    .kernarg_segment_size: 400
    .language:       OpenCL C
    .language_version:
      - 2
      - 0
    .max_flat_workgroup_size: 1024
    .name:           _ZN5aiter35fused_qk_rmsnorm_group_quant_kernelIDF16_N4opus5fp4_tELi64ELi8ELi16ELb1ELb0ELb1ELb0ELb0ELb0EEEvPT0_PvPT_S7_S7_PKS6_S9_S9_S9_S9_ffiiiiiiiiiiiii
    .private_segment_fixed_size: 0
    .sgpr_count:     44
    .sgpr_spill_count: 0
    .symbol:         _ZN5aiter35fused_qk_rmsnorm_group_quant_kernelIDF16_N4opus5fp4_tELi64ELi8ELi16ELb1ELb0ELb1ELb0ELb0ELb0EEEvPT0_PvPT_S7_S7_PKS6_S9_S9_S9_S9_ffiiiiiiiiiiiii.kd
    .uniform_work_group_size: 1
    .uses_dynamic_stack: false
    .vgpr_count:     25
    .vgpr_spill_count: 0
    .wavefront_size: 64
  - .agpr_count:     0
    .args:
      - .actual_access:  write_only
        .address_space:  global
        .offset:         0
        .size:           8
        .value_kind:     global_buffer
      - .actual_access:  write_only
        .address_space:  global
        .offset:         8
        .size:           8
        .value_kind:     global_buffer
      - .actual_access:  read_only
        .address_space:  global
        .offset:         16
        .size:           8
        .value_kind:     global_buffer
      - .actual_access:  write_only
        .address_space:  global
        .offset:         24
        .size:           8
        .value_kind:     global_buffer
      - .actual_access:  write_only
        .address_space:  global
        .offset:         32
        .size:           8
        .value_kind:     global_buffer
      - .actual_access:  read_only
        .address_space:  global
        .offset:         40
        .size:           8
        .value_kind:     global_buffer
      - .actual_access:  read_only
        .address_space:  global
        .offset:         48
        .size:           8
        .value_kind:     global_buffer
      - .actual_access:  read_only
        .address_space:  global
        .offset:         56
        .size:           8
        .value_kind:     global_buffer
      - .actual_access:  read_only
        .address_space:  global
        .offset:         64
        .size:           8
        .value_kind:     global_buffer
      - .actual_access:  read_only
        .address_space:  global
        .offset:         72
        .size:           8
        .value_kind:     global_buffer
      - .offset:         80
        .size:           4
        .value_kind:     by_value
      - .offset:         84
        .size:           4
        .value_kind:     by_value
      - .offset:         88
        .size:           4
        .value_kind:     by_value
      - .offset:         92
        .size:           4
        .value_kind:     by_value
      - .offset:         96
        .size:           4
        .value_kind:     by_value
      - .offset:         100
        .size:           4
        .value_kind:     by_value
      - .offset:         104
        .size:           4
        .value_kind:     by_value
      - .offset:         108
        .size:           4
        .value_kind:     by_value
      - .offset:         112
        .size:           4
        .value_kind:     by_value
      - .offset:         116
        .size:           4
        .value_kind:     by_value
      - .offset:         120
        .size:           4
        .value_kind:     by_value
      - .offset:         124
        .size:           4
        .value_kind:     by_value
      - .offset:         128
        .size:           4
        .value_kind:     by_value
      - .offset:         132
        .size:           4
        .value_kind:     by_value
      - .offset:         136
        .size:           4
        .value_kind:     by_value
      - .offset:         144
        .size:           4
        .value_kind:     hidden_block_count_x
      - .offset:         148
        .size:           4
        .value_kind:     hidden_block_count_y
      - .offset:         152
        .size:           4
        .value_kind:     hidden_block_count_z
      - .offset:         156
        .size:           2
        .value_kind:     hidden_group_size_x
      - .offset:         158
        .size:           2
        .value_kind:     hidden_group_size_y
      - .offset:         160
        .size:           2
        .value_kind:     hidden_group_size_z
      - .offset:         162
        .size:           2
        .value_kind:     hidden_remainder_x
      - .offset:         164
        .size:           2
        .value_kind:     hidden_remainder_y
      - .offset:         166
        .size:           2
        .value_kind:     hidden_remainder_z
      - .offset:         184
        .size:           8
        .value_kind:     hidden_global_offset_x
      - .offset:         192
        .size:           8
        .value_kind:     hidden_global_offset_y
      - .offset:         200
        .size:           8
        .value_kind:     hidden_global_offset_z
      - .offset:         208
        .size:           2
        .value_kind:     hidden_grid_dims
    .group_segment_fixed_size: 0
    .kernarg_segment_align: 8
    .kernarg_segment_size: 400
    .language:       OpenCL C
    .language_version:
      - 2
      - 0
    .max_flat_workgroup_size: 1024
    .name:           _ZN5aiter35fused_qk_rmsnorm_group_quant_kernelItN4opus5fp4_tELi64ELi8ELi16ELb1ELb0ELb1ELb0ELb0ELb0EEEvPT0_PvPT_S7_S7_PKS6_S9_S9_S9_S9_ffiiiiiiiiiiiii
    .private_segment_fixed_size: 0
    .sgpr_count:     48
    .sgpr_spill_count: 0
    .symbol:         _ZN5aiter35fused_qk_rmsnorm_group_quant_kernelItN4opus5fp4_tELi64ELi8ELi16ELb1ELb0ELb1ELb0ELb0ELb0EEEvPT0_PvPT_S7_S7_PKS6_S9_S9_S9_S9_ffiiiiiiiiiiiii.kd
    .uniform_work_group_size: 1
    .uses_dynamic_stack: false
    .vgpr_count:     27
    .vgpr_spill_count: 0
    .wavefront_size: 64
  - .agpr_count:     0
    .args:
      - .actual_access:  write_only
        .address_space:  global
        .offset:         0
        .size:           8
        .value_kind:     global_buffer
      - .actual_access:  write_only
        .address_space:  global
        .offset:         8
        .size:           8
        .value_kind:     global_buffer
      - .actual_access:  read_only
        .address_space:  global
        .offset:         16
        .size:           8
        .value_kind:     global_buffer
      - .actual_access:  write_only
        .address_space:  global
        .offset:         24
        .size:           8
        .value_kind:     global_buffer
      - .actual_access:  write_only
        .address_space:  global
        .offset:         32
        .size:           8
        .value_kind:     global_buffer
      - .actual_access:  read_only
        .address_space:  global
        .offset:         40
        .size:           8
        .value_kind:     global_buffer
      - .actual_access:  read_only
        .address_space:  global
        .offset:         48
        .size:           8
        .value_kind:     global_buffer
      - .actual_access:  read_only
        .address_space:  global
        .offset:         56
        .size:           8
        .value_kind:     global_buffer
      - .actual_access:  read_only
        .address_space:  global
        .offset:         64
        .size:           8
        .value_kind:     global_buffer
      - .actual_access:  read_only
        .address_space:  global
        .offset:         72
        .size:           8
        .value_kind:     global_buffer
      - .offset:         80
        .size:           4
        .value_kind:     by_value
      - .offset:         84
        .size:           4
        .value_kind:     by_value
      - .offset:         88
        .size:           4
        .value_kind:     by_value
      - .offset:         92
        .size:           4
        .value_kind:     by_value
      - .offset:         96
        .size:           4
        .value_kind:     by_value
      - .offset:         100
        .size:           4
        .value_kind:     by_value
      - .offset:         104
        .size:           4
        .value_kind:     by_value
      - .offset:         108
        .size:           4
        .value_kind:     by_value
      - .offset:         112
        .size:           4
        .value_kind:     by_value
      - .offset:         116
        .size:           4
        .value_kind:     by_value
      - .offset:         120
        .size:           4
        .value_kind:     by_value
      - .offset:         124
        .size:           4
        .value_kind:     by_value
      - .offset:         128
        .size:           4
        .value_kind:     by_value
      - .offset:         132
        .size:           4
        .value_kind:     by_value
      - .offset:         136
        .size:           4
        .value_kind:     by_value
      - .offset:         144
        .size:           4
        .value_kind:     hidden_block_count_x
      - .offset:         148
        .size:           4
        .value_kind:     hidden_block_count_y
      - .offset:         152
        .size:           4
        .value_kind:     hidden_block_count_z
      - .offset:         156
        .size:           2
        .value_kind:     hidden_group_size_x
      - .offset:         158
        .size:           2
        .value_kind:     hidden_group_size_y
      - .offset:         160
        .size:           2
        .value_kind:     hidden_group_size_z
      - .offset:         162
        .size:           2
        .value_kind:     hidden_remainder_x
      - .offset:         164
        .size:           2
        .value_kind:     hidden_remainder_y
      - .offset:         166
        .size:           2
        .value_kind:     hidden_remainder_z
      - .offset:         184
        .size:           8
        .value_kind:     hidden_global_offset_x
      - .offset:         192
        .size:           8
        .value_kind:     hidden_global_offset_y
      - .offset:         200
        .size:           8
        .value_kind:     hidden_global_offset_z
      - .offset:         208
        .size:           2
        .value_kind:     hidden_grid_dims
    .group_segment_fixed_size: 0
    .kernarg_segment_align: 8
    .kernarg_segment_size: 400
    .language:       OpenCL C
    .language_version:
      - 2
      - 0
    .max_flat_workgroup_size: 1024
    .name:           _ZN5aiter35fused_qk_rmsnorm_group_quant_kernelIDF16_DB8_Li64ELi8ELi16ELb1ELb0ELb0ELb0ELb0ELb0EEEvPT0_PvPT_S6_S6_PKS5_S8_S8_S8_S8_ffiiiiiiiiiiiii
    .private_segment_fixed_size: 0
    .sgpr_count:     44
    .sgpr_spill_count: 0
    .symbol:         _ZN5aiter35fused_qk_rmsnorm_group_quant_kernelIDF16_DB8_Li64ELi8ELi16ELb1ELb0ELb0ELb0ELb0ELb0EEEvPT0_PvPT_S6_S6_PKS5_S8_S8_S8_S8_ffiiiiiiiiiiiii.kd
    .uniform_work_group_size: 1
    .uses_dynamic_stack: false
    .vgpr_count:     34
    .vgpr_spill_count: 0
    .wavefront_size: 64
  - .agpr_count:     0
    .args:
      - .actual_access:  write_only
        .address_space:  global
        .offset:         0
        .size:           8
        .value_kind:     global_buffer
      - .actual_access:  write_only
        .address_space:  global
        .offset:         8
        .size:           8
        .value_kind:     global_buffer
      - .actual_access:  read_only
        .address_space:  global
        .offset:         16
        .size:           8
        .value_kind:     global_buffer
      - .actual_access:  write_only
        .address_space:  global
        .offset:         24
        .size:           8
        .value_kind:     global_buffer
      - .actual_access:  write_only
        .address_space:  global
        .offset:         32
        .size:           8
        .value_kind:     global_buffer
      - .actual_access:  read_only
        .address_space:  global
        .offset:         40
        .size:           8
        .value_kind:     global_buffer
      - .actual_access:  read_only
        .address_space:  global
        .offset:         48
        .size:           8
        .value_kind:     global_buffer
      - .actual_access:  read_only
        .address_space:  global
        .offset:         56
        .size:           8
        .value_kind:     global_buffer
      - .actual_access:  read_only
        .address_space:  global
        .offset:         64
        .size:           8
        .value_kind:     global_buffer
      - .actual_access:  read_only
        .address_space:  global
        .offset:         72
        .size:           8
        .value_kind:     global_buffer
      - .offset:         80
        .size:           4
        .value_kind:     by_value
      - .offset:         84
        .size:           4
        .value_kind:     by_value
      - .offset:         88
        .size:           4
        .value_kind:     by_value
      - .offset:         92
        .size:           4
        .value_kind:     by_value
      - .offset:         96
        .size:           4
        .value_kind:     by_value
      - .offset:         100
        .size:           4
        .value_kind:     by_value
      - .offset:         104
        .size:           4
        .value_kind:     by_value
      - .offset:         108
        .size:           4
        .value_kind:     by_value
      - .offset:         112
        .size:           4
        .value_kind:     by_value
      - .offset:         116
        .size:           4
        .value_kind:     by_value
      - .offset:         120
        .size:           4
        .value_kind:     by_value
      - .offset:         124
        .size:           4
        .value_kind:     by_value
      - .offset:         128
        .size:           4
        .value_kind:     by_value
      - .offset:         132
        .size:           4
        .value_kind:     by_value
      - .offset:         136
        .size:           4
        .value_kind:     by_value
      - .offset:         144
        .size:           4
        .value_kind:     hidden_block_count_x
      - .offset:         148
        .size:           4
        .value_kind:     hidden_block_count_y
      - .offset:         152
        .size:           4
        .value_kind:     hidden_block_count_z
      - .offset:         156
        .size:           2
        .value_kind:     hidden_group_size_x
      - .offset:         158
        .size:           2
        .value_kind:     hidden_group_size_y
      - .offset:         160
        .size:           2
        .value_kind:     hidden_group_size_z
      - .offset:         162
        .size:           2
        .value_kind:     hidden_remainder_x
      - .offset:         164
        .size:           2
        .value_kind:     hidden_remainder_y
      - .offset:         166
        .size:           2
        .value_kind:     hidden_remainder_z
      - .offset:         184
        .size:           8
        .value_kind:     hidden_global_offset_x
      - .offset:         192
        .size:           8
        .value_kind:     hidden_global_offset_y
      - .offset:         200
        .size:           8
        .value_kind:     hidden_global_offset_z
      - .offset:         208
        .size:           2
        .value_kind:     hidden_grid_dims
    .group_segment_fixed_size: 0
    .kernarg_segment_align: 8
    .kernarg_segment_size: 400
    .language:       OpenCL C
    .language_version:
      - 2
      - 0
    .max_flat_workgroup_size: 1024
    .name:           _ZN5aiter35fused_qk_rmsnorm_group_quant_kernelItDB8_Li64ELi8ELi16ELb1ELb0ELb0ELb0ELb0ELb0EEEvPT0_PvPT_S6_S6_PKS5_S8_S8_S8_S8_ffiiiiiiiiiiiii
    .private_segment_fixed_size: 0
    .sgpr_count:     48
    .sgpr_spill_count: 0
    .symbol:         _ZN5aiter35fused_qk_rmsnorm_group_quant_kernelItDB8_Li64ELi8ELi16ELb1ELb0ELb0ELb0ELb0ELb0EEEvPT0_PvPT_S6_S6_PKS5_S8_S8_S8_S8_ffiiiiiiiiiiiii.kd
    .uniform_work_group_size: 1
    .uses_dynamic_stack: false
    .vgpr_count:     27
    .vgpr_spill_count: 0
    .wavefront_size: 64
  - .agpr_count:     0
    .args:
      - .actual_access:  write_only
        .address_space:  global
        .offset:         0
        .size:           8
        .value_kind:     global_buffer
      - .actual_access:  write_only
        .address_space:  global
        .offset:         8
        .size:           8
        .value_kind:     global_buffer
      - .actual_access:  read_only
        .address_space:  global
        .offset:         16
        .size:           8
        .value_kind:     global_buffer
      - .actual_access:  write_only
        .address_space:  global
        .offset:         24
        .size:           8
        .value_kind:     global_buffer
      - .actual_access:  write_only
        .address_space:  global
        .offset:         32
        .size:           8
        .value_kind:     global_buffer
      - .actual_access:  read_only
        .address_space:  global
        .offset:         40
        .size:           8
        .value_kind:     global_buffer
      - .actual_access:  read_only
        .address_space:  global
        .offset:         48
        .size:           8
        .value_kind:     global_buffer
      - .actual_access:  read_only
        .address_space:  global
        .offset:         56
        .size:           8
        .value_kind:     global_buffer
      - .actual_access:  read_only
        .address_space:  global
        .offset:         64
        .size:           8
        .value_kind:     global_buffer
      - .actual_access:  read_only
        .address_space:  global
        .offset:         72
        .size:           8
        .value_kind:     global_buffer
      - .offset:         80
        .size:           4
        .value_kind:     by_value
      - .offset:         84
        .size:           4
        .value_kind:     by_value
      - .offset:         88
        .size:           4
        .value_kind:     by_value
      - .offset:         92
        .size:           4
        .value_kind:     by_value
      - .offset:         96
        .size:           4
        .value_kind:     by_value
      - .offset:         100
        .size:           4
        .value_kind:     by_value
      - .offset:         104
        .size:           4
        .value_kind:     by_value
      - .offset:         108
        .size:           4
        .value_kind:     by_value
      - .offset:         112
        .size:           4
        .value_kind:     by_value
      - .offset:         116
        .size:           4
        .value_kind:     by_value
      - .offset:         120
        .size:           4
        .value_kind:     by_value
      - .offset:         124
        .size:           4
        .value_kind:     by_value
      - .offset:         128
        .size:           4
        .value_kind:     by_value
      - .offset:         132
        .size:           4
        .value_kind:     by_value
      - .offset:         136
        .size:           4
        .value_kind:     by_value
      - .offset:         144
        .size:           4
        .value_kind:     hidden_block_count_x
      - .offset:         148
        .size:           4
        .value_kind:     hidden_block_count_y
      - .offset:         152
        .size:           4
        .value_kind:     hidden_block_count_z
      - .offset:         156
        .size:           2
        .value_kind:     hidden_group_size_x
      - .offset:         158
        .size:           2
        .value_kind:     hidden_group_size_y
      - .offset:         160
        .size:           2
        .value_kind:     hidden_group_size_z
      - .offset:         162
        .size:           2
        .value_kind:     hidden_remainder_x
      - .offset:         164
        .size:           2
        .value_kind:     hidden_remainder_y
      - .offset:         166
        .size:           2
        .value_kind:     hidden_remainder_z
      - .offset:         184
        .size:           8
        .value_kind:     hidden_global_offset_x
      - .offset:         192
        .size:           8
        .value_kind:     hidden_global_offset_y
      - .offset:         200
        .size:           8
        .value_kind:     hidden_global_offset_z
      - .offset:         208
        .size:           2
        .value_kind:     hidden_grid_dims
    .group_segment_fixed_size: 0
    .kernarg_segment_align: 8
    .kernarg_segment_size: 400
    .language:       OpenCL C
    .language_version:
      - 2
      - 0
    .max_flat_workgroup_size: 1024
    .name:           _ZN5aiter35fused_qk_rmsnorm_group_quant_kernelIDF16_N4opus5fp4_tELi64ELi8ELi16ELb1ELb0ELb0ELb0ELb0ELb0EEEvPT0_PvPT_S7_S7_PKS6_S9_S9_S9_S9_ffiiiiiiiiiiiii
    .private_segment_fixed_size: 0
    .sgpr_count:     44
    .sgpr_spill_count: 0
    .symbol:         _ZN5aiter35fused_qk_rmsnorm_group_quant_kernelIDF16_N4opus5fp4_tELi64ELi8ELi16ELb1ELb0ELb0ELb0ELb0ELb0EEEvPT0_PvPT_S7_S7_PKS6_S9_S9_S9_S9_ffiiiiiiiiiiiii.kd
    .uniform_work_group_size: 1
    .uses_dynamic_stack: false
    .vgpr_count:     27
    .vgpr_spill_count: 0
    .wavefront_size: 64
  - .agpr_count:     0
    .args:
      - .actual_access:  write_only
        .address_space:  global
        .offset:         0
        .size:           8
        .value_kind:     global_buffer
      - .actual_access:  write_only
        .address_space:  global
        .offset:         8
        .size:           8
        .value_kind:     global_buffer
      - .actual_access:  read_only
        .address_space:  global
        .offset:         16
        .size:           8
        .value_kind:     global_buffer
      - .actual_access:  write_only
        .address_space:  global
        .offset:         24
        .size:           8
        .value_kind:     global_buffer
      - .actual_access:  write_only
        .address_space:  global
        .offset:         32
        .size:           8
        .value_kind:     global_buffer
      - .actual_access:  read_only
        .address_space:  global
        .offset:         40
        .size:           8
        .value_kind:     global_buffer
      - .actual_access:  read_only
        .address_space:  global
        .offset:         48
        .size:           8
        .value_kind:     global_buffer
      - .actual_access:  read_only
        .address_space:  global
        .offset:         56
        .size:           8
        .value_kind:     global_buffer
      - .actual_access:  read_only
        .address_space:  global
        .offset:         64
        .size:           8
        .value_kind:     global_buffer
      - .actual_access:  read_only
        .address_space:  global
        .offset:         72
        .size:           8
        .value_kind:     global_buffer
      - .offset:         80
        .size:           4
        .value_kind:     by_value
      - .offset:         84
        .size:           4
        .value_kind:     by_value
      - .offset:         88
        .size:           4
        .value_kind:     by_value
      - .offset:         92
        .size:           4
        .value_kind:     by_value
      - .offset:         96
        .size:           4
        .value_kind:     by_value
      - .offset:         100
        .size:           4
        .value_kind:     by_value
      - .offset:         104
        .size:           4
        .value_kind:     by_value
      - .offset:         108
        .size:           4
        .value_kind:     by_value
      - .offset:         112
        .size:           4
        .value_kind:     by_value
      - .offset:         116
        .size:           4
        .value_kind:     by_value
      - .offset:         120
        .size:           4
        .value_kind:     by_value
      - .offset:         124
        .size:           4
        .value_kind:     by_value
      - .offset:         128
        .size:           4
        .value_kind:     by_value
      - .offset:         132
        .size:           4
        .value_kind:     by_value
      - .offset:         136
        .size:           4
        .value_kind:     by_value
      - .offset:         144
        .size:           4
        .value_kind:     hidden_block_count_x
      - .offset:         148
        .size:           4
        .value_kind:     hidden_block_count_y
      - .offset:         152
        .size:           4
        .value_kind:     hidden_block_count_z
      - .offset:         156
        .size:           2
        .value_kind:     hidden_group_size_x
      - .offset:         158
        .size:           2
        .value_kind:     hidden_group_size_y
      - .offset:         160
        .size:           2
        .value_kind:     hidden_group_size_z
      - .offset:         162
        .size:           2
        .value_kind:     hidden_remainder_x
      - .offset:         164
        .size:           2
        .value_kind:     hidden_remainder_y
      - .offset:         166
        .size:           2
        .value_kind:     hidden_remainder_z
      - .offset:         184
        .size:           8
        .value_kind:     hidden_global_offset_x
      - .offset:         192
        .size:           8
        .value_kind:     hidden_global_offset_y
      - .offset:         200
        .size:           8
        .value_kind:     hidden_global_offset_z
      - .offset:         208
        .size:           2
        .value_kind:     hidden_grid_dims
    .group_segment_fixed_size: 0
    .kernarg_segment_align: 8
    .kernarg_segment_size: 400
    .language:       OpenCL C
    .language_version:
      - 2
      - 0
    .max_flat_workgroup_size: 1024
    .name:           _ZN5aiter35fused_qk_rmsnorm_group_quant_kernelItN4opus5fp4_tELi64ELi8ELi16ELb1ELb0ELb0ELb0ELb0ELb0EEEvPT0_PvPT_S7_S7_PKS6_S9_S9_S9_S9_ffiiiiiiiiiiiii
    .private_segment_fixed_size: 0
    .sgpr_count:     48
    .sgpr_spill_count: 0
    .symbol:         _ZN5aiter35fused_qk_rmsnorm_group_quant_kernelItN4opus5fp4_tELi64ELi8ELi16ELb1ELb0ELb0ELb0ELb0ELb0EEEvPT0_PvPT_S7_S7_PKS6_S9_S9_S9_S9_ffiiiiiiiiiiiii.kd
    .uniform_work_group_size: 1
    .uses_dynamic_stack: false
    .vgpr_count:     27
    .vgpr_spill_count: 0
    .wavefront_size: 64
  - .agpr_count:     0
    .args:
      - .actual_access:  write_only
        .address_space:  global
        .offset:         0
        .size:           8
        .value_kind:     global_buffer
      - .actual_access:  write_only
        .address_space:  global
        .offset:         8
        .size:           8
        .value_kind:     global_buffer
      - .actual_access:  write_only
        .address_space:  global
        .offset:         16
        .size:           8
        .value_kind:     global_buffer
      - .actual_access:  write_only
        .address_space:  global
        .offset:         24
        .size:           8
        .value_kind:     global_buffer
      - .actual_access:  read_only
        .address_space:  global
        .offset:         32
        .size:           8
        .value_kind:     global_buffer
      - .actual_access:  read_only
        .address_space:  global
        .offset:         40
        .size:           8
        .value_kind:     global_buffer
      - .actual_access:  read_only
        .address_space:  global
        .offset:         48
        .size:           8
        .value_kind:     global_buffer
      - .actual_access:  read_only
        .address_space:  global
        .offset:         56
        .size:           8
        .value_kind:     global_buffer
      - .actual_access:  read_only
        .address_space:  global
        .offset:         64
        .size:           8
        .value_kind:     global_buffer
      - .actual_access:  read_only
        .address_space:  global
        .offset:         72
        .size:           8
        .value_kind:     global_buffer
      - .offset:         80
        .size:           4
        .value_kind:     by_value
      - .offset:         84
        .size:           4
        .value_kind:     by_value
      - .offset:         88
        .size:           4
        .value_kind:     by_value
      - .offset:         92
        .size:           4
        .value_kind:     by_value
      - .offset:         96
        .size:           4
        .value_kind:     by_value
      - .offset:         100
        .size:           4
        .value_kind:     by_value
      - .offset:         104
        .size:           4
        .value_kind:     by_value
      - .offset:         108
        .size:           4
        .value_kind:     by_value
      - .offset:         112
        .size:           4
        .value_kind:     by_value
      - .offset:         116
        .size:           4
        .value_kind:     by_value
      - .offset:         120
        .size:           4
        .value_kind:     by_value
      - .offset:         124
        .size:           4
        .value_kind:     by_value
      - .offset:         128
        .size:           4
        .value_kind:     by_value
      - .offset:         132
        .size:           4
        .value_kind:     by_value
      - .offset:         136
        .size:           4
        .value_kind:     by_value
      - .offset:         144
        .size:           4
        .value_kind:     hidden_block_count_x
      - .offset:         148
        .size:           4
        .value_kind:     hidden_block_count_y
      - .offset:         152
        .size:           4
        .value_kind:     hidden_block_count_z
      - .offset:         156
        .size:           2
        .value_kind:     hidden_group_size_x
      - .offset:         158
        .size:           2
        .value_kind:     hidden_group_size_y
      - .offset:         160
        .size:           2
        .value_kind:     hidden_group_size_z
      - .offset:         162
        .size:           2
        .value_kind:     hidden_remainder_x
      - .offset:         164
        .size:           2
        .value_kind:     hidden_remainder_y
      - .offset:         166
        .size:           2
        .value_kind:     hidden_remainder_z
      - .offset:         184
        .size:           8
        .value_kind:     hidden_global_offset_x
      - .offset:         192
        .size:           8
        .value_kind:     hidden_global_offset_y
      - .offset:         200
        .size:           8
        .value_kind:     hidden_global_offset_z
      - .offset:         208
        .size:           2
        .value_kind:     hidden_grid_dims
    .group_segment_fixed_size: 0
    .kernarg_segment_align: 8
    .kernarg_segment_size: 400
    .language:       OpenCL C
    .language_version:
      - 2
      - 0
    .max_flat_workgroup_size: 1024
    .name:           _ZN5aiter35fused_qk_rmsnorm_group_quant_kernelIDF16_DB8_Li64ELi8ELi16ELb0ELb1ELb1ELb0ELb0ELb0EEEvPT0_PvPT_S6_S6_PKS5_S8_S8_S8_S8_ffiiiiiiiiiiiii
    .private_segment_fixed_size: 0
    .sgpr_count:     36
    .sgpr_spill_count: 0
    .symbol:         _ZN5aiter35fused_qk_rmsnorm_group_quant_kernelIDF16_DB8_Li64ELi8ELi16ELb0ELb1ELb1ELb0ELb0ELb0EEEvPT0_PvPT_S6_S6_PKS5_S8_S8_S8_S8_ffiiiiiiiiiiiii.kd
    .uniform_work_group_size: 1
    .uses_dynamic_stack: false
    .vgpr_count:     23
    .vgpr_spill_count: 0
    .wavefront_size: 64
  - .agpr_count:     0
    .args:
      - .actual_access:  write_only
        .address_space:  global
        .offset:         0
        .size:           8
        .value_kind:     global_buffer
      - .actual_access:  write_only
        .address_space:  global
        .offset:         8
        .size:           8
        .value_kind:     global_buffer
      - .actual_access:  write_only
        .address_space:  global
        .offset:         16
        .size:           8
        .value_kind:     global_buffer
      - .actual_access:  write_only
        .address_space:  global
        .offset:         24
        .size:           8
        .value_kind:     global_buffer
      - .actual_access:  read_only
        .address_space:  global
        .offset:         32
        .size:           8
        .value_kind:     global_buffer
      - .actual_access:  read_only
        .address_space:  global
        .offset:         40
        .size:           8
        .value_kind:     global_buffer
      - .actual_access:  read_only
        .address_space:  global
        .offset:         48
        .size:           8
        .value_kind:     global_buffer
      - .actual_access:  read_only
        .address_space:  global
        .offset:         56
        .size:           8
        .value_kind:     global_buffer
      - .actual_access:  read_only
        .address_space:  global
        .offset:         64
        .size:           8
        .value_kind:     global_buffer
      - .actual_access:  read_only
        .address_space:  global
        .offset:         72
        .size:           8
        .value_kind:     global_buffer
      - .offset:         80
        .size:           4
        .value_kind:     by_value
      - .offset:         84
        .size:           4
        .value_kind:     by_value
      - .offset:         88
        .size:           4
        .value_kind:     by_value
      - .offset:         92
        .size:           4
        .value_kind:     by_value
      - .offset:         96
        .size:           4
        .value_kind:     by_value
      - .offset:         100
        .size:           4
        .value_kind:     by_value
      - .offset:         104
        .size:           4
        .value_kind:     by_value
      - .offset:         108
        .size:           4
        .value_kind:     by_value
      - .offset:         112
        .size:           4
        .value_kind:     by_value
      - .offset:         116
        .size:           4
        .value_kind:     by_value
      - .offset:         120
        .size:           4
        .value_kind:     by_value
      - .offset:         124
        .size:           4
        .value_kind:     by_value
      - .offset:         128
        .size:           4
        .value_kind:     by_value
      - .offset:         132
        .size:           4
        .value_kind:     by_value
      - .offset:         136
        .size:           4
        .value_kind:     by_value
      - .offset:         144
        .size:           4
        .value_kind:     hidden_block_count_x
      - .offset:         148
        .size:           4
        .value_kind:     hidden_block_count_y
      - .offset:         152
        .size:           4
        .value_kind:     hidden_block_count_z
      - .offset:         156
        .size:           2
        .value_kind:     hidden_group_size_x
      - .offset:         158
        .size:           2
        .value_kind:     hidden_group_size_y
      - .offset:         160
        .size:           2
        .value_kind:     hidden_group_size_z
      - .offset:         162
        .size:           2
        .value_kind:     hidden_remainder_x
      - .offset:         164
        .size:           2
        .value_kind:     hidden_remainder_y
      - .offset:         166
        .size:           2
        .value_kind:     hidden_remainder_z
      - .offset:         184
        .size:           8
        .value_kind:     hidden_global_offset_x
      - .offset:         192
        .size:           8
        .value_kind:     hidden_global_offset_y
      - .offset:         200
        .size:           8
        .value_kind:     hidden_global_offset_z
      - .offset:         208
        .size:           2
        .value_kind:     hidden_grid_dims
    .group_segment_fixed_size: 0
    .kernarg_segment_align: 8
    .kernarg_segment_size: 400
    .language:       OpenCL C
    .language_version:
      - 2
      - 0
    .max_flat_workgroup_size: 1024
    .name:           _ZN5aiter35fused_qk_rmsnorm_group_quant_kernelItDB8_Li64ELi8ELi16ELb0ELb1ELb1ELb0ELb0ELb0EEEvPT0_PvPT_S6_S6_PKS5_S8_S8_S8_S8_ffiiiiiiiiiiiii
    .private_segment_fixed_size: 0
    .sgpr_count:     36
    .sgpr_spill_count: 0
    .symbol:         _ZN5aiter35fused_qk_rmsnorm_group_quant_kernelItDB8_Li64ELi8ELi16ELb0ELb1ELb1ELb0ELb0ELb0EEEvPT0_PvPT_S6_S6_PKS5_S8_S8_S8_S8_ffiiiiiiiiiiiii.kd
    .uniform_work_group_size: 1
    .uses_dynamic_stack: false
    .vgpr_count:     23
    .vgpr_spill_count: 0
    .wavefront_size: 64
  - .agpr_count:     0
    .args:
      - .actual_access:  write_only
        .address_space:  global
        .offset:         0
        .size:           8
        .value_kind:     global_buffer
      - .actual_access:  write_only
        .address_space:  global
        .offset:         8
        .size:           8
        .value_kind:     global_buffer
      - .actual_access:  write_only
        .address_space:  global
        .offset:         16
        .size:           8
        .value_kind:     global_buffer
      - .actual_access:  write_only
        .address_space:  global
        .offset:         24
        .size:           8
        .value_kind:     global_buffer
      - .actual_access:  read_only
        .address_space:  global
        .offset:         32
        .size:           8
        .value_kind:     global_buffer
      - .actual_access:  read_only
        .address_space:  global
        .offset:         40
        .size:           8
        .value_kind:     global_buffer
      - .actual_access:  read_only
        .address_space:  global
        .offset:         48
        .size:           8
        .value_kind:     global_buffer
      - .actual_access:  read_only
        .address_space:  global
        .offset:         56
        .size:           8
        .value_kind:     global_buffer
      - .actual_access:  read_only
        .address_space:  global
        .offset:         64
        .size:           8
        .value_kind:     global_buffer
      - .actual_access:  read_only
        .address_space:  global
        .offset:         72
        .size:           8
        .value_kind:     global_buffer
      - .offset:         80
        .size:           4
        .value_kind:     by_value
      - .offset:         84
        .size:           4
        .value_kind:     by_value
      - .offset:         88
        .size:           4
        .value_kind:     by_value
      - .offset:         92
        .size:           4
        .value_kind:     by_value
      - .offset:         96
        .size:           4
        .value_kind:     by_value
      - .offset:         100
        .size:           4
        .value_kind:     by_value
      - .offset:         104
        .size:           4
        .value_kind:     by_value
      - .offset:         108
        .size:           4
        .value_kind:     by_value
      - .offset:         112
        .size:           4
        .value_kind:     by_value
      - .offset:         116
        .size:           4
        .value_kind:     by_value
      - .offset:         120
        .size:           4
        .value_kind:     by_value
      - .offset:         124
        .size:           4
        .value_kind:     by_value
      - .offset:         128
        .size:           4
        .value_kind:     by_value
      - .offset:         132
        .size:           4
        .value_kind:     by_value
      - .offset:         136
        .size:           4
        .value_kind:     by_value
      - .offset:         144
        .size:           4
        .value_kind:     hidden_block_count_x
      - .offset:         148
        .size:           4
        .value_kind:     hidden_block_count_y
      - .offset:         152
        .size:           4
        .value_kind:     hidden_block_count_z
      - .offset:         156
        .size:           2
        .value_kind:     hidden_group_size_x
      - .offset:         158
        .size:           2
        .value_kind:     hidden_group_size_y
      - .offset:         160
        .size:           2
        .value_kind:     hidden_group_size_z
      - .offset:         162
        .size:           2
        .value_kind:     hidden_remainder_x
      - .offset:         164
        .size:           2
        .value_kind:     hidden_remainder_y
      - .offset:         166
        .size:           2
        .value_kind:     hidden_remainder_z
      - .offset:         184
        .size:           8
        .value_kind:     hidden_global_offset_x
      - .offset:         192
        .size:           8
        .value_kind:     hidden_global_offset_y
      - .offset:         200
        .size:           8
        .value_kind:     hidden_global_offset_z
      - .offset:         208
        .size:           2
        .value_kind:     hidden_grid_dims
    .group_segment_fixed_size: 0
    .kernarg_segment_align: 8
    .kernarg_segment_size: 400
    .language:       OpenCL C
    .language_version:
      - 2
      - 0
    .max_flat_workgroup_size: 1024
    .name:           _ZN5aiter35fused_qk_rmsnorm_group_quant_kernelIDF16_N4opus5fp4_tELi64ELi8ELi16ELb0ELb1ELb1ELb0ELb0ELb0EEEvPT0_PvPT_S7_S7_PKS6_S9_S9_S9_S9_ffiiiiiiiiiiiii
    .private_segment_fixed_size: 0
    .sgpr_count:     36
    .sgpr_spill_count: 0
    .symbol:         _ZN5aiter35fused_qk_rmsnorm_group_quant_kernelIDF16_N4opus5fp4_tELi64ELi8ELi16ELb0ELb1ELb1ELb0ELb0ELb0EEEvPT0_PvPT_S7_S7_PKS6_S9_S9_S9_S9_ffiiiiiiiiiiiii.kd
    .uniform_work_group_size: 1
    .uses_dynamic_stack: false
    .vgpr_count:     23
    .vgpr_spill_count: 0
    .wavefront_size: 64
  - .agpr_count:     0
    .args:
      - .actual_access:  write_only
        .address_space:  global
        .offset:         0
        .size:           8
        .value_kind:     global_buffer
      - .actual_access:  write_only
        .address_space:  global
        .offset:         8
        .size:           8
        .value_kind:     global_buffer
      - .actual_access:  write_only
        .address_space:  global
        .offset:         16
        .size:           8
        .value_kind:     global_buffer
      - .actual_access:  write_only
        .address_space:  global
        .offset:         24
        .size:           8
        .value_kind:     global_buffer
      - .actual_access:  read_only
        .address_space:  global
        .offset:         32
        .size:           8
        .value_kind:     global_buffer
      - .actual_access:  read_only
        .address_space:  global
        .offset:         40
        .size:           8
        .value_kind:     global_buffer
      - .actual_access:  read_only
        .address_space:  global
        .offset:         48
        .size:           8
        .value_kind:     global_buffer
      - .actual_access:  read_only
        .address_space:  global
        .offset:         56
        .size:           8
        .value_kind:     global_buffer
      - .actual_access:  read_only
        .address_space:  global
        .offset:         64
        .size:           8
        .value_kind:     global_buffer
      - .actual_access:  read_only
        .address_space:  global
        .offset:         72
        .size:           8
        .value_kind:     global_buffer
      - .offset:         80
        .size:           4
        .value_kind:     by_value
      - .offset:         84
        .size:           4
        .value_kind:     by_value
      - .offset:         88
        .size:           4
        .value_kind:     by_value
      - .offset:         92
        .size:           4
        .value_kind:     by_value
      - .offset:         96
        .size:           4
        .value_kind:     by_value
      - .offset:         100
        .size:           4
        .value_kind:     by_value
      - .offset:         104
        .size:           4
        .value_kind:     by_value
      - .offset:         108
        .size:           4
        .value_kind:     by_value
      - .offset:         112
        .size:           4
        .value_kind:     by_value
      - .offset:         116
        .size:           4
        .value_kind:     by_value
      - .offset:         120
        .size:           4
        .value_kind:     by_value
      - .offset:         124
        .size:           4
        .value_kind:     by_value
      - .offset:         128
        .size:           4
        .value_kind:     by_value
      - .offset:         132
        .size:           4
        .value_kind:     by_value
      - .offset:         136
        .size:           4
        .value_kind:     by_value
      - .offset:         144
        .size:           4
        .value_kind:     hidden_block_count_x
      - .offset:         148
        .size:           4
        .value_kind:     hidden_block_count_y
      - .offset:         152
        .size:           4
        .value_kind:     hidden_block_count_z
      - .offset:         156
        .size:           2
        .value_kind:     hidden_group_size_x
      - .offset:         158
        .size:           2
        .value_kind:     hidden_group_size_y
      - .offset:         160
        .size:           2
        .value_kind:     hidden_group_size_z
      - .offset:         162
        .size:           2
        .value_kind:     hidden_remainder_x
      - .offset:         164
        .size:           2
        .value_kind:     hidden_remainder_y
      - .offset:         166
        .size:           2
        .value_kind:     hidden_remainder_z
      - .offset:         184
        .size:           8
        .value_kind:     hidden_global_offset_x
      - .offset:         192
        .size:           8
        .value_kind:     hidden_global_offset_y
      - .offset:         200
        .size:           8
        .value_kind:     hidden_global_offset_z
      - .offset:         208
        .size:           2
        .value_kind:     hidden_grid_dims
    .group_segment_fixed_size: 0
    .kernarg_segment_align: 8
    .kernarg_segment_size: 400
    .language:       OpenCL C
    .language_version:
      - 2
      - 0
    .max_flat_workgroup_size: 1024
    .name:           _ZN5aiter35fused_qk_rmsnorm_group_quant_kernelItN4opus5fp4_tELi64ELi8ELi16ELb0ELb1ELb1ELb0ELb0ELb0EEEvPT0_PvPT_S7_S7_PKS6_S9_S9_S9_S9_ffiiiiiiiiiiiii
    .private_segment_fixed_size: 0
    .sgpr_count:     36
    .sgpr_spill_count: 0
    .symbol:         _ZN5aiter35fused_qk_rmsnorm_group_quant_kernelItN4opus5fp4_tELi64ELi8ELi16ELb0ELb1ELb1ELb0ELb0ELb0EEEvPT0_PvPT_S7_S7_PKS6_S9_S9_S9_S9_ffiiiiiiiiiiiii.kd
    .uniform_work_group_size: 1
    .uses_dynamic_stack: false
    .vgpr_count:     23
    .vgpr_spill_count: 0
    .wavefront_size: 64
  - .agpr_count:     0
    .args:
      - .actual_access:  write_only
        .address_space:  global
        .offset:         0
        .size:           8
        .value_kind:     global_buffer
      - .actual_access:  write_only
        .address_space:  global
        .offset:         8
        .size:           8
        .value_kind:     global_buffer
      - .actual_access:  write_only
        .address_space:  global
        .offset:         16
        .size:           8
        .value_kind:     global_buffer
      - .actual_access:  write_only
        .address_space:  global
        .offset:         24
        .size:           8
        .value_kind:     global_buffer
      - .actual_access:  read_only
        .address_space:  global
        .offset:         32
        .size:           8
        .value_kind:     global_buffer
      - .actual_access:  read_only
        .address_space:  global
        .offset:         40
        .size:           8
        .value_kind:     global_buffer
      - .actual_access:  read_only
        .address_space:  global
        .offset:         48
        .size:           8
        .value_kind:     global_buffer
      - .actual_access:  read_only
        .address_space:  global
        .offset:         56
        .size:           8
        .value_kind:     global_buffer
      - .actual_access:  read_only
        .address_space:  global
        .offset:         64
        .size:           8
        .value_kind:     global_buffer
      - .actual_access:  read_only
        .address_space:  global
        .offset:         72
        .size:           8
        .value_kind:     global_buffer
      - .offset:         80
        .size:           4
        .value_kind:     by_value
      - .offset:         84
        .size:           4
        .value_kind:     by_value
      - .offset:         88
        .size:           4
        .value_kind:     by_value
      - .offset:         92
        .size:           4
        .value_kind:     by_value
      - .offset:         96
        .size:           4
        .value_kind:     by_value
      - .offset:         100
        .size:           4
        .value_kind:     by_value
      - .offset:         104
        .size:           4
        .value_kind:     by_value
      - .offset:         108
        .size:           4
        .value_kind:     by_value
      - .offset:         112
        .size:           4
        .value_kind:     by_value
      - .offset:         116
        .size:           4
        .value_kind:     by_value
      - .offset:         120
        .size:           4
        .value_kind:     by_value
      - .offset:         124
        .size:           4
        .value_kind:     by_value
      - .offset:         128
        .size:           4
        .value_kind:     by_value
      - .offset:         132
        .size:           4
        .value_kind:     by_value
      - .offset:         136
        .size:           4
        .value_kind:     by_value
      - .offset:         144
        .size:           4
        .value_kind:     hidden_block_count_x
      - .offset:         148
        .size:           4
        .value_kind:     hidden_block_count_y
      - .offset:         152
        .size:           4
        .value_kind:     hidden_block_count_z
      - .offset:         156
        .size:           2
        .value_kind:     hidden_group_size_x
      - .offset:         158
        .size:           2
        .value_kind:     hidden_group_size_y
      - .offset:         160
        .size:           2
        .value_kind:     hidden_group_size_z
      - .offset:         162
        .size:           2
        .value_kind:     hidden_remainder_x
      - .offset:         164
        .size:           2
        .value_kind:     hidden_remainder_y
      - .offset:         166
        .size:           2
        .value_kind:     hidden_remainder_z
      - .offset:         184
        .size:           8
        .value_kind:     hidden_global_offset_x
      - .offset:         192
        .size:           8
        .value_kind:     hidden_global_offset_y
      - .offset:         200
        .size:           8
        .value_kind:     hidden_global_offset_z
      - .offset:         208
        .size:           2
        .value_kind:     hidden_grid_dims
    .group_segment_fixed_size: 0
    .kernarg_segment_align: 8
    .kernarg_segment_size: 400
    .language:       OpenCL C
    .language_version:
      - 2
      - 0
    .max_flat_workgroup_size: 1024
    .name:           _ZN5aiter35fused_qk_rmsnorm_group_quant_kernelIDF16_DB8_Li64ELi8ELi16ELb0ELb1ELb0ELb0ELb0ELb0EEEvPT0_PvPT_S6_S6_PKS5_S8_S8_S8_S8_ffiiiiiiiiiiiii
    .private_segment_fixed_size: 0
    .sgpr_count:     36
    .sgpr_spill_count: 0
    .symbol:         _ZN5aiter35fused_qk_rmsnorm_group_quant_kernelIDF16_DB8_Li64ELi8ELi16ELb0ELb1ELb0ELb0ELb0ELb0EEEvPT0_PvPT_S6_S6_PKS5_S8_S8_S8_S8_ffiiiiiiiiiiiii.kd
    .uniform_work_group_size: 1
    .uses_dynamic_stack: false
    .vgpr_count:     23
    .vgpr_spill_count: 0
    .wavefront_size: 64
  - .agpr_count:     0
    .args:
      - .actual_access:  write_only
        .address_space:  global
        .offset:         0
        .size:           8
        .value_kind:     global_buffer
      - .actual_access:  write_only
        .address_space:  global
        .offset:         8
        .size:           8
        .value_kind:     global_buffer
      - .actual_access:  write_only
        .address_space:  global
        .offset:         16
        .size:           8
        .value_kind:     global_buffer
      - .actual_access:  write_only
        .address_space:  global
        .offset:         24
        .size:           8
        .value_kind:     global_buffer
      - .actual_access:  read_only
        .address_space:  global
        .offset:         32
        .size:           8
        .value_kind:     global_buffer
      - .actual_access:  read_only
        .address_space:  global
        .offset:         40
        .size:           8
        .value_kind:     global_buffer
      - .actual_access:  read_only
        .address_space:  global
        .offset:         48
        .size:           8
        .value_kind:     global_buffer
      - .actual_access:  read_only
        .address_space:  global
        .offset:         56
        .size:           8
        .value_kind:     global_buffer
      - .actual_access:  read_only
        .address_space:  global
        .offset:         64
        .size:           8
        .value_kind:     global_buffer
      - .actual_access:  read_only
        .address_space:  global
        .offset:         72
        .size:           8
        .value_kind:     global_buffer
      - .offset:         80
        .size:           4
        .value_kind:     by_value
      - .offset:         84
        .size:           4
        .value_kind:     by_value
      - .offset:         88
        .size:           4
        .value_kind:     by_value
      - .offset:         92
        .size:           4
        .value_kind:     by_value
      - .offset:         96
        .size:           4
        .value_kind:     by_value
      - .offset:         100
        .size:           4
        .value_kind:     by_value
      - .offset:         104
        .size:           4
        .value_kind:     by_value
      - .offset:         108
        .size:           4
        .value_kind:     by_value
      - .offset:         112
        .size:           4
        .value_kind:     by_value
      - .offset:         116
        .size:           4
        .value_kind:     by_value
      - .offset:         120
        .size:           4
        .value_kind:     by_value
      - .offset:         124
        .size:           4
        .value_kind:     by_value
      - .offset:         128
        .size:           4
        .value_kind:     by_value
      - .offset:         132
        .size:           4
        .value_kind:     by_value
      - .offset:         136
        .size:           4
        .value_kind:     by_value
      - .offset:         144
        .size:           4
        .value_kind:     hidden_block_count_x
      - .offset:         148
        .size:           4
        .value_kind:     hidden_block_count_y
      - .offset:         152
        .size:           4
        .value_kind:     hidden_block_count_z
      - .offset:         156
        .size:           2
        .value_kind:     hidden_group_size_x
      - .offset:         158
        .size:           2
        .value_kind:     hidden_group_size_y
      - .offset:         160
        .size:           2
        .value_kind:     hidden_group_size_z
      - .offset:         162
        .size:           2
        .value_kind:     hidden_remainder_x
      - .offset:         164
        .size:           2
        .value_kind:     hidden_remainder_y
      - .offset:         166
        .size:           2
        .value_kind:     hidden_remainder_z
      - .offset:         184
        .size:           8
        .value_kind:     hidden_global_offset_x
      - .offset:         192
        .size:           8
        .value_kind:     hidden_global_offset_y
      - .offset:         200
        .size:           8
        .value_kind:     hidden_global_offset_z
      - .offset:         208
        .size:           2
        .value_kind:     hidden_grid_dims
    .group_segment_fixed_size: 0
    .kernarg_segment_align: 8
    .kernarg_segment_size: 400
    .language:       OpenCL C
    .language_version:
      - 2
      - 0
    .max_flat_workgroup_size: 1024
    .name:           _ZN5aiter35fused_qk_rmsnorm_group_quant_kernelItDB8_Li64ELi8ELi16ELb0ELb1ELb0ELb0ELb0ELb0EEEvPT0_PvPT_S6_S6_PKS5_S8_S8_S8_S8_ffiiiiiiiiiiiii
    .private_segment_fixed_size: 0
    .sgpr_count:     36
    .sgpr_spill_count: 0
    .symbol:         _ZN5aiter35fused_qk_rmsnorm_group_quant_kernelItDB8_Li64ELi8ELi16ELb0ELb1ELb0ELb0ELb0ELb0EEEvPT0_PvPT_S6_S6_PKS5_S8_S8_S8_S8_ffiiiiiiiiiiiii.kd
    .uniform_work_group_size: 1
    .uses_dynamic_stack: false
    .vgpr_count:     23
    .vgpr_spill_count: 0
    .wavefront_size: 64
  - .agpr_count:     0
    .args:
      - .actual_access:  write_only
        .address_space:  global
        .offset:         0
        .size:           8
        .value_kind:     global_buffer
      - .actual_access:  write_only
        .address_space:  global
        .offset:         8
        .size:           8
        .value_kind:     global_buffer
      - .actual_access:  write_only
        .address_space:  global
        .offset:         16
        .size:           8
        .value_kind:     global_buffer
      - .actual_access:  write_only
        .address_space:  global
        .offset:         24
        .size:           8
        .value_kind:     global_buffer
      - .actual_access:  read_only
        .address_space:  global
        .offset:         32
        .size:           8
        .value_kind:     global_buffer
      - .actual_access:  read_only
        .address_space:  global
        .offset:         40
        .size:           8
        .value_kind:     global_buffer
      - .actual_access:  read_only
        .address_space:  global
        .offset:         48
        .size:           8
        .value_kind:     global_buffer
      - .actual_access:  read_only
        .address_space:  global
        .offset:         56
        .size:           8
        .value_kind:     global_buffer
      - .actual_access:  read_only
        .address_space:  global
        .offset:         64
        .size:           8
        .value_kind:     global_buffer
      - .actual_access:  read_only
        .address_space:  global
        .offset:         72
        .size:           8
        .value_kind:     global_buffer
      - .offset:         80
        .size:           4
        .value_kind:     by_value
      - .offset:         84
        .size:           4
        .value_kind:     by_value
      - .offset:         88
        .size:           4
        .value_kind:     by_value
      - .offset:         92
        .size:           4
        .value_kind:     by_value
      - .offset:         96
        .size:           4
        .value_kind:     by_value
      - .offset:         100
        .size:           4
        .value_kind:     by_value
      - .offset:         104
        .size:           4
        .value_kind:     by_value
      - .offset:         108
        .size:           4
        .value_kind:     by_value
      - .offset:         112
        .size:           4
        .value_kind:     by_value
      - .offset:         116
        .size:           4
        .value_kind:     by_value
      - .offset:         120
        .size:           4
        .value_kind:     by_value
      - .offset:         124
        .size:           4
        .value_kind:     by_value
      - .offset:         128
        .size:           4
        .value_kind:     by_value
      - .offset:         132
        .size:           4
        .value_kind:     by_value
      - .offset:         136
        .size:           4
        .value_kind:     by_value
      - .offset:         144
        .size:           4
        .value_kind:     hidden_block_count_x
      - .offset:         148
        .size:           4
        .value_kind:     hidden_block_count_y
      - .offset:         152
        .size:           4
        .value_kind:     hidden_block_count_z
      - .offset:         156
        .size:           2
        .value_kind:     hidden_group_size_x
      - .offset:         158
        .size:           2
        .value_kind:     hidden_group_size_y
      - .offset:         160
        .size:           2
        .value_kind:     hidden_group_size_z
      - .offset:         162
        .size:           2
        .value_kind:     hidden_remainder_x
      - .offset:         164
        .size:           2
        .value_kind:     hidden_remainder_y
      - .offset:         166
        .size:           2
        .value_kind:     hidden_remainder_z
      - .offset:         184
        .size:           8
        .value_kind:     hidden_global_offset_x
      - .offset:         192
        .size:           8
        .value_kind:     hidden_global_offset_y
      - .offset:         200
        .size:           8
        .value_kind:     hidden_global_offset_z
      - .offset:         208
        .size:           2
        .value_kind:     hidden_grid_dims
    .group_segment_fixed_size: 0
    .kernarg_segment_align: 8
    .kernarg_segment_size: 400
    .language:       OpenCL C
    .language_version:
      - 2
      - 0
    .max_flat_workgroup_size: 1024
    .name:           _ZN5aiter35fused_qk_rmsnorm_group_quant_kernelIDF16_N4opus5fp4_tELi64ELi8ELi16ELb0ELb1ELb0ELb0ELb0ELb0EEEvPT0_PvPT_S7_S7_PKS6_S9_S9_S9_S9_ffiiiiiiiiiiiii
    .private_segment_fixed_size: 0
    .sgpr_count:     36
    .sgpr_spill_count: 0
    .symbol:         _ZN5aiter35fused_qk_rmsnorm_group_quant_kernelIDF16_N4opus5fp4_tELi64ELi8ELi16ELb0ELb1ELb0ELb0ELb0ELb0EEEvPT0_PvPT_S7_S7_PKS6_S9_S9_S9_S9_ffiiiiiiiiiiiii.kd
    .uniform_work_group_size: 1
    .uses_dynamic_stack: false
    .vgpr_count:     23
    .vgpr_spill_count: 0
    .wavefront_size: 64
  - .agpr_count:     0
    .args:
      - .actual_access:  write_only
        .address_space:  global
        .offset:         0
        .size:           8
        .value_kind:     global_buffer
      - .actual_access:  write_only
        .address_space:  global
        .offset:         8
        .size:           8
        .value_kind:     global_buffer
      - .actual_access:  write_only
        .address_space:  global
        .offset:         16
        .size:           8
        .value_kind:     global_buffer
      - .actual_access:  write_only
        .address_space:  global
        .offset:         24
        .size:           8
        .value_kind:     global_buffer
      - .actual_access:  read_only
        .address_space:  global
        .offset:         32
        .size:           8
        .value_kind:     global_buffer
      - .actual_access:  read_only
        .address_space:  global
        .offset:         40
        .size:           8
        .value_kind:     global_buffer
      - .actual_access:  read_only
        .address_space:  global
        .offset:         48
        .size:           8
        .value_kind:     global_buffer
      - .actual_access:  read_only
        .address_space:  global
        .offset:         56
        .size:           8
        .value_kind:     global_buffer
      - .actual_access:  read_only
        .address_space:  global
        .offset:         64
        .size:           8
        .value_kind:     global_buffer
      - .actual_access:  read_only
        .address_space:  global
        .offset:         72
        .size:           8
        .value_kind:     global_buffer
      - .offset:         80
        .size:           4
        .value_kind:     by_value
      - .offset:         84
        .size:           4
        .value_kind:     by_value
      - .offset:         88
        .size:           4
        .value_kind:     by_value
      - .offset:         92
        .size:           4
        .value_kind:     by_value
      - .offset:         96
        .size:           4
        .value_kind:     by_value
      - .offset:         100
        .size:           4
        .value_kind:     by_value
      - .offset:         104
        .size:           4
        .value_kind:     by_value
      - .offset:         108
        .size:           4
        .value_kind:     by_value
      - .offset:         112
        .size:           4
        .value_kind:     by_value
      - .offset:         116
        .size:           4
        .value_kind:     by_value
      - .offset:         120
        .size:           4
        .value_kind:     by_value
      - .offset:         124
        .size:           4
        .value_kind:     by_value
      - .offset:         128
        .size:           4
        .value_kind:     by_value
      - .offset:         132
        .size:           4
        .value_kind:     by_value
      - .offset:         136
        .size:           4
        .value_kind:     by_value
      - .offset:         144
        .size:           4
        .value_kind:     hidden_block_count_x
      - .offset:         148
        .size:           4
        .value_kind:     hidden_block_count_y
      - .offset:         152
        .size:           4
        .value_kind:     hidden_block_count_z
      - .offset:         156
        .size:           2
        .value_kind:     hidden_group_size_x
      - .offset:         158
        .size:           2
        .value_kind:     hidden_group_size_y
      - .offset:         160
        .size:           2
        .value_kind:     hidden_group_size_z
      - .offset:         162
        .size:           2
        .value_kind:     hidden_remainder_x
      - .offset:         164
        .size:           2
        .value_kind:     hidden_remainder_y
      - .offset:         166
        .size:           2
        .value_kind:     hidden_remainder_z
      - .offset:         184
        .size:           8
        .value_kind:     hidden_global_offset_x
      - .offset:         192
        .size:           8
        .value_kind:     hidden_global_offset_y
      - .offset:         200
        .size:           8
        .value_kind:     hidden_global_offset_z
      - .offset:         208
        .size:           2
        .value_kind:     hidden_grid_dims
    .group_segment_fixed_size: 0
    .kernarg_segment_align: 8
    .kernarg_segment_size: 400
    .language:       OpenCL C
    .language_version:
      - 2
      - 0
    .max_flat_workgroup_size: 1024
    .name:           _ZN5aiter35fused_qk_rmsnorm_group_quant_kernelItN4opus5fp4_tELi64ELi8ELi16ELb0ELb1ELb0ELb0ELb0ELb0EEEvPT0_PvPT_S7_S7_PKS6_S9_S9_S9_S9_ffiiiiiiiiiiiii
    .private_segment_fixed_size: 0
    .sgpr_count:     36
    .sgpr_spill_count: 0
    .symbol:         _ZN5aiter35fused_qk_rmsnorm_group_quant_kernelItN4opus5fp4_tELi64ELi8ELi16ELb0ELb1ELb0ELb0ELb0ELb0EEEvPT0_PvPT_S7_S7_PKS6_S9_S9_S9_S9_ffiiiiiiiiiiiii.kd
    .uniform_work_group_size: 1
    .uses_dynamic_stack: false
    .vgpr_count:     23
    .vgpr_spill_count: 0
    .wavefront_size: 64
  - .agpr_count:     0
    .args:
      - .actual_access:  write_only
        .address_space:  global
        .offset:         0
        .size:           8
        .value_kind:     global_buffer
      - .actual_access:  write_only
        .address_space:  global
        .offset:         8
        .size:           8
        .value_kind:     global_buffer
      - .actual_access:  read_only
        .address_space:  global
        .offset:         16
        .size:           8
        .value_kind:     global_buffer
      - .actual_access:  write_only
        .address_space:  global
        .offset:         24
        .size:           8
        .value_kind:     global_buffer
      - .actual_access:  read_only
        .address_space:  global
        .offset:         32
        .size:           8
        .value_kind:     global_buffer
      - .actual_access:  read_only
        .address_space:  global
        .offset:         40
        .size:           8
        .value_kind:     global_buffer
      - .actual_access:  read_only
        .address_space:  global
        .offset:         48
        .size:           8
        .value_kind:     global_buffer
      - .actual_access:  read_only
        .address_space:  global
        .offset:         56
        .size:           8
        .value_kind:     global_buffer
      - .actual_access:  read_only
        .address_space:  global
        .offset:         64
        .size:           8
        .value_kind:     global_buffer
      - .actual_access:  read_only
        .address_space:  global
        .offset:         72
        .size:           8
        .value_kind:     global_buffer
      - .offset:         80
        .size:           4
        .value_kind:     by_value
      - .offset:         84
        .size:           4
        .value_kind:     by_value
      - .offset:         88
        .size:           4
        .value_kind:     by_value
      - .offset:         92
        .size:           4
        .value_kind:     by_value
      - .offset:         96
        .size:           4
        .value_kind:     by_value
      - .offset:         100
        .size:           4
        .value_kind:     by_value
      - .offset:         104
        .size:           4
        .value_kind:     by_value
      - .offset:         108
        .size:           4
        .value_kind:     by_value
      - .offset:         112
        .size:           4
        .value_kind:     by_value
      - .offset:         116
        .size:           4
        .value_kind:     by_value
      - .offset:         120
        .size:           4
        .value_kind:     by_value
      - .offset:         124
        .size:           4
        .value_kind:     by_value
      - .offset:         128
        .size:           4
        .value_kind:     by_value
      - .offset:         132
        .size:           4
        .value_kind:     by_value
      - .offset:         136
        .size:           4
        .value_kind:     by_value
      - .offset:         144
        .size:           4
        .value_kind:     hidden_block_count_x
      - .offset:         148
        .size:           4
        .value_kind:     hidden_block_count_y
      - .offset:         152
        .size:           4
        .value_kind:     hidden_block_count_z
      - .offset:         156
        .size:           2
        .value_kind:     hidden_group_size_x
      - .offset:         158
        .size:           2
        .value_kind:     hidden_group_size_y
      - .offset:         160
        .size:           2
        .value_kind:     hidden_group_size_z
      - .offset:         162
        .size:           2
        .value_kind:     hidden_remainder_x
      - .offset:         164
        .size:           2
        .value_kind:     hidden_remainder_y
      - .offset:         166
        .size:           2
        .value_kind:     hidden_remainder_z
      - .offset:         184
        .size:           8
        .value_kind:     hidden_global_offset_x
      - .offset:         192
        .size:           8
        .value_kind:     hidden_global_offset_y
      - .offset:         200
        .size:           8
        .value_kind:     hidden_global_offset_z
      - .offset:         208
        .size:           2
        .value_kind:     hidden_grid_dims
    .group_segment_fixed_size: 0
    .kernarg_segment_align: 8
    .kernarg_segment_size: 400
    .language:       OpenCL C
    .language_version:
      - 2
      - 0
    .max_flat_workgroup_size: 1024
    .name:           _ZN5aiter35fused_qk_rmsnorm_group_quant_kernelIDF16_DB8_Li64ELi8ELi16ELb0ELb0ELb1ELb0ELb0ELb0EEEvPT0_PvPT_S6_S6_PKS5_S8_S8_S8_S8_ffiiiiiiiiiiiii
    .private_segment_fixed_size: 0
    .sgpr_count:     36
    .sgpr_spill_count: 0
    .symbol:         _ZN5aiter35fused_qk_rmsnorm_group_quant_kernelIDF16_DB8_Li64ELi8ELi16ELb0ELb0ELb1ELb0ELb0ELb0EEEvPT0_PvPT_S6_S6_PKS5_S8_S8_S8_S8_ffiiiiiiiiiiiii.kd
    .uniform_work_group_size: 1
    .uses_dynamic_stack: false
    .vgpr_count:     23
    .vgpr_spill_count: 0
    .wavefront_size: 64
  - .agpr_count:     0
    .args:
      - .actual_access:  write_only
        .address_space:  global
        .offset:         0
        .size:           8
        .value_kind:     global_buffer
      - .actual_access:  write_only
        .address_space:  global
        .offset:         8
        .size:           8
        .value_kind:     global_buffer
      - .actual_access:  read_only
        .address_space:  global
        .offset:         16
        .size:           8
        .value_kind:     global_buffer
      - .actual_access:  write_only
        .address_space:  global
        .offset:         24
        .size:           8
        .value_kind:     global_buffer
      - .actual_access:  read_only
        .address_space:  global
        .offset:         32
        .size:           8
        .value_kind:     global_buffer
      - .actual_access:  read_only
        .address_space:  global
        .offset:         40
        .size:           8
        .value_kind:     global_buffer
      - .actual_access:  read_only
        .address_space:  global
        .offset:         48
        .size:           8
        .value_kind:     global_buffer
      - .actual_access:  read_only
        .address_space:  global
        .offset:         56
        .size:           8
        .value_kind:     global_buffer
      - .actual_access:  read_only
        .address_space:  global
        .offset:         64
        .size:           8
        .value_kind:     global_buffer
      - .actual_access:  read_only
        .address_space:  global
        .offset:         72
        .size:           8
        .value_kind:     global_buffer
      - .offset:         80
        .size:           4
        .value_kind:     by_value
      - .offset:         84
        .size:           4
        .value_kind:     by_value
      - .offset:         88
        .size:           4
        .value_kind:     by_value
      - .offset:         92
        .size:           4
        .value_kind:     by_value
      - .offset:         96
        .size:           4
        .value_kind:     by_value
      - .offset:         100
        .size:           4
        .value_kind:     by_value
      - .offset:         104
        .size:           4
        .value_kind:     by_value
      - .offset:         108
        .size:           4
        .value_kind:     by_value
      - .offset:         112
        .size:           4
        .value_kind:     by_value
      - .offset:         116
        .size:           4
        .value_kind:     by_value
      - .offset:         120
        .size:           4
        .value_kind:     by_value
      - .offset:         124
        .size:           4
        .value_kind:     by_value
      - .offset:         128
        .size:           4
        .value_kind:     by_value
      - .offset:         132
        .size:           4
        .value_kind:     by_value
      - .offset:         136
        .size:           4
        .value_kind:     by_value
      - .offset:         144
        .size:           4
        .value_kind:     hidden_block_count_x
      - .offset:         148
        .size:           4
        .value_kind:     hidden_block_count_y
      - .offset:         152
        .size:           4
        .value_kind:     hidden_block_count_z
      - .offset:         156
        .size:           2
        .value_kind:     hidden_group_size_x
      - .offset:         158
        .size:           2
        .value_kind:     hidden_group_size_y
      - .offset:         160
        .size:           2
        .value_kind:     hidden_group_size_z
      - .offset:         162
        .size:           2
        .value_kind:     hidden_remainder_x
      - .offset:         164
        .size:           2
        .value_kind:     hidden_remainder_y
      - .offset:         166
        .size:           2
        .value_kind:     hidden_remainder_z
      - .offset:         184
        .size:           8
        .value_kind:     hidden_global_offset_x
      - .offset:         192
        .size:           8
        .value_kind:     hidden_global_offset_y
      - .offset:         200
        .size:           8
        .value_kind:     hidden_global_offset_z
      - .offset:         208
        .size:           2
        .value_kind:     hidden_grid_dims
    .group_segment_fixed_size: 0
    .kernarg_segment_align: 8
    .kernarg_segment_size: 400
    .language:       OpenCL C
    .language_version:
      - 2
      - 0
    .max_flat_workgroup_size: 1024
    .name:           _ZN5aiter35fused_qk_rmsnorm_group_quant_kernelItDB8_Li64ELi8ELi16ELb0ELb0ELb1ELb0ELb0ELb0EEEvPT0_PvPT_S6_S6_PKS5_S8_S8_S8_S8_ffiiiiiiiiiiiii
    .private_segment_fixed_size: 0
    .sgpr_count:     36
    .sgpr_spill_count: 0
    .symbol:         _ZN5aiter35fused_qk_rmsnorm_group_quant_kernelItDB8_Li64ELi8ELi16ELb0ELb0ELb1ELb0ELb0ELb0EEEvPT0_PvPT_S6_S6_PKS5_S8_S8_S8_S8_ffiiiiiiiiiiiii.kd
    .uniform_work_group_size: 1
    .uses_dynamic_stack: false
    .vgpr_count:     23
    .vgpr_spill_count: 0
    .wavefront_size: 64
  - .agpr_count:     0
    .args:
      - .actual_access:  write_only
        .address_space:  global
        .offset:         0
        .size:           8
        .value_kind:     global_buffer
      - .actual_access:  write_only
        .address_space:  global
        .offset:         8
        .size:           8
        .value_kind:     global_buffer
      - .actual_access:  read_only
        .address_space:  global
        .offset:         16
        .size:           8
        .value_kind:     global_buffer
      - .actual_access:  write_only
        .address_space:  global
        .offset:         24
        .size:           8
        .value_kind:     global_buffer
      - .actual_access:  read_only
        .address_space:  global
        .offset:         32
        .size:           8
        .value_kind:     global_buffer
      - .actual_access:  read_only
        .address_space:  global
        .offset:         40
        .size:           8
        .value_kind:     global_buffer
      - .actual_access:  read_only
        .address_space:  global
        .offset:         48
        .size:           8
        .value_kind:     global_buffer
      - .actual_access:  read_only
        .address_space:  global
        .offset:         56
        .size:           8
        .value_kind:     global_buffer
      - .actual_access:  read_only
        .address_space:  global
        .offset:         64
        .size:           8
        .value_kind:     global_buffer
      - .actual_access:  read_only
        .address_space:  global
        .offset:         72
        .size:           8
        .value_kind:     global_buffer
      - .offset:         80
        .size:           4
        .value_kind:     by_value
      - .offset:         84
        .size:           4
        .value_kind:     by_value
      - .offset:         88
        .size:           4
        .value_kind:     by_value
      - .offset:         92
        .size:           4
        .value_kind:     by_value
      - .offset:         96
        .size:           4
        .value_kind:     by_value
      - .offset:         100
        .size:           4
        .value_kind:     by_value
      - .offset:         104
        .size:           4
        .value_kind:     by_value
      - .offset:         108
        .size:           4
        .value_kind:     by_value
      - .offset:         112
        .size:           4
        .value_kind:     by_value
      - .offset:         116
        .size:           4
        .value_kind:     by_value
      - .offset:         120
        .size:           4
        .value_kind:     by_value
      - .offset:         124
        .size:           4
        .value_kind:     by_value
      - .offset:         128
        .size:           4
        .value_kind:     by_value
      - .offset:         132
        .size:           4
        .value_kind:     by_value
      - .offset:         136
        .size:           4
        .value_kind:     by_value
      - .offset:         144
        .size:           4
        .value_kind:     hidden_block_count_x
      - .offset:         148
        .size:           4
        .value_kind:     hidden_block_count_y
      - .offset:         152
        .size:           4
        .value_kind:     hidden_block_count_z
      - .offset:         156
        .size:           2
        .value_kind:     hidden_group_size_x
      - .offset:         158
        .size:           2
        .value_kind:     hidden_group_size_y
      - .offset:         160
        .size:           2
        .value_kind:     hidden_group_size_z
      - .offset:         162
        .size:           2
        .value_kind:     hidden_remainder_x
      - .offset:         164
        .size:           2
        .value_kind:     hidden_remainder_y
      - .offset:         166
        .size:           2
        .value_kind:     hidden_remainder_z
      - .offset:         184
        .size:           8
        .value_kind:     hidden_global_offset_x
      - .offset:         192
        .size:           8
        .value_kind:     hidden_global_offset_y
      - .offset:         200
        .size:           8
        .value_kind:     hidden_global_offset_z
      - .offset:         208
        .size:           2
        .value_kind:     hidden_grid_dims
    .group_segment_fixed_size: 0
    .kernarg_segment_align: 8
    .kernarg_segment_size: 400
    .language:       OpenCL C
    .language_version:
      - 2
      - 0
    .max_flat_workgroup_size: 1024
    .name:           _ZN5aiter35fused_qk_rmsnorm_group_quant_kernelIDF16_N4opus5fp4_tELi64ELi8ELi16ELb0ELb0ELb1ELb0ELb0ELb0EEEvPT0_PvPT_S7_S7_PKS6_S9_S9_S9_S9_ffiiiiiiiiiiiii
    .private_segment_fixed_size: 0
    .sgpr_count:     36
    .sgpr_spill_count: 0
    .symbol:         _ZN5aiter35fused_qk_rmsnorm_group_quant_kernelIDF16_N4opus5fp4_tELi64ELi8ELi16ELb0ELb0ELb1ELb0ELb0ELb0EEEvPT0_PvPT_S7_S7_PKS6_S9_S9_S9_S9_ffiiiiiiiiiiiii.kd
    .uniform_work_group_size: 1
    .uses_dynamic_stack: false
    .vgpr_count:     23
    .vgpr_spill_count: 0
    .wavefront_size: 64
  - .agpr_count:     0
    .args:
      - .actual_access:  write_only
        .address_space:  global
        .offset:         0
        .size:           8
        .value_kind:     global_buffer
      - .actual_access:  write_only
        .address_space:  global
        .offset:         8
        .size:           8
        .value_kind:     global_buffer
      - .actual_access:  read_only
        .address_space:  global
        .offset:         16
        .size:           8
        .value_kind:     global_buffer
      - .actual_access:  write_only
        .address_space:  global
        .offset:         24
        .size:           8
        .value_kind:     global_buffer
      - .actual_access:  read_only
        .address_space:  global
        .offset:         32
        .size:           8
        .value_kind:     global_buffer
      - .actual_access:  read_only
        .address_space:  global
        .offset:         40
        .size:           8
        .value_kind:     global_buffer
      - .actual_access:  read_only
        .address_space:  global
        .offset:         48
        .size:           8
        .value_kind:     global_buffer
      - .actual_access:  read_only
        .address_space:  global
        .offset:         56
        .size:           8
        .value_kind:     global_buffer
      - .actual_access:  read_only
        .address_space:  global
        .offset:         64
        .size:           8
        .value_kind:     global_buffer
      - .actual_access:  read_only
        .address_space:  global
        .offset:         72
        .size:           8
        .value_kind:     global_buffer
      - .offset:         80
        .size:           4
        .value_kind:     by_value
      - .offset:         84
        .size:           4
        .value_kind:     by_value
      - .offset:         88
        .size:           4
        .value_kind:     by_value
      - .offset:         92
        .size:           4
        .value_kind:     by_value
      - .offset:         96
        .size:           4
        .value_kind:     by_value
      - .offset:         100
        .size:           4
        .value_kind:     by_value
      - .offset:         104
        .size:           4
        .value_kind:     by_value
      - .offset:         108
        .size:           4
        .value_kind:     by_value
      - .offset:         112
        .size:           4
        .value_kind:     by_value
      - .offset:         116
        .size:           4
        .value_kind:     by_value
      - .offset:         120
        .size:           4
        .value_kind:     by_value
      - .offset:         124
        .size:           4
        .value_kind:     by_value
      - .offset:         128
        .size:           4
        .value_kind:     by_value
      - .offset:         132
        .size:           4
        .value_kind:     by_value
      - .offset:         136
        .size:           4
        .value_kind:     by_value
      - .offset:         144
        .size:           4
        .value_kind:     hidden_block_count_x
      - .offset:         148
        .size:           4
        .value_kind:     hidden_block_count_y
      - .offset:         152
        .size:           4
        .value_kind:     hidden_block_count_z
      - .offset:         156
        .size:           2
        .value_kind:     hidden_group_size_x
      - .offset:         158
        .size:           2
        .value_kind:     hidden_group_size_y
      - .offset:         160
        .size:           2
        .value_kind:     hidden_group_size_z
      - .offset:         162
        .size:           2
        .value_kind:     hidden_remainder_x
      - .offset:         164
        .size:           2
        .value_kind:     hidden_remainder_y
      - .offset:         166
        .size:           2
        .value_kind:     hidden_remainder_z
      - .offset:         184
        .size:           8
        .value_kind:     hidden_global_offset_x
      - .offset:         192
        .size:           8
        .value_kind:     hidden_global_offset_y
      - .offset:         200
        .size:           8
        .value_kind:     hidden_global_offset_z
      - .offset:         208
        .size:           2
        .value_kind:     hidden_grid_dims
    .group_segment_fixed_size: 0
    .kernarg_segment_align: 8
    .kernarg_segment_size: 400
    .language:       OpenCL C
    .language_version:
      - 2
      - 0
    .max_flat_workgroup_size: 1024
    .name:           _ZN5aiter35fused_qk_rmsnorm_group_quant_kernelItN4opus5fp4_tELi64ELi8ELi16ELb0ELb0ELb1ELb0ELb0ELb0EEEvPT0_PvPT_S7_S7_PKS6_S9_S9_S9_S9_ffiiiiiiiiiiiii
    .private_segment_fixed_size: 0
    .sgpr_count:     36
    .sgpr_spill_count: 0
    .symbol:         _ZN5aiter35fused_qk_rmsnorm_group_quant_kernelItN4opus5fp4_tELi64ELi8ELi16ELb0ELb0ELb1ELb0ELb0ELb0EEEvPT0_PvPT_S7_S7_PKS6_S9_S9_S9_S9_ffiiiiiiiiiiiii.kd
    .uniform_work_group_size: 1
    .uses_dynamic_stack: false
    .vgpr_count:     23
    .vgpr_spill_count: 0
    .wavefront_size: 64
  - .agpr_count:     0
    .args:
      - .actual_access:  write_only
        .address_space:  global
        .offset:         0
        .size:           8
        .value_kind:     global_buffer
      - .actual_access:  write_only
        .address_space:  global
        .offset:         8
        .size:           8
        .value_kind:     global_buffer
      - .actual_access:  read_only
        .address_space:  global
        .offset:         16
        .size:           8
        .value_kind:     global_buffer
      - .actual_access:  write_only
        .address_space:  global
        .offset:         24
        .size:           8
        .value_kind:     global_buffer
      - .actual_access:  read_only
        .address_space:  global
        .offset:         32
        .size:           8
        .value_kind:     global_buffer
      - .actual_access:  read_only
        .address_space:  global
        .offset:         40
        .size:           8
        .value_kind:     global_buffer
      - .actual_access:  read_only
        .address_space:  global
        .offset:         48
        .size:           8
        .value_kind:     global_buffer
      - .actual_access:  read_only
        .address_space:  global
        .offset:         56
        .size:           8
        .value_kind:     global_buffer
      - .actual_access:  read_only
        .address_space:  global
        .offset:         64
        .size:           8
        .value_kind:     global_buffer
      - .actual_access:  read_only
        .address_space:  global
        .offset:         72
        .size:           8
        .value_kind:     global_buffer
      - .offset:         80
        .size:           4
        .value_kind:     by_value
      - .offset:         84
        .size:           4
        .value_kind:     by_value
      - .offset:         88
        .size:           4
        .value_kind:     by_value
      - .offset:         92
        .size:           4
        .value_kind:     by_value
      - .offset:         96
        .size:           4
        .value_kind:     by_value
      - .offset:         100
        .size:           4
        .value_kind:     by_value
      - .offset:         104
        .size:           4
        .value_kind:     by_value
      - .offset:         108
        .size:           4
        .value_kind:     by_value
      - .offset:         112
        .size:           4
        .value_kind:     by_value
      - .offset:         116
        .size:           4
        .value_kind:     by_value
      - .offset:         120
        .size:           4
        .value_kind:     by_value
      - .offset:         124
        .size:           4
        .value_kind:     by_value
      - .offset:         128
        .size:           4
        .value_kind:     by_value
      - .offset:         132
        .size:           4
        .value_kind:     by_value
      - .offset:         136
        .size:           4
        .value_kind:     by_value
      - .offset:         144
        .size:           4
        .value_kind:     hidden_block_count_x
      - .offset:         148
        .size:           4
        .value_kind:     hidden_block_count_y
      - .offset:         152
        .size:           4
        .value_kind:     hidden_block_count_z
      - .offset:         156
        .size:           2
        .value_kind:     hidden_group_size_x
      - .offset:         158
        .size:           2
        .value_kind:     hidden_group_size_y
      - .offset:         160
        .size:           2
        .value_kind:     hidden_group_size_z
      - .offset:         162
        .size:           2
        .value_kind:     hidden_remainder_x
      - .offset:         164
        .size:           2
        .value_kind:     hidden_remainder_y
      - .offset:         166
        .size:           2
        .value_kind:     hidden_remainder_z
      - .offset:         184
        .size:           8
        .value_kind:     hidden_global_offset_x
      - .offset:         192
        .size:           8
        .value_kind:     hidden_global_offset_y
      - .offset:         200
        .size:           8
        .value_kind:     hidden_global_offset_z
      - .offset:         208
        .size:           2
        .value_kind:     hidden_grid_dims
    .group_segment_fixed_size: 0
    .kernarg_segment_align: 8
    .kernarg_segment_size: 400
    .language:       OpenCL C
    .language_version:
      - 2
      - 0
    .max_flat_workgroup_size: 1024
    .name:           _ZN5aiter35fused_qk_rmsnorm_group_quant_kernelIDF16_DB8_Li64ELi8ELi16ELb0ELb0ELb0ELb0ELb0ELb0EEEvPT0_PvPT_S6_S6_PKS5_S8_S8_S8_S8_ffiiiiiiiiiiiii
    .private_segment_fixed_size: 0
    .sgpr_count:     36
    .sgpr_spill_count: 0
    .symbol:         _ZN5aiter35fused_qk_rmsnorm_group_quant_kernelIDF16_DB8_Li64ELi8ELi16ELb0ELb0ELb0ELb0ELb0ELb0EEEvPT0_PvPT_S6_S6_PKS5_S8_S8_S8_S8_ffiiiiiiiiiiiii.kd
    .uniform_work_group_size: 1
    .uses_dynamic_stack: false
    .vgpr_count:     23
    .vgpr_spill_count: 0
    .wavefront_size: 64
  - .agpr_count:     0
    .args:
      - .actual_access:  write_only
        .address_space:  global
        .offset:         0
        .size:           8
        .value_kind:     global_buffer
      - .actual_access:  write_only
        .address_space:  global
        .offset:         8
        .size:           8
        .value_kind:     global_buffer
      - .actual_access:  read_only
        .address_space:  global
        .offset:         16
        .size:           8
        .value_kind:     global_buffer
      - .actual_access:  write_only
        .address_space:  global
        .offset:         24
        .size:           8
        .value_kind:     global_buffer
      - .actual_access:  read_only
        .address_space:  global
        .offset:         32
        .size:           8
        .value_kind:     global_buffer
      - .actual_access:  read_only
        .address_space:  global
        .offset:         40
        .size:           8
        .value_kind:     global_buffer
      - .actual_access:  read_only
        .address_space:  global
        .offset:         48
        .size:           8
        .value_kind:     global_buffer
      - .actual_access:  read_only
        .address_space:  global
        .offset:         56
        .size:           8
        .value_kind:     global_buffer
      - .actual_access:  read_only
        .address_space:  global
        .offset:         64
        .size:           8
        .value_kind:     global_buffer
      - .actual_access:  read_only
        .address_space:  global
        .offset:         72
        .size:           8
        .value_kind:     global_buffer
      - .offset:         80
        .size:           4
        .value_kind:     by_value
      - .offset:         84
        .size:           4
        .value_kind:     by_value
      - .offset:         88
        .size:           4
        .value_kind:     by_value
      - .offset:         92
        .size:           4
        .value_kind:     by_value
      - .offset:         96
        .size:           4
        .value_kind:     by_value
      - .offset:         100
        .size:           4
        .value_kind:     by_value
      - .offset:         104
        .size:           4
        .value_kind:     by_value
      - .offset:         108
        .size:           4
        .value_kind:     by_value
      - .offset:         112
        .size:           4
        .value_kind:     by_value
      - .offset:         116
        .size:           4
        .value_kind:     by_value
      - .offset:         120
        .size:           4
        .value_kind:     by_value
      - .offset:         124
        .size:           4
        .value_kind:     by_value
      - .offset:         128
        .size:           4
        .value_kind:     by_value
      - .offset:         132
        .size:           4
        .value_kind:     by_value
      - .offset:         136
        .size:           4
        .value_kind:     by_value
      - .offset:         144
        .size:           4
        .value_kind:     hidden_block_count_x
      - .offset:         148
        .size:           4
        .value_kind:     hidden_block_count_y
      - .offset:         152
        .size:           4
        .value_kind:     hidden_block_count_z
      - .offset:         156
        .size:           2
        .value_kind:     hidden_group_size_x
      - .offset:         158
        .size:           2
        .value_kind:     hidden_group_size_y
      - .offset:         160
        .size:           2
        .value_kind:     hidden_group_size_z
      - .offset:         162
        .size:           2
        .value_kind:     hidden_remainder_x
      - .offset:         164
        .size:           2
        .value_kind:     hidden_remainder_y
      - .offset:         166
        .size:           2
        .value_kind:     hidden_remainder_z
      - .offset:         184
        .size:           8
        .value_kind:     hidden_global_offset_x
      - .offset:         192
        .size:           8
        .value_kind:     hidden_global_offset_y
      - .offset:         200
        .size:           8
        .value_kind:     hidden_global_offset_z
      - .offset:         208
        .size:           2
        .value_kind:     hidden_grid_dims
    .group_segment_fixed_size: 0
    .kernarg_segment_align: 8
    .kernarg_segment_size: 400
    .language:       OpenCL C
    .language_version:
      - 2
      - 0
    .max_flat_workgroup_size: 1024
    .name:           _ZN5aiter35fused_qk_rmsnorm_group_quant_kernelItDB8_Li64ELi8ELi16ELb0ELb0ELb0ELb0ELb0ELb0EEEvPT0_PvPT_S6_S6_PKS5_S8_S8_S8_S8_ffiiiiiiiiiiiii
    .private_segment_fixed_size: 0
    .sgpr_count:     36
    .sgpr_spill_count: 0
    .symbol:         _ZN5aiter35fused_qk_rmsnorm_group_quant_kernelItDB8_Li64ELi8ELi16ELb0ELb0ELb0ELb0ELb0ELb0EEEvPT0_PvPT_S6_S6_PKS5_S8_S8_S8_S8_ffiiiiiiiiiiiii.kd
    .uniform_work_group_size: 1
    .uses_dynamic_stack: false
    .vgpr_count:     23
    .vgpr_spill_count: 0
    .wavefront_size: 64
  - .agpr_count:     0
    .args:
      - .actual_access:  write_only
        .address_space:  global
        .offset:         0
        .size:           8
        .value_kind:     global_buffer
      - .actual_access:  write_only
        .address_space:  global
        .offset:         8
        .size:           8
        .value_kind:     global_buffer
      - .actual_access:  read_only
        .address_space:  global
        .offset:         16
        .size:           8
        .value_kind:     global_buffer
      - .actual_access:  write_only
        .address_space:  global
        .offset:         24
        .size:           8
        .value_kind:     global_buffer
      - .actual_access:  read_only
        .address_space:  global
        .offset:         32
        .size:           8
        .value_kind:     global_buffer
      - .actual_access:  read_only
        .address_space:  global
        .offset:         40
        .size:           8
        .value_kind:     global_buffer
      - .actual_access:  read_only
        .address_space:  global
        .offset:         48
        .size:           8
        .value_kind:     global_buffer
      - .actual_access:  read_only
        .address_space:  global
        .offset:         56
        .size:           8
        .value_kind:     global_buffer
      - .actual_access:  read_only
        .address_space:  global
        .offset:         64
        .size:           8
        .value_kind:     global_buffer
      - .actual_access:  read_only
        .address_space:  global
        .offset:         72
        .size:           8
        .value_kind:     global_buffer
      - .offset:         80
        .size:           4
        .value_kind:     by_value
      - .offset:         84
        .size:           4
        .value_kind:     by_value
      - .offset:         88
        .size:           4
        .value_kind:     by_value
      - .offset:         92
        .size:           4
        .value_kind:     by_value
      - .offset:         96
        .size:           4
        .value_kind:     by_value
      - .offset:         100
        .size:           4
        .value_kind:     by_value
      - .offset:         104
        .size:           4
        .value_kind:     by_value
      - .offset:         108
        .size:           4
        .value_kind:     by_value
      - .offset:         112
        .size:           4
        .value_kind:     by_value
      - .offset:         116
        .size:           4
        .value_kind:     by_value
      - .offset:         120
        .size:           4
        .value_kind:     by_value
      - .offset:         124
        .size:           4
        .value_kind:     by_value
      - .offset:         128
        .size:           4
        .value_kind:     by_value
      - .offset:         132
        .size:           4
        .value_kind:     by_value
      - .offset:         136
        .size:           4
        .value_kind:     by_value
      - .offset:         144
        .size:           4
        .value_kind:     hidden_block_count_x
      - .offset:         148
        .size:           4
        .value_kind:     hidden_block_count_y
      - .offset:         152
        .size:           4
        .value_kind:     hidden_block_count_z
      - .offset:         156
        .size:           2
        .value_kind:     hidden_group_size_x
      - .offset:         158
        .size:           2
        .value_kind:     hidden_group_size_y
      - .offset:         160
        .size:           2
        .value_kind:     hidden_group_size_z
      - .offset:         162
        .size:           2
        .value_kind:     hidden_remainder_x
      - .offset:         164
        .size:           2
        .value_kind:     hidden_remainder_y
      - .offset:         166
        .size:           2
        .value_kind:     hidden_remainder_z
      - .offset:         184
        .size:           8
        .value_kind:     hidden_global_offset_x
      - .offset:         192
        .size:           8
        .value_kind:     hidden_global_offset_y
      - .offset:         200
        .size:           8
        .value_kind:     hidden_global_offset_z
      - .offset:         208
        .size:           2
        .value_kind:     hidden_grid_dims
    .group_segment_fixed_size: 0
    .kernarg_segment_align: 8
    .kernarg_segment_size: 400
    .language:       OpenCL C
    .language_version:
      - 2
      - 0
    .max_flat_workgroup_size: 1024
    .name:           _ZN5aiter35fused_qk_rmsnorm_group_quant_kernelIDF16_N4opus5fp4_tELi64ELi8ELi16ELb0ELb0ELb0ELb0ELb0ELb0EEEvPT0_PvPT_S7_S7_PKS6_S9_S9_S9_S9_ffiiiiiiiiiiiii
    .private_segment_fixed_size: 0
    .sgpr_count:     36
    .sgpr_spill_count: 0
    .symbol:         _ZN5aiter35fused_qk_rmsnorm_group_quant_kernelIDF16_N4opus5fp4_tELi64ELi8ELi16ELb0ELb0ELb0ELb0ELb0ELb0EEEvPT0_PvPT_S7_S7_PKS6_S9_S9_S9_S9_ffiiiiiiiiiiiii.kd
    .uniform_work_group_size: 1
    .uses_dynamic_stack: false
    .vgpr_count:     23
    .vgpr_spill_count: 0
    .wavefront_size: 64
  - .agpr_count:     0
    .args:
      - .actual_access:  write_only
        .address_space:  global
        .offset:         0
        .size:           8
        .value_kind:     global_buffer
      - .actual_access:  write_only
        .address_space:  global
        .offset:         8
        .size:           8
        .value_kind:     global_buffer
      - .actual_access:  read_only
        .address_space:  global
        .offset:         16
        .size:           8
        .value_kind:     global_buffer
      - .actual_access:  write_only
        .address_space:  global
        .offset:         24
        .size:           8
        .value_kind:     global_buffer
      - .actual_access:  read_only
        .address_space:  global
        .offset:         32
        .size:           8
        .value_kind:     global_buffer
      - .actual_access:  read_only
        .address_space:  global
        .offset:         40
        .size:           8
        .value_kind:     global_buffer
      - .actual_access:  read_only
        .address_space:  global
        .offset:         48
        .size:           8
        .value_kind:     global_buffer
      - .actual_access:  read_only
        .address_space:  global
        .offset:         56
        .size:           8
        .value_kind:     global_buffer
      - .actual_access:  read_only
        .address_space:  global
        .offset:         64
        .size:           8
        .value_kind:     global_buffer
      - .actual_access:  read_only
        .address_space:  global
        .offset:         72
        .size:           8
        .value_kind:     global_buffer
      - .offset:         80
        .size:           4
        .value_kind:     by_value
      - .offset:         84
        .size:           4
        .value_kind:     by_value
      - .offset:         88
        .size:           4
        .value_kind:     by_value
      - .offset:         92
        .size:           4
        .value_kind:     by_value
      - .offset:         96
        .size:           4
        .value_kind:     by_value
      - .offset:         100
        .size:           4
        .value_kind:     by_value
      - .offset:         104
        .size:           4
        .value_kind:     by_value
      - .offset:         108
        .size:           4
        .value_kind:     by_value
      - .offset:         112
        .size:           4
        .value_kind:     by_value
      - .offset:         116
        .size:           4
        .value_kind:     by_value
      - .offset:         120
        .size:           4
        .value_kind:     by_value
      - .offset:         124
        .size:           4
        .value_kind:     by_value
      - .offset:         128
        .size:           4
        .value_kind:     by_value
      - .offset:         132
        .size:           4
        .value_kind:     by_value
      - .offset:         136
        .size:           4
        .value_kind:     by_value
      - .offset:         144
        .size:           4
        .value_kind:     hidden_block_count_x
      - .offset:         148
        .size:           4
        .value_kind:     hidden_block_count_y
      - .offset:         152
        .size:           4
        .value_kind:     hidden_block_count_z
      - .offset:         156
        .size:           2
        .value_kind:     hidden_group_size_x
      - .offset:         158
        .size:           2
        .value_kind:     hidden_group_size_y
      - .offset:         160
        .size:           2
        .value_kind:     hidden_group_size_z
      - .offset:         162
        .size:           2
        .value_kind:     hidden_remainder_x
      - .offset:         164
        .size:           2
        .value_kind:     hidden_remainder_y
      - .offset:         166
        .size:           2
        .value_kind:     hidden_remainder_z
      - .offset:         184
        .size:           8
        .value_kind:     hidden_global_offset_x
      - .offset:         192
        .size:           8
        .value_kind:     hidden_global_offset_y
      - .offset:         200
        .size:           8
        .value_kind:     hidden_global_offset_z
      - .offset:         208
        .size:           2
        .value_kind:     hidden_grid_dims
    .group_segment_fixed_size: 0
    .kernarg_segment_align: 8
    .kernarg_segment_size: 400
    .language:       OpenCL C
    .language_version:
      - 2
      - 0
    .max_flat_workgroup_size: 1024
    .name:           _ZN5aiter35fused_qk_rmsnorm_group_quant_kernelItN4opus5fp4_tELi64ELi8ELi16ELb0ELb0ELb0ELb0ELb0ELb0EEEvPT0_PvPT_S7_S7_PKS6_S9_S9_S9_S9_ffiiiiiiiiiiiii
    .private_segment_fixed_size: 0
    .sgpr_count:     36
    .sgpr_spill_count: 0
    .symbol:         _ZN5aiter35fused_qk_rmsnorm_group_quant_kernelItN4opus5fp4_tELi64ELi8ELi16ELb0ELb0ELb0ELb0ELb0ELb0EEEvPT0_PvPT_S7_S7_PKS6_S9_S9_S9_S9_ffiiiiiiiiiiiii.kd
    .uniform_work_group_size: 1
    .uses_dynamic_stack: false
    .vgpr_count:     23
    .vgpr_spill_count: 0
    .wavefront_size: 64
  - .agpr_count:     0
    .args:
      - .actual_access:  read_only
        .address_space:  global
        .offset:         0
        .size:           8
        .value_kind:     global_buffer
      - .actual_access:  read_only
        .address_space:  global
        .offset:         8
        .size:           8
        .value_kind:     global_buffer
      - .actual_access:  write_only
        .address_space:  global
        .offset:         16
        .size:           8
        .value_kind:     global_buffer
      - .actual_access:  write_only
        .address_space:  global
        .offset:         24
        .size:           8
        .value_kind:     global_buffer
      - .actual_access:  write_only
        .address_space:  global
        .offset:         32
        .size:           8
        .value_kind:     global_buffer
      - .actual_access:  read_only
        .address_space:  global
        .offset:         40
        .size:           8
        .value_kind:     global_buffer
      - .actual_access:  read_only
        .address_space:  global
        .offset:         48
        .size:           8
        .value_kind:     global_buffer
      - .actual_access:  read_only
        .address_space:  global
        .offset:         56
        .size:           8
        .value_kind:     global_buffer
      - .actual_access:  read_only
        .address_space:  global
        .offset:         64
        .size:           8
        .value_kind:     global_buffer
      - .actual_access:  read_only
        .address_space:  global
        .offset:         72
        .size:           8
        .value_kind:     global_buffer
      - .offset:         80
        .size:           4
        .value_kind:     by_value
      - .offset:         84
        .size:           4
        .value_kind:     by_value
      - .offset:         88
        .size:           4
        .value_kind:     by_value
      - .offset:         92
        .size:           4
        .value_kind:     by_value
      - .offset:         96
        .size:           4
        .value_kind:     by_value
      - .offset:         100
        .size:           4
        .value_kind:     by_value
      - .offset:         104
        .size:           4
        .value_kind:     by_value
      - .offset:         108
        .size:           4
        .value_kind:     by_value
      - .offset:         112
        .size:           4
        .value_kind:     by_value
      - .offset:         116
        .size:           4
        .value_kind:     by_value
      - .offset:         120
        .size:           4
        .value_kind:     by_value
      - .offset:         124
        .size:           4
        .value_kind:     by_value
      - .offset:         128
        .size:           4
        .value_kind:     by_value
      - .offset:         132
        .size:           4
        .value_kind:     by_value
      - .offset:         136
        .size:           4
        .value_kind:     by_value
      - .offset:         144
        .size:           4
        .value_kind:     hidden_block_count_x
      - .offset:         148
        .size:           4
        .value_kind:     hidden_block_count_y
      - .offset:         152
        .size:           4
        .value_kind:     hidden_block_count_z
      - .offset:         156
        .size:           2
        .value_kind:     hidden_group_size_x
      - .offset:         158
        .size:           2
        .value_kind:     hidden_group_size_y
      - .offset:         160
        .size:           2
        .value_kind:     hidden_group_size_z
      - .offset:         162
        .size:           2
        .value_kind:     hidden_remainder_x
      - .offset:         164
        .size:           2
        .value_kind:     hidden_remainder_y
      - .offset:         166
        .size:           2
        .value_kind:     hidden_remainder_z
      - .offset:         184
        .size:           8
        .value_kind:     hidden_global_offset_x
      - .offset:         192
        .size:           8
        .value_kind:     hidden_global_offset_y
      - .offset:         200
        .size:           8
        .value_kind:     hidden_global_offset_z
      - .offset:         208
        .size:           2
        .value_kind:     hidden_grid_dims
    .group_segment_fixed_size: 0
    .kernarg_segment_align: 8
    .kernarg_segment_size: 400
    .language:       OpenCL C
    .language_version:
      - 2
      - 0
    .max_flat_workgroup_size: 1024
    .name:           _ZN5aiter35fused_qk_rmsnorm_group_quant_kernelIDF16_DB8_Li64ELi8ELi8ELb1ELb1ELb1ELb1ELb0ELb0EEEvPT0_PvPT_S6_S6_PKS5_S8_S8_S8_S8_ffiiiiiiiiiiiii
    .private_segment_fixed_size: 0
    .sgpr_count:     36
    .sgpr_spill_count: 0
    .symbol:         _ZN5aiter35fused_qk_rmsnorm_group_quant_kernelIDF16_DB8_Li64ELi8ELi8ELb1ELb1ELb1ELb1ELb0ELb0EEEvPT0_PvPT_S6_S6_PKS5_S8_S8_S8_S8_ffiiiiiiiiiiiii.kd
    .uniform_work_group_size: 1
    .uses_dynamic_stack: false
    .vgpr_count:     25
    .vgpr_spill_count: 0
    .wavefront_size: 64
  - .agpr_count:     0
    .args:
      - .actual_access:  read_only
        .address_space:  global
        .offset:         0
        .size:           8
        .value_kind:     global_buffer
      - .actual_access:  read_only
        .address_space:  global
        .offset:         8
        .size:           8
        .value_kind:     global_buffer
      - .actual_access:  write_only
        .address_space:  global
        .offset:         16
        .size:           8
        .value_kind:     global_buffer
      - .actual_access:  write_only
        .address_space:  global
        .offset:         24
        .size:           8
        .value_kind:     global_buffer
      - .actual_access:  write_only
        .address_space:  global
        .offset:         32
        .size:           8
        .value_kind:     global_buffer
      - .actual_access:  read_only
        .address_space:  global
        .offset:         40
        .size:           8
        .value_kind:     global_buffer
      - .actual_access:  read_only
        .address_space:  global
        .offset:         48
        .size:           8
        .value_kind:     global_buffer
      - .actual_access:  read_only
        .address_space:  global
        .offset:         56
        .size:           8
        .value_kind:     global_buffer
      - .actual_access:  read_only
        .address_space:  global
        .offset:         64
        .size:           8
        .value_kind:     global_buffer
      - .actual_access:  read_only
        .address_space:  global
        .offset:         72
        .size:           8
        .value_kind:     global_buffer
      - .offset:         80
        .size:           4
        .value_kind:     by_value
      - .offset:         84
        .size:           4
        .value_kind:     by_value
      - .offset:         88
        .size:           4
        .value_kind:     by_value
      - .offset:         92
        .size:           4
        .value_kind:     by_value
      - .offset:         96
        .size:           4
        .value_kind:     by_value
      - .offset:         100
        .size:           4
        .value_kind:     by_value
      - .offset:         104
        .size:           4
        .value_kind:     by_value
      - .offset:         108
        .size:           4
        .value_kind:     by_value
      - .offset:         112
        .size:           4
        .value_kind:     by_value
      - .offset:         116
        .size:           4
        .value_kind:     by_value
      - .offset:         120
        .size:           4
        .value_kind:     by_value
      - .offset:         124
        .size:           4
        .value_kind:     by_value
      - .offset:         128
        .size:           4
        .value_kind:     by_value
      - .offset:         132
        .size:           4
        .value_kind:     by_value
      - .offset:         136
        .size:           4
        .value_kind:     by_value
      - .offset:         144
        .size:           4
        .value_kind:     hidden_block_count_x
      - .offset:         148
        .size:           4
        .value_kind:     hidden_block_count_y
      - .offset:         152
        .size:           4
        .value_kind:     hidden_block_count_z
      - .offset:         156
        .size:           2
        .value_kind:     hidden_group_size_x
      - .offset:         158
        .size:           2
        .value_kind:     hidden_group_size_y
      - .offset:         160
        .size:           2
        .value_kind:     hidden_group_size_z
      - .offset:         162
        .size:           2
        .value_kind:     hidden_remainder_x
      - .offset:         164
        .size:           2
        .value_kind:     hidden_remainder_y
      - .offset:         166
        .size:           2
        .value_kind:     hidden_remainder_z
      - .offset:         184
        .size:           8
        .value_kind:     hidden_global_offset_x
      - .offset:         192
        .size:           8
        .value_kind:     hidden_global_offset_y
      - .offset:         200
        .size:           8
        .value_kind:     hidden_global_offset_z
      - .offset:         208
        .size:           2
        .value_kind:     hidden_grid_dims
    .group_segment_fixed_size: 0
    .kernarg_segment_align: 8
    .kernarg_segment_size: 400
    .language:       OpenCL C
    .language_version:
      - 2
      - 0
    .max_flat_workgroup_size: 1024
    .name:           _ZN5aiter35fused_qk_rmsnorm_group_quant_kernelItDB8_Li64ELi8ELi8ELb1ELb1ELb1ELb1ELb0ELb0EEEvPT0_PvPT_S6_S6_PKS5_S8_S8_S8_S8_ffiiiiiiiiiiiii
    .private_segment_fixed_size: 0
    .sgpr_count:     48
    .sgpr_spill_count: 0
    .symbol:         _ZN5aiter35fused_qk_rmsnorm_group_quant_kernelItDB8_Li64ELi8ELi8ELb1ELb1ELb1ELb1ELb0ELb0EEEvPT0_PvPT_S6_S6_PKS5_S8_S8_S8_S8_ffiiiiiiiiiiiii.kd
    .uniform_work_group_size: 1
    .uses_dynamic_stack: false
    .vgpr_count:     27
    .vgpr_spill_count: 0
    .wavefront_size: 64
  - .agpr_count:     0
    .args:
      - .actual_access:  read_only
        .address_space:  global
        .offset:         0
        .size:           8
        .value_kind:     global_buffer
      - .actual_access:  read_only
        .address_space:  global
        .offset:         8
        .size:           8
        .value_kind:     global_buffer
      - .actual_access:  write_only
        .address_space:  global
        .offset:         16
        .size:           8
        .value_kind:     global_buffer
      - .actual_access:  write_only
        .address_space:  global
        .offset:         24
        .size:           8
        .value_kind:     global_buffer
      - .actual_access:  write_only
        .address_space:  global
        .offset:         32
        .size:           8
        .value_kind:     global_buffer
      - .actual_access:  read_only
        .address_space:  global
        .offset:         40
        .size:           8
        .value_kind:     global_buffer
      - .actual_access:  read_only
        .address_space:  global
        .offset:         48
        .size:           8
        .value_kind:     global_buffer
      - .actual_access:  read_only
        .address_space:  global
        .offset:         56
        .size:           8
        .value_kind:     global_buffer
      - .actual_access:  read_only
        .address_space:  global
        .offset:         64
        .size:           8
        .value_kind:     global_buffer
      - .actual_access:  read_only
        .address_space:  global
        .offset:         72
        .size:           8
        .value_kind:     global_buffer
      - .offset:         80
        .size:           4
        .value_kind:     by_value
      - .offset:         84
        .size:           4
        .value_kind:     by_value
      - .offset:         88
        .size:           4
        .value_kind:     by_value
      - .offset:         92
        .size:           4
        .value_kind:     by_value
      - .offset:         96
        .size:           4
        .value_kind:     by_value
      - .offset:         100
        .size:           4
        .value_kind:     by_value
      - .offset:         104
        .size:           4
        .value_kind:     by_value
      - .offset:         108
        .size:           4
        .value_kind:     by_value
      - .offset:         112
        .size:           4
        .value_kind:     by_value
      - .offset:         116
        .size:           4
        .value_kind:     by_value
      - .offset:         120
        .size:           4
        .value_kind:     by_value
      - .offset:         124
        .size:           4
        .value_kind:     by_value
      - .offset:         128
        .size:           4
        .value_kind:     by_value
      - .offset:         132
        .size:           4
        .value_kind:     by_value
      - .offset:         136
        .size:           4
        .value_kind:     by_value
      - .offset:         144
        .size:           4
        .value_kind:     hidden_block_count_x
      - .offset:         148
        .size:           4
        .value_kind:     hidden_block_count_y
      - .offset:         152
        .size:           4
        .value_kind:     hidden_block_count_z
      - .offset:         156
        .size:           2
        .value_kind:     hidden_group_size_x
      - .offset:         158
        .size:           2
        .value_kind:     hidden_group_size_y
      - .offset:         160
        .size:           2
        .value_kind:     hidden_group_size_z
      - .offset:         162
        .size:           2
        .value_kind:     hidden_remainder_x
      - .offset:         164
        .size:           2
        .value_kind:     hidden_remainder_y
      - .offset:         166
        .size:           2
        .value_kind:     hidden_remainder_z
      - .offset:         184
        .size:           8
        .value_kind:     hidden_global_offset_x
      - .offset:         192
        .size:           8
        .value_kind:     hidden_global_offset_y
      - .offset:         200
        .size:           8
        .value_kind:     hidden_global_offset_z
      - .offset:         208
        .size:           2
        .value_kind:     hidden_grid_dims
    .group_segment_fixed_size: 0
    .kernarg_segment_align: 8
    .kernarg_segment_size: 400
    .language:       OpenCL C
    .language_version:
      - 2
      - 0
    .max_flat_workgroup_size: 1024
    .name:           _ZN5aiter35fused_qk_rmsnorm_group_quant_kernelIDF16_N4opus5fp4_tELi64ELi8ELi8ELb1ELb1ELb1ELb1ELb0ELb0EEEvPT0_PvPT_S7_S7_PKS6_S9_S9_S9_S9_ffiiiiiiiiiiiii
    .private_segment_fixed_size: 0
    .sgpr_count:     36
    .sgpr_spill_count: 0
    .symbol:         _ZN5aiter35fused_qk_rmsnorm_group_quant_kernelIDF16_N4opus5fp4_tELi64ELi8ELi8ELb1ELb1ELb1ELb1ELb0ELb0EEEvPT0_PvPT_S7_S7_PKS6_S9_S9_S9_S9_ffiiiiiiiiiiiii.kd
    .uniform_work_group_size: 1
    .uses_dynamic_stack: false
    .vgpr_count:     25
    .vgpr_spill_count: 0
    .wavefront_size: 64
  - .agpr_count:     0
    .args:
      - .actual_access:  read_only
        .address_space:  global
        .offset:         0
        .size:           8
        .value_kind:     global_buffer
      - .actual_access:  read_only
        .address_space:  global
        .offset:         8
        .size:           8
        .value_kind:     global_buffer
      - .actual_access:  write_only
        .address_space:  global
        .offset:         16
        .size:           8
        .value_kind:     global_buffer
      - .actual_access:  write_only
        .address_space:  global
        .offset:         24
        .size:           8
        .value_kind:     global_buffer
      - .actual_access:  write_only
        .address_space:  global
        .offset:         32
        .size:           8
        .value_kind:     global_buffer
      - .actual_access:  read_only
        .address_space:  global
        .offset:         40
        .size:           8
        .value_kind:     global_buffer
      - .actual_access:  read_only
        .address_space:  global
        .offset:         48
        .size:           8
        .value_kind:     global_buffer
      - .actual_access:  read_only
        .address_space:  global
        .offset:         56
        .size:           8
        .value_kind:     global_buffer
      - .actual_access:  read_only
        .address_space:  global
        .offset:         64
        .size:           8
        .value_kind:     global_buffer
      - .actual_access:  read_only
        .address_space:  global
        .offset:         72
        .size:           8
        .value_kind:     global_buffer
      - .offset:         80
        .size:           4
        .value_kind:     by_value
      - .offset:         84
        .size:           4
        .value_kind:     by_value
      - .offset:         88
        .size:           4
        .value_kind:     by_value
      - .offset:         92
        .size:           4
        .value_kind:     by_value
      - .offset:         96
        .size:           4
        .value_kind:     by_value
      - .offset:         100
        .size:           4
        .value_kind:     by_value
      - .offset:         104
        .size:           4
        .value_kind:     by_value
      - .offset:         108
        .size:           4
        .value_kind:     by_value
      - .offset:         112
        .size:           4
        .value_kind:     by_value
      - .offset:         116
        .size:           4
        .value_kind:     by_value
      - .offset:         120
        .size:           4
        .value_kind:     by_value
      - .offset:         124
        .size:           4
        .value_kind:     by_value
      - .offset:         128
        .size:           4
        .value_kind:     by_value
      - .offset:         132
        .size:           4
        .value_kind:     by_value
      - .offset:         136
        .size:           4
        .value_kind:     by_value
      - .offset:         144
        .size:           4
        .value_kind:     hidden_block_count_x
      - .offset:         148
        .size:           4
        .value_kind:     hidden_block_count_y
      - .offset:         152
        .size:           4
        .value_kind:     hidden_block_count_z
      - .offset:         156
        .size:           2
        .value_kind:     hidden_group_size_x
      - .offset:         158
        .size:           2
        .value_kind:     hidden_group_size_y
      - .offset:         160
        .size:           2
        .value_kind:     hidden_group_size_z
      - .offset:         162
        .size:           2
        .value_kind:     hidden_remainder_x
      - .offset:         164
        .size:           2
        .value_kind:     hidden_remainder_y
      - .offset:         166
        .size:           2
        .value_kind:     hidden_remainder_z
      - .offset:         184
        .size:           8
        .value_kind:     hidden_global_offset_x
      - .offset:         192
        .size:           8
        .value_kind:     hidden_global_offset_y
      - .offset:         200
        .size:           8
        .value_kind:     hidden_global_offset_z
      - .offset:         208
        .size:           2
        .value_kind:     hidden_grid_dims
    .group_segment_fixed_size: 0
    .kernarg_segment_align: 8
    .kernarg_segment_size: 400
    .language:       OpenCL C
    .language_version:
      - 2
      - 0
    .max_flat_workgroup_size: 1024
    .name:           _ZN5aiter35fused_qk_rmsnorm_group_quant_kernelItN4opus5fp4_tELi64ELi8ELi8ELb1ELb1ELb1ELb1ELb0ELb0EEEvPT0_PvPT_S7_S7_PKS6_S9_S9_S9_S9_ffiiiiiiiiiiiii
    .private_segment_fixed_size: 0
    .sgpr_count:     48
    .sgpr_spill_count: 0
    .symbol:         _ZN5aiter35fused_qk_rmsnorm_group_quant_kernelItN4opus5fp4_tELi64ELi8ELi8ELb1ELb1ELb1ELb1ELb0ELb0EEEvPT0_PvPT_S7_S7_PKS6_S9_S9_S9_S9_ffiiiiiiiiiiiii.kd
    .uniform_work_group_size: 1
    .uses_dynamic_stack: false
    .vgpr_count:     27
    .vgpr_spill_count: 0
    .wavefront_size: 64
  - .agpr_count:     0
    .args:
      - .actual_access:  read_only
        .address_space:  global
        .offset:         0
        .size:           8
        .value_kind:     global_buffer
      - .actual_access:  read_only
        .address_space:  global
        .offset:         8
        .size:           8
        .value_kind:     global_buffer
      - .actual_access:  write_only
        .address_space:  global
        .offset:         16
        .size:           8
        .value_kind:     global_buffer
      - .actual_access:  write_only
        .address_space:  global
        .offset:         24
        .size:           8
        .value_kind:     global_buffer
      - .actual_access:  write_only
        .address_space:  global
        .offset:         32
        .size:           8
        .value_kind:     global_buffer
      - .actual_access:  read_only
        .address_space:  global
        .offset:         40
        .size:           8
        .value_kind:     global_buffer
      - .actual_access:  read_only
        .address_space:  global
        .offset:         48
        .size:           8
        .value_kind:     global_buffer
      - .actual_access:  read_only
        .address_space:  global
        .offset:         56
        .size:           8
        .value_kind:     global_buffer
      - .actual_access:  read_only
        .address_space:  global
        .offset:         64
        .size:           8
        .value_kind:     global_buffer
      - .actual_access:  read_only
        .address_space:  global
        .offset:         72
        .size:           8
        .value_kind:     global_buffer
      - .offset:         80
        .size:           4
        .value_kind:     by_value
      - .offset:         84
        .size:           4
        .value_kind:     by_value
      - .offset:         88
        .size:           4
        .value_kind:     by_value
      - .offset:         92
        .size:           4
        .value_kind:     by_value
      - .offset:         96
        .size:           4
        .value_kind:     by_value
      - .offset:         100
        .size:           4
        .value_kind:     by_value
      - .offset:         104
        .size:           4
        .value_kind:     by_value
      - .offset:         108
        .size:           4
        .value_kind:     by_value
      - .offset:         112
        .size:           4
        .value_kind:     by_value
      - .offset:         116
        .size:           4
        .value_kind:     by_value
      - .offset:         120
        .size:           4
        .value_kind:     by_value
      - .offset:         124
        .size:           4
        .value_kind:     by_value
      - .offset:         128
        .size:           4
        .value_kind:     by_value
      - .offset:         132
        .size:           4
        .value_kind:     by_value
      - .offset:         136
        .size:           4
        .value_kind:     by_value
      - .offset:         144
        .size:           4
        .value_kind:     hidden_block_count_x
      - .offset:         148
        .size:           4
        .value_kind:     hidden_block_count_y
      - .offset:         152
        .size:           4
        .value_kind:     hidden_block_count_z
      - .offset:         156
        .size:           2
        .value_kind:     hidden_group_size_x
      - .offset:         158
        .size:           2
        .value_kind:     hidden_group_size_y
      - .offset:         160
        .size:           2
        .value_kind:     hidden_group_size_z
      - .offset:         162
        .size:           2
        .value_kind:     hidden_remainder_x
      - .offset:         164
        .size:           2
        .value_kind:     hidden_remainder_y
      - .offset:         166
        .size:           2
        .value_kind:     hidden_remainder_z
      - .offset:         184
        .size:           8
        .value_kind:     hidden_global_offset_x
      - .offset:         192
        .size:           8
        .value_kind:     hidden_global_offset_y
      - .offset:         200
        .size:           8
        .value_kind:     hidden_global_offset_z
      - .offset:         208
        .size:           2
        .value_kind:     hidden_grid_dims
    .group_segment_fixed_size: 0
    .kernarg_segment_align: 8
    .kernarg_segment_size: 400
    .language:       OpenCL C
    .language_version:
      - 2
      - 0
    .max_flat_workgroup_size: 1024
    .name:           _ZN5aiter35fused_qk_rmsnorm_group_quant_kernelIDF16_DB8_Li64ELi8ELi8ELb1ELb1ELb0ELb1ELb0ELb0EEEvPT0_PvPT_S6_S6_PKS5_S8_S8_S8_S8_ffiiiiiiiiiiiii
    .private_segment_fixed_size: 0
    .sgpr_count:     36
    .sgpr_spill_count: 0
    .symbol:         _ZN5aiter35fused_qk_rmsnorm_group_quant_kernelIDF16_DB8_Li64ELi8ELi8ELb1ELb1ELb0ELb1ELb0ELb0EEEvPT0_PvPT_S6_S6_PKS5_S8_S8_S8_S8_ffiiiiiiiiiiiii.kd
    .uniform_work_group_size: 1
    .uses_dynamic_stack: false
    .vgpr_count:     27
    .vgpr_spill_count: 0
    .wavefront_size: 64
  - .agpr_count:     0
    .args:
      - .actual_access:  read_only
        .address_space:  global
        .offset:         0
        .size:           8
        .value_kind:     global_buffer
      - .actual_access:  read_only
        .address_space:  global
        .offset:         8
        .size:           8
        .value_kind:     global_buffer
      - .actual_access:  write_only
        .address_space:  global
        .offset:         16
        .size:           8
        .value_kind:     global_buffer
      - .actual_access:  write_only
        .address_space:  global
        .offset:         24
        .size:           8
        .value_kind:     global_buffer
      - .actual_access:  write_only
        .address_space:  global
        .offset:         32
        .size:           8
        .value_kind:     global_buffer
      - .actual_access:  read_only
        .address_space:  global
        .offset:         40
        .size:           8
        .value_kind:     global_buffer
      - .actual_access:  read_only
        .address_space:  global
        .offset:         48
        .size:           8
        .value_kind:     global_buffer
      - .actual_access:  read_only
        .address_space:  global
        .offset:         56
        .size:           8
        .value_kind:     global_buffer
      - .actual_access:  read_only
        .address_space:  global
        .offset:         64
        .size:           8
        .value_kind:     global_buffer
      - .actual_access:  read_only
        .address_space:  global
        .offset:         72
        .size:           8
        .value_kind:     global_buffer
      - .offset:         80
        .size:           4
        .value_kind:     by_value
      - .offset:         84
        .size:           4
        .value_kind:     by_value
      - .offset:         88
        .size:           4
        .value_kind:     by_value
      - .offset:         92
        .size:           4
        .value_kind:     by_value
      - .offset:         96
        .size:           4
        .value_kind:     by_value
      - .offset:         100
        .size:           4
        .value_kind:     by_value
      - .offset:         104
        .size:           4
        .value_kind:     by_value
      - .offset:         108
        .size:           4
        .value_kind:     by_value
      - .offset:         112
        .size:           4
        .value_kind:     by_value
      - .offset:         116
        .size:           4
        .value_kind:     by_value
      - .offset:         120
        .size:           4
        .value_kind:     by_value
      - .offset:         124
        .size:           4
        .value_kind:     by_value
      - .offset:         128
        .size:           4
        .value_kind:     by_value
      - .offset:         132
        .size:           4
        .value_kind:     by_value
      - .offset:         136
        .size:           4
        .value_kind:     by_value
      - .offset:         144
        .size:           4
        .value_kind:     hidden_block_count_x
      - .offset:         148
        .size:           4
        .value_kind:     hidden_block_count_y
      - .offset:         152
        .size:           4
        .value_kind:     hidden_block_count_z
      - .offset:         156
        .size:           2
        .value_kind:     hidden_group_size_x
      - .offset:         158
        .size:           2
        .value_kind:     hidden_group_size_y
      - .offset:         160
        .size:           2
        .value_kind:     hidden_group_size_z
      - .offset:         162
        .size:           2
        .value_kind:     hidden_remainder_x
      - .offset:         164
        .size:           2
        .value_kind:     hidden_remainder_y
      - .offset:         166
        .size:           2
        .value_kind:     hidden_remainder_z
      - .offset:         184
        .size:           8
        .value_kind:     hidden_global_offset_x
      - .offset:         192
        .size:           8
        .value_kind:     hidden_global_offset_y
      - .offset:         200
        .size:           8
        .value_kind:     hidden_global_offset_z
      - .offset:         208
        .size:           2
        .value_kind:     hidden_grid_dims
    .group_segment_fixed_size: 0
    .kernarg_segment_align: 8
    .kernarg_segment_size: 400
    .language:       OpenCL C
    .language_version:
      - 2
      - 0
    .max_flat_workgroup_size: 1024
    .name:           _ZN5aiter35fused_qk_rmsnorm_group_quant_kernelItDB8_Li64ELi8ELi8ELb1ELb1ELb0ELb1ELb0ELb0EEEvPT0_PvPT_S6_S6_PKS5_S8_S8_S8_S8_ffiiiiiiiiiiiii
    .private_segment_fixed_size: 0
    .sgpr_count:     48
    .sgpr_spill_count: 0
    .symbol:         _ZN5aiter35fused_qk_rmsnorm_group_quant_kernelItDB8_Li64ELi8ELi8ELb1ELb1ELb0ELb1ELb0ELb0EEEvPT0_PvPT_S6_S6_PKS5_S8_S8_S8_S8_ffiiiiiiiiiiiii.kd
    .uniform_work_group_size: 1
    .uses_dynamic_stack: false
    .vgpr_count:     27
    .vgpr_spill_count: 0
    .wavefront_size: 64
  - .agpr_count:     0
    .args:
      - .actual_access:  read_only
        .address_space:  global
        .offset:         0
        .size:           8
        .value_kind:     global_buffer
      - .actual_access:  read_only
        .address_space:  global
        .offset:         8
        .size:           8
        .value_kind:     global_buffer
      - .actual_access:  write_only
        .address_space:  global
        .offset:         16
        .size:           8
        .value_kind:     global_buffer
      - .actual_access:  write_only
        .address_space:  global
        .offset:         24
        .size:           8
        .value_kind:     global_buffer
      - .actual_access:  write_only
        .address_space:  global
        .offset:         32
        .size:           8
        .value_kind:     global_buffer
      - .actual_access:  read_only
        .address_space:  global
        .offset:         40
        .size:           8
        .value_kind:     global_buffer
      - .actual_access:  read_only
        .address_space:  global
        .offset:         48
        .size:           8
        .value_kind:     global_buffer
      - .actual_access:  read_only
        .address_space:  global
        .offset:         56
        .size:           8
        .value_kind:     global_buffer
      - .actual_access:  read_only
        .address_space:  global
        .offset:         64
        .size:           8
        .value_kind:     global_buffer
      - .actual_access:  read_only
        .address_space:  global
        .offset:         72
        .size:           8
        .value_kind:     global_buffer
      - .offset:         80
        .size:           4
        .value_kind:     by_value
      - .offset:         84
        .size:           4
        .value_kind:     by_value
      - .offset:         88
        .size:           4
        .value_kind:     by_value
      - .offset:         92
        .size:           4
        .value_kind:     by_value
      - .offset:         96
        .size:           4
        .value_kind:     by_value
      - .offset:         100
        .size:           4
        .value_kind:     by_value
      - .offset:         104
        .size:           4
        .value_kind:     by_value
      - .offset:         108
        .size:           4
        .value_kind:     by_value
      - .offset:         112
        .size:           4
        .value_kind:     by_value
      - .offset:         116
        .size:           4
        .value_kind:     by_value
      - .offset:         120
        .size:           4
        .value_kind:     by_value
      - .offset:         124
        .size:           4
        .value_kind:     by_value
      - .offset:         128
        .size:           4
        .value_kind:     by_value
      - .offset:         132
        .size:           4
        .value_kind:     by_value
      - .offset:         136
        .size:           4
        .value_kind:     by_value
      - .offset:         144
        .size:           4
        .value_kind:     hidden_block_count_x
      - .offset:         148
        .size:           4
        .value_kind:     hidden_block_count_y
      - .offset:         152
        .size:           4
        .value_kind:     hidden_block_count_z
      - .offset:         156
        .size:           2
        .value_kind:     hidden_group_size_x
      - .offset:         158
        .size:           2
        .value_kind:     hidden_group_size_y
      - .offset:         160
        .size:           2
        .value_kind:     hidden_group_size_z
      - .offset:         162
        .size:           2
        .value_kind:     hidden_remainder_x
      - .offset:         164
        .size:           2
        .value_kind:     hidden_remainder_y
      - .offset:         166
        .size:           2
        .value_kind:     hidden_remainder_z
      - .offset:         184
        .size:           8
        .value_kind:     hidden_global_offset_x
      - .offset:         192
        .size:           8
        .value_kind:     hidden_global_offset_y
      - .offset:         200
        .size:           8
        .value_kind:     hidden_global_offset_z
      - .offset:         208
        .size:           2
        .value_kind:     hidden_grid_dims
    .group_segment_fixed_size: 0
    .kernarg_segment_align: 8
    .kernarg_segment_size: 400
    .language:       OpenCL C
    .language_version:
      - 2
      - 0
    .max_flat_workgroup_size: 1024
    .name:           _ZN5aiter35fused_qk_rmsnorm_group_quant_kernelIDF16_N4opus5fp4_tELi64ELi8ELi8ELb1ELb1ELb0ELb1ELb0ELb0EEEvPT0_PvPT_S7_S7_PKS6_S9_S9_S9_S9_ffiiiiiiiiiiiii
    .private_segment_fixed_size: 0
    .sgpr_count:     36
    .sgpr_spill_count: 0
    .symbol:         _ZN5aiter35fused_qk_rmsnorm_group_quant_kernelIDF16_N4opus5fp4_tELi64ELi8ELi8ELb1ELb1ELb0ELb1ELb0ELb0EEEvPT0_PvPT_S7_S7_PKS6_S9_S9_S9_S9_ffiiiiiiiiiiiii.kd
    .uniform_work_group_size: 1
    .uses_dynamic_stack: false
    .vgpr_count:     27
    .vgpr_spill_count: 0
    .wavefront_size: 64
  - .agpr_count:     0
    .args:
      - .actual_access:  read_only
        .address_space:  global
        .offset:         0
        .size:           8
        .value_kind:     global_buffer
      - .actual_access:  read_only
        .address_space:  global
        .offset:         8
        .size:           8
        .value_kind:     global_buffer
      - .actual_access:  write_only
        .address_space:  global
        .offset:         16
        .size:           8
        .value_kind:     global_buffer
      - .actual_access:  write_only
        .address_space:  global
        .offset:         24
        .size:           8
        .value_kind:     global_buffer
      - .actual_access:  write_only
        .address_space:  global
        .offset:         32
        .size:           8
        .value_kind:     global_buffer
      - .actual_access:  read_only
        .address_space:  global
        .offset:         40
        .size:           8
        .value_kind:     global_buffer
      - .actual_access:  read_only
        .address_space:  global
        .offset:         48
        .size:           8
        .value_kind:     global_buffer
      - .actual_access:  read_only
        .address_space:  global
        .offset:         56
        .size:           8
        .value_kind:     global_buffer
      - .actual_access:  read_only
        .address_space:  global
        .offset:         64
        .size:           8
        .value_kind:     global_buffer
      - .actual_access:  read_only
        .address_space:  global
        .offset:         72
        .size:           8
        .value_kind:     global_buffer
      - .offset:         80
        .size:           4
        .value_kind:     by_value
      - .offset:         84
        .size:           4
        .value_kind:     by_value
      - .offset:         88
        .size:           4
        .value_kind:     by_value
      - .offset:         92
        .size:           4
        .value_kind:     by_value
      - .offset:         96
        .size:           4
        .value_kind:     by_value
      - .offset:         100
        .size:           4
        .value_kind:     by_value
      - .offset:         104
        .size:           4
        .value_kind:     by_value
      - .offset:         108
        .size:           4
        .value_kind:     by_value
      - .offset:         112
        .size:           4
        .value_kind:     by_value
      - .offset:         116
        .size:           4
        .value_kind:     by_value
      - .offset:         120
        .size:           4
        .value_kind:     by_value
      - .offset:         124
        .size:           4
        .value_kind:     by_value
      - .offset:         128
        .size:           4
        .value_kind:     by_value
      - .offset:         132
        .size:           4
        .value_kind:     by_value
      - .offset:         136
        .size:           4
        .value_kind:     by_value
      - .offset:         144
        .size:           4
        .value_kind:     hidden_block_count_x
      - .offset:         148
        .size:           4
        .value_kind:     hidden_block_count_y
      - .offset:         152
        .size:           4
        .value_kind:     hidden_block_count_z
      - .offset:         156
        .size:           2
        .value_kind:     hidden_group_size_x
      - .offset:         158
        .size:           2
        .value_kind:     hidden_group_size_y
      - .offset:         160
        .size:           2
        .value_kind:     hidden_group_size_z
      - .offset:         162
        .size:           2
        .value_kind:     hidden_remainder_x
      - .offset:         164
        .size:           2
        .value_kind:     hidden_remainder_y
      - .offset:         166
        .size:           2
        .value_kind:     hidden_remainder_z
      - .offset:         184
        .size:           8
        .value_kind:     hidden_global_offset_x
      - .offset:         192
        .size:           8
        .value_kind:     hidden_global_offset_y
      - .offset:         200
        .size:           8
        .value_kind:     hidden_global_offset_z
      - .offset:         208
        .size:           2
        .value_kind:     hidden_grid_dims
    .group_segment_fixed_size: 0
    .kernarg_segment_align: 8
    .kernarg_segment_size: 400
    .language:       OpenCL C
    .language_version:
      - 2
      - 0
    .max_flat_workgroup_size: 1024
    .name:           _ZN5aiter35fused_qk_rmsnorm_group_quant_kernelItN4opus5fp4_tELi64ELi8ELi8ELb1ELb1ELb0ELb1ELb0ELb0EEEvPT0_PvPT_S7_S7_PKS6_S9_S9_S9_S9_ffiiiiiiiiiiiii
    .private_segment_fixed_size: 0
    .sgpr_count:     48
    .sgpr_spill_count: 0
    .symbol:         _ZN5aiter35fused_qk_rmsnorm_group_quant_kernelItN4opus5fp4_tELi64ELi8ELi8ELb1ELb1ELb0ELb1ELb0ELb0EEEvPT0_PvPT_S7_S7_PKS6_S9_S9_S9_S9_ffiiiiiiiiiiiii.kd
    .uniform_work_group_size: 1
    .uses_dynamic_stack: false
    .vgpr_count:     27
    .vgpr_spill_count: 0
    .wavefront_size: 64
  - .agpr_count:     0
    .args:
      - .actual_access:  read_only
        .address_space:  global
        .offset:         0
        .size:           8
        .value_kind:     global_buffer
      - .actual_access:  read_only
        .address_space:  global
        .offset:         8
        .size:           8
        .value_kind:     global_buffer
      - .actual_access:  write_only
        .address_space:  global
        .offset:         16
        .size:           8
        .value_kind:     global_buffer
      - .actual_access:  write_only
        .address_space:  global
        .offset:         24
        .size:           8
        .value_kind:     global_buffer
      - .actual_access:  read_only
        .address_space:  global
        .offset:         32
        .size:           8
        .value_kind:     global_buffer
      - .actual_access:  read_only
        .address_space:  global
        .offset:         40
        .size:           8
        .value_kind:     global_buffer
      - .actual_access:  read_only
        .address_space:  global
        .offset:         48
        .size:           8
        .value_kind:     global_buffer
      - .actual_access:  read_only
        .address_space:  global
        .offset:         56
        .size:           8
        .value_kind:     global_buffer
      - .actual_access:  read_only
        .address_space:  global
        .offset:         64
        .size:           8
        .value_kind:     global_buffer
      - .actual_access:  read_only
        .address_space:  global
        .offset:         72
        .size:           8
        .value_kind:     global_buffer
      - .offset:         80
        .size:           4
        .value_kind:     by_value
      - .offset:         84
        .size:           4
        .value_kind:     by_value
      - .offset:         88
        .size:           4
        .value_kind:     by_value
      - .offset:         92
        .size:           4
        .value_kind:     by_value
      - .offset:         96
        .size:           4
        .value_kind:     by_value
      - .offset:         100
        .size:           4
        .value_kind:     by_value
      - .offset:         104
        .size:           4
        .value_kind:     by_value
      - .offset:         108
        .size:           4
        .value_kind:     by_value
      - .offset:         112
        .size:           4
        .value_kind:     by_value
      - .offset:         116
        .size:           4
        .value_kind:     by_value
      - .offset:         120
        .size:           4
        .value_kind:     by_value
      - .offset:         124
        .size:           4
        .value_kind:     by_value
      - .offset:         128
        .size:           4
        .value_kind:     by_value
      - .offset:         132
        .size:           4
        .value_kind:     by_value
      - .offset:         136
        .size:           4
        .value_kind:     by_value
      - .offset:         144
        .size:           4
        .value_kind:     hidden_block_count_x
      - .offset:         148
        .size:           4
        .value_kind:     hidden_block_count_y
      - .offset:         152
        .size:           4
        .value_kind:     hidden_block_count_z
      - .offset:         156
        .size:           2
        .value_kind:     hidden_group_size_x
      - .offset:         158
        .size:           2
        .value_kind:     hidden_group_size_y
      - .offset:         160
        .size:           2
        .value_kind:     hidden_group_size_z
      - .offset:         162
        .size:           2
        .value_kind:     hidden_remainder_x
      - .offset:         164
        .size:           2
        .value_kind:     hidden_remainder_y
      - .offset:         166
        .size:           2
        .value_kind:     hidden_remainder_z
      - .offset:         184
        .size:           8
        .value_kind:     hidden_global_offset_x
      - .offset:         192
        .size:           8
        .value_kind:     hidden_global_offset_y
      - .offset:         200
        .size:           8
        .value_kind:     hidden_global_offset_z
      - .offset:         208
        .size:           2
        .value_kind:     hidden_grid_dims
    .group_segment_fixed_size: 0
    .kernarg_segment_align: 8
    .kernarg_segment_size: 400
    .language:       OpenCL C
    .language_version:
      - 2
      - 0
    .max_flat_workgroup_size: 1024
    .name:           _ZN5aiter35fused_qk_rmsnorm_group_quant_kernelIDF16_DB8_Li64ELi8ELi8ELb0ELb1ELb1ELb1ELb0ELb0EEEvPT0_PvPT_S6_S6_PKS5_S8_S8_S8_S8_ffiiiiiiiiiiiii
    .private_segment_fixed_size: 0
    .sgpr_count:     36
    .sgpr_spill_count: 0
    .symbol:         _ZN5aiter35fused_qk_rmsnorm_group_quant_kernelIDF16_DB8_Li64ELi8ELi8ELb0ELb1ELb1ELb1ELb0ELb0EEEvPT0_PvPT_S6_S6_PKS5_S8_S8_S8_S8_ffiiiiiiiiiiiii.kd
    .uniform_work_group_size: 1
    .uses_dynamic_stack: false
    .vgpr_count:     23
    .vgpr_spill_count: 0
    .wavefront_size: 64
  - .agpr_count:     0
    .args:
      - .actual_access:  read_only
        .address_space:  global
        .offset:         0
        .size:           8
        .value_kind:     global_buffer
      - .actual_access:  read_only
        .address_space:  global
        .offset:         8
        .size:           8
        .value_kind:     global_buffer
      - .actual_access:  write_only
        .address_space:  global
        .offset:         16
        .size:           8
        .value_kind:     global_buffer
      - .actual_access:  write_only
        .address_space:  global
        .offset:         24
        .size:           8
        .value_kind:     global_buffer
      - .actual_access:  read_only
        .address_space:  global
        .offset:         32
        .size:           8
        .value_kind:     global_buffer
      - .actual_access:  read_only
        .address_space:  global
        .offset:         40
        .size:           8
        .value_kind:     global_buffer
      - .actual_access:  read_only
        .address_space:  global
        .offset:         48
        .size:           8
        .value_kind:     global_buffer
      - .actual_access:  read_only
        .address_space:  global
        .offset:         56
        .size:           8
        .value_kind:     global_buffer
      - .actual_access:  read_only
        .address_space:  global
        .offset:         64
        .size:           8
        .value_kind:     global_buffer
      - .actual_access:  read_only
        .address_space:  global
        .offset:         72
        .size:           8
        .value_kind:     global_buffer
      - .offset:         80
        .size:           4
        .value_kind:     by_value
      - .offset:         84
        .size:           4
        .value_kind:     by_value
      - .offset:         88
        .size:           4
        .value_kind:     by_value
      - .offset:         92
        .size:           4
        .value_kind:     by_value
      - .offset:         96
        .size:           4
        .value_kind:     by_value
      - .offset:         100
        .size:           4
        .value_kind:     by_value
      - .offset:         104
        .size:           4
        .value_kind:     by_value
      - .offset:         108
        .size:           4
        .value_kind:     by_value
      - .offset:         112
        .size:           4
        .value_kind:     by_value
      - .offset:         116
        .size:           4
        .value_kind:     by_value
      - .offset:         120
        .size:           4
        .value_kind:     by_value
      - .offset:         124
        .size:           4
        .value_kind:     by_value
      - .offset:         128
        .size:           4
        .value_kind:     by_value
      - .offset:         132
        .size:           4
        .value_kind:     by_value
      - .offset:         136
        .size:           4
        .value_kind:     by_value
      - .offset:         144
        .size:           4
        .value_kind:     hidden_block_count_x
      - .offset:         148
        .size:           4
        .value_kind:     hidden_block_count_y
      - .offset:         152
        .size:           4
        .value_kind:     hidden_block_count_z
      - .offset:         156
        .size:           2
        .value_kind:     hidden_group_size_x
      - .offset:         158
        .size:           2
        .value_kind:     hidden_group_size_y
      - .offset:         160
        .size:           2
        .value_kind:     hidden_group_size_z
      - .offset:         162
        .size:           2
        .value_kind:     hidden_remainder_x
      - .offset:         164
        .size:           2
        .value_kind:     hidden_remainder_y
      - .offset:         166
        .size:           2
        .value_kind:     hidden_remainder_z
      - .offset:         184
        .size:           8
        .value_kind:     hidden_global_offset_x
      - .offset:         192
        .size:           8
        .value_kind:     hidden_global_offset_y
      - .offset:         200
        .size:           8
        .value_kind:     hidden_global_offset_z
      - .offset:         208
        .size:           2
        .value_kind:     hidden_grid_dims
    .group_segment_fixed_size: 0
    .kernarg_segment_align: 8
    .kernarg_segment_size: 400
    .language:       OpenCL C
    .language_version:
      - 2
      - 0
    .max_flat_workgroup_size: 1024
    .name:           _ZN5aiter35fused_qk_rmsnorm_group_quant_kernelItDB8_Li64ELi8ELi8ELb0ELb1ELb1ELb1ELb0ELb0EEEvPT0_PvPT_S6_S6_PKS5_S8_S8_S8_S8_ffiiiiiiiiiiiii
    .private_segment_fixed_size: 0
    .sgpr_count:     36
    .sgpr_spill_count: 0
    .symbol:         _ZN5aiter35fused_qk_rmsnorm_group_quant_kernelItDB8_Li64ELi8ELi8ELb0ELb1ELb1ELb1ELb0ELb0EEEvPT0_PvPT_S6_S6_PKS5_S8_S8_S8_S8_ffiiiiiiiiiiiii.kd
    .uniform_work_group_size: 1
    .uses_dynamic_stack: false
    .vgpr_count:     23
    .vgpr_spill_count: 0
    .wavefront_size: 64
  - .agpr_count:     0
    .args:
      - .actual_access:  read_only
        .address_space:  global
        .offset:         0
        .size:           8
        .value_kind:     global_buffer
      - .actual_access:  read_only
        .address_space:  global
        .offset:         8
        .size:           8
        .value_kind:     global_buffer
      - .actual_access:  write_only
        .address_space:  global
        .offset:         16
        .size:           8
        .value_kind:     global_buffer
      - .actual_access:  write_only
        .address_space:  global
        .offset:         24
        .size:           8
        .value_kind:     global_buffer
      - .actual_access:  read_only
        .address_space:  global
        .offset:         32
        .size:           8
        .value_kind:     global_buffer
      - .actual_access:  read_only
        .address_space:  global
        .offset:         40
        .size:           8
        .value_kind:     global_buffer
      - .actual_access:  read_only
        .address_space:  global
        .offset:         48
        .size:           8
        .value_kind:     global_buffer
      - .actual_access:  read_only
        .address_space:  global
        .offset:         56
        .size:           8
        .value_kind:     global_buffer
      - .actual_access:  read_only
        .address_space:  global
        .offset:         64
        .size:           8
        .value_kind:     global_buffer
      - .actual_access:  read_only
        .address_space:  global
        .offset:         72
        .size:           8
        .value_kind:     global_buffer
      - .offset:         80
        .size:           4
        .value_kind:     by_value
      - .offset:         84
        .size:           4
        .value_kind:     by_value
      - .offset:         88
        .size:           4
        .value_kind:     by_value
      - .offset:         92
        .size:           4
        .value_kind:     by_value
      - .offset:         96
        .size:           4
        .value_kind:     by_value
      - .offset:         100
        .size:           4
        .value_kind:     by_value
      - .offset:         104
        .size:           4
        .value_kind:     by_value
      - .offset:         108
        .size:           4
        .value_kind:     by_value
      - .offset:         112
        .size:           4
        .value_kind:     by_value
      - .offset:         116
        .size:           4
        .value_kind:     by_value
      - .offset:         120
        .size:           4
        .value_kind:     by_value
      - .offset:         124
        .size:           4
        .value_kind:     by_value
      - .offset:         128
        .size:           4
        .value_kind:     by_value
      - .offset:         132
        .size:           4
        .value_kind:     by_value
      - .offset:         136
        .size:           4
        .value_kind:     by_value
      - .offset:         144
        .size:           4
        .value_kind:     hidden_block_count_x
      - .offset:         148
        .size:           4
        .value_kind:     hidden_block_count_y
      - .offset:         152
        .size:           4
        .value_kind:     hidden_block_count_z
      - .offset:         156
        .size:           2
        .value_kind:     hidden_group_size_x
      - .offset:         158
        .size:           2
        .value_kind:     hidden_group_size_y
      - .offset:         160
        .size:           2
        .value_kind:     hidden_group_size_z
      - .offset:         162
        .size:           2
        .value_kind:     hidden_remainder_x
      - .offset:         164
        .size:           2
        .value_kind:     hidden_remainder_y
      - .offset:         166
        .size:           2
        .value_kind:     hidden_remainder_z
      - .offset:         184
        .size:           8
        .value_kind:     hidden_global_offset_x
      - .offset:         192
        .size:           8
        .value_kind:     hidden_global_offset_y
      - .offset:         200
        .size:           8
        .value_kind:     hidden_global_offset_z
      - .offset:         208
        .size:           2
        .value_kind:     hidden_grid_dims
    .group_segment_fixed_size: 0
    .kernarg_segment_align: 8
    .kernarg_segment_size: 400
    .language:       OpenCL C
    .language_version:
      - 2
      - 0
    .max_flat_workgroup_size: 1024
    .name:           _ZN5aiter35fused_qk_rmsnorm_group_quant_kernelIDF16_N4opus5fp4_tELi64ELi8ELi8ELb0ELb1ELb1ELb1ELb0ELb0EEEvPT0_PvPT_S7_S7_PKS6_S9_S9_S9_S9_ffiiiiiiiiiiiii
    .private_segment_fixed_size: 0
    .sgpr_count:     36
    .sgpr_spill_count: 0
    .symbol:         _ZN5aiter35fused_qk_rmsnorm_group_quant_kernelIDF16_N4opus5fp4_tELi64ELi8ELi8ELb0ELb1ELb1ELb1ELb0ELb0EEEvPT0_PvPT_S7_S7_PKS6_S9_S9_S9_S9_ffiiiiiiiiiiiii.kd
    .uniform_work_group_size: 1
    .uses_dynamic_stack: false
    .vgpr_count:     23
    .vgpr_spill_count: 0
    .wavefront_size: 64
  - .agpr_count:     0
    .args:
      - .actual_access:  read_only
        .address_space:  global
        .offset:         0
        .size:           8
        .value_kind:     global_buffer
      - .actual_access:  read_only
        .address_space:  global
        .offset:         8
        .size:           8
        .value_kind:     global_buffer
      - .actual_access:  write_only
        .address_space:  global
        .offset:         16
        .size:           8
        .value_kind:     global_buffer
      - .actual_access:  write_only
        .address_space:  global
        .offset:         24
        .size:           8
        .value_kind:     global_buffer
      - .actual_access:  read_only
        .address_space:  global
        .offset:         32
        .size:           8
        .value_kind:     global_buffer
      - .actual_access:  read_only
        .address_space:  global
        .offset:         40
        .size:           8
        .value_kind:     global_buffer
      - .actual_access:  read_only
        .address_space:  global
        .offset:         48
        .size:           8
        .value_kind:     global_buffer
      - .actual_access:  read_only
        .address_space:  global
        .offset:         56
        .size:           8
        .value_kind:     global_buffer
      - .actual_access:  read_only
        .address_space:  global
        .offset:         64
        .size:           8
        .value_kind:     global_buffer
      - .actual_access:  read_only
        .address_space:  global
        .offset:         72
        .size:           8
        .value_kind:     global_buffer
      - .offset:         80
        .size:           4
        .value_kind:     by_value
      - .offset:         84
        .size:           4
        .value_kind:     by_value
      - .offset:         88
        .size:           4
        .value_kind:     by_value
      - .offset:         92
        .size:           4
        .value_kind:     by_value
      - .offset:         96
        .size:           4
        .value_kind:     by_value
      - .offset:         100
        .size:           4
        .value_kind:     by_value
      - .offset:         104
        .size:           4
        .value_kind:     by_value
      - .offset:         108
        .size:           4
        .value_kind:     by_value
      - .offset:         112
        .size:           4
        .value_kind:     by_value
      - .offset:         116
        .size:           4
        .value_kind:     by_value
      - .offset:         120
        .size:           4
        .value_kind:     by_value
      - .offset:         124
        .size:           4
        .value_kind:     by_value
      - .offset:         128
        .size:           4
        .value_kind:     by_value
      - .offset:         132
        .size:           4
        .value_kind:     by_value
      - .offset:         136
        .size:           4
        .value_kind:     by_value
      - .offset:         144
        .size:           4
        .value_kind:     hidden_block_count_x
      - .offset:         148
        .size:           4
        .value_kind:     hidden_block_count_y
      - .offset:         152
        .size:           4
        .value_kind:     hidden_block_count_z
      - .offset:         156
        .size:           2
        .value_kind:     hidden_group_size_x
      - .offset:         158
        .size:           2
        .value_kind:     hidden_group_size_y
      - .offset:         160
        .size:           2
        .value_kind:     hidden_group_size_z
      - .offset:         162
        .size:           2
        .value_kind:     hidden_remainder_x
      - .offset:         164
        .size:           2
        .value_kind:     hidden_remainder_y
      - .offset:         166
        .size:           2
        .value_kind:     hidden_remainder_z
      - .offset:         184
        .size:           8
        .value_kind:     hidden_global_offset_x
      - .offset:         192
        .size:           8
        .value_kind:     hidden_global_offset_y
      - .offset:         200
        .size:           8
        .value_kind:     hidden_global_offset_z
      - .offset:         208
        .size:           2
        .value_kind:     hidden_grid_dims
    .group_segment_fixed_size: 0
    .kernarg_segment_align: 8
    .kernarg_segment_size: 400
    .language:       OpenCL C
    .language_version:
      - 2
      - 0
    .max_flat_workgroup_size: 1024
    .name:           _ZN5aiter35fused_qk_rmsnorm_group_quant_kernelItN4opus5fp4_tELi64ELi8ELi8ELb0ELb1ELb1ELb1ELb0ELb0EEEvPT0_PvPT_S7_S7_PKS6_S9_S9_S9_S9_ffiiiiiiiiiiiii
    .private_segment_fixed_size: 0
    .sgpr_count:     36
    .sgpr_spill_count: 0
    .symbol:         _ZN5aiter35fused_qk_rmsnorm_group_quant_kernelItN4opus5fp4_tELi64ELi8ELi8ELb0ELb1ELb1ELb1ELb0ELb0EEEvPT0_PvPT_S7_S7_PKS6_S9_S9_S9_S9_ffiiiiiiiiiiiii.kd
    .uniform_work_group_size: 1
    .uses_dynamic_stack: false
    .vgpr_count:     23
    .vgpr_spill_count: 0
    .wavefront_size: 64
  - .agpr_count:     0
    .args:
      - .actual_access:  read_only
        .address_space:  global
        .offset:         0
        .size:           8
        .value_kind:     global_buffer
      - .actual_access:  read_only
        .address_space:  global
        .offset:         8
        .size:           8
        .value_kind:     global_buffer
      - .actual_access:  write_only
        .address_space:  global
        .offset:         16
        .size:           8
        .value_kind:     global_buffer
      - .actual_access:  write_only
        .address_space:  global
        .offset:         24
        .size:           8
        .value_kind:     global_buffer
      - .actual_access:  read_only
        .address_space:  global
        .offset:         32
        .size:           8
        .value_kind:     global_buffer
      - .actual_access:  read_only
        .address_space:  global
        .offset:         40
        .size:           8
        .value_kind:     global_buffer
      - .actual_access:  read_only
        .address_space:  global
        .offset:         48
        .size:           8
        .value_kind:     global_buffer
      - .actual_access:  read_only
        .address_space:  global
        .offset:         56
        .size:           8
        .value_kind:     global_buffer
      - .actual_access:  read_only
        .address_space:  global
        .offset:         64
        .size:           8
        .value_kind:     global_buffer
      - .actual_access:  read_only
        .address_space:  global
        .offset:         72
        .size:           8
        .value_kind:     global_buffer
      - .offset:         80
        .size:           4
        .value_kind:     by_value
      - .offset:         84
        .size:           4
        .value_kind:     by_value
      - .offset:         88
        .size:           4
        .value_kind:     by_value
      - .offset:         92
        .size:           4
        .value_kind:     by_value
      - .offset:         96
        .size:           4
        .value_kind:     by_value
      - .offset:         100
        .size:           4
        .value_kind:     by_value
      - .offset:         104
        .size:           4
        .value_kind:     by_value
      - .offset:         108
        .size:           4
        .value_kind:     by_value
      - .offset:         112
        .size:           4
        .value_kind:     by_value
      - .offset:         116
        .size:           4
        .value_kind:     by_value
      - .offset:         120
        .size:           4
        .value_kind:     by_value
      - .offset:         124
        .size:           4
        .value_kind:     by_value
      - .offset:         128
        .size:           4
        .value_kind:     by_value
      - .offset:         132
        .size:           4
        .value_kind:     by_value
      - .offset:         136
        .size:           4
        .value_kind:     by_value
      - .offset:         144
        .size:           4
        .value_kind:     hidden_block_count_x
      - .offset:         148
        .size:           4
        .value_kind:     hidden_block_count_y
      - .offset:         152
        .size:           4
        .value_kind:     hidden_block_count_z
      - .offset:         156
        .size:           2
        .value_kind:     hidden_group_size_x
      - .offset:         158
        .size:           2
        .value_kind:     hidden_group_size_y
      - .offset:         160
        .size:           2
        .value_kind:     hidden_group_size_z
      - .offset:         162
        .size:           2
        .value_kind:     hidden_remainder_x
      - .offset:         164
        .size:           2
        .value_kind:     hidden_remainder_y
      - .offset:         166
        .size:           2
        .value_kind:     hidden_remainder_z
      - .offset:         184
        .size:           8
        .value_kind:     hidden_global_offset_x
      - .offset:         192
        .size:           8
        .value_kind:     hidden_global_offset_y
      - .offset:         200
        .size:           8
        .value_kind:     hidden_global_offset_z
      - .offset:         208
        .size:           2
        .value_kind:     hidden_grid_dims
    .group_segment_fixed_size: 0
    .kernarg_segment_align: 8
    .kernarg_segment_size: 400
    .language:       OpenCL C
    .language_version:
      - 2
      - 0
    .max_flat_workgroup_size: 1024
    .name:           _ZN5aiter35fused_qk_rmsnorm_group_quant_kernelIDF16_DB8_Li64ELi8ELi8ELb0ELb1ELb0ELb1ELb0ELb0EEEvPT0_PvPT_S6_S6_PKS5_S8_S8_S8_S8_ffiiiiiiiiiiiii
    .private_segment_fixed_size: 0
    .sgpr_count:     36
    .sgpr_spill_count: 0
    .symbol:         _ZN5aiter35fused_qk_rmsnorm_group_quant_kernelIDF16_DB8_Li64ELi8ELi8ELb0ELb1ELb0ELb1ELb0ELb0EEEvPT0_PvPT_S6_S6_PKS5_S8_S8_S8_S8_ffiiiiiiiiiiiii.kd
    .uniform_work_group_size: 1
    .uses_dynamic_stack: false
    .vgpr_count:     23
    .vgpr_spill_count: 0
    .wavefront_size: 64
  - .agpr_count:     0
    .args:
      - .actual_access:  read_only
        .address_space:  global
        .offset:         0
        .size:           8
        .value_kind:     global_buffer
      - .actual_access:  read_only
        .address_space:  global
        .offset:         8
        .size:           8
        .value_kind:     global_buffer
      - .actual_access:  write_only
        .address_space:  global
        .offset:         16
        .size:           8
        .value_kind:     global_buffer
      - .actual_access:  write_only
        .address_space:  global
        .offset:         24
        .size:           8
        .value_kind:     global_buffer
      - .actual_access:  read_only
        .address_space:  global
        .offset:         32
        .size:           8
        .value_kind:     global_buffer
      - .actual_access:  read_only
        .address_space:  global
        .offset:         40
        .size:           8
        .value_kind:     global_buffer
      - .actual_access:  read_only
        .address_space:  global
        .offset:         48
        .size:           8
        .value_kind:     global_buffer
      - .actual_access:  read_only
        .address_space:  global
        .offset:         56
        .size:           8
        .value_kind:     global_buffer
      - .actual_access:  read_only
        .address_space:  global
        .offset:         64
        .size:           8
        .value_kind:     global_buffer
      - .actual_access:  read_only
        .address_space:  global
        .offset:         72
        .size:           8
        .value_kind:     global_buffer
      - .offset:         80
        .size:           4
        .value_kind:     by_value
      - .offset:         84
        .size:           4
        .value_kind:     by_value
      - .offset:         88
        .size:           4
        .value_kind:     by_value
      - .offset:         92
        .size:           4
        .value_kind:     by_value
      - .offset:         96
        .size:           4
        .value_kind:     by_value
      - .offset:         100
        .size:           4
        .value_kind:     by_value
      - .offset:         104
        .size:           4
        .value_kind:     by_value
      - .offset:         108
        .size:           4
        .value_kind:     by_value
      - .offset:         112
        .size:           4
        .value_kind:     by_value
      - .offset:         116
        .size:           4
        .value_kind:     by_value
      - .offset:         120
        .size:           4
        .value_kind:     by_value
      - .offset:         124
        .size:           4
        .value_kind:     by_value
      - .offset:         128
        .size:           4
        .value_kind:     by_value
      - .offset:         132
        .size:           4
        .value_kind:     by_value
      - .offset:         136
        .size:           4
        .value_kind:     by_value
      - .offset:         144
        .size:           4
        .value_kind:     hidden_block_count_x
      - .offset:         148
        .size:           4
        .value_kind:     hidden_block_count_y
      - .offset:         152
        .size:           4
        .value_kind:     hidden_block_count_z
      - .offset:         156
        .size:           2
        .value_kind:     hidden_group_size_x
      - .offset:         158
        .size:           2
        .value_kind:     hidden_group_size_y
      - .offset:         160
        .size:           2
        .value_kind:     hidden_group_size_z
      - .offset:         162
        .size:           2
        .value_kind:     hidden_remainder_x
      - .offset:         164
        .size:           2
        .value_kind:     hidden_remainder_y
      - .offset:         166
        .size:           2
        .value_kind:     hidden_remainder_z
      - .offset:         184
        .size:           8
        .value_kind:     hidden_global_offset_x
      - .offset:         192
        .size:           8
        .value_kind:     hidden_global_offset_y
      - .offset:         200
        .size:           8
        .value_kind:     hidden_global_offset_z
      - .offset:         208
        .size:           2
        .value_kind:     hidden_grid_dims
    .group_segment_fixed_size: 0
    .kernarg_segment_align: 8
    .kernarg_segment_size: 400
    .language:       OpenCL C
    .language_version:
      - 2
      - 0
    .max_flat_workgroup_size: 1024
    .name:           _ZN5aiter35fused_qk_rmsnorm_group_quant_kernelItDB8_Li64ELi8ELi8ELb0ELb1ELb0ELb1ELb0ELb0EEEvPT0_PvPT_S6_S6_PKS5_S8_S8_S8_S8_ffiiiiiiiiiiiii
    .private_segment_fixed_size: 0
    .sgpr_count:     36
    .sgpr_spill_count: 0
    .symbol:         _ZN5aiter35fused_qk_rmsnorm_group_quant_kernelItDB8_Li64ELi8ELi8ELb0ELb1ELb0ELb1ELb0ELb0EEEvPT0_PvPT_S6_S6_PKS5_S8_S8_S8_S8_ffiiiiiiiiiiiii.kd
    .uniform_work_group_size: 1
    .uses_dynamic_stack: false
    .vgpr_count:     23
    .vgpr_spill_count: 0
    .wavefront_size: 64
  - .agpr_count:     0
    .args:
      - .actual_access:  read_only
        .address_space:  global
        .offset:         0
        .size:           8
        .value_kind:     global_buffer
      - .actual_access:  read_only
        .address_space:  global
        .offset:         8
        .size:           8
        .value_kind:     global_buffer
      - .actual_access:  write_only
        .address_space:  global
        .offset:         16
        .size:           8
        .value_kind:     global_buffer
      - .actual_access:  write_only
        .address_space:  global
        .offset:         24
        .size:           8
        .value_kind:     global_buffer
      - .actual_access:  read_only
        .address_space:  global
        .offset:         32
        .size:           8
        .value_kind:     global_buffer
      - .actual_access:  read_only
        .address_space:  global
        .offset:         40
        .size:           8
        .value_kind:     global_buffer
      - .actual_access:  read_only
        .address_space:  global
        .offset:         48
        .size:           8
        .value_kind:     global_buffer
      - .actual_access:  read_only
        .address_space:  global
        .offset:         56
        .size:           8
        .value_kind:     global_buffer
      - .actual_access:  read_only
        .address_space:  global
        .offset:         64
        .size:           8
        .value_kind:     global_buffer
      - .actual_access:  read_only
        .address_space:  global
        .offset:         72
        .size:           8
        .value_kind:     global_buffer
      - .offset:         80
        .size:           4
        .value_kind:     by_value
      - .offset:         84
        .size:           4
        .value_kind:     by_value
      - .offset:         88
        .size:           4
        .value_kind:     by_value
      - .offset:         92
        .size:           4
        .value_kind:     by_value
      - .offset:         96
        .size:           4
        .value_kind:     by_value
      - .offset:         100
        .size:           4
        .value_kind:     by_value
      - .offset:         104
        .size:           4
        .value_kind:     by_value
      - .offset:         108
        .size:           4
        .value_kind:     by_value
      - .offset:         112
        .size:           4
        .value_kind:     by_value
      - .offset:         116
        .size:           4
        .value_kind:     by_value
      - .offset:         120
        .size:           4
        .value_kind:     by_value
      - .offset:         124
        .size:           4
        .value_kind:     by_value
      - .offset:         128
        .size:           4
        .value_kind:     by_value
      - .offset:         132
        .size:           4
        .value_kind:     by_value
      - .offset:         136
        .size:           4
        .value_kind:     by_value
      - .offset:         144
        .size:           4
        .value_kind:     hidden_block_count_x
      - .offset:         148
        .size:           4
        .value_kind:     hidden_block_count_y
      - .offset:         152
        .size:           4
        .value_kind:     hidden_block_count_z
      - .offset:         156
        .size:           2
        .value_kind:     hidden_group_size_x
      - .offset:         158
        .size:           2
        .value_kind:     hidden_group_size_y
      - .offset:         160
        .size:           2
        .value_kind:     hidden_group_size_z
      - .offset:         162
        .size:           2
        .value_kind:     hidden_remainder_x
      - .offset:         164
        .size:           2
        .value_kind:     hidden_remainder_y
      - .offset:         166
        .size:           2
        .value_kind:     hidden_remainder_z
      - .offset:         184
        .size:           8
        .value_kind:     hidden_global_offset_x
      - .offset:         192
        .size:           8
        .value_kind:     hidden_global_offset_y
      - .offset:         200
        .size:           8
        .value_kind:     hidden_global_offset_z
      - .offset:         208
        .size:           2
        .value_kind:     hidden_grid_dims
    .group_segment_fixed_size: 0
    .kernarg_segment_align: 8
    .kernarg_segment_size: 400
    .language:       OpenCL C
    .language_version:
      - 2
      - 0
    .max_flat_workgroup_size: 1024
    .name:           _ZN5aiter35fused_qk_rmsnorm_group_quant_kernelIDF16_N4opus5fp4_tELi64ELi8ELi8ELb0ELb1ELb0ELb1ELb0ELb0EEEvPT0_PvPT_S7_S7_PKS6_S9_S9_S9_S9_ffiiiiiiiiiiiii
    .private_segment_fixed_size: 0
    .sgpr_count:     36
    .sgpr_spill_count: 0
    .symbol:         _ZN5aiter35fused_qk_rmsnorm_group_quant_kernelIDF16_N4opus5fp4_tELi64ELi8ELi8ELb0ELb1ELb0ELb1ELb0ELb0EEEvPT0_PvPT_S7_S7_PKS6_S9_S9_S9_S9_ffiiiiiiiiiiiii.kd
    .uniform_work_group_size: 1
    .uses_dynamic_stack: false
    .vgpr_count:     23
    .vgpr_spill_count: 0
    .wavefront_size: 64
  - .agpr_count:     0
    .args:
      - .actual_access:  read_only
        .address_space:  global
        .offset:         0
        .size:           8
        .value_kind:     global_buffer
      - .actual_access:  read_only
        .address_space:  global
        .offset:         8
        .size:           8
        .value_kind:     global_buffer
      - .actual_access:  write_only
        .address_space:  global
        .offset:         16
        .size:           8
        .value_kind:     global_buffer
      - .actual_access:  write_only
        .address_space:  global
        .offset:         24
        .size:           8
        .value_kind:     global_buffer
      - .actual_access:  read_only
        .address_space:  global
        .offset:         32
        .size:           8
        .value_kind:     global_buffer
      - .actual_access:  read_only
        .address_space:  global
        .offset:         40
        .size:           8
        .value_kind:     global_buffer
      - .actual_access:  read_only
        .address_space:  global
        .offset:         48
        .size:           8
        .value_kind:     global_buffer
      - .actual_access:  read_only
        .address_space:  global
        .offset:         56
        .size:           8
        .value_kind:     global_buffer
      - .actual_access:  read_only
        .address_space:  global
        .offset:         64
        .size:           8
        .value_kind:     global_buffer
      - .actual_access:  read_only
        .address_space:  global
        .offset:         72
        .size:           8
        .value_kind:     global_buffer
      - .offset:         80
        .size:           4
        .value_kind:     by_value
      - .offset:         84
        .size:           4
        .value_kind:     by_value
      - .offset:         88
        .size:           4
        .value_kind:     by_value
      - .offset:         92
        .size:           4
        .value_kind:     by_value
      - .offset:         96
        .size:           4
        .value_kind:     by_value
      - .offset:         100
        .size:           4
        .value_kind:     by_value
      - .offset:         104
        .size:           4
        .value_kind:     by_value
      - .offset:         108
        .size:           4
        .value_kind:     by_value
      - .offset:         112
        .size:           4
        .value_kind:     by_value
      - .offset:         116
        .size:           4
        .value_kind:     by_value
      - .offset:         120
        .size:           4
        .value_kind:     by_value
      - .offset:         124
        .size:           4
        .value_kind:     by_value
      - .offset:         128
        .size:           4
        .value_kind:     by_value
      - .offset:         132
        .size:           4
        .value_kind:     by_value
      - .offset:         136
        .size:           4
        .value_kind:     by_value
      - .offset:         144
        .size:           4
        .value_kind:     hidden_block_count_x
      - .offset:         148
        .size:           4
        .value_kind:     hidden_block_count_y
      - .offset:         152
        .size:           4
        .value_kind:     hidden_block_count_z
      - .offset:         156
        .size:           2
        .value_kind:     hidden_group_size_x
      - .offset:         158
        .size:           2
        .value_kind:     hidden_group_size_y
      - .offset:         160
        .size:           2
        .value_kind:     hidden_group_size_z
      - .offset:         162
        .size:           2
        .value_kind:     hidden_remainder_x
      - .offset:         164
        .size:           2
        .value_kind:     hidden_remainder_y
      - .offset:         166
        .size:           2
        .value_kind:     hidden_remainder_z
      - .offset:         184
        .size:           8
        .value_kind:     hidden_global_offset_x
      - .offset:         192
        .size:           8
        .value_kind:     hidden_global_offset_y
      - .offset:         200
        .size:           8
        .value_kind:     hidden_global_offset_z
      - .offset:         208
        .size:           2
        .value_kind:     hidden_grid_dims
    .group_segment_fixed_size: 0
    .kernarg_segment_align: 8
    .kernarg_segment_size: 400
    .language:       OpenCL C
    .language_version:
      - 2
      - 0
    .max_flat_workgroup_size: 1024
    .name:           _ZN5aiter35fused_qk_rmsnorm_group_quant_kernelItN4opus5fp4_tELi64ELi8ELi8ELb0ELb1ELb0ELb1ELb0ELb0EEEvPT0_PvPT_S7_S7_PKS6_S9_S9_S9_S9_ffiiiiiiiiiiiii
    .private_segment_fixed_size: 0
    .sgpr_count:     36
    .sgpr_spill_count: 0
    .symbol:         _ZN5aiter35fused_qk_rmsnorm_group_quant_kernelItN4opus5fp4_tELi64ELi8ELi8ELb0ELb1ELb0ELb1ELb0ELb0EEEvPT0_PvPT_S7_S7_PKS6_S9_S9_S9_S9_ffiiiiiiiiiiiii.kd
    .uniform_work_group_size: 1
    .uses_dynamic_stack: false
    .vgpr_count:     23
    .vgpr_spill_count: 0
    .wavefront_size: 64
  - .agpr_count:     0
    .args:
      - .actual_access:  write_only
        .address_space:  global
        .offset:         0
        .size:           8
        .value_kind:     global_buffer
      - .actual_access:  write_only
        .address_space:  global
        .offset:         8
        .size:           8
        .value_kind:     global_buffer
      - .actual_access:  write_only
        .address_space:  global
        .offset:         16
        .size:           8
        .value_kind:     global_buffer
      - .actual_access:  write_only
        .address_space:  global
        .offset:         24
        .size:           8
        .value_kind:     global_buffer
      - .actual_access:  write_only
        .address_space:  global
        .offset:         32
        .size:           8
        .value_kind:     global_buffer
      - .actual_access:  read_only
        .address_space:  global
        .offset:         40
        .size:           8
        .value_kind:     global_buffer
      - .actual_access:  read_only
        .address_space:  global
        .offset:         48
        .size:           8
        .value_kind:     global_buffer
      - .actual_access:  read_only
        .address_space:  global
        .offset:         56
        .size:           8
        .value_kind:     global_buffer
      - .actual_access:  read_only
        .address_space:  global
        .offset:         64
        .size:           8
        .value_kind:     global_buffer
      - .actual_access:  read_only
        .address_space:  global
        .offset:         72
        .size:           8
        .value_kind:     global_buffer
      - .offset:         80
        .size:           4
        .value_kind:     by_value
      - .offset:         84
        .size:           4
        .value_kind:     by_value
      - .offset:         88
        .size:           4
        .value_kind:     by_value
      - .offset:         92
        .size:           4
        .value_kind:     by_value
      - .offset:         96
        .size:           4
        .value_kind:     by_value
      - .offset:         100
        .size:           4
        .value_kind:     by_value
      - .offset:         104
        .size:           4
        .value_kind:     by_value
      - .offset:         108
        .size:           4
        .value_kind:     by_value
      - .offset:         112
        .size:           4
        .value_kind:     by_value
      - .offset:         116
        .size:           4
        .value_kind:     by_value
      - .offset:         120
        .size:           4
        .value_kind:     by_value
      - .offset:         124
        .size:           4
        .value_kind:     by_value
      - .offset:         128
        .size:           4
        .value_kind:     by_value
      - .offset:         132
        .size:           4
        .value_kind:     by_value
      - .offset:         136
        .size:           4
        .value_kind:     by_value
      - .offset:         144
        .size:           4
        .value_kind:     hidden_block_count_x
      - .offset:         148
        .size:           4
        .value_kind:     hidden_block_count_y
      - .offset:         152
        .size:           4
        .value_kind:     hidden_block_count_z
      - .offset:         156
        .size:           2
        .value_kind:     hidden_group_size_x
      - .offset:         158
        .size:           2
        .value_kind:     hidden_group_size_y
      - .offset:         160
        .size:           2
        .value_kind:     hidden_group_size_z
      - .offset:         162
        .size:           2
        .value_kind:     hidden_remainder_x
      - .offset:         164
        .size:           2
        .value_kind:     hidden_remainder_y
      - .offset:         166
        .size:           2
        .value_kind:     hidden_remainder_z
      - .offset:         184
        .size:           8
        .value_kind:     hidden_global_offset_x
      - .offset:         192
        .size:           8
        .value_kind:     hidden_global_offset_y
      - .offset:         200
        .size:           8
        .value_kind:     hidden_global_offset_z
      - .offset:         208
        .size:           2
        .value_kind:     hidden_grid_dims
    .group_segment_fixed_size: 0
    .kernarg_segment_align: 8
    .kernarg_segment_size: 400
    .language:       OpenCL C
    .language_version:
      - 2
      - 0
    .max_flat_workgroup_size: 1024
    .name:           _ZN5aiter35fused_qk_rmsnorm_group_quant_kernelIDF16_DB8_Li64ELi8ELi8ELb1ELb1ELb1ELb0ELb0ELb0EEEvPT0_PvPT_S6_S6_PKS5_S8_S8_S8_S8_ffiiiiiiiiiiiii
    .private_segment_fixed_size: 0
    .sgpr_count:     44
    .sgpr_spill_count: 0
    .symbol:         _ZN5aiter35fused_qk_rmsnorm_group_quant_kernelIDF16_DB8_Li64ELi8ELi8ELb1ELb1ELb1ELb0ELb0ELb0EEEvPT0_PvPT_S6_S6_PKS5_S8_S8_S8_S8_ffiiiiiiiiiiiii.kd
    .uniform_work_group_size: 1
    .uses_dynamic_stack: false
    .vgpr_count:     31
    .vgpr_spill_count: 0
    .wavefront_size: 64
  - .agpr_count:     0
    .args:
      - .actual_access:  write_only
        .address_space:  global
        .offset:         0
        .size:           8
        .value_kind:     global_buffer
      - .actual_access:  write_only
        .address_space:  global
        .offset:         8
        .size:           8
        .value_kind:     global_buffer
      - .actual_access:  write_only
        .address_space:  global
        .offset:         16
        .size:           8
        .value_kind:     global_buffer
      - .actual_access:  write_only
        .address_space:  global
        .offset:         24
        .size:           8
        .value_kind:     global_buffer
      - .actual_access:  write_only
        .address_space:  global
        .offset:         32
        .size:           8
        .value_kind:     global_buffer
      - .actual_access:  read_only
        .address_space:  global
        .offset:         40
        .size:           8
        .value_kind:     global_buffer
      - .actual_access:  read_only
        .address_space:  global
        .offset:         48
        .size:           8
        .value_kind:     global_buffer
      - .actual_access:  read_only
        .address_space:  global
        .offset:         56
        .size:           8
        .value_kind:     global_buffer
      - .actual_access:  read_only
        .address_space:  global
        .offset:         64
        .size:           8
        .value_kind:     global_buffer
      - .actual_access:  read_only
        .address_space:  global
        .offset:         72
        .size:           8
        .value_kind:     global_buffer
      - .offset:         80
        .size:           4
        .value_kind:     by_value
      - .offset:         84
        .size:           4
        .value_kind:     by_value
      - .offset:         88
        .size:           4
        .value_kind:     by_value
      - .offset:         92
        .size:           4
        .value_kind:     by_value
      - .offset:         96
        .size:           4
        .value_kind:     by_value
      - .offset:         100
        .size:           4
        .value_kind:     by_value
      - .offset:         104
        .size:           4
        .value_kind:     by_value
      - .offset:         108
        .size:           4
        .value_kind:     by_value
      - .offset:         112
        .size:           4
        .value_kind:     by_value
      - .offset:         116
        .size:           4
        .value_kind:     by_value
      - .offset:         120
        .size:           4
        .value_kind:     by_value
      - .offset:         124
        .size:           4
        .value_kind:     by_value
      - .offset:         128
        .size:           4
        .value_kind:     by_value
      - .offset:         132
        .size:           4
        .value_kind:     by_value
      - .offset:         136
        .size:           4
        .value_kind:     by_value
      - .offset:         144
        .size:           4
        .value_kind:     hidden_block_count_x
      - .offset:         148
        .size:           4
        .value_kind:     hidden_block_count_y
      - .offset:         152
        .size:           4
        .value_kind:     hidden_block_count_z
      - .offset:         156
        .size:           2
        .value_kind:     hidden_group_size_x
      - .offset:         158
        .size:           2
        .value_kind:     hidden_group_size_y
      - .offset:         160
        .size:           2
        .value_kind:     hidden_group_size_z
      - .offset:         162
        .size:           2
        .value_kind:     hidden_remainder_x
      - .offset:         164
        .size:           2
        .value_kind:     hidden_remainder_y
      - .offset:         166
        .size:           2
        .value_kind:     hidden_remainder_z
      - .offset:         184
        .size:           8
        .value_kind:     hidden_global_offset_x
      - .offset:         192
        .size:           8
        .value_kind:     hidden_global_offset_y
      - .offset:         200
        .size:           8
        .value_kind:     hidden_global_offset_z
      - .offset:         208
        .size:           2
        .value_kind:     hidden_grid_dims
    .group_segment_fixed_size: 0
    .kernarg_segment_align: 8
    .kernarg_segment_size: 400
    .language:       OpenCL C
    .language_version:
      - 2
      - 0
    .max_flat_workgroup_size: 1024
    .name:           _ZN5aiter35fused_qk_rmsnorm_group_quant_kernelItDB8_Li64ELi8ELi8ELb1ELb1ELb1ELb0ELb0ELb0EEEvPT0_PvPT_S6_S6_PKS5_S8_S8_S8_S8_ffiiiiiiiiiiiii
    .private_segment_fixed_size: 0
    .sgpr_count:     48
    .sgpr_spill_count: 0
    .symbol:         _ZN5aiter35fused_qk_rmsnorm_group_quant_kernelItDB8_Li64ELi8ELi8ELb1ELb1ELb1ELb0ELb0ELb0EEEvPT0_PvPT_S6_S6_PKS5_S8_S8_S8_S8_ffiiiiiiiiiiiii.kd
    .uniform_work_group_size: 1
    .uses_dynamic_stack: false
    .vgpr_count:     27
    .vgpr_spill_count: 0
    .wavefront_size: 64
  - .agpr_count:     0
    .args:
      - .actual_access:  write_only
        .address_space:  global
        .offset:         0
        .size:           8
        .value_kind:     global_buffer
      - .actual_access:  write_only
        .address_space:  global
        .offset:         8
        .size:           8
        .value_kind:     global_buffer
      - .actual_access:  write_only
        .address_space:  global
        .offset:         16
        .size:           8
        .value_kind:     global_buffer
      - .actual_access:  write_only
        .address_space:  global
        .offset:         24
        .size:           8
        .value_kind:     global_buffer
      - .actual_access:  write_only
        .address_space:  global
        .offset:         32
        .size:           8
        .value_kind:     global_buffer
      - .actual_access:  read_only
        .address_space:  global
        .offset:         40
        .size:           8
        .value_kind:     global_buffer
      - .actual_access:  read_only
        .address_space:  global
        .offset:         48
        .size:           8
        .value_kind:     global_buffer
      - .actual_access:  read_only
        .address_space:  global
        .offset:         56
        .size:           8
        .value_kind:     global_buffer
      - .actual_access:  read_only
        .address_space:  global
        .offset:         64
        .size:           8
        .value_kind:     global_buffer
      - .actual_access:  read_only
        .address_space:  global
        .offset:         72
        .size:           8
        .value_kind:     global_buffer
      - .offset:         80
        .size:           4
        .value_kind:     by_value
      - .offset:         84
        .size:           4
        .value_kind:     by_value
      - .offset:         88
        .size:           4
        .value_kind:     by_value
      - .offset:         92
        .size:           4
        .value_kind:     by_value
      - .offset:         96
        .size:           4
        .value_kind:     by_value
      - .offset:         100
        .size:           4
        .value_kind:     by_value
      - .offset:         104
        .size:           4
        .value_kind:     by_value
      - .offset:         108
        .size:           4
        .value_kind:     by_value
      - .offset:         112
        .size:           4
        .value_kind:     by_value
      - .offset:         116
        .size:           4
        .value_kind:     by_value
      - .offset:         120
        .size:           4
        .value_kind:     by_value
      - .offset:         124
        .size:           4
        .value_kind:     by_value
      - .offset:         128
        .size:           4
        .value_kind:     by_value
      - .offset:         132
        .size:           4
        .value_kind:     by_value
      - .offset:         136
        .size:           4
        .value_kind:     by_value
      - .offset:         144
        .size:           4
        .value_kind:     hidden_block_count_x
      - .offset:         148
        .size:           4
        .value_kind:     hidden_block_count_y
      - .offset:         152
        .size:           4
        .value_kind:     hidden_block_count_z
      - .offset:         156
        .size:           2
        .value_kind:     hidden_group_size_x
      - .offset:         158
        .size:           2
        .value_kind:     hidden_group_size_y
      - .offset:         160
        .size:           2
        .value_kind:     hidden_group_size_z
      - .offset:         162
        .size:           2
        .value_kind:     hidden_remainder_x
      - .offset:         164
        .size:           2
        .value_kind:     hidden_remainder_y
      - .offset:         166
        .size:           2
        .value_kind:     hidden_remainder_z
      - .offset:         184
        .size:           8
        .value_kind:     hidden_global_offset_x
      - .offset:         192
        .size:           8
        .value_kind:     hidden_global_offset_y
      - .offset:         200
        .size:           8
        .value_kind:     hidden_global_offset_z
      - .offset:         208
        .size:           2
        .value_kind:     hidden_grid_dims
    .group_segment_fixed_size: 0
    .kernarg_segment_align: 8
    .kernarg_segment_size: 400
    .language:       OpenCL C
    .language_version:
      - 2
      - 0
    .max_flat_workgroup_size: 1024
    .name:           _ZN5aiter35fused_qk_rmsnorm_group_quant_kernelIDF16_N4opus5fp4_tELi64ELi8ELi8ELb1ELb1ELb1ELb0ELb0ELb0EEEvPT0_PvPT_S7_S7_PKS6_S9_S9_S9_S9_ffiiiiiiiiiiiii
    .private_segment_fixed_size: 0
    .sgpr_count:     44
    .sgpr_spill_count: 0
    .symbol:         _ZN5aiter35fused_qk_rmsnorm_group_quant_kernelIDF16_N4opus5fp4_tELi64ELi8ELi8ELb1ELb1ELb1ELb0ELb0ELb0EEEvPT0_PvPT_S7_S7_PKS6_S9_S9_S9_S9_ffiiiiiiiiiiiii.kd
    .uniform_work_group_size: 1
    .uses_dynamic_stack: false
    .vgpr_count:     25
    .vgpr_spill_count: 0
    .wavefront_size: 64
  - .agpr_count:     0
    .args:
      - .actual_access:  write_only
        .address_space:  global
        .offset:         0
        .size:           8
        .value_kind:     global_buffer
      - .actual_access:  write_only
        .address_space:  global
        .offset:         8
        .size:           8
        .value_kind:     global_buffer
      - .actual_access:  write_only
        .address_space:  global
        .offset:         16
        .size:           8
        .value_kind:     global_buffer
      - .actual_access:  write_only
        .address_space:  global
        .offset:         24
        .size:           8
        .value_kind:     global_buffer
      - .actual_access:  write_only
        .address_space:  global
        .offset:         32
        .size:           8
        .value_kind:     global_buffer
      - .actual_access:  read_only
        .address_space:  global
        .offset:         40
        .size:           8
        .value_kind:     global_buffer
      - .actual_access:  read_only
        .address_space:  global
        .offset:         48
        .size:           8
        .value_kind:     global_buffer
      - .actual_access:  read_only
        .address_space:  global
        .offset:         56
        .size:           8
        .value_kind:     global_buffer
      - .actual_access:  read_only
        .address_space:  global
        .offset:         64
        .size:           8
        .value_kind:     global_buffer
      - .actual_access:  read_only
        .address_space:  global
        .offset:         72
        .size:           8
        .value_kind:     global_buffer
      - .offset:         80
        .size:           4
        .value_kind:     by_value
      - .offset:         84
        .size:           4
        .value_kind:     by_value
      - .offset:         88
        .size:           4
        .value_kind:     by_value
      - .offset:         92
        .size:           4
        .value_kind:     by_value
      - .offset:         96
        .size:           4
        .value_kind:     by_value
      - .offset:         100
        .size:           4
        .value_kind:     by_value
      - .offset:         104
        .size:           4
        .value_kind:     by_value
      - .offset:         108
        .size:           4
        .value_kind:     by_value
      - .offset:         112
        .size:           4
        .value_kind:     by_value
      - .offset:         116
        .size:           4
        .value_kind:     by_value
      - .offset:         120
        .size:           4
        .value_kind:     by_value
      - .offset:         124
        .size:           4
        .value_kind:     by_value
      - .offset:         128
        .size:           4
        .value_kind:     by_value
      - .offset:         132
        .size:           4
        .value_kind:     by_value
      - .offset:         136
        .size:           4
        .value_kind:     by_value
      - .offset:         144
        .size:           4
        .value_kind:     hidden_block_count_x
      - .offset:         148
        .size:           4
        .value_kind:     hidden_block_count_y
      - .offset:         152
        .size:           4
        .value_kind:     hidden_block_count_z
      - .offset:         156
        .size:           2
        .value_kind:     hidden_group_size_x
      - .offset:         158
        .size:           2
        .value_kind:     hidden_group_size_y
      - .offset:         160
        .size:           2
        .value_kind:     hidden_group_size_z
      - .offset:         162
        .size:           2
        .value_kind:     hidden_remainder_x
      - .offset:         164
        .size:           2
        .value_kind:     hidden_remainder_y
      - .offset:         166
        .size:           2
        .value_kind:     hidden_remainder_z
      - .offset:         184
        .size:           8
        .value_kind:     hidden_global_offset_x
      - .offset:         192
        .size:           8
        .value_kind:     hidden_global_offset_y
      - .offset:         200
        .size:           8
        .value_kind:     hidden_global_offset_z
      - .offset:         208
        .size:           2
        .value_kind:     hidden_grid_dims
    .group_segment_fixed_size: 0
    .kernarg_segment_align: 8
    .kernarg_segment_size: 400
    .language:       OpenCL C
    .language_version:
      - 2
      - 0
    .max_flat_workgroup_size: 1024
    .name:           _ZN5aiter35fused_qk_rmsnorm_group_quant_kernelItN4opus5fp4_tELi64ELi8ELi8ELb1ELb1ELb1ELb0ELb0ELb0EEEvPT0_PvPT_S7_S7_PKS6_S9_S9_S9_S9_ffiiiiiiiiiiiii
    .private_segment_fixed_size: 0
    .sgpr_count:     48
    .sgpr_spill_count: 0
    .symbol:         _ZN5aiter35fused_qk_rmsnorm_group_quant_kernelItN4opus5fp4_tELi64ELi8ELi8ELb1ELb1ELb1ELb0ELb0ELb0EEEvPT0_PvPT_S7_S7_PKS6_S9_S9_S9_S9_ffiiiiiiiiiiiii.kd
    .uniform_work_group_size: 1
    .uses_dynamic_stack: false
    .vgpr_count:     27
    .vgpr_spill_count: 0
    .wavefront_size: 64
  - .agpr_count:     0
    .args:
      - .actual_access:  write_only
        .address_space:  global
        .offset:         0
        .size:           8
        .value_kind:     global_buffer
      - .actual_access:  write_only
        .address_space:  global
        .offset:         8
        .size:           8
        .value_kind:     global_buffer
      - .actual_access:  write_only
        .address_space:  global
        .offset:         16
        .size:           8
        .value_kind:     global_buffer
      - .actual_access:  write_only
        .address_space:  global
        .offset:         24
        .size:           8
        .value_kind:     global_buffer
      - .actual_access:  write_only
        .address_space:  global
        .offset:         32
        .size:           8
        .value_kind:     global_buffer
      - .actual_access:  read_only
        .address_space:  global
        .offset:         40
        .size:           8
        .value_kind:     global_buffer
      - .actual_access:  read_only
        .address_space:  global
        .offset:         48
        .size:           8
        .value_kind:     global_buffer
      - .actual_access:  read_only
        .address_space:  global
        .offset:         56
        .size:           8
        .value_kind:     global_buffer
      - .actual_access:  read_only
        .address_space:  global
        .offset:         64
        .size:           8
        .value_kind:     global_buffer
      - .actual_access:  read_only
        .address_space:  global
        .offset:         72
        .size:           8
        .value_kind:     global_buffer
      - .offset:         80
        .size:           4
        .value_kind:     by_value
      - .offset:         84
        .size:           4
        .value_kind:     by_value
      - .offset:         88
        .size:           4
        .value_kind:     by_value
      - .offset:         92
        .size:           4
        .value_kind:     by_value
      - .offset:         96
        .size:           4
        .value_kind:     by_value
      - .offset:         100
        .size:           4
        .value_kind:     by_value
      - .offset:         104
        .size:           4
        .value_kind:     by_value
      - .offset:         108
        .size:           4
        .value_kind:     by_value
      - .offset:         112
        .size:           4
        .value_kind:     by_value
      - .offset:         116
        .size:           4
        .value_kind:     by_value
      - .offset:         120
        .size:           4
        .value_kind:     by_value
      - .offset:         124
        .size:           4
        .value_kind:     by_value
      - .offset:         128
        .size:           4
        .value_kind:     by_value
      - .offset:         132
        .size:           4
        .value_kind:     by_value
      - .offset:         136
        .size:           4
        .value_kind:     by_value
      - .offset:         144
        .size:           4
        .value_kind:     hidden_block_count_x
      - .offset:         148
        .size:           4
        .value_kind:     hidden_block_count_y
      - .offset:         152
        .size:           4
        .value_kind:     hidden_block_count_z
      - .offset:         156
        .size:           2
        .value_kind:     hidden_group_size_x
      - .offset:         158
        .size:           2
        .value_kind:     hidden_group_size_y
      - .offset:         160
        .size:           2
        .value_kind:     hidden_group_size_z
      - .offset:         162
        .size:           2
        .value_kind:     hidden_remainder_x
      - .offset:         164
        .size:           2
        .value_kind:     hidden_remainder_y
      - .offset:         166
        .size:           2
        .value_kind:     hidden_remainder_z
      - .offset:         184
        .size:           8
        .value_kind:     hidden_global_offset_x
      - .offset:         192
        .size:           8
        .value_kind:     hidden_global_offset_y
      - .offset:         200
        .size:           8
        .value_kind:     hidden_global_offset_z
      - .offset:         208
        .size:           2
        .value_kind:     hidden_grid_dims
    .group_segment_fixed_size: 0
    .kernarg_segment_align: 8
    .kernarg_segment_size: 400
    .language:       OpenCL C
    .language_version:
      - 2
      - 0
    .max_flat_workgroup_size: 1024
    .name:           _ZN5aiter35fused_qk_rmsnorm_group_quant_kernelIDF16_DB8_Li64ELi8ELi8ELb1ELb1ELb0ELb0ELb0ELb0EEEvPT0_PvPT_S6_S6_PKS5_S8_S8_S8_S8_ffiiiiiiiiiiiii
    .private_segment_fixed_size: 0
    .sgpr_count:     44
    .sgpr_spill_count: 0
    .symbol:         _ZN5aiter35fused_qk_rmsnorm_group_quant_kernelIDF16_DB8_Li64ELi8ELi8ELb1ELb1ELb0ELb0ELb0ELb0EEEvPT0_PvPT_S6_S6_PKS5_S8_S8_S8_S8_ffiiiiiiiiiiiii.kd
    .uniform_work_group_size: 1
    .uses_dynamic_stack: false
    .vgpr_count:     34
    .vgpr_spill_count: 0
    .wavefront_size: 64
  - .agpr_count:     0
    .args:
      - .actual_access:  write_only
        .address_space:  global
        .offset:         0
        .size:           8
        .value_kind:     global_buffer
      - .actual_access:  write_only
        .address_space:  global
        .offset:         8
        .size:           8
        .value_kind:     global_buffer
      - .actual_access:  write_only
        .address_space:  global
        .offset:         16
        .size:           8
        .value_kind:     global_buffer
      - .actual_access:  write_only
        .address_space:  global
        .offset:         24
        .size:           8
        .value_kind:     global_buffer
      - .actual_access:  write_only
        .address_space:  global
        .offset:         32
        .size:           8
        .value_kind:     global_buffer
      - .actual_access:  read_only
        .address_space:  global
        .offset:         40
        .size:           8
        .value_kind:     global_buffer
      - .actual_access:  read_only
        .address_space:  global
        .offset:         48
        .size:           8
        .value_kind:     global_buffer
      - .actual_access:  read_only
        .address_space:  global
        .offset:         56
        .size:           8
        .value_kind:     global_buffer
      - .actual_access:  read_only
        .address_space:  global
        .offset:         64
        .size:           8
        .value_kind:     global_buffer
      - .actual_access:  read_only
        .address_space:  global
        .offset:         72
        .size:           8
        .value_kind:     global_buffer
      - .offset:         80
        .size:           4
        .value_kind:     by_value
      - .offset:         84
        .size:           4
        .value_kind:     by_value
      - .offset:         88
        .size:           4
        .value_kind:     by_value
      - .offset:         92
        .size:           4
        .value_kind:     by_value
      - .offset:         96
        .size:           4
        .value_kind:     by_value
      - .offset:         100
        .size:           4
        .value_kind:     by_value
      - .offset:         104
        .size:           4
        .value_kind:     by_value
      - .offset:         108
        .size:           4
        .value_kind:     by_value
      - .offset:         112
        .size:           4
        .value_kind:     by_value
      - .offset:         116
        .size:           4
        .value_kind:     by_value
      - .offset:         120
        .size:           4
        .value_kind:     by_value
      - .offset:         124
        .size:           4
        .value_kind:     by_value
      - .offset:         128
        .size:           4
        .value_kind:     by_value
      - .offset:         132
        .size:           4
        .value_kind:     by_value
      - .offset:         136
        .size:           4
        .value_kind:     by_value
      - .offset:         144
        .size:           4
        .value_kind:     hidden_block_count_x
      - .offset:         148
        .size:           4
        .value_kind:     hidden_block_count_y
      - .offset:         152
        .size:           4
        .value_kind:     hidden_block_count_z
      - .offset:         156
        .size:           2
        .value_kind:     hidden_group_size_x
      - .offset:         158
        .size:           2
        .value_kind:     hidden_group_size_y
      - .offset:         160
        .size:           2
        .value_kind:     hidden_group_size_z
      - .offset:         162
        .size:           2
        .value_kind:     hidden_remainder_x
      - .offset:         164
        .size:           2
        .value_kind:     hidden_remainder_y
      - .offset:         166
        .size:           2
        .value_kind:     hidden_remainder_z
      - .offset:         184
        .size:           8
        .value_kind:     hidden_global_offset_x
      - .offset:         192
        .size:           8
        .value_kind:     hidden_global_offset_y
      - .offset:         200
        .size:           8
        .value_kind:     hidden_global_offset_z
      - .offset:         208
        .size:           2
        .value_kind:     hidden_grid_dims
    .group_segment_fixed_size: 0
    .kernarg_segment_align: 8
    .kernarg_segment_size: 400
    .language:       OpenCL C
    .language_version:
      - 2
      - 0
    .max_flat_workgroup_size: 1024
    .name:           _ZN5aiter35fused_qk_rmsnorm_group_quant_kernelItDB8_Li64ELi8ELi8ELb1ELb1ELb0ELb0ELb0ELb0EEEvPT0_PvPT_S6_S6_PKS5_S8_S8_S8_S8_ffiiiiiiiiiiiii
    .private_segment_fixed_size: 0
    .sgpr_count:     48
    .sgpr_spill_count: 0
    .symbol:         _ZN5aiter35fused_qk_rmsnorm_group_quant_kernelItDB8_Li64ELi8ELi8ELb1ELb1ELb0ELb0ELb0ELb0EEEvPT0_PvPT_S6_S6_PKS5_S8_S8_S8_S8_ffiiiiiiiiiiiii.kd
    .uniform_work_group_size: 1
    .uses_dynamic_stack: false
    .vgpr_count:     27
    .vgpr_spill_count: 0
    .wavefront_size: 64
  - .agpr_count:     0
    .args:
      - .actual_access:  write_only
        .address_space:  global
        .offset:         0
        .size:           8
        .value_kind:     global_buffer
      - .actual_access:  write_only
        .address_space:  global
        .offset:         8
        .size:           8
        .value_kind:     global_buffer
      - .actual_access:  write_only
        .address_space:  global
        .offset:         16
        .size:           8
        .value_kind:     global_buffer
      - .actual_access:  write_only
        .address_space:  global
        .offset:         24
        .size:           8
        .value_kind:     global_buffer
      - .actual_access:  write_only
        .address_space:  global
        .offset:         32
        .size:           8
        .value_kind:     global_buffer
      - .actual_access:  read_only
        .address_space:  global
        .offset:         40
        .size:           8
        .value_kind:     global_buffer
      - .actual_access:  read_only
        .address_space:  global
        .offset:         48
        .size:           8
        .value_kind:     global_buffer
      - .actual_access:  read_only
        .address_space:  global
        .offset:         56
        .size:           8
        .value_kind:     global_buffer
      - .actual_access:  read_only
        .address_space:  global
        .offset:         64
        .size:           8
        .value_kind:     global_buffer
      - .actual_access:  read_only
        .address_space:  global
        .offset:         72
        .size:           8
        .value_kind:     global_buffer
      - .offset:         80
        .size:           4
        .value_kind:     by_value
      - .offset:         84
        .size:           4
        .value_kind:     by_value
      - .offset:         88
        .size:           4
        .value_kind:     by_value
      - .offset:         92
        .size:           4
        .value_kind:     by_value
      - .offset:         96
        .size:           4
        .value_kind:     by_value
      - .offset:         100
        .size:           4
        .value_kind:     by_value
      - .offset:         104
        .size:           4
        .value_kind:     by_value
      - .offset:         108
        .size:           4
        .value_kind:     by_value
      - .offset:         112
        .size:           4
        .value_kind:     by_value
      - .offset:         116
        .size:           4
        .value_kind:     by_value
      - .offset:         120
        .size:           4
        .value_kind:     by_value
      - .offset:         124
        .size:           4
        .value_kind:     by_value
      - .offset:         128
        .size:           4
        .value_kind:     by_value
      - .offset:         132
        .size:           4
        .value_kind:     by_value
      - .offset:         136
        .size:           4
        .value_kind:     by_value
      - .offset:         144
        .size:           4
        .value_kind:     hidden_block_count_x
      - .offset:         148
        .size:           4
        .value_kind:     hidden_block_count_y
      - .offset:         152
        .size:           4
        .value_kind:     hidden_block_count_z
      - .offset:         156
        .size:           2
        .value_kind:     hidden_group_size_x
      - .offset:         158
        .size:           2
        .value_kind:     hidden_group_size_y
      - .offset:         160
        .size:           2
        .value_kind:     hidden_group_size_z
      - .offset:         162
        .size:           2
        .value_kind:     hidden_remainder_x
      - .offset:         164
        .size:           2
        .value_kind:     hidden_remainder_y
      - .offset:         166
        .size:           2
        .value_kind:     hidden_remainder_z
      - .offset:         184
        .size:           8
        .value_kind:     hidden_global_offset_x
      - .offset:         192
        .size:           8
        .value_kind:     hidden_global_offset_y
      - .offset:         200
        .size:           8
        .value_kind:     hidden_global_offset_z
      - .offset:         208
        .size:           2
        .value_kind:     hidden_grid_dims
    .group_segment_fixed_size: 0
    .kernarg_segment_align: 8
    .kernarg_segment_size: 400
    .language:       OpenCL C
    .language_version:
      - 2
      - 0
    .max_flat_workgroup_size: 1024
    .name:           _ZN5aiter35fused_qk_rmsnorm_group_quant_kernelIDF16_N4opus5fp4_tELi64ELi8ELi8ELb1ELb1ELb0ELb0ELb0ELb0EEEvPT0_PvPT_S7_S7_PKS6_S9_S9_S9_S9_ffiiiiiiiiiiiii
    .private_segment_fixed_size: 0
    .sgpr_count:     44
    .sgpr_spill_count: 0
    .symbol:         _ZN5aiter35fused_qk_rmsnorm_group_quant_kernelIDF16_N4opus5fp4_tELi64ELi8ELi8ELb1ELb1ELb0ELb0ELb0ELb0EEEvPT0_PvPT_S7_S7_PKS6_S9_S9_S9_S9_ffiiiiiiiiiiiii.kd
    .uniform_work_group_size: 1
    .uses_dynamic_stack: false
    .vgpr_count:     27
    .vgpr_spill_count: 0
    .wavefront_size: 64
  - .agpr_count:     0
    .args:
      - .actual_access:  write_only
        .address_space:  global
        .offset:         0
        .size:           8
        .value_kind:     global_buffer
      - .actual_access:  write_only
        .address_space:  global
        .offset:         8
        .size:           8
        .value_kind:     global_buffer
      - .actual_access:  write_only
        .address_space:  global
        .offset:         16
        .size:           8
        .value_kind:     global_buffer
      - .actual_access:  write_only
        .address_space:  global
        .offset:         24
        .size:           8
        .value_kind:     global_buffer
      - .actual_access:  write_only
        .address_space:  global
        .offset:         32
        .size:           8
        .value_kind:     global_buffer
      - .actual_access:  read_only
        .address_space:  global
        .offset:         40
        .size:           8
        .value_kind:     global_buffer
      - .actual_access:  read_only
        .address_space:  global
        .offset:         48
        .size:           8
        .value_kind:     global_buffer
      - .actual_access:  read_only
        .address_space:  global
        .offset:         56
        .size:           8
        .value_kind:     global_buffer
      - .actual_access:  read_only
        .address_space:  global
        .offset:         64
        .size:           8
        .value_kind:     global_buffer
      - .actual_access:  read_only
        .address_space:  global
        .offset:         72
        .size:           8
        .value_kind:     global_buffer
      - .offset:         80
        .size:           4
        .value_kind:     by_value
      - .offset:         84
        .size:           4
        .value_kind:     by_value
      - .offset:         88
        .size:           4
        .value_kind:     by_value
      - .offset:         92
        .size:           4
        .value_kind:     by_value
      - .offset:         96
        .size:           4
        .value_kind:     by_value
      - .offset:         100
        .size:           4
        .value_kind:     by_value
      - .offset:         104
        .size:           4
        .value_kind:     by_value
      - .offset:         108
        .size:           4
        .value_kind:     by_value
      - .offset:         112
        .size:           4
        .value_kind:     by_value
      - .offset:         116
        .size:           4
        .value_kind:     by_value
      - .offset:         120
        .size:           4
        .value_kind:     by_value
      - .offset:         124
        .size:           4
        .value_kind:     by_value
      - .offset:         128
        .size:           4
        .value_kind:     by_value
      - .offset:         132
        .size:           4
        .value_kind:     by_value
      - .offset:         136
        .size:           4
        .value_kind:     by_value
      - .offset:         144
        .size:           4
        .value_kind:     hidden_block_count_x
      - .offset:         148
        .size:           4
        .value_kind:     hidden_block_count_y
      - .offset:         152
        .size:           4
        .value_kind:     hidden_block_count_z
      - .offset:         156
        .size:           2
        .value_kind:     hidden_group_size_x
      - .offset:         158
        .size:           2
        .value_kind:     hidden_group_size_y
      - .offset:         160
        .size:           2
        .value_kind:     hidden_group_size_z
      - .offset:         162
        .size:           2
        .value_kind:     hidden_remainder_x
      - .offset:         164
        .size:           2
        .value_kind:     hidden_remainder_y
      - .offset:         166
        .size:           2
        .value_kind:     hidden_remainder_z
      - .offset:         184
        .size:           8
        .value_kind:     hidden_global_offset_x
      - .offset:         192
        .size:           8
        .value_kind:     hidden_global_offset_y
      - .offset:         200
        .size:           8
        .value_kind:     hidden_global_offset_z
      - .offset:         208
        .size:           2
        .value_kind:     hidden_grid_dims
    .group_segment_fixed_size: 0
    .kernarg_segment_align: 8
    .kernarg_segment_size: 400
    .language:       OpenCL C
    .language_version:
      - 2
      - 0
    .max_flat_workgroup_size: 1024
    .name:           _ZN5aiter35fused_qk_rmsnorm_group_quant_kernelItN4opus5fp4_tELi64ELi8ELi8ELb1ELb1ELb0ELb0ELb0ELb0EEEvPT0_PvPT_S7_S7_PKS6_S9_S9_S9_S9_ffiiiiiiiiiiiii
    .private_segment_fixed_size: 0
    .sgpr_count:     48
    .sgpr_spill_count: 0
    .symbol:         _ZN5aiter35fused_qk_rmsnorm_group_quant_kernelItN4opus5fp4_tELi64ELi8ELi8ELb1ELb1ELb0ELb0ELb0ELb0EEEvPT0_PvPT_S7_S7_PKS6_S9_S9_S9_S9_ffiiiiiiiiiiiii.kd
    .uniform_work_group_size: 1
    .uses_dynamic_stack: false
    .vgpr_count:     27
    .vgpr_spill_count: 0
    .wavefront_size: 64
  - .agpr_count:     0
    .args:
      - .actual_access:  write_only
        .address_space:  global
        .offset:         0
        .size:           8
        .value_kind:     global_buffer
      - .actual_access:  write_only
        .address_space:  global
        .offset:         8
        .size:           8
        .value_kind:     global_buffer
      - .actual_access:  read_only
        .address_space:  global
        .offset:         16
        .size:           8
        .value_kind:     global_buffer
      - .actual_access:  write_only
        .address_space:  global
        .offset:         24
        .size:           8
        .value_kind:     global_buffer
      - .actual_access:  write_only
        .address_space:  global
        .offset:         32
        .size:           8
        .value_kind:     global_buffer
      - .actual_access:  read_only
        .address_space:  global
        .offset:         40
        .size:           8
        .value_kind:     global_buffer
      - .actual_access:  read_only
        .address_space:  global
        .offset:         48
        .size:           8
        .value_kind:     global_buffer
      - .actual_access:  read_only
        .address_space:  global
        .offset:         56
        .size:           8
        .value_kind:     global_buffer
      - .actual_access:  read_only
        .address_space:  global
        .offset:         64
        .size:           8
        .value_kind:     global_buffer
      - .actual_access:  read_only
        .address_space:  global
        .offset:         72
        .size:           8
        .value_kind:     global_buffer
      - .offset:         80
        .size:           4
        .value_kind:     by_value
      - .offset:         84
        .size:           4
        .value_kind:     by_value
      - .offset:         88
        .size:           4
        .value_kind:     by_value
      - .offset:         92
        .size:           4
        .value_kind:     by_value
      - .offset:         96
        .size:           4
        .value_kind:     by_value
      - .offset:         100
        .size:           4
        .value_kind:     by_value
      - .offset:         104
        .size:           4
        .value_kind:     by_value
      - .offset:         108
        .size:           4
        .value_kind:     by_value
      - .offset:         112
        .size:           4
        .value_kind:     by_value
      - .offset:         116
        .size:           4
        .value_kind:     by_value
      - .offset:         120
        .size:           4
        .value_kind:     by_value
      - .offset:         124
        .size:           4
        .value_kind:     by_value
      - .offset:         128
        .size:           4
        .value_kind:     by_value
      - .offset:         132
        .size:           4
        .value_kind:     by_value
      - .offset:         136
        .size:           4
        .value_kind:     by_value
      - .offset:         144
        .size:           4
        .value_kind:     hidden_block_count_x
      - .offset:         148
        .size:           4
        .value_kind:     hidden_block_count_y
      - .offset:         152
        .size:           4
        .value_kind:     hidden_block_count_z
      - .offset:         156
        .size:           2
        .value_kind:     hidden_group_size_x
      - .offset:         158
        .size:           2
        .value_kind:     hidden_group_size_y
      - .offset:         160
        .size:           2
        .value_kind:     hidden_group_size_z
      - .offset:         162
        .size:           2
        .value_kind:     hidden_remainder_x
      - .offset:         164
        .size:           2
        .value_kind:     hidden_remainder_y
      - .offset:         166
        .size:           2
        .value_kind:     hidden_remainder_z
      - .offset:         184
        .size:           8
        .value_kind:     hidden_global_offset_x
      - .offset:         192
        .size:           8
        .value_kind:     hidden_global_offset_y
      - .offset:         200
        .size:           8
        .value_kind:     hidden_global_offset_z
      - .offset:         208
        .size:           2
        .value_kind:     hidden_grid_dims
    .group_segment_fixed_size: 0
    .kernarg_segment_align: 8
    .kernarg_segment_size: 400
    .language:       OpenCL C
    .language_version:
      - 2
      - 0
    .max_flat_workgroup_size: 1024
    .name:           _ZN5aiter35fused_qk_rmsnorm_group_quant_kernelIDF16_DB8_Li64ELi8ELi8ELb1ELb0ELb1ELb0ELb0ELb0EEEvPT0_PvPT_S6_S6_PKS5_S8_S8_S8_S8_ffiiiiiiiiiiiii
    .private_segment_fixed_size: 0
    .sgpr_count:     44
    .sgpr_spill_count: 0
    .symbol:         _ZN5aiter35fused_qk_rmsnorm_group_quant_kernelIDF16_DB8_Li64ELi8ELi8ELb1ELb0ELb1ELb0ELb0ELb0EEEvPT0_PvPT_S6_S6_PKS5_S8_S8_S8_S8_ffiiiiiiiiiiiii.kd
    .uniform_work_group_size: 1
    .uses_dynamic_stack: false
    .vgpr_count:     31
    .vgpr_spill_count: 0
    .wavefront_size: 64
  - .agpr_count:     0
    .args:
      - .actual_access:  write_only
        .address_space:  global
        .offset:         0
        .size:           8
        .value_kind:     global_buffer
      - .actual_access:  write_only
        .address_space:  global
        .offset:         8
        .size:           8
        .value_kind:     global_buffer
      - .actual_access:  read_only
        .address_space:  global
        .offset:         16
        .size:           8
        .value_kind:     global_buffer
      - .actual_access:  write_only
        .address_space:  global
        .offset:         24
        .size:           8
        .value_kind:     global_buffer
      - .actual_access:  write_only
        .address_space:  global
        .offset:         32
        .size:           8
        .value_kind:     global_buffer
      - .actual_access:  read_only
        .address_space:  global
        .offset:         40
        .size:           8
        .value_kind:     global_buffer
      - .actual_access:  read_only
        .address_space:  global
        .offset:         48
        .size:           8
        .value_kind:     global_buffer
      - .actual_access:  read_only
        .address_space:  global
        .offset:         56
        .size:           8
        .value_kind:     global_buffer
      - .actual_access:  read_only
        .address_space:  global
        .offset:         64
        .size:           8
        .value_kind:     global_buffer
      - .actual_access:  read_only
        .address_space:  global
        .offset:         72
        .size:           8
        .value_kind:     global_buffer
      - .offset:         80
        .size:           4
        .value_kind:     by_value
      - .offset:         84
        .size:           4
        .value_kind:     by_value
      - .offset:         88
        .size:           4
        .value_kind:     by_value
      - .offset:         92
        .size:           4
        .value_kind:     by_value
      - .offset:         96
        .size:           4
        .value_kind:     by_value
      - .offset:         100
        .size:           4
        .value_kind:     by_value
      - .offset:         104
        .size:           4
        .value_kind:     by_value
      - .offset:         108
        .size:           4
        .value_kind:     by_value
      - .offset:         112
        .size:           4
        .value_kind:     by_value
      - .offset:         116
        .size:           4
        .value_kind:     by_value
      - .offset:         120
        .size:           4
        .value_kind:     by_value
      - .offset:         124
        .size:           4
        .value_kind:     by_value
      - .offset:         128
        .size:           4
        .value_kind:     by_value
      - .offset:         132
        .size:           4
        .value_kind:     by_value
      - .offset:         136
        .size:           4
        .value_kind:     by_value
      - .offset:         144
        .size:           4
        .value_kind:     hidden_block_count_x
      - .offset:         148
        .size:           4
        .value_kind:     hidden_block_count_y
      - .offset:         152
        .size:           4
        .value_kind:     hidden_block_count_z
      - .offset:         156
        .size:           2
        .value_kind:     hidden_group_size_x
      - .offset:         158
        .size:           2
        .value_kind:     hidden_group_size_y
      - .offset:         160
        .size:           2
        .value_kind:     hidden_group_size_z
      - .offset:         162
        .size:           2
        .value_kind:     hidden_remainder_x
      - .offset:         164
        .size:           2
        .value_kind:     hidden_remainder_y
      - .offset:         166
        .size:           2
        .value_kind:     hidden_remainder_z
      - .offset:         184
        .size:           8
        .value_kind:     hidden_global_offset_x
      - .offset:         192
        .size:           8
        .value_kind:     hidden_global_offset_y
      - .offset:         200
        .size:           8
        .value_kind:     hidden_global_offset_z
      - .offset:         208
        .size:           2
        .value_kind:     hidden_grid_dims
    .group_segment_fixed_size: 0
    .kernarg_segment_align: 8
    .kernarg_segment_size: 400
    .language:       OpenCL C
    .language_version:
      - 2
      - 0
    .max_flat_workgroup_size: 1024
    .name:           _ZN5aiter35fused_qk_rmsnorm_group_quant_kernelItDB8_Li64ELi8ELi8ELb1ELb0ELb1ELb0ELb0ELb0EEEvPT0_PvPT_S6_S6_PKS5_S8_S8_S8_S8_ffiiiiiiiiiiiii
    .private_segment_fixed_size: 0
    .sgpr_count:     48
    .sgpr_spill_count: 0
    .symbol:         _ZN5aiter35fused_qk_rmsnorm_group_quant_kernelItDB8_Li64ELi8ELi8ELb1ELb0ELb1ELb0ELb0ELb0EEEvPT0_PvPT_S6_S6_PKS5_S8_S8_S8_S8_ffiiiiiiiiiiiii.kd
    .uniform_work_group_size: 1
    .uses_dynamic_stack: false
    .vgpr_count:     27
    .vgpr_spill_count: 0
    .wavefront_size: 64
  - .agpr_count:     0
    .args:
      - .actual_access:  write_only
        .address_space:  global
        .offset:         0
        .size:           8
        .value_kind:     global_buffer
      - .actual_access:  write_only
        .address_space:  global
        .offset:         8
        .size:           8
        .value_kind:     global_buffer
      - .actual_access:  read_only
        .address_space:  global
        .offset:         16
        .size:           8
        .value_kind:     global_buffer
      - .actual_access:  write_only
        .address_space:  global
        .offset:         24
        .size:           8
        .value_kind:     global_buffer
      - .actual_access:  write_only
        .address_space:  global
        .offset:         32
        .size:           8
        .value_kind:     global_buffer
      - .actual_access:  read_only
        .address_space:  global
        .offset:         40
        .size:           8
        .value_kind:     global_buffer
      - .actual_access:  read_only
        .address_space:  global
        .offset:         48
        .size:           8
        .value_kind:     global_buffer
      - .actual_access:  read_only
        .address_space:  global
        .offset:         56
        .size:           8
        .value_kind:     global_buffer
      - .actual_access:  read_only
        .address_space:  global
        .offset:         64
        .size:           8
        .value_kind:     global_buffer
      - .actual_access:  read_only
        .address_space:  global
        .offset:         72
        .size:           8
        .value_kind:     global_buffer
      - .offset:         80
        .size:           4
        .value_kind:     by_value
      - .offset:         84
        .size:           4
        .value_kind:     by_value
      - .offset:         88
        .size:           4
        .value_kind:     by_value
      - .offset:         92
        .size:           4
        .value_kind:     by_value
      - .offset:         96
        .size:           4
        .value_kind:     by_value
      - .offset:         100
        .size:           4
        .value_kind:     by_value
      - .offset:         104
        .size:           4
        .value_kind:     by_value
      - .offset:         108
        .size:           4
        .value_kind:     by_value
      - .offset:         112
        .size:           4
        .value_kind:     by_value
      - .offset:         116
        .size:           4
        .value_kind:     by_value
      - .offset:         120
        .size:           4
        .value_kind:     by_value
      - .offset:         124
        .size:           4
        .value_kind:     by_value
      - .offset:         128
        .size:           4
        .value_kind:     by_value
      - .offset:         132
        .size:           4
        .value_kind:     by_value
      - .offset:         136
        .size:           4
        .value_kind:     by_value
      - .offset:         144
        .size:           4
        .value_kind:     hidden_block_count_x
      - .offset:         148
        .size:           4
        .value_kind:     hidden_block_count_y
      - .offset:         152
        .size:           4
        .value_kind:     hidden_block_count_z
      - .offset:         156
        .size:           2
        .value_kind:     hidden_group_size_x
      - .offset:         158
        .size:           2
        .value_kind:     hidden_group_size_y
      - .offset:         160
        .size:           2
        .value_kind:     hidden_group_size_z
      - .offset:         162
        .size:           2
        .value_kind:     hidden_remainder_x
      - .offset:         164
        .size:           2
        .value_kind:     hidden_remainder_y
      - .offset:         166
        .size:           2
        .value_kind:     hidden_remainder_z
      - .offset:         184
        .size:           8
        .value_kind:     hidden_global_offset_x
      - .offset:         192
        .size:           8
        .value_kind:     hidden_global_offset_y
      - .offset:         200
        .size:           8
        .value_kind:     hidden_global_offset_z
      - .offset:         208
        .size:           2
        .value_kind:     hidden_grid_dims
    .group_segment_fixed_size: 0
    .kernarg_segment_align: 8
    .kernarg_segment_size: 400
    .language:       OpenCL C
    .language_version:
      - 2
      - 0
    .max_flat_workgroup_size: 1024
    .name:           _ZN5aiter35fused_qk_rmsnorm_group_quant_kernelIDF16_N4opus5fp4_tELi64ELi8ELi8ELb1ELb0ELb1ELb0ELb0ELb0EEEvPT0_PvPT_S7_S7_PKS6_S9_S9_S9_S9_ffiiiiiiiiiiiii
    .private_segment_fixed_size: 0
    .sgpr_count:     44
    .sgpr_spill_count: 0
    .symbol:         _ZN5aiter35fused_qk_rmsnorm_group_quant_kernelIDF16_N4opus5fp4_tELi64ELi8ELi8ELb1ELb0ELb1ELb0ELb0ELb0EEEvPT0_PvPT_S7_S7_PKS6_S9_S9_S9_S9_ffiiiiiiiiiiiii.kd
    .uniform_work_group_size: 1
    .uses_dynamic_stack: false
    .vgpr_count:     25
    .vgpr_spill_count: 0
    .wavefront_size: 64
  - .agpr_count:     0
    .args:
      - .actual_access:  write_only
        .address_space:  global
        .offset:         0
        .size:           8
        .value_kind:     global_buffer
      - .actual_access:  write_only
        .address_space:  global
        .offset:         8
        .size:           8
        .value_kind:     global_buffer
      - .actual_access:  read_only
        .address_space:  global
        .offset:         16
        .size:           8
        .value_kind:     global_buffer
      - .actual_access:  write_only
        .address_space:  global
        .offset:         24
        .size:           8
        .value_kind:     global_buffer
      - .actual_access:  write_only
        .address_space:  global
        .offset:         32
        .size:           8
        .value_kind:     global_buffer
      - .actual_access:  read_only
        .address_space:  global
        .offset:         40
        .size:           8
        .value_kind:     global_buffer
      - .actual_access:  read_only
        .address_space:  global
        .offset:         48
        .size:           8
        .value_kind:     global_buffer
      - .actual_access:  read_only
        .address_space:  global
        .offset:         56
        .size:           8
        .value_kind:     global_buffer
      - .actual_access:  read_only
        .address_space:  global
        .offset:         64
        .size:           8
        .value_kind:     global_buffer
      - .actual_access:  read_only
        .address_space:  global
        .offset:         72
        .size:           8
        .value_kind:     global_buffer
      - .offset:         80
        .size:           4
        .value_kind:     by_value
      - .offset:         84
        .size:           4
        .value_kind:     by_value
      - .offset:         88
        .size:           4
        .value_kind:     by_value
      - .offset:         92
        .size:           4
        .value_kind:     by_value
      - .offset:         96
        .size:           4
        .value_kind:     by_value
      - .offset:         100
        .size:           4
        .value_kind:     by_value
      - .offset:         104
        .size:           4
        .value_kind:     by_value
      - .offset:         108
        .size:           4
        .value_kind:     by_value
      - .offset:         112
        .size:           4
        .value_kind:     by_value
      - .offset:         116
        .size:           4
        .value_kind:     by_value
      - .offset:         120
        .size:           4
        .value_kind:     by_value
      - .offset:         124
        .size:           4
        .value_kind:     by_value
      - .offset:         128
        .size:           4
        .value_kind:     by_value
      - .offset:         132
        .size:           4
        .value_kind:     by_value
      - .offset:         136
        .size:           4
        .value_kind:     by_value
      - .offset:         144
        .size:           4
        .value_kind:     hidden_block_count_x
      - .offset:         148
        .size:           4
        .value_kind:     hidden_block_count_y
      - .offset:         152
        .size:           4
        .value_kind:     hidden_block_count_z
      - .offset:         156
        .size:           2
        .value_kind:     hidden_group_size_x
      - .offset:         158
        .size:           2
        .value_kind:     hidden_group_size_y
      - .offset:         160
        .size:           2
        .value_kind:     hidden_group_size_z
      - .offset:         162
        .size:           2
        .value_kind:     hidden_remainder_x
      - .offset:         164
        .size:           2
        .value_kind:     hidden_remainder_y
      - .offset:         166
        .size:           2
        .value_kind:     hidden_remainder_z
      - .offset:         184
        .size:           8
        .value_kind:     hidden_global_offset_x
      - .offset:         192
        .size:           8
        .value_kind:     hidden_global_offset_y
      - .offset:         200
        .size:           8
        .value_kind:     hidden_global_offset_z
      - .offset:         208
        .size:           2
        .value_kind:     hidden_grid_dims
    .group_segment_fixed_size: 0
    .kernarg_segment_align: 8
    .kernarg_segment_size: 400
    .language:       OpenCL C
    .language_version:
      - 2
      - 0
    .max_flat_workgroup_size: 1024
    .name:           _ZN5aiter35fused_qk_rmsnorm_group_quant_kernelItN4opus5fp4_tELi64ELi8ELi8ELb1ELb0ELb1ELb0ELb0ELb0EEEvPT0_PvPT_S7_S7_PKS6_S9_S9_S9_S9_ffiiiiiiiiiiiii
    .private_segment_fixed_size: 0
    .sgpr_count:     48
    .sgpr_spill_count: 0
    .symbol:         _ZN5aiter35fused_qk_rmsnorm_group_quant_kernelItN4opus5fp4_tELi64ELi8ELi8ELb1ELb0ELb1ELb0ELb0ELb0EEEvPT0_PvPT_S7_S7_PKS6_S9_S9_S9_S9_ffiiiiiiiiiiiii.kd
    .uniform_work_group_size: 1
    .uses_dynamic_stack: false
    .vgpr_count:     27
    .vgpr_spill_count: 0
    .wavefront_size: 64
  - .agpr_count:     0
    .args:
      - .actual_access:  write_only
        .address_space:  global
        .offset:         0
        .size:           8
        .value_kind:     global_buffer
      - .actual_access:  write_only
        .address_space:  global
        .offset:         8
        .size:           8
        .value_kind:     global_buffer
      - .actual_access:  read_only
        .address_space:  global
        .offset:         16
        .size:           8
        .value_kind:     global_buffer
      - .actual_access:  write_only
        .address_space:  global
        .offset:         24
        .size:           8
        .value_kind:     global_buffer
      - .actual_access:  write_only
        .address_space:  global
        .offset:         32
        .size:           8
        .value_kind:     global_buffer
      - .actual_access:  read_only
        .address_space:  global
        .offset:         40
        .size:           8
        .value_kind:     global_buffer
      - .actual_access:  read_only
        .address_space:  global
        .offset:         48
        .size:           8
        .value_kind:     global_buffer
      - .actual_access:  read_only
        .address_space:  global
        .offset:         56
        .size:           8
        .value_kind:     global_buffer
      - .actual_access:  read_only
        .address_space:  global
        .offset:         64
        .size:           8
        .value_kind:     global_buffer
      - .actual_access:  read_only
        .address_space:  global
        .offset:         72
        .size:           8
        .value_kind:     global_buffer
      - .offset:         80
        .size:           4
        .value_kind:     by_value
      - .offset:         84
        .size:           4
        .value_kind:     by_value
      - .offset:         88
        .size:           4
        .value_kind:     by_value
      - .offset:         92
        .size:           4
        .value_kind:     by_value
      - .offset:         96
        .size:           4
        .value_kind:     by_value
      - .offset:         100
        .size:           4
        .value_kind:     by_value
      - .offset:         104
        .size:           4
        .value_kind:     by_value
      - .offset:         108
        .size:           4
        .value_kind:     by_value
      - .offset:         112
        .size:           4
        .value_kind:     by_value
      - .offset:         116
        .size:           4
        .value_kind:     by_value
      - .offset:         120
        .size:           4
        .value_kind:     by_value
      - .offset:         124
        .size:           4
        .value_kind:     by_value
      - .offset:         128
        .size:           4
        .value_kind:     by_value
      - .offset:         132
        .size:           4
        .value_kind:     by_value
      - .offset:         136
        .size:           4
        .value_kind:     by_value
      - .offset:         144
        .size:           4
        .value_kind:     hidden_block_count_x
      - .offset:         148
        .size:           4
        .value_kind:     hidden_block_count_y
      - .offset:         152
        .size:           4
        .value_kind:     hidden_block_count_z
      - .offset:         156
        .size:           2
        .value_kind:     hidden_group_size_x
      - .offset:         158
        .size:           2
        .value_kind:     hidden_group_size_y
      - .offset:         160
        .size:           2
        .value_kind:     hidden_group_size_z
      - .offset:         162
        .size:           2
        .value_kind:     hidden_remainder_x
      - .offset:         164
        .size:           2
        .value_kind:     hidden_remainder_y
      - .offset:         166
        .size:           2
        .value_kind:     hidden_remainder_z
      - .offset:         184
        .size:           8
        .value_kind:     hidden_global_offset_x
      - .offset:         192
        .size:           8
        .value_kind:     hidden_global_offset_y
      - .offset:         200
        .size:           8
        .value_kind:     hidden_global_offset_z
      - .offset:         208
        .size:           2
        .value_kind:     hidden_grid_dims
    .group_segment_fixed_size: 0
    .kernarg_segment_align: 8
    .kernarg_segment_size: 400
    .language:       OpenCL C
    .language_version:
      - 2
      - 0
    .max_flat_workgroup_size: 1024
    .name:           _ZN5aiter35fused_qk_rmsnorm_group_quant_kernelIDF16_DB8_Li64ELi8ELi8ELb1ELb0ELb0ELb0ELb0ELb0EEEvPT0_PvPT_S6_S6_PKS5_S8_S8_S8_S8_ffiiiiiiiiiiiii
    .private_segment_fixed_size: 0
    .sgpr_count:     44
    .sgpr_spill_count: 0
    .symbol:         _ZN5aiter35fused_qk_rmsnorm_group_quant_kernelIDF16_DB8_Li64ELi8ELi8ELb1ELb0ELb0ELb0ELb0ELb0EEEvPT0_PvPT_S6_S6_PKS5_S8_S8_S8_S8_ffiiiiiiiiiiiii.kd
    .uniform_work_group_size: 1
    .uses_dynamic_stack: false
    .vgpr_count:     34
    .vgpr_spill_count: 0
    .wavefront_size: 64
  - .agpr_count:     0
    .args:
      - .actual_access:  write_only
        .address_space:  global
        .offset:         0
        .size:           8
        .value_kind:     global_buffer
      - .actual_access:  write_only
        .address_space:  global
        .offset:         8
        .size:           8
        .value_kind:     global_buffer
      - .actual_access:  read_only
        .address_space:  global
        .offset:         16
        .size:           8
        .value_kind:     global_buffer
      - .actual_access:  write_only
        .address_space:  global
        .offset:         24
        .size:           8
        .value_kind:     global_buffer
      - .actual_access:  write_only
        .address_space:  global
        .offset:         32
        .size:           8
        .value_kind:     global_buffer
      - .actual_access:  read_only
        .address_space:  global
        .offset:         40
        .size:           8
        .value_kind:     global_buffer
      - .actual_access:  read_only
        .address_space:  global
        .offset:         48
        .size:           8
        .value_kind:     global_buffer
      - .actual_access:  read_only
        .address_space:  global
        .offset:         56
        .size:           8
        .value_kind:     global_buffer
      - .actual_access:  read_only
        .address_space:  global
        .offset:         64
        .size:           8
        .value_kind:     global_buffer
      - .actual_access:  read_only
        .address_space:  global
        .offset:         72
        .size:           8
        .value_kind:     global_buffer
      - .offset:         80
        .size:           4
        .value_kind:     by_value
      - .offset:         84
        .size:           4
        .value_kind:     by_value
      - .offset:         88
        .size:           4
        .value_kind:     by_value
      - .offset:         92
        .size:           4
        .value_kind:     by_value
      - .offset:         96
        .size:           4
        .value_kind:     by_value
      - .offset:         100
        .size:           4
        .value_kind:     by_value
      - .offset:         104
        .size:           4
        .value_kind:     by_value
      - .offset:         108
        .size:           4
        .value_kind:     by_value
      - .offset:         112
        .size:           4
        .value_kind:     by_value
      - .offset:         116
        .size:           4
        .value_kind:     by_value
      - .offset:         120
        .size:           4
        .value_kind:     by_value
      - .offset:         124
        .size:           4
        .value_kind:     by_value
      - .offset:         128
        .size:           4
        .value_kind:     by_value
      - .offset:         132
        .size:           4
        .value_kind:     by_value
      - .offset:         136
        .size:           4
        .value_kind:     by_value
      - .offset:         144
        .size:           4
        .value_kind:     hidden_block_count_x
      - .offset:         148
        .size:           4
        .value_kind:     hidden_block_count_y
      - .offset:         152
        .size:           4
        .value_kind:     hidden_block_count_z
      - .offset:         156
        .size:           2
        .value_kind:     hidden_group_size_x
      - .offset:         158
        .size:           2
        .value_kind:     hidden_group_size_y
      - .offset:         160
        .size:           2
        .value_kind:     hidden_group_size_z
      - .offset:         162
        .size:           2
        .value_kind:     hidden_remainder_x
      - .offset:         164
        .size:           2
        .value_kind:     hidden_remainder_y
      - .offset:         166
        .size:           2
        .value_kind:     hidden_remainder_z
      - .offset:         184
        .size:           8
        .value_kind:     hidden_global_offset_x
      - .offset:         192
        .size:           8
        .value_kind:     hidden_global_offset_y
      - .offset:         200
        .size:           8
        .value_kind:     hidden_global_offset_z
      - .offset:         208
        .size:           2
        .value_kind:     hidden_grid_dims
    .group_segment_fixed_size: 0
    .kernarg_segment_align: 8
    .kernarg_segment_size: 400
    .language:       OpenCL C
    .language_version:
      - 2
      - 0
    .max_flat_workgroup_size: 1024
    .name:           _ZN5aiter35fused_qk_rmsnorm_group_quant_kernelItDB8_Li64ELi8ELi8ELb1ELb0ELb0ELb0ELb0ELb0EEEvPT0_PvPT_S6_S6_PKS5_S8_S8_S8_S8_ffiiiiiiiiiiiii
    .private_segment_fixed_size: 0
    .sgpr_count:     48
    .sgpr_spill_count: 0
    .symbol:         _ZN5aiter35fused_qk_rmsnorm_group_quant_kernelItDB8_Li64ELi8ELi8ELb1ELb0ELb0ELb0ELb0ELb0EEEvPT0_PvPT_S6_S6_PKS5_S8_S8_S8_S8_ffiiiiiiiiiiiii.kd
    .uniform_work_group_size: 1
    .uses_dynamic_stack: false
    .vgpr_count:     27
    .vgpr_spill_count: 0
    .wavefront_size: 64
  - .agpr_count:     0
    .args:
      - .actual_access:  write_only
        .address_space:  global
        .offset:         0
        .size:           8
        .value_kind:     global_buffer
      - .actual_access:  write_only
        .address_space:  global
        .offset:         8
        .size:           8
        .value_kind:     global_buffer
      - .actual_access:  read_only
        .address_space:  global
        .offset:         16
        .size:           8
        .value_kind:     global_buffer
      - .actual_access:  write_only
        .address_space:  global
        .offset:         24
        .size:           8
        .value_kind:     global_buffer
      - .actual_access:  write_only
        .address_space:  global
        .offset:         32
        .size:           8
        .value_kind:     global_buffer
      - .actual_access:  read_only
        .address_space:  global
        .offset:         40
        .size:           8
        .value_kind:     global_buffer
      - .actual_access:  read_only
        .address_space:  global
        .offset:         48
        .size:           8
        .value_kind:     global_buffer
      - .actual_access:  read_only
        .address_space:  global
        .offset:         56
        .size:           8
        .value_kind:     global_buffer
      - .actual_access:  read_only
        .address_space:  global
        .offset:         64
        .size:           8
        .value_kind:     global_buffer
      - .actual_access:  read_only
        .address_space:  global
        .offset:         72
        .size:           8
        .value_kind:     global_buffer
      - .offset:         80
        .size:           4
        .value_kind:     by_value
      - .offset:         84
        .size:           4
        .value_kind:     by_value
      - .offset:         88
        .size:           4
        .value_kind:     by_value
      - .offset:         92
        .size:           4
        .value_kind:     by_value
      - .offset:         96
        .size:           4
        .value_kind:     by_value
      - .offset:         100
        .size:           4
        .value_kind:     by_value
      - .offset:         104
        .size:           4
        .value_kind:     by_value
      - .offset:         108
        .size:           4
        .value_kind:     by_value
      - .offset:         112
        .size:           4
        .value_kind:     by_value
      - .offset:         116
        .size:           4
        .value_kind:     by_value
      - .offset:         120
        .size:           4
        .value_kind:     by_value
      - .offset:         124
        .size:           4
        .value_kind:     by_value
      - .offset:         128
        .size:           4
        .value_kind:     by_value
      - .offset:         132
        .size:           4
        .value_kind:     by_value
      - .offset:         136
        .size:           4
        .value_kind:     by_value
      - .offset:         144
        .size:           4
        .value_kind:     hidden_block_count_x
      - .offset:         148
        .size:           4
        .value_kind:     hidden_block_count_y
      - .offset:         152
        .size:           4
        .value_kind:     hidden_block_count_z
      - .offset:         156
        .size:           2
        .value_kind:     hidden_group_size_x
      - .offset:         158
        .size:           2
        .value_kind:     hidden_group_size_y
      - .offset:         160
        .size:           2
        .value_kind:     hidden_group_size_z
      - .offset:         162
        .size:           2
        .value_kind:     hidden_remainder_x
      - .offset:         164
        .size:           2
        .value_kind:     hidden_remainder_y
      - .offset:         166
        .size:           2
        .value_kind:     hidden_remainder_z
      - .offset:         184
        .size:           8
        .value_kind:     hidden_global_offset_x
      - .offset:         192
        .size:           8
        .value_kind:     hidden_global_offset_y
      - .offset:         200
        .size:           8
        .value_kind:     hidden_global_offset_z
      - .offset:         208
        .size:           2
        .value_kind:     hidden_grid_dims
    .group_segment_fixed_size: 0
    .kernarg_segment_align: 8
    .kernarg_segment_size: 400
    .language:       OpenCL C
    .language_version:
      - 2
      - 0
    .max_flat_workgroup_size: 1024
    .name:           _ZN5aiter35fused_qk_rmsnorm_group_quant_kernelIDF16_N4opus5fp4_tELi64ELi8ELi8ELb1ELb0ELb0ELb0ELb0ELb0EEEvPT0_PvPT_S7_S7_PKS6_S9_S9_S9_S9_ffiiiiiiiiiiiii
    .private_segment_fixed_size: 0
    .sgpr_count:     44
    .sgpr_spill_count: 0
    .symbol:         _ZN5aiter35fused_qk_rmsnorm_group_quant_kernelIDF16_N4opus5fp4_tELi64ELi8ELi8ELb1ELb0ELb0ELb0ELb0ELb0EEEvPT0_PvPT_S7_S7_PKS6_S9_S9_S9_S9_ffiiiiiiiiiiiii.kd
    .uniform_work_group_size: 1
    .uses_dynamic_stack: false
    .vgpr_count:     27
    .vgpr_spill_count: 0
    .wavefront_size: 64
  - .agpr_count:     0
    .args:
      - .actual_access:  write_only
        .address_space:  global
        .offset:         0
        .size:           8
        .value_kind:     global_buffer
      - .actual_access:  write_only
        .address_space:  global
        .offset:         8
        .size:           8
        .value_kind:     global_buffer
      - .actual_access:  read_only
        .address_space:  global
        .offset:         16
        .size:           8
        .value_kind:     global_buffer
      - .actual_access:  write_only
        .address_space:  global
        .offset:         24
        .size:           8
        .value_kind:     global_buffer
      - .actual_access:  write_only
        .address_space:  global
        .offset:         32
        .size:           8
        .value_kind:     global_buffer
      - .actual_access:  read_only
        .address_space:  global
        .offset:         40
        .size:           8
        .value_kind:     global_buffer
      - .actual_access:  read_only
        .address_space:  global
        .offset:         48
        .size:           8
        .value_kind:     global_buffer
      - .actual_access:  read_only
        .address_space:  global
        .offset:         56
        .size:           8
        .value_kind:     global_buffer
      - .actual_access:  read_only
        .address_space:  global
        .offset:         64
        .size:           8
        .value_kind:     global_buffer
      - .actual_access:  read_only
        .address_space:  global
        .offset:         72
        .size:           8
        .value_kind:     global_buffer
      - .offset:         80
        .size:           4
        .value_kind:     by_value
      - .offset:         84
        .size:           4
        .value_kind:     by_value
      - .offset:         88
        .size:           4
        .value_kind:     by_value
      - .offset:         92
        .size:           4
        .value_kind:     by_value
      - .offset:         96
        .size:           4
        .value_kind:     by_value
      - .offset:         100
        .size:           4
        .value_kind:     by_value
      - .offset:         104
        .size:           4
        .value_kind:     by_value
      - .offset:         108
        .size:           4
        .value_kind:     by_value
      - .offset:         112
        .size:           4
        .value_kind:     by_value
      - .offset:         116
        .size:           4
        .value_kind:     by_value
      - .offset:         120
        .size:           4
        .value_kind:     by_value
      - .offset:         124
        .size:           4
        .value_kind:     by_value
      - .offset:         128
        .size:           4
        .value_kind:     by_value
      - .offset:         132
        .size:           4
        .value_kind:     by_value
      - .offset:         136
        .size:           4
        .value_kind:     by_value
      - .offset:         144
        .size:           4
        .value_kind:     hidden_block_count_x
      - .offset:         148
        .size:           4
        .value_kind:     hidden_block_count_y
      - .offset:         152
        .size:           4
        .value_kind:     hidden_block_count_z
      - .offset:         156
        .size:           2
        .value_kind:     hidden_group_size_x
      - .offset:         158
        .size:           2
        .value_kind:     hidden_group_size_y
      - .offset:         160
        .size:           2
        .value_kind:     hidden_group_size_z
      - .offset:         162
        .size:           2
        .value_kind:     hidden_remainder_x
      - .offset:         164
        .size:           2
        .value_kind:     hidden_remainder_y
      - .offset:         166
        .size:           2
        .value_kind:     hidden_remainder_z
      - .offset:         184
        .size:           8
        .value_kind:     hidden_global_offset_x
      - .offset:         192
        .size:           8
        .value_kind:     hidden_global_offset_y
      - .offset:         200
        .size:           8
        .value_kind:     hidden_global_offset_z
      - .offset:         208
        .size:           2
        .value_kind:     hidden_grid_dims
    .group_segment_fixed_size: 0
    .kernarg_segment_align: 8
    .kernarg_segment_size: 400
    .language:       OpenCL C
    .language_version:
      - 2
      - 0
    .max_flat_workgroup_size: 1024
    .name:           _ZN5aiter35fused_qk_rmsnorm_group_quant_kernelItN4opus5fp4_tELi64ELi8ELi8ELb1ELb0ELb0ELb0ELb0ELb0EEEvPT0_PvPT_S7_S7_PKS6_S9_S9_S9_S9_ffiiiiiiiiiiiii
    .private_segment_fixed_size: 0
    .sgpr_count:     48
    .sgpr_spill_count: 0
    .symbol:         _ZN5aiter35fused_qk_rmsnorm_group_quant_kernelItN4opus5fp4_tELi64ELi8ELi8ELb1ELb0ELb0ELb0ELb0ELb0EEEvPT0_PvPT_S7_S7_PKS6_S9_S9_S9_S9_ffiiiiiiiiiiiii.kd
    .uniform_work_group_size: 1
    .uses_dynamic_stack: false
    .vgpr_count:     27
    .vgpr_spill_count: 0
    .wavefront_size: 64
  - .agpr_count:     0
    .args:
      - .actual_access:  write_only
        .address_space:  global
        .offset:         0
        .size:           8
        .value_kind:     global_buffer
      - .actual_access:  write_only
        .address_space:  global
        .offset:         8
        .size:           8
        .value_kind:     global_buffer
      - .actual_access:  write_only
        .address_space:  global
        .offset:         16
        .size:           8
        .value_kind:     global_buffer
      - .actual_access:  write_only
        .address_space:  global
        .offset:         24
        .size:           8
        .value_kind:     global_buffer
      - .actual_access:  read_only
        .address_space:  global
        .offset:         32
        .size:           8
        .value_kind:     global_buffer
      - .actual_access:  read_only
        .address_space:  global
        .offset:         40
        .size:           8
        .value_kind:     global_buffer
      - .actual_access:  read_only
        .address_space:  global
        .offset:         48
        .size:           8
        .value_kind:     global_buffer
      - .actual_access:  read_only
        .address_space:  global
        .offset:         56
        .size:           8
        .value_kind:     global_buffer
      - .actual_access:  read_only
        .address_space:  global
        .offset:         64
        .size:           8
        .value_kind:     global_buffer
      - .actual_access:  read_only
        .address_space:  global
        .offset:         72
        .size:           8
        .value_kind:     global_buffer
      - .offset:         80
        .size:           4
        .value_kind:     by_value
      - .offset:         84
        .size:           4
        .value_kind:     by_value
      - .offset:         88
        .size:           4
        .value_kind:     by_value
      - .offset:         92
        .size:           4
        .value_kind:     by_value
      - .offset:         96
        .size:           4
        .value_kind:     by_value
      - .offset:         100
        .size:           4
        .value_kind:     by_value
      - .offset:         104
        .size:           4
        .value_kind:     by_value
      - .offset:         108
        .size:           4
        .value_kind:     by_value
      - .offset:         112
        .size:           4
        .value_kind:     by_value
      - .offset:         116
        .size:           4
        .value_kind:     by_value
      - .offset:         120
        .size:           4
        .value_kind:     by_value
      - .offset:         124
        .size:           4
        .value_kind:     by_value
      - .offset:         128
        .size:           4
        .value_kind:     by_value
      - .offset:         132
        .size:           4
        .value_kind:     by_value
      - .offset:         136
        .size:           4
        .value_kind:     by_value
      - .offset:         144
        .size:           4
        .value_kind:     hidden_block_count_x
      - .offset:         148
        .size:           4
        .value_kind:     hidden_block_count_y
      - .offset:         152
        .size:           4
        .value_kind:     hidden_block_count_z
      - .offset:         156
        .size:           2
        .value_kind:     hidden_group_size_x
      - .offset:         158
        .size:           2
        .value_kind:     hidden_group_size_y
      - .offset:         160
        .size:           2
        .value_kind:     hidden_group_size_z
      - .offset:         162
        .size:           2
        .value_kind:     hidden_remainder_x
      - .offset:         164
        .size:           2
        .value_kind:     hidden_remainder_y
      - .offset:         166
        .size:           2
        .value_kind:     hidden_remainder_z
      - .offset:         184
        .size:           8
        .value_kind:     hidden_global_offset_x
      - .offset:         192
        .size:           8
        .value_kind:     hidden_global_offset_y
      - .offset:         200
        .size:           8
        .value_kind:     hidden_global_offset_z
      - .offset:         208
        .size:           2
        .value_kind:     hidden_grid_dims
    .group_segment_fixed_size: 0
    .kernarg_segment_align: 8
    .kernarg_segment_size: 400
    .language:       OpenCL C
    .language_version:
      - 2
      - 0
    .max_flat_workgroup_size: 1024
    .name:           _ZN5aiter35fused_qk_rmsnorm_group_quant_kernelIDF16_DB8_Li64ELi8ELi8ELb0ELb1ELb1ELb0ELb0ELb0EEEvPT0_PvPT_S6_S6_PKS5_S8_S8_S8_S8_ffiiiiiiiiiiiii
    .private_segment_fixed_size: 0
    .sgpr_count:     36
    .sgpr_spill_count: 0
    .symbol:         _ZN5aiter35fused_qk_rmsnorm_group_quant_kernelIDF16_DB8_Li64ELi8ELi8ELb0ELb1ELb1ELb0ELb0ELb0EEEvPT0_PvPT_S6_S6_PKS5_S8_S8_S8_S8_ffiiiiiiiiiiiii.kd
    .uniform_work_group_size: 1
    .uses_dynamic_stack: false
    .vgpr_count:     23
    .vgpr_spill_count: 0
    .wavefront_size: 64
  - .agpr_count:     0
    .args:
      - .actual_access:  write_only
        .address_space:  global
        .offset:         0
        .size:           8
        .value_kind:     global_buffer
      - .actual_access:  write_only
        .address_space:  global
        .offset:         8
        .size:           8
        .value_kind:     global_buffer
      - .actual_access:  write_only
        .address_space:  global
        .offset:         16
        .size:           8
        .value_kind:     global_buffer
      - .actual_access:  write_only
        .address_space:  global
        .offset:         24
        .size:           8
        .value_kind:     global_buffer
      - .actual_access:  read_only
        .address_space:  global
        .offset:         32
        .size:           8
        .value_kind:     global_buffer
      - .actual_access:  read_only
        .address_space:  global
        .offset:         40
        .size:           8
        .value_kind:     global_buffer
      - .actual_access:  read_only
        .address_space:  global
        .offset:         48
        .size:           8
        .value_kind:     global_buffer
      - .actual_access:  read_only
        .address_space:  global
        .offset:         56
        .size:           8
        .value_kind:     global_buffer
      - .actual_access:  read_only
        .address_space:  global
        .offset:         64
        .size:           8
        .value_kind:     global_buffer
      - .actual_access:  read_only
        .address_space:  global
        .offset:         72
        .size:           8
        .value_kind:     global_buffer
      - .offset:         80
        .size:           4
        .value_kind:     by_value
      - .offset:         84
        .size:           4
        .value_kind:     by_value
      - .offset:         88
        .size:           4
        .value_kind:     by_value
      - .offset:         92
        .size:           4
        .value_kind:     by_value
      - .offset:         96
        .size:           4
        .value_kind:     by_value
      - .offset:         100
        .size:           4
        .value_kind:     by_value
      - .offset:         104
        .size:           4
        .value_kind:     by_value
      - .offset:         108
        .size:           4
        .value_kind:     by_value
      - .offset:         112
        .size:           4
        .value_kind:     by_value
      - .offset:         116
        .size:           4
        .value_kind:     by_value
      - .offset:         120
        .size:           4
        .value_kind:     by_value
      - .offset:         124
        .size:           4
        .value_kind:     by_value
      - .offset:         128
        .size:           4
        .value_kind:     by_value
      - .offset:         132
        .size:           4
        .value_kind:     by_value
      - .offset:         136
        .size:           4
        .value_kind:     by_value
      - .offset:         144
        .size:           4
        .value_kind:     hidden_block_count_x
      - .offset:         148
        .size:           4
        .value_kind:     hidden_block_count_y
      - .offset:         152
        .size:           4
        .value_kind:     hidden_block_count_z
      - .offset:         156
        .size:           2
        .value_kind:     hidden_group_size_x
      - .offset:         158
        .size:           2
        .value_kind:     hidden_group_size_y
      - .offset:         160
        .size:           2
        .value_kind:     hidden_group_size_z
      - .offset:         162
        .size:           2
        .value_kind:     hidden_remainder_x
      - .offset:         164
        .size:           2
        .value_kind:     hidden_remainder_y
      - .offset:         166
        .size:           2
        .value_kind:     hidden_remainder_z
      - .offset:         184
        .size:           8
        .value_kind:     hidden_global_offset_x
      - .offset:         192
        .size:           8
        .value_kind:     hidden_global_offset_y
      - .offset:         200
        .size:           8
        .value_kind:     hidden_global_offset_z
      - .offset:         208
        .size:           2
        .value_kind:     hidden_grid_dims
    .group_segment_fixed_size: 0
    .kernarg_segment_align: 8
    .kernarg_segment_size: 400
    .language:       OpenCL C
    .language_version:
      - 2
      - 0
    .max_flat_workgroup_size: 1024
    .name:           _ZN5aiter35fused_qk_rmsnorm_group_quant_kernelItDB8_Li64ELi8ELi8ELb0ELb1ELb1ELb0ELb0ELb0EEEvPT0_PvPT_S6_S6_PKS5_S8_S8_S8_S8_ffiiiiiiiiiiiii
    .private_segment_fixed_size: 0
    .sgpr_count:     36
    .sgpr_spill_count: 0
    .symbol:         _ZN5aiter35fused_qk_rmsnorm_group_quant_kernelItDB8_Li64ELi8ELi8ELb0ELb1ELb1ELb0ELb0ELb0EEEvPT0_PvPT_S6_S6_PKS5_S8_S8_S8_S8_ffiiiiiiiiiiiii.kd
    .uniform_work_group_size: 1
    .uses_dynamic_stack: false
    .vgpr_count:     23
    .vgpr_spill_count: 0
    .wavefront_size: 64
  - .agpr_count:     0
    .args:
      - .actual_access:  write_only
        .address_space:  global
        .offset:         0
        .size:           8
        .value_kind:     global_buffer
      - .actual_access:  write_only
        .address_space:  global
        .offset:         8
        .size:           8
        .value_kind:     global_buffer
      - .actual_access:  write_only
        .address_space:  global
        .offset:         16
        .size:           8
        .value_kind:     global_buffer
      - .actual_access:  write_only
        .address_space:  global
        .offset:         24
        .size:           8
        .value_kind:     global_buffer
      - .actual_access:  read_only
        .address_space:  global
        .offset:         32
        .size:           8
        .value_kind:     global_buffer
      - .actual_access:  read_only
        .address_space:  global
        .offset:         40
        .size:           8
        .value_kind:     global_buffer
      - .actual_access:  read_only
        .address_space:  global
        .offset:         48
        .size:           8
        .value_kind:     global_buffer
      - .actual_access:  read_only
        .address_space:  global
        .offset:         56
        .size:           8
        .value_kind:     global_buffer
      - .actual_access:  read_only
        .address_space:  global
        .offset:         64
        .size:           8
        .value_kind:     global_buffer
      - .actual_access:  read_only
        .address_space:  global
        .offset:         72
        .size:           8
        .value_kind:     global_buffer
      - .offset:         80
        .size:           4
        .value_kind:     by_value
      - .offset:         84
        .size:           4
        .value_kind:     by_value
      - .offset:         88
        .size:           4
        .value_kind:     by_value
      - .offset:         92
        .size:           4
        .value_kind:     by_value
      - .offset:         96
        .size:           4
        .value_kind:     by_value
      - .offset:         100
        .size:           4
        .value_kind:     by_value
      - .offset:         104
        .size:           4
        .value_kind:     by_value
      - .offset:         108
        .size:           4
        .value_kind:     by_value
      - .offset:         112
        .size:           4
        .value_kind:     by_value
      - .offset:         116
        .size:           4
        .value_kind:     by_value
      - .offset:         120
        .size:           4
        .value_kind:     by_value
      - .offset:         124
        .size:           4
        .value_kind:     by_value
      - .offset:         128
        .size:           4
        .value_kind:     by_value
      - .offset:         132
        .size:           4
        .value_kind:     by_value
      - .offset:         136
        .size:           4
        .value_kind:     by_value
      - .offset:         144
        .size:           4
        .value_kind:     hidden_block_count_x
      - .offset:         148
        .size:           4
        .value_kind:     hidden_block_count_y
      - .offset:         152
        .size:           4
        .value_kind:     hidden_block_count_z
      - .offset:         156
        .size:           2
        .value_kind:     hidden_group_size_x
      - .offset:         158
        .size:           2
        .value_kind:     hidden_group_size_y
      - .offset:         160
        .size:           2
        .value_kind:     hidden_group_size_z
      - .offset:         162
        .size:           2
        .value_kind:     hidden_remainder_x
      - .offset:         164
        .size:           2
        .value_kind:     hidden_remainder_y
      - .offset:         166
        .size:           2
        .value_kind:     hidden_remainder_z
      - .offset:         184
        .size:           8
        .value_kind:     hidden_global_offset_x
      - .offset:         192
        .size:           8
        .value_kind:     hidden_global_offset_y
      - .offset:         200
        .size:           8
        .value_kind:     hidden_global_offset_z
      - .offset:         208
        .size:           2
        .value_kind:     hidden_grid_dims
    .group_segment_fixed_size: 0
    .kernarg_segment_align: 8
    .kernarg_segment_size: 400
    .language:       OpenCL C
    .language_version:
      - 2
      - 0
    .max_flat_workgroup_size: 1024
    .name:           _ZN5aiter35fused_qk_rmsnorm_group_quant_kernelIDF16_N4opus5fp4_tELi64ELi8ELi8ELb0ELb1ELb1ELb0ELb0ELb0EEEvPT0_PvPT_S7_S7_PKS6_S9_S9_S9_S9_ffiiiiiiiiiiiii
    .private_segment_fixed_size: 0
    .sgpr_count:     36
    .sgpr_spill_count: 0
    .symbol:         _ZN5aiter35fused_qk_rmsnorm_group_quant_kernelIDF16_N4opus5fp4_tELi64ELi8ELi8ELb0ELb1ELb1ELb0ELb0ELb0EEEvPT0_PvPT_S7_S7_PKS6_S9_S9_S9_S9_ffiiiiiiiiiiiii.kd
    .uniform_work_group_size: 1
    .uses_dynamic_stack: false
    .vgpr_count:     23
    .vgpr_spill_count: 0
    .wavefront_size: 64
  - .agpr_count:     0
    .args:
      - .actual_access:  write_only
        .address_space:  global
        .offset:         0
        .size:           8
        .value_kind:     global_buffer
      - .actual_access:  write_only
        .address_space:  global
        .offset:         8
        .size:           8
        .value_kind:     global_buffer
      - .actual_access:  write_only
        .address_space:  global
        .offset:         16
        .size:           8
        .value_kind:     global_buffer
      - .actual_access:  write_only
        .address_space:  global
        .offset:         24
        .size:           8
        .value_kind:     global_buffer
      - .actual_access:  read_only
        .address_space:  global
        .offset:         32
        .size:           8
        .value_kind:     global_buffer
      - .actual_access:  read_only
        .address_space:  global
        .offset:         40
        .size:           8
        .value_kind:     global_buffer
      - .actual_access:  read_only
        .address_space:  global
        .offset:         48
        .size:           8
        .value_kind:     global_buffer
      - .actual_access:  read_only
        .address_space:  global
        .offset:         56
        .size:           8
        .value_kind:     global_buffer
      - .actual_access:  read_only
        .address_space:  global
        .offset:         64
        .size:           8
        .value_kind:     global_buffer
      - .actual_access:  read_only
        .address_space:  global
        .offset:         72
        .size:           8
        .value_kind:     global_buffer
      - .offset:         80
        .size:           4
        .value_kind:     by_value
      - .offset:         84
        .size:           4
        .value_kind:     by_value
      - .offset:         88
        .size:           4
        .value_kind:     by_value
      - .offset:         92
        .size:           4
        .value_kind:     by_value
      - .offset:         96
        .size:           4
        .value_kind:     by_value
      - .offset:         100
        .size:           4
        .value_kind:     by_value
      - .offset:         104
        .size:           4
        .value_kind:     by_value
      - .offset:         108
        .size:           4
        .value_kind:     by_value
      - .offset:         112
        .size:           4
        .value_kind:     by_value
      - .offset:         116
        .size:           4
        .value_kind:     by_value
      - .offset:         120
        .size:           4
        .value_kind:     by_value
      - .offset:         124
        .size:           4
        .value_kind:     by_value
      - .offset:         128
        .size:           4
        .value_kind:     by_value
      - .offset:         132
        .size:           4
        .value_kind:     by_value
      - .offset:         136
        .size:           4
        .value_kind:     by_value
      - .offset:         144
        .size:           4
        .value_kind:     hidden_block_count_x
      - .offset:         148
        .size:           4
        .value_kind:     hidden_block_count_y
      - .offset:         152
        .size:           4
        .value_kind:     hidden_block_count_z
      - .offset:         156
        .size:           2
        .value_kind:     hidden_group_size_x
      - .offset:         158
        .size:           2
        .value_kind:     hidden_group_size_y
      - .offset:         160
        .size:           2
        .value_kind:     hidden_group_size_z
      - .offset:         162
        .size:           2
        .value_kind:     hidden_remainder_x
      - .offset:         164
        .size:           2
        .value_kind:     hidden_remainder_y
      - .offset:         166
        .size:           2
        .value_kind:     hidden_remainder_z
      - .offset:         184
        .size:           8
        .value_kind:     hidden_global_offset_x
      - .offset:         192
        .size:           8
        .value_kind:     hidden_global_offset_y
      - .offset:         200
        .size:           8
        .value_kind:     hidden_global_offset_z
      - .offset:         208
        .size:           2
        .value_kind:     hidden_grid_dims
    .group_segment_fixed_size: 0
    .kernarg_segment_align: 8
    .kernarg_segment_size: 400
    .language:       OpenCL C
    .language_version:
      - 2
      - 0
    .max_flat_workgroup_size: 1024
    .name:           _ZN5aiter35fused_qk_rmsnorm_group_quant_kernelItN4opus5fp4_tELi64ELi8ELi8ELb0ELb1ELb1ELb0ELb0ELb0EEEvPT0_PvPT_S7_S7_PKS6_S9_S9_S9_S9_ffiiiiiiiiiiiii
    .private_segment_fixed_size: 0
    .sgpr_count:     36
    .sgpr_spill_count: 0
    .symbol:         _ZN5aiter35fused_qk_rmsnorm_group_quant_kernelItN4opus5fp4_tELi64ELi8ELi8ELb0ELb1ELb1ELb0ELb0ELb0EEEvPT0_PvPT_S7_S7_PKS6_S9_S9_S9_S9_ffiiiiiiiiiiiii.kd
    .uniform_work_group_size: 1
    .uses_dynamic_stack: false
    .vgpr_count:     23
    .vgpr_spill_count: 0
    .wavefront_size: 64
  - .agpr_count:     0
    .args:
      - .actual_access:  write_only
        .address_space:  global
        .offset:         0
        .size:           8
        .value_kind:     global_buffer
      - .actual_access:  write_only
        .address_space:  global
        .offset:         8
        .size:           8
        .value_kind:     global_buffer
      - .actual_access:  write_only
        .address_space:  global
        .offset:         16
        .size:           8
        .value_kind:     global_buffer
      - .actual_access:  write_only
        .address_space:  global
        .offset:         24
        .size:           8
        .value_kind:     global_buffer
      - .actual_access:  read_only
        .address_space:  global
        .offset:         32
        .size:           8
        .value_kind:     global_buffer
      - .actual_access:  read_only
        .address_space:  global
        .offset:         40
        .size:           8
        .value_kind:     global_buffer
      - .actual_access:  read_only
        .address_space:  global
        .offset:         48
        .size:           8
        .value_kind:     global_buffer
      - .actual_access:  read_only
        .address_space:  global
        .offset:         56
        .size:           8
        .value_kind:     global_buffer
      - .actual_access:  read_only
        .address_space:  global
        .offset:         64
        .size:           8
        .value_kind:     global_buffer
      - .actual_access:  read_only
        .address_space:  global
        .offset:         72
        .size:           8
        .value_kind:     global_buffer
      - .offset:         80
        .size:           4
        .value_kind:     by_value
      - .offset:         84
        .size:           4
        .value_kind:     by_value
      - .offset:         88
        .size:           4
        .value_kind:     by_value
      - .offset:         92
        .size:           4
        .value_kind:     by_value
      - .offset:         96
        .size:           4
        .value_kind:     by_value
      - .offset:         100
        .size:           4
        .value_kind:     by_value
      - .offset:         104
        .size:           4
        .value_kind:     by_value
      - .offset:         108
        .size:           4
        .value_kind:     by_value
      - .offset:         112
        .size:           4
        .value_kind:     by_value
      - .offset:         116
        .size:           4
        .value_kind:     by_value
      - .offset:         120
        .size:           4
        .value_kind:     by_value
      - .offset:         124
        .size:           4
        .value_kind:     by_value
      - .offset:         128
        .size:           4
        .value_kind:     by_value
      - .offset:         132
        .size:           4
        .value_kind:     by_value
      - .offset:         136
        .size:           4
        .value_kind:     by_value
      - .offset:         144
        .size:           4
        .value_kind:     hidden_block_count_x
      - .offset:         148
        .size:           4
        .value_kind:     hidden_block_count_y
      - .offset:         152
        .size:           4
        .value_kind:     hidden_block_count_z
      - .offset:         156
        .size:           2
        .value_kind:     hidden_group_size_x
      - .offset:         158
        .size:           2
        .value_kind:     hidden_group_size_y
      - .offset:         160
        .size:           2
        .value_kind:     hidden_group_size_z
      - .offset:         162
        .size:           2
        .value_kind:     hidden_remainder_x
      - .offset:         164
        .size:           2
        .value_kind:     hidden_remainder_y
      - .offset:         166
        .size:           2
        .value_kind:     hidden_remainder_z
      - .offset:         184
        .size:           8
        .value_kind:     hidden_global_offset_x
      - .offset:         192
        .size:           8
        .value_kind:     hidden_global_offset_y
      - .offset:         200
        .size:           8
        .value_kind:     hidden_global_offset_z
      - .offset:         208
        .size:           2
        .value_kind:     hidden_grid_dims
    .group_segment_fixed_size: 0
    .kernarg_segment_align: 8
    .kernarg_segment_size: 400
    .language:       OpenCL C
    .language_version:
      - 2
      - 0
    .max_flat_workgroup_size: 1024
    .name:           _ZN5aiter35fused_qk_rmsnorm_group_quant_kernelIDF16_DB8_Li64ELi8ELi8ELb0ELb1ELb0ELb0ELb0ELb0EEEvPT0_PvPT_S6_S6_PKS5_S8_S8_S8_S8_ffiiiiiiiiiiiii
    .private_segment_fixed_size: 0
    .sgpr_count:     36
    .sgpr_spill_count: 0
    .symbol:         _ZN5aiter35fused_qk_rmsnorm_group_quant_kernelIDF16_DB8_Li64ELi8ELi8ELb0ELb1ELb0ELb0ELb0ELb0EEEvPT0_PvPT_S6_S6_PKS5_S8_S8_S8_S8_ffiiiiiiiiiiiii.kd
    .uniform_work_group_size: 1
    .uses_dynamic_stack: false
    .vgpr_count:     23
    .vgpr_spill_count: 0
    .wavefront_size: 64
  - .agpr_count:     0
    .args:
      - .actual_access:  write_only
        .address_space:  global
        .offset:         0
        .size:           8
        .value_kind:     global_buffer
      - .actual_access:  write_only
        .address_space:  global
        .offset:         8
        .size:           8
        .value_kind:     global_buffer
      - .actual_access:  write_only
        .address_space:  global
        .offset:         16
        .size:           8
        .value_kind:     global_buffer
      - .actual_access:  write_only
        .address_space:  global
        .offset:         24
        .size:           8
        .value_kind:     global_buffer
      - .actual_access:  read_only
        .address_space:  global
        .offset:         32
        .size:           8
        .value_kind:     global_buffer
      - .actual_access:  read_only
        .address_space:  global
        .offset:         40
        .size:           8
        .value_kind:     global_buffer
      - .actual_access:  read_only
        .address_space:  global
        .offset:         48
        .size:           8
        .value_kind:     global_buffer
      - .actual_access:  read_only
        .address_space:  global
        .offset:         56
        .size:           8
        .value_kind:     global_buffer
      - .actual_access:  read_only
        .address_space:  global
        .offset:         64
        .size:           8
        .value_kind:     global_buffer
      - .actual_access:  read_only
        .address_space:  global
        .offset:         72
        .size:           8
        .value_kind:     global_buffer
      - .offset:         80
        .size:           4
        .value_kind:     by_value
      - .offset:         84
        .size:           4
        .value_kind:     by_value
      - .offset:         88
        .size:           4
        .value_kind:     by_value
      - .offset:         92
        .size:           4
        .value_kind:     by_value
      - .offset:         96
        .size:           4
        .value_kind:     by_value
      - .offset:         100
        .size:           4
        .value_kind:     by_value
      - .offset:         104
        .size:           4
        .value_kind:     by_value
      - .offset:         108
        .size:           4
        .value_kind:     by_value
      - .offset:         112
        .size:           4
        .value_kind:     by_value
      - .offset:         116
        .size:           4
        .value_kind:     by_value
      - .offset:         120
        .size:           4
        .value_kind:     by_value
      - .offset:         124
        .size:           4
        .value_kind:     by_value
      - .offset:         128
        .size:           4
        .value_kind:     by_value
      - .offset:         132
        .size:           4
        .value_kind:     by_value
      - .offset:         136
        .size:           4
        .value_kind:     by_value
      - .offset:         144
        .size:           4
        .value_kind:     hidden_block_count_x
      - .offset:         148
        .size:           4
        .value_kind:     hidden_block_count_y
      - .offset:         152
        .size:           4
        .value_kind:     hidden_block_count_z
      - .offset:         156
        .size:           2
        .value_kind:     hidden_group_size_x
      - .offset:         158
        .size:           2
        .value_kind:     hidden_group_size_y
      - .offset:         160
        .size:           2
        .value_kind:     hidden_group_size_z
      - .offset:         162
        .size:           2
        .value_kind:     hidden_remainder_x
      - .offset:         164
        .size:           2
        .value_kind:     hidden_remainder_y
      - .offset:         166
        .size:           2
        .value_kind:     hidden_remainder_z
      - .offset:         184
        .size:           8
        .value_kind:     hidden_global_offset_x
      - .offset:         192
        .size:           8
        .value_kind:     hidden_global_offset_y
      - .offset:         200
        .size:           8
        .value_kind:     hidden_global_offset_z
      - .offset:         208
        .size:           2
        .value_kind:     hidden_grid_dims
    .group_segment_fixed_size: 0
    .kernarg_segment_align: 8
    .kernarg_segment_size: 400
    .language:       OpenCL C
    .language_version:
      - 2
      - 0
    .max_flat_workgroup_size: 1024
    .name:           _ZN5aiter35fused_qk_rmsnorm_group_quant_kernelItDB8_Li64ELi8ELi8ELb0ELb1ELb0ELb0ELb0ELb0EEEvPT0_PvPT_S6_S6_PKS5_S8_S8_S8_S8_ffiiiiiiiiiiiii
    .private_segment_fixed_size: 0
    .sgpr_count:     36
    .sgpr_spill_count: 0
    .symbol:         _ZN5aiter35fused_qk_rmsnorm_group_quant_kernelItDB8_Li64ELi8ELi8ELb0ELb1ELb0ELb0ELb0ELb0EEEvPT0_PvPT_S6_S6_PKS5_S8_S8_S8_S8_ffiiiiiiiiiiiii.kd
    .uniform_work_group_size: 1
    .uses_dynamic_stack: false
    .vgpr_count:     23
    .vgpr_spill_count: 0
    .wavefront_size: 64
  - .agpr_count:     0
    .args:
      - .actual_access:  write_only
        .address_space:  global
        .offset:         0
        .size:           8
        .value_kind:     global_buffer
      - .actual_access:  write_only
        .address_space:  global
        .offset:         8
        .size:           8
        .value_kind:     global_buffer
      - .actual_access:  write_only
        .address_space:  global
        .offset:         16
        .size:           8
        .value_kind:     global_buffer
      - .actual_access:  write_only
        .address_space:  global
        .offset:         24
        .size:           8
        .value_kind:     global_buffer
      - .actual_access:  read_only
        .address_space:  global
        .offset:         32
        .size:           8
        .value_kind:     global_buffer
      - .actual_access:  read_only
        .address_space:  global
        .offset:         40
        .size:           8
        .value_kind:     global_buffer
      - .actual_access:  read_only
        .address_space:  global
        .offset:         48
        .size:           8
        .value_kind:     global_buffer
      - .actual_access:  read_only
        .address_space:  global
        .offset:         56
        .size:           8
        .value_kind:     global_buffer
      - .actual_access:  read_only
        .address_space:  global
        .offset:         64
        .size:           8
        .value_kind:     global_buffer
      - .actual_access:  read_only
        .address_space:  global
        .offset:         72
        .size:           8
        .value_kind:     global_buffer
      - .offset:         80
        .size:           4
        .value_kind:     by_value
      - .offset:         84
        .size:           4
        .value_kind:     by_value
      - .offset:         88
        .size:           4
        .value_kind:     by_value
      - .offset:         92
        .size:           4
        .value_kind:     by_value
      - .offset:         96
        .size:           4
        .value_kind:     by_value
      - .offset:         100
        .size:           4
        .value_kind:     by_value
      - .offset:         104
        .size:           4
        .value_kind:     by_value
      - .offset:         108
        .size:           4
        .value_kind:     by_value
      - .offset:         112
        .size:           4
        .value_kind:     by_value
      - .offset:         116
        .size:           4
        .value_kind:     by_value
      - .offset:         120
        .size:           4
        .value_kind:     by_value
      - .offset:         124
        .size:           4
        .value_kind:     by_value
      - .offset:         128
        .size:           4
        .value_kind:     by_value
      - .offset:         132
        .size:           4
        .value_kind:     by_value
      - .offset:         136
        .size:           4
        .value_kind:     by_value
      - .offset:         144
        .size:           4
        .value_kind:     hidden_block_count_x
      - .offset:         148
        .size:           4
        .value_kind:     hidden_block_count_y
      - .offset:         152
        .size:           4
        .value_kind:     hidden_block_count_z
      - .offset:         156
        .size:           2
        .value_kind:     hidden_group_size_x
      - .offset:         158
        .size:           2
        .value_kind:     hidden_group_size_y
      - .offset:         160
        .size:           2
        .value_kind:     hidden_group_size_z
      - .offset:         162
        .size:           2
        .value_kind:     hidden_remainder_x
      - .offset:         164
        .size:           2
        .value_kind:     hidden_remainder_y
      - .offset:         166
        .size:           2
        .value_kind:     hidden_remainder_z
      - .offset:         184
        .size:           8
        .value_kind:     hidden_global_offset_x
      - .offset:         192
        .size:           8
        .value_kind:     hidden_global_offset_y
      - .offset:         200
        .size:           8
        .value_kind:     hidden_global_offset_z
      - .offset:         208
        .size:           2
        .value_kind:     hidden_grid_dims
    .group_segment_fixed_size: 0
    .kernarg_segment_align: 8
    .kernarg_segment_size: 400
    .language:       OpenCL C
    .language_version:
      - 2
      - 0
    .max_flat_workgroup_size: 1024
    .name:           _ZN5aiter35fused_qk_rmsnorm_group_quant_kernelIDF16_N4opus5fp4_tELi64ELi8ELi8ELb0ELb1ELb0ELb0ELb0ELb0EEEvPT0_PvPT_S7_S7_PKS6_S9_S9_S9_S9_ffiiiiiiiiiiiii
    .private_segment_fixed_size: 0
    .sgpr_count:     36
    .sgpr_spill_count: 0
    .symbol:         _ZN5aiter35fused_qk_rmsnorm_group_quant_kernelIDF16_N4opus5fp4_tELi64ELi8ELi8ELb0ELb1ELb0ELb0ELb0ELb0EEEvPT0_PvPT_S7_S7_PKS6_S9_S9_S9_S9_ffiiiiiiiiiiiii.kd
    .uniform_work_group_size: 1
    .uses_dynamic_stack: false
    .vgpr_count:     23
    .vgpr_spill_count: 0
    .wavefront_size: 64
  - .agpr_count:     0
    .args:
      - .actual_access:  write_only
        .address_space:  global
        .offset:         0
        .size:           8
        .value_kind:     global_buffer
      - .actual_access:  write_only
        .address_space:  global
        .offset:         8
        .size:           8
        .value_kind:     global_buffer
      - .actual_access:  write_only
        .address_space:  global
        .offset:         16
        .size:           8
        .value_kind:     global_buffer
      - .actual_access:  write_only
        .address_space:  global
        .offset:         24
        .size:           8
        .value_kind:     global_buffer
      - .actual_access:  read_only
        .address_space:  global
        .offset:         32
        .size:           8
        .value_kind:     global_buffer
      - .actual_access:  read_only
        .address_space:  global
        .offset:         40
        .size:           8
        .value_kind:     global_buffer
      - .actual_access:  read_only
        .address_space:  global
        .offset:         48
        .size:           8
        .value_kind:     global_buffer
      - .actual_access:  read_only
        .address_space:  global
        .offset:         56
        .size:           8
        .value_kind:     global_buffer
      - .actual_access:  read_only
        .address_space:  global
        .offset:         64
        .size:           8
        .value_kind:     global_buffer
      - .actual_access:  read_only
        .address_space:  global
        .offset:         72
        .size:           8
        .value_kind:     global_buffer
      - .offset:         80
        .size:           4
        .value_kind:     by_value
      - .offset:         84
        .size:           4
        .value_kind:     by_value
      - .offset:         88
        .size:           4
        .value_kind:     by_value
      - .offset:         92
        .size:           4
        .value_kind:     by_value
      - .offset:         96
        .size:           4
        .value_kind:     by_value
      - .offset:         100
        .size:           4
        .value_kind:     by_value
      - .offset:         104
        .size:           4
        .value_kind:     by_value
      - .offset:         108
        .size:           4
        .value_kind:     by_value
      - .offset:         112
        .size:           4
        .value_kind:     by_value
      - .offset:         116
        .size:           4
        .value_kind:     by_value
      - .offset:         120
        .size:           4
        .value_kind:     by_value
      - .offset:         124
        .size:           4
        .value_kind:     by_value
      - .offset:         128
        .size:           4
        .value_kind:     by_value
      - .offset:         132
        .size:           4
        .value_kind:     by_value
      - .offset:         136
        .size:           4
        .value_kind:     by_value
      - .offset:         144
        .size:           4
        .value_kind:     hidden_block_count_x
      - .offset:         148
        .size:           4
        .value_kind:     hidden_block_count_y
      - .offset:         152
        .size:           4
        .value_kind:     hidden_block_count_z
      - .offset:         156
        .size:           2
        .value_kind:     hidden_group_size_x
      - .offset:         158
        .size:           2
        .value_kind:     hidden_group_size_y
      - .offset:         160
        .size:           2
        .value_kind:     hidden_group_size_z
      - .offset:         162
        .size:           2
        .value_kind:     hidden_remainder_x
      - .offset:         164
        .size:           2
        .value_kind:     hidden_remainder_y
      - .offset:         166
        .size:           2
        .value_kind:     hidden_remainder_z
      - .offset:         184
        .size:           8
        .value_kind:     hidden_global_offset_x
      - .offset:         192
        .size:           8
        .value_kind:     hidden_global_offset_y
      - .offset:         200
        .size:           8
        .value_kind:     hidden_global_offset_z
      - .offset:         208
        .size:           2
        .value_kind:     hidden_grid_dims
    .group_segment_fixed_size: 0
    .kernarg_segment_align: 8
    .kernarg_segment_size: 400
    .language:       OpenCL C
    .language_version:
      - 2
      - 0
    .max_flat_workgroup_size: 1024
    .name:           _ZN5aiter35fused_qk_rmsnorm_group_quant_kernelItN4opus5fp4_tELi64ELi8ELi8ELb0ELb1ELb0ELb0ELb0ELb0EEEvPT0_PvPT_S7_S7_PKS6_S9_S9_S9_S9_ffiiiiiiiiiiiii
    .private_segment_fixed_size: 0
    .sgpr_count:     36
    .sgpr_spill_count: 0
    .symbol:         _ZN5aiter35fused_qk_rmsnorm_group_quant_kernelItN4opus5fp4_tELi64ELi8ELi8ELb0ELb1ELb0ELb0ELb0ELb0EEEvPT0_PvPT_S7_S7_PKS6_S9_S9_S9_S9_ffiiiiiiiiiiiii.kd
    .uniform_work_group_size: 1
    .uses_dynamic_stack: false
    .vgpr_count:     23
    .vgpr_spill_count: 0
    .wavefront_size: 64
  - .agpr_count:     0
    .args:
      - .actual_access:  write_only
        .address_space:  global
        .offset:         0
        .size:           8
        .value_kind:     global_buffer
      - .actual_access:  write_only
        .address_space:  global
        .offset:         8
        .size:           8
        .value_kind:     global_buffer
      - .actual_access:  read_only
        .address_space:  global
        .offset:         16
        .size:           8
        .value_kind:     global_buffer
      - .actual_access:  write_only
        .address_space:  global
        .offset:         24
        .size:           8
        .value_kind:     global_buffer
      - .actual_access:  read_only
        .address_space:  global
        .offset:         32
        .size:           8
        .value_kind:     global_buffer
      - .actual_access:  read_only
        .address_space:  global
        .offset:         40
        .size:           8
        .value_kind:     global_buffer
      - .actual_access:  read_only
        .address_space:  global
        .offset:         48
        .size:           8
        .value_kind:     global_buffer
      - .actual_access:  read_only
        .address_space:  global
        .offset:         56
        .size:           8
        .value_kind:     global_buffer
      - .actual_access:  read_only
        .address_space:  global
        .offset:         64
        .size:           8
        .value_kind:     global_buffer
      - .actual_access:  read_only
        .address_space:  global
        .offset:         72
        .size:           8
        .value_kind:     global_buffer
      - .offset:         80
        .size:           4
        .value_kind:     by_value
      - .offset:         84
        .size:           4
        .value_kind:     by_value
      - .offset:         88
        .size:           4
        .value_kind:     by_value
      - .offset:         92
        .size:           4
        .value_kind:     by_value
      - .offset:         96
        .size:           4
        .value_kind:     by_value
      - .offset:         100
        .size:           4
        .value_kind:     by_value
      - .offset:         104
        .size:           4
        .value_kind:     by_value
      - .offset:         108
        .size:           4
        .value_kind:     by_value
      - .offset:         112
        .size:           4
        .value_kind:     by_value
      - .offset:         116
        .size:           4
        .value_kind:     by_value
      - .offset:         120
        .size:           4
        .value_kind:     by_value
      - .offset:         124
        .size:           4
        .value_kind:     by_value
      - .offset:         128
        .size:           4
        .value_kind:     by_value
      - .offset:         132
        .size:           4
        .value_kind:     by_value
      - .offset:         136
        .size:           4
        .value_kind:     by_value
      - .offset:         144
        .size:           4
        .value_kind:     hidden_block_count_x
      - .offset:         148
        .size:           4
        .value_kind:     hidden_block_count_y
      - .offset:         152
        .size:           4
        .value_kind:     hidden_block_count_z
      - .offset:         156
        .size:           2
        .value_kind:     hidden_group_size_x
      - .offset:         158
        .size:           2
        .value_kind:     hidden_group_size_y
      - .offset:         160
        .size:           2
        .value_kind:     hidden_group_size_z
      - .offset:         162
        .size:           2
        .value_kind:     hidden_remainder_x
      - .offset:         164
        .size:           2
        .value_kind:     hidden_remainder_y
      - .offset:         166
        .size:           2
        .value_kind:     hidden_remainder_z
      - .offset:         184
        .size:           8
        .value_kind:     hidden_global_offset_x
      - .offset:         192
        .size:           8
        .value_kind:     hidden_global_offset_y
      - .offset:         200
        .size:           8
        .value_kind:     hidden_global_offset_z
      - .offset:         208
        .size:           2
        .value_kind:     hidden_grid_dims
    .group_segment_fixed_size: 0
    .kernarg_segment_align: 8
    .kernarg_segment_size: 400
    .language:       OpenCL C
    .language_version:
      - 2
      - 0
    .max_flat_workgroup_size: 1024
    .name:           _ZN5aiter35fused_qk_rmsnorm_group_quant_kernelIDF16_DB8_Li64ELi8ELi8ELb0ELb0ELb1ELb0ELb0ELb0EEEvPT0_PvPT_S6_S6_PKS5_S8_S8_S8_S8_ffiiiiiiiiiiiii
    .private_segment_fixed_size: 0
    .sgpr_count:     36
    .sgpr_spill_count: 0
    .symbol:         _ZN5aiter35fused_qk_rmsnorm_group_quant_kernelIDF16_DB8_Li64ELi8ELi8ELb0ELb0ELb1ELb0ELb0ELb0EEEvPT0_PvPT_S6_S6_PKS5_S8_S8_S8_S8_ffiiiiiiiiiiiii.kd
    .uniform_work_group_size: 1
    .uses_dynamic_stack: false
    .vgpr_count:     23
    .vgpr_spill_count: 0
    .wavefront_size: 64
  - .agpr_count:     0
    .args:
      - .actual_access:  write_only
        .address_space:  global
        .offset:         0
        .size:           8
        .value_kind:     global_buffer
      - .actual_access:  write_only
        .address_space:  global
        .offset:         8
        .size:           8
        .value_kind:     global_buffer
      - .actual_access:  read_only
        .address_space:  global
        .offset:         16
        .size:           8
        .value_kind:     global_buffer
      - .actual_access:  write_only
        .address_space:  global
        .offset:         24
        .size:           8
        .value_kind:     global_buffer
      - .actual_access:  read_only
        .address_space:  global
        .offset:         32
        .size:           8
        .value_kind:     global_buffer
      - .actual_access:  read_only
        .address_space:  global
        .offset:         40
        .size:           8
        .value_kind:     global_buffer
      - .actual_access:  read_only
        .address_space:  global
        .offset:         48
        .size:           8
        .value_kind:     global_buffer
      - .actual_access:  read_only
        .address_space:  global
        .offset:         56
        .size:           8
        .value_kind:     global_buffer
      - .actual_access:  read_only
        .address_space:  global
        .offset:         64
        .size:           8
        .value_kind:     global_buffer
      - .actual_access:  read_only
        .address_space:  global
        .offset:         72
        .size:           8
        .value_kind:     global_buffer
      - .offset:         80
        .size:           4
        .value_kind:     by_value
      - .offset:         84
        .size:           4
        .value_kind:     by_value
      - .offset:         88
        .size:           4
        .value_kind:     by_value
      - .offset:         92
        .size:           4
        .value_kind:     by_value
      - .offset:         96
        .size:           4
        .value_kind:     by_value
      - .offset:         100
        .size:           4
        .value_kind:     by_value
      - .offset:         104
        .size:           4
        .value_kind:     by_value
      - .offset:         108
        .size:           4
        .value_kind:     by_value
      - .offset:         112
        .size:           4
        .value_kind:     by_value
      - .offset:         116
        .size:           4
        .value_kind:     by_value
      - .offset:         120
        .size:           4
        .value_kind:     by_value
      - .offset:         124
        .size:           4
        .value_kind:     by_value
      - .offset:         128
        .size:           4
        .value_kind:     by_value
      - .offset:         132
        .size:           4
        .value_kind:     by_value
      - .offset:         136
        .size:           4
        .value_kind:     by_value
      - .offset:         144
        .size:           4
        .value_kind:     hidden_block_count_x
      - .offset:         148
        .size:           4
        .value_kind:     hidden_block_count_y
      - .offset:         152
        .size:           4
        .value_kind:     hidden_block_count_z
      - .offset:         156
        .size:           2
        .value_kind:     hidden_group_size_x
      - .offset:         158
        .size:           2
        .value_kind:     hidden_group_size_y
      - .offset:         160
        .size:           2
        .value_kind:     hidden_group_size_z
      - .offset:         162
        .size:           2
        .value_kind:     hidden_remainder_x
      - .offset:         164
        .size:           2
        .value_kind:     hidden_remainder_y
      - .offset:         166
        .size:           2
        .value_kind:     hidden_remainder_z
      - .offset:         184
        .size:           8
        .value_kind:     hidden_global_offset_x
      - .offset:         192
        .size:           8
        .value_kind:     hidden_global_offset_y
      - .offset:         200
        .size:           8
        .value_kind:     hidden_global_offset_z
      - .offset:         208
        .size:           2
        .value_kind:     hidden_grid_dims
    .group_segment_fixed_size: 0
    .kernarg_segment_align: 8
    .kernarg_segment_size: 400
    .language:       OpenCL C
    .language_version:
      - 2
      - 0
    .max_flat_workgroup_size: 1024
    .name:           _ZN5aiter35fused_qk_rmsnorm_group_quant_kernelItDB8_Li64ELi8ELi8ELb0ELb0ELb1ELb0ELb0ELb0EEEvPT0_PvPT_S6_S6_PKS5_S8_S8_S8_S8_ffiiiiiiiiiiiii
    .private_segment_fixed_size: 0
    .sgpr_count:     36
    .sgpr_spill_count: 0
    .symbol:         _ZN5aiter35fused_qk_rmsnorm_group_quant_kernelItDB8_Li64ELi8ELi8ELb0ELb0ELb1ELb0ELb0ELb0EEEvPT0_PvPT_S6_S6_PKS5_S8_S8_S8_S8_ffiiiiiiiiiiiii.kd
    .uniform_work_group_size: 1
    .uses_dynamic_stack: false
    .vgpr_count:     23
    .vgpr_spill_count: 0
    .wavefront_size: 64
  - .agpr_count:     0
    .args:
      - .actual_access:  write_only
        .address_space:  global
        .offset:         0
        .size:           8
        .value_kind:     global_buffer
      - .actual_access:  write_only
        .address_space:  global
        .offset:         8
        .size:           8
        .value_kind:     global_buffer
      - .actual_access:  read_only
        .address_space:  global
        .offset:         16
        .size:           8
        .value_kind:     global_buffer
      - .actual_access:  write_only
        .address_space:  global
        .offset:         24
        .size:           8
        .value_kind:     global_buffer
      - .actual_access:  read_only
        .address_space:  global
        .offset:         32
        .size:           8
        .value_kind:     global_buffer
      - .actual_access:  read_only
        .address_space:  global
        .offset:         40
        .size:           8
        .value_kind:     global_buffer
      - .actual_access:  read_only
        .address_space:  global
        .offset:         48
        .size:           8
        .value_kind:     global_buffer
      - .actual_access:  read_only
        .address_space:  global
        .offset:         56
        .size:           8
        .value_kind:     global_buffer
      - .actual_access:  read_only
        .address_space:  global
        .offset:         64
        .size:           8
        .value_kind:     global_buffer
      - .actual_access:  read_only
        .address_space:  global
        .offset:         72
        .size:           8
        .value_kind:     global_buffer
      - .offset:         80
        .size:           4
        .value_kind:     by_value
      - .offset:         84
        .size:           4
        .value_kind:     by_value
      - .offset:         88
        .size:           4
        .value_kind:     by_value
      - .offset:         92
        .size:           4
        .value_kind:     by_value
      - .offset:         96
        .size:           4
        .value_kind:     by_value
      - .offset:         100
        .size:           4
        .value_kind:     by_value
      - .offset:         104
        .size:           4
        .value_kind:     by_value
      - .offset:         108
        .size:           4
        .value_kind:     by_value
      - .offset:         112
        .size:           4
        .value_kind:     by_value
      - .offset:         116
        .size:           4
        .value_kind:     by_value
      - .offset:         120
        .size:           4
        .value_kind:     by_value
      - .offset:         124
        .size:           4
        .value_kind:     by_value
      - .offset:         128
        .size:           4
        .value_kind:     by_value
      - .offset:         132
        .size:           4
        .value_kind:     by_value
      - .offset:         136
        .size:           4
        .value_kind:     by_value
      - .offset:         144
        .size:           4
        .value_kind:     hidden_block_count_x
      - .offset:         148
        .size:           4
        .value_kind:     hidden_block_count_y
      - .offset:         152
        .size:           4
        .value_kind:     hidden_block_count_z
      - .offset:         156
        .size:           2
        .value_kind:     hidden_group_size_x
      - .offset:         158
        .size:           2
        .value_kind:     hidden_group_size_y
      - .offset:         160
        .size:           2
        .value_kind:     hidden_group_size_z
      - .offset:         162
        .size:           2
        .value_kind:     hidden_remainder_x
      - .offset:         164
        .size:           2
        .value_kind:     hidden_remainder_y
      - .offset:         166
        .size:           2
        .value_kind:     hidden_remainder_z
      - .offset:         184
        .size:           8
        .value_kind:     hidden_global_offset_x
      - .offset:         192
        .size:           8
        .value_kind:     hidden_global_offset_y
      - .offset:         200
        .size:           8
        .value_kind:     hidden_global_offset_z
      - .offset:         208
        .size:           2
        .value_kind:     hidden_grid_dims
    .group_segment_fixed_size: 0
    .kernarg_segment_align: 8
    .kernarg_segment_size: 400
    .language:       OpenCL C
    .language_version:
      - 2
      - 0
    .max_flat_workgroup_size: 1024
    .name:           _ZN5aiter35fused_qk_rmsnorm_group_quant_kernelIDF16_N4opus5fp4_tELi64ELi8ELi8ELb0ELb0ELb1ELb0ELb0ELb0EEEvPT0_PvPT_S7_S7_PKS6_S9_S9_S9_S9_ffiiiiiiiiiiiii
    .private_segment_fixed_size: 0
    .sgpr_count:     36
    .sgpr_spill_count: 0
    .symbol:         _ZN5aiter35fused_qk_rmsnorm_group_quant_kernelIDF16_N4opus5fp4_tELi64ELi8ELi8ELb0ELb0ELb1ELb0ELb0ELb0EEEvPT0_PvPT_S7_S7_PKS6_S9_S9_S9_S9_ffiiiiiiiiiiiii.kd
    .uniform_work_group_size: 1
    .uses_dynamic_stack: false
    .vgpr_count:     23
    .vgpr_spill_count: 0
    .wavefront_size: 64
  - .agpr_count:     0
    .args:
      - .actual_access:  write_only
        .address_space:  global
        .offset:         0
        .size:           8
        .value_kind:     global_buffer
      - .actual_access:  write_only
        .address_space:  global
        .offset:         8
        .size:           8
        .value_kind:     global_buffer
      - .actual_access:  read_only
        .address_space:  global
        .offset:         16
        .size:           8
        .value_kind:     global_buffer
      - .actual_access:  write_only
        .address_space:  global
        .offset:         24
        .size:           8
        .value_kind:     global_buffer
      - .actual_access:  read_only
        .address_space:  global
        .offset:         32
        .size:           8
        .value_kind:     global_buffer
      - .actual_access:  read_only
        .address_space:  global
        .offset:         40
        .size:           8
        .value_kind:     global_buffer
      - .actual_access:  read_only
        .address_space:  global
        .offset:         48
        .size:           8
        .value_kind:     global_buffer
      - .actual_access:  read_only
        .address_space:  global
        .offset:         56
        .size:           8
        .value_kind:     global_buffer
      - .actual_access:  read_only
        .address_space:  global
        .offset:         64
        .size:           8
        .value_kind:     global_buffer
      - .actual_access:  read_only
        .address_space:  global
        .offset:         72
        .size:           8
        .value_kind:     global_buffer
      - .offset:         80
        .size:           4
        .value_kind:     by_value
      - .offset:         84
        .size:           4
        .value_kind:     by_value
      - .offset:         88
        .size:           4
        .value_kind:     by_value
      - .offset:         92
        .size:           4
        .value_kind:     by_value
      - .offset:         96
        .size:           4
        .value_kind:     by_value
      - .offset:         100
        .size:           4
        .value_kind:     by_value
      - .offset:         104
        .size:           4
        .value_kind:     by_value
      - .offset:         108
        .size:           4
        .value_kind:     by_value
      - .offset:         112
        .size:           4
        .value_kind:     by_value
      - .offset:         116
        .size:           4
        .value_kind:     by_value
      - .offset:         120
        .size:           4
        .value_kind:     by_value
      - .offset:         124
        .size:           4
        .value_kind:     by_value
      - .offset:         128
        .size:           4
        .value_kind:     by_value
      - .offset:         132
        .size:           4
        .value_kind:     by_value
      - .offset:         136
        .size:           4
        .value_kind:     by_value
      - .offset:         144
        .size:           4
        .value_kind:     hidden_block_count_x
      - .offset:         148
        .size:           4
        .value_kind:     hidden_block_count_y
      - .offset:         152
        .size:           4
        .value_kind:     hidden_block_count_z
      - .offset:         156
        .size:           2
        .value_kind:     hidden_group_size_x
      - .offset:         158
        .size:           2
        .value_kind:     hidden_group_size_y
      - .offset:         160
        .size:           2
        .value_kind:     hidden_group_size_z
      - .offset:         162
        .size:           2
        .value_kind:     hidden_remainder_x
      - .offset:         164
        .size:           2
        .value_kind:     hidden_remainder_y
      - .offset:         166
        .size:           2
        .value_kind:     hidden_remainder_z
      - .offset:         184
        .size:           8
        .value_kind:     hidden_global_offset_x
      - .offset:         192
        .size:           8
        .value_kind:     hidden_global_offset_y
      - .offset:         200
        .size:           8
        .value_kind:     hidden_global_offset_z
      - .offset:         208
        .size:           2
        .value_kind:     hidden_grid_dims
    .group_segment_fixed_size: 0
    .kernarg_segment_align: 8
    .kernarg_segment_size: 400
    .language:       OpenCL C
    .language_version:
      - 2
      - 0
    .max_flat_workgroup_size: 1024
    .name:           _ZN5aiter35fused_qk_rmsnorm_group_quant_kernelItN4opus5fp4_tELi64ELi8ELi8ELb0ELb0ELb1ELb0ELb0ELb0EEEvPT0_PvPT_S7_S7_PKS6_S9_S9_S9_S9_ffiiiiiiiiiiiii
    .private_segment_fixed_size: 0
    .sgpr_count:     36
    .sgpr_spill_count: 0
    .symbol:         _ZN5aiter35fused_qk_rmsnorm_group_quant_kernelItN4opus5fp4_tELi64ELi8ELi8ELb0ELb0ELb1ELb0ELb0ELb0EEEvPT0_PvPT_S7_S7_PKS6_S9_S9_S9_S9_ffiiiiiiiiiiiii.kd
    .uniform_work_group_size: 1
    .uses_dynamic_stack: false
    .vgpr_count:     23
    .vgpr_spill_count: 0
    .wavefront_size: 64
  - .agpr_count:     0
    .args:
      - .actual_access:  write_only
        .address_space:  global
        .offset:         0
        .size:           8
        .value_kind:     global_buffer
      - .actual_access:  write_only
        .address_space:  global
        .offset:         8
        .size:           8
        .value_kind:     global_buffer
      - .actual_access:  read_only
        .address_space:  global
        .offset:         16
        .size:           8
        .value_kind:     global_buffer
      - .actual_access:  write_only
        .address_space:  global
        .offset:         24
        .size:           8
        .value_kind:     global_buffer
      - .actual_access:  read_only
        .address_space:  global
        .offset:         32
        .size:           8
        .value_kind:     global_buffer
      - .actual_access:  read_only
        .address_space:  global
        .offset:         40
        .size:           8
        .value_kind:     global_buffer
      - .actual_access:  read_only
        .address_space:  global
        .offset:         48
        .size:           8
        .value_kind:     global_buffer
      - .actual_access:  read_only
        .address_space:  global
        .offset:         56
        .size:           8
        .value_kind:     global_buffer
      - .actual_access:  read_only
        .address_space:  global
        .offset:         64
        .size:           8
        .value_kind:     global_buffer
      - .actual_access:  read_only
        .address_space:  global
        .offset:         72
        .size:           8
        .value_kind:     global_buffer
      - .offset:         80
        .size:           4
        .value_kind:     by_value
      - .offset:         84
        .size:           4
        .value_kind:     by_value
      - .offset:         88
        .size:           4
        .value_kind:     by_value
      - .offset:         92
        .size:           4
        .value_kind:     by_value
      - .offset:         96
        .size:           4
        .value_kind:     by_value
      - .offset:         100
        .size:           4
        .value_kind:     by_value
      - .offset:         104
        .size:           4
        .value_kind:     by_value
      - .offset:         108
        .size:           4
        .value_kind:     by_value
      - .offset:         112
        .size:           4
        .value_kind:     by_value
      - .offset:         116
        .size:           4
        .value_kind:     by_value
      - .offset:         120
        .size:           4
        .value_kind:     by_value
      - .offset:         124
        .size:           4
        .value_kind:     by_value
      - .offset:         128
        .size:           4
        .value_kind:     by_value
      - .offset:         132
        .size:           4
        .value_kind:     by_value
      - .offset:         136
        .size:           4
        .value_kind:     by_value
      - .offset:         144
        .size:           4
        .value_kind:     hidden_block_count_x
      - .offset:         148
        .size:           4
        .value_kind:     hidden_block_count_y
      - .offset:         152
        .size:           4
        .value_kind:     hidden_block_count_z
      - .offset:         156
        .size:           2
        .value_kind:     hidden_group_size_x
      - .offset:         158
        .size:           2
        .value_kind:     hidden_group_size_y
      - .offset:         160
        .size:           2
        .value_kind:     hidden_group_size_z
      - .offset:         162
        .size:           2
        .value_kind:     hidden_remainder_x
      - .offset:         164
        .size:           2
        .value_kind:     hidden_remainder_y
      - .offset:         166
        .size:           2
        .value_kind:     hidden_remainder_z
      - .offset:         184
        .size:           8
        .value_kind:     hidden_global_offset_x
      - .offset:         192
        .size:           8
        .value_kind:     hidden_global_offset_y
      - .offset:         200
        .size:           8
        .value_kind:     hidden_global_offset_z
      - .offset:         208
        .size:           2
        .value_kind:     hidden_grid_dims
    .group_segment_fixed_size: 0
    .kernarg_segment_align: 8
    .kernarg_segment_size: 400
    .language:       OpenCL C
    .language_version:
      - 2
      - 0
    .max_flat_workgroup_size: 1024
    .name:           _ZN5aiter35fused_qk_rmsnorm_group_quant_kernelIDF16_DB8_Li64ELi8ELi8ELb0ELb0ELb0ELb0ELb0ELb0EEEvPT0_PvPT_S6_S6_PKS5_S8_S8_S8_S8_ffiiiiiiiiiiiii
    .private_segment_fixed_size: 0
    .sgpr_count:     36
    .sgpr_spill_count: 0
    .symbol:         _ZN5aiter35fused_qk_rmsnorm_group_quant_kernelIDF16_DB8_Li64ELi8ELi8ELb0ELb0ELb0ELb0ELb0ELb0EEEvPT0_PvPT_S6_S6_PKS5_S8_S8_S8_S8_ffiiiiiiiiiiiii.kd
    .uniform_work_group_size: 1
    .uses_dynamic_stack: false
    .vgpr_count:     23
    .vgpr_spill_count: 0
    .wavefront_size: 64
  - .agpr_count:     0
    .args:
      - .actual_access:  write_only
        .address_space:  global
        .offset:         0
        .size:           8
        .value_kind:     global_buffer
      - .actual_access:  write_only
        .address_space:  global
        .offset:         8
        .size:           8
        .value_kind:     global_buffer
      - .actual_access:  read_only
        .address_space:  global
        .offset:         16
        .size:           8
        .value_kind:     global_buffer
      - .actual_access:  write_only
        .address_space:  global
        .offset:         24
        .size:           8
        .value_kind:     global_buffer
      - .actual_access:  read_only
        .address_space:  global
        .offset:         32
        .size:           8
        .value_kind:     global_buffer
      - .actual_access:  read_only
        .address_space:  global
        .offset:         40
        .size:           8
        .value_kind:     global_buffer
      - .actual_access:  read_only
        .address_space:  global
        .offset:         48
        .size:           8
        .value_kind:     global_buffer
      - .actual_access:  read_only
        .address_space:  global
        .offset:         56
        .size:           8
        .value_kind:     global_buffer
      - .actual_access:  read_only
        .address_space:  global
        .offset:         64
        .size:           8
        .value_kind:     global_buffer
      - .actual_access:  read_only
        .address_space:  global
        .offset:         72
        .size:           8
        .value_kind:     global_buffer
      - .offset:         80
        .size:           4
        .value_kind:     by_value
      - .offset:         84
        .size:           4
        .value_kind:     by_value
      - .offset:         88
        .size:           4
        .value_kind:     by_value
      - .offset:         92
        .size:           4
        .value_kind:     by_value
      - .offset:         96
        .size:           4
        .value_kind:     by_value
      - .offset:         100
        .size:           4
        .value_kind:     by_value
      - .offset:         104
        .size:           4
        .value_kind:     by_value
      - .offset:         108
        .size:           4
        .value_kind:     by_value
      - .offset:         112
        .size:           4
        .value_kind:     by_value
      - .offset:         116
        .size:           4
        .value_kind:     by_value
      - .offset:         120
        .size:           4
        .value_kind:     by_value
      - .offset:         124
        .size:           4
        .value_kind:     by_value
      - .offset:         128
        .size:           4
        .value_kind:     by_value
      - .offset:         132
        .size:           4
        .value_kind:     by_value
      - .offset:         136
        .size:           4
        .value_kind:     by_value
      - .offset:         144
        .size:           4
        .value_kind:     hidden_block_count_x
      - .offset:         148
        .size:           4
        .value_kind:     hidden_block_count_y
      - .offset:         152
        .size:           4
        .value_kind:     hidden_block_count_z
      - .offset:         156
        .size:           2
        .value_kind:     hidden_group_size_x
      - .offset:         158
        .size:           2
        .value_kind:     hidden_group_size_y
      - .offset:         160
        .size:           2
        .value_kind:     hidden_group_size_z
      - .offset:         162
        .size:           2
        .value_kind:     hidden_remainder_x
      - .offset:         164
        .size:           2
        .value_kind:     hidden_remainder_y
      - .offset:         166
        .size:           2
        .value_kind:     hidden_remainder_z
      - .offset:         184
        .size:           8
        .value_kind:     hidden_global_offset_x
      - .offset:         192
        .size:           8
        .value_kind:     hidden_global_offset_y
      - .offset:         200
        .size:           8
        .value_kind:     hidden_global_offset_z
      - .offset:         208
        .size:           2
        .value_kind:     hidden_grid_dims
    .group_segment_fixed_size: 0
    .kernarg_segment_align: 8
    .kernarg_segment_size: 400
    .language:       OpenCL C
    .language_version:
      - 2
      - 0
    .max_flat_workgroup_size: 1024
    .name:           _ZN5aiter35fused_qk_rmsnorm_group_quant_kernelItDB8_Li64ELi8ELi8ELb0ELb0ELb0ELb0ELb0ELb0EEEvPT0_PvPT_S6_S6_PKS5_S8_S8_S8_S8_ffiiiiiiiiiiiii
    .private_segment_fixed_size: 0
    .sgpr_count:     36
    .sgpr_spill_count: 0
    .symbol:         _ZN5aiter35fused_qk_rmsnorm_group_quant_kernelItDB8_Li64ELi8ELi8ELb0ELb0ELb0ELb0ELb0ELb0EEEvPT0_PvPT_S6_S6_PKS5_S8_S8_S8_S8_ffiiiiiiiiiiiii.kd
    .uniform_work_group_size: 1
    .uses_dynamic_stack: false
    .vgpr_count:     23
    .vgpr_spill_count: 0
    .wavefront_size: 64
  - .agpr_count:     0
    .args:
      - .actual_access:  write_only
        .address_space:  global
        .offset:         0
        .size:           8
        .value_kind:     global_buffer
      - .actual_access:  write_only
        .address_space:  global
        .offset:         8
        .size:           8
        .value_kind:     global_buffer
      - .actual_access:  read_only
        .address_space:  global
        .offset:         16
        .size:           8
        .value_kind:     global_buffer
      - .actual_access:  write_only
        .address_space:  global
        .offset:         24
        .size:           8
        .value_kind:     global_buffer
      - .actual_access:  read_only
        .address_space:  global
        .offset:         32
        .size:           8
        .value_kind:     global_buffer
      - .actual_access:  read_only
        .address_space:  global
        .offset:         40
        .size:           8
        .value_kind:     global_buffer
      - .actual_access:  read_only
        .address_space:  global
        .offset:         48
        .size:           8
        .value_kind:     global_buffer
      - .actual_access:  read_only
        .address_space:  global
        .offset:         56
        .size:           8
        .value_kind:     global_buffer
      - .actual_access:  read_only
        .address_space:  global
        .offset:         64
        .size:           8
        .value_kind:     global_buffer
      - .actual_access:  read_only
        .address_space:  global
        .offset:         72
        .size:           8
        .value_kind:     global_buffer
      - .offset:         80
        .size:           4
        .value_kind:     by_value
      - .offset:         84
        .size:           4
        .value_kind:     by_value
      - .offset:         88
        .size:           4
        .value_kind:     by_value
      - .offset:         92
        .size:           4
        .value_kind:     by_value
      - .offset:         96
        .size:           4
        .value_kind:     by_value
      - .offset:         100
        .size:           4
        .value_kind:     by_value
      - .offset:         104
        .size:           4
        .value_kind:     by_value
      - .offset:         108
        .size:           4
        .value_kind:     by_value
      - .offset:         112
        .size:           4
        .value_kind:     by_value
      - .offset:         116
        .size:           4
        .value_kind:     by_value
      - .offset:         120
        .size:           4
        .value_kind:     by_value
      - .offset:         124
        .size:           4
        .value_kind:     by_value
      - .offset:         128
        .size:           4
        .value_kind:     by_value
      - .offset:         132
        .size:           4
        .value_kind:     by_value
      - .offset:         136
        .size:           4
        .value_kind:     by_value
      - .offset:         144
        .size:           4
        .value_kind:     hidden_block_count_x
      - .offset:         148
        .size:           4
        .value_kind:     hidden_block_count_y
      - .offset:         152
        .size:           4
        .value_kind:     hidden_block_count_z
      - .offset:         156
        .size:           2
        .value_kind:     hidden_group_size_x
      - .offset:         158
        .size:           2
        .value_kind:     hidden_group_size_y
      - .offset:         160
        .size:           2
        .value_kind:     hidden_group_size_z
      - .offset:         162
        .size:           2
        .value_kind:     hidden_remainder_x
      - .offset:         164
        .size:           2
        .value_kind:     hidden_remainder_y
      - .offset:         166
        .size:           2
        .value_kind:     hidden_remainder_z
      - .offset:         184
        .size:           8
        .value_kind:     hidden_global_offset_x
      - .offset:         192
        .size:           8
        .value_kind:     hidden_global_offset_y
      - .offset:         200
        .size:           8
        .value_kind:     hidden_global_offset_z
      - .offset:         208
        .size:           2
        .value_kind:     hidden_grid_dims
    .group_segment_fixed_size: 0
    .kernarg_segment_align: 8
    .kernarg_segment_size: 400
    .language:       OpenCL C
    .language_version:
      - 2
      - 0
    .max_flat_workgroup_size: 1024
    .name:           _ZN5aiter35fused_qk_rmsnorm_group_quant_kernelIDF16_N4opus5fp4_tELi64ELi8ELi8ELb0ELb0ELb0ELb0ELb0ELb0EEEvPT0_PvPT_S7_S7_PKS6_S9_S9_S9_S9_ffiiiiiiiiiiiii
    .private_segment_fixed_size: 0
    .sgpr_count:     36
    .sgpr_spill_count: 0
    .symbol:         _ZN5aiter35fused_qk_rmsnorm_group_quant_kernelIDF16_N4opus5fp4_tELi64ELi8ELi8ELb0ELb0ELb0ELb0ELb0ELb0EEEvPT0_PvPT_S7_S7_PKS6_S9_S9_S9_S9_ffiiiiiiiiiiiii.kd
    .uniform_work_group_size: 1
    .uses_dynamic_stack: false
    .vgpr_count:     23
    .vgpr_spill_count: 0
    .wavefront_size: 64
  - .agpr_count:     0
    .args:
      - .actual_access:  write_only
        .address_space:  global
        .offset:         0
        .size:           8
        .value_kind:     global_buffer
      - .actual_access:  write_only
        .address_space:  global
        .offset:         8
        .size:           8
        .value_kind:     global_buffer
      - .actual_access:  read_only
        .address_space:  global
        .offset:         16
        .size:           8
        .value_kind:     global_buffer
      - .actual_access:  write_only
        .address_space:  global
        .offset:         24
        .size:           8
        .value_kind:     global_buffer
      - .actual_access:  read_only
        .address_space:  global
        .offset:         32
        .size:           8
        .value_kind:     global_buffer
      - .actual_access:  read_only
        .address_space:  global
        .offset:         40
        .size:           8
        .value_kind:     global_buffer
      - .actual_access:  read_only
        .address_space:  global
        .offset:         48
        .size:           8
        .value_kind:     global_buffer
      - .actual_access:  read_only
        .address_space:  global
        .offset:         56
        .size:           8
        .value_kind:     global_buffer
      - .actual_access:  read_only
        .address_space:  global
        .offset:         64
        .size:           8
        .value_kind:     global_buffer
      - .actual_access:  read_only
        .address_space:  global
        .offset:         72
        .size:           8
        .value_kind:     global_buffer
      - .offset:         80
        .size:           4
        .value_kind:     by_value
      - .offset:         84
        .size:           4
        .value_kind:     by_value
      - .offset:         88
        .size:           4
        .value_kind:     by_value
      - .offset:         92
        .size:           4
        .value_kind:     by_value
      - .offset:         96
        .size:           4
        .value_kind:     by_value
      - .offset:         100
        .size:           4
        .value_kind:     by_value
      - .offset:         104
        .size:           4
        .value_kind:     by_value
      - .offset:         108
        .size:           4
        .value_kind:     by_value
      - .offset:         112
        .size:           4
        .value_kind:     by_value
      - .offset:         116
        .size:           4
        .value_kind:     by_value
      - .offset:         120
        .size:           4
        .value_kind:     by_value
      - .offset:         124
        .size:           4
        .value_kind:     by_value
      - .offset:         128
        .size:           4
        .value_kind:     by_value
      - .offset:         132
        .size:           4
        .value_kind:     by_value
      - .offset:         136
        .size:           4
        .value_kind:     by_value
      - .offset:         144
        .size:           4
        .value_kind:     hidden_block_count_x
      - .offset:         148
        .size:           4
        .value_kind:     hidden_block_count_y
      - .offset:         152
        .size:           4
        .value_kind:     hidden_block_count_z
      - .offset:         156
        .size:           2
        .value_kind:     hidden_group_size_x
      - .offset:         158
        .size:           2
        .value_kind:     hidden_group_size_y
      - .offset:         160
        .size:           2
        .value_kind:     hidden_group_size_z
      - .offset:         162
        .size:           2
        .value_kind:     hidden_remainder_x
      - .offset:         164
        .size:           2
        .value_kind:     hidden_remainder_y
      - .offset:         166
        .size:           2
        .value_kind:     hidden_remainder_z
      - .offset:         184
        .size:           8
        .value_kind:     hidden_global_offset_x
      - .offset:         192
        .size:           8
        .value_kind:     hidden_global_offset_y
      - .offset:         200
        .size:           8
        .value_kind:     hidden_global_offset_z
      - .offset:         208
        .size:           2
        .value_kind:     hidden_grid_dims
    .group_segment_fixed_size: 0
    .kernarg_segment_align: 8
    .kernarg_segment_size: 400
    .language:       OpenCL C
    .language_version:
      - 2
      - 0
    .max_flat_workgroup_size: 1024
    .name:           _ZN5aiter35fused_qk_rmsnorm_group_quant_kernelItN4opus5fp4_tELi64ELi8ELi8ELb0ELb0ELb0ELb0ELb0ELb0EEEvPT0_PvPT_S7_S7_PKS6_S9_S9_S9_S9_ffiiiiiiiiiiiii
    .private_segment_fixed_size: 0
    .sgpr_count:     36
    .sgpr_spill_count: 0
    .symbol:         _ZN5aiter35fused_qk_rmsnorm_group_quant_kernelItN4opus5fp4_tELi64ELi8ELi8ELb0ELb0ELb0ELb0ELb0ELb0EEEvPT0_PvPT_S7_S7_PKS6_S9_S9_S9_S9_ffiiiiiiiiiiiii.kd
    .uniform_work_group_size: 1
    .uses_dynamic_stack: false
    .vgpr_count:     23
    .vgpr_spill_count: 0
    .wavefront_size: 64
  - .agpr_count:     0
    .args:
      - .actual_access:  read_only
        .address_space:  global
        .offset:         0
        .size:           8
        .value_kind:     global_buffer
      - .actual_access:  read_only
        .address_space:  global
        .offset:         8
        .size:           8
        .value_kind:     global_buffer
      - .actual_access:  write_only
        .address_space:  global
        .offset:         16
        .size:           8
        .value_kind:     global_buffer
      - .actual_access:  write_only
        .address_space:  global
        .offset:         24
        .size:           8
        .value_kind:     global_buffer
      - .actual_access:  write_only
        .address_space:  global
        .offset:         32
        .size:           8
        .value_kind:     global_buffer
      - .actual_access:  read_only
        .address_space:  global
        .offset:         40
        .size:           8
        .value_kind:     global_buffer
      - .actual_access:  read_only
        .address_space:  global
        .offset:         48
        .size:           8
        .value_kind:     global_buffer
      - .actual_access:  read_only
        .address_space:  global
        .offset:         56
        .size:           8
        .value_kind:     global_buffer
      - .actual_access:  read_only
        .address_space:  global
        .offset:         64
        .size:           8
        .value_kind:     global_buffer
      - .actual_access:  read_only
        .address_space:  global
        .offset:         72
        .size:           8
        .value_kind:     global_buffer
      - .offset:         80
        .size:           4
        .value_kind:     by_value
      - .offset:         84
        .size:           4
        .value_kind:     by_value
      - .offset:         88
        .size:           4
        .value_kind:     by_value
      - .offset:         92
        .size:           4
        .value_kind:     by_value
      - .offset:         96
        .size:           4
        .value_kind:     by_value
      - .offset:         100
        .size:           4
        .value_kind:     by_value
      - .offset:         104
        .size:           4
        .value_kind:     by_value
      - .offset:         108
        .size:           4
        .value_kind:     by_value
      - .offset:         112
        .size:           4
        .value_kind:     by_value
      - .offset:         116
        .size:           4
        .value_kind:     by_value
      - .offset:         120
        .size:           4
        .value_kind:     by_value
      - .offset:         124
        .size:           4
        .value_kind:     by_value
      - .offset:         128
        .size:           4
        .value_kind:     by_value
      - .offset:         132
        .size:           4
        .value_kind:     by_value
      - .offset:         136
        .size:           4
        .value_kind:     by_value
      - .offset:         144
        .size:           4
        .value_kind:     hidden_block_count_x
      - .offset:         148
        .size:           4
        .value_kind:     hidden_block_count_y
      - .offset:         152
        .size:           4
        .value_kind:     hidden_block_count_z
      - .offset:         156
        .size:           2
        .value_kind:     hidden_group_size_x
      - .offset:         158
        .size:           2
        .value_kind:     hidden_group_size_y
      - .offset:         160
        .size:           2
        .value_kind:     hidden_group_size_z
      - .offset:         162
        .size:           2
        .value_kind:     hidden_remainder_x
      - .offset:         164
        .size:           2
        .value_kind:     hidden_remainder_y
      - .offset:         166
        .size:           2
        .value_kind:     hidden_remainder_z
      - .offset:         184
        .size:           8
        .value_kind:     hidden_global_offset_x
      - .offset:         192
        .size:           8
        .value_kind:     hidden_global_offset_y
      - .offset:         200
        .size:           8
        .value_kind:     hidden_global_offset_z
      - .offset:         208
        .size:           2
        .value_kind:     hidden_grid_dims
    .group_segment_fixed_size: 0
    .kernarg_segment_align: 8
    .kernarg_segment_size: 400
    .language:       OpenCL C
    .language_version:
      - 2
      - 0
    .max_flat_workgroup_size: 1024
    .name:           _ZN5aiter35fused_qk_rmsnorm_group_quant_kernelIDF16_DB8_Li64ELi8ELi4ELb1ELb1ELb1ELb1ELb0ELb0EEEvPT0_PvPT_S6_S6_PKS5_S8_S8_S8_S8_ffiiiiiiiiiiiii
    .private_segment_fixed_size: 0
    .sgpr_count:     36
    .sgpr_spill_count: 0
    .symbol:         _ZN5aiter35fused_qk_rmsnorm_group_quant_kernelIDF16_DB8_Li64ELi8ELi4ELb1ELb1ELb1ELb1ELb0ELb0EEEvPT0_PvPT_S6_S6_PKS5_S8_S8_S8_S8_ffiiiiiiiiiiiii.kd
    .uniform_work_group_size: 1
    .uses_dynamic_stack: false
    .vgpr_count:     25
    .vgpr_spill_count: 0
    .wavefront_size: 64
  - .agpr_count:     0
    .args:
      - .actual_access:  read_only
        .address_space:  global
        .offset:         0
        .size:           8
        .value_kind:     global_buffer
      - .actual_access:  read_only
        .address_space:  global
        .offset:         8
        .size:           8
        .value_kind:     global_buffer
      - .actual_access:  write_only
        .address_space:  global
        .offset:         16
        .size:           8
        .value_kind:     global_buffer
      - .actual_access:  write_only
        .address_space:  global
        .offset:         24
        .size:           8
        .value_kind:     global_buffer
      - .actual_access:  write_only
        .address_space:  global
        .offset:         32
        .size:           8
        .value_kind:     global_buffer
      - .actual_access:  read_only
        .address_space:  global
        .offset:         40
        .size:           8
        .value_kind:     global_buffer
      - .actual_access:  read_only
        .address_space:  global
        .offset:         48
        .size:           8
        .value_kind:     global_buffer
      - .actual_access:  read_only
        .address_space:  global
        .offset:         56
        .size:           8
        .value_kind:     global_buffer
      - .actual_access:  read_only
        .address_space:  global
        .offset:         64
        .size:           8
        .value_kind:     global_buffer
      - .actual_access:  read_only
        .address_space:  global
        .offset:         72
        .size:           8
        .value_kind:     global_buffer
      - .offset:         80
        .size:           4
        .value_kind:     by_value
      - .offset:         84
        .size:           4
        .value_kind:     by_value
      - .offset:         88
        .size:           4
        .value_kind:     by_value
      - .offset:         92
        .size:           4
        .value_kind:     by_value
      - .offset:         96
        .size:           4
        .value_kind:     by_value
      - .offset:         100
        .size:           4
        .value_kind:     by_value
      - .offset:         104
        .size:           4
        .value_kind:     by_value
      - .offset:         108
        .size:           4
        .value_kind:     by_value
      - .offset:         112
        .size:           4
        .value_kind:     by_value
      - .offset:         116
        .size:           4
        .value_kind:     by_value
      - .offset:         120
        .size:           4
        .value_kind:     by_value
      - .offset:         124
        .size:           4
        .value_kind:     by_value
      - .offset:         128
        .size:           4
        .value_kind:     by_value
      - .offset:         132
        .size:           4
        .value_kind:     by_value
      - .offset:         136
        .size:           4
        .value_kind:     by_value
      - .offset:         144
        .size:           4
        .value_kind:     hidden_block_count_x
      - .offset:         148
        .size:           4
        .value_kind:     hidden_block_count_y
      - .offset:         152
        .size:           4
        .value_kind:     hidden_block_count_z
      - .offset:         156
        .size:           2
        .value_kind:     hidden_group_size_x
      - .offset:         158
        .size:           2
        .value_kind:     hidden_group_size_y
      - .offset:         160
        .size:           2
        .value_kind:     hidden_group_size_z
      - .offset:         162
        .size:           2
        .value_kind:     hidden_remainder_x
      - .offset:         164
        .size:           2
        .value_kind:     hidden_remainder_y
      - .offset:         166
        .size:           2
        .value_kind:     hidden_remainder_z
      - .offset:         184
        .size:           8
        .value_kind:     hidden_global_offset_x
      - .offset:         192
        .size:           8
        .value_kind:     hidden_global_offset_y
      - .offset:         200
        .size:           8
        .value_kind:     hidden_global_offset_z
      - .offset:         208
        .size:           2
        .value_kind:     hidden_grid_dims
    .group_segment_fixed_size: 0
    .kernarg_segment_align: 8
    .kernarg_segment_size: 400
    .language:       OpenCL C
    .language_version:
      - 2
      - 0
    .max_flat_workgroup_size: 1024
    .name:           _ZN5aiter35fused_qk_rmsnorm_group_quant_kernelItDB8_Li64ELi8ELi4ELb1ELb1ELb1ELb1ELb0ELb0EEEvPT0_PvPT_S6_S6_PKS5_S8_S8_S8_S8_ffiiiiiiiiiiiii
    .private_segment_fixed_size: 0
    .sgpr_count:     48
    .sgpr_spill_count: 0
    .symbol:         _ZN5aiter35fused_qk_rmsnorm_group_quant_kernelItDB8_Li64ELi8ELi4ELb1ELb1ELb1ELb1ELb0ELb0EEEvPT0_PvPT_S6_S6_PKS5_S8_S8_S8_S8_ffiiiiiiiiiiiii.kd
    .uniform_work_group_size: 1
    .uses_dynamic_stack: false
    .vgpr_count:     27
    .vgpr_spill_count: 0
    .wavefront_size: 64
  - .agpr_count:     0
    .args:
      - .actual_access:  read_only
        .address_space:  global
        .offset:         0
        .size:           8
        .value_kind:     global_buffer
      - .actual_access:  read_only
        .address_space:  global
        .offset:         8
        .size:           8
        .value_kind:     global_buffer
      - .actual_access:  write_only
        .address_space:  global
        .offset:         16
        .size:           8
        .value_kind:     global_buffer
      - .actual_access:  write_only
        .address_space:  global
        .offset:         24
        .size:           8
        .value_kind:     global_buffer
      - .actual_access:  write_only
        .address_space:  global
        .offset:         32
        .size:           8
        .value_kind:     global_buffer
      - .actual_access:  read_only
        .address_space:  global
        .offset:         40
        .size:           8
        .value_kind:     global_buffer
      - .actual_access:  read_only
        .address_space:  global
        .offset:         48
        .size:           8
        .value_kind:     global_buffer
      - .actual_access:  read_only
        .address_space:  global
        .offset:         56
        .size:           8
        .value_kind:     global_buffer
      - .actual_access:  read_only
        .address_space:  global
        .offset:         64
        .size:           8
        .value_kind:     global_buffer
      - .actual_access:  read_only
        .address_space:  global
        .offset:         72
        .size:           8
        .value_kind:     global_buffer
      - .offset:         80
        .size:           4
        .value_kind:     by_value
      - .offset:         84
        .size:           4
        .value_kind:     by_value
      - .offset:         88
        .size:           4
        .value_kind:     by_value
      - .offset:         92
        .size:           4
        .value_kind:     by_value
      - .offset:         96
        .size:           4
        .value_kind:     by_value
      - .offset:         100
        .size:           4
        .value_kind:     by_value
      - .offset:         104
        .size:           4
        .value_kind:     by_value
      - .offset:         108
        .size:           4
        .value_kind:     by_value
      - .offset:         112
        .size:           4
        .value_kind:     by_value
      - .offset:         116
        .size:           4
        .value_kind:     by_value
      - .offset:         120
        .size:           4
        .value_kind:     by_value
      - .offset:         124
        .size:           4
        .value_kind:     by_value
      - .offset:         128
        .size:           4
        .value_kind:     by_value
      - .offset:         132
        .size:           4
        .value_kind:     by_value
      - .offset:         136
        .size:           4
        .value_kind:     by_value
      - .offset:         144
        .size:           4
        .value_kind:     hidden_block_count_x
      - .offset:         148
        .size:           4
        .value_kind:     hidden_block_count_y
      - .offset:         152
        .size:           4
        .value_kind:     hidden_block_count_z
      - .offset:         156
        .size:           2
        .value_kind:     hidden_group_size_x
      - .offset:         158
        .size:           2
        .value_kind:     hidden_group_size_y
      - .offset:         160
        .size:           2
        .value_kind:     hidden_group_size_z
      - .offset:         162
        .size:           2
        .value_kind:     hidden_remainder_x
      - .offset:         164
        .size:           2
        .value_kind:     hidden_remainder_y
      - .offset:         166
        .size:           2
        .value_kind:     hidden_remainder_z
      - .offset:         184
        .size:           8
        .value_kind:     hidden_global_offset_x
      - .offset:         192
        .size:           8
        .value_kind:     hidden_global_offset_y
      - .offset:         200
        .size:           8
        .value_kind:     hidden_global_offset_z
      - .offset:         208
        .size:           2
        .value_kind:     hidden_grid_dims
    .group_segment_fixed_size: 0
    .kernarg_segment_align: 8
    .kernarg_segment_size: 400
    .language:       OpenCL C
    .language_version:
      - 2
      - 0
    .max_flat_workgroup_size: 1024
    .name:           _ZN5aiter35fused_qk_rmsnorm_group_quant_kernelIDF16_N4opus5fp4_tELi64ELi8ELi4ELb1ELb1ELb1ELb1ELb0ELb0EEEvPT0_PvPT_S7_S7_PKS6_S9_S9_S9_S9_ffiiiiiiiiiiiii
    .private_segment_fixed_size: 0
    .sgpr_count:     36
    .sgpr_spill_count: 0
    .symbol:         _ZN5aiter35fused_qk_rmsnorm_group_quant_kernelIDF16_N4opus5fp4_tELi64ELi8ELi4ELb1ELb1ELb1ELb1ELb0ELb0EEEvPT0_PvPT_S7_S7_PKS6_S9_S9_S9_S9_ffiiiiiiiiiiiii.kd
    .uniform_work_group_size: 1
    .uses_dynamic_stack: false
    .vgpr_count:     25
    .vgpr_spill_count: 0
    .wavefront_size: 64
  - .agpr_count:     0
    .args:
      - .actual_access:  read_only
        .address_space:  global
        .offset:         0
        .size:           8
        .value_kind:     global_buffer
      - .actual_access:  read_only
        .address_space:  global
        .offset:         8
        .size:           8
        .value_kind:     global_buffer
      - .actual_access:  write_only
        .address_space:  global
        .offset:         16
        .size:           8
        .value_kind:     global_buffer
      - .actual_access:  write_only
        .address_space:  global
        .offset:         24
        .size:           8
        .value_kind:     global_buffer
      - .actual_access:  write_only
        .address_space:  global
        .offset:         32
        .size:           8
        .value_kind:     global_buffer
      - .actual_access:  read_only
        .address_space:  global
        .offset:         40
        .size:           8
        .value_kind:     global_buffer
      - .actual_access:  read_only
        .address_space:  global
        .offset:         48
        .size:           8
        .value_kind:     global_buffer
      - .actual_access:  read_only
        .address_space:  global
        .offset:         56
        .size:           8
        .value_kind:     global_buffer
      - .actual_access:  read_only
        .address_space:  global
        .offset:         64
        .size:           8
        .value_kind:     global_buffer
      - .actual_access:  read_only
        .address_space:  global
        .offset:         72
        .size:           8
        .value_kind:     global_buffer
      - .offset:         80
        .size:           4
        .value_kind:     by_value
      - .offset:         84
        .size:           4
        .value_kind:     by_value
      - .offset:         88
        .size:           4
        .value_kind:     by_value
      - .offset:         92
        .size:           4
        .value_kind:     by_value
      - .offset:         96
        .size:           4
        .value_kind:     by_value
      - .offset:         100
        .size:           4
        .value_kind:     by_value
      - .offset:         104
        .size:           4
        .value_kind:     by_value
      - .offset:         108
        .size:           4
        .value_kind:     by_value
      - .offset:         112
        .size:           4
        .value_kind:     by_value
      - .offset:         116
        .size:           4
        .value_kind:     by_value
      - .offset:         120
        .size:           4
        .value_kind:     by_value
      - .offset:         124
        .size:           4
        .value_kind:     by_value
      - .offset:         128
        .size:           4
        .value_kind:     by_value
      - .offset:         132
        .size:           4
        .value_kind:     by_value
      - .offset:         136
        .size:           4
        .value_kind:     by_value
      - .offset:         144
        .size:           4
        .value_kind:     hidden_block_count_x
      - .offset:         148
        .size:           4
        .value_kind:     hidden_block_count_y
      - .offset:         152
        .size:           4
        .value_kind:     hidden_block_count_z
      - .offset:         156
        .size:           2
        .value_kind:     hidden_group_size_x
      - .offset:         158
        .size:           2
        .value_kind:     hidden_group_size_y
      - .offset:         160
        .size:           2
        .value_kind:     hidden_group_size_z
      - .offset:         162
        .size:           2
        .value_kind:     hidden_remainder_x
      - .offset:         164
        .size:           2
        .value_kind:     hidden_remainder_y
      - .offset:         166
        .size:           2
        .value_kind:     hidden_remainder_z
      - .offset:         184
        .size:           8
        .value_kind:     hidden_global_offset_x
      - .offset:         192
        .size:           8
        .value_kind:     hidden_global_offset_y
      - .offset:         200
        .size:           8
        .value_kind:     hidden_global_offset_z
      - .offset:         208
        .size:           2
        .value_kind:     hidden_grid_dims
    .group_segment_fixed_size: 0
    .kernarg_segment_align: 8
    .kernarg_segment_size: 400
    .language:       OpenCL C
    .language_version:
      - 2
      - 0
    .max_flat_workgroup_size: 1024
    .name:           _ZN5aiter35fused_qk_rmsnorm_group_quant_kernelItN4opus5fp4_tELi64ELi8ELi4ELb1ELb1ELb1ELb1ELb0ELb0EEEvPT0_PvPT_S7_S7_PKS6_S9_S9_S9_S9_ffiiiiiiiiiiiii
    .private_segment_fixed_size: 0
    .sgpr_count:     48
    .sgpr_spill_count: 0
    .symbol:         _ZN5aiter35fused_qk_rmsnorm_group_quant_kernelItN4opus5fp4_tELi64ELi8ELi4ELb1ELb1ELb1ELb1ELb0ELb0EEEvPT0_PvPT_S7_S7_PKS6_S9_S9_S9_S9_ffiiiiiiiiiiiii.kd
    .uniform_work_group_size: 1
    .uses_dynamic_stack: false
    .vgpr_count:     27
    .vgpr_spill_count: 0
    .wavefront_size: 64
  - .agpr_count:     0
    .args:
      - .actual_access:  read_only
        .address_space:  global
        .offset:         0
        .size:           8
        .value_kind:     global_buffer
      - .actual_access:  read_only
        .address_space:  global
        .offset:         8
        .size:           8
        .value_kind:     global_buffer
      - .actual_access:  write_only
        .address_space:  global
        .offset:         16
        .size:           8
        .value_kind:     global_buffer
      - .actual_access:  write_only
        .address_space:  global
        .offset:         24
        .size:           8
        .value_kind:     global_buffer
      - .actual_access:  write_only
        .address_space:  global
        .offset:         32
        .size:           8
        .value_kind:     global_buffer
      - .actual_access:  read_only
        .address_space:  global
        .offset:         40
        .size:           8
        .value_kind:     global_buffer
      - .actual_access:  read_only
        .address_space:  global
        .offset:         48
        .size:           8
        .value_kind:     global_buffer
      - .actual_access:  read_only
        .address_space:  global
        .offset:         56
        .size:           8
        .value_kind:     global_buffer
      - .actual_access:  read_only
        .address_space:  global
        .offset:         64
        .size:           8
        .value_kind:     global_buffer
      - .actual_access:  read_only
        .address_space:  global
        .offset:         72
        .size:           8
        .value_kind:     global_buffer
      - .offset:         80
        .size:           4
        .value_kind:     by_value
      - .offset:         84
        .size:           4
        .value_kind:     by_value
      - .offset:         88
        .size:           4
        .value_kind:     by_value
      - .offset:         92
        .size:           4
        .value_kind:     by_value
      - .offset:         96
        .size:           4
        .value_kind:     by_value
      - .offset:         100
        .size:           4
        .value_kind:     by_value
      - .offset:         104
        .size:           4
        .value_kind:     by_value
      - .offset:         108
        .size:           4
        .value_kind:     by_value
      - .offset:         112
        .size:           4
        .value_kind:     by_value
      - .offset:         116
        .size:           4
        .value_kind:     by_value
      - .offset:         120
        .size:           4
        .value_kind:     by_value
      - .offset:         124
        .size:           4
        .value_kind:     by_value
      - .offset:         128
        .size:           4
        .value_kind:     by_value
      - .offset:         132
        .size:           4
        .value_kind:     by_value
      - .offset:         136
        .size:           4
        .value_kind:     by_value
      - .offset:         144
        .size:           4
        .value_kind:     hidden_block_count_x
      - .offset:         148
        .size:           4
        .value_kind:     hidden_block_count_y
      - .offset:         152
        .size:           4
        .value_kind:     hidden_block_count_z
      - .offset:         156
        .size:           2
        .value_kind:     hidden_group_size_x
      - .offset:         158
        .size:           2
        .value_kind:     hidden_group_size_y
      - .offset:         160
        .size:           2
        .value_kind:     hidden_group_size_z
      - .offset:         162
        .size:           2
        .value_kind:     hidden_remainder_x
      - .offset:         164
        .size:           2
        .value_kind:     hidden_remainder_y
      - .offset:         166
        .size:           2
        .value_kind:     hidden_remainder_z
      - .offset:         184
        .size:           8
        .value_kind:     hidden_global_offset_x
      - .offset:         192
        .size:           8
        .value_kind:     hidden_global_offset_y
      - .offset:         200
        .size:           8
        .value_kind:     hidden_global_offset_z
      - .offset:         208
        .size:           2
        .value_kind:     hidden_grid_dims
    .group_segment_fixed_size: 0
    .kernarg_segment_align: 8
    .kernarg_segment_size: 400
    .language:       OpenCL C
    .language_version:
      - 2
      - 0
    .max_flat_workgroup_size: 1024
    .name:           _ZN5aiter35fused_qk_rmsnorm_group_quant_kernelIDF16_DB8_Li64ELi8ELi4ELb1ELb1ELb0ELb1ELb0ELb0EEEvPT0_PvPT_S6_S6_PKS5_S8_S8_S8_S8_ffiiiiiiiiiiiii
    .private_segment_fixed_size: 0
    .sgpr_count:     36
    .sgpr_spill_count: 0
    .symbol:         _ZN5aiter35fused_qk_rmsnorm_group_quant_kernelIDF16_DB8_Li64ELi8ELi4ELb1ELb1ELb0ELb1ELb0ELb0EEEvPT0_PvPT_S6_S6_PKS5_S8_S8_S8_S8_ffiiiiiiiiiiiii.kd
    .uniform_work_group_size: 1
    .uses_dynamic_stack: false
    .vgpr_count:     27
    .vgpr_spill_count: 0
    .wavefront_size: 64
  - .agpr_count:     0
    .args:
      - .actual_access:  read_only
        .address_space:  global
        .offset:         0
        .size:           8
        .value_kind:     global_buffer
      - .actual_access:  read_only
        .address_space:  global
        .offset:         8
        .size:           8
        .value_kind:     global_buffer
      - .actual_access:  write_only
        .address_space:  global
        .offset:         16
        .size:           8
        .value_kind:     global_buffer
      - .actual_access:  write_only
        .address_space:  global
        .offset:         24
        .size:           8
        .value_kind:     global_buffer
      - .actual_access:  write_only
        .address_space:  global
        .offset:         32
        .size:           8
        .value_kind:     global_buffer
      - .actual_access:  read_only
        .address_space:  global
        .offset:         40
        .size:           8
        .value_kind:     global_buffer
      - .actual_access:  read_only
        .address_space:  global
        .offset:         48
        .size:           8
        .value_kind:     global_buffer
      - .actual_access:  read_only
        .address_space:  global
        .offset:         56
        .size:           8
        .value_kind:     global_buffer
      - .actual_access:  read_only
        .address_space:  global
        .offset:         64
        .size:           8
        .value_kind:     global_buffer
      - .actual_access:  read_only
        .address_space:  global
        .offset:         72
        .size:           8
        .value_kind:     global_buffer
      - .offset:         80
        .size:           4
        .value_kind:     by_value
      - .offset:         84
        .size:           4
        .value_kind:     by_value
      - .offset:         88
        .size:           4
        .value_kind:     by_value
      - .offset:         92
        .size:           4
        .value_kind:     by_value
      - .offset:         96
        .size:           4
        .value_kind:     by_value
      - .offset:         100
        .size:           4
        .value_kind:     by_value
      - .offset:         104
        .size:           4
        .value_kind:     by_value
      - .offset:         108
        .size:           4
        .value_kind:     by_value
      - .offset:         112
        .size:           4
        .value_kind:     by_value
      - .offset:         116
        .size:           4
        .value_kind:     by_value
      - .offset:         120
        .size:           4
        .value_kind:     by_value
      - .offset:         124
        .size:           4
        .value_kind:     by_value
      - .offset:         128
        .size:           4
        .value_kind:     by_value
      - .offset:         132
        .size:           4
        .value_kind:     by_value
      - .offset:         136
        .size:           4
        .value_kind:     by_value
      - .offset:         144
        .size:           4
        .value_kind:     hidden_block_count_x
      - .offset:         148
        .size:           4
        .value_kind:     hidden_block_count_y
      - .offset:         152
        .size:           4
        .value_kind:     hidden_block_count_z
      - .offset:         156
        .size:           2
        .value_kind:     hidden_group_size_x
      - .offset:         158
        .size:           2
        .value_kind:     hidden_group_size_y
      - .offset:         160
        .size:           2
        .value_kind:     hidden_group_size_z
      - .offset:         162
        .size:           2
        .value_kind:     hidden_remainder_x
      - .offset:         164
        .size:           2
        .value_kind:     hidden_remainder_y
      - .offset:         166
        .size:           2
        .value_kind:     hidden_remainder_z
      - .offset:         184
        .size:           8
        .value_kind:     hidden_global_offset_x
      - .offset:         192
        .size:           8
        .value_kind:     hidden_global_offset_y
      - .offset:         200
        .size:           8
        .value_kind:     hidden_global_offset_z
      - .offset:         208
        .size:           2
        .value_kind:     hidden_grid_dims
    .group_segment_fixed_size: 0
    .kernarg_segment_align: 8
    .kernarg_segment_size: 400
    .language:       OpenCL C
    .language_version:
      - 2
      - 0
    .max_flat_workgroup_size: 1024
    .name:           _ZN5aiter35fused_qk_rmsnorm_group_quant_kernelItDB8_Li64ELi8ELi4ELb1ELb1ELb0ELb1ELb0ELb0EEEvPT0_PvPT_S6_S6_PKS5_S8_S8_S8_S8_ffiiiiiiiiiiiii
    .private_segment_fixed_size: 0
    .sgpr_count:     48
    .sgpr_spill_count: 0
    .symbol:         _ZN5aiter35fused_qk_rmsnorm_group_quant_kernelItDB8_Li64ELi8ELi4ELb1ELb1ELb0ELb1ELb0ELb0EEEvPT0_PvPT_S6_S6_PKS5_S8_S8_S8_S8_ffiiiiiiiiiiiii.kd
    .uniform_work_group_size: 1
    .uses_dynamic_stack: false
    .vgpr_count:     27
    .vgpr_spill_count: 0
    .wavefront_size: 64
  - .agpr_count:     0
    .args:
      - .actual_access:  read_only
        .address_space:  global
        .offset:         0
        .size:           8
        .value_kind:     global_buffer
      - .actual_access:  read_only
        .address_space:  global
        .offset:         8
        .size:           8
        .value_kind:     global_buffer
      - .actual_access:  write_only
        .address_space:  global
        .offset:         16
        .size:           8
        .value_kind:     global_buffer
      - .actual_access:  write_only
        .address_space:  global
        .offset:         24
        .size:           8
        .value_kind:     global_buffer
      - .actual_access:  write_only
        .address_space:  global
        .offset:         32
        .size:           8
        .value_kind:     global_buffer
      - .actual_access:  read_only
        .address_space:  global
        .offset:         40
        .size:           8
        .value_kind:     global_buffer
      - .actual_access:  read_only
        .address_space:  global
        .offset:         48
        .size:           8
        .value_kind:     global_buffer
      - .actual_access:  read_only
        .address_space:  global
        .offset:         56
        .size:           8
        .value_kind:     global_buffer
      - .actual_access:  read_only
        .address_space:  global
        .offset:         64
        .size:           8
        .value_kind:     global_buffer
      - .actual_access:  read_only
        .address_space:  global
        .offset:         72
        .size:           8
        .value_kind:     global_buffer
      - .offset:         80
        .size:           4
        .value_kind:     by_value
      - .offset:         84
        .size:           4
        .value_kind:     by_value
      - .offset:         88
        .size:           4
        .value_kind:     by_value
      - .offset:         92
        .size:           4
        .value_kind:     by_value
      - .offset:         96
        .size:           4
        .value_kind:     by_value
      - .offset:         100
        .size:           4
        .value_kind:     by_value
      - .offset:         104
        .size:           4
        .value_kind:     by_value
      - .offset:         108
        .size:           4
        .value_kind:     by_value
      - .offset:         112
        .size:           4
        .value_kind:     by_value
      - .offset:         116
        .size:           4
        .value_kind:     by_value
      - .offset:         120
        .size:           4
        .value_kind:     by_value
      - .offset:         124
        .size:           4
        .value_kind:     by_value
      - .offset:         128
        .size:           4
        .value_kind:     by_value
      - .offset:         132
        .size:           4
        .value_kind:     by_value
      - .offset:         136
        .size:           4
        .value_kind:     by_value
      - .offset:         144
        .size:           4
        .value_kind:     hidden_block_count_x
      - .offset:         148
        .size:           4
        .value_kind:     hidden_block_count_y
      - .offset:         152
        .size:           4
        .value_kind:     hidden_block_count_z
      - .offset:         156
        .size:           2
        .value_kind:     hidden_group_size_x
      - .offset:         158
        .size:           2
        .value_kind:     hidden_group_size_y
      - .offset:         160
        .size:           2
        .value_kind:     hidden_group_size_z
      - .offset:         162
        .size:           2
        .value_kind:     hidden_remainder_x
      - .offset:         164
        .size:           2
        .value_kind:     hidden_remainder_y
      - .offset:         166
        .size:           2
        .value_kind:     hidden_remainder_z
      - .offset:         184
        .size:           8
        .value_kind:     hidden_global_offset_x
      - .offset:         192
        .size:           8
        .value_kind:     hidden_global_offset_y
      - .offset:         200
        .size:           8
        .value_kind:     hidden_global_offset_z
      - .offset:         208
        .size:           2
        .value_kind:     hidden_grid_dims
    .group_segment_fixed_size: 0
    .kernarg_segment_align: 8
    .kernarg_segment_size: 400
    .language:       OpenCL C
    .language_version:
      - 2
      - 0
    .max_flat_workgroup_size: 1024
    .name:           _ZN5aiter35fused_qk_rmsnorm_group_quant_kernelIDF16_N4opus5fp4_tELi64ELi8ELi4ELb1ELb1ELb0ELb1ELb0ELb0EEEvPT0_PvPT_S7_S7_PKS6_S9_S9_S9_S9_ffiiiiiiiiiiiii
    .private_segment_fixed_size: 0
    .sgpr_count:     36
    .sgpr_spill_count: 0
    .symbol:         _ZN5aiter35fused_qk_rmsnorm_group_quant_kernelIDF16_N4opus5fp4_tELi64ELi8ELi4ELb1ELb1ELb0ELb1ELb0ELb0EEEvPT0_PvPT_S7_S7_PKS6_S9_S9_S9_S9_ffiiiiiiiiiiiii.kd
    .uniform_work_group_size: 1
    .uses_dynamic_stack: false
    .vgpr_count:     27
    .vgpr_spill_count: 0
    .wavefront_size: 64
  - .agpr_count:     0
    .args:
      - .actual_access:  read_only
        .address_space:  global
        .offset:         0
        .size:           8
        .value_kind:     global_buffer
      - .actual_access:  read_only
        .address_space:  global
        .offset:         8
        .size:           8
        .value_kind:     global_buffer
      - .actual_access:  write_only
        .address_space:  global
        .offset:         16
        .size:           8
        .value_kind:     global_buffer
      - .actual_access:  write_only
        .address_space:  global
        .offset:         24
        .size:           8
        .value_kind:     global_buffer
      - .actual_access:  write_only
        .address_space:  global
        .offset:         32
        .size:           8
        .value_kind:     global_buffer
      - .actual_access:  read_only
        .address_space:  global
        .offset:         40
        .size:           8
        .value_kind:     global_buffer
      - .actual_access:  read_only
        .address_space:  global
        .offset:         48
        .size:           8
        .value_kind:     global_buffer
      - .actual_access:  read_only
        .address_space:  global
        .offset:         56
        .size:           8
        .value_kind:     global_buffer
      - .actual_access:  read_only
        .address_space:  global
        .offset:         64
        .size:           8
        .value_kind:     global_buffer
      - .actual_access:  read_only
        .address_space:  global
        .offset:         72
        .size:           8
        .value_kind:     global_buffer
      - .offset:         80
        .size:           4
        .value_kind:     by_value
      - .offset:         84
        .size:           4
        .value_kind:     by_value
      - .offset:         88
        .size:           4
        .value_kind:     by_value
      - .offset:         92
        .size:           4
        .value_kind:     by_value
      - .offset:         96
        .size:           4
        .value_kind:     by_value
      - .offset:         100
        .size:           4
        .value_kind:     by_value
      - .offset:         104
        .size:           4
        .value_kind:     by_value
      - .offset:         108
        .size:           4
        .value_kind:     by_value
      - .offset:         112
        .size:           4
        .value_kind:     by_value
      - .offset:         116
        .size:           4
        .value_kind:     by_value
      - .offset:         120
        .size:           4
        .value_kind:     by_value
      - .offset:         124
        .size:           4
        .value_kind:     by_value
      - .offset:         128
        .size:           4
        .value_kind:     by_value
      - .offset:         132
        .size:           4
        .value_kind:     by_value
      - .offset:         136
        .size:           4
        .value_kind:     by_value
      - .offset:         144
        .size:           4
        .value_kind:     hidden_block_count_x
      - .offset:         148
        .size:           4
        .value_kind:     hidden_block_count_y
      - .offset:         152
        .size:           4
        .value_kind:     hidden_block_count_z
      - .offset:         156
        .size:           2
        .value_kind:     hidden_group_size_x
      - .offset:         158
        .size:           2
        .value_kind:     hidden_group_size_y
      - .offset:         160
        .size:           2
        .value_kind:     hidden_group_size_z
      - .offset:         162
        .size:           2
        .value_kind:     hidden_remainder_x
      - .offset:         164
        .size:           2
        .value_kind:     hidden_remainder_y
      - .offset:         166
        .size:           2
        .value_kind:     hidden_remainder_z
      - .offset:         184
        .size:           8
        .value_kind:     hidden_global_offset_x
      - .offset:         192
        .size:           8
        .value_kind:     hidden_global_offset_y
      - .offset:         200
        .size:           8
        .value_kind:     hidden_global_offset_z
      - .offset:         208
        .size:           2
        .value_kind:     hidden_grid_dims
    .group_segment_fixed_size: 0
    .kernarg_segment_align: 8
    .kernarg_segment_size: 400
    .language:       OpenCL C
    .language_version:
      - 2
      - 0
    .max_flat_workgroup_size: 1024
    .name:           _ZN5aiter35fused_qk_rmsnorm_group_quant_kernelItN4opus5fp4_tELi64ELi8ELi4ELb1ELb1ELb0ELb1ELb0ELb0EEEvPT0_PvPT_S7_S7_PKS6_S9_S9_S9_S9_ffiiiiiiiiiiiii
    .private_segment_fixed_size: 0
    .sgpr_count:     48
    .sgpr_spill_count: 0
    .symbol:         _ZN5aiter35fused_qk_rmsnorm_group_quant_kernelItN4opus5fp4_tELi64ELi8ELi4ELb1ELb1ELb0ELb1ELb0ELb0EEEvPT0_PvPT_S7_S7_PKS6_S9_S9_S9_S9_ffiiiiiiiiiiiii.kd
    .uniform_work_group_size: 1
    .uses_dynamic_stack: false
    .vgpr_count:     27
    .vgpr_spill_count: 0
    .wavefront_size: 64
  - .agpr_count:     0
    .args:
      - .actual_access:  read_only
        .address_space:  global
        .offset:         0
        .size:           8
        .value_kind:     global_buffer
      - .actual_access:  read_only
        .address_space:  global
        .offset:         8
        .size:           8
        .value_kind:     global_buffer
      - .actual_access:  write_only
        .address_space:  global
        .offset:         16
        .size:           8
        .value_kind:     global_buffer
      - .actual_access:  write_only
        .address_space:  global
        .offset:         24
        .size:           8
        .value_kind:     global_buffer
      - .actual_access:  read_only
        .address_space:  global
        .offset:         32
        .size:           8
        .value_kind:     global_buffer
      - .actual_access:  read_only
        .address_space:  global
        .offset:         40
        .size:           8
        .value_kind:     global_buffer
      - .actual_access:  read_only
        .address_space:  global
        .offset:         48
        .size:           8
        .value_kind:     global_buffer
      - .actual_access:  read_only
        .address_space:  global
        .offset:         56
        .size:           8
        .value_kind:     global_buffer
      - .actual_access:  read_only
        .address_space:  global
        .offset:         64
        .size:           8
        .value_kind:     global_buffer
      - .actual_access:  read_only
        .address_space:  global
        .offset:         72
        .size:           8
        .value_kind:     global_buffer
      - .offset:         80
        .size:           4
        .value_kind:     by_value
      - .offset:         84
        .size:           4
        .value_kind:     by_value
      - .offset:         88
        .size:           4
        .value_kind:     by_value
      - .offset:         92
        .size:           4
        .value_kind:     by_value
      - .offset:         96
        .size:           4
        .value_kind:     by_value
      - .offset:         100
        .size:           4
        .value_kind:     by_value
      - .offset:         104
        .size:           4
        .value_kind:     by_value
      - .offset:         108
        .size:           4
        .value_kind:     by_value
      - .offset:         112
        .size:           4
        .value_kind:     by_value
      - .offset:         116
        .size:           4
        .value_kind:     by_value
      - .offset:         120
        .size:           4
        .value_kind:     by_value
      - .offset:         124
        .size:           4
        .value_kind:     by_value
      - .offset:         128
        .size:           4
        .value_kind:     by_value
      - .offset:         132
        .size:           4
        .value_kind:     by_value
      - .offset:         136
        .size:           4
        .value_kind:     by_value
      - .offset:         144
        .size:           4
        .value_kind:     hidden_block_count_x
      - .offset:         148
        .size:           4
        .value_kind:     hidden_block_count_y
      - .offset:         152
        .size:           4
        .value_kind:     hidden_block_count_z
      - .offset:         156
        .size:           2
        .value_kind:     hidden_group_size_x
      - .offset:         158
        .size:           2
        .value_kind:     hidden_group_size_y
      - .offset:         160
        .size:           2
        .value_kind:     hidden_group_size_z
      - .offset:         162
        .size:           2
        .value_kind:     hidden_remainder_x
      - .offset:         164
        .size:           2
        .value_kind:     hidden_remainder_y
      - .offset:         166
        .size:           2
        .value_kind:     hidden_remainder_z
      - .offset:         184
        .size:           8
        .value_kind:     hidden_global_offset_x
      - .offset:         192
        .size:           8
        .value_kind:     hidden_global_offset_y
      - .offset:         200
        .size:           8
        .value_kind:     hidden_global_offset_z
      - .offset:         208
        .size:           2
        .value_kind:     hidden_grid_dims
    .group_segment_fixed_size: 0
    .kernarg_segment_align: 8
    .kernarg_segment_size: 400
    .language:       OpenCL C
    .language_version:
      - 2
      - 0
    .max_flat_workgroup_size: 1024
    .name:           _ZN5aiter35fused_qk_rmsnorm_group_quant_kernelIDF16_DB8_Li64ELi8ELi4ELb0ELb1ELb1ELb1ELb0ELb0EEEvPT0_PvPT_S6_S6_PKS5_S8_S8_S8_S8_ffiiiiiiiiiiiii
    .private_segment_fixed_size: 0
    .sgpr_count:     36
    .sgpr_spill_count: 0
    .symbol:         _ZN5aiter35fused_qk_rmsnorm_group_quant_kernelIDF16_DB8_Li64ELi8ELi4ELb0ELb1ELb1ELb1ELb0ELb0EEEvPT0_PvPT_S6_S6_PKS5_S8_S8_S8_S8_ffiiiiiiiiiiiii.kd
    .uniform_work_group_size: 1
    .uses_dynamic_stack: false
    .vgpr_count:     23
    .vgpr_spill_count: 0
    .wavefront_size: 64
  - .agpr_count:     0
    .args:
      - .actual_access:  read_only
        .address_space:  global
        .offset:         0
        .size:           8
        .value_kind:     global_buffer
      - .actual_access:  read_only
        .address_space:  global
        .offset:         8
        .size:           8
        .value_kind:     global_buffer
      - .actual_access:  write_only
        .address_space:  global
        .offset:         16
        .size:           8
        .value_kind:     global_buffer
      - .actual_access:  write_only
        .address_space:  global
        .offset:         24
        .size:           8
        .value_kind:     global_buffer
      - .actual_access:  read_only
        .address_space:  global
        .offset:         32
        .size:           8
        .value_kind:     global_buffer
      - .actual_access:  read_only
        .address_space:  global
        .offset:         40
        .size:           8
        .value_kind:     global_buffer
      - .actual_access:  read_only
        .address_space:  global
        .offset:         48
        .size:           8
        .value_kind:     global_buffer
      - .actual_access:  read_only
        .address_space:  global
        .offset:         56
        .size:           8
        .value_kind:     global_buffer
      - .actual_access:  read_only
        .address_space:  global
        .offset:         64
        .size:           8
        .value_kind:     global_buffer
      - .actual_access:  read_only
        .address_space:  global
        .offset:         72
        .size:           8
        .value_kind:     global_buffer
      - .offset:         80
        .size:           4
        .value_kind:     by_value
      - .offset:         84
        .size:           4
        .value_kind:     by_value
      - .offset:         88
        .size:           4
        .value_kind:     by_value
      - .offset:         92
        .size:           4
        .value_kind:     by_value
      - .offset:         96
        .size:           4
        .value_kind:     by_value
      - .offset:         100
        .size:           4
        .value_kind:     by_value
      - .offset:         104
        .size:           4
        .value_kind:     by_value
      - .offset:         108
        .size:           4
        .value_kind:     by_value
      - .offset:         112
        .size:           4
        .value_kind:     by_value
      - .offset:         116
        .size:           4
        .value_kind:     by_value
      - .offset:         120
        .size:           4
        .value_kind:     by_value
      - .offset:         124
        .size:           4
        .value_kind:     by_value
      - .offset:         128
        .size:           4
        .value_kind:     by_value
      - .offset:         132
        .size:           4
        .value_kind:     by_value
      - .offset:         136
        .size:           4
        .value_kind:     by_value
      - .offset:         144
        .size:           4
        .value_kind:     hidden_block_count_x
      - .offset:         148
        .size:           4
        .value_kind:     hidden_block_count_y
      - .offset:         152
        .size:           4
        .value_kind:     hidden_block_count_z
      - .offset:         156
        .size:           2
        .value_kind:     hidden_group_size_x
      - .offset:         158
        .size:           2
        .value_kind:     hidden_group_size_y
      - .offset:         160
        .size:           2
        .value_kind:     hidden_group_size_z
      - .offset:         162
        .size:           2
        .value_kind:     hidden_remainder_x
      - .offset:         164
        .size:           2
        .value_kind:     hidden_remainder_y
      - .offset:         166
        .size:           2
        .value_kind:     hidden_remainder_z
      - .offset:         184
        .size:           8
        .value_kind:     hidden_global_offset_x
      - .offset:         192
        .size:           8
        .value_kind:     hidden_global_offset_y
      - .offset:         200
        .size:           8
        .value_kind:     hidden_global_offset_z
      - .offset:         208
        .size:           2
        .value_kind:     hidden_grid_dims
    .group_segment_fixed_size: 0
    .kernarg_segment_align: 8
    .kernarg_segment_size: 400
    .language:       OpenCL C
    .language_version:
      - 2
      - 0
    .max_flat_workgroup_size: 1024
    .name:           _ZN5aiter35fused_qk_rmsnorm_group_quant_kernelItDB8_Li64ELi8ELi4ELb0ELb1ELb1ELb1ELb0ELb0EEEvPT0_PvPT_S6_S6_PKS5_S8_S8_S8_S8_ffiiiiiiiiiiiii
    .private_segment_fixed_size: 0
    .sgpr_count:     36
    .sgpr_spill_count: 0
    .symbol:         _ZN5aiter35fused_qk_rmsnorm_group_quant_kernelItDB8_Li64ELi8ELi4ELb0ELb1ELb1ELb1ELb0ELb0EEEvPT0_PvPT_S6_S6_PKS5_S8_S8_S8_S8_ffiiiiiiiiiiiii.kd
    .uniform_work_group_size: 1
    .uses_dynamic_stack: false
    .vgpr_count:     23
    .vgpr_spill_count: 0
    .wavefront_size: 64
  - .agpr_count:     0
    .args:
      - .actual_access:  read_only
        .address_space:  global
        .offset:         0
        .size:           8
        .value_kind:     global_buffer
      - .actual_access:  read_only
        .address_space:  global
        .offset:         8
        .size:           8
        .value_kind:     global_buffer
      - .actual_access:  write_only
        .address_space:  global
        .offset:         16
        .size:           8
        .value_kind:     global_buffer
      - .actual_access:  write_only
        .address_space:  global
        .offset:         24
        .size:           8
        .value_kind:     global_buffer
      - .actual_access:  read_only
        .address_space:  global
        .offset:         32
        .size:           8
        .value_kind:     global_buffer
      - .actual_access:  read_only
        .address_space:  global
        .offset:         40
        .size:           8
        .value_kind:     global_buffer
      - .actual_access:  read_only
        .address_space:  global
        .offset:         48
        .size:           8
        .value_kind:     global_buffer
      - .actual_access:  read_only
        .address_space:  global
        .offset:         56
        .size:           8
        .value_kind:     global_buffer
      - .actual_access:  read_only
        .address_space:  global
        .offset:         64
        .size:           8
        .value_kind:     global_buffer
      - .actual_access:  read_only
        .address_space:  global
        .offset:         72
        .size:           8
        .value_kind:     global_buffer
      - .offset:         80
        .size:           4
        .value_kind:     by_value
      - .offset:         84
        .size:           4
        .value_kind:     by_value
      - .offset:         88
        .size:           4
        .value_kind:     by_value
      - .offset:         92
        .size:           4
        .value_kind:     by_value
      - .offset:         96
        .size:           4
        .value_kind:     by_value
      - .offset:         100
        .size:           4
        .value_kind:     by_value
      - .offset:         104
        .size:           4
        .value_kind:     by_value
      - .offset:         108
        .size:           4
        .value_kind:     by_value
      - .offset:         112
        .size:           4
        .value_kind:     by_value
      - .offset:         116
        .size:           4
        .value_kind:     by_value
      - .offset:         120
        .size:           4
        .value_kind:     by_value
      - .offset:         124
        .size:           4
        .value_kind:     by_value
      - .offset:         128
        .size:           4
        .value_kind:     by_value
      - .offset:         132
        .size:           4
        .value_kind:     by_value
      - .offset:         136
        .size:           4
        .value_kind:     by_value
      - .offset:         144
        .size:           4
        .value_kind:     hidden_block_count_x
      - .offset:         148
        .size:           4
        .value_kind:     hidden_block_count_y
      - .offset:         152
        .size:           4
        .value_kind:     hidden_block_count_z
      - .offset:         156
        .size:           2
        .value_kind:     hidden_group_size_x
      - .offset:         158
        .size:           2
        .value_kind:     hidden_group_size_y
      - .offset:         160
        .size:           2
        .value_kind:     hidden_group_size_z
      - .offset:         162
        .size:           2
        .value_kind:     hidden_remainder_x
      - .offset:         164
        .size:           2
        .value_kind:     hidden_remainder_y
      - .offset:         166
        .size:           2
        .value_kind:     hidden_remainder_z
      - .offset:         184
        .size:           8
        .value_kind:     hidden_global_offset_x
      - .offset:         192
        .size:           8
        .value_kind:     hidden_global_offset_y
      - .offset:         200
        .size:           8
        .value_kind:     hidden_global_offset_z
      - .offset:         208
        .size:           2
        .value_kind:     hidden_grid_dims
    .group_segment_fixed_size: 0
    .kernarg_segment_align: 8
    .kernarg_segment_size: 400
    .language:       OpenCL C
    .language_version:
      - 2
      - 0
    .max_flat_workgroup_size: 1024
    .name:           _ZN5aiter35fused_qk_rmsnorm_group_quant_kernelIDF16_N4opus5fp4_tELi64ELi8ELi4ELb0ELb1ELb1ELb1ELb0ELb0EEEvPT0_PvPT_S7_S7_PKS6_S9_S9_S9_S9_ffiiiiiiiiiiiii
    .private_segment_fixed_size: 0
    .sgpr_count:     36
    .sgpr_spill_count: 0
    .symbol:         _ZN5aiter35fused_qk_rmsnorm_group_quant_kernelIDF16_N4opus5fp4_tELi64ELi8ELi4ELb0ELb1ELb1ELb1ELb0ELb0EEEvPT0_PvPT_S7_S7_PKS6_S9_S9_S9_S9_ffiiiiiiiiiiiii.kd
    .uniform_work_group_size: 1
    .uses_dynamic_stack: false
    .vgpr_count:     23
    .vgpr_spill_count: 0
    .wavefront_size: 64
  - .agpr_count:     0
    .args:
      - .actual_access:  read_only
        .address_space:  global
        .offset:         0
        .size:           8
        .value_kind:     global_buffer
      - .actual_access:  read_only
        .address_space:  global
        .offset:         8
        .size:           8
        .value_kind:     global_buffer
      - .actual_access:  write_only
        .address_space:  global
        .offset:         16
        .size:           8
        .value_kind:     global_buffer
      - .actual_access:  write_only
        .address_space:  global
        .offset:         24
        .size:           8
        .value_kind:     global_buffer
      - .actual_access:  read_only
        .address_space:  global
        .offset:         32
        .size:           8
        .value_kind:     global_buffer
      - .actual_access:  read_only
        .address_space:  global
        .offset:         40
        .size:           8
        .value_kind:     global_buffer
      - .actual_access:  read_only
        .address_space:  global
        .offset:         48
        .size:           8
        .value_kind:     global_buffer
      - .actual_access:  read_only
        .address_space:  global
        .offset:         56
        .size:           8
        .value_kind:     global_buffer
      - .actual_access:  read_only
        .address_space:  global
        .offset:         64
        .size:           8
        .value_kind:     global_buffer
      - .actual_access:  read_only
        .address_space:  global
        .offset:         72
        .size:           8
        .value_kind:     global_buffer
      - .offset:         80
        .size:           4
        .value_kind:     by_value
      - .offset:         84
        .size:           4
        .value_kind:     by_value
      - .offset:         88
        .size:           4
        .value_kind:     by_value
      - .offset:         92
        .size:           4
        .value_kind:     by_value
      - .offset:         96
        .size:           4
        .value_kind:     by_value
      - .offset:         100
        .size:           4
        .value_kind:     by_value
      - .offset:         104
        .size:           4
        .value_kind:     by_value
      - .offset:         108
        .size:           4
        .value_kind:     by_value
      - .offset:         112
        .size:           4
        .value_kind:     by_value
      - .offset:         116
        .size:           4
        .value_kind:     by_value
      - .offset:         120
        .size:           4
        .value_kind:     by_value
      - .offset:         124
        .size:           4
        .value_kind:     by_value
      - .offset:         128
        .size:           4
        .value_kind:     by_value
      - .offset:         132
        .size:           4
        .value_kind:     by_value
      - .offset:         136
        .size:           4
        .value_kind:     by_value
      - .offset:         144
        .size:           4
        .value_kind:     hidden_block_count_x
      - .offset:         148
        .size:           4
        .value_kind:     hidden_block_count_y
      - .offset:         152
        .size:           4
        .value_kind:     hidden_block_count_z
      - .offset:         156
        .size:           2
        .value_kind:     hidden_group_size_x
      - .offset:         158
        .size:           2
        .value_kind:     hidden_group_size_y
      - .offset:         160
        .size:           2
        .value_kind:     hidden_group_size_z
      - .offset:         162
        .size:           2
        .value_kind:     hidden_remainder_x
      - .offset:         164
        .size:           2
        .value_kind:     hidden_remainder_y
      - .offset:         166
        .size:           2
        .value_kind:     hidden_remainder_z
      - .offset:         184
        .size:           8
        .value_kind:     hidden_global_offset_x
      - .offset:         192
        .size:           8
        .value_kind:     hidden_global_offset_y
      - .offset:         200
        .size:           8
        .value_kind:     hidden_global_offset_z
      - .offset:         208
        .size:           2
        .value_kind:     hidden_grid_dims
    .group_segment_fixed_size: 0
    .kernarg_segment_align: 8
    .kernarg_segment_size: 400
    .language:       OpenCL C
    .language_version:
      - 2
      - 0
    .max_flat_workgroup_size: 1024
    .name:           _ZN5aiter35fused_qk_rmsnorm_group_quant_kernelItN4opus5fp4_tELi64ELi8ELi4ELb0ELb1ELb1ELb1ELb0ELb0EEEvPT0_PvPT_S7_S7_PKS6_S9_S9_S9_S9_ffiiiiiiiiiiiii
    .private_segment_fixed_size: 0
    .sgpr_count:     36
    .sgpr_spill_count: 0
    .symbol:         _ZN5aiter35fused_qk_rmsnorm_group_quant_kernelItN4opus5fp4_tELi64ELi8ELi4ELb0ELb1ELb1ELb1ELb0ELb0EEEvPT0_PvPT_S7_S7_PKS6_S9_S9_S9_S9_ffiiiiiiiiiiiii.kd
    .uniform_work_group_size: 1
    .uses_dynamic_stack: false
    .vgpr_count:     23
    .vgpr_spill_count: 0
    .wavefront_size: 64
  - .agpr_count:     0
    .args:
      - .actual_access:  read_only
        .address_space:  global
        .offset:         0
        .size:           8
        .value_kind:     global_buffer
      - .actual_access:  read_only
        .address_space:  global
        .offset:         8
        .size:           8
        .value_kind:     global_buffer
      - .actual_access:  write_only
        .address_space:  global
        .offset:         16
        .size:           8
        .value_kind:     global_buffer
      - .actual_access:  write_only
        .address_space:  global
        .offset:         24
        .size:           8
        .value_kind:     global_buffer
      - .actual_access:  read_only
        .address_space:  global
        .offset:         32
        .size:           8
        .value_kind:     global_buffer
      - .actual_access:  read_only
        .address_space:  global
        .offset:         40
        .size:           8
        .value_kind:     global_buffer
      - .actual_access:  read_only
        .address_space:  global
        .offset:         48
        .size:           8
        .value_kind:     global_buffer
      - .actual_access:  read_only
        .address_space:  global
        .offset:         56
        .size:           8
        .value_kind:     global_buffer
      - .actual_access:  read_only
        .address_space:  global
        .offset:         64
        .size:           8
        .value_kind:     global_buffer
      - .actual_access:  read_only
        .address_space:  global
        .offset:         72
        .size:           8
        .value_kind:     global_buffer
      - .offset:         80
        .size:           4
        .value_kind:     by_value
      - .offset:         84
        .size:           4
        .value_kind:     by_value
      - .offset:         88
        .size:           4
        .value_kind:     by_value
      - .offset:         92
        .size:           4
        .value_kind:     by_value
      - .offset:         96
        .size:           4
        .value_kind:     by_value
      - .offset:         100
        .size:           4
        .value_kind:     by_value
      - .offset:         104
        .size:           4
        .value_kind:     by_value
      - .offset:         108
        .size:           4
        .value_kind:     by_value
      - .offset:         112
        .size:           4
        .value_kind:     by_value
      - .offset:         116
        .size:           4
        .value_kind:     by_value
      - .offset:         120
        .size:           4
        .value_kind:     by_value
      - .offset:         124
        .size:           4
        .value_kind:     by_value
      - .offset:         128
        .size:           4
        .value_kind:     by_value
      - .offset:         132
        .size:           4
        .value_kind:     by_value
      - .offset:         136
        .size:           4
        .value_kind:     by_value
      - .offset:         144
        .size:           4
        .value_kind:     hidden_block_count_x
      - .offset:         148
        .size:           4
        .value_kind:     hidden_block_count_y
      - .offset:         152
        .size:           4
        .value_kind:     hidden_block_count_z
      - .offset:         156
        .size:           2
        .value_kind:     hidden_group_size_x
      - .offset:         158
        .size:           2
        .value_kind:     hidden_group_size_y
      - .offset:         160
        .size:           2
        .value_kind:     hidden_group_size_z
      - .offset:         162
        .size:           2
        .value_kind:     hidden_remainder_x
      - .offset:         164
        .size:           2
        .value_kind:     hidden_remainder_y
      - .offset:         166
        .size:           2
        .value_kind:     hidden_remainder_z
      - .offset:         184
        .size:           8
        .value_kind:     hidden_global_offset_x
      - .offset:         192
        .size:           8
        .value_kind:     hidden_global_offset_y
      - .offset:         200
        .size:           8
        .value_kind:     hidden_global_offset_z
      - .offset:         208
        .size:           2
        .value_kind:     hidden_grid_dims
    .group_segment_fixed_size: 0
    .kernarg_segment_align: 8
    .kernarg_segment_size: 400
    .language:       OpenCL C
    .language_version:
      - 2
      - 0
    .max_flat_workgroup_size: 1024
    .name:           _ZN5aiter35fused_qk_rmsnorm_group_quant_kernelIDF16_DB8_Li64ELi8ELi4ELb0ELb1ELb0ELb1ELb0ELb0EEEvPT0_PvPT_S6_S6_PKS5_S8_S8_S8_S8_ffiiiiiiiiiiiii
    .private_segment_fixed_size: 0
    .sgpr_count:     36
    .sgpr_spill_count: 0
    .symbol:         _ZN5aiter35fused_qk_rmsnorm_group_quant_kernelIDF16_DB8_Li64ELi8ELi4ELb0ELb1ELb0ELb1ELb0ELb0EEEvPT0_PvPT_S6_S6_PKS5_S8_S8_S8_S8_ffiiiiiiiiiiiii.kd
    .uniform_work_group_size: 1
    .uses_dynamic_stack: false
    .vgpr_count:     23
    .vgpr_spill_count: 0
    .wavefront_size: 64
  - .agpr_count:     0
    .args:
      - .actual_access:  read_only
        .address_space:  global
        .offset:         0
        .size:           8
        .value_kind:     global_buffer
      - .actual_access:  read_only
        .address_space:  global
        .offset:         8
        .size:           8
        .value_kind:     global_buffer
      - .actual_access:  write_only
        .address_space:  global
        .offset:         16
        .size:           8
        .value_kind:     global_buffer
      - .actual_access:  write_only
        .address_space:  global
        .offset:         24
        .size:           8
        .value_kind:     global_buffer
      - .actual_access:  read_only
        .address_space:  global
        .offset:         32
        .size:           8
        .value_kind:     global_buffer
      - .actual_access:  read_only
        .address_space:  global
        .offset:         40
        .size:           8
        .value_kind:     global_buffer
      - .actual_access:  read_only
        .address_space:  global
        .offset:         48
        .size:           8
        .value_kind:     global_buffer
      - .actual_access:  read_only
        .address_space:  global
        .offset:         56
        .size:           8
        .value_kind:     global_buffer
      - .actual_access:  read_only
        .address_space:  global
        .offset:         64
        .size:           8
        .value_kind:     global_buffer
      - .actual_access:  read_only
        .address_space:  global
        .offset:         72
        .size:           8
        .value_kind:     global_buffer
      - .offset:         80
        .size:           4
        .value_kind:     by_value
      - .offset:         84
        .size:           4
        .value_kind:     by_value
      - .offset:         88
        .size:           4
        .value_kind:     by_value
      - .offset:         92
        .size:           4
        .value_kind:     by_value
      - .offset:         96
        .size:           4
        .value_kind:     by_value
      - .offset:         100
        .size:           4
        .value_kind:     by_value
      - .offset:         104
        .size:           4
        .value_kind:     by_value
      - .offset:         108
        .size:           4
        .value_kind:     by_value
      - .offset:         112
        .size:           4
        .value_kind:     by_value
      - .offset:         116
        .size:           4
        .value_kind:     by_value
      - .offset:         120
        .size:           4
        .value_kind:     by_value
      - .offset:         124
        .size:           4
        .value_kind:     by_value
      - .offset:         128
        .size:           4
        .value_kind:     by_value
      - .offset:         132
        .size:           4
        .value_kind:     by_value
      - .offset:         136
        .size:           4
        .value_kind:     by_value
      - .offset:         144
        .size:           4
        .value_kind:     hidden_block_count_x
      - .offset:         148
        .size:           4
        .value_kind:     hidden_block_count_y
      - .offset:         152
        .size:           4
        .value_kind:     hidden_block_count_z
      - .offset:         156
        .size:           2
        .value_kind:     hidden_group_size_x
      - .offset:         158
        .size:           2
        .value_kind:     hidden_group_size_y
      - .offset:         160
        .size:           2
        .value_kind:     hidden_group_size_z
      - .offset:         162
        .size:           2
        .value_kind:     hidden_remainder_x
      - .offset:         164
        .size:           2
        .value_kind:     hidden_remainder_y
      - .offset:         166
        .size:           2
        .value_kind:     hidden_remainder_z
      - .offset:         184
        .size:           8
        .value_kind:     hidden_global_offset_x
      - .offset:         192
        .size:           8
        .value_kind:     hidden_global_offset_y
      - .offset:         200
        .size:           8
        .value_kind:     hidden_global_offset_z
      - .offset:         208
        .size:           2
        .value_kind:     hidden_grid_dims
    .group_segment_fixed_size: 0
    .kernarg_segment_align: 8
    .kernarg_segment_size: 400
    .language:       OpenCL C
    .language_version:
      - 2
      - 0
    .max_flat_workgroup_size: 1024
    .name:           _ZN5aiter35fused_qk_rmsnorm_group_quant_kernelItDB8_Li64ELi8ELi4ELb0ELb1ELb0ELb1ELb0ELb0EEEvPT0_PvPT_S6_S6_PKS5_S8_S8_S8_S8_ffiiiiiiiiiiiii
    .private_segment_fixed_size: 0
    .sgpr_count:     36
    .sgpr_spill_count: 0
    .symbol:         _ZN5aiter35fused_qk_rmsnorm_group_quant_kernelItDB8_Li64ELi8ELi4ELb0ELb1ELb0ELb1ELb0ELb0EEEvPT0_PvPT_S6_S6_PKS5_S8_S8_S8_S8_ffiiiiiiiiiiiii.kd
    .uniform_work_group_size: 1
    .uses_dynamic_stack: false
    .vgpr_count:     23
    .vgpr_spill_count: 0
    .wavefront_size: 64
  - .agpr_count:     0
    .args:
      - .actual_access:  read_only
        .address_space:  global
        .offset:         0
        .size:           8
        .value_kind:     global_buffer
      - .actual_access:  read_only
        .address_space:  global
        .offset:         8
        .size:           8
        .value_kind:     global_buffer
      - .actual_access:  write_only
        .address_space:  global
        .offset:         16
        .size:           8
        .value_kind:     global_buffer
      - .actual_access:  write_only
        .address_space:  global
        .offset:         24
        .size:           8
        .value_kind:     global_buffer
      - .actual_access:  read_only
        .address_space:  global
        .offset:         32
        .size:           8
        .value_kind:     global_buffer
      - .actual_access:  read_only
        .address_space:  global
        .offset:         40
        .size:           8
        .value_kind:     global_buffer
      - .actual_access:  read_only
        .address_space:  global
        .offset:         48
        .size:           8
        .value_kind:     global_buffer
      - .actual_access:  read_only
        .address_space:  global
        .offset:         56
        .size:           8
        .value_kind:     global_buffer
      - .actual_access:  read_only
        .address_space:  global
        .offset:         64
        .size:           8
        .value_kind:     global_buffer
      - .actual_access:  read_only
        .address_space:  global
        .offset:         72
        .size:           8
        .value_kind:     global_buffer
      - .offset:         80
        .size:           4
        .value_kind:     by_value
      - .offset:         84
        .size:           4
        .value_kind:     by_value
      - .offset:         88
        .size:           4
        .value_kind:     by_value
      - .offset:         92
        .size:           4
        .value_kind:     by_value
      - .offset:         96
        .size:           4
        .value_kind:     by_value
      - .offset:         100
        .size:           4
        .value_kind:     by_value
      - .offset:         104
        .size:           4
        .value_kind:     by_value
      - .offset:         108
        .size:           4
        .value_kind:     by_value
      - .offset:         112
        .size:           4
        .value_kind:     by_value
      - .offset:         116
        .size:           4
        .value_kind:     by_value
      - .offset:         120
        .size:           4
        .value_kind:     by_value
      - .offset:         124
        .size:           4
        .value_kind:     by_value
      - .offset:         128
        .size:           4
        .value_kind:     by_value
      - .offset:         132
        .size:           4
        .value_kind:     by_value
      - .offset:         136
        .size:           4
        .value_kind:     by_value
      - .offset:         144
        .size:           4
        .value_kind:     hidden_block_count_x
      - .offset:         148
        .size:           4
        .value_kind:     hidden_block_count_y
      - .offset:         152
        .size:           4
        .value_kind:     hidden_block_count_z
      - .offset:         156
        .size:           2
        .value_kind:     hidden_group_size_x
      - .offset:         158
        .size:           2
        .value_kind:     hidden_group_size_y
      - .offset:         160
        .size:           2
        .value_kind:     hidden_group_size_z
      - .offset:         162
        .size:           2
        .value_kind:     hidden_remainder_x
      - .offset:         164
        .size:           2
        .value_kind:     hidden_remainder_y
      - .offset:         166
        .size:           2
        .value_kind:     hidden_remainder_z
      - .offset:         184
        .size:           8
        .value_kind:     hidden_global_offset_x
      - .offset:         192
        .size:           8
        .value_kind:     hidden_global_offset_y
      - .offset:         200
        .size:           8
        .value_kind:     hidden_global_offset_z
      - .offset:         208
        .size:           2
        .value_kind:     hidden_grid_dims
    .group_segment_fixed_size: 0
    .kernarg_segment_align: 8
    .kernarg_segment_size: 400
    .language:       OpenCL C
    .language_version:
      - 2
      - 0
    .max_flat_workgroup_size: 1024
    .name:           _ZN5aiter35fused_qk_rmsnorm_group_quant_kernelIDF16_N4opus5fp4_tELi64ELi8ELi4ELb0ELb1ELb0ELb1ELb0ELb0EEEvPT0_PvPT_S7_S7_PKS6_S9_S9_S9_S9_ffiiiiiiiiiiiii
    .private_segment_fixed_size: 0
    .sgpr_count:     36
    .sgpr_spill_count: 0
    .symbol:         _ZN5aiter35fused_qk_rmsnorm_group_quant_kernelIDF16_N4opus5fp4_tELi64ELi8ELi4ELb0ELb1ELb0ELb1ELb0ELb0EEEvPT0_PvPT_S7_S7_PKS6_S9_S9_S9_S9_ffiiiiiiiiiiiii.kd
    .uniform_work_group_size: 1
    .uses_dynamic_stack: false
    .vgpr_count:     23
    .vgpr_spill_count: 0
    .wavefront_size: 64
  - .agpr_count:     0
    .args:
      - .actual_access:  read_only
        .address_space:  global
        .offset:         0
        .size:           8
        .value_kind:     global_buffer
      - .actual_access:  read_only
        .address_space:  global
        .offset:         8
        .size:           8
        .value_kind:     global_buffer
      - .actual_access:  write_only
        .address_space:  global
        .offset:         16
        .size:           8
        .value_kind:     global_buffer
      - .actual_access:  write_only
        .address_space:  global
        .offset:         24
        .size:           8
        .value_kind:     global_buffer
      - .actual_access:  read_only
        .address_space:  global
        .offset:         32
        .size:           8
        .value_kind:     global_buffer
      - .actual_access:  read_only
        .address_space:  global
        .offset:         40
        .size:           8
        .value_kind:     global_buffer
      - .actual_access:  read_only
        .address_space:  global
        .offset:         48
        .size:           8
        .value_kind:     global_buffer
      - .actual_access:  read_only
        .address_space:  global
        .offset:         56
        .size:           8
        .value_kind:     global_buffer
      - .actual_access:  read_only
        .address_space:  global
        .offset:         64
        .size:           8
        .value_kind:     global_buffer
      - .actual_access:  read_only
        .address_space:  global
        .offset:         72
        .size:           8
        .value_kind:     global_buffer
      - .offset:         80
        .size:           4
        .value_kind:     by_value
      - .offset:         84
        .size:           4
        .value_kind:     by_value
      - .offset:         88
        .size:           4
        .value_kind:     by_value
      - .offset:         92
        .size:           4
        .value_kind:     by_value
      - .offset:         96
        .size:           4
        .value_kind:     by_value
      - .offset:         100
        .size:           4
        .value_kind:     by_value
      - .offset:         104
        .size:           4
        .value_kind:     by_value
      - .offset:         108
        .size:           4
        .value_kind:     by_value
      - .offset:         112
        .size:           4
        .value_kind:     by_value
      - .offset:         116
        .size:           4
        .value_kind:     by_value
      - .offset:         120
        .size:           4
        .value_kind:     by_value
      - .offset:         124
        .size:           4
        .value_kind:     by_value
      - .offset:         128
        .size:           4
        .value_kind:     by_value
      - .offset:         132
        .size:           4
        .value_kind:     by_value
      - .offset:         136
        .size:           4
        .value_kind:     by_value
      - .offset:         144
        .size:           4
        .value_kind:     hidden_block_count_x
      - .offset:         148
        .size:           4
        .value_kind:     hidden_block_count_y
      - .offset:         152
        .size:           4
        .value_kind:     hidden_block_count_z
      - .offset:         156
        .size:           2
        .value_kind:     hidden_group_size_x
      - .offset:         158
        .size:           2
        .value_kind:     hidden_group_size_y
      - .offset:         160
        .size:           2
        .value_kind:     hidden_group_size_z
      - .offset:         162
        .size:           2
        .value_kind:     hidden_remainder_x
      - .offset:         164
        .size:           2
        .value_kind:     hidden_remainder_y
      - .offset:         166
        .size:           2
        .value_kind:     hidden_remainder_z
      - .offset:         184
        .size:           8
        .value_kind:     hidden_global_offset_x
      - .offset:         192
        .size:           8
        .value_kind:     hidden_global_offset_y
      - .offset:         200
        .size:           8
        .value_kind:     hidden_global_offset_z
      - .offset:         208
        .size:           2
        .value_kind:     hidden_grid_dims
    .group_segment_fixed_size: 0
    .kernarg_segment_align: 8
    .kernarg_segment_size: 400
    .language:       OpenCL C
    .language_version:
      - 2
      - 0
    .max_flat_workgroup_size: 1024
    .name:           _ZN5aiter35fused_qk_rmsnorm_group_quant_kernelItN4opus5fp4_tELi64ELi8ELi4ELb0ELb1ELb0ELb1ELb0ELb0EEEvPT0_PvPT_S7_S7_PKS6_S9_S9_S9_S9_ffiiiiiiiiiiiii
    .private_segment_fixed_size: 0
    .sgpr_count:     36
    .sgpr_spill_count: 0
    .symbol:         _ZN5aiter35fused_qk_rmsnorm_group_quant_kernelItN4opus5fp4_tELi64ELi8ELi4ELb0ELb1ELb0ELb1ELb0ELb0EEEvPT0_PvPT_S7_S7_PKS6_S9_S9_S9_S9_ffiiiiiiiiiiiii.kd
    .uniform_work_group_size: 1
    .uses_dynamic_stack: false
    .vgpr_count:     23
    .vgpr_spill_count: 0
    .wavefront_size: 64
  - .agpr_count:     0
    .args:
      - .actual_access:  write_only
        .address_space:  global
        .offset:         0
        .size:           8
        .value_kind:     global_buffer
      - .actual_access:  write_only
        .address_space:  global
        .offset:         8
        .size:           8
        .value_kind:     global_buffer
      - .actual_access:  write_only
        .address_space:  global
        .offset:         16
        .size:           8
        .value_kind:     global_buffer
      - .actual_access:  write_only
        .address_space:  global
        .offset:         24
        .size:           8
        .value_kind:     global_buffer
      - .actual_access:  write_only
        .address_space:  global
        .offset:         32
        .size:           8
        .value_kind:     global_buffer
      - .actual_access:  read_only
        .address_space:  global
        .offset:         40
        .size:           8
        .value_kind:     global_buffer
      - .actual_access:  read_only
        .address_space:  global
        .offset:         48
        .size:           8
        .value_kind:     global_buffer
      - .actual_access:  read_only
        .address_space:  global
        .offset:         56
        .size:           8
        .value_kind:     global_buffer
      - .actual_access:  read_only
        .address_space:  global
        .offset:         64
        .size:           8
        .value_kind:     global_buffer
      - .actual_access:  read_only
        .address_space:  global
        .offset:         72
        .size:           8
        .value_kind:     global_buffer
      - .offset:         80
        .size:           4
        .value_kind:     by_value
      - .offset:         84
        .size:           4
        .value_kind:     by_value
      - .offset:         88
        .size:           4
        .value_kind:     by_value
      - .offset:         92
        .size:           4
        .value_kind:     by_value
      - .offset:         96
        .size:           4
        .value_kind:     by_value
      - .offset:         100
        .size:           4
        .value_kind:     by_value
      - .offset:         104
        .size:           4
        .value_kind:     by_value
      - .offset:         108
        .size:           4
        .value_kind:     by_value
      - .offset:         112
        .size:           4
        .value_kind:     by_value
      - .offset:         116
        .size:           4
        .value_kind:     by_value
      - .offset:         120
        .size:           4
        .value_kind:     by_value
      - .offset:         124
        .size:           4
        .value_kind:     by_value
      - .offset:         128
        .size:           4
        .value_kind:     by_value
      - .offset:         132
        .size:           4
        .value_kind:     by_value
      - .offset:         136
        .size:           4
        .value_kind:     by_value
      - .offset:         144
        .size:           4
        .value_kind:     hidden_block_count_x
      - .offset:         148
        .size:           4
        .value_kind:     hidden_block_count_y
      - .offset:         152
        .size:           4
        .value_kind:     hidden_block_count_z
      - .offset:         156
        .size:           2
        .value_kind:     hidden_group_size_x
      - .offset:         158
        .size:           2
        .value_kind:     hidden_group_size_y
      - .offset:         160
        .size:           2
        .value_kind:     hidden_group_size_z
      - .offset:         162
        .size:           2
        .value_kind:     hidden_remainder_x
      - .offset:         164
        .size:           2
        .value_kind:     hidden_remainder_y
      - .offset:         166
        .size:           2
        .value_kind:     hidden_remainder_z
      - .offset:         184
        .size:           8
        .value_kind:     hidden_global_offset_x
      - .offset:         192
        .size:           8
        .value_kind:     hidden_global_offset_y
      - .offset:         200
        .size:           8
        .value_kind:     hidden_global_offset_z
      - .offset:         208
        .size:           2
        .value_kind:     hidden_grid_dims
    .group_segment_fixed_size: 0
    .kernarg_segment_align: 8
    .kernarg_segment_size: 400
    .language:       OpenCL C
    .language_version:
      - 2
      - 0
    .max_flat_workgroup_size: 1024
    .name:           _ZN5aiter35fused_qk_rmsnorm_group_quant_kernelIDF16_DB8_Li64ELi8ELi4ELb1ELb1ELb1ELb0ELb0ELb0EEEvPT0_PvPT_S6_S6_PKS5_S8_S8_S8_S8_ffiiiiiiiiiiiii
    .private_segment_fixed_size: 0
    .sgpr_count:     44
    .sgpr_spill_count: 0
    .symbol:         _ZN5aiter35fused_qk_rmsnorm_group_quant_kernelIDF16_DB8_Li64ELi8ELi4ELb1ELb1ELb1ELb0ELb0ELb0EEEvPT0_PvPT_S6_S6_PKS5_S8_S8_S8_S8_ffiiiiiiiiiiiii.kd
    .uniform_work_group_size: 1
    .uses_dynamic_stack: false
    .vgpr_count:     31
    .vgpr_spill_count: 0
    .wavefront_size: 64
  - .agpr_count:     0
    .args:
      - .actual_access:  write_only
        .address_space:  global
        .offset:         0
        .size:           8
        .value_kind:     global_buffer
      - .actual_access:  write_only
        .address_space:  global
        .offset:         8
        .size:           8
        .value_kind:     global_buffer
      - .actual_access:  write_only
        .address_space:  global
        .offset:         16
        .size:           8
        .value_kind:     global_buffer
      - .actual_access:  write_only
        .address_space:  global
        .offset:         24
        .size:           8
        .value_kind:     global_buffer
      - .actual_access:  write_only
        .address_space:  global
        .offset:         32
        .size:           8
        .value_kind:     global_buffer
      - .actual_access:  read_only
        .address_space:  global
        .offset:         40
        .size:           8
        .value_kind:     global_buffer
      - .actual_access:  read_only
        .address_space:  global
        .offset:         48
        .size:           8
        .value_kind:     global_buffer
      - .actual_access:  read_only
        .address_space:  global
        .offset:         56
        .size:           8
        .value_kind:     global_buffer
      - .actual_access:  read_only
        .address_space:  global
        .offset:         64
        .size:           8
        .value_kind:     global_buffer
      - .actual_access:  read_only
        .address_space:  global
        .offset:         72
        .size:           8
        .value_kind:     global_buffer
      - .offset:         80
        .size:           4
        .value_kind:     by_value
      - .offset:         84
        .size:           4
        .value_kind:     by_value
      - .offset:         88
        .size:           4
        .value_kind:     by_value
      - .offset:         92
        .size:           4
        .value_kind:     by_value
      - .offset:         96
        .size:           4
        .value_kind:     by_value
      - .offset:         100
        .size:           4
        .value_kind:     by_value
      - .offset:         104
        .size:           4
        .value_kind:     by_value
      - .offset:         108
        .size:           4
        .value_kind:     by_value
      - .offset:         112
        .size:           4
        .value_kind:     by_value
      - .offset:         116
        .size:           4
        .value_kind:     by_value
      - .offset:         120
        .size:           4
        .value_kind:     by_value
      - .offset:         124
        .size:           4
        .value_kind:     by_value
      - .offset:         128
        .size:           4
        .value_kind:     by_value
      - .offset:         132
        .size:           4
        .value_kind:     by_value
      - .offset:         136
        .size:           4
        .value_kind:     by_value
      - .offset:         144
        .size:           4
        .value_kind:     hidden_block_count_x
      - .offset:         148
        .size:           4
        .value_kind:     hidden_block_count_y
      - .offset:         152
        .size:           4
        .value_kind:     hidden_block_count_z
      - .offset:         156
        .size:           2
        .value_kind:     hidden_group_size_x
      - .offset:         158
        .size:           2
        .value_kind:     hidden_group_size_y
      - .offset:         160
        .size:           2
        .value_kind:     hidden_group_size_z
      - .offset:         162
        .size:           2
        .value_kind:     hidden_remainder_x
      - .offset:         164
        .size:           2
        .value_kind:     hidden_remainder_y
      - .offset:         166
        .size:           2
        .value_kind:     hidden_remainder_z
      - .offset:         184
        .size:           8
        .value_kind:     hidden_global_offset_x
      - .offset:         192
        .size:           8
        .value_kind:     hidden_global_offset_y
      - .offset:         200
        .size:           8
        .value_kind:     hidden_global_offset_z
      - .offset:         208
        .size:           2
        .value_kind:     hidden_grid_dims
    .group_segment_fixed_size: 0
    .kernarg_segment_align: 8
    .kernarg_segment_size: 400
    .language:       OpenCL C
    .language_version:
      - 2
      - 0
    .max_flat_workgroup_size: 1024
    .name:           _ZN5aiter35fused_qk_rmsnorm_group_quant_kernelItDB8_Li64ELi8ELi4ELb1ELb1ELb1ELb0ELb0ELb0EEEvPT0_PvPT_S6_S6_PKS5_S8_S8_S8_S8_ffiiiiiiiiiiiii
    .private_segment_fixed_size: 0
    .sgpr_count:     48
    .sgpr_spill_count: 0
    .symbol:         _ZN5aiter35fused_qk_rmsnorm_group_quant_kernelItDB8_Li64ELi8ELi4ELb1ELb1ELb1ELb0ELb0ELb0EEEvPT0_PvPT_S6_S6_PKS5_S8_S8_S8_S8_ffiiiiiiiiiiiii.kd
    .uniform_work_group_size: 1
    .uses_dynamic_stack: false
    .vgpr_count:     27
    .vgpr_spill_count: 0
    .wavefront_size: 64
  - .agpr_count:     0
    .args:
      - .actual_access:  write_only
        .address_space:  global
        .offset:         0
        .size:           8
        .value_kind:     global_buffer
      - .actual_access:  write_only
        .address_space:  global
        .offset:         8
        .size:           8
        .value_kind:     global_buffer
      - .actual_access:  write_only
        .address_space:  global
        .offset:         16
        .size:           8
        .value_kind:     global_buffer
      - .actual_access:  write_only
        .address_space:  global
        .offset:         24
        .size:           8
        .value_kind:     global_buffer
      - .actual_access:  write_only
        .address_space:  global
        .offset:         32
        .size:           8
        .value_kind:     global_buffer
      - .actual_access:  read_only
        .address_space:  global
        .offset:         40
        .size:           8
        .value_kind:     global_buffer
      - .actual_access:  read_only
        .address_space:  global
        .offset:         48
        .size:           8
        .value_kind:     global_buffer
      - .actual_access:  read_only
        .address_space:  global
        .offset:         56
        .size:           8
        .value_kind:     global_buffer
      - .actual_access:  read_only
        .address_space:  global
        .offset:         64
        .size:           8
        .value_kind:     global_buffer
      - .actual_access:  read_only
        .address_space:  global
        .offset:         72
        .size:           8
        .value_kind:     global_buffer
      - .offset:         80
        .size:           4
        .value_kind:     by_value
      - .offset:         84
        .size:           4
        .value_kind:     by_value
      - .offset:         88
        .size:           4
        .value_kind:     by_value
      - .offset:         92
        .size:           4
        .value_kind:     by_value
      - .offset:         96
        .size:           4
        .value_kind:     by_value
      - .offset:         100
        .size:           4
        .value_kind:     by_value
      - .offset:         104
        .size:           4
        .value_kind:     by_value
      - .offset:         108
        .size:           4
        .value_kind:     by_value
      - .offset:         112
        .size:           4
        .value_kind:     by_value
      - .offset:         116
        .size:           4
        .value_kind:     by_value
      - .offset:         120
        .size:           4
        .value_kind:     by_value
      - .offset:         124
        .size:           4
        .value_kind:     by_value
      - .offset:         128
        .size:           4
        .value_kind:     by_value
      - .offset:         132
        .size:           4
        .value_kind:     by_value
      - .offset:         136
        .size:           4
        .value_kind:     by_value
      - .offset:         144
        .size:           4
        .value_kind:     hidden_block_count_x
      - .offset:         148
        .size:           4
        .value_kind:     hidden_block_count_y
      - .offset:         152
        .size:           4
        .value_kind:     hidden_block_count_z
      - .offset:         156
        .size:           2
        .value_kind:     hidden_group_size_x
      - .offset:         158
        .size:           2
        .value_kind:     hidden_group_size_y
      - .offset:         160
        .size:           2
        .value_kind:     hidden_group_size_z
      - .offset:         162
        .size:           2
        .value_kind:     hidden_remainder_x
      - .offset:         164
        .size:           2
        .value_kind:     hidden_remainder_y
      - .offset:         166
        .size:           2
        .value_kind:     hidden_remainder_z
      - .offset:         184
        .size:           8
        .value_kind:     hidden_global_offset_x
      - .offset:         192
        .size:           8
        .value_kind:     hidden_global_offset_y
      - .offset:         200
        .size:           8
        .value_kind:     hidden_global_offset_z
      - .offset:         208
        .size:           2
        .value_kind:     hidden_grid_dims
    .group_segment_fixed_size: 0
    .kernarg_segment_align: 8
    .kernarg_segment_size: 400
    .language:       OpenCL C
    .language_version:
      - 2
      - 0
    .max_flat_workgroup_size: 1024
    .name:           _ZN5aiter35fused_qk_rmsnorm_group_quant_kernelIDF16_N4opus5fp4_tELi64ELi8ELi4ELb1ELb1ELb1ELb0ELb0ELb0EEEvPT0_PvPT_S7_S7_PKS6_S9_S9_S9_S9_ffiiiiiiiiiiiii
    .private_segment_fixed_size: 0
    .sgpr_count:     44
    .sgpr_spill_count: 0
    .symbol:         _ZN5aiter35fused_qk_rmsnorm_group_quant_kernelIDF16_N4opus5fp4_tELi64ELi8ELi4ELb1ELb1ELb1ELb0ELb0ELb0EEEvPT0_PvPT_S7_S7_PKS6_S9_S9_S9_S9_ffiiiiiiiiiiiii.kd
    .uniform_work_group_size: 1
    .uses_dynamic_stack: false
    .vgpr_count:     25
    .vgpr_spill_count: 0
    .wavefront_size: 64
  - .agpr_count:     0
    .args:
      - .actual_access:  write_only
        .address_space:  global
        .offset:         0
        .size:           8
        .value_kind:     global_buffer
      - .actual_access:  write_only
        .address_space:  global
        .offset:         8
        .size:           8
        .value_kind:     global_buffer
      - .actual_access:  write_only
        .address_space:  global
        .offset:         16
        .size:           8
        .value_kind:     global_buffer
      - .actual_access:  write_only
        .address_space:  global
        .offset:         24
        .size:           8
        .value_kind:     global_buffer
      - .actual_access:  write_only
        .address_space:  global
        .offset:         32
        .size:           8
        .value_kind:     global_buffer
      - .actual_access:  read_only
        .address_space:  global
        .offset:         40
        .size:           8
        .value_kind:     global_buffer
      - .actual_access:  read_only
        .address_space:  global
        .offset:         48
        .size:           8
        .value_kind:     global_buffer
      - .actual_access:  read_only
        .address_space:  global
        .offset:         56
        .size:           8
        .value_kind:     global_buffer
      - .actual_access:  read_only
        .address_space:  global
        .offset:         64
        .size:           8
        .value_kind:     global_buffer
      - .actual_access:  read_only
        .address_space:  global
        .offset:         72
        .size:           8
        .value_kind:     global_buffer
      - .offset:         80
        .size:           4
        .value_kind:     by_value
      - .offset:         84
        .size:           4
        .value_kind:     by_value
      - .offset:         88
        .size:           4
        .value_kind:     by_value
      - .offset:         92
        .size:           4
        .value_kind:     by_value
      - .offset:         96
        .size:           4
        .value_kind:     by_value
      - .offset:         100
        .size:           4
        .value_kind:     by_value
      - .offset:         104
        .size:           4
        .value_kind:     by_value
      - .offset:         108
        .size:           4
        .value_kind:     by_value
      - .offset:         112
        .size:           4
        .value_kind:     by_value
      - .offset:         116
        .size:           4
        .value_kind:     by_value
      - .offset:         120
        .size:           4
        .value_kind:     by_value
      - .offset:         124
        .size:           4
        .value_kind:     by_value
      - .offset:         128
        .size:           4
        .value_kind:     by_value
      - .offset:         132
        .size:           4
        .value_kind:     by_value
      - .offset:         136
        .size:           4
        .value_kind:     by_value
      - .offset:         144
        .size:           4
        .value_kind:     hidden_block_count_x
      - .offset:         148
        .size:           4
        .value_kind:     hidden_block_count_y
      - .offset:         152
        .size:           4
        .value_kind:     hidden_block_count_z
      - .offset:         156
        .size:           2
        .value_kind:     hidden_group_size_x
      - .offset:         158
        .size:           2
        .value_kind:     hidden_group_size_y
      - .offset:         160
        .size:           2
        .value_kind:     hidden_group_size_z
      - .offset:         162
        .size:           2
        .value_kind:     hidden_remainder_x
      - .offset:         164
        .size:           2
        .value_kind:     hidden_remainder_y
      - .offset:         166
        .size:           2
        .value_kind:     hidden_remainder_z
      - .offset:         184
        .size:           8
        .value_kind:     hidden_global_offset_x
      - .offset:         192
        .size:           8
        .value_kind:     hidden_global_offset_y
      - .offset:         200
        .size:           8
        .value_kind:     hidden_global_offset_z
      - .offset:         208
        .size:           2
        .value_kind:     hidden_grid_dims
    .group_segment_fixed_size: 0
    .kernarg_segment_align: 8
    .kernarg_segment_size: 400
    .language:       OpenCL C
    .language_version:
      - 2
      - 0
    .max_flat_workgroup_size: 1024
    .name:           _ZN5aiter35fused_qk_rmsnorm_group_quant_kernelItN4opus5fp4_tELi64ELi8ELi4ELb1ELb1ELb1ELb0ELb0ELb0EEEvPT0_PvPT_S7_S7_PKS6_S9_S9_S9_S9_ffiiiiiiiiiiiii
    .private_segment_fixed_size: 0
    .sgpr_count:     48
    .sgpr_spill_count: 0
    .symbol:         _ZN5aiter35fused_qk_rmsnorm_group_quant_kernelItN4opus5fp4_tELi64ELi8ELi4ELb1ELb1ELb1ELb0ELb0ELb0EEEvPT0_PvPT_S7_S7_PKS6_S9_S9_S9_S9_ffiiiiiiiiiiiii.kd
    .uniform_work_group_size: 1
    .uses_dynamic_stack: false
    .vgpr_count:     27
    .vgpr_spill_count: 0
    .wavefront_size: 64
  - .agpr_count:     0
    .args:
      - .actual_access:  write_only
        .address_space:  global
        .offset:         0
        .size:           8
        .value_kind:     global_buffer
      - .actual_access:  write_only
        .address_space:  global
        .offset:         8
        .size:           8
        .value_kind:     global_buffer
      - .actual_access:  write_only
        .address_space:  global
        .offset:         16
        .size:           8
        .value_kind:     global_buffer
      - .actual_access:  write_only
        .address_space:  global
        .offset:         24
        .size:           8
        .value_kind:     global_buffer
      - .actual_access:  write_only
        .address_space:  global
        .offset:         32
        .size:           8
        .value_kind:     global_buffer
      - .actual_access:  read_only
        .address_space:  global
        .offset:         40
        .size:           8
        .value_kind:     global_buffer
      - .actual_access:  read_only
        .address_space:  global
        .offset:         48
        .size:           8
        .value_kind:     global_buffer
      - .actual_access:  read_only
        .address_space:  global
        .offset:         56
        .size:           8
        .value_kind:     global_buffer
      - .actual_access:  read_only
        .address_space:  global
        .offset:         64
        .size:           8
        .value_kind:     global_buffer
      - .actual_access:  read_only
        .address_space:  global
        .offset:         72
        .size:           8
        .value_kind:     global_buffer
      - .offset:         80
        .size:           4
        .value_kind:     by_value
      - .offset:         84
        .size:           4
        .value_kind:     by_value
      - .offset:         88
        .size:           4
        .value_kind:     by_value
      - .offset:         92
        .size:           4
        .value_kind:     by_value
      - .offset:         96
        .size:           4
        .value_kind:     by_value
      - .offset:         100
        .size:           4
        .value_kind:     by_value
      - .offset:         104
        .size:           4
        .value_kind:     by_value
      - .offset:         108
        .size:           4
        .value_kind:     by_value
      - .offset:         112
        .size:           4
        .value_kind:     by_value
      - .offset:         116
        .size:           4
        .value_kind:     by_value
      - .offset:         120
        .size:           4
        .value_kind:     by_value
      - .offset:         124
        .size:           4
        .value_kind:     by_value
      - .offset:         128
        .size:           4
        .value_kind:     by_value
      - .offset:         132
        .size:           4
        .value_kind:     by_value
      - .offset:         136
        .size:           4
        .value_kind:     by_value
      - .offset:         144
        .size:           4
        .value_kind:     hidden_block_count_x
      - .offset:         148
        .size:           4
        .value_kind:     hidden_block_count_y
      - .offset:         152
        .size:           4
        .value_kind:     hidden_block_count_z
      - .offset:         156
        .size:           2
        .value_kind:     hidden_group_size_x
      - .offset:         158
        .size:           2
        .value_kind:     hidden_group_size_y
      - .offset:         160
        .size:           2
        .value_kind:     hidden_group_size_z
      - .offset:         162
        .size:           2
        .value_kind:     hidden_remainder_x
      - .offset:         164
        .size:           2
        .value_kind:     hidden_remainder_y
      - .offset:         166
        .size:           2
        .value_kind:     hidden_remainder_z
      - .offset:         184
        .size:           8
        .value_kind:     hidden_global_offset_x
      - .offset:         192
        .size:           8
        .value_kind:     hidden_global_offset_y
      - .offset:         200
        .size:           8
        .value_kind:     hidden_global_offset_z
      - .offset:         208
        .size:           2
        .value_kind:     hidden_grid_dims
    .group_segment_fixed_size: 0
    .kernarg_segment_align: 8
    .kernarg_segment_size: 400
    .language:       OpenCL C
    .language_version:
      - 2
      - 0
    .max_flat_workgroup_size: 1024
    .name:           _ZN5aiter35fused_qk_rmsnorm_group_quant_kernelIDF16_DB8_Li64ELi8ELi4ELb1ELb1ELb0ELb0ELb0ELb0EEEvPT0_PvPT_S6_S6_PKS5_S8_S8_S8_S8_ffiiiiiiiiiiiii
    .private_segment_fixed_size: 0
    .sgpr_count:     44
    .sgpr_spill_count: 0
    .symbol:         _ZN5aiter35fused_qk_rmsnorm_group_quant_kernelIDF16_DB8_Li64ELi8ELi4ELb1ELb1ELb0ELb0ELb0ELb0EEEvPT0_PvPT_S6_S6_PKS5_S8_S8_S8_S8_ffiiiiiiiiiiiii.kd
    .uniform_work_group_size: 1
    .uses_dynamic_stack: false
    .vgpr_count:     34
    .vgpr_spill_count: 0
    .wavefront_size: 64
  - .agpr_count:     0
    .args:
      - .actual_access:  write_only
        .address_space:  global
        .offset:         0
        .size:           8
        .value_kind:     global_buffer
      - .actual_access:  write_only
        .address_space:  global
        .offset:         8
        .size:           8
        .value_kind:     global_buffer
      - .actual_access:  write_only
        .address_space:  global
        .offset:         16
        .size:           8
        .value_kind:     global_buffer
      - .actual_access:  write_only
        .address_space:  global
        .offset:         24
        .size:           8
        .value_kind:     global_buffer
      - .actual_access:  write_only
        .address_space:  global
        .offset:         32
        .size:           8
        .value_kind:     global_buffer
      - .actual_access:  read_only
        .address_space:  global
        .offset:         40
        .size:           8
        .value_kind:     global_buffer
      - .actual_access:  read_only
        .address_space:  global
        .offset:         48
        .size:           8
        .value_kind:     global_buffer
      - .actual_access:  read_only
        .address_space:  global
        .offset:         56
        .size:           8
        .value_kind:     global_buffer
      - .actual_access:  read_only
        .address_space:  global
        .offset:         64
        .size:           8
        .value_kind:     global_buffer
      - .actual_access:  read_only
        .address_space:  global
        .offset:         72
        .size:           8
        .value_kind:     global_buffer
      - .offset:         80
        .size:           4
        .value_kind:     by_value
      - .offset:         84
        .size:           4
        .value_kind:     by_value
      - .offset:         88
        .size:           4
        .value_kind:     by_value
      - .offset:         92
        .size:           4
        .value_kind:     by_value
      - .offset:         96
        .size:           4
        .value_kind:     by_value
      - .offset:         100
        .size:           4
        .value_kind:     by_value
      - .offset:         104
        .size:           4
        .value_kind:     by_value
      - .offset:         108
        .size:           4
        .value_kind:     by_value
      - .offset:         112
        .size:           4
        .value_kind:     by_value
      - .offset:         116
        .size:           4
        .value_kind:     by_value
      - .offset:         120
        .size:           4
        .value_kind:     by_value
      - .offset:         124
        .size:           4
        .value_kind:     by_value
      - .offset:         128
        .size:           4
        .value_kind:     by_value
      - .offset:         132
        .size:           4
        .value_kind:     by_value
      - .offset:         136
        .size:           4
        .value_kind:     by_value
      - .offset:         144
        .size:           4
        .value_kind:     hidden_block_count_x
      - .offset:         148
        .size:           4
        .value_kind:     hidden_block_count_y
      - .offset:         152
        .size:           4
        .value_kind:     hidden_block_count_z
      - .offset:         156
        .size:           2
        .value_kind:     hidden_group_size_x
      - .offset:         158
        .size:           2
        .value_kind:     hidden_group_size_y
      - .offset:         160
        .size:           2
        .value_kind:     hidden_group_size_z
      - .offset:         162
        .size:           2
        .value_kind:     hidden_remainder_x
      - .offset:         164
        .size:           2
        .value_kind:     hidden_remainder_y
      - .offset:         166
        .size:           2
        .value_kind:     hidden_remainder_z
      - .offset:         184
        .size:           8
        .value_kind:     hidden_global_offset_x
      - .offset:         192
        .size:           8
        .value_kind:     hidden_global_offset_y
      - .offset:         200
        .size:           8
        .value_kind:     hidden_global_offset_z
      - .offset:         208
        .size:           2
        .value_kind:     hidden_grid_dims
    .group_segment_fixed_size: 0
    .kernarg_segment_align: 8
    .kernarg_segment_size: 400
    .language:       OpenCL C
    .language_version:
      - 2
      - 0
    .max_flat_workgroup_size: 1024
    .name:           _ZN5aiter35fused_qk_rmsnorm_group_quant_kernelItDB8_Li64ELi8ELi4ELb1ELb1ELb0ELb0ELb0ELb0EEEvPT0_PvPT_S6_S6_PKS5_S8_S8_S8_S8_ffiiiiiiiiiiiii
    .private_segment_fixed_size: 0
    .sgpr_count:     48
    .sgpr_spill_count: 0
    .symbol:         _ZN5aiter35fused_qk_rmsnorm_group_quant_kernelItDB8_Li64ELi8ELi4ELb1ELb1ELb0ELb0ELb0ELb0EEEvPT0_PvPT_S6_S6_PKS5_S8_S8_S8_S8_ffiiiiiiiiiiiii.kd
    .uniform_work_group_size: 1
    .uses_dynamic_stack: false
    .vgpr_count:     27
    .vgpr_spill_count: 0
    .wavefront_size: 64
  - .agpr_count:     0
    .args:
      - .actual_access:  write_only
        .address_space:  global
        .offset:         0
        .size:           8
        .value_kind:     global_buffer
      - .actual_access:  write_only
        .address_space:  global
        .offset:         8
        .size:           8
        .value_kind:     global_buffer
      - .actual_access:  write_only
        .address_space:  global
        .offset:         16
        .size:           8
        .value_kind:     global_buffer
      - .actual_access:  write_only
        .address_space:  global
        .offset:         24
        .size:           8
        .value_kind:     global_buffer
      - .actual_access:  write_only
        .address_space:  global
        .offset:         32
        .size:           8
        .value_kind:     global_buffer
      - .actual_access:  read_only
        .address_space:  global
        .offset:         40
        .size:           8
        .value_kind:     global_buffer
      - .actual_access:  read_only
        .address_space:  global
        .offset:         48
        .size:           8
        .value_kind:     global_buffer
      - .actual_access:  read_only
        .address_space:  global
        .offset:         56
        .size:           8
        .value_kind:     global_buffer
      - .actual_access:  read_only
        .address_space:  global
        .offset:         64
        .size:           8
        .value_kind:     global_buffer
      - .actual_access:  read_only
        .address_space:  global
        .offset:         72
        .size:           8
        .value_kind:     global_buffer
      - .offset:         80
        .size:           4
        .value_kind:     by_value
      - .offset:         84
        .size:           4
        .value_kind:     by_value
      - .offset:         88
        .size:           4
        .value_kind:     by_value
      - .offset:         92
        .size:           4
        .value_kind:     by_value
      - .offset:         96
        .size:           4
        .value_kind:     by_value
      - .offset:         100
        .size:           4
        .value_kind:     by_value
      - .offset:         104
        .size:           4
        .value_kind:     by_value
      - .offset:         108
        .size:           4
        .value_kind:     by_value
      - .offset:         112
        .size:           4
        .value_kind:     by_value
      - .offset:         116
        .size:           4
        .value_kind:     by_value
      - .offset:         120
        .size:           4
        .value_kind:     by_value
      - .offset:         124
        .size:           4
        .value_kind:     by_value
      - .offset:         128
        .size:           4
        .value_kind:     by_value
      - .offset:         132
        .size:           4
        .value_kind:     by_value
      - .offset:         136
        .size:           4
        .value_kind:     by_value
      - .offset:         144
        .size:           4
        .value_kind:     hidden_block_count_x
      - .offset:         148
        .size:           4
        .value_kind:     hidden_block_count_y
      - .offset:         152
        .size:           4
        .value_kind:     hidden_block_count_z
      - .offset:         156
        .size:           2
        .value_kind:     hidden_group_size_x
      - .offset:         158
        .size:           2
        .value_kind:     hidden_group_size_y
      - .offset:         160
        .size:           2
        .value_kind:     hidden_group_size_z
      - .offset:         162
        .size:           2
        .value_kind:     hidden_remainder_x
      - .offset:         164
        .size:           2
        .value_kind:     hidden_remainder_y
      - .offset:         166
        .size:           2
        .value_kind:     hidden_remainder_z
      - .offset:         184
        .size:           8
        .value_kind:     hidden_global_offset_x
      - .offset:         192
        .size:           8
        .value_kind:     hidden_global_offset_y
      - .offset:         200
        .size:           8
        .value_kind:     hidden_global_offset_z
      - .offset:         208
        .size:           2
        .value_kind:     hidden_grid_dims
    .group_segment_fixed_size: 0
    .kernarg_segment_align: 8
    .kernarg_segment_size: 400
    .language:       OpenCL C
    .language_version:
      - 2
      - 0
    .max_flat_workgroup_size: 1024
    .name:           _ZN5aiter35fused_qk_rmsnorm_group_quant_kernelIDF16_N4opus5fp4_tELi64ELi8ELi4ELb1ELb1ELb0ELb0ELb0ELb0EEEvPT0_PvPT_S7_S7_PKS6_S9_S9_S9_S9_ffiiiiiiiiiiiii
    .private_segment_fixed_size: 0
    .sgpr_count:     44
    .sgpr_spill_count: 0
    .symbol:         _ZN5aiter35fused_qk_rmsnorm_group_quant_kernelIDF16_N4opus5fp4_tELi64ELi8ELi4ELb1ELb1ELb0ELb0ELb0ELb0EEEvPT0_PvPT_S7_S7_PKS6_S9_S9_S9_S9_ffiiiiiiiiiiiii.kd
    .uniform_work_group_size: 1
    .uses_dynamic_stack: false
    .vgpr_count:     27
    .vgpr_spill_count: 0
    .wavefront_size: 64
  - .agpr_count:     0
    .args:
      - .actual_access:  write_only
        .address_space:  global
        .offset:         0
        .size:           8
        .value_kind:     global_buffer
      - .actual_access:  write_only
        .address_space:  global
        .offset:         8
        .size:           8
        .value_kind:     global_buffer
      - .actual_access:  write_only
        .address_space:  global
        .offset:         16
        .size:           8
        .value_kind:     global_buffer
      - .actual_access:  write_only
        .address_space:  global
        .offset:         24
        .size:           8
        .value_kind:     global_buffer
      - .actual_access:  write_only
        .address_space:  global
        .offset:         32
        .size:           8
        .value_kind:     global_buffer
      - .actual_access:  read_only
        .address_space:  global
        .offset:         40
        .size:           8
        .value_kind:     global_buffer
      - .actual_access:  read_only
        .address_space:  global
        .offset:         48
        .size:           8
        .value_kind:     global_buffer
      - .actual_access:  read_only
        .address_space:  global
        .offset:         56
        .size:           8
        .value_kind:     global_buffer
      - .actual_access:  read_only
        .address_space:  global
        .offset:         64
        .size:           8
        .value_kind:     global_buffer
      - .actual_access:  read_only
        .address_space:  global
        .offset:         72
        .size:           8
        .value_kind:     global_buffer
      - .offset:         80
        .size:           4
        .value_kind:     by_value
      - .offset:         84
        .size:           4
        .value_kind:     by_value
      - .offset:         88
        .size:           4
        .value_kind:     by_value
      - .offset:         92
        .size:           4
        .value_kind:     by_value
      - .offset:         96
        .size:           4
        .value_kind:     by_value
      - .offset:         100
        .size:           4
        .value_kind:     by_value
      - .offset:         104
        .size:           4
        .value_kind:     by_value
      - .offset:         108
        .size:           4
        .value_kind:     by_value
      - .offset:         112
        .size:           4
        .value_kind:     by_value
      - .offset:         116
        .size:           4
        .value_kind:     by_value
      - .offset:         120
        .size:           4
        .value_kind:     by_value
      - .offset:         124
        .size:           4
        .value_kind:     by_value
      - .offset:         128
        .size:           4
        .value_kind:     by_value
      - .offset:         132
        .size:           4
        .value_kind:     by_value
      - .offset:         136
        .size:           4
        .value_kind:     by_value
      - .offset:         144
        .size:           4
        .value_kind:     hidden_block_count_x
      - .offset:         148
        .size:           4
        .value_kind:     hidden_block_count_y
      - .offset:         152
        .size:           4
        .value_kind:     hidden_block_count_z
      - .offset:         156
        .size:           2
        .value_kind:     hidden_group_size_x
      - .offset:         158
        .size:           2
        .value_kind:     hidden_group_size_y
      - .offset:         160
        .size:           2
        .value_kind:     hidden_group_size_z
      - .offset:         162
        .size:           2
        .value_kind:     hidden_remainder_x
      - .offset:         164
        .size:           2
        .value_kind:     hidden_remainder_y
      - .offset:         166
        .size:           2
        .value_kind:     hidden_remainder_z
      - .offset:         184
        .size:           8
        .value_kind:     hidden_global_offset_x
      - .offset:         192
        .size:           8
        .value_kind:     hidden_global_offset_y
      - .offset:         200
        .size:           8
        .value_kind:     hidden_global_offset_z
      - .offset:         208
        .size:           2
        .value_kind:     hidden_grid_dims
    .group_segment_fixed_size: 0
    .kernarg_segment_align: 8
    .kernarg_segment_size: 400
    .language:       OpenCL C
    .language_version:
      - 2
      - 0
    .max_flat_workgroup_size: 1024
    .name:           _ZN5aiter35fused_qk_rmsnorm_group_quant_kernelItN4opus5fp4_tELi64ELi8ELi4ELb1ELb1ELb0ELb0ELb0ELb0EEEvPT0_PvPT_S7_S7_PKS6_S9_S9_S9_S9_ffiiiiiiiiiiiii
    .private_segment_fixed_size: 0
    .sgpr_count:     48
    .sgpr_spill_count: 0
    .symbol:         _ZN5aiter35fused_qk_rmsnorm_group_quant_kernelItN4opus5fp4_tELi64ELi8ELi4ELb1ELb1ELb0ELb0ELb0ELb0EEEvPT0_PvPT_S7_S7_PKS6_S9_S9_S9_S9_ffiiiiiiiiiiiii.kd
    .uniform_work_group_size: 1
    .uses_dynamic_stack: false
    .vgpr_count:     27
    .vgpr_spill_count: 0
    .wavefront_size: 64
  - .agpr_count:     0
    .args:
      - .actual_access:  write_only
        .address_space:  global
        .offset:         0
        .size:           8
        .value_kind:     global_buffer
      - .actual_access:  write_only
        .address_space:  global
        .offset:         8
        .size:           8
        .value_kind:     global_buffer
      - .actual_access:  read_only
        .address_space:  global
        .offset:         16
        .size:           8
        .value_kind:     global_buffer
      - .actual_access:  write_only
        .address_space:  global
        .offset:         24
        .size:           8
        .value_kind:     global_buffer
      - .actual_access:  write_only
        .address_space:  global
        .offset:         32
        .size:           8
        .value_kind:     global_buffer
      - .actual_access:  read_only
        .address_space:  global
        .offset:         40
        .size:           8
        .value_kind:     global_buffer
      - .actual_access:  read_only
        .address_space:  global
        .offset:         48
        .size:           8
        .value_kind:     global_buffer
      - .actual_access:  read_only
        .address_space:  global
        .offset:         56
        .size:           8
        .value_kind:     global_buffer
      - .actual_access:  read_only
        .address_space:  global
        .offset:         64
        .size:           8
        .value_kind:     global_buffer
      - .actual_access:  read_only
        .address_space:  global
        .offset:         72
        .size:           8
        .value_kind:     global_buffer
      - .offset:         80
        .size:           4
        .value_kind:     by_value
      - .offset:         84
        .size:           4
        .value_kind:     by_value
      - .offset:         88
        .size:           4
        .value_kind:     by_value
      - .offset:         92
        .size:           4
        .value_kind:     by_value
      - .offset:         96
        .size:           4
        .value_kind:     by_value
      - .offset:         100
        .size:           4
        .value_kind:     by_value
      - .offset:         104
        .size:           4
        .value_kind:     by_value
      - .offset:         108
        .size:           4
        .value_kind:     by_value
      - .offset:         112
        .size:           4
        .value_kind:     by_value
      - .offset:         116
        .size:           4
        .value_kind:     by_value
      - .offset:         120
        .size:           4
        .value_kind:     by_value
      - .offset:         124
        .size:           4
        .value_kind:     by_value
      - .offset:         128
        .size:           4
        .value_kind:     by_value
      - .offset:         132
        .size:           4
        .value_kind:     by_value
      - .offset:         136
        .size:           4
        .value_kind:     by_value
      - .offset:         144
        .size:           4
        .value_kind:     hidden_block_count_x
      - .offset:         148
        .size:           4
        .value_kind:     hidden_block_count_y
      - .offset:         152
        .size:           4
        .value_kind:     hidden_block_count_z
      - .offset:         156
        .size:           2
        .value_kind:     hidden_group_size_x
      - .offset:         158
        .size:           2
        .value_kind:     hidden_group_size_y
      - .offset:         160
        .size:           2
        .value_kind:     hidden_group_size_z
      - .offset:         162
        .size:           2
        .value_kind:     hidden_remainder_x
      - .offset:         164
        .size:           2
        .value_kind:     hidden_remainder_y
      - .offset:         166
        .size:           2
        .value_kind:     hidden_remainder_z
      - .offset:         184
        .size:           8
        .value_kind:     hidden_global_offset_x
      - .offset:         192
        .size:           8
        .value_kind:     hidden_global_offset_y
      - .offset:         200
        .size:           8
        .value_kind:     hidden_global_offset_z
      - .offset:         208
        .size:           2
        .value_kind:     hidden_grid_dims
    .group_segment_fixed_size: 0
    .kernarg_segment_align: 8
    .kernarg_segment_size: 400
    .language:       OpenCL C
    .language_version:
      - 2
      - 0
    .max_flat_workgroup_size: 1024
    .name:           _ZN5aiter35fused_qk_rmsnorm_group_quant_kernelIDF16_DB8_Li64ELi8ELi4ELb1ELb0ELb1ELb0ELb0ELb0EEEvPT0_PvPT_S6_S6_PKS5_S8_S8_S8_S8_ffiiiiiiiiiiiii
    .private_segment_fixed_size: 0
    .sgpr_count:     44
    .sgpr_spill_count: 0
    .symbol:         _ZN5aiter35fused_qk_rmsnorm_group_quant_kernelIDF16_DB8_Li64ELi8ELi4ELb1ELb0ELb1ELb0ELb0ELb0EEEvPT0_PvPT_S6_S6_PKS5_S8_S8_S8_S8_ffiiiiiiiiiiiii.kd
    .uniform_work_group_size: 1
    .uses_dynamic_stack: false
    .vgpr_count:     31
    .vgpr_spill_count: 0
    .wavefront_size: 64
  - .agpr_count:     0
    .args:
      - .actual_access:  write_only
        .address_space:  global
        .offset:         0
        .size:           8
        .value_kind:     global_buffer
      - .actual_access:  write_only
        .address_space:  global
        .offset:         8
        .size:           8
        .value_kind:     global_buffer
      - .actual_access:  read_only
        .address_space:  global
        .offset:         16
        .size:           8
        .value_kind:     global_buffer
      - .actual_access:  write_only
        .address_space:  global
        .offset:         24
        .size:           8
        .value_kind:     global_buffer
      - .actual_access:  write_only
        .address_space:  global
        .offset:         32
        .size:           8
        .value_kind:     global_buffer
      - .actual_access:  read_only
        .address_space:  global
        .offset:         40
        .size:           8
        .value_kind:     global_buffer
      - .actual_access:  read_only
        .address_space:  global
        .offset:         48
        .size:           8
        .value_kind:     global_buffer
      - .actual_access:  read_only
        .address_space:  global
        .offset:         56
        .size:           8
        .value_kind:     global_buffer
      - .actual_access:  read_only
        .address_space:  global
        .offset:         64
        .size:           8
        .value_kind:     global_buffer
      - .actual_access:  read_only
        .address_space:  global
        .offset:         72
        .size:           8
        .value_kind:     global_buffer
      - .offset:         80
        .size:           4
        .value_kind:     by_value
      - .offset:         84
        .size:           4
        .value_kind:     by_value
      - .offset:         88
        .size:           4
        .value_kind:     by_value
      - .offset:         92
        .size:           4
        .value_kind:     by_value
      - .offset:         96
        .size:           4
        .value_kind:     by_value
      - .offset:         100
        .size:           4
        .value_kind:     by_value
      - .offset:         104
        .size:           4
        .value_kind:     by_value
      - .offset:         108
        .size:           4
        .value_kind:     by_value
      - .offset:         112
        .size:           4
        .value_kind:     by_value
      - .offset:         116
        .size:           4
        .value_kind:     by_value
      - .offset:         120
        .size:           4
        .value_kind:     by_value
      - .offset:         124
        .size:           4
        .value_kind:     by_value
      - .offset:         128
        .size:           4
        .value_kind:     by_value
      - .offset:         132
        .size:           4
        .value_kind:     by_value
      - .offset:         136
        .size:           4
        .value_kind:     by_value
      - .offset:         144
        .size:           4
        .value_kind:     hidden_block_count_x
      - .offset:         148
        .size:           4
        .value_kind:     hidden_block_count_y
      - .offset:         152
        .size:           4
        .value_kind:     hidden_block_count_z
      - .offset:         156
        .size:           2
        .value_kind:     hidden_group_size_x
      - .offset:         158
        .size:           2
        .value_kind:     hidden_group_size_y
      - .offset:         160
        .size:           2
        .value_kind:     hidden_group_size_z
      - .offset:         162
        .size:           2
        .value_kind:     hidden_remainder_x
      - .offset:         164
        .size:           2
        .value_kind:     hidden_remainder_y
      - .offset:         166
        .size:           2
        .value_kind:     hidden_remainder_z
      - .offset:         184
        .size:           8
        .value_kind:     hidden_global_offset_x
      - .offset:         192
        .size:           8
        .value_kind:     hidden_global_offset_y
      - .offset:         200
        .size:           8
        .value_kind:     hidden_global_offset_z
      - .offset:         208
        .size:           2
        .value_kind:     hidden_grid_dims
    .group_segment_fixed_size: 0
    .kernarg_segment_align: 8
    .kernarg_segment_size: 400
    .language:       OpenCL C
    .language_version:
      - 2
      - 0
    .max_flat_workgroup_size: 1024
    .name:           _ZN5aiter35fused_qk_rmsnorm_group_quant_kernelItDB8_Li64ELi8ELi4ELb1ELb0ELb1ELb0ELb0ELb0EEEvPT0_PvPT_S6_S6_PKS5_S8_S8_S8_S8_ffiiiiiiiiiiiii
    .private_segment_fixed_size: 0
    .sgpr_count:     48
    .sgpr_spill_count: 0
    .symbol:         _ZN5aiter35fused_qk_rmsnorm_group_quant_kernelItDB8_Li64ELi8ELi4ELb1ELb0ELb1ELb0ELb0ELb0EEEvPT0_PvPT_S6_S6_PKS5_S8_S8_S8_S8_ffiiiiiiiiiiiii.kd
    .uniform_work_group_size: 1
    .uses_dynamic_stack: false
    .vgpr_count:     27
    .vgpr_spill_count: 0
    .wavefront_size: 64
  - .agpr_count:     0
    .args:
      - .actual_access:  write_only
        .address_space:  global
        .offset:         0
        .size:           8
        .value_kind:     global_buffer
      - .actual_access:  write_only
        .address_space:  global
        .offset:         8
        .size:           8
        .value_kind:     global_buffer
      - .actual_access:  read_only
        .address_space:  global
        .offset:         16
        .size:           8
        .value_kind:     global_buffer
      - .actual_access:  write_only
        .address_space:  global
        .offset:         24
        .size:           8
        .value_kind:     global_buffer
      - .actual_access:  write_only
        .address_space:  global
        .offset:         32
        .size:           8
        .value_kind:     global_buffer
      - .actual_access:  read_only
        .address_space:  global
        .offset:         40
        .size:           8
        .value_kind:     global_buffer
      - .actual_access:  read_only
        .address_space:  global
        .offset:         48
        .size:           8
        .value_kind:     global_buffer
      - .actual_access:  read_only
        .address_space:  global
        .offset:         56
        .size:           8
        .value_kind:     global_buffer
      - .actual_access:  read_only
        .address_space:  global
        .offset:         64
        .size:           8
        .value_kind:     global_buffer
      - .actual_access:  read_only
        .address_space:  global
        .offset:         72
        .size:           8
        .value_kind:     global_buffer
      - .offset:         80
        .size:           4
        .value_kind:     by_value
      - .offset:         84
        .size:           4
        .value_kind:     by_value
      - .offset:         88
        .size:           4
        .value_kind:     by_value
      - .offset:         92
        .size:           4
        .value_kind:     by_value
      - .offset:         96
        .size:           4
        .value_kind:     by_value
      - .offset:         100
        .size:           4
        .value_kind:     by_value
      - .offset:         104
        .size:           4
        .value_kind:     by_value
      - .offset:         108
        .size:           4
        .value_kind:     by_value
      - .offset:         112
        .size:           4
        .value_kind:     by_value
      - .offset:         116
        .size:           4
        .value_kind:     by_value
      - .offset:         120
        .size:           4
        .value_kind:     by_value
      - .offset:         124
        .size:           4
        .value_kind:     by_value
      - .offset:         128
        .size:           4
        .value_kind:     by_value
      - .offset:         132
        .size:           4
        .value_kind:     by_value
      - .offset:         136
        .size:           4
        .value_kind:     by_value
      - .offset:         144
        .size:           4
        .value_kind:     hidden_block_count_x
      - .offset:         148
        .size:           4
        .value_kind:     hidden_block_count_y
      - .offset:         152
        .size:           4
        .value_kind:     hidden_block_count_z
      - .offset:         156
        .size:           2
        .value_kind:     hidden_group_size_x
      - .offset:         158
        .size:           2
        .value_kind:     hidden_group_size_y
      - .offset:         160
        .size:           2
        .value_kind:     hidden_group_size_z
      - .offset:         162
        .size:           2
        .value_kind:     hidden_remainder_x
      - .offset:         164
        .size:           2
        .value_kind:     hidden_remainder_y
      - .offset:         166
        .size:           2
        .value_kind:     hidden_remainder_z
      - .offset:         184
        .size:           8
        .value_kind:     hidden_global_offset_x
      - .offset:         192
        .size:           8
        .value_kind:     hidden_global_offset_y
      - .offset:         200
        .size:           8
        .value_kind:     hidden_global_offset_z
      - .offset:         208
        .size:           2
        .value_kind:     hidden_grid_dims
    .group_segment_fixed_size: 0
    .kernarg_segment_align: 8
    .kernarg_segment_size: 400
    .language:       OpenCL C
    .language_version:
      - 2
      - 0
    .max_flat_workgroup_size: 1024
    .name:           _ZN5aiter35fused_qk_rmsnorm_group_quant_kernelIDF16_N4opus5fp4_tELi64ELi8ELi4ELb1ELb0ELb1ELb0ELb0ELb0EEEvPT0_PvPT_S7_S7_PKS6_S9_S9_S9_S9_ffiiiiiiiiiiiii
    .private_segment_fixed_size: 0
    .sgpr_count:     44
    .sgpr_spill_count: 0
    .symbol:         _ZN5aiter35fused_qk_rmsnorm_group_quant_kernelIDF16_N4opus5fp4_tELi64ELi8ELi4ELb1ELb0ELb1ELb0ELb0ELb0EEEvPT0_PvPT_S7_S7_PKS6_S9_S9_S9_S9_ffiiiiiiiiiiiii.kd
    .uniform_work_group_size: 1
    .uses_dynamic_stack: false
    .vgpr_count:     25
    .vgpr_spill_count: 0
    .wavefront_size: 64
  - .agpr_count:     0
    .args:
      - .actual_access:  write_only
        .address_space:  global
        .offset:         0
        .size:           8
        .value_kind:     global_buffer
      - .actual_access:  write_only
        .address_space:  global
        .offset:         8
        .size:           8
        .value_kind:     global_buffer
      - .actual_access:  read_only
        .address_space:  global
        .offset:         16
        .size:           8
        .value_kind:     global_buffer
      - .actual_access:  write_only
        .address_space:  global
        .offset:         24
        .size:           8
        .value_kind:     global_buffer
      - .actual_access:  write_only
        .address_space:  global
        .offset:         32
        .size:           8
        .value_kind:     global_buffer
      - .actual_access:  read_only
        .address_space:  global
        .offset:         40
        .size:           8
        .value_kind:     global_buffer
      - .actual_access:  read_only
        .address_space:  global
        .offset:         48
        .size:           8
        .value_kind:     global_buffer
      - .actual_access:  read_only
        .address_space:  global
        .offset:         56
        .size:           8
        .value_kind:     global_buffer
      - .actual_access:  read_only
        .address_space:  global
        .offset:         64
        .size:           8
        .value_kind:     global_buffer
      - .actual_access:  read_only
        .address_space:  global
        .offset:         72
        .size:           8
        .value_kind:     global_buffer
      - .offset:         80
        .size:           4
        .value_kind:     by_value
      - .offset:         84
        .size:           4
        .value_kind:     by_value
      - .offset:         88
        .size:           4
        .value_kind:     by_value
      - .offset:         92
        .size:           4
        .value_kind:     by_value
      - .offset:         96
        .size:           4
        .value_kind:     by_value
      - .offset:         100
        .size:           4
        .value_kind:     by_value
      - .offset:         104
        .size:           4
        .value_kind:     by_value
      - .offset:         108
        .size:           4
        .value_kind:     by_value
      - .offset:         112
        .size:           4
        .value_kind:     by_value
      - .offset:         116
        .size:           4
        .value_kind:     by_value
      - .offset:         120
        .size:           4
        .value_kind:     by_value
      - .offset:         124
        .size:           4
        .value_kind:     by_value
      - .offset:         128
        .size:           4
        .value_kind:     by_value
      - .offset:         132
        .size:           4
        .value_kind:     by_value
      - .offset:         136
        .size:           4
        .value_kind:     by_value
      - .offset:         144
        .size:           4
        .value_kind:     hidden_block_count_x
      - .offset:         148
        .size:           4
        .value_kind:     hidden_block_count_y
      - .offset:         152
        .size:           4
        .value_kind:     hidden_block_count_z
      - .offset:         156
        .size:           2
        .value_kind:     hidden_group_size_x
      - .offset:         158
        .size:           2
        .value_kind:     hidden_group_size_y
      - .offset:         160
        .size:           2
        .value_kind:     hidden_group_size_z
      - .offset:         162
        .size:           2
        .value_kind:     hidden_remainder_x
      - .offset:         164
        .size:           2
        .value_kind:     hidden_remainder_y
      - .offset:         166
        .size:           2
        .value_kind:     hidden_remainder_z
      - .offset:         184
        .size:           8
        .value_kind:     hidden_global_offset_x
      - .offset:         192
        .size:           8
        .value_kind:     hidden_global_offset_y
      - .offset:         200
        .size:           8
        .value_kind:     hidden_global_offset_z
      - .offset:         208
        .size:           2
        .value_kind:     hidden_grid_dims
    .group_segment_fixed_size: 0
    .kernarg_segment_align: 8
    .kernarg_segment_size: 400
    .language:       OpenCL C
    .language_version:
      - 2
      - 0
    .max_flat_workgroup_size: 1024
    .name:           _ZN5aiter35fused_qk_rmsnorm_group_quant_kernelItN4opus5fp4_tELi64ELi8ELi4ELb1ELb0ELb1ELb0ELb0ELb0EEEvPT0_PvPT_S7_S7_PKS6_S9_S9_S9_S9_ffiiiiiiiiiiiii
    .private_segment_fixed_size: 0
    .sgpr_count:     48
    .sgpr_spill_count: 0
    .symbol:         _ZN5aiter35fused_qk_rmsnorm_group_quant_kernelItN4opus5fp4_tELi64ELi8ELi4ELb1ELb0ELb1ELb0ELb0ELb0EEEvPT0_PvPT_S7_S7_PKS6_S9_S9_S9_S9_ffiiiiiiiiiiiii.kd
    .uniform_work_group_size: 1
    .uses_dynamic_stack: false
    .vgpr_count:     27
    .vgpr_spill_count: 0
    .wavefront_size: 64
  - .agpr_count:     0
    .args:
      - .actual_access:  write_only
        .address_space:  global
        .offset:         0
        .size:           8
        .value_kind:     global_buffer
      - .actual_access:  write_only
        .address_space:  global
        .offset:         8
        .size:           8
        .value_kind:     global_buffer
      - .actual_access:  read_only
        .address_space:  global
        .offset:         16
        .size:           8
        .value_kind:     global_buffer
      - .actual_access:  write_only
        .address_space:  global
        .offset:         24
        .size:           8
        .value_kind:     global_buffer
      - .actual_access:  write_only
        .address_space:  global
        .offset:         32
        .size:           8
        .value_kind:     global_buffer
      - .actual_access:  read_only
        .address_space:  global
        .offset:         40
        .size:           8
        .value_kind:     global_buffer
      - .actual_access:  read_only
        .address_space:  global
        .offset:         48
        .size:           8
        .value_kind:     global_buffer
      - .actual_access:  read_only
        .address_space:  global
        .offset:         56
        .size:           8
        .value_kind:     global_buffer
      - .actual_access:  read_only
        .address_space:  global
        .offset:         64
        .size:           8
        .value_kind:     global_buffer
      - .actual_access:  read_only
        .address_space:  global
        .offset:         72
        .size:           8
        .value_kind:     global_buffer
      - .offset:         80
        .size:           4
        .value_kind:     by_value
      - .offset:         84
        .size:           4
        .value_kind:     by_value
      - .offset:         88
        .size:           4
        .value_kind:     by_value
      - .offset:         92
        .size:           4
        .value_kind:     by_value
      - .offset:         96
        .size:           4
        .value_kind:     by_value
      - .offset:         100
        .size:           4
        .value_kind:     by_value
      - .offset:         104
        .size:           4
        .value_kind:     by_value
      - .offset:         108
        .size:           4
        .value_kind:     by_value
      - .offset:         112
        .size:           4
        .value_kind:     by_value
      - .offset:         116
        .size:           4
        .value_kind:     by_value
      - .offset:         120
        .size:           4
        .value_kind:     by_value
      - .offset:         124
        .size:           4
        .value_kind:     by_value
      - .offset:         128
        .size:           4
        .value_kind:     by_value
      - .offset:         132
        .size:           4
        .value_kind:     by_value
      - .offset:         136
        .size:           4
        .value_kind:     by_value
      - .offset:         144
        .size:           4
        .value_kind:     hidden_block_count_x
      - .offset:         148
        .size:           4
        .value_kind:     hidden_block_count_y
      - .offset:         152
        .size:           4
        .value_kind:     hidden_block_count_z
      - .offset:         156
        .size:           2
        .value_kind:     hidden_group_size_x
      - .offset:         158
        .size:           2
        .value_kind:     hidden_group_size_y
      - .offset:         160
        .size:           2
        .value_kind:     hidden_group_size_z
      - .offset:         162
        .size:           2
        .value_kind:     hidden_remainder_x
      - .offset:         164
        .size:           2
        .value_kind:     hidden_remainder_y
      - .offset:         166
        .size:           2
        .value_kind:     hidden_remainder_z
      - .offset:         184
        .size:           8
        .value_kind:     hidden_global_offset_x
      - .offset:         192
        .size:           8
        .value_kind:     hidden_global_offset_y
      - .offset:         200
        .size:           8
        .value_kind:     hidden_global_offset_z
      - .offset:         208
        .size:           2
        .value_kind:     hidden_grid_dims
    .group_segment_fixed_size: 0
    .kernarg_segment_align: 8
    .kernarg_segment_size: 400
    .language:       OpenCL C
    .language_version:
      - 2
      - 0
    .max_flat_workgroup_size: 1024
    .name:           _ZN5aiter35fused_qk_rmsnorm_group_quant_kernelIDF16_DB8_Li64ELi8ELi4ELb1ELb0ELb0ELb0ELb0ELb0EEEvPT0_PvPT_S6_S6_PKS5_S8_S8_S8_S8_ffiiiiiiiiiiiii
    .private_segment_fixed_size: 0
    .sgpr_count:     44
    .sgpr_spill_count: 0
    .symbol:         _ZN5aiter35fused_qk_rmsnorm_group_quant_kernelIDF16_DB8_Li64ELi8ELi4ELb1ELb0ELb0ELb0ELb0ELb0EEEvPT0_PvPT_S6_S6_PKS5_S8_S8_S8_S8_ffiiiiiiiiiiiii.kd
    .uniform_work_group_size: 1
    .uses_dynamic_stack: false
    .vgpr_count:     34
    .vgpr_spill_count: 0
    .wavefront_size: 64
  - .agpr_count:     0
    .args:
      - .actual_access:  write_only
        .address_space:  global
        .offset:         0
        .size:           8
        .value_kind:     global_buffer
      - .actual_access:  write_only
        .address_space:  global
        .offset:         8
        .size:           8
        .value_kind:     global_buffer
      - .actual_access:  read_only
        .address_space:  global
        .offset:         16
        .size:           8
        .value_kind:     global_buffer
      - .actual_access:  write_only
        .address_space:  global
        .offset:         24
        .size:           8
        .value_kind:     global_buffer
      - .actual_access:  write_only
        .address_space:  global
        .offset:         32
        .size:           8
        .value_kind:     global_buffer
      - .actual_access:  read_only
        .address_space:  global
        .offset:         40
        .size:           8
        .value_kind:     global_buffer
      - .actual_access:  read_only
        .address_space:  global
        .offset:         48
        .size:           8
        .value_kind:     global_buffer
      - .actual_access:  read_only
        .address_space:  global
        .offset:         56
        .size:           8
        .value_kind:     global_buffer
      - .actual_access:  read_only
        .address_space:  global
        .offset:         64
        .size:           8
        .value_kind:     global_buffer
      - .actual_access:  read_only
        .address_space:  global
        .offset:         72
        .size:           8
        .value_kind:     global_buffer
      - .offset:         80
        .size:           4
        .value_kind:     by_value
      - .offset:         84
        .size:           4
        .value_kind:     by_value
      - .offset:         88
        .size:           4
        .value_kind:     by_value
      - .offset:         92
        .size:           4
        .value_kind:     by_value
      - .offset:         96
        .size:           4
        .value_kind:     by_value
      - .offset:         100
        .size:           4
        .value_kind:     by_value
      - .offset:         104
        .size:           4
        .value_kind:     by_value
      - .offset:         108
        .size:           4
        .value_kind:     by_value
      - .offset:         112
        .size:           4
        .value_kind:     by_value
      - .offset:         116
        .size:           4
        .value_kind:     by_value
      - .offset:         120
        .size:           4
        .value_kind:     by_value
      - .offset:         124
        .size:           4
        .value_kind:     by_value
      - .offset:         128
        .size:           4
        .value_kind:     by_value
      - .offset:         132
        .size:           4
        .value_kind:     by_value
      - .offset:         136
        .size:           4
        .value_kind:     by_value
      - .offset:         144
        .size:           4
        .value_kind:     hidden_block_count_x
      - .offset:         148
        .size:           4
        .value_kind:     hidden_block_count_y
      - .offset:         152
        .size:           4
        .value_kind:     hidden_block_count_z
      - .offset:         156
        .size:           2
        .value_kind:     hidden_group_size_x
      - .offset:         158
        .size:           2
        .value_kind:     hidden_group_size_y
      - .offset:         160
        .size:           2
        .value_kind:     hidden_group_size_z
      - .offset:         162
        .size:           2
        .value_kind:     hidden_remainder_x
      - .offset:         164
        .size:           2
        .value_kind:     hidden_remainder_y
      - .offset:         166
        .size:           2
        .value_kind:     hidden_remainder_z
      - .offset:         184
        .size:           8
        .value_kind:     hidden_global_offset_x
      - .offset:         192
        .size:           8
        .value_kind:     hidden_global_offset_y
      - .offset:         200
        .size:           8
        .value_kind:     hidden_global_offset_z
      - .offset:         208
        .size:           2
        .value_kind:     hidden_grid_dims
    .group_segment_fixed_size: 0
    .kernarg_segment_align: 8
    .kernarg_segment_size: 400
    .language:       OpenCL C
    .language_version:
      - 2
      - 0
    .max_flat_workgroup_size: 1024
    .name:           _ZN5aiter35fused_qk_rmsnorm_group_quant_kernelItDB8_Li64ELi8ELi4ELb1ELb0ELb0ELb0ELb0ELb0EEEvPT0_PvPT_S6_S6_PKS5_S8_S8_S8_S8_ffiiiiiiiiiiiii
    .private_segment_fixed_size: 0
    .sgpr_count:     48
    .sgpr_spill_count: 0
    .symbol:         _ZN5aiter35fused_qk_rmsnorm_group_quant_kernelItDB8_Li64ELi8ELi4ELb1ELb0ELb0ELb0ELb0ELb0EEEvPT0_PvPT_S6_S6_PKS5_S8_S8_S8_S8_ffiiiiiiiiiiiii.kd
    .uniform_work_group_size: 1
    .uses_dynamic_stack: false
    .vgpr_count:     27
    .vgpr_spill_count: 0
    .wavefront_size: 64
  - .agpr_count:     0
    .args:
      - .actual_access:  write_only
        .address_space:  global
        .offset:         0
        .size:           8
        .value_kind:     global_buffer
      - .actual_access:  write_only
        .address_space:  global
        .offset:         8
        .size:           8
        .value_kind:     global_buffer
      - .actual_access:  read_only
        .address_space:  global
        .offset:         16
        .size:           8
        .value_kind:     global_buffer
      - .actual_access:  write_only
        .address_space:  global
        .offset:         24
        .size:           8
        .value_kind:     global_buffer
      - .actual_access:  write_only
        .address_space:  global
        .offset:         32
        .size:           8
        .value_kind:     global_buffer
      - .actual_access:  read_only
        .address_space:  global
        .offset:         40
        .size:           8
        .value_kind:     global_buffer
      - .actual_access:  read_only
        .address_space:  global
        .offset:         48
        .size:           8
        .value_kind:     global_buffer
      - .actual_access:  read_only
        .address_space:  global
        .offset:         56
        .size:           8
        .value_kind:     global_buffer
      - .actual_access:  read_only
        .address_space:  global
        .offset:         64
        .size:           8
        .value_kind:     global_buffer
      - .actual_access:  read_only
        .address_space:  global
        .offset:         72
        .size:           8
        .value_kind:     global_buffer
      - .offset:         80
        .size:           4
        .value_kind:     by_value
      - .offset:         84
        .size:           4
        .value_kind:     by_value
      - .offset:         88
        .size:           4
        .value_kind:     by_value
      - .offset:         92
        .size:           4
        .value_kind:     by_value
      - .offset:         96
        .size:           4
        .value_kind:     by_value
      - .offset:         100
        .size:           4
        .value_kind:     by_value
      - .offset:         104
        .size:           4
        .value_kind:     by_value
      - .offset:         108
        .size:           4
        .value_kind:     by_value
      - .offset:         112
        .size:           4
        .value_kind:     by_value
      - .offset:         116
        .size:           4
        .value_kind:     by_value
      - .offset:         120
        .size:           4
        .value_kind:     by_value
      - .offset:         124
        .size:           4
        .value_kind:     by_value
      - .offset:         128
        .size:           4
        .value_kind:     by_value
      - .offset:         132
        .size:           4
        .value_kind:     by_value
      - .offset:         136
        .size:           4
        .value_kind:     by_value
      - .offset:         144
        .size:           4
        .value_kind:     hidden_block_count_x
      - .offset:         148
        .size:           4
        .value_kind:     hidden_block_count_y
      - .offset:         152
        .size:           4
        .value_kind:     hidden_block_count_z
      - .offset:         156
        .size:           2
        .value_kind:     hidden_group_size_x
      - .offset:         158
        .size:           2
        .value_kind:     hidden_group_size_y
      - .offset:         160
        .size:           2
        .value_kind:     hidden_group_size_z
      - .offset:         162
        .size:           2
        .value_kind:     hidden_remainder_x
      - .offset:         164
        .size:           2
        .value_kind:     hidden_remainder_y
      - .offset:         166
        .size:           2
        .value_kind:     hidden_remainder_z
      - .offset:         184
        .size:           8
        .value_kind:     hidden_global_offset_x
      - .offset:         192
        .size:           8
        .value_kind:     hidden_global_offset_y
      - .offset:         200
        .size:           8
        .value_kind:     hidden_global_offset_z
      - .offset:         208
        .size:           2
        .value_kind:     hidden_grid_dims
    .group_segment_fixed_size: 0
    .kernarg_segment_align: 8
    .kernarg_segment_size: 400
    .language:       OpenCL C
    .language_version:
      - 2
      - 0
    .max_flat_workgroup_size: 1024
    .name:           _ZN5aiter35fused_qk_rmsnorm_group_quant_kernelIDF16_N4opus5fp4_tELi64ELi8ELi4ELb1ELb0ELb0ELb0ELb0ELb0EEEvPT0_PvPT_S7_S7_PKS6_S9_S9_S9_S9_ffiiiiiiiiiiiii
    .private_segment_fixed_size: 0
    .sgpr_count:     44
    .sgpr_spill_count: 0
    .symbol:         _ZN5aiter35fused_qk_rmsnorm_group_quant_kernelIDF16_N4opus5fp4_tELi64ELi8ELi4ELb1ELb0ELb0ELb0ELb0ELb0EEEvPT0_PvPT_S7_S7_PKS6_S9_S9_S9_S9_ffiiiiiiiiiiiii.kd
    .uniform_work_group_size: 1
    .uses_dynamic_stack: false
    .vgpr_count:     27
    .vgpr_spill_count: 0
    .wavefront_size: 64
  - .agpr_count:     0
    .args:
      - .actual_access:  write_only
        .address_space:  global
        .offset:         0
        .size:           8
        .value_kind:     global_buffer
      - .actual_access:  write_only
        .address_space:  global
        .offset:         8
        .size:           8
        .value_kind:     global_buffer
      - .actual_access:  read_only
        .address_space:  global
        .offset:         16
        .size:           8
        .value_kind:     global_buffer
      - .actual_access:  write_only
        .address_space:  global
        .offset:         24
        .size:           8
        .value_kind:     global_buffer
      - .actual_access:  write_only
        .address_space:  global
        .offset:         32
        .size:           8
        .value_kind:     global_buffer
      - .actual_access:  read_only
        .address_space:  global
        .offset:         40
        .size:           8
        .value_kind:     global_buffer
      - .actual_access:  read_only
        .address_space:  global
        .offset:         48
        .size:           8
        .value_kind:     global_buffer
      - .actual_access:  read_only
        .address_space:  global
        .offset:         56
        .size:           8
        .value_kind:     global_buffer
      - .actual_access:  read_only
        .address_space:  global
        .offset:         64
        .size:           8
        .value_kind:     global_buffer
      - .actual_access:  read_only
        .address_space:  global
        .offset:         72
        .size:           8
        .value_kind:     global_buffer
      - .offset:         80
        .size:           4
        .value_kind:     by_value
      - .offset:         84
        .size:           4
        .value_kind:     by_value
      - .offset:         88
        .size:           4
        .value_kind:     by_value
      - .offset:         92
        .size:           4
        .value_kind:     by_value
      - .offset:         96
        .size:           4
        .value_kind:     by_value
      - .offset:         100
        .size:           4
        .value_kind:     by_value
      - .offset:         104
        .size:           4
        .value_kind:     by_value
      - .offset:         108
        .size:           4
        .value_kind:     by_value
      - .offset:         112
        .size:           4
        .value_kind:     by_value
      - .offset:         116
        .size:           4
        .value_kind:     by_value
      - .offset:         120
        .size:           4
        .value_kind:     by_value
      - .offset:         124
        .size:           4
        .value_kind:     by_value
      - .offset:         128
        .size:           4
        .value_kind:     by_value
      - .offset:         132
        .size:           4
        .value_kind:     by_value
      - .offset:         136
        .size:           4
        .value_kind:     by_value
      - .offset:         144
        .size:           4
        .value_kind:     hidden_block_count_x
      - .offset:         148
        .size:           4
        .value_kind:     hidden_block_count_y
      - .offset:         152
        .size:           4
        .value_kind:     hidden_block_count_z
      - .offset:         156
        .size:           2
        .value_kind:     hidden_group_size_x
      - .offset:         158
        .size:           2
        .value_kind:     hidden_group_size_y
      - .offset:         160
        .size:           2
        .value_kind:     hidden_group_size_z
      - .offset:         162
        .size:           2
        .value_kind:     hidden_remainder_x
      - .offset:         164
        .size:           2
        .value_kind:     hidden_remainder_y
      - .offset:         166
        .size:           2
        .value_kind:     hidden_remainder_z
      - .offset:         184
        .size:           8
        .value_kind:     hidden_global_offset_x
      - .offset:         192
        .size:           8
        .value_kind:     hidden_global_offset_y
      - .offset:         200
        .size:           8
        .value_kind:     hidden_global_offset_z
      - .offset:         208
        .size:           2
        .value_kind:     hidden_grid_dims
    .group_segment_fixed_size: 0
    .kernarg_segment_align: 8
    .kernarg_segment_size: 400
    .language:       OpenCL C
    .language_version:
      - 2
      - 0
    .max_flat_workgroup_size: 1024
    .name:           _ZN5aiter35fused_qk_rmsnorm_group_quant_kernelItN4opus5fp4_tELi64ELi8ELi4ELb1ELb0ELb0ELb0ELb0ELb0EEEvPT0_PvPT_S7_S7_PKS6_S9_S9_S9_S9_ffiiiiiiiiiiiii
    .private_segment_fixed_size: 0
    .sgpr_count:     48
    .sgpr_spill_count: 0
    .symbol:         _ZN5aiter35fused_qk_rmsnorm_group_quant_kernelItN4opus5fp4_tELi64ELi8ELi4ELb1ELb0ELb0ELb0ELb0ELb0EEEvPT0_PvPT_S7_S7_PKS6_S9_S9_S9_S9_ffiiiiiiiiiiiii.kd
    .uniform_work_group_size: 1
    .uses_dynamic_stack: false
    .vgpr_count:     27
    .vgpr_spill_count: 0
    .wavefront_size: 64
  - .agpr_count:     0
    .args:
      - .actual_access:  write_only
        .address_space:  global
        .offset:         0
        .size:           8
        .value_kind:     global_buffer
      - .actual_access:  write_only
        .address_space:  global
        .offset:         8
        .size:           8
        .value_kind:     global_buffer
      - .actual_access:  write_only
        .address_space:  global
        .offset:         16
        .size:           8
        .value_kind:     global_buffer
      - .actual_access:  write_only
        .address_space:  global
        .offset:         24
        .size:           8
        .value_kind:     global_buffer
      - .actual_access:  read_only
        .address_space:  global
        .offset:         32
        .size:           8
        .value_kind:     global_buffer
      - .actual_access:  read_only
        .address_space:  global
        .offset:         40
        .size:           8
        .value_kind:     global_buffer
      - .actual_access:  read_only
        .address_space:  global
        .offset:         48
        .size:           8
        .value_kind:     global_buffer
      - .actual_access:  read_only
        .address_space:  global
        .offset:         56
        .size:           8
        .value_kind:     global_buffer
      - .actual_access:  read_only
        .address_space:  global
        .offset:         64
        .size:           8
        .value_kind:     global_buffer
      - .actual_access:  read_only
        .address_space:  global
        .offset:         72
        .size:           8
        .value_kind:     global_buffer
      - .offset:         80
        .size:           4
        .value_kind:     by_value
      - .offset:         84
        .size:           4
        .value_kind:     by_value
      - .offset:         88
        .size:           4
        .value_kind:     by_value
      - .offset:         92
        .size:           4
        .value_kind:     by_value
      - .offset:         96
        .size:           4
        .value_kind:     by_value
      - .offset:         100
        .size:           4
        .value_kind:     by_value
      - .offset:         104
        .size:           4
        .value_kind:     by_value
      - .offset:         108
        .size:           4
        .value_kind:     by_value
      - .offset:         112
        .size:           4
        .value_kind:     by_value
      - .offset:         116
        .size:           4
        .value_kind:     by_value
      - .offset:         120
        .size:           4
        .value_kind:     by_value
      - .offset:         124
        .size:           4
        .value_kind:     by_value
      - .offset:         128
        .size:           4
        .value_kind:     by_value
      - .offset:         132
        .size:           4
        .value_kind:     by_value
      - .offset:         136
        .size:           4
        .value_kind:     by_value
      - .offset:         144
        .size:           4
        .value_kind:     hidden_block_count_x
      - .offset:         148
        .size:           4
        .value_kind:     hidden_block_count_y
      - .offset:         152
        .size:           4
        .value_kind:     hidden_block_count_z
      - .offset:         156
        .size:           2
        .value_kind:     hidden_group_size_x
      - .offset:         158
        .size:           2
        .value_kind:     hidden_group_size_y
      - .offset:         160
        .size:           2
        .value_kind:     hidden_group_size_z
      - .offset:         162
        .size:           2
        .value_kind:     hidden_remainder_x
      - .offset:         164
        .size:           2
        .value_kind:     hidden_remainder_y
      - .offset:         166
        .size:           2
        .value_kind:     hidden_remainder_z
      - .offset:         184
        .size:           8
        .value_kind:     hidden_global_offset_x
      - .offset:         192
        .size:           8
        .value_kind:     hidden_global_offset_y
      - .offset:         200
        .size:           8
        .value_kind:     hidden_global_offset_z
      - .offset:         208
        .size:           2
        .value_kind:     hidden_grid_dims
    .group_segment_fixed_size: 0
    .kernarg_segment_align: 8
    .kernarg_segment_size: 400
    .language:       OpenCL C
    .language_version:
      - 2
      - 0
    .max_flat_workgroup_size: 1024
    .name:           _ZN5aiter35fused_qk_rmsnorm_group_quant_kernelIDF16_DB8_Li64ELi8ELi4ELb0ELb1ELb1ELb0ELb0ELb0EEEvPT0_PvPT_S6_S6_PKS5_S8_S8_S8_S8_ffiiiiiiiiiiiii
    .private_segment_fixed_size: 0
    .sgpr_count:     36
    .sgpr_spill_count: 0
    .symbol:         _ZN5aiter35fused_qk_rmsnorm_group_quant_kernelIDF16_DB8_Li64ELi8ELi4ELb0ELb1ELb1ELb0ELb0ELb0EEEvPT0_PvPT_S6_S6_PKS5_S8_S8_S8_S8_ffiiiiiiiiiiiii.kd
    .uniform_work_group_size: 1
    .uses_dynamic_stack: false
    .vgpr_count:     23
    .vgpr_spill_count: 0
    .wavefront_size: 64
  - .agpr_count:     0
    .args:
      - .actual_access:  write_only
        .address_space:  global
        .offset:         0
        .size:           8
        .value_kind:     global_buffer
      - .actual_access:  write_only
        .address_space:  global
        .offset:         8
        .size:           8
        .value_kind:     global_buffer
      - .actual_access:  write_only
        .address_space:  global
        .offset:         16
        .size:           8
        .value_kind:     global_buffer
      - .actual_access:  write_only
        .address_space:  global
        .offset:         24
        .size:           8
        .value_kind:     global_buffer
      - .actual_access:  read_only
        .address_space:  global
        .offset:         32
        .size:           8
        .value_kind:     global_buffer
      - .actual_access:  read_only
        .address_space:  global
        .offset:         40
        .size:           8
        .value_kind:     global_buffer
      - .actual_access:  read_only
        .address_space:  global
        .offset:         48
        .size:           8
        .value_kind:     global_buffer
      - .actual_access:  read_only
        .address_space:  global
        .offset:         56
        .size:           8
        .value_kind:     global_buffer
      - .actual_access:  read_only
        .address_space:  global
        .offset:         64
        .size:           8
        .value_kind:     global_buffer
      - .actual_access:  read_only
        .address_space:  global
        .offset:         72
        .size:           8
        .value_kind:     global_buffer
      - .offset:         80
        .size:           4
        .value_kind:     by_value
      - .offset:         84
        .size:           4
        .value_kind:     by_value
      - .offset:         88
        .size:           4
        .value_kind:     by_value
      - .offset:         92
        .size:           4
        .value_kind:     by_value
      - .offset:         96
        .size:           4
        .value_kind:     by_value
      - .offset:         100
        .size:           4
        .value_kind:     by_value
      - .offset:         104
        .size:           4
        .value_kind:     by_value
      - .offset:         108
        .size:           4
        .value_kind:     by_value
      - .offset:         112
        .size:           4
        .value_kind:     by_value
      - .offset:         116
        .size:           4
        .value_kind:     by_value
      - .offset:         120
        .size:           4
        .value_kind:     by_value
      - .offset:         124
        .size:           4
        .value_kind:     by_value
      - .offset:         128
        .size:           4
        .value_kind:     by_value
      - .offset:         132
        .size:           4
        .value_kind:     by_value
      - .offset:         136
        .size:           4
        .value_kind:     by_value
      - .offset:         144
        .size:           4
        .value_kind:     hidden_block_count_x
      - .offset:         148
        .size:           4
        .value_kind:     hidden_block_count_y
      - .offset:         152
        .size:           4
        .value_kind:     hidden_block_count_z
      - .offset:         156
        .size:           2
        .value_kind:     hidden_group_size_x
      - .offset:         158
        .size:           2
        .value_kind:     hidden_group_size_y
      - .offset:         160
        .size:           2
        .value_kind:     hidden_group_size_z
      - .offset:         162
        .size:           2
        .value_kind:     hidden_remainder_x
      - .offset:         164
        .size:           2
        .value_kind:     hidden_remainder_y
      - .offset:         166
        .size:           2
        .value_kind:     hidden_remainder_z
      - .offset:         184
        .size:           8
        .value_kind:     hidden_global_offset_x
      - .offset:         192
        .size:           8
        .value_kind:     hidden_global_offset_y
      - .offset:         200
        .size:           8
        .value_kind:     hidden_global_offset_z
      - .offset:         208
        .size:           2
        .value_kind:     hidden_grid_dims
    .group_segment_fixed_size: 0
    .kernarg_segment_align: 8
    .kernarg_segment_size: 400
    .language:       OpenCL C
    .language_version:
      - 2
      - 0
    .max_flat_workgroup_size: 1024
    .name:           _ZN5aiter35fused_qk_rmsnorm_group_quant_kernelItDB8_Li64ELi8ELi4ELb0ELb1ELb1ELb0ELb0ELb0EEEvPT0_PvPT_S6_S6_PKS5_S8_S8_S8_S8_ffiiiiiiiiiiiii
    .private_segment_fixed_size: 0
    .sgpr_count:     36
    .sgpr_spill_count: 0
    .symbol:         _ZN5aiter35fused_qk_rmsnorm_group_quant_kernelItDB8_Li64ELi8ELi4ELb0ELb1ELb1ELb0ELb0ELb0EEEvPT0_PvPT_S6_S6_PKS5_S8_S8_S8_S8_ffiiiiiiiiiiiii.kd
    .uniform_work_group_size: 1
    .uses_dynamic_stack: false
    .vgpr_count:     23
    .vgpr_spill_count: 0
    .wavefront_size: 64
  - .agpr_count:     0
    .args:
      - .actual_access:  write_only
        .address_space:  global
        .offset:         0
        .size:           8
        .value_kind:     global_buffer
      - .actual_access:  write_only
        .address_space:  global
        .offset:         8
        .size:           8
        .value_kind:     global_buffer
      - .actual_access:  write_only
        .address_space:  global
        .offset:         16
        .size:           8
        .value_kind:     global_buffer
      - .actual_access:  write_only
        .address_space:  global
        .offset:         24
        .size:           8
        .value_kind:     global_buffer
      - .actual_access:  read_only
        .address_space:  global
        .offset:         32
        .size:           8
        .value_kind:     global_buffer
      - .actual_access:  read_only
        .address_space:  global
        .offset:         40
        .size:           8
        .value_kind:     global_buffer
      - .actual_access:  read_only
        .address_space:  global
        .offset:         48
        .size:           8
        .value_kind:     global_buffer
      - .actual_access:  read_only
        .address_space:  global
        .offset:         56
        .size:           8
        .value_kind:     global_buffer
      - .actual_access:  read_only
        .address_space:  global
        .offset:         64
        .size:           8
        .value_kind:     global_buffer
      - .actual_access:  read_only
        .address_space:  global
        .offset:         72
        .size:           8
        .value_kind:     global_buffer
      - .offset:         80
        .size:           4
        .value_kind:     by_value
      - .offset:         84
        .size:           4
        .value_kind:     by_value
      - .offset:         88
        .size:           4
        .value_kind:     by_value
      - .offset:         92
        .size:           4
        .value_kind:     by_value
      - .offset:         96
        .size:           4
        .value_kind:     by_value
      - .offset:         100
        .size:           4
        .value_kind:     by_value
      - .offset:         104
        .size:           4
        .value_kind:     by_value
      - .offset:         108
        .size:           4
        .value_kind:     by_value
      - .offset:         112
        .size:           4
        .value_kind:     by_value
      - .offset:         116
        .size:           4
        .value_kind:     by_value
      - .offset:         120
        .size:           4
        .value_kind:     by_value
      - .offset:         124
        .size:           4
        .value_kind:     by_value
      - .offset:         128
        .size:           4
        .value_kind:     by_value
      - .offset:         132
        .size:           4
        .value_kind:     by_value
      - .offset:         136
        .size:           4
        .value_kind:     by_value
      - .offset:         144
        .size:           4
        .value_kind:     hidden_block_count_x
      - .offset:         148
        .size:           4
        .value_kind:     hidden_block_count_y
      - .offset:         152
        .size:           4
        .value_kind:     hidden_block_count_z
      - .offset:         156
        .size:           2
        .value_kind:     hidden_group_size_x
      - .offset:         158
        .size:           2
        .value_kind:     hidden_group_size_y
      - .offset:         160
        .size:           2
        .value_kind:     hidden_group_size_z
      - .offset:         162
        .size:           2
        .value_kind:     hidden_remainder_x
      - .offset:         164
        .size:           2
        .value_kind:     hidden_remainder_y
      - .offset:         166
        .size:           2
        .value_kind:     hidden_remainder_z
      - .offset:         184
        .size:           8
        .value_kind:     hidden_global_offset_x
      - .offset:         192
        .size:           8
        .value_kind:     hidden_global_offset_y
      - .offset:         200
        .size:           8
        .value_kind:     hidden_global_offset_z
      - .offset:         208
        .size:           2
        .value_kind:     hidden_grid_dims
    .group_segment_fixed_size: 0
    .kernarg_segment_align: 8
    .kernarg_segment_size: 400
    .language:       OpenCL C
    .language_version:
      - 2
      - 0
    .max_flat_workgroup_size: 1024
    .name:           _ZN5aiter35fused_qk_rmsnorm_group_quant_kernelIDF16_N4opus5fp4_tELi64ELi8ELi4ELb0ELb1ELb1ELb0ELb0ELb0EEEvPT0_PvPT_S7_S7_PKS6_S9_S9_S9_S9_ffiiiiiiiiiiiii
    .private_segment_fixed_size: 0
    .sgpr_count:     36
    .sgpr_spill_count: 0
    .symbol:         _ZN5aiter35fused_qk_rmsnorm_group_quant_kernelIDF16_N4opus5fp4_tELi64ELi8ELi4ELb0ELb1ELb1ELb0ELb0ELb0EEEvPT0_PvPT_S7_S7_PKS6_S9_S9_S9_S9_ffiiiiiiiiiiiii.kd
    .uniform_work_group_size: 1
    .uses_dynamic_stack: false
    .vgpr_count:     23
    .vgpr_spill_count: 0
    .wavefront_size: 64
  - .agpr_count:     0
    .args:
      - .actual_access:  write_only
        .address_space:  global
        .offset:         0
        .size:           8
        .value_kind:     global_buffer
      - .actual_access:  write_only
        .address_space:  global
        .offset:         8
        .size:           8
        .value_kind:     global_buffer
      - .actual_access:  write_only
        .address_space:  global
        .offset:         16
        .size:           8
        .value_kind:     global_buffer
      - .actual_access:  write_only
        .address_space:  global
        .offset:         24
        .size:           8
        .value_kind:     global_buffer
      - .actual_access:  read_only
        .address_space:  global
        .offset:         32
        .size:           8
        .value_kind:     global_buffer
      - .actual_access:  read_only
        .address_space:  global
        .offset:         40
        .size:           8
        .value_kind:     global_buffer
      - .actual_access:  read_only
        .address_space:  global
        .offset:         48
        .size:           8
        .value_kind:     global_buffer
      - .actual_access:  read_only
        .address_space:  global
        .offset:         56
        .size:           8
        .value_kind:     global_buffer
      - .actual_access:  read_only
        .address_space:  global
        .offset:         64
        .size:           8
        .value_kind:     global_buffer
      - .actual_access:  read_only
        .address_space:  global
        .offset:         72
        .size:           8
        .value_kind:     global_buffer
      - .offset:         80
        .size:           4
        .value_kind:     by_value
      - .offset:         84
        .size:           4
        .value_kind:     by_value
      - .offset:         88
        .size:           4
        .value_kind:     by_value
      - .offset:         92
        .size:           4
        .value_kind:     by_value
      - .offset:         96
        .size:           4
        .value_kind:     by_value
      - .offset:         100
        .size:           4
        .value_kind:     by_value
      - .offset:         104
        .size:           4
        .value_kind:     by_value
      - .offset:         108
        .size:           4
        .value_kind:     by_value
      - .offset:         112
        .size:           4
        .value_kind:     by_value
      - .offset:         116
        .size:           4
        .value_kind:     by_value
      - .offset:         120
        .size:           4
        .value_kind:     by_value
      - .offset:         124
        .size:           4
        .value_kind:     by_value
      - .offset:         128
        .size:           4
        .value_kind:     by_value
      - .offset:         132
        .size:           4
        .value_kind:     by_value
      - .offset:         136
        .size:           4
        .value_kind:     by_value
      - .offset:         144
        .size:           4
        .value_kind:     hidden_block_count_x
      - .offset:         148
        .size:           4
        .value_kind:     hidden_block_count_y
      - .offset:         152
        .size:           4
        .value_kind:     hidden_block_count_z
      - .offset:         156
        .size:           2
        .value_kind:     hidden_group_size_x
      - .offset:         158
        .size:           2
        .value_kind:     hidden_group_size_y
      - .offset:         160
        .size:           2
        .value_kind:     hidden_group_size_z
      - .offset:         162
        .size:           2
        .value_kind:     hidden_remainder_x
      - .offset:         164
        .size:           2
        .value_kind:     hidden_remainder_y
      - .offset:         166
        .size:           2
        .value_kind:     hidden_remainder_z
      - .offset:         184
        .size:           8
        .value_kind:     hidden_global_offset_x
      - .offset:         192
        .size:           8
        .value_kind:     hidden_global_offset_y
      - .offset:         200
        .size:           8
        .value_kind:     hidden_global_offset_z
      - .offset:         208
        .size:           2
        .value_kind:     hidden_grid_dims
    .group_segment_fixed_size: 0
    .kernarg_segment_align: 8
    .kernarg_segment_size: 400
    .language:       OpenCL C
    .language_version:
      - 2
      - 0
    .max_flat_workgroup_size: 1024
    .name:           _ZN5aiter35fused_qk_rmsnorm_group_quant_kernelItN4opus5fp4_tELi64ELi8ELi4ELb0ELb1ELb1ELb0ELb0ELb0EEEvPT0_PvPT_S7_S7_PKS6_S9_S9_S9_S9_ffiiiiiiiiiiiii
    .private_segment_fixed_size: 0
    .sgpr_count:     36
    .sgpr_spill_count: 0
    .symbol:         _ZN5aiter35fused_qk_rmsnorm_group_quant_kernelItN4opus5fp4_tELi64ELi8ELi4ELb0ELb1ELb1ELb0ELb0ELb0EEEvPT0_PvPT_S7_S7_PKS6_S9_S9_S9_S9_ffiiiiiiiiiiiii.kd
    .uniform_work_group_size: 1
    .uses_dynamic_stack: false
    .vgpr_count:     23
    .vgpr_spill_count: 0
    .wavefront_size: 64
  - .agpr_count:     0
    .args:
      - .actual_access:  write_only
        .address_space:  global
        .offset:         0
        .size:           8
        .value_kind:     global_buffer
      - .actual_access:  write_only
        .address_space:  global
        .offset:         8
        .size:           8
        .value_kind:     global_buffer
      - .actual_access:  write_only
        .address_space:  global
        .offset:         16
        .size:           8
        .value_kind:     global_buffer
      - .actual_access:  write_only
        .address_space:  global
        .offset:         24
        .size:           8
        .value_kind:     global_buffer
      - .actual_access:  read_only
        .address_space:  global
        .offset:         32
        .size:           8
        .value_kind:     global_buffer
      - .actual_access:  read_only
        .address_space:  global
        .offset:         40
        .size:           8
        .value_kind:     global_buffer
      - .actual_access:  read_only
        .address_space:  global
        .offset:         48
        .size:           8
        .value_kind:     global_buffer
      - .actual_access:  read_only
        .address_space:  global
        .offset:         56
        .size:           8
        .value_kind:     global_buffer
      - .actual_access:  read_only
        .address_space:  global
        .offset:         64
        .size:           8
        .value_kind:     global_buffer
      - .actual_access:  read_only
        .address_space:  global
        .offset:         72
        .size:           8
        .value_kind:     global_buffer
      - .offset:         80
        .size:           4
        .value_kind:     by_value
      - .offset:         84
        .size:           4
        .value_kind:     by_value
      - .offset:         88
        .size:           4
        .value_kind:     by_value
      - .offset:         92
        .size:           4
        .value_kind:     by_value
      - .offset:         96
        .size:           4
        .value_kind:     by_value
      - .offset:         100
        .size:           4
        .value_kind:     by_value
      - .offset:         104
        .size:           4
        .value_kind:     by_value
      - .offset:         108
        .size:           4
        .value_kind:     by_value
      - .offset:         112
        .size:           4
        .value_kind:     by_value
      - .offset:         116
        .size:           4
        .value_kind:     by_value
      - .offset:         120
        .size:           4
        .value_kind:     by_value
      - .offset:         124
        .size:           4
        .value_kind:     by_value
      - .offset:         128
        .size:           4
        .value_kind:     by_value
      - .offset:         132
        .size:           4
        .value_kind:     by_value
      - .offset:         136
        .size:           4
        .value_kind:     by_value
      - .offset:         144
        .size:           4
        .value_kind:     hidden_block_count_x
      - .offset:         148
        .size:           4
        .value_kind:     hidden_block_count_y
      - .offset:         152
        .size:           4
        .value_kind:     hidden_block_count_z
      - .offset:         156
        .size:           2
        .value_kind:     hidden_group_size_x
      - .offset:         158
        .size:           2
        .value_kind:     hidden_group_size_y
      - .offset:         160
        .size:           2
        .value_kind:     hidden_group_size_z
      - .offset:         162
        .size:           2
        .value_kind:     hidden_remainder_x
      - .offset:         164
        .size:           2
        .value_kind:     hidden_remainder_y
      - .offset:         166
        .size:           2
        .value_kind:     hidden_remainder_z
      - .offset:         184
        .size:           8
        .value_kind:     hidden_global_offset_x
      - .offset:         192
        .size:           8
        .value_kind:     hidden_global_offset_y
      - .offset:         200
        .size:           8
        .value_kind:     hidden_global_offset_z
      - .offset:         208
        .size:           2
        .value_kind:     hidden_grid_dims
    .group_segment_fixed_size: 0
    .kernarg_segment_align: 8
    .kernarg_segment_size: 400
    .language:       OpenCL C
    .language_version:
      - 2
      - 0
    .max_flat_workgroup_size: 1024
    .name:           _ZN5aiter35fused_qk_rmsnorm_group_quant_kernelIDF16_DB8_Li64ELi8ELi4ELb0ELb1ELb0ELb0ELb0ELb0EEEvPT0_PvPT_S6_S6_PKS5_S8_S8_S8_S8_ffiiiiiiiiiiiii
    .private_segment_fixed_size: 0
    .sgpr_count:     36
    .sgpr_spill_count: 0
    .symbol:         _ZN5aiter35fused_qk_rmsnorm_group_quant_kernelIDF16_DB8_Li64ELi8ELi4ELb0ELb1ELb0ELb0ELb0ELb0EEEvPT0_PvPT_S6_S6_PKS5_S8_S8_S8_S8_ffiiiiiiiiiiiii.kd
    .uniform_work_group_size: 1
    .uses_dynamic_stack: false
    .vgpr_count:     23
    .vgpr_spill_count: 0
    .wavefront_size: 64
  - .agpr_count:     0
    .args:
      - .actual_access:  write_only
        .address_space:  global
        .offset:         0
        .size:           8
        .value_kind:     global_buffer
      - .actual_access:  write_only
        .address_space:  global
        .offset:         8
        .size:           8
        .value_kind:     global_buffer
      - .actual_access:  write_only
        .address_space:  global
        .offset:         16
        .size:           8
        .value_kind:     global_buffer
      - .actual_access:  write_only
        .address_space:  global
        .offset:         24
        .size:           8
        .value_kind:     global_buffer
      - .actual_access:  read_only
        .address_space:  global
        .offset:         32
        .size:           8
        .value_kind:     global_buffer
      - .actual_access:  read_only
        .address_space:  global
        .offset:         40
        .size:           8
        .value_kind:     global_buffer
      - .actual_access:  read_only
        .address_space:  global
        .offset:         48
        .size:           8
        .value_kind:     global_buffer
      - .actual_access:  read_only
        .address_space:  global
        .offset:         56
        .size:           8
        .value_kind:     global_buffer
      - .actual_access:  read_only
        .address_space:  global
        .offset:         64
        .size:           8
        .value_kind:     global_buffer
      - .actual_access:  read_only
        .address_space:  global
        .offset:         72
        .size:           8
        .value_kind:     global_buffer
      - .offset:         80
        .size:           4
        .value_kind:     by_value
      - .offset:         84
        .size:           4
        .value_kind:     by_value
      - .offset:         88
        .size:           4
        .value_kind:     by_value
      - .offset:         92
        .size:           4
        .value_kind:     by_value
      - .offset:         96
        .size:           4
        .value_kind:     by_value
      - .offset:         100
        .size:           4
        .value_kind:     by_value
      - .offset:         104
        .size:           4
        .value_kind:     by_value
      - .offset:         108
        .size:           4
        .value_kind:     by_value
      - .offset:         112
        .size:           4
        .value_kind:     by_value
      - .offset:         116
        .size:           4
        .value_kind:     by_value
      - .offset:         120
        .size:           4
        .value_kind:     by_value
      - .offset:         124
        .size:           4
        .value_kind:     by_value
      - .offset:         128
        .size:           4
        .value_kind:     by_value
      - .offset:         132
        .size:           4
        .value_kind:     by_value
      - .offset:         136
        .size:           4
        .value_kind:     by_value
      - .offset:         144
        .size:           4
        .value_kind:     hidden_block_count_x
      - .offset:         148
        .size:           4
        .value_kind:     hidden_block_count_y
      - .offset:         152
        .size:           4
        .value_kind:     hidden_block_count_z
      - .offset:         156
        .size:           2
        .value_kind:     hidden_group_size_x
      - .offset:         158
        .size:           2
        .value_kind:     hidden_group_size_y
      - .offset:         160
        .size:           2
        .value_kind:     hidden_group_size_z
      - .offset:         162
        .size:           2
        .value_kind:     hidden_remainder_x
      - .offset:         164
        .size:           2
        .value_kind:     hidden_remainder_y
      - .offset:         166
        .size:           2
        .value_kind:     hidden_remainder_z
      - .offset:         184
        .size:           8
        .value_kind:     hidden_global_offset_x
      - .offset:         192
        .size:           8
        .value_kind:     hidden_global_offset_y
      - .offset:         200
        .size:           8
        .value_kind:     hidden_global_offset_z
      - .offset:         208
        .size:           2
        .value_kind:     hidden_grid_dims
    .group_segment_fixed_size: 0
    .kernarg_segment_align: 8
    .kernarg_segment_size: 400
    .language:       OpenCL C
    .language_version:
      - 2
      - 0
    .max_flat_workgroup_size: 1024
    .name:           _ZN5aiter35fused_qk_rmsnorm_group_quant_kernelItDB8_Li64ELi8ELi4ELb0ELb1ELb0ELb0ELb0ELb0EEEvPT0_PvPT_S6_S6_PKS5_S8_S8_S8_S8_ffiiiiiiiiiiiii
    .private_segment_fixed_size: 0
    .sgpr_count:     36
    .sgpr_spill_count: 0
    .symbol:         _ZN5aiter35fused_qk_rmsnorm_group_quant_kernelItDB8_Li64ELi8ELi4ELb0ELb1ELb0ELb0ELb0ELb0EEEvPT0_PvPT_S6_S6_PKS5_S8_S8_S8_S8_ffiiiiiiiiiiiii.kd
    .uniform_work_group_size: 1
    .uses_dynamic_stack: false
    .vgpr_count:     23
    .vgpr_spill_count: 0
    .wavefront_size: 64
  - .agpr_count:     0
    .args:
      - .actual_access:  write_only
        .address_space:  global
        .offset:         0
        .size:           8
        .value_kind:     global_buffer
      - .actual_access:  write_only
        .address_space:  global
        .offset:         8
        .size:           8
        .value_kind:     global_buffer
      - .actual_access:  write_only
        .address_space:  global
        .offset:         16
        .size:           8
        .value_kind:     global_buffer
      - .actual_access:  write_only
        .address_space:  global
        .offset:         24
        .size:           8
        .value_kind:     global_buffer
      - .actual_access:  read_only
        .address_space:  global
        .offset:         32
        .size:           8
        .value_kind:     global_buffer
      - .actual_access:  read_only
        .address_space:  global
        .offset:         40
        .size:           8
        .value_kind:     global_buffer
      - .actual_access:  read_only
        .address_space:  global
        .offset:         48
        .size:           8
        .value_kind:     global_buffer
      - .actual_access:  read_only
        .address_space:  global
        .offset:         56
        .size:           8
        .value_kind:     global_buffer
      - .actual_access:  read_only
        .address_space:  global
        .offset:         64
        .size:           8
        .value_kind:     global_buffer
      - .actual_access:  read_only
        .address_space:  global
        .offset:         72
        .size:           8
        .value_kind:     global_buffer
      - .offset:         80
        .size:           4
        .value_kind:     by_value
      - .offset:         84
        .size:           4
        .value_kind:     by_value
      - .offset:         88
        .size:           4
        .value_kind:     by_value
      - .offset:         92
        .size:           4
        .value_kind:     by_value
      - .offset:         96
        .size:           4
        .value_kind:     by_value
      - .offset:         100
        .size:           4
        .value_kind:     by_value
      - .offset:         104
        .size:           4
        .value_kind:     by_value
      - .offset:         108
        .size:           4
        .value_kind:     by_value
      - .offset:         112
        .size:           4
        .value_kind:     by_value
      - .offset:         116
        .size:           4
        .value_kind:     by_value
      - .offset:         120
        .size:           4
        .value_kind:     by_value
      - .offset:         124
        .size:           4
        .value_kind:     by_value
      - .offset:         128
        .size:           4
        .value_kind:     by_value
      - .offset:         132
        .size:           4
        .value_kind:     by_value
      - .offset:         136
        .size:           4
        .value_kind:     by_value
      - .offset:         144
        .size:           4
        .value_kind:     hidden_block_count_x
      - .offset:         148
        .size:           4
        .value_kind:     hidden_block_count_y
      - .offset:         152
        .size:           4
        .value_kind:     hidden_block_count_z
      - .offset:         156
        .size:           2
        .value_kind:     hidden_group_size_x
      - .offset:         158
        .size:           2
        .value_kind:     hidden_group_size_y
      - .offset:         160
        .size:           2
        .value_kind:     hidden_group_size_z
      - .offset:         162
        .size:           2
        .value_kind:     hidden_remainder_x
      - .offset:         164
        .size:           2
        .value_kind:     hidden_remainder_y
      - .offset:         166
        .size:           2
        .value_kind:     hidden_remainder_z
      - .offset:         184
        .size:           8
        .value_kind:     hidden_global_offset_x
      - .offset:         192
        .size:           8
        .value_kind:     hidden_global_offset_y
      - .offset:         200
        .size:           8
        .value_kind:     hidden_global_offset_z
      - .offset:         208
        .size:           2
        .value_kind:     hidden_grid_dims
    .group_segment_fixed_size: 0
    .kernarg_segment_align: 8
    .kernarg_segment_size: 400
    .language:       OpenCL C
    .language_version:
      - 2
      - 0
    .max_flat_workgroup_size: 1024
    .name:           _ZN5aiter35fused_qk_rmsnorm_group_quant_kernelIDF16_N4opus5fp4_tELi64ELi8ELi4ELb0ELb1ELb0ELb0ELb0ELb0EEEvPT0_PvPT_S7_S7_PKS6_S9_S9_S9_S9_ffiiiiiiiiiiiii
    .private_segment_fixed_size: 0
    .sgpr_count:     36
    .sgpr_spill_count: 0
    .symbol:         _ZN5aiter35fused_qk_rmsnorm_group_quant_kernelIDF16_N4opus5fp4_tELi64ELi8ELi4ELb0ELb1ELb0ELb0ELb0ELb0EEEvPT0_PvPT_S7_S7_PKS6_S9_S9_S9_S9_ffiiiiiiiiiiiii.kd
    .uniform_work_group_size: 1
    .uses_dynamic_stack: false
    .vgpr_count:     23
    .vgpr_spill_count: 0
    .wavefront_size: 64
  - .agpr_count:     0
    .args:
      - .actual_access:  write_only
        .address_space:  global
        .offset:         0
        .size:           8
        .value_kind:     global_buffer
      - .actual_access:  write_only
        .address_space:  global
        .offset:         8
        .size:           8
        .value_kind:     global_buffer
      - .actual_access:  write_only
        .address_space:  global
        .offset:         16
        .size:           8
        .value_kind:     global_buffer
      - .actual_access:  write_only
        .address_space:  global
        .offset:         24
        .size:           8
        .value_kind:     global_buffer
      - .actual_access:  read_only
        .address_space:  global
        .offset:         32
        .size:           8
        .value_kind:     global_buffer
      - .actual_access:  read_only
        .address_space:  global
        .offset:         40
        .size:           8
        .value_kind:     global_buffer
      - .actual_access:  read_only
        .address_space:  global
        .offset:         48
        .size:           8
        .value_kind:     global_buffer
      - .actual_access:  read_only
        .address_space:  global
        .offset:         56
        .size:           8
        .value_kind:     global_buffer
      - .actual_access:  read_only
        .address_space:  global
        .offset:         64
        .size:           8
        .value_kind:     global_buffer
      - .actual_access:  read_only
        .address_space:  global
        .offset:         72
        .size:           8
        .value_kind:     global_buffer
      - .offset:         80
        .size:           4
        .value_kind:     by_value
      - .offset:         84
        .size:           4
        .value_kind:     by_value
      - .offset:         88
        .size:           4
        .value_kind:     by_value
      - .offset:         92
        .size:           4
        .value_kind:     by_value
      - .offset:         96
        .size:           4
        .value_kind:     by_value
      - .offset:         100
        .size:           4
        .value_kind:     by_value
      - .offset:         104
        .size:           4
        .value_kind:     by_value
      - .offset:         108
        .size:           4
        .value_kind:     by_value
      - .offset:         112
        .size:           4
        .value_kind:     by_value
      - .offset:         116
        .size:           4
        .value_kind:     by_value
      - .offset:         120
        .size:           4
        .value_kind:     by_value
      - .offset:         124
        .size:           4
        .value_kind:     by_value
      - .offset:         128
        .size:           4
        .value_kind:     by_value
      - .offset:         132
        .size:           4
        .value_kind:     by_value
      - .offset:         136
        .size:           4
        .value_kind:     by_value
      - .offset:         144
        .size:           4
        .value_kind:     hidden_block_count_x
      - .offset:         148
        .size:           4
        .value_kind:     hidden_block_count_y
      - .offset:         152
        .size:           4
        .value_kind:     hidden_block_count_z
      - .offset:         156
        .size:           2
        .value_kind:     hidden_group_size_x
      - .offset:         158
        .size:           2
        .value_kind:     hidden_group_size_y
      - .offset:         160
        .size:           2
        .value_kind:     hidden_group_size_z
      - .offset:         162
        .size:           2
        .value_kind:     hidden_remainder_x
      - .offset:         164
        .size:           2
        .value_kind:     hidden_remainder_y
      - .offset:         166
        .size:           2
        .value_kind:     hidden_remainder_z
      - .offset:         184
        .size:           8
        .value_kind:     hidden_global_offset_x
      - .offset:         192
        .size:           8
        .value_kind:     hidden_global_offset_y
      - .offset:         200
        .size:           8
        .value_kind:     hidden_global_offset_z
      - .offset:         208
        .size:           2
        .value_kind:     hidden_grid_dims
    .group_segment_fixed_size: 0
    .kernarg_segment_align: 8
    .kernarg_segment_size: 400
    .language:       OpenCL C
    .language_version:
      - 2
      - 0
    .max_flat_workgroup_size: 1024
    .name:           _ZN5aiter35fused_qk_rmsnorm_group_quant_kernelItN4opus5fp4_tELi64ELi8ELi4ELb0ELb1ELb0ELb0ELb0ELb0EEEvPT0_PvPT_S7_S7_PKS6_S9_S9_S9_S9_ffiiiiiiiiiiiii
    .private_segment_fixed_size: 0
    .sgpr_count:     36
    .sgpr_spill_count: 0
    .symbol:         _ZN5aiter35fused_qk_rmsnorm_group_quant_kernelItN4opus5fp4_tELi64ELi8ELi4ELb0ELb1ELb0ELb0ELb0ELb0EEEvPT0_PvPT_S7_S7_PKS6_S9_S9_S9_S9_ffiiiiiiiiiiiii.kd
    .uniform_work_group_size: 1
    .uses_dynamic_stack: false
    .vgpr_count:     23
    .vgpr_spill_count: 0
    .wavefront_size: 64
  - .agpr_count:     0
    .args:
      - .actual_access:  write_only
        .address_space:  global
        .offset:         0
        .size:           8
        .value_kind:     global_buffer
      - .actual_access:  write_only
        .address_space:  global
        .offset:         8
        .size:           8
        .value_kind:     global_buffer
      - .actual_access:  read_only
        .address_space:  global
        .offset:         16
        .size:           8
        .value_kind:     global_buffer
      - .actual_access:  write_only
        .address_space:  global
        .offset:         24
        .size:           8
        .value_kind:     global_buffer
      - .actual_access:  read_only
        .address_space:  global
        .offset:         32
        .size:           8
        .value_kind:     global_buffer
      - .actual_access:  read_only
        .address_space:  global
        .offset:         40
        .size:           8
        .value_kind:     global_buffer
      - .actual_access:  read_only
        .address_space:  global
        .offset:         48
        .size:           8
        .value_kind:     global_buffer
      - .actual_access:  read_only
        .address_space:  global
        .offset:         56
        .size:           8
        .value_kind:     global_buffer
      - .actual_access:  read_only
        .address_space:  global
        .offset:         64
        .size:           8
        .value_kind:     global_buffer
      - .actual_access:  read_only
        .address_space:  global
        .offset:         72
        .size:           8
        .value_kind:     global_buffer
      - .offset:         80
        .size:           4
        .value_kind:     by_value
      - .offset:         84
        .size:           4
        .value_kind:     by_value
      - .offset:         88
        .size:           4
        .value_kind:     by_value
      - .offset:         92
        .size:           4
        .value_kind:     by_value
      - .offset:         96
        .size:           4
        .value_kind:     by_value
      - .offset:         100
        .size:           4
        .value_kind:     by_value
      - .offset:         104
        .size:           4
        .value_kind:     by_value
      - .offset:         108
        .size:           4
        .value_kind:     by_value
      - .offset:         112
        .size:           4
        .value_kind:     by_value
      - .offset:         116
        .size:           4
        .value_kind:     by_value
      - .offset:         120
        .size:           4
        .value_kind:     by_value
      - .offset:         124
        .size:           4
        .value_kind:     by_value
      - .offset:         128
        .size:           4
        .value_kind:     by_value
      - .offset:         132
        .size:           4
        .value_kind:     by_value
      - .offset:         136
        .size:           4
        .value_kind:     by_value
      - .offset:         144
        .size:           4
        .value_kind:     hidden_block_count_x
      - .offset:         148
        .size:           4
        .value_kind:     hidden_block_count_y
      - .offset:         152
        .size:           4
        .value_kind:     hidden_block_count_z
      - .offset:         156
        .size:           2
        .value_kind:     hidden_group_size_x
      - .offset:         158
        .size:           2
        .value_kind:     hidden_group_size_y
      - .offset:         160
        .size:           2
        .value_kind:     hidden_group_size_z
      - .offset:         162
        .size:           2
        .value_kind:     hidden_remainder_x
      - .offset:         164
        .size:           2
        .value_kind:     hidden_remainder_y
      - .offset:         166
        .size:           2
        .value_kind:     hidden_remainder_z
      - .offset:         184
        .size:           8
        .value_kind:     hidden_global_offset_x
      - .offset:         192
        .size:           8
        .value_kind:     hidden_global_offset_y
      - .offset:         200
        .size:           8
        .value_kind:     hidden_global_offset_z
      - .offset:         208
        .size:           2
        .value_kind:     hidden_grid_dims
    .group_segment_fixed_size: 0
    .kernarg_segment_align: 8
    .kernarg_segment_size: 400
    .language:       OpenCL C
    .language_version:
      - 2
      - 0
    .max_flat_workgroup_size: 1024
    .name:           _ZN5aiter35fused_qk_rmsnorm_group_quant_kernelIDF16_DB8_Li64ELi8ELi4ELb0ELb0ELb1ELb0ELb0ELb0EEEvPT0_PvPT_S6_S6_PKS5_S8_S8_S8_S8_ffiiiiiiiiiiiii
    .private_segment_fixed_size: 0
    .sgpr_count:     36
    .sgpr_spill_count: 0
    .symbol:         _ZN5aiter35fused_qk_rmsnorm_group_quant_kernelIDF16_DB8_Li64ELi8ELi4ELb0ELb0ELb1ELb0ELb0ELb0EEEvPT0_PvPT_S6_S6_PKS5_S8_S8_S8_S8_ffiiiiiiiiiiiii.kd
    .uniform_work_group_size: 1
    .uses_dynamic_stack: false
    .vgpr_count:     23
    .vgpr_spill_count: 0
    .wavefront_size: 64
  - .agpr_count:     0
    .args:
      - .actual_access:  write_only
        .address_space:  global
        .offset:         0
        .size:           8
        .value_kind:     global_buffer
      - .actual_access:  write_only
        .address_space:  global
        .offset:         8
        .size:           8
        .value_kind:     global_buffer
      - .actual_access:  read_only
        .address_space:  global
        .offset:         16
        .size:           8
        .value_kind:     global_buffer
      - .actual_access:  write_only
        .address_space:  global
        .offset:         24
        .size:           8
        .value_kind:     global_buffer
      - .actual_access:  read_only
        .address_space:  global
        .offset:         32
        .size:           8
        .value_kind:     global_buffer
      - .actual_access:  read_only
        .address_space:  global
        .offset:         40
        .size:           8
        .value_kind:     global_buffer
      - .actual_access:  read_only
        .address_space:  global
        .offset:         48
        .size:           8
        .value_kind:     global_buffer
      - .actual_access:  read_only
        .address_space:  global
        .offset:         56
        .size:           8
        .value_kind:     global_buffer
      - .actual_access:  read_only
        .address_space:  global
        .offset:         64
        .size:           8
        .value_kind:     global_buffer
      - .actual_access:  read_only
        .address_space:  global
        .offset:         72
        .size:           8
        .value_kind:     global_buffer
      - .offset:         80
        .size:           4
        .value_kind:     by_value
      - .offset:         84
        .size:           4
        .value_kind:     by_value
      - .offset:         88
        .size:           4
        .value_kind:     by_value
      - .offset:         92
        .size:           4
        .value_kind:     by_value
      - .offset:         96
        .size:           4
        .value_kind:     by_value
      - .offset:         100
        .size:           4
        .value_kind:     by_value
      - .offset:         104
        .size:           4
        .value_kind:     by_value
      - .offset:         108
        .size:           4
        .value_kind:     by_value
      - .offset:         112
        .size:           4
        .value_kind:     by_value
      - .offset:         116
        .size:           4
        .value_kind:     by_value
      - .offset:         120
        .size:           4
        .value_kind:     by_value
      - .offset:         124
        .size:           4
        .value_kind:     by_value
      - .offset:         128
        .size:           4
        .value_kind:     by_value
      - .offset:         132
        .size:           4
        .value_kind:     by_value
      - .offset:         136
        .size:           4
        .value_kind:     by_value
      - .offset:         144
        .size:           4
        .value_kind:     hidden_block_count_x
      - .offset:         148
        .size:           4
        .value_kind:     hidden_block_count_y
      - .offset:         152
        .size:           4
        .value_kind:     hidden_block_count_z
      - .offset:         156
        .size:           2
        .value_kind:     hidden_group_size_x
      - .offset:         158
        .size:           2
        .value_kind:     hidden_group_size_y
      - .offset:         160
        .size:           2
        .value_kind:     hidden_group_size_z
      - .offset:         162
        .size:           2
        .value_kind:     hidden_remainder_x
      - .offset:         164
        .size:           2
        .value_kind:     hidden_remainder_y
      - .offset:         166
        .size:           2
        .value_kind:     hidden_remainder_z
      - .offset:         184
        .size:           8
        .value_kind:     hidden_global_offset_x
      - .offset:         192
        .size:           8
        .value_kind:     hidden_global_offset_y
      - .offset:         200
        .size:           8
        .value_kind:     hidden_global_offset_z
      - .offset:         208
        .size:           2
        .value_kind:     hidden_grid_dims
    .group_segment_fixed_size: 0
    .kernarg_segment_align: 8
    .kernarg_segment_size: 400
    .language:       OpenCL C
    .language_version:
      - 2
      - 0
    .max_flat_workgroup_size: 1024
    .name:           _ZN5aiter35fused_qk_rmsnorm_group_quant_kernelItDB8_Li64ELi8ELi4ELb0ELb0ELb1ELb0ELb0ELb0EEEvPT0_PvPT_S6_S6_PKS5_S8_S8_S8_S8_ffiiiiiiiiiiiii
    .private_segment_fixed_size: 0
    .sgpr_count:     36
    .sgpr_spill_count: 0
    .symbol:         _ZN5aiter35fused_qk_rmsnorm_group_quant_kernelItDB8_Li64ELi8ELi4ELb0ELb0ELb1ELb0ELb0ELb0EEEvPT0_PvPT_S6_S6_PKS5_S8_S8_S8_S8_ffiiiiiiiiiiiii.kd
    .uniform_work_group_size: 1
    .uses_dynamic_stack: false
    .vgpr_count:     23
    .vgpr_spill_count: 0
    .wavefront_size: 64
  - .agpr_count:     0
    .args:
      - .actual_access:  write_only
        .address_space:  global
        .offset:         0
        .size:           8
        .value_kind:     global_buffer
      - .actual_access:  write_only
        .address_space:  global
        .offset:         8
        .size:           8
        .value_kind:     global_buffer
      - .actual_access:  read_only
        .address_space:  global
        .offset:         16
        .size:           8
        .value_kind:     global_buffer
      - .actual_access:  write_only
        .address_space:  global
        .offset:         24
        .size:           8
        .value_kind:     global_buffer
      - .actual_access:  read_only
        .address_space:  global
        .offset:         32
        .size:           8
        .value_kind:     global_buffer
      - .actual_access:  read_only
        .address_space:  global
        .offset:         40
        .size:           8
        .value_kind:     global_buffer
      - .actual_access:  read_only
        .address_space:  global
        .offset:         48
        .size:           8
        .value_kind:     global_buffer
      - .actual_access:  read_only
        .address_space:  global
        .offset:         56
        .size:           8
        .value_kind:     global_buffer
      - .actual_access:  read_only
        .address_space:  global
        .offset:         64
        .size:           8
        .value_kind:     global_buffer
      - .actual_access:  read_only
        .address_space:  global
        .offset:         72
        .size:           8
        .value_kind:     global_buffer
      - .offset:         80
        .size:           4
        .value_kind:     by_value
      - .offset:         84
        .size:           4
        .value_kind:     by_value
      - .offset:         88
        .size:           4
        .value_kind:     by_value
      - .offset:         92
        .size:           4
        .value_kind:     by_value
      - .offset:         96
        .size:           4
        .value_kind:     by_value
      - .offset:         100
        .size:           4
        .value_kind:     by_value
      - .offset:         104
        .size:           4
        .value_kind:     by_value
      - .offset:         108
        .size:           4
        .value_kind:     by_value
      - .offset:         112
        .size:           4
        .value_kind:     by_value
      - .offset:         116
        .size:           4
        .value_kind:     by_value
      - .offset:         120
        .size:           4
        .value_kind:     by_value
      - .offset:         124
        .size:           4
        .value_kind:     by_value
      - .offset:         128
        .size:           4
        .value_kind:     by_value
      - .offset:         132
        .size:           4
        .value_kind:     by_value
      - .offset:         136
        .size:           4
        .value_kind:     by_value
      - .offset:         144
        .size:           4
        .value_kind:     hidden_block_count_x
      - .offset:         148
        .size:           4
        .value_kind:     hidden_block_count_y
      - .offset:         152
        .size:           4
        .value_kind:     hidden_block_count_z
      - .offset:         156
        .size:           2
        .value_kind:     hidden_group_size_x
      - .offset:         158
        .size:           2
        .value_kind:     hidden_group_size_y
      - .offset:         160
        .size:           2
        .value_kind:     hidden_group_size_z
      - .offset:         162
        .size:           2
        .value_kind:     hidden_remainder_x
      - .offset:         164
        .size:           2
        .value_kind:     hidden_remainder_y
      - .offset:         166
        .size:           2
        .value_kind:     hidden_remainder_z
      - .offset:         184
        .size:           8
        .value_kind:     hidden_global_offset_x
      - .offset:         192
        .size:           8
        .value_kind:     hidden_global_offset_y
      - .offset:         200
        .size:           8
        .value_kind:     hidden_global_offset_z
      - .offset:         208
        .size:           2
        .value_kind:     hidden_grid_dims
    .group_segment_fixed_size: 0
    .kernarg_segment_align: 8
    .kernarg_segment_size: 400
    .language:       OpenCL C
    .language_version:
      - 2
      - 0
    .max_flat_workgroup_size: 1024
    .name:           _ZN5aiter35fused_qk_rmsnorm_group_quant_kernelIDF16_N4opus5fp4_tELi64ELi8ELi4ELb0ELb0ELb1ELb0ELb0ELb0EEEvPT0_PvPT_S7_S7_PKS6_S9_S9_S9_S9_ffiiiiiiiiiiiii
    .private_segment_fixed_size: 0
    .sgpr_count:     36
    .sgpr_spill_count: 0
    .symbol:         _ZN5aiter35fused_qk_rmsnorm_group_quant_kernelIDF16_N4opus5fp4_tELi64ELi8ELi4ELb0ELb0ELb1ELb0ELb0ELb0EEEvPT0_PvPT_S7_S7_PKS6_S9_S9_S9_S9_ffiiiiiiiiiiiii.kd
    .uniform_work_group_size: 1
    .uses_dynamic_stack: false
    .vgpr_count:     23
    .vgpr_spill_count: 0
    .wavefront_size: 64
  - .agpr_count:     0
    .args:
      - .actual_access:  write_only
        .address_space:  global
        .offset:         0
        .size:           8
        .value_kind:     global_buffer
      - .actual_access:  write_only
        .address_space:  global
        .offset:         8
        .size:           8
        .value_kind:     global_buffer
      - .actual_access:  read_only
        .address_space:  global
        .offset:         16
        .size:           8
        .value_kind:     global_buffer
      - .actual_access:  write_only
        .address_space:  global
        .offset:         24
        .size:           8
        .value_kind:     global_buffer
      - .actual_access:  read_only
        .address_space:  global
        .offset:         32
        .size:           8
        .value_kind:     global_buffer
      - .actual_access:  read_only
        .address_space:  global
        .offset:         40
        .size:           8
        .value_kind:     global_buffer
      - .actual_access:  read_only
        .address_space:  global
        .offset:         48
        .size:           8
        .value_kind:     global_buffer
      - .actual_access:  read_only
        .address_space:  global
        .offset:         56
        .size:           8
        .value_kind:     global_buffer
      - .actual_access:  read_only
        .address_space:  global
        .offset:         64
        .size:           8
        .value_kind:     global_buffer
      - .actual_access:  read_only
        .address_space:  global
        .offset:         72
        .size:           8
        .value_kind:     global_buffer
      - .offset:         80
        .size:           4
        .value_kind:     by_value
      - .offset:         84
        .size:           4
        .value_kind:     by_value
      - .offset:         88
        .size:           4
        .value_kind:     by_value
      - .offset:         92
        .size:           4
        .value_kind:     by_value
      - .offset:         96
        .size:           4
        .value_kind:     by_value
      - .offset:         100
        .size:           4
        .value_kind:     by_value
      - .offset:         104
        .size:           4
        .value_kind:     by_value
      - .offset:         108
        .size:           4
        .value_kind:     by_value
      - .offset:         112
        .size:           4
        .value_kind:     by_value
      - .offset:         116
        .size:           4
        .value_kind:     by_value
      - .offset:         120
        .size:           4
        .value_kind:     by_value
      - .offset:         124
        .size:           4
        .value_kind:     by_value
      - .offset:         128
        .size:           4
        .value_kind:     by_value
      - .offset:         132
        .size:           4
        .value_kind:     by_value
      - .offset:         136
        .size:           4
        .value_kind:     by_value
      - .offset:         144
        .size:           4
        .value_kind:     hidden_block_count_x
      - .offset:         148
        .size:           4
        .value_kind:     hidden_block_count_y
      - .offset:         152
        .size:           4
        .value_kind:     hidden_block_count_z
      - .offset:         156
        .size:           2
        .value_kind:     hidden_group_size_x
      - .offset:         158
        .size:           2
        .value_kind:     hidden_group_size_y
      - .offset:         160
        .size:           2
        .value_kind:     hidden_group_size_z
      - .offset:         162
        .size:           2
        .value_kind:     hidden_remainder_x
      - .offset:         164
        .size:           2
        .value_kind:     hidden_remainder_y
      - .offset:         166
        .size:           2
        .value_kind:     hidden_remainder_z
      - .offset:         184
        .size:           8
        .value_kind:     hidden_global_offset_x
      - .offset:         192
        .size:           8
        .value_kind:     hidden_global_offset_y
      - .offset:         200
        .size:           8
        .value_kind:     hidden_global_offset_z
      - .offset:         208
        .size:           2
        .value_kind:     hidden_grid_dims
    .group_segment_fixed_size: 0
    .kernarg_segment_align: 8
    .kernarg_segment_size: 400
    .language:       OpenCL C
    .language_version:
      - 2
      - 0
    .max_flat_workgroup_size: 1024
    .name:           _ZN5aiter35fused_qk_rmsnorm_group_quant_kernelItN4opus5fp4_tELi64ELi8ELi4ELb0ELb0ELb1ELb0ELb0ELb0EEEvPT0_PvPT_S7_S7_PKS6_S9_S9_S9_S9_ffiiiiiiiiiiiii
    .private_segment_fixed_size: 0
    .sgpr_count:     36
    .sgpr_spill_count: 0
    .symbol:         _ZN5aiter35fused_qk_rmsnorm_group_quant_kernelItN4opus5fp4_tELi64ELi8ELi4ELb0ELb0ELb1ELb0ELb0ELb0EEEvPT0_PvPT_S7_S7_PKS6_S9_S9_S9_S9_ffiiiiiiiiiiiii.kd
    .uniform_work_group_size: 1
    .uses_dynamic_stack: false
    .vgpr_count:     23
    .vgpr_spill_count: 0
    .wavefront_size: 64
  - .agpr_count:     0
    .args:
      - .actual_access:  write_only
        .address_space:  global
        .offset:         0
        .size:           8
        .value_kind:     global_buffer
      - .actual_access:  write_only
        .address_space:  global
        .offset:         8
        .size:           8
        .value_kind:     global_buffer
      - .actual_access:  read_only
        .address_space:  global
        .offset:         16
        .size:           8
        .value_kind:     global_buffer
      - .actual_access:  write_only
        .address_space:  global
        .offset:         24
        .size:           8
        .value_kind:     global_buffer
      - .actual_access:  read_only
        .address_space:  global
        .offset:         32
        .size:           8
        .value_kind:     global_buffer
      - .actual_access:  read_only
        .address_space:  global
        .offset:         40
        .size:           8
        .value_kind:     global_buffer
      - .actual_access:  read_only
        .address_space:  global
        .offset:         48
        .size:           8
        .value_kind:     global_buffer
      - .actual_access:  read_only
        .address_space:  global
        .offset:         56
        .size:           8
        .value_kind:     global_buffer
      - .actual_access:  read_only
        .address_space:  global
        .offset:         64
        .size:           8
        .value_kind:     global_buffer
      - .actual_access:  read_only
        .address_space:  global
        .offset:         72
        .size:           8
        .value_kind:     global_buffer
      - .offset:         80
        .size:           4
        .value_kind:     by_value
      - .offset:         84
        .size:           4
        .value_kind:     by_value
      - .offset:         88
        .size:           4
        .value_kind:     by_value
      - .offset:         92
        .size:           4
        .value_kind:     by_value
      - .offset:         96
        .size:           4
        .value_kind:     by_value
      - .offset:         100
        .size:           4
        .value_kind:     by_value
      - .offset:         104
        .size:           4
        .value_kind:     by_value
      - .offset:         108
        .size:           4
        .value_kind:     by_value
      - .offset:         112
        .size:           4
        .value_kind:     by_value
      - .offset:         116
        .size:           4
        .value_kind:     by_value
      - .offset:         120
        .size:           4
        .value_kind:     by_value
      - .offset:         124
        .size:           4
        .value_kind:     by_value
      - .offset:         128
        .size:           4
        .value_kind:     by_value
      - .offset:         132
        .size:           4
        .value_kind:     by_value
      - .offset:         136
        .size:           4
        .value_kind:     by_value
      - .offset:         144
        .size:           4
        .value_kind:     hidden_block_count_x
      - .offset:         148
        .size:           4
        .value_kind:     hidden_block_count_y
      - .offset:         152
        .size:           4
        .value_kind:     hidden_block_count_z
      - .offset:         156
        .size:           2
        .value_kind:     hidden_group_size_x
      - .offset:         158
        .size:           2
        .value_kind:     hidden_group_size_y
      - .offset:         160
        .size:           2
        .value_kind:     hidden_group_size_z
      - .offset:         162
        .size:           2
        .value_kind:     hidden_remainder_x
      - .offset:         164
        .size:           2
        .value_kind:     hidden_remainder_y
      - .offset:         166
        .size:           2
        .value_kind:     hidden_remainder_z
      - .offset:         184
        .size:           8
        .value_kind:     hidden_global_offset_x
      - .offset:         192
        .size:           8
        .value_kind:     hidden_global_offset_y
      - .offset:         200
        .size:           8
        .value_kind:     hidden_global_offset_z
      - .offset:         208
        .size:           2
        .value_kind:     hidden_grid_dims
    .group_segment_fixed_size: 0
    .kernarg_segment_align: 8
    .kernarg_segment_size: 400
    .language:       OpenCL C
    .language_version:
      - 2
      - 0
    .max_flat_workgroup_size: 1024
    .name:           _ZN5aiter35fused_qk_rmsnorm_group_quant_kernelIDF16_DB8_Li64ELi8ELi4ELb0ELb0ELb0ELb0ELb0ELb0EEEvPT0_PvPT_S6_S6_PKS5_S8_S8_S8_S8_ffiiiiiiiiiiiii
    .private_segment_fixed_size: 0
    .sgpr_count:     36
    .sgpr_spill_count: 0
    .symbol:         _ZN5aiter35fused_qk_rmsnorm_group_quant_kernelIDF16_DB8_Li64ELi8ELi4ELb0ELb0ELb0ELb0ELb0ELb0EEEvPT0_PvPT_S6_S6_PKS5_S8_S8_S8_S8_ffiiiiiiiiiiiii.kd
    .uniform_work_group_size: 1
    .uses_dynamic_stack: false
    .vgpr_count:     23
    .vgpr_spill_count: 0
    .wavefront_size: 64
  - .agpr_count:     0
    .args:
      - .actual_access:  write_only
        .address_space:  global
        .offset:         0
        .size:           8
        .value_kind:     global_buffer
      - .actual_access:  write_only
        .address_space:  global
        .offset:         8
        .size:           8
        .value_kind:     global_buffer
      - .actual_access:  read_only
        .address_space:  global
        .offset:         16
        .size:           8
        .value_kind:     global_buffer
      - .actual_access:  write_only
        .address_space:  global
        .offset:         24
        .size:           8
        .value_kind:     global_buffer
      - .actual_access:  read_only
        .address_space:  global
        .offset:         32
        .size:           8
        .value_kind:     global_buffer
      - .actual_access:  read_only
        .address_space:  global
        .offset:         40
        .size:           8
        .value_kind:     global_buffer
      - .actual_access:  read_only
        .address_space:  global
        .offset:         48
        .size:           8
        .value_kind:     global_buffer
      - .actual_access:  read_only
        .address_space:  global
        .offset:         56
        .size:           8
        .value_kind:     global_buffer
      - .actual_access:  read_only
        .address_space:  global
        .offset:         64
        .size:           8
        .value_kind:     global_buffer
      - .actual_access:  read_only
        .address_space:  global
        .offset:         72
        .size:           8
        .value_kind:     global_buffer
      - .offset:         80
        .size:           4
        .value_kind:     by_value
      - .offset:         84
        .size:           4
        .value_kind:     by_value
      - .offset:         88
        .size:           4
        .value_kind:     by_value
      - .offset:         92
        .size:           4
        .value_kind:     by_value
      - .offset:         96
        .size:           4
        .value_kind:     by_value
      - .offset:         100
        .size:           4
        .value_kind:     by_value
      - .offset:         104
        .size:           4
        .value_kind:     by_value
      - .offset:         108
        .size:           4
        .value_kind:     by_value
      - .offset:         112
        .size:           4
        .value_kind:     by_value
      - .offset:         116
        .size:           4
        .value_kind:     by_value
      - .offset:         120
        .size:           4
        .value_kind:     by_value
      - .offset:         124
        .size:           4
        .value_kind:     by_value
      - .offset:         128
        .size:           4
        .value_kind:     by_value
      - .offset:         132
        .size:           4
        .value_kind:     by_value
      - .offset:         136
        .size:           4
        .value_kind:     by_value
      - .offset:         144
        .size:           4
        .value_kind:     hidden_block_count_x
      - .offset:         148
        .size:           4
        .value_kind:     hidden_block_count_y
      - .offset:         152
        .size:           4
        .value_kind:     hidden_block_count_z
      - .offset:         156
        .size:           2
        .value_kind:     hidden_group_size_x
      - .offset:         158
        .size:           2
        .value_kind:     hidden_group_size_y
      - .offset:         160
        .size:           2
        .value_kind:     hidden_group_size_z
      - .offset:         162
        .size:           2
        .value_kind:     hidden_remainder_x
      - .offset:         164
        .size:           2
        .value_kind:     hidden_remainder_y
      - .offset:         166
        .size:           2
        .value_kind:     hidden_remainder_z
      - .offset:         184
        .size:           8
        .value_kind:     hidden_global_offset_x
      - .offset:         192
        .size:           8
        .value_kind:     hidden_global_offset_y
      - .offset:         200
        .size:           8
        .value_kind:     hidden_global_offset_z
      - .offset:         208
        .size:           2
        .value_kind:     hidden_grid_dims
    .group_segment_fixed_size: 0
    .kernarg_segment_align: 8
    .kernarg_segment_size: 400
    .language:       OpenCL C
    .language_version:
      - 2
      - 0
    .max_flat_workgroup_size: 1024
    .name:           _ZN5aiter35fused_qk_rmsnorm_group_quant_kernelItDB8_Li64ELi8ELi4ELb0ELb0ELb0ELb0ELb0ELb0EEEvPT0_PvPT_S6_S6_PKS5_S8_S8_S8_S8_ffiiiiiiiiiiiii
    .private_segment_fixed_size: 0
    .sgpr_count:     36
    .sgpr_spill_count: 0
    .symbol:         _ZN5aiter35fused_qk_rmsnorm_group_quant_kernelItDB8_Li64ELi8ELi4ELb0ELb0ELb0ELb0ELb0ELb0EEEvPT0_PvPT_S6_S6_PKS5_S8_S8_S8_S8_ffiiiiiiiiiiiii.kd
    .uniform_work_group_size: 1
    .uses_dynamic_stack: false
    .vgpr_count:     23
    .vgpr_spill_count: 0
    .wavefront_size: 64
  - .agpr_count:     0
    .args:
      - .actual_access:  write_only
        .address_space:  global
        .offset:         0
        .size:           8
        .value_kind:     global_buffer
      - .actual_access:  write_only
        .address_space:  global
        .offset:         8
        .size:           8
        .value_kind:     global_buffer
      - .actual_access:  read_only
        .address_space:  global
        .offset:         16
        .size:           8
        .value_kind:     global_buffer
      - .actual_access:  write_only
        .address_space:  global
        .offset:         24
        .size:           8
        .value_kind:     global_buffer
      - .actual_access:  read_only
        .address_space:  global
        .offset:         32
        .size:           8
        .value_kind:     global_buffer
      - .actual_access:  read_only
        .address_space:  global
        .offset:         40
        .size:           8
        .value_kind:     global_buffer
      - .actual_access:  read_only
        .address_space:  global
        .offset:         48
        .size:           8
        .value_kind:     global_buffer
      - .actual_access:  read_only
        .address_space:  global
        .offset:         56
        .size:           8
        .value_kind:     global_buffer
      - .actual_access:  read_only
        .address_space:  global
        .offset:         64
        .size:           8
        .value_kind:     global_buffer
      - .actual_access:  read_only
        .address_space:  global
        .offset:         72
        .size:           8
        .value_kind:     global_buffer
      - .offset:         80
        .size:           4
        .value_kind:     by_value
      - .offset:         84
        .size:           4
        .value_kind:     by_value
      - .offset:         88
        .size:           4
        .value_kind:     by_value
      - .offset:         92
        .size:           4
        .value_kind:     by_value
      - .offset:         96
        .size:           4
        .value_kind:     by_value
      - .offset:         100
        .size:           4
        .value_kind:     by_value
      - .offset:         104
        .size:           4
        .value_kind:     by_value
      - .offset:         108
        .size:           4
        .value_kind:     by_value
      - .offset:         112
        .size:           4
        .value_kind:     by_value
      - .offset:         116
        .size:           4
        .value_kind:     by_value
      - .offset:         120
        .size:           4
        .value_kind:     by_value
      - .offset:         124
        .size:           4
        .value_kind:     by_value
      - .offset:         128
        .size:           4
        .value_kind:     by_value
      - .offset:         132
        .size:           4
        .value_kind:     by_value
      - .offset:         136
        .size:           4
        .value_kind:     by_value
      - .offset:         144
        .size:           4
        .value_kind:     hidden_block_count_x
      - .offset:         148
        .size:           4
        .value_kind:     hidden_block_count_y
      - .offset:         152
        .size:           4
        .value_kind:     hidden_block_count_z
      - .offset:         156
        .size:           2
        .value_kind:     hidden_group_size_x
      - .offset:         158
        .size:           2
        .value_kind:     hidden_group_size_y
      - .offset:         160
        .size:           2
        .value_kind:     hidden_group_size_z
      - .offset:         162
        .size:           2
        .value_kind:     hidden_remainder_x
      - .offset:         164
        .size:           2
        .value_kind:     hidden_remainder_y
      - .offset:         166
        .size:           2
        .value_kind:     hidden_remainder_z
      - .offset:         184
        .size:           8
        .value_kind:     hidden_global_offset_x
      - .offset:         192
        .size:           8
        .value_kind:     hidden_global_offset_y
      - .offset:         200
        .size:           8
        .value_kind:     hidden_global_offset_z
      - .offset:         208
        .size:           2
        .value_kind:     hidden_grid_dims
    .group_segment_fixed_size: 0
    .kernarg_segment_align: 8
    .kernarg_segment_size: 400
    .language:       OpenCL C
    .language_version:
      - 2
      - 0
    .max_flat_workgroup_size: 1024
    .name:           _ZN5aiter35fused_qk_rmsnorm_group_quant_kernelIDF16_N4opus5fp4_tELi64ELi8ELi4ELb0ELb0ELb0ELb0ELb0ELb0EEEvPT0_PvPT_S7_S7_PKS6_S9_S9_S9_S9_ffiiiiiiiiiiiii
    .private_segment_fixed_size: 0
    .sgpr_count:     36
    .sgpr_spill_count: 0
    .symbol:         _ZN5aiter35fused_qk_rmsnorm_group_quant_kernelIDF16_N4opus5fp4_tELi64ELi8ELi4ELb0ELb0ELb0ELb0ELb0ELb0EEEvPT0_PvPT_S7_S7_PKS6_S9_S9_S9_S9_ffiiiiiiiiiiiii.kd
    .uniform_work_group_size: 1
    .uses_dynamic_stack: false
    .vgpr_count:     23
    .vgpr_spill_count: 0
    .wavefront_size: 64
  - .agpr_count:     0
    .args:
      - .actual_access:  write_only
        .address_space:  global
        .offset:         0
        .size:           8
        .value_kind:     global_buffer
      - .actual_access:  write_only
        .address_space:  global
        .offset:         8
        .size:           8
        .value_kind:     global_buffer
      - .actual_access:  read_only
        .address_space:  global
        .offset:         16
        .size:           8
        .value_kind:     global_buffer
      - .actual_access:  write_only
        .address_space:  global
        .offset:         24
        .size:           8
        .value_kind:     global_buffer
      - .actual_access:  read_only
        .address_space:  global
        .offset:         32
        .size:           8
        .value_kind:     global_buffer
      - .actual_access:  read_only
        .address_space:  global
        .offset:         40
        .size:           8
        .value_kind:     global_buffer
      - .actual_access:  read_only
        .address_space:  global
        .offset:         48
        .size:           8
        .value_kind:     global_buffer
      - .actual_access:  read_only
        .address_space:  global
        .offset:         56
        .size:           8
        .value_kind:     global_buffer
      - .actual_access:  read_only
        .address_space:  global
        .offset:         64
        .size:           8
        .value_kind:     global_buffer
      - .actual_access:  read_only
        .address_space:  global
        .offset:         72
        .size:           8
        .value_kind:     global_buffer
      - .offset:         80
        .size:           4
        .value_kind:     by_value
      - .offset:         84
        .size:           4
        .value_kind:     by_value
      - .offset:         88
        .size:           4
        .value_kind:     by_value
      - .offset:         92
        .size:           4
        .value_kind:     by_value
      - .offset:         96
        .size:           4
        .value_kind:     by_value
      - .offset:         100
        .size:           4
        .value_kind:     by_value
      - .offset:         104
        .size:           4
        .value_kind:     by_value
      - .offset:         108
        .size:           4
        .value_kind:     by_value
      - .offset:         112
        .size:           4
        .value_kind:     by_value
      - .offset:         116
        .size:           4
        .value_kind:     by_value
      - .offset:         120
        .size:           4
        .value_kind:     by_value
      - .offset:         124
        .size:           4
        .value_kind:     by_value
      - .offset:         128
        .size:           4
        .value_kind:     by_value
      - .offset:         132
        .size:           4
        .value_kind:     by_value
      - .offset:         136
        .size:           4
        .value_kind:     by_value
      - .offset:         144
        .size:           4
        .value_kind:     hidden_block_count_x
      - .offset:         148
        .size:           4
        .value_kind:     hidden_block_count_y
      - .offset:         152
        .size:           4
        .value_kind:     hidden_block_count_z
      - .offset:         156
        .size:           2
        .value_kind:     hidden_group_size_x
      - .offset:         158
        .size:           2
        .value_kind:     hidden_group_size_y
      - .offset:         160
        .size:           2
        .value_kind:     hidden_group_size_z
      - .offset:         162
        .size:           2
        .value_kind:     hidden_remainder_x
      - .offset:         164
        .size:           2
        .value_kind:     hidden_remainder_y
      - .offset:         166
        .size:           2
        .value_kind:     hidden_remainder_z
      - .offset:         184
        .size:           8
        .value_kind:     hidden_global_offset_x
      - .offset:         192
        .size:           8
        .value_kind:     hidden_global_offset_y
      - .offset:         200
        .size:           8
        .value_kind:     hidden_global_offset_z
      - .offset:         208
        .size:           2
        .value_kind:     hidden_grid_dims
    .group_segment_fixed_size: 0
    .kernarg_segment_align: 8
    .kernarg_segment_size: 400
    .language:       OpenCL C
    .language_version:
      - 2
      - 0
    .max_flat_workgroup_size: 1024
    .name:           _ZN5aiter35fused_qk_rmsnorm_group_quant_kernelItN4opus5fp4_tELi64ELi8ELi4ELb0ELb0ELb0ELb0ELb0ELb0EEEvPT0_PvPT_S7_S7_PKS6_S9_S9_S9_S9_ffiiiiiiiiiiiii
    .private_segment_fixed_size: 0
    .sgpr_count:     36
    .sgpr_spill_count: 0
    .symbol:         _ZN5aiter35fused_qk_rmsnorm_group_quant_kernelItN4opus5fp4_tELi64ELi8ELi4ELb0ELb0ELb0ELb0ELb0ELb0EEEvPT0_PvPT_S7_S7_PKS6_S9_S9_S9_S9_ffiiiiiiiiiiiii.kd
    .uniform_work_group_size: 1
    .uses_dynamic_stack: false
    .vgpr_count:     23
    .vgpr_spill_count: 0
    .wavefront_size: 64
  - .agpr_count:     0
    .args:
      - .actual_access:  read_only
        .address_space:  global
        .offset:         0
        .size:           8
        .value_kind:     global_buffer
      - .actual_access:  read_only
        .address_space:  global
        .offset:         8
        .size:           8
        .value_kind:     global_buffer
      - .actual_access:  write_only
        .address_space:  global
        .offset:         16
        .size:           8
        .value_kind:     global_buffer
      - .actual_access:  write_only
        .address_space:  global
        .offset:         24
        .size:           8
        .value_kind:     global_buffer
      - .actual_access:  write_only
        .address_space:  global
        .offset:         32
        .size:           8
        .value_kind:     global_buffer
      - .actual_access:  read_only
        .address_space:  global
        .offset:         40
        .size:           8
        .value_kind:     global_buffer
      - .actual_access:  read_only
        .address_space:  global
        .offset:         48
        .size:           8
        .value_kind:     global_buffer
      - .actual_access:  read_only
        .address_space:  global
        .offset:         56
        .size:           8
        .value_kind:     global_buffer
      - .actual_access:  read_only
        .address_space:  global
        .offset:         64
        .size:           8
        .value_kind:     global_buffer
      - .actual_access:  read_only
        .address_space:  global
        .offset:         72
        .size:           8
        .value_kind:     global_buffer
      - .offset:         80
        .size:           4
        .value_kind:     by_value
      - .offset:         84
        .size:           4
        .value_kind:     by_value
      - .offset:         88
        .size:           4
        .value_kind:     by_value
      - .offset:         92
        .size:           4
        .value_kind:     by_value
      - .offset:         96
        .size:           4
        .value_kind:     by_value
      - .offset:         100
        .size:           4
        .value_kind:     by_value
      - .offset:         104
        .size:           4
        .value_kind:     by_value
      - .offset:         108
        .size:           4
        .value_kind:     by_value
      - .offset:         112
        .size:           4
        .value_kind:     by_value
      - .offset:         116
        .size:           4
        .value_kind:     by_value
      - .offset:         120
        .size:           4
        .value_kind:     by_value
      - .offset:         124
        .size:           4
        .value_kind:     by_value
      - .offset:         128
        .size:           4
        .value_kind:     by_value
      - .offset:         132
        .size:           4
        .value_kind:     by_value
      - .offset:         136
        .size:           4
        .value_kind:     by_value
      - .offset:         144
        .size:           4
        .value_kind:     hidden_block_count_x
      - .offset:         148
        .size:           4
        .value_kind:     hidden_block_count_y
      - .offset:         152
        .size:           4
        .value_kind:     hidden_block_count_z
      - .offset:         156
        .size:           2
        .value_kind:     hidden_group_size_x
      - .offset:         158
        .size:           2
        .value_kind:     hidden_group_size_y
      - .offset:         160
        .size:           2
        .value_kind:     hidden_group_size_z
      - .offset:         162
        .size:           2
        .value_kind:     hidden_remainder_x
      - .offset:         164
        .size:           2
        .value_kind:     hidden_remainder_y
      - .offset:         166
        .size:           2
        .value_kind:     hidden_remainder_z
      - .offset:         184
        .size:           8
        .value_kind:     hidden_global_offset_x
      - .offset:         192
        .size:           8
        .value_kind:     hidden_global_offset_y
      - .offset:         200
        .size:           8
        .value_kind:     hidden_global_offset_z
      - .offset:         208
        .size:           2
        .value_kind:     hidden_grid_dims
    .group_segment_fixed_size: 0
    .kernarg_segment_align: 8
    .kernarg_segment_size: 400
    .language:       OpenCL C
    .language_version:
      - 2
      - 0
    .max_flat_workgroup_size: 1024
    .name:           _ZN5aiter35fused_qk_rmsnorm_group_quant_kernelIDF16_DB8_Li64ELi4ELi32ELb1ELb1ELb1ELb1ELb0ELb0EEEvPT0_PvPT_S6_S6_PKS5_S8_S8_S8_S8_ffiiiiiiiiiiiii
    .private_segment_fixed_size: 0
    .sgpr_count:     36
    .sgpr_spill_count: 0
    .symbol:         _ZN5aiter35fused_qk_rmsnorm_group_quant_kernelIDF16_DB8_Li64ELi4ELi32ELb1ELb1ELb1ELb1ELb0ELb0EEEvPT0_PvPT_S6_S6_PKS5_S8_S8_S8_S8_ffiiiiiiiiiiiii.kd
    .uniform_work_group_size: 1
    .uses_dynamic_stack: false
    .vgpr_count:     16
    .vgpr_spill_count: 0
    .wavefront_size: 64
  - .agpr_count:     0
    .args:
      - .actual_access:  read_only
        .address_space:  global
        .offset:         0
        .size:           8
        .value_kind:     global_buffer
      - .actual_access:  read_only
        .address_space:  global
        .offset:         8
        .size:           8
        .value_kind:     global_buffer
      - .actual_access:  write_only
        .address_space:  global
        .offset:         16
        .size:           8
        .value_kind:     global_buffer
      - .actual_access:  write_only
        .address_space:  global
        .offset:         24
        .size:           8
        .value_kind:     global_buffer
      - .actual_access:  write_only
        .address_space:  global
        .offset:         32
        .size:           8
        .value_kind:     global_buffer
      - .actual_access:  read_only
        .address_space:  global
        .offset:         40
        .size:           8
        .value_kind:     global_buffer
      - .actual_access:  read_only
        .address_space:  global
        .offset:         48
        .size:           8
        .value_kind:     global_buffer
      - .actual_access:  read_only
        .address_space:  global
        .offset:         56
        .size:           8
        .value_kind:     global_buffer
      - .actual_access:  read_only
        .address_space:  global
        .offset:         64
        .size:           8
        .value_kind:     global_buffer
      - .actual_access:  read_only
        .address_space:  global
        .offset:         72
        .size:           8
        .value_kind:     global_buffer
      - .offset:         80
        .size:           4
        .value_kind:     by_value
      - .offset:         84
        .size:           4
        .value_kind:     by_value
      - .offset:         88
        .size:           4
        .value_kind:     by_value
      - .offset:         92
        .size:           4
        .value_kind:     by_value
      - .offset:         96
        .size:           4
        .value_kind:     by_value
      - .offset:         100
        .size:           4
        .value_kind:     by_value
      - .offset:         104
        .size:           4
        .value_kind:     by_value
      - .offset:         108
        .size:           4
        .value_kind:     by_value
      - .offset:         112
        .size:           4
        .value_kind:     by_value
      - .offset:         116
        .size:           4
        .value_kind:     by_value
      - .offset:         120
        .size:           4
        .value_kind:     by_value
      - .offset:         124
        .size:           4
        .value_kind:     by_value
      - .offset:         128
        .size:           4
        .value_kind:     by_value
      - .offset:         132
        .size:           4
        .value_kind:     by_value
      - .offset:         136
        .size:           4
        .value_kind:     by_value
      - .offset:         144
        .size:           4
        .value_kind:     hidden_block_count_x
      - .offset:         148
        .size:           4
        .value_kind:     hidden_block_count_y
      - .offset:         152
        .size:           4
        .value_kind:     hidden_block_count_z
      - .offset:         156
        .size:           2
        .value_kind:     hidden_group_size_x
      - .offset:         158
        .size:           2
        .value_kind:     hidden_group_size_y
      - .offset:         160
        .size:           2
        .value_kind:     hidden_group_size_z
      - .offset:         162
        .size:           2
        .value_kind:     hidden_remainder_x
      - .offset:         164
        .size:           2
        .value_kind:     hidden_remainder_y
      - .offset:         166
        .size:           2
        .value_kind:     hidden_remainder_z
      - .offset:         184
        .size:           8
        .value_kind:     hidden_global_offset_x
      - .offset:         192
        .size:           8
        .value_kind:     hidden_global_offset_y
      - .offset:         200
        .size:           8
        .value_kind:     hidden_global_offset_z
      - .offset:         208
        .size:           2
        .value_kind:     hidden_grid_dims
    .group_segment_fixed_size: 0
    .kernarg_segment_align: 8
    .kernarg_segment_size: 400
    .language:       OpenCL C
    .language_version:
      - 2
      - 0
    .max_flat_workgroup_size: 1024
    .name:           _ZN5aiter35fused_qk_rmsnorm_group_quant_kernelItDB8_Li64ELi4ELi32ELb1ELb1ELb1ELb1ELb0ELb0EEEvPT0_PvPT_S6_S6_PKS5_S8_S8_S8_S8_ffiiiiiiiiiiiii
    .private_segment_fixed_size: 0
    .sgpr_count:     36
    .sgpr_spill_count: 0
    .symbol:         _ZN5aiter35fused_qk_rmsnorm_group_quant_kernelItDB8_Li64ELi4ELi32ELb1ELb1ELb1ELb1ELb0ELb0EEEvPT0_PvPT_S6_S6_PKS5_S8_S8_S8_S8_ffiiiiiiiiiiiii.kd
    .uniform_work_group_size: 1
    .uses_dynamic_stack: false
    .vgpr_count:     16
    .vgpr_spill_count: 0
    .wavefront_size: 64
  - .agpr_count:     0
    .args:
      - .actual_access:  read_only
        .address_space:  global
        .offset:         0
        .size:           8
        .value_kind:     global_buffer
      - .actual_access:  read_only
        .address_space:  global
        .offset:         8
        .size:           8
        .value_kind:     global_buffer
      - .actual_access:  write_only
        .address_space:  global
        .offset:         16
        .size:           8
        .value_kind:     global_buffer
      - .actual_access:  write_only
        .address_space:  global
        .offset:         24
        .size:           8
        .value_kind:     global_buffer
      - .actual_access:  write_only
        .address_space:  global
        .offset:         32
        .size:           8
        .value_kind:     global_buffer
      - .actual_access:  read_only
        .address_space:  global
        .offset:         40
        .size:           8
        .value_kind:     global_buffer
      - .actual_access:  read_only
        .address_space:  global
        .offset:         48
        .size:           8
        .value_kind:     global_buffer
      - .actual_access:  read_only
        .address_space:  global
        .offset:         56
        .size:           8
        .value_kind:     global_buffer
      - .actual_access:  read_only
        .address_space:  global
        .offset:         64
        .size:           8
        .value_kind:     global_buffer
      - .actual_access:  read_only
        .address_space:  global
        .offset:         72
        .size:           8
        .value_kind:     global_buffer
      - .offset:         80
        .size:           4
        .value_kind:     by_value
      - .offset:         84
        .size:           4
        .value_kind:     by_value
      - .offset:         88
        .size:           4
        .value_kind:     by_value
      - .offset:         92
        .size:           4
        .value_kind:     by_value
      - .offset:         96
        .size:           4
        .value_kind:     by_value
      - .offset:         100
        .size:           4
        .value_kind:     by_value
      - .offset:         104
        .size:           4
        .value_kind:     by_value
      - .offset:         108
        .size:           4
        .value_kind:     by_value
      - .offset:         112
        .size:           4
        .value_kind:     by_value
      - .offset:         116
        .size:           4
        .value_kind:     by_value
      - .offset:         120
        .size:           4
        .value_kind:     by_value
      - .offset:         124
        .size:           4
        .value_kind:     by_value
      - .offset:         128
        .size:           4
        .value_kind:     by_value
      - .offset:         132
        .size:           4
        .value_kind:     by_value
      - .offset:         136
        .size:           4
        .value_kind:     by_value
      - .offset:         144
        .size:           4
        .value_kind:     hidden_block_count_x
      - .offset:         148
        .size:           4
        .value_kind:     hidden_block_count_y
      - .offset:         152
        .size:           4
        .value_kind:     hidden_block_count_z
      - .offset:         156
        .size:           2
        .value_kind:     hidden_group_size_x
      - .offset:         158
        .size:           2
        .value_kind:     hidden_group_size_y
      - .offset:         160
        .size:           2
        .value_kind:     hidden_group_size_z
      - .offset:         162
        .size:           2
        .value_kind:     hidden_remainder_x
      - .offset:         164
        .size:           2
        .value_kind:     hidden_remainder_y
      - .offset:         166
        .size:           2
        .value_kind:     hidden_remainder_z
      - .offset:         184
        .size:           8
        .value_kind:     hidden_global_offset_x
      - .offset:         192
        .size:           8
        .value_kind:     hidden_global_offset_y
      - .offset:         200
        .size:           8
        .value_kind:     hidden_global_offset_z
      - .offset:         208
        .size:           2
        .value_kind:     hidden_grid_dims
    .group_segment_fixed_size: 0
    .kernarg_segment_align: 8
    .kernarg_segment_size: 400
    .language:       OpenCL C
    .language_version:
      - 2
      - 0
    .max_flat_workgroup_size: 1024
    .name:           _ZN5aiter35fused_qk_rmsnorm_group_quant_kernelIDF16_DB8_Li64ELi4ELi32ELb1ELb1ELb0ELb1ELb0ELb0EEEvPT0_PvPT_S6_S6_PKS5_S8_S8_S8_S8_ffiiiiiiiiiiiii
    .private_segment_fixed_size: 0
    .sgpr_count:     36
    .sgpr_spill_count: 0
    .symbol:         _ZN5aiter35fused_qk_rmsnorm_group_quant_kernelIDF16_DB8_Li64ELi4ELi32ELb1ELb1ELb0ELb1ELb0ELb0EEEvPT0_PvPT_S6_S6_PKS5_S8_S8_S8_S8_ffiiiiiiiiiiiii.kd
    .uniform_work_group_size: 1
    .uses_dynamic_stack: false
    .vgpr_count:     16
    .vgpr_spill_count: 0
    .wavefront_size: 64
  - .agpr_count:     0
    .args:
      - .actual_access:  read_only
        .address_space:  global
        .offset:         0
        .size:           8
        .value_kind:     global_buffer
      - .actual_access:  read_only
        .address_space:  global
        .offset:         8
        .size:           8
        .value_kind:     global_buffer
      - .actual_access:  write_only
        .address_space:  global
        .offset:         16
        .size:           8
        .value_kind:     global_buffer
      - .actual_access:  write_only
        .address_space:  global
        .offset:         24
        .size:           8
        .value_kind:     global_buffer
      - .actual_access:  write_only
        .address_space:  global
        .offset:         32
        .size:           8
        .value_kind:     global_buffer
      - .actual_access:  read_only
        .address_space:  global
        .offset:         40
        .size:           8
        .value_kind:     global_buffer
      - .actual_access:  read_only
        .address_space:  global
        .offset:         48
        .size:           8
        .value_kind:     global_buffer
      - .actual_access:  read_only
        .address_space:  global
        .offset:         56
        .size:           8
        .value_kind:     global_buffer
      - .actual_access:  read_only
        .address_space:  global
        .offset:         64
        .size:           8
        .value_kind:     global_buffer
      - .actual_access:  read_only
        .address_space:  global
        .offset:         72
        .size:           8
        .value_kind:     global_buffer
      - .offset:         80
        .size:           4
        .value_kind:     by_value
      - .offset:         84
        .size:           4
        .value_kind:     by_value
      - .offset:         88
        .size:           4
        .value_kind:     by_value
      - .offset:         92
        .size:           4
        .value_kind:     by_value
      - .offset:         96
        .size:           4
        .value_kind:     by_value
      - .offset:         100
        .size:           4
        .value_kind:     by_value
      - .offset:         104
        .size:           4
        .value_kind:     by_value
      - .offset:         108
        .size:           4
        .value_kind:     by_value
      - .offset:         112
        .size:           4
        .value_kind:     by_value
      - .offset:         116
        .size:           4
        .value_kind:     by_value
      - .offset:         120
        .size:           4
        .value_kind:     by_value
      - .offset:         124
        .size:           4
        .value_kind:     by_value
      - .offset:         128
        .size:           4
        .value_kind:     by_value
      - .offset:         132
        .size:           4
        .value_kind:     by_value
      - .offset:         136
        .size:           4
        .value_kind:     by_value
      - .offset:         144
        .size:           4
        .value_kind:     hidden_block_count_x
      - .offset:         148
        .size:           4
        .value_kind:     hidden_block_count_y
      - .offset:         152
        .size:           4
        .value_kind:     hidden_block_count_z
      - .offset:         156
        .size:           2
        .value_kind:     hidden_group_size_x
      - .offset:         158
        .size:           2
        .value_kind:     hidden_group_size_y
      - .offset:         160
        .size:           2
        .value_kind:     hidden_group_size_z
      - .offset:         162
        .size:           2
        .value_kind:     hidden_remainder_x
      - .offset:         164
        .size:           2
        .value_kind:     hidden_remainder_y
      - .offset:         166
        .size:           2
        .value_kind:     hidden_remainder_z
      - .offset:         184
        .size:           8
        .value_kind:     hidden_global_offset_x
      - .offset:         192
        .size:           8
        .value_kind:     hidden_global_offset_y
      - .offset:         200
        .size:           8
        .value_kind:     hidden_global_offset_z
      - .offset:         208
        .size:           2
        .value_kind:     hidden_grid_dims
    .group_segment_fixed_size: 0
    .kernarg_segment_align: 8
    .kernarg_segment_size: 400
    .language:       OpenCL C
    .language_version:
      - 2
      - 0
    .max_flat_workgroup_size: 1024
    .name:           _ZN5aiter35fused_qk_rmsnorm_group_quant_kernelItDB8_Li64ELi4ELi32ELb1ELb1ELb0ELb1ELb0ELb0EEEvPT0_PvPT_S6_S6_PKS5_S8_S8_S8_S8_ffiiiiiiiiiiiii
    .private_segment_fixed_size: 0
    .sgpr_count:     36
    .sgpr_spill_count: 0
    .symbol:         _ZN5aiter35fused_qk_rmsnorm_group_quant_kernelItDB8_Li64ELi4ELi32ELb1ELb1ELb0ELb1ELb0ELb0EEEvPT0_PvPT_S6_S6_PKS5_S8_S8_S8_S8_ffiiiiiiiiiiiii.kd
    .uniform_work_group_size: 1
    .uses_dynamic_stack: false
    .vgpr_count:     16
    .vgpr_spill_count: 0
    .wavefront_size: 64
  - .agpr_count:     0
    .args:
      - .actual_access:  read_only
        .address_space:  global
        .offset:         0
        .size:           8
        .value_kind:     global_buffer
      - .actual_access:  read_only
        .address_space:  global
        .offset:         8
        .size:           8
        .value_kind:     global_buffer
      - .actual_access:  write_only
        .address_space:  global
        .offset:         16
        .size:           8
        .value_kind:     global_buffer
      - .actual_access:  write_only
        .address_space:  global
        .offset:         24
        .size:           8
        .value_kind:     global_buffer
      - .actual_access:  read_only
        .address_space:  global
        .offset:         32
        .size:           8
        .value_kind:     global_buffer
      - .actual_access:  read_only
        .address_space:  global
        .offset:         40
        .size:           8
        .value_kind:     global_buffer
      - .actual_access:  read_only
        .address_space:  global
        .offset:         48
        .size:           8
        .value_kind:     global_buffer
      - .actual_access:  read_only
        .address_space:  global
        .offset:         56
        .size:           8
        .value_kind:     global_buffer
      - .actual_access:  read_only
        .address_space:  global
        .offset:         64
        .size:           8
        .value_kind:     global_buffer
      - .actual_access:  read_only
        .address_space:  global
        .offset:         72
        .size:           8
        .value_kind:     global_buffer
      - .offset:         80
        .size:           4
        .value_kind:     by_value
      - .offset:         84
        .size:           4
        .value_kind:     by_value
      - .offset:         88
        .size:           4
        .value_kind:     by_value
      - .offset:         92
        .size:           4
        .value_kind:     by_value
      - .offset:         96
        .size:           4
        .value_kind:     by_value
      - .offset:         100
        .size:           4
        .value_kind:     by_value
      - .offset:         104
        .size:           4
        .value_kind:     by_value
      - .offset:         108
        .size:           4
        .value_kind:     by_value
      - .offset:         112
        .size:           4
        .value_kind:     by_value
      - .offset:         116
        .size:           4
        .value_kind:     by_value
      - .offset:         120
        .size:           4
        .value_kind:     by_value
      - .offset:         124
        .size:           4
        .value_kind:     by_value
      - .offset:         128
        .size:           4
        .value_kind:     by_value
      - .offset:         132
        .size:           4
        .value_kind:     by_value
      - .offset:         136
        .size:           4
        .value_kind:     by_value
      - .offset:         144
        .size:           4
        .value_kind:     hidden_block_count_x
      - .offset:         148
        .size:           4
        .value_kind:     hidden_block_count_y
      - .offset:         152
        .size:           4
        .value_kind:     hidden_block_count_z
      - .offset:         156
        .size:           2
        .value_kind:     hidden_group_size_x
      - .offset:         158
        .size:           2
        .value_kind:     hidden_group_size_y
      - .offset:         160
        .size:           2
        .value_kind:     hidden_group_size_z
      - .offset:         162
        .size:           2
        .value_kind:     hidden_remainder_x
      - .offset:         164
        .size:           2
        .value_kind:     hidden_remainder_y
      - .offset:         166
        .size:           2
        .value_kind:     hidden_remainder_z
      - .offset:         184
        .size:           8
        .value_kind:     hidden_global_offset_x
      - .offset:         192
        .size:           8
        .value_kind:     hidden_global_offset_y
      - .offset:         200
        .size:           8
        .value_kind:     hidden_global_offset_z
      - .offset:         208
        .size:           2
        .value_kind:     hidden_grid_dims
    .group_segment_fixed_size: 0
    .kernarg_segment_align: 8
    .kernarg_segment_size: 400
    .language:       OpenCL C
    .language_version:
      - 2
      - 0
    .max_flat_workgroup_size: 1024
    .name:           _ZN5aiter35fused_qk_rmsnorm_group_quant_kernelIDF16_DB8_Li64ELi4ELi32ELb0ELb1ELb1ELb1ELb0ELb0EEEvPT0_PvPT_S6_S6_PKS5_S8_S8_S8_S8_ffiiiiiiiiiiiii
    .private_segment_fixed_size: 0
    .sgpr_count:     36
    .sgpr_spill_count: 0
    .symbol:         _ZN5aiter35fused_qk_rmsnorm_group_quant_kernelIDF16_DB8_Li64ELi4ELi32ELb0ELb1ELb1ELb1ELb0ELb0EEEvPT0_PvPT_S6_S6_PKS5_S8_S8_S8_S8_ffiiiiiiiiiiiii.kd
    .uniform_work_group_size: 1
    .uses_dynamic_stack: false
    .vgpr_count:     17
    .vgpr_spill_count: 0
    .wavefront_size: 64
  - .agpr_count:     0
    .args:
      - .actual_access:  read_only
        .address_space:  global
        .offset:         0
        .size:           8
        .value_kind:     global_buffer
      - .actual_access:  read_only
        .address_space:  global
        .offset:         8
        .size:           8
        .value_kind:     global_buffer
      - .actual_access:  write_only
        .address_space:  global
        .offset:         16
        .size:           8
        .value_kind:     global_buffer
      - .actual_access:  write_only
        .address_space:  global
        .offset:         24
        .size:           8
        .value_kind:     global_buffer
      - .actual_access:  read_only
        .address_space:  global
        .offset:         32
        .size:           8
        .value_kind:     global_buffer
      - .actual_access:  read_only
        .address_space:  global
        .offset:         40
        .size:           8
        .value_kind:     global_buffer
      - .actual_access:  read_only
        .address_space:  global
        .offset:         48
        .size:           8
        .value_kind:     global_buffer
      - .actual_access:  read_only
        .address_space:  global
        .offset:         56
        .size:           8
        .value_kind:     global_buffer
      - .actual_access:  read_only
        .address_space:  global
        .offset:         64
        .size:           8
        .value_kind:     global_buffer
      - .actual_access:  read_only
        .address_space:  global
        .offset:         72
        .size:           8
        .value_kind:     global_buffer
      - .offset:         80
        .size:           4
        .value_kind:     by_value
      - .offset:         84
        .size:           4
        .value_kind:     by_value
      - .offset:         88
        .size:           4
        .value_kind:     by_value
      - .offset:         92
        .size:           4
        .value_kind:     by_value
      - .offset:         96
        .size:           4
        .value_kind:     by_value
      - .offset:         100
        .size:           4
        .value_kind:     by_value
      - .offset:         104
        .size:           4
        .value_kind:     by_value
      - .offset:         108
        .size:           4
        .value_kind:     by_value
      - .offset:         112
        .size:           4
        .value_kind:     by_value
      - .offset:         116
        .size:           4
        .value_kind:     by_value
      - .offset:         120
        .size:           4
        .value_kind:     by_value
      - .offset:         124
        .size:           4
        .value_kind:     by_value
      - .offset:         128
        .size:           4
        .value_kind:     by_value
      - .offset:         132
        .size:           4
        .value_kind:     by_value
      - .offset:         136
        .size:           4
        .value_kind:     by_value
      - .offset:         144
        .size:           4
        .value_kind:     hidden_block_count_x
      - .offset:         148
        .size:           4
        .value_kind:     hidden_block_count_y
      - .offset:         152
        .size:           4
        .value_kind:     hidden_block_count_z
      - .offset:         156
        .size:           2
        .value_kind:     hidden_group_size_x
      - .offset:         158
        .size:           2
        .value_kind:     hidden_group_size_y
      - .offset:         160
        .size:           2
        .value_kind:     hidden_group_size_z
      - .offset:         162
        .size:           2
        .value_kind:     hidden_remainder_x
      - .offset:         164
        .size:           2
        .value_kind:     hidden_remainder_y
      - .offset:         166
        .size:           2
        .value_kind:     hidden_remainder_z
      - .offset:         184
        .size:           8
        .value_kind:     hidden_global_offset_x
      - .offset:         192
        .size:           8
        .value_kind:     hidden_global_offset_y
      - .offset:         200
        .size:           8
        .value_kind:     hidden_global_offset_z
      - .offset:         208
        .size:           2
        .value_kind:     hidden_grid_dims
    .group_segment_fixed_size: 0
    .kernarg_segment_align: 8
    .kernarg_segment_size: 400
    .language:       OpenCL C
    .language_version:
      - 2
      - 0
    .max_flat_workgroup_size: 1024
    .name:           _ZN5aiter35fused_qk_rmsnorm_group_quant_kernelItDB8_Li64ELi4ELi32ELb0ELb1ELb1ELb1ELb0ELb0EEEvPT0_PvPT_S6_S6_PKS5_S8_S8_S8_S8_ffiiiiiiiiiiiii
    .private_segment_fixed_size: 0
    .sgpr_count:     36
    .sgpr_spill_count: 0
    .symbol:         _ZN5aiter35fused_qk_rmsnorm_group_quant_kernelItDB8_Li64ELi4ELi32ELb0ELb1ELb1ELb1ELb0ELb0EEEvPT0_PvPT_S6_S6_PKS5_S8_S8_S8_S8_ffiiiiiiiiiiiii.kd
    .uniform_work_group_size: 1
    .uses_dynamic_stack: false
    .vgpr_count:     17
    .vgpr_spill_count: 0
    .wavefront_size: 64
  - .agpr_count:     0
    .args:
      - .actual_access:  read_only
        .address_space:  global
        .offset:         0
        .size:           8
        .value_kind:     global_buffer
      - .actual_access:  read_only
        .address_space:  global
        .offset:         8
        .size:           8
        .value_kind:     global_buffer
      - .actual_access:  write_only
        .address_space:  global
        .offset:         16
        .size:           8
        .value_kind:     global_buffer
      - .actual_access:  write_only
        .address_space:  global
        .offset:         24
        .size:           8
        .value_kind:     global_buffer
      - .actual_access:  read_only
        .address_space:  global
        .offset:         32
        .size:           8
        .value_kind:     global_buffer
      - .actual_access:  read_only
        .address_space:  global
        .offset:         40
        .size:           8
        .value_kind:     global_buffer
      - .actual_access:  read_only
        .address_space:  global
        .offset:         48
        .size:           8
        .value_kind:     global_buffer
      - .actual_access:  read_only
        .address_space:  global
        .offset:         56
        .size:           8
        .value_kind:     global_buffer
      - .actual_access:  read_only
        .address_space:  global
        .offset:         64
        .size:           8
        .value_kind:     global_buffer
      - .actual_access:  read_only
        .address_space:  global
        .offset:         72
        .size:           8
        .value_kind:     global_buffer
      - .offset:         80
        .size:           4
        .value_kind:     by_value
      - .offset:         84
        .size:           4
        .value_kind:     by_value
      - .offset:         88
        .size:           4
        .value_kind:     by_value
      - .offset:         92
        .size:           4
        .value_kind:     by_value
      - .offset:         96
        .size:           4
        .value_kind:     by_value
      - .offset:         100
        .size:           4
        .value_kind:     by_value
      - .offset:         104
        .size:           4
        .value_kind:     by_value
      - .offset:         108
        .size:           4
        .value_kind:     by_value
      - .offset:         112
        .size:           4
        .value_kind:     by_value
      - .offset:         116
        .size:           4
        .value_kind:     by_value
      - .offset:         120
        .size:           4
        .value_kind:     by_value
      - .offset:         124
        .size:           4
        .value_kind:     by_value
      - .offset:         128
        .size:           4
        .value_kind:     by_value
      - .offset:         132
        .size:           4
        .value_kind:     by_value
      - .offset:         136
        .size:           4
        .value_kind:     by_value
      - .offset:         144
        .size:           4
        .value_kind:     hidden_block_count_x
      - .offset:         148
        .size:           4
        .value_kind:     hidden_block_count_y
      - .offset:         152
        .size:           4
        .value_kind:     hidden_block_count_z
      - .offset:         156
        .size:           2
        .value_kind:     hidden_group_size_x
      - .offset:         158
        .size:           2
        .value_kind:     hidden_group_size_y
      - .offset:         160
        .size:           2
        .value_kind:     hidden_group_size_z
      - .offset:         162
        .size:           2
        .value_kind:     hidden_remainder_x
      - .offset:         164
        .size:           2
        .value_kind:     hidden_remainder_y
      - .offset:         166
        .size:           2
        .value_kind:     hidden_remainder_z
      - .offset:         184
        .size:           8
        .value_kind:     hidden_global_offset_x
      - .offset:         192
        .size:           8
        .value_kind:     hidden_global_offset_y
      - .offset:         200
        .size:           8
        .value_kind:     hidden_global_offset_z
      - .offset:         208
        .size:           2
        .value_kind:     hidden_grid_dims
    .group_segment_fixed_size: 0
    .kernarg_segment_align: 8
    .kernarg_segment_size: 400
    .language:       OpenCL C
    .language_version:
      - 2
      - 0
    .max_flat_workgroup_size: 1024
    .name:           _ZN5aiter35fused_qk_rmsnorm_group_quant_kernelIDF16_DB8_Li64ELi4ELi32ELb0ELb1ELb0ELb1ELb0ELb0EEEvPT0_PvPT_S6_S6_PKS5_S8_S8_S8_S8_ffiiiiiiiiiiiii
    .private_segment_fixed_size: 0
    .sgpr_count:     36
    .sgpr_spill_count: 0
    .symbol:         _ZN5aiter35fused_qk_rmsnorm_group_quant_kernelIDF16_DB8_Li64ELi4ELi32ELb0ELb1ELb0ELb1ELb0ELb0EEEvPT0_PvPT_S6_S6_PKS5_S8_S8_S8_S8_ffiiiiiiiiiiiii.kd
    .uniform_work_group_size: 1
    .uses_dynamic_stack: false
    .vgpr_count:     17
    .vgpr_spill_count: 0
    .wavefront_size: 64
  - .agpr_count:     0
    .args:
      - .actual_access:  read_only
        .address_space:  global
        .offset:         0
        .size:           8
        .value_kind:     global_buffer
      - .actual_access:  read_only
        .address_space:  global
        .offset:         8
        .size:           8
        .value_kind:     global_buffer
      - .actual_access:  write_only
        .address_space:  global
        .offset:         16
        .size:           8
        .value_kind:     global_buffer
      - .actual_access:  write_only
        .address_space:  global
        .offset:         24
        .size:           8
        .value_kind:     global_buffer
      - .actual_access:  read_only
        .address_space:  global
        .offset:         32
        .size:           8
        .value_kind:     global_buffer
      - .actual_access:  read_only
        .address_space:  global
        .offset:         40
        .size:           8
        .value_kind:     global_buffer
      - .actual_access:  read_only
        .address_space:  global
        .offset:         48
        .size:           8
        .value_kind:     global_buffer
      - .actual_access:  read_only
        .address_space:  global
        .offset:         56
        .size:           8
        .value_kind:     global_buffer
      - .actual_access:  read_only
        .address_space:  global
        .offset:         64
        .size:           8
        .value_kind:     global_buffer
      - .actual_access:  read_only
        .address_space:  global
        .offset:         72
        .size:           8
        .value_kind:     global_buffer
      - .offset:         80
        .size:           4
        .value_kind:     by_value
      - .offset:         84
        .size:           4
        .value_kind:     by_value
      - .offset:         88
        .size:           4
        .value_kind:     by_value
      - .offset:         92
        .size:           4
        .value_kind:     by_value
      - .offset:         96
        .size:           4
        .value_kind:     by_value
      - .offset:         100
        .size:           4
        .value_kind:     by_value
      - .offset:         104
        .size:           4
        .value_kind:     by_value
      - .offset:         108
        .size:           4
        .value_kind:     by_value
      - .offset:         112
        .size:           4
        .value_kind:     by_value
      - .offset:         116
        .size:           4
        .value_kind:     by_value
      - .offset:         120
        .size:           4
        .value_kind:     by_value
      - .offset:         124
        .size:           4
        .value_kind:     by_value
      - .offset:         128
        .size:           4
        .value_kind:     by_value
      - .offset:         132
        .size:           4
        .value_kind:     by_value
      - .offset:         136
        .size:           4
        .value_kind:     by_value
      - .offset:         144
        .size:           4
        .value_kind:     hidden_block_count_x
      - .offset:         148
        .size:           4
        .value_kind:     hidden_block_count_y
      - .offset:         152
        .size:           4
        .value_kind:     hidden_block_count_z
      - .offset:         156
        .size:           2
        .value_kind:     hidden_group_size_x
      - .offset:         158
        .size:           2
        .value_kind:     hidden_group_size_y
      - .offset:         160
        .size:           2
        .value_kind:     hidden_group_size_z
      - .offset:         162
        .size:           2
        .value_kind:     hidden_remainder_x
      - .offset:         164
        .size:           2
        .value_kind:     hidden_remainder_y
      - .offset:         166
        .size:           2
        .value_kind:     hidden_remainder_z
      - .offset:         184
        .size:           8
        .value_kind:     hidden_global_offset_x
      - .offset:         192
        .size:           8
        .value_kind:     hidden_global_offset_y
      - .offset:         200
        .size:           8
        .value_kind:     hidden_global_offset_z
      - .offset:         208
        .size:           2
        .value_kind:     hidden_grid_dims
    .group_segment_fixed_size: 0
    .kernarg_segment_align: 8
    .kernarg_segment_size: 400
    .language:       OpenCL C
    .language_version:
      - 2
      - 0
    .max_flat_workgroup_size: 1024
    .name:           _ZN5aiter35fused_qk_rmsnorm_group_quant_kernelItDB8_Li64ELi4ELi32ELb0ELb1ELb0ELb1ELb0ELb0EEEvPT0_PvPT_S6_S6_PKS5_S8_S8_S8_S8_ffiiiiiiiiiiiii
    .private_segment_fixed_size: 0
    .sgpr_count:     36
    .sgpr_spill_count: 0
    .symbol:         _ZN5aiter35fused_qk_rmsnorm_group_quant_kernelItDB8_Li64ELi4ELi32ELb0ELb1ELb0ELb1ELb0ELb0EEEvPT0_PvPT_S6_S6_PKS5_S8_S8_S8_S8_ffiiiiiiiiiiiii.kd
    .uniform_work_group_size: 1
    .uses_dynamic_stack: false
    .vgpr_count:     17
    .vgpr_spill_count: 0
    .wavefront_size: 64
  - .agpr_count:     0
    .args:
      - .actual_access:  write_only
        .address_space:  global
        .offset:         0
        .size:           8
        .value_kind:     global_buffer
      - .actual_access:  write_only
        .address_space:  global
        .offset:         8
        .size:           8
        .value_kind:     global_buffer
      - .actual_access:  write_only
        .address_space:  global
        .offset:         16
        .size:           8
        .value_kind:     global_buffer
      - .actual_access:  write_only
        .address_space:  global
        .offset:         24
        .size:           8
        .value_kind:     global_buffer
      - .actual_access:  write_only
        .address_space:  global
        .offset:         32
        .size:           8
        .value_kind:     global_buffer
      - .actual_access:  read_only
        .address_space:  global
        .offset:         40
        .size:           8
        .value_kind:     global_buffer
      - .actual_access:  read_only
        .address_space:  global
        .offset:         48
        .size:           8
        .value_kind:     global_buffer
      - .actual_access:  read_only
        .address_space:  global
        .offset:         56
        .size:           8
        .value_kind:     global_buffer
      - .actual_access:  read_only
        .address_space:  global
        .offset:         64
        .size:           8
        .value_kind:     global_buffer
      - .actual_access:  read_only
        .address_space:  global
        .offset:         72
        .size:           8
        .value_kind:     global_buffer
      - .offset:         80
        .size:           4
        .value_kind:     by_value
      - .offset:         84
        .size:           4
        .value_kind:     by_value
      - .offset:         88
        .size:           4
        .value_kind:     by_value
      - .offset:         92
        .size:           4
        .value_kind:     by_value
      - .offset:         96
        .size:           4
        .value_kind:     by_value
      - .offset:         100
        .size:           4
        .value_kind:     by_value
      - .offset:         104
        .size:           4
        .value_kind:     by_value
      - .offset:         108
        .size:           4
        .value_kind:     by_value
      - .offset:         112
        .size:           4
        .value_kind:     by_value
      - .offset:         116
        .size:           4
        .value_kind:     by_value
      - .offset:         120
        .size:           4
        .value_kind:     by_value
      - .offset:         124
        .size:           4
        .value_kind:     by_value
      - .offset:         128
        .size:           4
        .value_kind:     by_value
      - .offset:         132
        .size:           4
        .value_kind:     by_value
      - .offset:         136
        .size:           4
        .value_kind:     by_value
      - .offset:         144
        .size:           4
        .value_kind:     hidden_block_count_x
      - .offset:         148
        .size:           4
        .value_kind:     hidden_block_count_y
      - .offset:         152
        .size:           4
        .value_kind:     hidden_block_count_z
      - .offset:         156
        .size:           2
        .value_kind:     hidden_group_size_x
      - .offset:         158
        .size:           2
        .value_kind:     hidden_group_size_y
      - .offset:         160
        .size:           2
        .value_kind:     hidden_group_size_z
      - .offset:         162
        .size:           2
        .value_kind:     hidden_remainder_x
      - .offset:         164
        .size:           2
        .value_kind:     hidden_remainder_y
      - .offset:         166
        .size:           2
        .value_kind:     hidden_remainder_z
      - .offset:         184
        .size:           8
        .value_kind:     hidden_global_offset_x
      - .offset:         192
        .size:           8
        .value_kind:     hidden_global_offset_y
      - .offset:         200
        .size:           8
        .value_kind:     hidden_global_offset_z
      - .offset:         208
        .size:           2
        .value_kind:     hidden_grid_dims
    .group_segment_fixed_size: 0
    .kernarg_segment_align: 8
    .kernarg_segment_size: 400
    .language:       OpenCL C
    .language_version:
      - 2
      - 0
    .max_flat_workgroup_size: 1024
    .name:           _ZN5aiter35fused_qk_rmsnorm_group_quant_kernelIDF16_DB8_Li64ELi4ELi32ELb1ELb1ELb1ELb0ELb0ELb0EEEvPT0_PvPT_S6_S6_PKS5_S8_S8_S8_S8_ffiiiiiiiiiiiii
    .private_segment_fixed_size: 0
    .sgpr_count:     44
    .sgpr_spill_count: 0
    .symbol:         _ZN5aiter35fused_qk_rmsnorm_group_quant_kernelIDF16_DB8_Li64ELi4ELi32ELb1ELb1ELb1ELb0ELb0ELb0EEEvPT0_PvPT_S6_S6_PKS5_S8_S8_S8_S8_ffiiiiiiiiiiiii.kd
    .uniform_work_group_size: 1
    .uses_dynamic_stack: false
    .vgpr_count:     18
    .vgpr_spill_count: 0
    .wavefront_size: 64
  - .agpr_count:     0
    .args:
      - .actual_access:  write_only
        .address_space:  global
        .offset:         0
        .size:           8
        .value_kind:     global_buffer
      - .actual_access:  write_only
        .address_space:  global
        .offset:         8
        .size:           8
        .value_kind:     global_buffer
      - .actual_access:  write_only
        .address_space:  global
        .offset:         16
        .size:           8
        .value_kind:     global_buffer
      - .actual_access:  write_only
        .address_space:  global
        .offset:         24
        .size:           8
        .value_kind:     global_buffer
      - .actual_access:  write_only
        .address_space:  global
        .offset:         32
        .size:           8
        .value_kind:     global_buffer
      - .actual_access:  read_only
        .address_space:  global
        .offset:         40
        .size:           8
        .value_kind:     global_buffer
      - .actual_access:  read_only
        .address_space:  global
        .offset:         48
        .size:           8
        .value_kind:     global_buffer
      - .actual_access:  read_only
        .address_space:  global
        .offset:         56
        .size:           8
        .value_kind:     global_buffer
      - .actual_access:  read_only
        .address_space:  global
        .offset:         64
        .size:           8
        .value_kind:     global_buffer
      - .actual_access:  read_only
        .address_space:  global
        .offset:         72
        .size:           8
        .value_kind:     global_buffer
      - .offset:         80
        .size:           4
        .value_kind:     by_value
      - .offset:         84
        .size:           4
        .value_kind:     by_value
      - .offset:         88
        .size:           4
        .value_kind:     by_value
      - .offset:         92
        .size:           4
        .value_kind:     by_value
      - .offset:         96
        .size:           4
        .value_kind:     by_value
      - .offset:         100
        .size:           4
        .value_kind:     by_value
      - .offset:         104
        .size:           4
        .value_kind:     by_value
      - .offset:         108
        .size:           4
        .value_kind:     by_value
      - .offset:         112
        .size:           4
        .value_kind:     by_value
      - .offset:         116
        .size:           4
        .value_kind:     by_value
      - .offset:         120
        .size:           4
        .value_kind:     by_value
      - .offset:         124
        .size:           4
        .value_kind:     by_value
      - .offset:         128
        .size:           4
        .value_kind:     by_value
      - .offset:         132
        .size:           4
        .value_kind:     by_value
      - .offset:         136
        .size:           4
        .value_kind:     by_value
      - .offset:         144
        .size:           4
        .value_kind:     hidden_block_count_x
      - .offset:         148
        .size:           4
        .value_kind:     hidden_block_count_y
      - .offset:         152
        .size:           4
        .value_kind:     hidden_block_count_z
      - .offset:         156
        .size:           2
        .value_kind:     hidden_group_size_x
      - .offset:         158
        .size:           2
        .value_kind:     hidden_group_size_y
      - .offset:         160
        .size:           2
        .value_kind:     hidden_group_size_z
      - .offset:         162
        .size:           2
        .value_kind:     hidden_remainder_x
      - .offset:         164
        .size:           2
        .value_kind:     hidden_remainder_y
      - .offset:         166
        .size:           2
        .value_kind:     hidden_remainder_z
      - .offset:         184
        .size:           8
        .value_kind:     hidden_global_offset_x
      - .offset:         192
        .size:           8
        .value_kind:     hidden_global_offset_y
      - .offset:         200
        .size:           8
        .value_kind:     hidden_global_offset_z
      - .offset:         208
        .size:           2
        .value_kind:     hidden_grid_dims
    .group_segment_fixed_size: 0
    .kernarg_segment_align: 8
    .kernarg_segment_size: 400
    .language:       OpenCL C
    .language_version:
      - 2
      - 0
    .max_flat_workgroup_size: 1024
    .name:           _ZN5aiter35fused_qk_rmsnorm_group_quant_kernelItDB8_Li64ELi4ELi32ELb1ELb1ELb1ELb0ELb0ELb0EEEvPT0_PvPT_S6_S6_PKS5_S8_S8_S8_S8_ffiiiiiiiiiiiii
    .private_segment_fixed_size: 0
    .sgpr_count:     44
    .sgpr_spill_count: 0
    .symbol:         _ZN5aiter35fused_qk_rmsnorm_group_quant_kernelItDB8_Li64ELi4ELi32ELb1ELb1ELb1ELb0ELb0ELb0EEEvPT0_PvPT_S6_S6_PKS5_S8_S8_S8_S8_ffiiiiiiiiiiiii.kd
    .uniform_work_group_size: 1
    .uses_dynamic_stack: false
    .vgpr_count:     17
    .vgpr_spill_count: 0
    .wavefront_size: 64
  - .agpr_count:     0
    .args:
      - .actual_access:  write_only
        .address_space:  global
        .offset:         0
        .size:           8
        .value_kind:     global_buffer
      - .actual_access:  write_only
        .address_space:  global
        .offset:         8
        .size:           8
        .value_kind:     global_buffer
      - .actual_access:  write_only
        .address_space:  global
        .offset:         16
        .size:           8
        .value_kind:     global_buffer
      - .actual_access:  write_only
        .address_space:  global
        .offset:         24
        .size:           8
        .value_kind:     global_buffer
      - .actual_access:  write_only
        .address_space:  global
        .offset:         32
        .size:           8
        .value_kind:     global_buffer
      - .actual_access:  read_only
        .address_space:  global
        .offset:         40
        .size:           8
        .value_kind:     global_buffer
      - .actual_access:  read_only
        .address_space:  global
        .offset:         48
        .size:           8
        .value_kind:     global_buffer
      - .actual_access:  read_only
        .address_space:  global
        .offset:         56
        .size:           8
        .value_kind:     global_buffer
      - .actual_access:  read_only
        .address_space:  global
        .offset:         64
        .size:           8
        .value_kind:     global_buffer
      - .actual_access:  read_only
        .address_space:  global
        .offset:         72
        .size:           8
        .value_kind:     global_buffer
      - .offset:         80
        .size:           4
        .value_kind:     by_value
      - .offset:         84
        .size:           4
        .value_kind:     by_value
      - .offset:         88
        .size:           4
        .value_kind:     by_value
      - .offset:         92
        .size:           4
        .value_kind:     by_value
      - .offset:         96
        .size:           4
        .value_kind:     by_value
      - .offset:         100
        .size:           4
        .value_kind:     by_value
      - .offset:         104
        .size:           4
        .value_kind:     by_value
      - .offset:         108
        .size:           4
        .value_kind:     by_value
      - .offset:         112
        .size:           4
        .value_kind:     by_value
      - .offset:         116
        .size:           4
        .value_kind:     by_value
      - .offset:         120
        .size:           4
        .value_kind:     by_value
      - .offset:         124
        .size:           4
        .value_kind:     by_value
      - .offset:         128
        .size:           4
        .value_kind:     by_value
      - .offset:         132
        .size:           4
        .value_kind:     by_value
      - .offset:         136
        .size:           4
        .value_kind:     by_value
      - .offset:         144
        .size:           4
        .value_kind:     hidden_block_count_x
      - .offset:         148
        .size:           4
        .value_kind:     hidden_block_count_y
      - .offset:         152
        .size:           4
        .value_kind:     hidden_block_count_z
      - .offset:         156
        .size:           2
        .value_kind:     hidden_group_size_x
      - .offset:         158
        .size:           2
        .value_kind:     hidden_group_size_y
      - .offset:         160
        .size:           2
        .value_kind:     hidden_group_size_z
      - .offset:         162
        .size:           2
        .value_kind:     hidden_remainder_x
      - .offset:         164
        .size:           2
        .value_kind:     hidden_remainder_y
      - .offset:         166
        .size:           2
        .value_kind:     hidden_remainder_z
      - .offset:         184
        .size:           8
        .value_kind:     hidden_global_offset_x
      - .offset:         192
        .size:           8
        .value_kind:     hidden_global_offset_y
      - .offset:         200
        .size:           8
        .value_kind:     hidden_global_offset_z
      - .offset:         208
        .size:           2
        .value_kind:     hidden_grid_dims
    .group_segment_fixed_size: 0
    .kernarg_segment_align: 8
    .kernarg_segment_size: 400
    .language:       OpenCL C
    .language_version:
      - 2
      - 0
    .max_flat_workgroup_size: 1024
    .name:           _ZN5aiter35fused_qk_rmsnorm_group_quant_kernelIDF16_DB8_Li64ELi4ELi32ELb1ELb1ELb0ELb0ELb0ELb0EEEvPT0_PvPT_S6_S6_PKS5_S8_S8_S8_S8_ffiiiiiiiiiiiii
    .private_segment_fixed_size: 0
    .sgpr_count:     44
    .sgpr_spill_count: 0
    .symbol:         _ZN5aiter35fused_qk_rmsnorm_group_quant_kernelIDF16_DB8_Li64ELi4ELi32ELb1ELb1ELb0ELb0ELb0ELb0EEEvPT0_PvPT_S6_S6_PKS5_S8_S8_S8_S8_ffiiiiiiiiiiiii.kd
    .uniform_work_group_size: 1
    .uses_dynamic_stack: false
    .vgpr_count:     18
    .vgpr_spill_count: 0
    .wavefront_size: 64
  - .agpr_count:     0
    .args:
      - .actual_access:  write_only
        .address_space:  global
        .offset:         0
        .size:           8
        .value_kind:     global_buffer
      - .actual_access:  write_only
        .address_space:  global
        .offset:         8
        .size:           8
        .value_kind:     global_buffer
      - .actual_access:  write_only
        .address_space:  global
        .offset:         16
        .size:           8
        .value_kind:     global_buffer
      - .actual_access:  write_only
        .address_space:  global
        .offset:         24
        .size:           8
        .value_kind:     global_buffer
      - .actual_access:  write_only
        .address_space:  global
        .offset:         32
        .size:           8
        .value_kind:     global_buffer
      - .actual_access:  read_only
        .address_space:  global
        .offset:         40
        .size:           8
        .value_kind:     global_buffer
      - .actual_access:  read_only
        .address_space:  global
        .offset:         48
        .size:           8
        .value_kind:     global_buffer
      - .actual_access:  read_only
        .address_space:  global
        .offset:         56
        .size:           8
        .value_kind:     global_buffer
      - .actual_access:  read_only
        .address_space:  global
        .offset:         64
        .size:           8
        .value_kind:     global_buffer
      - .actual_access:  read_only
        .address_space:  global
        .offset:         72
        .size:           8
        .value_kind:     global_buffer
      - .offset:         80
        .size:           4
        .value_kind:     by_value
      - .offset:         84
        .size:           4
        .value_kind:     by_value
      - .offset:         88
        .size:           4
        .value_kind:     by_value
      - .offset:         92
        .size:           4
        .value_kind:     by_value
      - .offset:         96
        .size:           4
        .value_kind:     by_value
      - .offset:         100
        .size:           4
        .value_kind:     by_value
      - .offset:         104
        .size:           4
        .value_kind:     by_value
      - .offset:         108
        .size:           4
        .value_kind:     by_value
      - .offset:         112
        .size:           4
        .value_kind:     by_value
      - .offset:         116
        .size:           4
        .value_kind:     by_value
      - .offset:         120
        .size:           4
        .value_kind:     by_value
      - .offset:         124
        .size:           4
        .value_kind:     by_value
      - .offset:         128
        .size:           4
        .value_kind:     by_value
      - .offset:         132
        .size:           4
        .value_kind:     by_value
      - .offset:         136
        .size:           4
        .value_kind:     by_value
      - .offset:         144
        .size:           4
        .value_kind:     hidden_block_count_x
      - .offset:         148
        .size:           4
        .value_kind:     hidden_block_count_y
      - .offset:         152
        .size:           4
        .value_kind:     hidden_block_count_z
      - .offset:         156
        .size:           2
        .value_kind:     hidden_group_size_x
      - .offset:         158
        .size:           2
        .value_kind:     hidden_group_size_y
      - .offset:         160
        .size:           2
        .value_kind:     hidden_group_size_z
      - .offset:         162
        .size:           2
        .value_kind:     hidden_remainder_x
      - .offset:         164
        .size:           2
        .value_kind:     hidden_remainder_y
      - .offset:         166
        .size:           2
        .value_kind:     hidden_remainder_z
      - .offset:         184
        .size:           8
        .value_kind:     hidden_global_offset_x
      - .offset:         192
        .size:           8
        .value_kind:     hidden_global_offset_y
      - .offset:         200
        .size:           8
        .value_kind:     hidden_global_offset_z
      - .offset:         208
        .size:           2
        .value_kind:     hidden_grid_dims
    .group_segment_fixed_size: 0
    .kernarg_segment_align: 8
    .kernarg_segment_size: 400
    .language:       OpenCL C
    .language_version:
      - 2
      - 0
    .max_flat_workgroup_size: 1024
    .name:           _ZN5aiter35fused_qk_rmsnorm_group_quant_kernelItDB8_Li64ELi4ELi32ELb1ELb1ELb0ELb0ELb0ELb0EEEvPT0_PvPT_S6_S6_PKS5_S8_S8_S8_S8_ffiiiiiiiiiiiii
    .private_segment_fixed_size: 0
    .sgpr_count:     44
    .sgpr_spill_count: 0
    .symbol:         _ZN5aiter35fused_qk_rmsnorm_group_quant_kernelItDB8_Li64ELi4ELi32ELb1ELb1ELb0ELb0ELb0ELb0EEEvPT0_PvPT_S6_S6_PKS5_S8_S8_S8_S8_ffiiiiiiiiiiiii.kd
    .uniform_work_group_size: 1
    .uses_dynamic_stack: false
    .vgpr_count:     17
    .vgpr_spill_count: 0
    .wavefront_size: 64
  - .agpr_count:     0
    .args:
      - .actual_access:  write_only
        .address_space:  global
        .offset:         0
        .size:           8
        .value_kind:     global_buffer
      - .actual_access:  write_only
        .address_space:  global
        .offset:         8
        .size:           8
        .value_kind:     global_buffer
      - .actual_access:  read_only
        .address_space:  global
        .offset:         16
        .size:           8
        .value_kind:     global_buffer
      - .actual_access:  write_only
        .address_space:  global
        .offset:         24
        .size:           8
        .value_kind:     global_buffer
      - .actual_access:  write_only
        .address_space:  global
        .offset:         32
        .size:           8
        .value_kind:     global_buffer
      - .actual_access:  read_only
        .address_space:  global
        .offset:         40
        .size:           8
        .value_kind:     global_buffer
      - .actual_access:  read_only
        .address_space:  global
        .offset:         48
        .size:           8
        .value_kind:     global_buffer
      - .actual_access:  read_only
        .address_space:  global
        .offset:         56
        .size:           8
        .value_kind:     global_buffer
      - .actual_access:  read_only
        .address_space:  global
        .offset:         64
        .size:           8
        .value_kind:     global_buffer
      - .actual_access:  read_only
        .address_space:  global
        .offset:         72
        .size:           8
        .value_kind:     global_buffer
      - .offset:         80
        .size:           4
        .value_kind:     by_value
      - .offset:         84
        .size:           4
        .value_kind:     by_value
      - .offset:         88
        .size:           4
        .value_kind:     by_value
      - .offset:         92
        .size:           4
        .value_kind:     by_value
      - .offset:         96
        .size:           4
        .value_kind:     by_value
      - .offset:         100
        .size:           4
        .value_kind:     by_value
      - .offset:         104
        .size:           4
        .value_kind:     by_value
      - .offset:         108
        .size:           4
        .value_kind:     by_value
      - .offset:         112
        .size:           4
        .value_kind:     by_value
      - .offset:         116
        .size:           4
        .value_kind:     by_value
      - .offset:         120
        .size:           4
        .value_kind:     by_value
      - .offset:         124
        .size:           4
        .value_kind:     by_value
      - .offset:         128
        .size:           4
        .value_kind:     by_value
      - .offset:         132
        .size:           4
        .value_kind:     by_value
      - .offset:         136
        .size:           4
        .value_kind:     by_value
      - .offset:         144
        .size:           4
        .value_kind:     hidden_block_count_x
      - .offset:         148
        .size:           4
        .value_kind:     hidden_block_count_y
      - .offset:         152
        .size:           4
        .value_kind:     hidden_block_count_z
      - .offset:         156
        .size:           2
        .value_kind:     hidden_group_size_x
      - .offset:         158
        .size:           2
        .value_kind:     hidden_group_size_y
      - .offset:         160
        .size:           2
        .value_kind:     hidden_group_size_z
      - .offset:         162
        .size:           2
        .value_kind:     hidden_remainder_x
      - .offset:         164
        .size:           2
        .value_kind:     hidden_remainder_y
      - .offset:         166
        .size:           2
        .value_kind:     hidden_remainder_z
      - .offset:         184
        .size:           8
        .value_kind:     hidden_global_offset_x
      - .offset:         192
        .size:           8
        .value_kind:     hidden_global_offset_y
      - .offset:         200
        .size:           8
        .value_kind:     hidden_global_offset_z
      - .offset:         208
        .size:           2
        .value_kind:     hidden_grid_dims
    .group_segment_fixed_size: 0
    .kernarg_segment_align: 8
    .kernarg_segment_size: 400
    .language:       OpenCL C
    .language_version:
      - 2
      - 0
    .max_flat_workgroup_size: 1024
    .name:           _ZN5aiter35fused_qk_rmsnorm_group_quant_kernelIDF16_DB8_Li64ELi4ELi32ELb1ELb0ELb1ELb0ELb0ELb0EEEvPT0_PvPT_S6_S6_PKS5_S8_S8_S8_S8_ffiiiiiiiiiiiii
    .private_segment_fixed_size: 0
    .sgpr_count:     44
    .sgpr_spill_count: 0
    .symbol:         _ZN5aiter35fused_qk_rmsnorm_group_quant_kernelIDF16_DB8_Li64ELi4ELi32ELb1ELb0ELb1ELb0ELb0ELb0EEEvPT0_PvPT_S6_S6_PKS5_S8_S8_S8_S8_ffiiiiiiiiiiiii.kd
    .uniform_work_group_size: 1
    .uses_dynamic_stack: false
    .vgpr_count:     18
    .vgpr_spill_count: 0
    .wavefront_size: 64
  - .agpr_count:     0
    .args:
      - .actual_access:  write_only
        .address_space:  global
        .offset:         0
        .size:           8
        .value_kind:     global_buffer
      - .actual_access:  write_only
        .address_space:  global
        .offset:         8
        .size:           8
        .value_kind:     global_buffer
      - .actual_access:  read_only
        .address_space:  global
        .offset:         16
        .size:           8
        .value_kind:     global_buffer
      - .actual_access:  write_only
        .address_space:  global
        .offset:         24
        .size:           8
        .value_kind:     global_buffer
      - .actual_access:  write_only
        .address_space:  global
        .offset:         32
        .size:           8
        .value_kind:     global_buffer
      - .actual_access:  read_only
        .address_space:  global
        .offset:         40
        .size:           8
        .value_kind:     global_buffer
      - .actual_access:  read_only
        .address_space:  global
        .offset:         48
        .size:           8
        .value_kind:     global_buffer
      - .actual_access:  read_only
        .address_space:  global
        .offset:         56
        .size:           8
        .value_kind:     global_buffer
      - .actual_access:  read_only
        .address_space:  global
        .offset:         64
        .size:           8
        .value_kind:     global_buffer
      - .actual_access:  read_only
        .address_space:  global
        .offset:         72
        .size:           8
        .value_kind:     global_buffer
      - .offset:         80
        .size:           4
        .value_kind:     by_value
      - .offset:         84
        .size:           4
        .value_kind:     by_value
      - .offset:         88
        .size:           4
        .value_kind:     by_value
      - .offset:         92
        .size:           4
        .value_kind:     by_value
      - .offset:         96
        .size:           4
        .value_kind:     by_value
      - .offset:         100
        .size:           4
        .value_kind:     by_value
      - .offset:         104
        .size:           4
        .value_kind:     by_value
      - .offset:         108
        .size:           4
        .value_kind:     by_value
      - .offset:         112
        .size:           4
        .value_kind:     by_value
      - .offset:         116
        .size:           4
        .value_kind:     by_value
      - .offset:         120
        .size:           4
        .value_kind:     by_value
      - .offset:         124
        .size:           4
        .value_kind:     by_value
      - .offset:         128
        .size:           4
        .value_kind:     by_value
      - .offset:         132
        .size:           4
        .value_kind:     by_value
      - .offset:         136
        .size:           4
        .value_kind:     by_value
      - .offset:         144
        .size:           4
        .value_kind:     hidden_block_count_x
      - .offset:         148
        .size:           4
        .value_kind:     hidden_block_count_y
      - .offset:         152
        .size:           4
        .value_kind:     hidden_block_count_z
      - .offset:         156
        .size:           2
        .value_kind:     hidden_group_size_x
      - .offset:         158
        .size:           2
        .value_kind:     hidden_group_size_y
      - .offset:         160
        .size:           2
        .value_kind:     hidden_group_size_z
      - .offset:         162
        .size:           2
        .value_kind:     hidden_remainder_x
      - .offset:         164
        .size:           2
        .value_kind:     hidden_remainder_y
      - .offset:         166
        .size:           2
        .value_kind:     hidden_remainder_z
      - .offset:         184
        .size:           8
        .value_kind:     hidden_global_offset_x
      - .offset:         192
        .size:           8
        .value_kind:     hidden_global_offset_y
      - .offset:         200
        .size:           8
        .value_kind:     hidden_global_offset_z
      - .offset:         208
        .size:           2
        .value_kind:     hidden_grid_dims
    .group_segment_fixed_size: 0
    .kernarg_segment_align: 8
    .kernarg_segment_size: 400
    .language:       OpenCL C
    .language_version:
      - 2
      - 0
    .max_flat_workgroup_size: 1024
    .name:           _ZN5aiter35fused_qk_rmsnorm_group_quant_kernelItDB8_Li64ELi4ELi32ELb1ELb0ELb1ELb0ELb0ELb0EEEvPT0_PvPT_S6_S6_PKS5_S8_S8_S8_S8_ffiiiiiiiiiiiii
    .private_segment_fixed_size: 0
    .sgpr_count:     44
    .sgpr_spill_count: 0
    .symbol:         _ZN5aiter35fused_qk_rmsnorm_group_quant_kernelItDB8_Li64ELi4ELi32ELb1ELb0ELb1ELb0ELb0ELb0EEEvPT0_PvPT_S6_S6_PKS5_S8_S8_S8_S8_ffiiiiiiiiiiiii.kd
    .uniform_work_group_size: 1
    .uses_dynamic_stack: false
    .vgpr_count:     17
    .vgpr_spill_count: 0
    .wavefront_size: 64
  - .agpr_count:     0
    .args:
      - .actual_access:  write_only
        .address_space:  global
        .offset:         0
        .size:           8
        .value_kind:     global_buffer
      - .actual_access:  write_only
        .address_space:  global
        .offset:         8
        .size:           8
        .value_kind:     global_buffer
      - .actual_access:  read_only
        .address_space:  global
        .offset:         16
        .size:           8
        .value_kind:     global_buffer
      - .actual_access:  write_only
        .address_space:  global
        .offset:         24
        .size:           8
        .value_kind:     global_buffer
      - .actual_access:  write_only
        .address_space:  global
        .offset:         32
        .size:           8
        .value_kind:     global_buffer
      - .actual_access:  read_only
        .address_space:  global
        .offset:         40
        .size:           8
        .value_kind:     global_buffer
      - .actual_access:  read_only
        .address_space:  global
        .offset:         48
        .size:           8
        .value_kind:     global_buffer
      - .actual_access:  read_only
        .address_space:  global
        .offset:         56
        .size:           8
        .value_kind:     global_buffer
      - .actual_access:  read_only
        .address_space:  global
        .offset:         64
        .size:           8
        .value_kind:     global_buffer
      - .actual_access:  read_only
        .address_space:  global
        .offset:         72
        .size:           8
        .value_kind:     global_buffer
      - .offset:         80
        .size:           4
        .value_kind:     by_value
      - .offset:         84
        .size:           4
        .value_kind:     by_value
      - .offset:         88
        .size:           4
        .value_kind:     by_value
      - .offset:         92
        .size:           4
        .value_kind:     by_value
      - .offset:         96
        .size:           4
        .value_kind:     by_value
      - .offset:         100
        .size:           4
        .value_kind:     by_value
      - .offset:         104
        .size:           4
        .value_kind:     by_value
      - .offset:         108
        .size:           4
        .value_kind:     by_value
      - .offset:         112
        .size:           4
        .value_kind:     by_value
      - .offset:         116
        .size:           4
        .value_kind:     by_value
      - .offset:         120
        .size:           4
        .value_kind:     by_value
      - .offset:         124
        .size:           4
        .value_kind:     by_value
      - .offset:         128
        .size:           4
        .value_kind:     by_value
      - .offset:         132
        .size:           4
        .value_kind:     by_value
      - .offset:         136
        .size:           4
        .value_kind:     by_value
      - .offset:         144
        .size:           4
        .value_kind:     hidden_block_count_x
      - .offset:         148
        .size:           4
        .value_kind:     hidden_block_count_y
      - .offset:         152
        .size:           4
        .value_kind:     hidden_block_count_z
      - .offset:         156
        .size:           2
        .value_kind:     hidden_group_size_x
      - .offset:         158
        .size:           2
        .value_kind:     hidden_group_size_y
      - .offset:         160
        .size:           2
        .value_kind:     hidden_group_size_z
      - .offset:         162
        .size:           2
        .value_kind:     hidden_remainder_x
      - .offset:         164
        .size:           2
        .value_kind:     hidden_remainder_y
      - .offset:         166
        .size:           2
        .value_kind:     hidden_remainder_z
      - .offset:         184
        .size:           8
        .value_kind:     hidden_global_offset_x
      - .offset:         192
        .size:           8
        .value_kind:     hidden_global_offset_y
      - .offset:         200
        .size:           8
        .value_kind:     hidden_global_offset_z
      - .offset:         208
        .size:           2
        .value_kind:     hidden_grid_dims
    .group_segment_fixed_size: 0
    .kernarg_segment_align: 8
    .kernarg_segment_size: 400
    .language:       OpenCL C
    .language_version:
      - 2
      - 0
    .max_flat_workgroup_size: 1024
    .name:           _ZN5aiter35fused_qk_rmsnorm_group_quant_kernelIDF16_DB8_Li64ELi4ELi32ELb1ELb0ELb0ELb0ELb0ELb0EEEvPT0_PvPT_S6_S6_PKS5_S8_S8_S8_S8_ffiiiiiiiiiiiii
    .private_segment_fixed_size: 0
    .sgpr_count:     44
    .sgpr_spill_count: 0
    .symbol:         _ZN5aiter35fused_qk_rmsnorm_group_quant_kernelIDF16_DB8_Li64ELi4ELi32ELb1ELb0ELb0ELb0ELb0ELb0EEEvPT0_PvPT_S6_S6_PKS5_S8_S8_S8_S8_ffiiiiiiiiiiiii.kd
    .uniform_work_group_size: 1
    .uses_dynamic_stack: false
    .vgpr_count:     18
    .vgpr_spill_count: 0
    .wavefront_size: 64
  - .agpr_count:     0
    .args:
      - .actual_access:  write_only
        .address_space:  global
        .offset:         0
        .size:           8
        .value_kind:     global_buffer
      - .actual_access:  write_only
        .address_space:  global
        .offset:         8
        .size:           8
        .value_kind:     global_buffer
      - .actual_access:  read_only
        .address_space:  global
        .offset:         16
        .size:           8
        .value_kind:     global_buffer
      - .actual_access:  write_only
        .address_space:  global
        .offset:         24
        .size:           8
        .value_kind:     global_buffer
      - .actual_access:  write_only
        .address_space:  global
        .offset:         32
        .size:           8
        .value_kind:     global_buffer
      - .actual_access:  read_only
        .address_space:  global
        .offset:         40
        .size:           8
        .value_kind:     global_buffer
      - .actual_access:  read_only
        .address_space:  global
        .offset:         48
        .size:           8
        .value_kind:     global_buffer
      - .actual_access:  read_only
        .address_space:  global
        .offset:         56
        .size:           8
        .value_kind:     global_buffer
      - .actual_access:  read_only
        .address_space:  global
        .offset:         64
        .size:           8
        .value_kind:     global_buffer
      - .actual_access:  read_only
        .address_space:  global
        .offset:         72
        .size:           8
        .value_kind:     global_buffer
      - .offset:         80
        .size:           4
        .value_kind:     by_value
      - .offset:         84
        .size:           4
        .value_kind:     by_value
      - .offset:         88
        .size:           4
        .value_kind:     by_value
      - .offset:         92
        .size:           4
        .value_kind:     by_value
      - .offset:         96
        .size:           4
        .value_kind:     by_value
      - .offset:         100
        .size:           4
        .value_kind:     by_value
      - .offset:         104
        .size:           4
        .value_kind:     by_value
      - .offset:         108
        .size:           4
        .value_kind:     by_value
      - .offset:         112
        .size:           4
        .value_kind:     by_value
      - .offset:         116
        .size:           4
        .value_kind:     by_value
      - .offset:         120
        .size:           4
        .value_kind:     by_value
      - .offset:         124
        .size:           4
        .value_kind:     by_value
      - .offset:         128
        .size:           4
        .value_kind:     by_value
      - .offset:         132
        .size:           4
        .value_kind:     by_value
      - .offset:         136
        .size:           4
        .value_kind:     by_value
      - .offset:         144
        .size:           4
        .value_kind:     hidden_block_count_x
      - .offset:         148
        .size:           4
        .value_kind:     hidden_block_count_y
      - .offset:         152
        .size:           4
        .value_kind:     hidden_block_count_z
      - .offset:         156
        .size:           2
        .value_kind:     hidden_group_size_x
      - .offset:         158
        .size:           2
        .value_kind:     hidden_group_size_y
      - .offset:         160
        .size:           2
        .value_kind:     hidden_group_size_z
      - .offset:         162
        .size:           2
        .value_kind:     hidden_remainder_x
      - .offset:         164
        .size:           2
        .value_kind:     hidden_remainder_y
      - .offset:         166
        .size:           2
        .value_kind:     hidden_remainder_z
      - .offset:         184
        .size:           8
        .value_kind:     hidden_global_offset_x
      - .offset:         192
        .size:           8
        .value_kind:     hidden_global_offset_y
      - .offset:         200
        .size:           8
        .value_kind:     hidden_global_offset_z
      - .offset:         208
        .size:           2
        .value_kind:     hidden_grid_dims
    .group_segment_fixed_size: 0
    .kernarg_segment_align: 8
    .kernarg_segment_size: 400
    .language:       OpenCL C
    .language_version:
      - 2
      - 0
    .max_flat_workgroup_size: 1024
    .name:           _ZN5aiter35fused_qk_rmsnorm_group_quant_kernelItDB8_Li64ELi4ELi32ELb1ELb0ELb0ELb0ELb0ELb0EEEvPT0_PvPT_S6_S6_PKS5_S8_S8_S8_S8_ffiiiiiiiiiiiii
    .private_segment_fixed_size: 0
    .sgpr_count:     44
    .sgpr_spill_count: 0
    .symbol:         _ZN5aiter35fused_qk_rmsnorm_group_quant_kernelItDB8_Li64ELi4ELi32ELb1ELb0ELb0ELb0ELb0ELb0EEEvPT0_PvPT_S6_S6_PKS5_S8_S8_S8_S8_ffiiiiiiiiiiiii.kd
    .uniform_work_group_size: 1
    .uses_dynamic_stack: false
    .vgpr_count:     17
    .vgpr_spill_count: 0
    .wavefront_size: 64
  - .agpr_count:     0
    .args:
      - .actual_access:  write_only
        .address_space:  global
        .offset:         0
        .size:           8
        .value_kind:     global_buffer
      - .actual_access:  write_only
        .address_space:  global
        .offset:         8
        .size:           8
        .value_kind:     global_buffer
      - .actual_access:  write_only
        .address_space:  global
        .offset:         16
        .size:           8
        .value_kind:     global_buffer
      - .actual_access:  write_only
        .address_space:  global
        .offset:         24
        .size:           8
        .value_kind:     global_buffer
      - .actual_access:  read_only
        .address_space:  global
        .offset:         32
        .size:           8
        .value_kind:     global_buffer
      - .actual_access:  read_only
        .address_space:  global
        .offset:         40
        .size:           8
        .value_kind:     global_buffer
      - .actual_access:  read_only
        .address_space:  global
        .offset:         48
        .size:           8
        .value_kind:     global_buffer
      - .actual_access:  read_only
        .address_space:  global
        .offset:         56
        .size:           8
        .value_kind:     global_buffer
      - .actual_access:  read_only
        .address_space:  global
        .offset:         64
        .size:           8
        .value_kind:     global_buffer
      - .actual_access:  read_only
        .address_space:  global
        .offset:         72
        .size:           8
        .value_kind:     global_buffer
      - .offset:         80
        .size:           4
        .value_kind:     by_value
      - .offset:         84
        .size:           4
        .value_kind:     by_value
      - .offset:         88
        .size:           4
        .value_kind:     by_value
      - .offset:         92
        .size:           4
        .value_kind:     by_value
      - .offset:         96
        .size:           4
        .value_kind:     by_value
      - .offset:         100
        .size:           4
        .value_kind:     by_value
      - .offset:         104
        .size:           4
        .value_kind:     by_value
      - .offset:         108
        .size:           4
        .value_kind:     by_value
      - .offset:         112
        .size:           4
        .value_kind:     by_value
      - .offset:         116
        .size:           4
        .value_kind:     by_value
      - .offset:         120
        .size:           4
        .value_kind:     by_value
      - .offset:         124
        .size:           4
        .value_kind:     by_value
      - .offset:         128
        .size:           4
        .value_kind:     by_value
      - .offset:         132
        .size:           4
        .value_kind:     by_value
      - .offset:         136
        .size:           4
        .value_kind:     by_value
      - .offset:         144
        .size:           4
        .value_kind:     hidden_block_count_x
      - .offset:         148
        .size:           4
        .value_kind:     hidden_block_count_y
      - .offset:         152
        .size:           4
        .value_kind:     hidden_block_count_z
      - .offset:         156
        .size:           2
        .value_kind:     hidden_group_size_x
      - .offset:         158
        .size:           2
        .value_kind:     hidden_group_size_y
      - .offset:         160
        .size:           2
        .value_kind:     hidden_group_size_z
      - .offset:         162
        .size:           2
        .value_kind:     hidden_remainder_x
      - .offset:         164
        .size:           2
        .value_kind:     hidden_remainder_y
      - .offset:         166
        .size:           2
        .value_kind:     hidden_remainder_z
      - .offset:         184
        .size:           8
        .value_kind:     hidden_global_offset_x
      - .offset:         192
        .size:           8
        .value_kind:     hidden_global_offset_y
      - .offset:         200
        .size:           8
        .value_kind:     hidden_global_offset_z
      - .offset:         208
        .size:           2
        .value_kind:     hidden_grid_dims
    .group_segment_fixed_size: 0
    .kernarg_segment_align: 8
    .kernarg_segment_size: 400
    .language:       OpenCL C
    .language_version:
      - 2
      - 0
    .max_flat_workgroup_size: 1024
    .name:           _ZN5aiter35fused_qk_rmsnorm_group_quant_kernelIDF16_DB8_Li64ELi4ELi32ELb0ELb1ELb1ELb0ELb0ELb0EEEvPT0_PvPT_S6_S6_PKS5_S8_S8_S8_S8_ffiiiiiiiiiiiii
    .private_segment_fixed_size: 0
    .sgpr_count:     36
    .sgpr_spill_count: 0
    .symbol:         _ZN5aiter35fused_qk_rmsnorm_group_quant_kernelIDF16_DB8_Li64ELi4ELi32ELb0ELb1ELb1ELb0ELb0ELb0EEEvPT0_PvPT_S6_S6_PKS5_S8_S8_S8_S8_ffiiiiiiiiiiiii.kd
    .uniform_work_group_size: 1
    .uses_dynamic_stack: false
    .vgpr_count:     18
    .vgpr_spill_count: 0
    .wavefront_size: 64
  - .agpr_count:     0
    .args:
      - .actual_access:  write_only
        .address_space:  global
        .offset:         0
        .size:           8
        .value_kind:     global_buffer
      - .actual_access:  write_only
        .address_space:  global
        .offset:         8
        .size:           8
        .value_kind:     global_buffer
      - .actual_access:  write_only
        .address_space:  global
        .offset:         16
        .size:           8
        .value_kind:     global_buffer
      - .actual_access:  write_only
        .address_space:  global
        .offset:         24
        .size:           8
        .value_kind:     global_buffer
      - .actual_access:  read_only
        .address_space:  global
        .offset:         32
        .size:           8
        .value_kind:     global_buffer
      - .actual_access:  read_only
        .address_space:  global
        .offset:         40
        .size:           8
        .value_kind:     global_buffer
      - .actual_access:  read_only
        .address_space:  global
        .offset:         48
        .size:           8
        .value_kind:     global_buffer
      - .actual_access:  read_only
        .address_space:  global
        .offset:         56
        .size:           8
        .value_kind:     global_buffer
      - .actual_access:  read_only
        .address_space:  global
        .offset:         64
        .size:           8
        .value_kind:     global_buffer
      - .actual_access:  read_only
        .address_space:  global
        .offset:         72
        .size:           8
        .value_kind:     global_buffer
      - .offset:         80
        .size:           4
        .value_kind:     by_value
      - .offset:         84
        .size:           4
        .value_kind:     by_value
      - .offset:         88
        .size:           4
        .value_kind:     by_value
      - .offset:         92
        .size:           4
        .value_kind:     by_value
      - .offset:         96
        .size:           4
        .value_kind:     by_value
      - .offset:         100
        .size:           4
        .value_kind:     by_value
      - .offset:         104
        .size:           4
        .value_kind:     by_value
      - .offset:         108
        .size:           4
        .value_kind:     by_value
      - .offset:         112
        .size:           4
        .value_kind:     by_value
      - .offset:         116
        .size:           4
        .value_kind:     by_value
      - .offset:         120
        .size:           4
        .value_kind:     by_value
      - .offset:         124
        .size:           4
        .value_kind:     by_value
      - .offset:         128
        .size:           4
        .value_kind:     by_value
      - .offset:         132
        .size:           4
        .value_kind:     by_value
      - .offset:         136
        .size:           4
        .value_kind:     by_value
      - .offset:         144
        .size:           4
        .value_kind:     hidden_block_count_x
      - .offset:         148
        .size:           4
        .value_kind:     hidden_block_count_y
      - .offset:         152
        .size:           4
        .value_kind:     hidden_block_count_z
      - .offset:         156
        .size:           2
        .value_kind:     hidden_group_size_x
      - .offset:         158
        .size:           2
        .value_kind:     hidden_group_size_y
      - .offset:         160
        .size:           2
        .value_kind:     hidden_group_size_z
      - .offset:         162
        .size:           2
        .value_kind:     hidden_remainder_x
      - .offset:         164
        .size:           2
        .value_kind:     hidden_remainder_y
      - .offset:         166
        .size:           2
        .value_kind:     hidden_remainder_z
      - .offset:         184
        .size:           8
        .value_kind:     hidden_global_offset_x
      - .offset:         192
        .size:           8
        .value_kind:     hidden_global_offset_y
      - .offset:         200
        .size:           8
        .value_kind:     hidden_global_offset_z
      - .offset:         208
        .size:           2
        .value_kind:     hidden_grid_dims
    .group_segment_fixed_size: 0
    .kernarg_segment_align: 8
    .kernarg_segment_size: 400
    .language:       OpenCL C
    .language_version:
      - 2
      - 0
    .max_flat_workgroup_size: 1024
    .name:           _ZN5aiter35fused_qk_rmsnorm_group_quant_kernelItDB8_Li64ELi4ELi32ELb0ELb1ELb1ELb0ELb0ELb0EEEvPT0_PvPT_S6_S6_PKS5_S8_S8_S8_S8_ffiiiiiiiiiiiii
    .private_segment_fixed_size: 0
    .sgpr_count:     36
    .sgpr_spill_count: 0
    .symbol:         _ZN5aiter35fused_qk_rmsnorm_group_quant_kernelItDB8_Li64ELi4ELi32ELb0ELb1ELb1ELb0ELb0ELb0EEEvPT0_PvPT_S6_S6_PKS5_S8_S8_S8_S8_ffiiiiiiiiiiiii.kd
    .uniform_work_group_size: 1
    .uses_dynamic_stack: false
    .vgpr_count:     18
    .vgpr_spill_count: 0
    .wavefront_size: 64
  - .agpr_count:     0
    .args:
      - .actual_access:  write_only
        .address_space:  global
        .offset:         0
        .size:           8
        .value_kind:     global_buffer
      - .actual_access:  write_only
        .address_space:  global
        .offset:         8
        .size:           8
        .value_kind:     global_buffer
      - .actual_access:  write_only
        .address_space:  global
        .offset:         16
        .size:           8
        .value_kind:     global_buffer
      - .actual_access:  write_only
        .address_space:  global
        .offset:         24
        .size:           8
        .value_kind:     global_buffer
      - .actual_access:  read_only
        .address_space:  global
        .offset:         32
        .size:           8
        .value_kind:     global_buffer
      - .actual_access:  read_only
        .address_space:  global
        .offset:         40
        .size:           8
        .value_kind:     global_buffer
      - .actual_access:  read_only
        .address_space:  global
        .offset:         48
        .size:           8
        .value_kind:     global_buffer
      - .actual_access:  read_only
        .address_space:  global
        .offset:         56
        .size:           8
        .value_kind:     global_buffer
      - .actual_access:  read_only
        .address_space:  global
        .offset:         64
        .size:           8
        .value_kind:     global_buffer
      - .actual_access:  read_only
        .address_space:  global
        .offset:         72
        .size:           8
        .value_kind:     global_buffer
      - .offset:         80
        .size:           4
        .value_kind:     by_value
      - .offset:         84
        .size:           4
        .value_kind:     by_value
      - .offset:         88
        .size:           4
        .value_kind:     by_value
      - .offset:         92
        .size:           4
        .value_kind:     by_value
      - .offset:         96
        .size:           4
        .value_kind:     by_value
      - .offset:         100
        .size:           4
        .value_kind:     by_value
      - .offset:         104
        .size:           4
        .value_kind:     by_value
      - .offset:         108
        .size:           4
        .value_kind:     by_value
      - .offset:         112
        .size:           4
        .value_kind:     by_value
      - .offset:         116
        .size:           4
        .value_kind:     by_value
      - .offset:         120
        .size:           4
        .value_kind:     by_value
      - .offset:         124
        .size:           4
        .value_kind:     by_value
      - .offset:         128
        .size:           4
        .value_kind:     by_value
      - .offset:         132
        .size:           4
        .value_kind:     by_value
      - .offset:         136
        .size:           4
        .value_kind:     by_value
      - .offset:         144
        .size:           4
        .value_kind:     hidden_block_count_x
      - .offset:         148
        .size:           4
        .value_kind:     hidden_block_count_y
      - .offset:         152
        .size:           4
        .value_kind:     hidden_block_count_z
      - .offset:         156
        .size:           2
        .value_kind:     hidden_group_size_x
      - .offset:         158
        .size:           2
        .value_kind:     hidden_group_size_y
      - .offset:         160
        .size:           2
        .value_kind:     hidden_group_size_z
      - .offset:         162
        .size:           2
        .value_kind:     hidden_remainder_x
      - .offset:         164
        .size:           2
        .value_kind:     hidden_remainder_y
      - .offset:         166
        .size:           2
        .value_kind:     hidden_remainder_z
      - .offset:         184
        .size:           8
        .value_kind:     hidden_global_offset_x
      - .offset:         192
        .size:           8
        .value_kind:     hidden_global_offset_y
      - .offset:         200
        .size:           8
        .value_kind:     hidden_global_offset_z
      - .offset:         208
        .size:           2
        .value_kind:     hidden_grid_dims
    .group_segment_fixed_size: 0
    .kernarg_segment_align: 8
    .kernarg_segment_size: 400
    .language:       OpenCL C
    .language_version:
      - 2
      - 0
    .max_flat_workgroup_size: 1024
    .name:           _ZN5aiter35fused_qk_rmsnorm_group_quant_kernelIDF16_DB8_Li64ELi4ELi32ELb0ELb1ELb0ELb0ELb0ELb0EEEvPT0_PvPT_S6_S6_PKS5_S8_S8_S8_S8_ffiiiiiiiiiiiii
    .private_segment_fixed_size: 0
    .sgpr_count:     36
    .sgpr_spill_count: 0
    .symbol:         _ZN5aiter35fused_qk_rmsnorm_group_quant_kernelIDF16_DB8_Li64ELi4ELi32ELb0ELb1ELb0ELb0ELb0ELb0EEEvPT0_PvPT_S6_S6_PKS5_S8_S8_S8_S8_ffiiiiiiiiiiiii.kd
    .uniform_work_group_size: 1
    .uses_dynamic_stack: false
    .vgpr_count:     18
    .vgpr_spill_count: 0
    .wavefront_size: 64
  - .agpr_count:     0
    .args:
      - .actual_access:  write_only
        .address_space:  global
        .offset:         0
        .size:           8
        .value_kind:     global_buffer
      - .actual_access:  write_only
        .address_space:  global
        .offset:         8
        .size:           8
        .value_kind:     global_buffer
      - .actual_access:  write_only
        .address_space:  global
        .offset:         16
        .size:           8
        .value_kind:     global_buffer
      - .actual_access:  write_only
        .address_space:  global
        .offset:         24
        .size:           8
        .value_kind:     global_buffer
      - .actual_access:  read_only
        .address_space:  global
        .offset:         32
        .size:           8
        .value_kind:     global_buffer
      - .actual_access:  read_only
        .address_space:  global
        .offset:         40
        .size:           8
        .value_kind:     global_buffer
      - .actual_access:  read_only
        .address_space:  global
        .offset:         48
        .size:           8
        .value_kind:     global_buffer
      - .actual_access:  read_only
        .address_space:  global
        .offset:         56
        .size:           8
        .value_kind:     global_buffer
      - .actual_access:  read_only
        .address_space:  global
        .offset:         64
        .size:           8
        .value_kind:     global_buffer
      - .actual_access:  read_only
        .address_space:  global
        .offset:         72
        .size:           8
        .value_kind:     global_buffer
      - .offset:         80
        .size:           4
        .value_kind:     by_value
      - .offset:         84
        .size:           4
        .value_kind:     by_value
      - .offset:         88
        .size:           4
        .value_kind:     by_value
      - .offset:         92
        .size:           4
        .value_kind:     by_value
      - .offset:         96
        .size:           4
        .value_kind:     by_value
      - .offset:         100
        .size:           4
        .value_kind:     by_value
      - .offset:         104
        .size:           4
        .value_kind:     by_value
      - .offset:         108
        .size:           4
        .value_kind:     by_value
      - .offset:         112
        .size:           4
        .value_kind:     by_value
      - .offset:         116
        .size:           4
        .value_kind:     by_value
      - .offset:         120
        .size:           4
        .value_kind:     by_value
      - .offset:         124
        .size:           4
        .value_kind:     by_value
      - .offset:         128
        .size:           4
        .value_kind:     by_value
      - .offset:         132
        .size:           4
        .value_kind:     by_value
      - .offset:         136
        .size:           4
        .value_kind:     by_value
      - .offset:         144
        .size:           4
        .value_kind:     hidden_block_count_x
      - .offset:         148
        .size:           4
        .value_kind:     hidden_block_count_y
      - .offset:         152
        .size:           4
        .value_kind:     hidden_block_count_z
      - .offset:         156
        .size:           2
        .value_kind:     hidden_group_size_x
      - .offset:         158
        .size:           2
        .value_kind:     hidden_group_size_y
      - .offset:         160
        .size:           2
        .value_kind:     hidden_group_size_z
      - .offset:         162
        .size:           2
        .value_kind:     hidden_remainder_x
      - .offset:         164
        .size:           2
        .value_kind:     hidden_remainder_y
      - .offset:         166
        .size:           2
        .value_kind:     hidden_remainder_z
      - .offset:         184
        .size:           8
        .value_kind:     hidden_global_offset_x
      - .offset:         192
        .size:           8
        .value_kind:     hidden_global_offset_y
      - .offset:         200
        .size:           8
        .value_kind:     hidden_global_offset_z
      - .offset:         208
        .size:           2
        .value_kind:     hidden_grid_dims
    .group_segment_fixed_size: 0
    .kernarg_segment_align: 8
    .kernarg_segment_size: 400
    .language:       OpenCL C
    .language_version:
      - 2
      - 0
    .max_flat_workgroup_size: 1024
    .name:           _ZN5aiter35fused_qk_rmsnorm_group_quant_kernelItDB8_Li64ELi4ELi32ELb0ELb1ELb0ELb0ELb0ELb0EEEvPT0_PvPT_S6_S6_PKS5_S8_S8_S8_S8_ffiiiiiiiiiiiii
    .private_segment_fixed_size: 0
    .sgpr_count:     36
    .sgpr_spill_count: 0
    .symbol:         _ZN5aiter35fused_qk_rmsnorm_group_quant_kernelItDB8_Li64ELi4ELi32ELb0ELb1ELb0ELb0ELb0ELb0EEEvPT0_PvPT_S6_S6_PKS5_S8_S8_S8_S8_ffiiiiiiiiiiiii.kd
    .uniform_work_group_size: 1
    .uses_dynamic_stack: false
    .vgpr_count:     18
    .vgpr_spill_count: 0
    .wavefront_size: 64
  - .agpr_count:     0
    .args:
      - .actual_access:  write_only
        .address_space:  global
        .offset:         0
        .size:           8
        .value_kind:     global_buffer
      - .actual_access:  write_only
        .address_space:  global
        .offset:         8
        .size:           8
        .value_kind:     global_buffer
      - .actual_access:  read_only
        .address_space:  global
        .offset:         16
        .size:           8
        .value_kind:     global_buffer
      - .actual_access:  write_only
        .address_space:  global
        .offset:         24
        .size:           8
        .value_kind:     global_buffer
      - .actual_access:  read_only
        .address_space:  global
        .offset:         32
        .size:           8
        .value_kind:     global_buffer
      - .actual_access:  read_only
        .address_space:  global
        .offset:         40
        .size:           8
        .value_kind:     global_buffer
      - .actual_access:  read_only
        .address_space:  global
        .offset:         48
        .size:           8
        .value_kind:     global_buffer
      - .actual_access:  read_only
        .address_space:  global
        .offset:         56
        .size:           8
        .value_kind:     global_buffer
      - .actual_access:  read_only
        .address_space:  global
        .offset:         64
        .size:           8
        .value_kind:     global_buffer
      - .actual_access:  read_only
        .address_space:  global
        .offset:         72
        .size:           8
        .value_kind:     global_buffer
      - .offset:         80
        .size:           4
        .value_kind:     by_value
      - .offset:         84
        .size:           4
        .value_kind:     by_value
      - .offset:         88
        .size:           4
        .value_kind:     by_value
      - .offset:         92
        .size:           4
        .value_kind:     by_value
      - .offset:         96
        .size:           4
        .value_kind:     by_value
      - .offset:         100
        .size:           4
        .value_kind:     by_value
      - .offset:         104
        .size:           4
        .value_kind:     by_value
      - .offset:         108
        .size:           4
        .value_kind:     by_value
      - .offset:         112
        .size:           4
        .value_kind:     by_value
      - .offset:         116
        .size:           4
        .value_kind:     by_value
      - .offset:         120
        .size:           4
        .value_kind:     by_value
      - .offset:         124
        .size:           4
        .value_kind:     by_value
      - .offset:         128
        .size:           4
        .value_kind:     by_value
      - .offset:         132
        .size:           4
        .value_kind:     by_value
      - .offset:         136
        .size:           4
        .value_kind:     by_value
      - .offset:         144
        .size:           4
        .value_kind:     hidden_block_count_x
      - .offset:         148
        .size:           4
        .value_kind:     hidden_block_count_y
      - .offset:         152
        .size:           4
        .value_kind:     hidden_block_count_z
      - .offset:         156
        .size:           2
        .value_kind:     hidden_group_size_x
      - .offset:         158
        .size:           2
        .value_kind:     hidden_group_size_y
      - .offset:         160
        .size:           2
        .value_kind:     hidden_group_size_z
      - .offset:         162
        .size:           2
        .value_kind:     hidden_remainder_x
      - .offset:         164
        .size:           2
        .value_kind:     hidden_remainder_y
      - .offset:         166
        .size:           2
        .value_kind:     hidden_remainder_z
      - .offset:         184
        .size:           8
        .value_kind:     hidden_global_offset_x
      - .offset:         192
        .size:           8
        .value_kind:     hidden_global_offset_y
      - .offset:         200
        .size:           8
        .value_kind:     hidden_global_offset_z
      - .offset:         208
        .size:           2
        .value_kind:     hidden_grid_dims
    .group_segment_fixed_size: 0
    .kernarg_segment_align: 8
    .kernarg_segment_size: 400
    .language:       OpenCL C
    .language_version:
      - 2
      - 0
    .max_flat_workgroup_size: 1024
    .name:           _ZN5aiter35fused_qk_rmsnorm_group_quant_kernelIDF16_DB8_Li64ELi4ELi32ELb0ELb0ELb1ELb0ELb0ELb0EEEvPT0_PvPT_S6_S6_PKS5_S8_S8_S8_S8_ffiiiiiiiiiiiii
    .private_segment_fixed_size: 0
    .sgpr_count:     36
    .sgpr_spill_count: 0
    .symbol:         _ZN5aiter35fused_qk_rmsnorm_group_quant_kernelIDF16_DB8_Li64ELi4ELi32ELb0ELb0ELb1ELb0ELb0ELb0EEEvPT0_PvPT_S6_S6_PKS5_S8_S8_S8_S8_ffiiiiiiiiiiiii.kd
    .uniform_work_group_size: 1
    .uses_dynamic_stack: false
    .vgpr_count:     18
    .vgpr_spill_count: 0
    .wavefront_size: 64
  - .agpr_count:     0
    .args:
      - .actual_access:  write_only
        .address_space:  global
        .offset:         0
        .size:           8
        .value_kind:     global_buffer
      - .actual_access:  write_only
        .address_space:  global
        .offset:         8
        .size:           8
        .value_kind:     global_buffer
      - .actual_access:  read_only
        .address_space:  global
        .offset:         16
        .size:           8
        .value_kind:     global_buffer
      - .actual_access:  write_only
        .address_space:  global
        .offset:         24
        .size:           8
        .value_kind:     global_buffer
      - .actual_access:  read_only
        .address_space:  global
        .offset:         32
        .size:           8
        .value_kind:     global_buffer
      - .actual_access:  read_only
        .address_space:  global
        .offset:         40
        .size:           8
        .value_kind:     global_buffer
      - .actual_access:  read_only
        .address_space:  global
        .offset:         48
        .size:           8
        .value_kind:     global_buffer
      - .actual_access:  read_only
        .address_space:  global
        .offset:         56
        .size:           8
        .value_kind:     global_buffer
      - .actual_access:  read_only
        .address_space:  global
        .offset:         64
        .size:           8
        .value_kind:     global_buffer
      - .actual_access:  read_only
        .address_space:  global
        .offset:         72
        .size:           8
        .value_kind:     global_buffer
      - .offset:         80
        .size:           4
        .value_kind:     by_value
      - .offset:         84
        .size:           4
        .value_kind:     by_value
      - .offset:         88
        .size:           4
        .value_kind:     by_value
      - .offset:         92
        .size:           4
        .value_kind:     by_value
      - .offset:         96
        .size:           4
        .value_kind:     by_value
      - .offset:         100
        .size:           4
        .value_kind:     by_value
      - .offset:         104
        .size:           4
        .value_kind:     by_value
      - .offset:         108
        .size:           4
        .value_kind:     by_value
      - .offset:         112
        .size:           4
        .value_kind:     by_value
      - .offset:         116
        .size:           4
        .value_kind:     by_value
      - .offset:         120
        .size:           4
        .value_kind:     by_value
      - .offset:         124
        .size:           4
        .value_kind:     by_value
      - .offset:         128
        .size:           4
        .value_kind:     by_value
      - .offset:         132
        .size:           4
        .value_kind:     by_value
      - .offset:         136
        .size:           4
        .value_kind:     by_value
      - .offset:         144
        .size:           4
        .value_kind:     hidden_block_count_x
      - .offset:         148
        .size:           4
        .value_kind:     hidden_block_count_y
      - .offset:         152
        .size:           4
        .value_kind:     hidden_block_count_z
      - .offset:         156
        .size:           2
        .value_kind:     hidden_group_size_x
      - .offset:         158
        .size:           2
        .value_kind:     hidden_group_size_y
      - .offset:         160
        .size:           2
        .value_kind:     hidden_group_size_z
      - .offset:         162
        .size:           2
        .value_kind:     hidden_remainder_x
      - .offset:         164
        .size:           2
        .value_kind:     hidden_remainder_y
      - .offset:         166
        .size:           2
        .value_kind:     hidden_remainder_z
      - .offset:         184
        .size:           8
        .value_kind:     hidden_global_offset_x
      - .offset:         192
        .size:           8
        .value_kind:     hidden_global_offset_y
      - .offset:         200
        .size:           8
        .value_kind:     hidden_global_offset_z
      - .offset:         208
        .size:           2
        .value_kind:     hidden_grid_dims
    .group_segment_fixed_size: 0
    .kernarg_segment_align: 8
    .kernarg_segment_size: 400
    .language:       OpenCL C
    .language_version:
      - 2
      - 0
    .max_flat_workgroup_size: 1024
    .name:           _ZN5aiter35fused_qk_rmsnorm_group_quant_kernelItDB8_Li64ELi4ELi32ELb0ELb0ELb1ELb0ELb0ELb0EEEvPT0_PvPT_S6_S6_PKS5_S8_S8_S8_S8_ffiiiiiiiiiiiii
    .private_segment_fixed_size: 0
    .sgpr_count:     36
    .sgpr_spill_count: 0
    .symbol:         _ZN5aiter35fused_qk_rmsnorm_group_quant_kernelItDB8_Li64ELi4ELi32ELb0ELb0ELb1ELb0ELb0ELb0EEEvPT0_PvPT_S6_S6_PKS5_S8_S8_S8_S8_ffiiiiiiiiiiiii.kd
    .uniform_work_group_size: 1
    .uses_dynamic_stack: false
    .vgpr_count:     18
    .vgpr_spill_count: 0
    .wavefront_size: 64
  - .agpr_count:     0
    .args:
      - .actual_access:  write_only
        .address_space:  global
        .offset:         0
        .size:           8
        .value_kind:     global_buffer
      - .actual_access:  write_only
        .address_space:  global
        .offset:         8
        .size:           8
        .value_kind:     global_buffer
      - .actual_access:  read_only
        .address_space:  global
        .offset:         16
        .size:           8
        .value_kind:     global_buffer
      - .actual_access:  write_only
        .address_space:  global
        .offset:         24
        .size:           8
        .value_kind:     global_buffer
      - .actual_access:  read_only
        .address_space:  global
        .offset:         32
        .size:           8
        .value_kind:     global_buffer
      - .actual_access:  read_only
        .address_space:  global
        .offset:         40
        .size:           8
        .value_kind:     global_buffer
      - .actual_access:  read_only
        .address_space:  global
        .offset:         48
        .size:           8
        .value_kind:     global_buffer
      - .actual_access:  read_only
        .address_space:  global
        .offset:         56
        .size:           8
        .value_kind:     global_buffer
      - .actual_access:  read_only
        .address_space:  global
        .offset:         64
        .size:           8
        .value_kind:     global_buffer
      - .actual_access:  read_only
        .address_space:  global
        .offset:         72
        .size:           8
        .value_kind:     global_buffer
      - .offset:         80
        .size:           4
        .value_kind:     by_value
      - .offset:         84
        .size:           4
        .value_kind:     by_value
      - .offset:         88
        .size:           4
        .value_kind:     by_value
      - .offset:         92
        .size:           4
        .value_kind:     by_value
      - .offset:         96
        .size:           4
        .value_kind:     by_value
      - .offset:         100
        .size:           4
        .value_kind:     by_value
      - .offset:         104
        .size:           4
        .value_kind:     by_value
      - .offset:         108
        .size:           4
        .value_kind:     by_value
      - .offset:         112
        .size:           4
        .value_kind:     by_value
      - .offset:         116
        .size:           4
        .value_kind:     by_value
      - .offset:         120
        .size:           4
        .value_kind:     by_value
      - .offset:         124
        .size:           4
        .value_kind:     by_value
      - .offset:         128
        .size:           4
        .value_kind:     by_value
      - .offset:         132
        .size:           4
        .value_kind:     by_value
      - .offset:         136
        .size:           4
        .value_kind:     by_value
      - .offset:         144
        .size:           4
        .value_kind:     hidden_block_count_x
      - .offset:         148
        .size:           4
        .value_kind:     hidden_block_count_y
      - .offset:         152
        .size:           4
        .value_kind:     hidden_block_count_z
      - .offset:         156
        .size:           2
        .value_kind:     hidden_group_size_x
      - .offset:         158
        .size:           2
        .value_kind:     hidden_group_size_y
      - .offset:         160
        .size:           2
        .value_kind:     hidden_group_size_z
      - .offset:         162
        .size:           2
        .value_kind:     hidden_remainder_x
      - .offset:         164
        .size:           2
        .value_kind:     hidden_remainder_y
      - .offset:         166
        .size:           2
        .value_kind:     hidden_remainder_z
      - .offset:         184
        .size:           8
        .value_kind:     hidden_global_offset_x
      - .offset:         192
        .size:           8
        .value_kind:     hidden_global_offset_y
      - .offset:         200
        .size:           8
        .value_kind:     hidden_global_offset_z
      - .offset:         208
        .size:           2
        .value_kind:     hidden_grid_dims
    .group_segment_fixed_size: 0
    .kernarg_segment_align: 8
    .kernarg_segment_size: 400
    .language:       OpenCL C
    .language_version:
      - 2
      - 0
    .max_flat_workgroup_size: 1024
    .name:           _ZN5aiter35fused_qk_rmsnorm_group_quant_kernelIDF16_DB8_Li64ELi4ELi32ELb0ELb0ELb0ELb0ELb0ELb0EEEvPT0_PvPT_S6_S6_PKS5_S8_S8_S8_S8_ffiiiiiiiiiiiii
    .private_segment_fixed_size: 0
    .sgpr_count:     36
    .sgpr_spill_count: 0
    .symbol:         _ZN5aiter35fused_qk_rmsnorm_group_quant_kernelIDF16_DB8_Li64ELi4ELi32ELb0ELb0ELb0ELb0ELb0ELb0EEEvPT0_PvPT_S6_S6_PKS5_S8_S8_S8_S8_ffiiiiiiiiiiiii.kd
    .uniform_work_group_size: 1
    .uses_dynamic_stack: false
    .vgpr_count:     18
    .vgpr_spill_count: 0
    .wavefront_size: 64
  - .agpr_count:     0
    .args:
      - .actual_access:  write_only
        .address_space:  global
        .offset:         0
        .size:           8
        .value_kind:     global_buffer
      - .actual_access:  write_only
        .address_space:  global
        .offset:         8
        .size:           8
        .value_kind:     global_buffer
      - .actual_access:  read_only
        .address_space:  global
        .offset:         16
        .size:           8
        .value_kind:     global_buffer
      - .actual_access:  write_only
        .address_space:  global
        .offset:         24
        .size:           8
        .value_kind:     global_buffer
      - .actual_access:  read_only
        .address_space:  global
        .offset:         32
        .size:           8
        .value_kind:     global_buffer
      - .actual_access:  read_only
        .address_space:  global
        .offset:         40
        .size:           8
        .value_kind:     global_buffer
      - .actual_access:  read_only
        .address_space:  global
        .offset:         48
        .size:           8
        .value_kind:     global_buffer
      - .actual_access:  read_only
        .address_space:  global
        .offset:         56
        .size:           8
        .value_kind:     global_buffer
      - .actual_access:  read_only
        .address_space:  global
        .offset:         64
        .size:           8
        .value_kind:     global_buffer
      - .actual_access:  read_only
        .address_space:  global
        .offset:         72
        .size:           8
        .value_kind:     global_buffer
      - .offset:         80
        .size:           4
        .value_kind:     by_value
      - .offset:         84
        .size:           4
        .value_kind:     by_value
      - .offset:         88
        .size:           4
        .value_kind:     by_value
      - .offset:         92
        .size:           4
        .value_kind:     by_value
      - .offset:         96
        .size:           4
        .value_kind:     by_value
      - .offset:         100
        .size:           4
        .value_kind:     by_value
      - .offset:         104
        .size:           4
        .value_kind:     by_value
      - .offset:         108
        .size:           4
        .value_kind:     by_value
      - .offset:         112
        .size:           4
        .value_kind:     by_value
      - .offset:         116
        .size:           4
        .value_kind:     by_value
      - .offset:         120
        .size:           4
        .value_kind:     by_value
      - .offset:         124
        .size:           4
        .value_kind:     by_value
      - .offset:         128
        .size:           4
        .value_kind:     by_value
      - .offset:         132
        .size:           4
        .value_kind:     by_value
      - .offset:         136
        .size:           4
        .value_kind:     by_value
      - .offset:         144
        .size:           4
        .value_kind:     hidden_block_count_x
      - .offset:         148
        .size:           4
        .value_kind:     hidden_block_count_y
      - .offset:         152
        .size:           4
        .value_kind:     hidden_block_count_z
      - .offset:         156
        .size:           2
        .value_kind:     hidden_group_size_x
      - .offset:         158
        .size:           2
        .value_kind:     hidden_group_size_y
      - .offset:         160
        .size:           2
        .value_kind:     hidden_group_size_z
      - .offset:         162
        .size:           2
        .value_kind:     hidden_remainder_x
      - .offset:         164
        .size:           2
        .value_kind:     hidden_remainder_y
      - .offset:         166
        .size:           2
        .value_kind:     hidden_remainder_z
      - .offset:         184
        .size:           8
        .value_kind:     hidden_global_offset_x
      - .offset:         192
        .size:           8
        .value_kind:     hidden_global_offset_y
      - .offset:         200
        .size:           8
        .value_kind:     hidden_global_offset_z
      - .offset:         208
        .size:           2
        .value_kind:     hidden_grid_dims
    .group_segment_fixed_size: 0
    .kernarg_segment_align: 8
    .kernarg_segment_size: 400
    .language:       OpenCL C
    .language_version:
      - 2
      - 0
    .max_flat_workgroup_size: 1024
    .name:           _ZN5aiter35fused_qk_rmsnorm_group_quant_kernelItDB8_Li64ELi4ELi32ELb0ELb0ELb0ELb0ELb0ELb0EEEvPT0_PvPT_S6_S6_PKS5_S8_S8_S8_S8_ffiiiiiiiiiiiii
    .private_segment_fixed_size: 0
    .sgpr_count:     36
    .sgpr_spill_count: 0
    .symbol:         _ZN5aiter35fused_qk_rmsnorm_group_quant_kernelItDB8_Li64ELi4ELi32ELb0ELb0ELb0ELb0ELb0ELb0EEEvPT0_PvPT_S6_S6_PKS5_S8_S8_S8_S8_ffiiiiiiiiiiiii.kd
    .uniform_work_group_size: 1
    .uses_dynamic_stack: false
    .vgpr_count:     18
    .vgpr_spill_count: 0
    .wavefront_size: 64
  - .agpr_count:     0
    .args:
      - .actual_access:  read_only
        .address_space:  global
        .offset:         0
        .size:           8
        .value_kind:     global_buffer
      - .actual_access:  read_only
        .address_space:  global
        .offset:         8
        .size:           8
        .value_kind:     global_buffer
      - .actual_access:  write_only
        .address_space:  global
        .offset:         16
        .size:           8
        .value_kind:     global_buffer
      - .actual_access:  write_only
        .address_space:  global
        .offset:         24
        .size:           8
        .value_kind:     global_buffer
      - .actual_access:  write_only
        .address_space:  global
        .offset:         32
        .size:           8
        .value_kind:     global_buffer
      - .actual_access:  read_only
        .address_space:  global
        .offset:         40
        .size:           8
        .value_kind:     global_buffer
      - .actual_access:  read_only
        .address_space:  global
        .offset:         48
        .size:           8
        .value_kind:     global_buffer
      - .actual_access:  read_only
        .address_space:  global
        .offset:         56
        .size:           8
        .value_kind:     global_buffer
      - .actual_access:  read_only
        .address_space:  global
        .offset:         64
        .size:           8
        .value_kind:     global_buffer
      - .actual_access:  read_only
        .address_space:  global
        .offset:         72
        .size:           8
        .value_kind:     global_buffer
      - .offset:         80
        .size:           4
        .value_kind:     by_value
      - .offset:         84
        .size:           4
        .value_kind:     by_value
      - .offset:         88
        .size:           4
        .value_kind:     by_value
      - .offset:         92
        .size:           4
        .value_kind:     by_value
      - .offset:         96
        .size:           4
        .value_kind:     by_value
      - .offset:         100
        .size:           4
        .value_kind:     by_value
      - .offset:         104
        .size:           4
        .value_kind:     by_value
      - .offset:         108
        .size:           4
        .value_kind:     by_value
      - .offset:         112
        .size:           4
        .value_kind:     by_value
      - .offset:         116
        .size:           4
        .value_kind:     by_value
      - .offset:         120
        .size:           4
        .value_kind:     by_value
      - .offset:         124
        .size:           4
        .value_kind:     by_value
      - .offset:         128
        .size:           4
        .value_kind:     by_value
      - .offset:         132
        .size:           4
        .value_kind:     by_value
      - .offset:         136
        .size:           4
        .value_kind:     by_value
      - .offset:         144
        .size:           4
        .value_kind:     hidden_block_count_x
      - .offset:         148
        .size:           4
        .value_kind:     hidden_block_count_y
      - .offset:         152
        .size:           4
        .value_kind:     hidden_block_count_z
      - .offset:         156
        .size:           2
        .value_kind:     hidden_group_size_x
      - .offset:         158
        .size:           2
        .value_kind:     hidden_group_size_y
      - .offset:         160
        .size:           2
        .value_kind:     hidden_group_size_z
      - .offset:         162
        .size:           2
        .value_kind:     hidden_remainder_x
      - .offset:         164
        .size:           2
        .value_kind:     hidden_remainder_y
      - .offset:         166
        .size:           2
        .value_kind:     hidden_remainder_z
      - .offset:         184
        .size:           8
        .value_kind:     hidden_global_offset_x
      - .offset:         192
        .size:           8
        .value_kind:     hidden_global_offset_y
      - .offset:         200
        .size:           8
        .value_kind:     hidden_global_offset_z
      - .offset:         208
        .size:           2
        .value_kind:     hidden_grid_dims
    .group_segment_fixed_size: 0
    .kernarg_segment_align: 8
    .kernarg_segment_size: 400
    .language:       OpenCL C
    .language_version:
      - 2
      - 0
    .max_flat_workgroup_size: 1024
    .name:           _ZN5aiter35fused_qk_rmsnorm_group_quant_kernelIDF16_DB8_Li64ELi4ELi16ELb1ELb1ELb1ELb1ELb0ELb0EEEvPT0_PvPT_S6_S6_PKS5_S8_S8_S8_S8_ffiiiiiiiiiiiii
    .private_segment_fixed_size: 0
    .sgpr_count:     36
    .sgpr_spill_count: 0
    .symbol:         _ZN5aiter35fused_qk_rmsnorm_group_quant_kernelIDF16_DB8_Li64ELi4ELi16ELb1ELb1ELb1ELb1ELb0ELb0EEEvPT0_PvPT_S6_S6_PKS5_S8_S8_S8_S8_ffiiiiiiiiiiiii.kd
    .uniform_work_group_size: 1
    .uses_dynamic_stack: false
    .vgpr_count:     16
    .vgpr_spill_count: 0
    .wavefront_size: 64
  - .agpr_count:     0
    .args:
      - .actual_access:  read_only
        .address_space:  global
        .offset:         0
        .size:           8
        .value_kind:     global_buffer
      - .actual_access:  read_only
        .address_space:  global
        .offset:         8
        .size:           8
        .value_kind:     global_buffer
      - .actual_access:  write_only
        .address_space:  global
        .offset:         16
        .size:           8
        .value_kind:     global_buffer
      - .actual_access:  write_only
        .address_space:  global
        .offset:         24
        .size:           8
        .value_kind:     global_buffer
      - .actual_access:  write_only
        .address_space:  global
        .offset:         32
        .size:           8
        .value_kind:     global_buffer
      - .actual_access:  read_only
        .address_space:  global
        .offset:         40
        .size:           8
        .value_kind:     global_buffer
      - .actual_access:  read_only
        .address_space:  global
        .offset:         48
        .size:           8
        .value_kind:     global_buffer
      - .actual_access:  read_only
        .address_space:  global
        .offset:         56
        .size:           8
        .value_kind:     global_buffer
      - .actual_access:  read_only
        .address_space:  global
        .offset:         64
        .size:           8
        .value_kind:     global_buffer
      - .actual_access:  read_only
        .address_space:  global
        .offset:         72
        .size:           8
        .value_kind:     global_buffer
      - .offset:         80
        .size:           4
        .value_kind:     by_value
      - .offset:         84
        .size:           4
        .value_kind:     by_value
      - .offset:         88
        .size:           4
        .value_kind:     by_value
      - .offset:         92
        .size:           4
        .value_kind:     by_value
      - .offset:         96
        .size:           4
        .value_kind:     by_value
      - .offset:         100
        .size:           4
        .value_kind:     by_value
      - .offset:         104
        .size:           4
        .value_kind:     by_value
      - .offset:         108
        .size:           4
        .value_kind:     by_value
      - .offset:         112
        .size:           4
        .value_kind:     by_value
      - .offset:         116
        .size:           4
        .value_kind:     by_value
      - .offset:         120
        .size:           4
        .value_kind:     by_value
      - .offset:         124
        .size:           4
        .value_kind:     by_value
      - .offset:         128
        .size:           4
        .value_kind:     by_value
      - .offset:         132
        .size:           4
        .value_kind:     by_value
      - .offset:         136
        .size:           4
        .value_kind:     by_value
      - .offset:         144
        .size:           4
        .value_kind:     hidden_block_count_x
      - .offset:         148
        .size:           4
        .value_kind:     hidden_block_count_y
      - .offset:         152
        .size:           4
        .value_kind:     hidden_block_count_z
      - .offset:         156
        .size:           2
        .value_kind:     hidden_group_size_x
      - .offset:         158
        .size:           2
        .value_kind:     hidden_group_size_y
      - .offset:         160
        .size:           2
        .value_kind:     hidden_group_size_z
      - .offset:         162
        .size:           2
        .value_kind:     hidden_remainder_x
      - .offset:         164
        .size:           2
        .value_kind:     hidden_remainder_y
      - .offset:         166
        .size:           2
        .value_kind:     hidden_remainder_z
      - .offset:         184
        .size:           8
        .value_kind:     hidden_global_offset_x
      - .offset:         192
        .size:           8
        .value_kind:     hidden_global_offset_y
      - .offset:         200
        .size:           8
        .value_kind:     hidden_global_offset_z
      - .offset:         208
        .size:           2
        .value_kind:     hidden_grid_dims
    .group_segment_fixed_size: 0
    .kernarg_segment_align: 8
    .kernarg_segment_size: 400
    .language:       OpenCL C
    .language_version:
      - 2
      - 0
    .max_flat_workgroup_size: 1024
    .name:           _ZN5aiter35fused_qk_rmsnorm_group_quant_kernelItDB8_Li64ELi4ELi16ELb1ELb1ELb1ELb1ELb0ELb0EEEvPT0_PvPT_S6_S6_PKS5_S8_S8_S8_S8_ffiiiiiiiiiiiii
    .private_segment_fixed_size: 0
    .sgpr_count:     36
    .sgpr_spill_count: 0
    .symbol:         _ZN5aiter35fused_qk_rmsnorm_group_quant_kernelItDB8_Li64ELi4ELi16ELb1ELb1ELb1ELb1ELb0ELb0EEEvPT0_PvPT_S6_S6_PKS5_S8_S8_S8_S8_ffiiiiiiiiiiiii.kd
    .uniform_work_group_size: 1
    .uses_dynamic_stack: false
    .vgpr_count:     16
    .vgpr_spill_count: 0
    .wavefront_size: 64
  - .agpr_count:     0
    .args:
      - .actual_access:  read_only
        .address_space:  global
        .offset:         0
        .size:           8
        .value_kind:     global_buffer
      - .actual_access:  read_only
        .address_space:  global
        .offset:         8
        .size:           8
        .value_kind:     global_buffer
      - .actual_access:  write_only
        .address_space:  global
        .offset:         16
        .size:           8
        .value_kind:     global_buffer
      - .actual_access:  write_only
        .address_space:  global
        .offset:         24
        .size:           8
        .value_kind:     global_buffer
      - .actual_access:  write_only
        .address_space:  global
        .offset:         32
        .size:           8
        .value_kind:     global_buffer
      - .actual_access:  read_only
        .address_space:  global
        .offset:         40
        .size:           8
        .value_kind:     global_buffer
      - .actual_access:  read_only
        .address_space:  global
        .offset:         48
        .size:           8
        .value_kind:     global_buffer
      - .actual_access:  read_only
        .address_space:  global
        .offset:         56
        .size:           8
        .value_kind:     global_buffer
      - .actual_access:  read_only
        .address_space:  global
        .offset:         64
        .size:           8
        .value_kind:     global_buffer
      - .actual_access:  read_only
        .address_space:  global
        .offset:         72
        .size:           8
        .value_kind:     global_buffer
      - .offset:         80
        .size:           4
        .value_kind:     by_value
      - .offset:         84
        .size:           4
        .value_kind:     by_value
      - .offset:         88
        .size:           4
        .value_kind:     by_value
      - .offset:         92
        .size:           4
        .value_kind:     by_value
      - .offset:         96
        .size:           4
        .value_kind:     by_value
      - .offset:         100
        .size:           4
        .value_kind:     by_value
      - .offset:         104
        .size:           4
        .value_kind:     by_value
      - .offset:         108
        .size:           4
        .value_kind:     by_value
      - .offset:         112
        .size:           4
        .value_kind:     by_value
      - .offset:         116
        .size:           4
        .value_kind:     by_value
      - .offset:         120
        .size:           4
        .value_kind:     by_value
      - .offset:         124
        .size:           4
        .value_kind:     by_value
      - .offset:         128
        .size:           4
        .value_kind:     by_value
      - .offset:         132
        .size:           4
        .value_kind:     by_value
      - .offset:         136
        .size:           4
        .value_kind:     by_value
      - .offset:         144
        .size:           4
        .value_kind:     hidden_block_count_x
      - .offset:         148
        .size:           4
        .value_kind:     hidden_block_count_y
      - .offset:         152
        .size:           4
        .value_kind:     hidden_block_count_z
      - .offset:         156
        .size:           2
        .value_kind:     hidden_group_size_x
      - .offset:         158
        .size:           2
        .value_kind:     hidden_group_size_y
      - .offset:         160
        .size:           2
        .value_kind:     hidden_group_size_z
      - .offset:         162
        .size:           2
        .value_kind:     hidden_remainder_x
      - .offset:         164
        .size:           2
        .value_kind:     hidden_remainder_y
      - .offset:         166
        .size:           2
        .value_kind:     hidden_remainder_z
      - .offset:         184
        .size:           8
        .value_kind:     hidden_global_offset_x
      - .offset:         192
        .size:           8
        .value_kind:     hidden_global_offset_y
      - .offset:         200
        .size:           8
        .value_kind:     hidden_global_offset_z
      - .offset:         208
        .size:           2
        .value_kind:     hidden_grid_dims
    .group_segment_fixed_size: 0
    .kernarg_segment_align: 8
    .kernarg_segment_size: 400
    .language:       OpenCL C
    .language_version:
      - 2
      - 0
    .max_flat_workgroup_size: 1024
    .name:           _ZN5aiter35fused_qk_rmsnorm_group_quant_kernelIDF16_DB8_Li64ELi4ELi16ELb1ELb1ELb0ELb1ELb0ELb0EEEvPT0_PvPT_S6_S6_PKS5_S8_S8_S8_S8_ffiiiiiiiiiiiii
    .private_segment_fixed_size: 0
    .sgpr_count:     36
    .sgpr_spill_count: 0
    .symbol:         _ZN5aiter35fused_qk_rmsnorm_group_quant_kernelIDF16_DB8_Li64ELi4ELi16ELb1ELb1ELb0ELb1ELb0ELb0EEEvPT0_PvPT_S6_S6_PKS5_S8_S8_S8_S8_ffiiiiiiiiiiiii.kd
    .uniform_work_group_size: 1
    .uses_dynamic_stack: false
    .vgpr_count:     16
    .vgpr_spill_count: 0
    .wavefront_size: 64
  - .agpr_count:     0
    .args:
      - .actual_access:  read_only
        .address_space:  global
        .offset:         0
        .size:           8
        .value_kind:     global_buffer
      - .actual_access:  read_only
        .address_space:  global
        .offset:         8
        .size:           8
        .value_kind:     global_buffer
      - .actual_access:  write_only
        .address_space:  global
        .offset:         16
        .size:           8
        .value_kind:     global_buffer
      - .actual_access:  write_only
        .address_space:  global
        .offset:         24
        .size:           8
        .value_kind:     global_buffer
      - .actual_access:  write_only
        .address_space:  global
        .offset:         32
        .size:           8
        .value_kind:     global_buffer
      - .actual_access:  read_only
        .address_space:  global
        .offset:         40
        .size:           8
        .value_kind:     global_buffer
      - .actual_access:  read_only
        .address_space:  global
        .offset:         48
        .size:           8
        .value_kind:     global_buffer
      - .actual_access:  read_only
        .address_space:  global
        .offset:         56
        .size:           8
        .value_kind:     global_buffer
      - .actual_access:  read_only
        .address_space:  global
        .offset:         64
        .size:           8
        .value_kind:     global_buffer
      - .actual_access:  read_only
        .address_space:  global
        .offset:         72
        .size:           8
        .value_kind:     global_buffer
      - .offset:         80
        .size:           4
        .value_kind:     by_value
      - .offset:         84
        .size:           4
        .value_kind:     by_value
      - .offset:         88
        .size:           4
        .value_kind:     by_value
      - .offset:         92
        .size:           4
        .value_kind:     by_value
      - .offset:         96
        .size:           4
        .value_kind:     by_value
      - .offset:         100
        .size:           4
        .value_kind:     by_value
      - .offset:         104
        .size:           4
        .value_kind:     by_value
      - .offset:         108
        .size:           4
        .value_kind:     by_value
      - .offset:         112
        .size:           4
        .value_kind:     by_value
      - .offset:         116
        .size:           4
        .value_kind:     by_value
      - .offset:         120
        .size:           4
        .value_kind:     by_value
      - .offset:         124
        .size:           4
        .value_kind:     by_value
      - .offset:         128
        .size:           4
        .value_kind:     by_value
      - .offset:         132
        .size:           4
        .value_kind:     by_value
      - .offset:         136
        .size:           4
        .value_kind:     by_value
      - .offset:         144
        .size:           4
        .value_kind:     hidden_block_count_x
      - .offset:         148
        .size:           4
        .value_kind:     hidden_block_count_y
      - .offset:         152
        .size:           4
        .value_kind:     hidden_block_count_z
      - .offset:         156
        .size:           2
        .value_kind:     hidden_group_size_x
      - .offset:         158
        .size:           2
        .value_kind:     hidden_group_size_y
      - .offset:         160
        .size:           2
        .value_kind:     hidden_group_size_z
      - .offset:         162
        .size:           2
        .value_kind:     hidden_remainder_x
      - .offset:         164
        .size:           2
        .value_kind:     hidden_remainder_y
      - .offset:         166
        .size:           2
        .value_kind:     hidden_remainder_z
      - .offset:         184
        .size:           8
        .value_kind:     hidden_global_offset_x
      - .offset:         192
        .size:           8
        .value_kind:     hidden_global_offset_y
      - .offset:         200
        .size:           8
        .value_kind:     hidden_global_offset_z
      - .offset:         208
        .size:           2
        .value_kind:     hidden_grid_dims
    .group_segment_fixed_size: 0
    .kernarg_segment_align: 8
    .kernarg_segment_size: 400
    .language:       OpenCL C
    .language_version:
      - 2
      - 0
    .max_flat_workgroup_size: 1024
    .name:           _ZN5aiter35fused_qk_rmsnorm_group_quant_kernelItDB8_Li64ELi4ELi16ELb1ELb1ELb0ELb1ELb0ELb0EEEvPT0_PvPT_S6_S6_PKS5_S8_S8_S8_S8_ffiiiiiiiiiiiii
    .private_segment_fixed_size: 0
    .sgpr_count:     36
    .sgpr_spill_count: 0
    .symbol:         _ZN5aiter35fused_qk_rmsnorm_group_quant_kernelItDB8_Li64ELi4ELi16ELb1ELb1ELb0ELb1ELb0ELb0EEEvPT0_PvPT_S6_S6_PKS5_S8_S8_S8_S8_ffiiiiiiiiiiiii.kd
    .uniform_work_group_size: 1
    .uses_dynamic_stack: false
    .vgpr_count:     16
    .vgpr_spill_count: 0
    .wavefront_size: 64
  - .agpr_count:     0
    .args:
      - .actual_access:  read_only
        .address_space:  global
        .offset:         0
        .size:           8
        .value_kind:     global_buffer
      - .actual_access:  read_only
        .address_space:  global
        .offset:         8
        .size:           8
        .value_kind:     global_buffer
      - .actual_access:  write_only
        .address_space:  global
        .offset:         16
        .size:           8
        .value_kind:     global_buffer
      - .actual_access:  write_only
        .address_space:  global
        .offset:         24
        .size:           8
        .value_kind:     global_buffer
      - .actual_access:  read_only
        .address_space:  global
        .offset:         32
        .size:           8
        .value_kind:     global_buffer
      - .actual_access:  read_only
        .address_space:  global
        .offset:         40
        .size:           8
        .value_kind:     global_buffer
      - .actual_access:  read_only
        .address_space:  global
        .offset:         48
        .size:           8
        .value_kind:     global_buffer
      - .actual_access:  read_only
        .address_space:  global
        .offset:         56
        .size:           8
        .value_kind:     global_buffer
      - .actual_access:  read_only
        .address_space:  global
        .offset:         64
        .size:           8
        .value_kind:     global_buffer
      - .actual_access:  read_only
        .address_space:  global
        .offset:         72
        .size:           8
        .value_kind:     global_buffer
      - .offset:         80
        .size:           4
        .value_kind:     by_value
      - .offset:         84
        .size:           4
        .value_kind:     by_value
      - .offset:         88
        .size:           4
        .value_kind:     by_value
      - .offset:         92
        .size:           4
        .value_kind:     by_value
      - .offset:         96
        .size:           4
        .value_kind:     by_value
      - .offset:         100
        .size:           4
        .value_kind:     by_value
      - .offset:         104
        .size:           4
        .value_kind:     by_value
      - .offset:         108
        .size:           4
        .value_kind:     by_value
      - .offset:         112
        .size:           4
        .value_kind:     by_value
      - .offset:         116
        .size:           4
        .value_kind:     by_value
      - .offset:         120
        .size:           4
        .value_kind:     by_value
      - .offset:         124
        .size:           4
        .value_kind:     by_value
      - .offset:         128
        .size:           4
        .value_kind:     by_value
      - .offset:         132
        .size:           4
        .value_kind:     by_value
      - .offset:         136
        .size:           4
        .value_kind:     by_value
      - .offset:         144
        .size:           4
        .value_kind:     hidden_block_count_x
      - .offset:         148
        .size:           4
        .value_kind:     hidden_block_count_y
      - .offset:         152
        .size:           4
        .value_kind:     hidden_block_count_z
      - .offset:         156
        .size:           2
        .value_kind:     hidden_group_size_x
      - .offset:         158
        .size:           2
        .value_kind:     hidden_group_size_y
      - .offset:         160
        .size:           2
        .value_kind:     hidden_group_size_z
      - .offset:         162
        .size:           2
        .value_kind:     hidden_remainder_x
      - .offset:         164
        .size:           2
        .value_kind:     hidden_remainder_y
      - .offset:         166
        .size:           2
        .value_kind:     hidden_remainder_z
      - .offset:         184
        .size:           8
        .value_kind:     hidden_global_offset_x
      - .offset:         192
        .size:           8
        .value_kind:     hidden_global_offset_y
      - .offset:         200
        .size:           8
        .value_kind:     hidden_global_offset_z
      - .offset:         208
        .size:           2
        .value_kind:     hidden_grid_dims
    .group_segment_fixed_size: 0
    .kernarg_segment_align: 8
    .kernarg_segment_size: 400
    .language:       OpenCL C
    .language_version:
      - 2
      - 0
    .max_flat_workgroup_size: 1024
    .name:           _ZN5aiter35fused_qk_rmsnorm_group_quant_kernelIDF16_DB8_Li64ELi4ELi16ELb0ELb1ELb1ELb1ELb0ELb0EEEvPT0_PvPT_S6_S6_PKS5_S8_S8_S8_S8_ffiiiiiiiiiiiii
    .private_segment_fixed_size: 0
    .sgpr_count:     36
    .sgpr_spill_count: 0
    .symbol:         _ZN5aiter35fused_qk_rmsnorm_group_quant_kernelIDF16_DB8_Li64ELi4ELi16ELb0ELb1ELb1ELb1ELb0ELb0EEEvPT0_PvPT_S6_S6_PKS5_S8_S8_S8_S8_ffiiiiiiiiiiiii.kd
    .uniform_work_group_size: 1
    .uses_dynamic_stack: false
    .vgpr_count:     17
    .vgpr_spill_count: 0
    .wavefront_size: 64
  - .agpr_count:     0
    .args:
      - .actual_access:  read_only
        .address_space:  global
        .offset:         0
        .size:           8
        .value_kind:     global_buffer
      - .actual_access:  read_only
        .address_space:  global
        .offset:         8
        .size:           8
        .value_kind:     global_buffer
      - .actual_access:  write_only
        .address_space:  global
        .offset:         16
        .size:           8
        .value_kind:     global_buffer
      - .actual_access:  write_only
        .address_space:  global
        .offset:         24
        .size:           8
        .value_kind:     global_buffer
      - .actual_access:  read_only
        .address_space:  global
        .offset:         32
        .size:           8
        .value_kind:     global_buffer
      - .actual_access:  read_only
        .address_space:  global
        .offset:         40
        .size:           8
        .value_kind:     global_buffer
      - .actual_access:  read_only
        .address_space:  global
        .offset:         48
        .size:           8
        .value_kind:     global_buffer
      - .actual_access:  read_only
        .address_space:  global
        .offset:         56
        .size:           8
        .value_kind:     global_buffer
      - .actual_access:  read_only
        .address_space:  global
        .offset:         64
        .size:           8
        .value_kind:     global_buffer
      - .actual_access:  read_only
        .address_space:  global
        .offset:         72
        .size:           8
        .value_kind:     global_buffer
      - .offset:         80
        .size:           4
        .value_kind:     by_value
      - .offset:         84
        .size:           4
        .value_kind:     by_value
      - .offset:         88
        .size:           4
        .value_kind:     by_value
      - .offset:         92
        .size:           4
        .value_kind:     by_value
      - .offset:         96
        .size:           4
        .value_kind:     by_value
      - .offset:         100
        .size:           4
        .value_kind:     by_value
      - .offset:         104
        .size:           4
        .value_kind:     by_value
      - .offset:         108
        .size:           4
        .value_kind:     by_value
      - .offset:         112
        .size:           4
        .value_kind:     by_value
      - .offset:         116
        .size:           4
        .value_kind:     by_value
      - .offset:         120
        .size:           4
        .value_kind:     by_value
      - .offset:         124
        .size:           4
        .value_kind:     by_value
      - .offset:         128
        .size:           4
        .value_kind:     by_value
      - .offset:         132
        .size:           4
        .value_kind:     by_value
      - .offset:         136
        .size:           4
        .value_kind:     by_value
      - .offset:         144
        .size:           4
        .value_kind:     hidden_block_count_x
      - .offset:         148
        .size:           4
        .value_kind:     hidden_block_count_y
      - .offset:         152
        .size:           4
        .value_kind:     hidden_block_count_z
      - .offset:         156
        .size:           2
        .value_kind:     hidden_group_size_x
      - .offset:         158
        .size:           2
        .value_kind:     hidden_group_size_y
      - .offset:         160
        .size:           2
        .value_kind:     hidden_group_size_z
      - .offset:         162
        .size:           2
        .value_kind:     hidden_remainder_x
      - .offset:         164
        .size:           2
        .value_kind:     hidden_remainder_y
      - .offset:         166
        .size:           2
        .value_kind:     hidden_remainder_z
      - .offset:         184
        .size:           8
        .value_kind:     hidden_global_offset_x
      - .offset:         192
        .size:           8
        .value_kind:     hidden_global_offset_y
      - .offset:         200
        .size:           8
        .value_kind:     hidden_global_offset_z
      - .offset:         208
        .size:           2
        .value_kind:     hidden_grid_dims
    .group_segment_fixed_size: 0
    .kernarg_segment_align: 8
    .kernarg_segment_size: 400
    .language:       OpenCL C
    .language_version:
      - 2
      - 0
    .max_flat_workgroup_size: 1024
    .name:           _ZN5aiter35fused_qk_rmsnorm_group_quant_kernelItDB8_Li64ELi4ELi16ELb0ELb1ELb1ELb1ELb0ELb0EEEvPT0_PvPT_S6_S6_PKS5_S8_S8_S8_S8_ffiiiiiiiiiiiii
    .private_segment_fixed_size: 0
    .sgpr_count:     36
    .sgpr_spill_count: 0
    .symbol:         _ZN5aiter35fused_qk_rmsnorm_group_quant_kernelItDB8_Li64ELi4ELi16ELb0ELb1ELb1ELb1ELb0ELb0EEEvPT0_PvPT_S6_S6_PKS5_S8_S8_S8_S8_ffiiiiiiiiiiiii.kd
    .uniform_work_group_size: 1
    .uses_dynamic_stack: false
    .vgpr_count:     17
    .vgpr_spill_count: 0
    .wavefront_size: 64
  - .agpr_count:     0
    .args:
      - .actual_access:  read_only
        .address_space:  global
        .offset:         0
        .size:           8
        .value_kind:     global_buffer
      - .actual_access:  read_only
        .address_space:  global
        .offset:         8
        .size:           8
        .value_kind:     global_buffer
      - .actual_access:  write_only
        .address_space:  global
        .offset:         16
        .size:           8
        .value_kind:     global_buffer
      - .actual_access:  write_only
        .address_space:  global
        .offset:         24
        .size:           8
        .value_kind:     global_buffer
      - .actual_access:  read_only
        .address_space:  global
        .offset:         32
        .size:           8
        .value_kind:     global_buffer
      - .actual_access:  read_only
        .address_space:  global
        .offset:         40
        .size:           8
        .value_kind:     global_buffer
      - .actual_access:  read_only
        .address_space:  global
        .offset:         48
        .size:           8
        .value_kind:     global_buffer
      - .actual_access:  read_only
        .address_space:  global
        .offset:         56
        .size:           8
        .value_kind:     global_buffer
      - .actual_access:  read_only
        .address_space:  global
        .offset:         64
        .size:           8
        .value_kind:     global_buffer
      - .actual_access:  read_only
        .address_space:  global
        .offset:         72
        .size:           8
        .value_kind:     global_buffer
      - .offset:         80
        .size:           4
        .value_kind:     by_value
      - .offset:         84
        .size:           4
        .value_kind:     by_value
      - .offset:         88
        .size:           4
        .value_kind:     by_value
      - .offset:         92
        .size:           4
        .value_kind:     by_value
      - .offset:         96
        .size:           4
        .value_kind:     by_value
      - .offset:         100
        .size:           4
        .value_kind:     by_value
      - .offset:         104
        .size:           4
        .value_kind:     by_value
      - .offset:         108
        .size:           4
        .value_kind:     by_value
      - .offset:         112
        .size:           4
        .value_kind:     by_value
      - .offset:         116
        .size:           4
        .value_kind:     by_value
      - .offset:         120
        .size:           4
        .value_kind:     by_value
      - .offset:         124
        .size:           4
        .value_kind:     by_value
      - .offset:         128
        .size:           4
        .value_kind:     by_value
      - .offset:         132
        .size:           4
        .value_kind:     by_value
      - .offset:         136
        .size:           4
        .value_kind:     by_value
      - .offset:         144
        .size:           4
        .value_kind:     hidden_block_count_x
      - .offset:         148
        .size:           4
        .value_kind:     hidden_block_count_y
      - .offset:         152
        .size:           4
        .value_kind:     hidden_block_count_z
      - .offset:         156
        .size:           2
        .value_kind:     hidden_group_size_x
      - .offset:         158
        .size:           2
        .value_kind:     hidden_group_size_y
      - .offset:         160
        .size:           2
        .value_kind:     hidden_group_size_z
      - .offset:         162
        .size:           2
        .value_kind:     hidden_remainder_x
      - .offset:         164
        .size:           2
        .value_kind:     hidden_remainder_y
      - .offset:         166
        .size:           2
        .value_kind:     hidden_remainder_z
      - .offset:         184
        .size:           8
        .value_kind:     hidden_global_offset_x
      - .offset:         192
        .size:           8
        .value_kind:     hidden_global_offset_y
      - .offset:         200
        .size:           8
        .value_kind:     hidden_global_offset_z
      - .offset:         208
        .size:           2
        .value_kind:     hidden_grid_dims
    .group_segment_fixed_size: 0
    .kernarg_segment_align: 8
    .kernarg_segment_size: 400
    .language:       OpenCL C
    .language_version:
      - 2
      - 0
    .max_flat_workgroup_size: 1024
    .name:           _ZN5aiter35fused_qk_rmsnorm_group_quant_kernelIDF16_DB8_Li64ELi4ELi16ELb0ELb1ELb0ELb1ELb0ELb0EEEvPT0_PvPT_S6_S6_PKS5_S8_S8_S8_S8_ffiiiiiiiiiiiii
    .private_segment_fixed_size: 0
    .sgpr_count:     36
    .sgpr_spill_count: 0
    .symbol:         _ZN5aiter35fused_qk_rmsnorm_group_quant_kernelIDF16_DB8_Li64ELi4ELi16ELb0ELb1ELb0ELb1ELb0ELb0EEEvPT0_PvPT_S6_S6_PKS5_S8_S8_S8_S8_ffiiiiiiiiiiiii.kd
    .uniform_work_group_size: 1
    .uses_dynamic_stack: false
    .vgpr_count:     17
    .vgpr_spill_count: 0
    .wavefront_size: 64
  - .agpr_count:     0
    .args:
      - .actual_access:  read_only
        .address_space:  global
        .offset:         0
        .size:           8
        .value_kind:     global_buffer
      - .actual_access:  read_only
        .address_space:  global
        .offset:         8
        .size:           8
        .value_kind:     global_buffer
      - .actual_access:  write_only
        .address_space:  global
        .offset:         16
        .size:           8
        .value_kind:     global_buffer
      - .actual_access:  write_only
        .address_space:  global
        .offset:         24
        .size:           8
        .value_kind:     global_buffer
      - .actual_access:  read_only
        .address_space:  global
        .offset:         32
        .size:           8
        .value_kind:     global_buffer
      - .actual_access:  read_only
        .address_space:  global
        .offset:         40
        .size:           8
        .value_kind:     global_buffer
      - .actual_access:  read_only
        .address_space:  global
        .offset:         48
        .size:           8
        .value_kind:     global_buffer
      - .actual_access:  read_only
        .address_space:  global
        .offset:         56
        .size:           8
        .value_kind:     global_buffer
      - .actual_access:  read_only
        .address_space:  global
        .offset:         64
        .size:           8
        .value_kind:     global_buffer
      - .actual_access:  read_only
        .address_space:  global
        .offset:         72
        .size:           8
        .value_kind:     global_buffer
      - .offset:         80
        .size:           4
        .value_kind:     by_value
      - .offset:         84
        .size:           4
        .value_kind:     by_value
      - .offset:         88
        .size:           4
        .value_kind:     by_value
      - .offset:         92
        .size:           4
        .value_kind:     by_value
      - .offset:         96
        .size:           4
        .value_kind:     by_value
      - .offset:         100
        .size:           4
        .value_kind:     by_value
      - .offset:         104
        .size:           4
        .value_kind:     by_value
      - .offset:         108
        .size:           4
        .value_kind:     by_value
      - .offset:         112
        .size:           4
        .value_kind:     by_value
      - .offset:         116
        .size:           4
        .value_kind:     by_value
      - .offset:         120
        .size:           4
        .value_kind:     by_value
      - .offset:         124
        .size:           4
        .value_kind:     by_value
      - .offset:         128
        .size:           4
        .value_kind:     by_value
      - .offset:         132
        .size:           4
        .value_kind:     by_value
      - .offset:         136
        .size:           4
        .value_kind:     by_value
      - .offset:         144
        .size:           4
        .value_kind:     hidden_block_count_x
      - .offset:         148
        .size:           4
        .value_kind:     hidden_block_count_y
      - .offset:         152
        .size:           4
        .value_kind:     hidden_block_count_z
      - .offset:         156
        .size:           2
        .value_kind:     hidden_group_size_x
      - .offset:         158
        .size:           2
        .value_kind:     hidden_group_size_y
      - .offset:         160
        .size:           2
        .value_kind:     hidden_group_size_z
      - .offset:         162
        .size:           2
        .value_kind:     hidden_remainder_x
      - .offset:         164
        .size:           2
        .value_kind:     hidden_remainder_y
      - .offset:         166
        .size:           2
        .value_kind:     hidden_remainder_z
      - .offset:         184
        .size:           8
        .value_kind:     hidden_global_offset_x
      - .offset:         192
        .size:           8
        .value_kind:     hidden_global_offset_y
      - .offset:         200
        .size:           8
        .value_kind:     hidden_global_offset_z
      - .offset:         208
        .size:           2
        .value_kind:     hidden_grid_dims
    .group_segment_fixed_size: 0
    .kernarg_segment_align: 8
    .kernarg_segment_size: 400
    .language:       OpenCL C
    .language_version:
      - 2
      - 0
    .max_flat_workgroup_size: 1024
    .name:           _ZN5aiter35fused_qk_rmsnorm_group_quant_kernelItDB8_Li64ELi4ELi16ELb0ELb1ELb0ELb1ELb0ELb0EEEvPT0_PvPT_S6_S6_PKS5_S8_S8_S8_S8_ffiiiiiiiiiiiii
    .private_segment_fixed_size: 0
    .sgpr_count:     36
    .sgpr_spill_count: 0
    .symbol:         _ZN5aiter35fused_qk_rmsnorm_group_quant_kernelItDB8_Li64ELi4ELi16ELb0ELb1ELb0ELb1ELb0ELb0EEEvPT0_PvPT_S6_S6_PKS5_S8_S8_S8_S8_ffiiiiiiiiiiiii.kd
    .uniform_work_group_size: 1
    .uses_dynamic_stack: false
    .vgpr_count:     17
    .vgpr_spill_count: 0
    .wavefront_size: 64
  - .agpr_count:     0
    .args:
      - .actual_access:  write_only
        .address_space:  global
        .offset:         0
        .size:           8
        .value_kind:     global_buffer
      - .actual_access:  write_only
        .address_space:  global
        .offset:         8
        .size:           8
        .value_kind:     global_buffer
      - .actual_access:  write_only
        .address_space:  global
        .offset:         16
        .size:           8
        .value_kind:     global_buffer
      - .actual_access:  write_only
        .address_space:  global
        .offset:         24
        .size:           8
        .value_kind:     global_buffer
      - .actual_access:  write_only
        .address_space:  global
        .offset:         32
        .size:           8
        .value_kind:     global_buffer
      - .actual_access:  read_only
        .address_space:  global
        .offset:         40
        .size:           8
        .value_kind:     global_buffer
      - .actual_access:  read_only
        .address_space:  global
        .offset:         48
        .size:           8
        .value_kind:     global_buffer
      - .actual_access:  read_only
        .address_space:  global
        .offset:         56
        .size:           8
        .value_kind:     global_buffer
      - .actual_access:  read_only
        .address_space:  global
        .offset:         64
        .size:           8
        .value_kind:     global_buffer
      - .actual_access:  read_only
        .address_space:  global
        .offset:         72
        .size:           8
        .value_kind:     global_buffer
      - .offset:         80
        .size:           4
        .value_kind:     by_value
      - .offset:         84
        .size:           4
        .value_kind:     by_value
      - .offset:         88
        .size:           4
        .value_kind:     by_value
      - .offset:         92
        .size:           4
        .value_kind:     by_value
      - .offset:         96
        .size:           4
        .value_kind:     by_value
      - .offset:         100
        .size:           4
        .value_kind:     by_value
      - .offset:         104
        .size:           4
        .value_kind:     by_value
      - .offset:         108
        .size:           4
        .value_kind:     by_value
      - .offset:         112
        .size:           4
        .value_kind:     by_value
      - .offset:         116
        .size:           4
        .value_kind:     by_value
      - .offset:         120
        .size:           4
        .value_kind:     by_value
      - .offset:         124
        .size:           4
        .value_kind:     by_value
      - .offset:         128
        .size:           4
        .value_kind:     by_value
      - .offset:         132
        .size:           4
        .value_kind:     by_value
      - .offset:         136
        .size:           4
        .value_kind:     by_value
      - .offset:         144
        .size:           4
        .value_kind:     hidden_block_count_x
      - .offset:         148
        .size:           4
        .value_kind:     hidden_block_count_y
      - .offset:         152
        .size:           4
        .value_kind:     hidden_block_count_z
      - .offset:         156
        .size:           2
        .value_kind:     hidden_group_size_x
      - .offset:         158
        .size:           2
        .value_kind:     hidden_group_size_y
      - .offset:         160
        .size:           2
        .value_kind:     hidden_group_size_z
      - .offset:         162
        .size:           2
        .value_kind:     hidden_remainder_x
      - .offset:         164
        .size:           2
        .value_kind:     hidden_remainder_y
      - .offset:         166
        .size:           2
        .value_kind:     hidden_remainder_z
      - .offset:         184
        .size:           8
        .value_kind:     hidden_global_offset_x
      - .offset:         192
        .size:           8
        .value_kind:     hidden_global_offset_y
      - .offset:         200
        .size:           8
        .value_kind:     hidden_global_offset_z
      - .offset:         208
        .size:           2
        .value_kind:     hidden_grid_dims
    .group_segment_fixed_size: 0
    .kernarg_segment_align: 8
    .kernarg_segment_size: 400
    .language:       OpenCL C
    .language_version:
      - 2
      - 0
    .max_flat_workgroup_size: 1024
    .name:           _ZN5aiter35fused_qk_rmsnorm_group_quant_kernelIDF16_DB8_Li64ELi4ELi16ELb1ELb1ELb1ELb0ELb0ELb0EEEvPT0_PvPT_S6_S6_PKS5_S8_S8_S8_S8_ffiiiiiiiiiiiii
    .private_segment_fixed_size: 0
    .sgpr_count:     44
    .sgpr_spill_count: 0
    .symbol:         _ZN5aiter35fused_qk_rmsnorm_group_quant_kernelIDF16_DB8_Li64ELi4ELi16ELb1ELb1ELb1ELb0ELb0ELb0EEEvPT0_PvPT_S6_S6_PKS5_S8_S8_S8_S8_ffiiiiiiiiiiiii.kd
    .uniform_work_group_size: 1
    .uses_dynamic_stack: false
    .vgpr_count:     16
    .vgpr_spill_count: 0
    .wavefront_size: 64
  - .agpr_count:     0
    .args:
      - .actual_access:  write_only
        .address_space:  global
        .offset:         0
        .size:           8
        .value_kind:     global_buffer
      - .actual_access:  write_only
        .address_space:  global
        .offset:         8
        .size:           8
        .value_kind:     global_buffer
      - .actual_access:  write_only
        .address_space:  global
        .offset:         16
        .size:           8
        .value_kind:     global_buffer
      - .actual_access:  write_only
        .address_space:  global
        .offset:         24
        .size:           8
        .value_kind:     global_buffer
      - .actual_access:  write_only
        .address_space:  global
        .offset:         32
        .size:           8
        .value_kind:     global_buffer
      - .actual_access:  read_only
        .address_space:  global
        .offset:         40
        .size:           8
        .value_kind:     global_buffer
      - .actual_access:  read_only
        .address_space:  global
        .offset:         48
        .size:           8
        .value_kind:     global_buffer
      - .actual_access:  read_only
        .address_space:  global
        .offset:         56
        .size:           8
        .value_kind:     global_buffer
      - .actual_access:  read_only
        .address_space:  global
        .offset:         64
        .size:           8
        .value_kind:     global_buffer
      - .actual_access:  read_only
        .address_space:  global
        .offset:         72
        .size:           8
        .value_kind:     global_buffer
      - .offset:         80
        .size:           4
        .value_kind:     by_value
      - .offset:         84
        .size:           4
        .value_kind:     by_value
      - .offset:         88
        .size:           4
        .value_kind:     by_value
      - .offset:         92
        .size:           4
        .value_kind:     by_value
      - .offset:         96
        .size:           4
        .value_kind:     by_value
      - .offset:         100
        .size:           4
        .value_kind:     by_value
      - .offset:         104
        .size:           4
        .value_kind:     by_value
      - .offset:         108
        .size:           4
        .value_kind:     by_value
      - .offset:         112
        .size:           4
        .value_kind:     by_value
      - .offset:         116
        .size:           4
        .value_kind:     by_value
      - .offset:         120
        .size:           4
        .value_kind:     by_value
      - .offset:         124
        .size:           4
        .value_kind:     by_value
      - .offset:         128
        .size:           4
        .value_kind:     by_value
      - .offset:         132
        .size:           4
        .value_kind:     by_value
      - .offset:         136
        .size:           4
        .value_kind:     by_value
      - .offset:         144
        .size:           4
        .value_kind:     hidden_block_count_x
      - .offset:         148
        .size:           4
        .value_kind:     hidden_block_count_y
      - .offset:         152
        .size:           4
        .value_kind:     hidden_block_count_z
      - .offset:         156
        .size:           2
        .value_kind:     hidden_group_size_x
      - .offset:         158
        .size:           2
        .value_kind:     hidden_group_size_y
      - .offset:         160
        .size:           2
        .value_kind:     hidden_group_size_z
      - .offset:         162
        .size:           2
        .value_kind:     hidden_remainder_x
      - .offset:         164
        .size:           2
        .value_kind:     hidden_remainder_y
      - .offset:         166
        .size:           2
        .value_kind:     hidden_remainder_z
      - .offset:         184
        .size:           8
        .value_kind:     hidden_global_offset_x
      - .offset:         192
        .size:           8
        .value_kind:     hidden_global_offset_y
      - .offset:         200
        .size:           8
        .value_kind:     hidden_global_offset_z
      - .offset:         208
        .size:           2
        .value_kind:     hidden_grid_dims
    .group_segment_fixed_size: 0
    .kernarg_segment_align: 8
    .kernarg_segment_size: 400
    .language:       OpenCL C
    .language_version:
      - 2
      - 0
    .max_flat_workgroup_size: 1024
    .name:           _ZN5aiter35fused_qk_rmsnorm_group_quant_kernelItDB8_Li64ELi4ELi16ELb1ELb1ELb1ELb0ELb0ELb0EEEvPT0_PvPT_S6_S6_PKS5_S8_S8_S8_S8_ffiiiiiiiiiiiii
    .private_segment_fixed_size: 0
    .sgpr_count:     44
    .sgpr_spill_count: 0
    .symbol:         _ZN5aiter35fused_qk_rmsnorm_group_quant_kernelItDB8_Li64ELi4ELi16ELb1ELb1ELb1ELb0ELb0ELb0EEEvPT0_PvPT_S6_S6_PKS5_S8_S8_S8_S8_ffiiiiiiiiiiiii.kd
    .uniform_work_group_size: 1
    .uses_dynamic_stack: false
    .vgpr_count:     16
    .vgpr_spill_count: 0
    .wavefront_size: 64
  - .agpr_count:     0
    .args:
      - .actual_access:  write_only
        .address_space:  global
        .offset:         0
        .size:           8
        .value_kind:     global_buffer
      - .actual_access:  write_only
        .address_space:  global
        .offset:         8
        .size:           8
        .value_kind:     global_buffer
      - .actual_access:  write_only
        .address_space:  global
        .offset:         16
        .size:           8
        .value_kind:     global_buffer
      - .actual_access:  write_only
        .address_space:  global
        .offset:         24
        .size:           8
        .value_kind:     global_buffer
      - .actual_access:  write_only
        .address_space:  global
        .offset:         32
        .size:           8
        .value_kind:     global_buffer
      - .actual_access:  read_only
        .address_space:  global
        .offset:         40
        .size:           8
        .value_kind:     global_buffer
      - .actual_access:  read_only
        .address_space:  global
        .offset:         48
        .size:           8
        .value_kind:     global_buffer
      - .actual_access:  read_only
        .address_space:  global
        .offset:         56
        .size:           8
        .value_kind:     global_buffer
      - .actual_access:  read_only
        .address_space:  global
        .offset:         64
        .size:           8
        .value_kind:     global_buffer
      - .actual_access:  read_only
        .address_space:  global
        .offset:         72
        .size:           8
        .value_kind:     global_buffer
      - .offset:         80
        .size:           4
        .value_kind:     by_value
      - .offset:         84
        .size:           4
        .value_kind:     by_value
      - .offset:         88
        .size:           4
        .value_kind:     by_value
      - .offset:         92
        .size:           4
        .value_kind:     by_value
      - .offset:         96
        .size:           4
        .value_kind:     by_value
      - .offset:         100
        .size:           4
        .value_kind:     by_value
      - .offset:         104
        .size:           4
        .value_kind:     by_value
      - .offset:         108
        .size:           4
        .value_kind:     by_value
      - .offset:         112
        .size:           4
        .value_kind:     by_value
      - .offset:         116
        .size:           4
        .value_kind:     by_value
      - .offset:         120
        .size:           4
        .value_kind:     by_value
      - .offset:         124
        .size:           4
        .value_kind:     by_value
      - .offset:         128
        .size:           4
        .value_kind:     by_value
      - .offset:         132
        .size:           4
        .value_kind:     by_value
      - .offset:         136
        .size:           4
        .value_kind:     by_value
      - .offset:         144
        .size:           4
        .value_kind:     hidden_block_count_x
      - .offset:         148
        .size:           4
        .value_kind:     hidden_block_count_y
      - .offset:         152
        .size:           4
        .value_kind:     hidden_block_count_z
      - .offset:         156
        .size:           2
        .value_kind:     hidden_group_size_x
      - .offset:         158
        .size:           2
        .value_kind:     hidden_group_size_y
      - .offset:         160
        .size:           2
        .value_kind:     hidden_group_size_z
      - .offset:         162
        .size:           2
        .value_kind:     hidden_remainder_x
      - .offset:         164
        .size:           2
        .value_kind:     hidden_remainder_y
      - .offset:         166
        .size:           2
        .value_kind:     hidden_remainder_z
      - .offset:         184
        .size:           8
        .value_kind:     hidden_global_offset_x
      - .offset:         192
        .size:           8
        .value_kind:     hidden_global_offset_y
      - .offset:         200
        .size:           8
        .value_kind:     hidden_global_offset_z
      - .offset:         208
        .size:           2
        .value_kind:     hidden_grid_dims
    .group_segment_fixed_size: 0
    .kernarg_segment_align: 8
    .kernarg_segment_size: 400
    .language:       OpenCL C
    .language_version:
      - 2
      - 0
    .max_flat_workgroup_size: 1024
    .name:           _ZN5aiter35fused_qk_rmsnorm_group_quant_kernelIDF16_DB8_Li64ELi4ELi16ELb1ELb1ELb0ELb0ELb0ELb0EEEvPT0_PvPT_S6_S6_PKS5_S8_S8_S8_S8_ffiiiiiiiiiiiii
    .private_segment_fixed_size: 0
    .sgpr_count:     44
    .sgpr_spill_count: 0
    .symbol:         _ZN5aiter35fused_qk_rmsnorm_group_quant_kernelIDF16_DB8_Li64ELi4ELi16ELb1ELb1ELb0ELb0ELb0ELb0EEEvPT0_PvPT_S6_S6_PKS5_S8_S8_S8_S8_ffiiiiiiiiiiiii.kd
    .uniform_work_group_size: 1
    .uses_dynamic_stack: false
    .vgpr_count:     16
    .vgpr_spill_count: 0
    .wavefront_size: 64
  - .agpr_count:     0
    .args:
      - .actual_access:  write_only
        .address_space:  global
        .offset:         0
        .size:           8
        .value_kind:     global_buffer
      - .actual_access:  write_only
        .address_space:  global
        .offset:         8
        .size:           8
        .value_kind:     global_buffer
      - .actual_access:  write_only
        .address_space:  global
        .offset:         16
        .size:           8
        .value_kind:     global_buffer
      - .actual_access:  write_only
        .address_space:  global
        .offset:         24
        .size:           8
        .value_kind:     global_buffer
      - .actual_access:  write_only
        .address_space:  global
        .offset:         32
        .size:           8
        .value_kind:     global_buffer
      - .actual_access:  read_only
        .address_space:  global
        .offset:         40
        .size:           8
        .value_kind:     global_buffer
      - .actual_access:  read_only
        .address_space:  global
        .offset:         48
        .size:           8
        .value_kind:     global_buffer
      - .actual_access:  read_only
        .address_space:  global
        .offset:         56
        .size:           8
        .value_kind:     global_buffer
      - .actual_access:  read_only
        .address_space:  global
        .offset:         64
        .size:           8
        .value_kind:     global_buffer
      - .actual_access:  read_only
        .address_space:  global
        .offset:         72
        .size:           8
        .value_kind:     global_buffer
      - .offset:         80
        .size:           4
        .value_kind:     by_value
      - .offset:         84
        .size:           4
        .value_kind:     by_value
      - .offset:         88
        .size:           4
        .value_kind:     by_value
      - .offset:         92
        .size:           4
        .value_kind:     by_value
      - .offset:         96
        .size:           4
        .value_kind:     by_value
      - .offset:         100
        .size:           4
        .value_kind:     by_value
      - .offset:         104
        .size:           4
        .value_kind:     by_value
      - .offset:         108
        .size:           4
        .value_kind:     by_value
      - .offset:         112
        .size:           4
        .value_kind:     by_value
      - .offset:         116
        .size:           4
        .value_kind:     by_value
      - .offset:         120
        .size:           4
        .value_kind:     by_value
      - .offset:         124
        .size:           4
        .value_kind:     by_value
      - .offset:         128
        .size:           4
        .value_kind:     by_value
      - .offset:         132
        .size:           4
        .value_kind:     by_value
      - .offset:         136
        .size:           4
        .value_kind:     by_value
      - .offset:         144
        .size:           4
        .value_kind:     hidden_block_count_x
      - .offset:         148
        .size:           4
        .value_kind:     hidden_block_count_y
      - .offset:         152
        .size:           4
        .value_kind:     hidden_block_count_z
      - .offset:         156
        .size:           2
        .value_kind:     hidden_group_size_x
      - .offset:         158
        .size:           2
        .value_kind:     hidden_group_size_y
      - .offset:         160
        .size:           2
        .value_kind:     hidden_group_size_z
      - .offset:         162
        .size:           2
        .value_kind:     hidden_remainder_x
      - .offset:         164
        .size:           2
        .value_kind:     hidden_remainder_y
      - .offset:         166
        .size:           2
        .value_kind:     hidden_remainder_z
      - .offset:         184
        .size:           8
        .value_kind:     hidden_global_offset_x
      - .offset:         192
        .size:           8
        .value_kind:     hidden_global_offset_y
      - .offset:         200
        .size:           8
        .value_kind:     hidden_global_offset_z
      - .offset:         208
        .size:           2
        .value_kind:     hidden_grid_dims
    .group_segment_fixed_size: 0
    .kernarg_segment_align: 8
    .kernarg_segment_size: 400
    .language:       OpenCL C
    .language_version:
      - 2
      - 0
    .max_flat_workgroup_size: 1024
    .name:           _ZN5aiter35fused_qk_rmsnorm_group_quant_kernelItDB8_Li64ELi4ELi16ELb1ELb1ELb0ELb0ELb0ELb0EEEvPT0_PvPT_S6_S6_PKS5_S8_S8_S8_S8_ffiiiiiiiiiiiii
    .private_segment_fixed_size: 0
    .sgpr_count:     44
    .sgpr_spill_count: 0
    .symbol:         _ZN5aiter35fused_qk_rmsnorm_group_quant_kernelItDB8_Li64ELi4ELi16ELb1ELb1ELb0ELb0ELb0ELb0EEEvPT0_PvPT_S6_S6_PKS5_S8_S8_S8_S8_ffiiiiiiiiiiiii.kd
    .uniform_work_group_size: 1
    .uses_dynamic_stack: false
    .vgpr_count:     16
    .vgpr_spill_count: 0
    .wavefront_size: 64
  - .agpr_count:     0
    .args:
      - .actual_access:  write_only
        .address_space:  global
        .offset:         0
        .size:           8
        .value_kind:     global_buffer
      - .actual_access:  write_only
        .address_space:  global
        .offset:         8
        .size:           8
        .value_kind:     global_buffer
      - .actual_access:  read_only
        .address_space:  global
        .offset:         16
        .size:           8
        .value_kind:     global_buffer
      - .actual_access:  write_only
        .address_space:  global
        .offset:         24
        .size:           8
        .value_kind:     global_buffer
      - .actual_access:  write_only
        .address_space:  global
        .offset:         32
        .size:           8
        .value_kind:     global_buffer
      - .actual_access:  read_only
        .address_space:  global
        .offset:         40
        .size:           8
        .value_kind:     global_buffer
      - .actual_access:  read_only
        .address_space:  global
        .offset:         48
        .size:           8
        .value_kind:     global_buffer
      - .actual_access:  read_only
        .address_space:  global
        .offset:         56
        .size:           8
        .value_kind:     global_buffer
      - .actual_access:  read_only
        .address_space:  global
        .offset:         64
        .size:           8
        .value_kind:     global_buffer
      - .actual_access:  read_only
        .address_space:  global
        .offset:         72
        .size:           8
        .value_kind:     global_buffer
      - .offset:         80
        .size:           4
        .value_kind:     by_value
      - .offset:         84
        .size:           4
        .value_kind:     by_value
      - .offset:         88
        .size:           4
        .value_kind:     by_value
      - .offset:         92
        .size:           4
        .value_kind:     by_value
      - .offset:         96
        .size:           4
        .value_kind:     by_value
      - .offset:         100
        .size:           4
        .value_kind:     by_value
      - .offset:         104
        .size:           4
        .value_kind:     by_value
      - .offset:         108
        .size:           4
        .value_kind:     by_value
      - .offset:         112
        .size:           4
        .value_kind:     by_value
      - .offset:         116
        .size:           4
        .value_kind:     by_value
      - .offset:         120
        .size:           4
        .value_kind:     by_value
      - .offset:         124
        .size:           4
        .value_kind:     by_value
      - .offset:         128
        .size:           4
        .value_kind:     by_value
      - .offset:         132
        .size:           4
        .value_kind:     by_value
      - .offset:         136
        .size:           4
        .value_kind:     by_value
      - .offset:         144
        .size:           4
        .value_kind:     hidden_block_count_x
      - .offset:         148
        .size:           4
        .value_kind:     hidden_block_count_y
      - .offset:         152
        .size:           4
        .value_kind:     hidden_block_count_z
      - .offset:         156
        .size:           2
        .value_kind:     hidden_group_size_x
      - .offset:         158
        .size:           2
        .value_kind:     hidden_group_size_y
      - .offset:         160
        .size:           2
        .value_kind:     hidden_group_size_z
      - .offset:         162
        .size:           2
        .value_kind:     hidden_remainder_x
      - .offset:         164
        .size:           2
        .value_kind:     hidden_remainder_y
      - .offset:         166
        .size:           2
        .value_kind:     hidden_remainder_z
      - .offset:         184
        .size:           8
        .value_kind:     hidden_global_offset_x
      - .offset:         192
        .size:           8
        .value_kind:     hidden_global_offset_y
      - .offset:         200
        .size:           8
        .value_kind:     hidden_global_offset_z
      - .offset:         208
        .size:           2
        .value_kind:     hidden_grid_dims
    .group_segment_fixed_size: 0
    .kernarg_segment_align: 8
    .kernarg_segment_size: 400
    .language:       OpenCL C
    .language_version:
      - 2
      - 0
    .max_flat_workgroup_size: 1024
    .name:           _ZN5aiter35fused_qk_rmsnorm_group_quant_kernelIDF16_DB8_Li64ELi4ELi16ELb1ELb0ELb1ELb0ELb0ELb0EEEvPT0_PvPT_S6_S6_PKS5_S8_S8_S8_S8_ffiiiiiiiiiiiii
    .private_segment_fixed_size: 0
    .sgpr_count:     44
    .sgpr_spill_count: 0
    .symbol:         _ZN5aiter35fused_qk_rmsnorm_group_quant_kernelIDF16_DB8_Li64ELi4ELi16ELb1ELb0ELb1ELb0ELb0ELb0EEEvPT0_PvPT_S6_S6_PKS5_S8_S8_S8_S8_ffiiiiiiiiiiiii.kd
    .uniform_work_group_size: 1
    .uses_dynamic_stack: false
    .vgpr_count:     16
    .vgpr_spill_count: 0
    .wavefront_size: 64
  - .agpr_count:     0
    .args:
      - .actual_access:  write_only
        .address_space:  global
        .offset:         0
        .size:           8
        .value_kind:     global_buffer
      - .actual_access:  write_only
        .address_space:  global
        .offset:         8
        .size:           8
        .value_kind:     global_buffer
      - .actual_access:  read_only
        .address_space:  global
        .offset:         16
        .size:           8
        .value_kind:     global_buffer
      - .actual_access:  write_only
        .address_space:  global
        .offset:         24
        .size:           8
        .value_kind:     global_buffer
      - .actual_access:  write_only
        .address_space:  global
        .offset:         32
        .size:           8
        .value_kind:     global_buffer
      - .actual_access:  read_only
        .address_space:  global
        .offset:         40
        .size:           8
        .value_kind:     global_buffer
      - .actual_access:  read_only
        .address_space:  global
        .offset:         48
        .size:           8
        .value_kind:     global_buffer
      - .actual_access:  read_only
        .address_space:  global
        .offset:         56
        .size:           8
        .value_kind:     global_buffer
      - .actual_access:  read_only
        .address_space:  global
        .offset:         64
        .size:           8
        .value_kind:     global_buffer
      - .actual_access:  read_only
        .address_space:  global
        .offset:         72
        .size:           8
        .value_kind:     global_buffer
      - .offset:         80
        .size:           4
        .value_kind:     by_value
      - .offset:         84
        .size:           4
        .value_kind:     by_value
      - .offset:         88
        .size:           4
        .value_kind:     by_value
      - .offset:         92
        .size:           4
        .value_kind:     by_value
      - .offset:         96
        .size:           4
        .value_kind:     by_value
      - .offset:         100
        .size:           4
        .value_kind:     by_value
      - .offset:         104
        .size:           4
        .value_kind:     by_value
      - .offset:         108
        .size:           4
        .value_kind:     by_value
      - .offset:         112
        .size:           4
        .value_kind:     by_value
      - .offset:         116
        .size:           4
        .value_kind:     by_value
      - .offset:         120
        .size:           4
        .value_kind:     by_value
      - .offset:         124
        .size:           4
        .value_kind:     by_value
      - .offset:         128
        .size:           4
        .value_kind:     by_value
      - .offset:         132
        .size:           4
        .value_kind:     by_value
      - .offset:         136
        .size:           4
        .value_kind:     by_value
      - .offset:         144
        .size:           4
        .value_kind:     hidden_block_count_x
      - .offset:         148
        .size:           4
        .value_kind:     hidden_block_count_y
      - .offset:         152
        .size:           4
        .value_kind:     hidden_block_count_z
      - .offset:         156
        .size:           2
        .value_kind:     hidden_group_size_x
      - .offset:         158
        .size:           2
        .value_kind:     hidden_group_size_y
      - .offset:         160
        .size:           2
        .value_kind:     hidden_group_size_z
      - .offset:         162
        .size:           2
        .value_kind:     hidden_remainder_x
      - .offset:         164
        .size:           2
        .value_kind:     hidden_remainder_y
      - .offset:         166
        .size:           2
        .value_kind:     hidden_remainder_z
      - .offset:         184
        .size:           8
        .value_kind:     hidden_global_offset_x
      - .offset:         192
        .size:           8
        .value_kind:     hidden_global_offset_y
      - .offset:         200
        .size:           8
        .value_kind:     hidden_global_offset_z
      - .offset:         208
        .size:           2
        .value_kind:     hidden_grid_dims
    .group_segment_fixed_size: 0
    .kernarg_segment_align: 8
    .kernarg_segment_size: 400
    .language:       OpenCL C
    .language_version:
      - 2
      - 0
    .max_flat_workgroup_size: 1024
    .name:           _ZN5aiter35fused_qk_rmsnorm_group_quant_kernelItDB8_Li64ELi4ELi16ELb1ELb0ELb1ELb0ELb0ELb0EEEvPT0_PvPT_S6_S6_PKS5_S8_S8_S8_S8_ffiiiiiiiiiiiii
    .private_segment_fixed_size: 0
    .sgpr_count:     44
    .sgpr_spill_count: 0
    .symbol:         _ZN5aiter35fused_qk_rmsnorm_group_quant_kernelItDB8_Li64ELi4ELi16ELb1ELb0ELb1ELb0ELb0ELb0EEEvPT0_PvPT_S6_S6_PKS5_S8_S8_S8_S8_ffiiiiiiiiiiiii.kd
    .uniform_work_group_size: 1
    .uses_dynamic_stack: false
    .vgpr_count:     16
    .vgpr_spill_count: 0
    .wavefront_size: 64
  - .agpr_count:     0
    .args:
      - .actual_access:  write_only
        .address_space:  global
        .offset:         0
        .size:           8
        .value_kind:     global_buffer
      - .actual_access:  write_only
        .address_space:  global
        .offset:         8
        .size:           8
        .value_kind:     global_buffer
      - .actual_access:  read_only
        .address_space:  global
        .offset:         16
        .size:           8
        .value_kind:     global_buffer
      - .actual_access:  write_only
        .address_space:  global
        .offset:         24
        .size:           8
        .value_kind:     global_buffer
      - .actual_access:  write_only
        .address_space:  global
        .offset:         32
        .size:           8
        .value_kind:     global_buffer
      - .actual_access:  read_only
        .address_space:  global
        .offset:         40
        .size:           8
        .value_kind:     global_buffer
      - .actual_access:  read_only
        .address_space:  global
        .offset:         48
        .size:           8
        .value_kind:     global_buffer
      - .actual_access:  read_only
        .address_space:  global
        .offset:         56
        .size:           8
        .value_kind:     global_buffer
      - .actual_access:  read_only
        .address_space:  global
        .offset:         64
        .size:           8
        .value_kind:     global_buffer
      - .actual_access:  read_only
        .address_space:  global
        .offset:         72
        .size:           8
        .value_kind:     global_buffer
      - .offset:         80
        .size:           4
        .value_kind:     by_value
      - .offset:         84
        .size:           4
        .value_kind:     by_value
      - .offset:         88
        .size:           4
        .value_kind:     by_value
      - .offset:         92
        .size:           4
        .value_kind:     by_value
      - .offset:         96
        .size:           4
        .value_kind:     by_value
      - .offset:         100
        .size:           4
        .value_kind:     by_value
      - .offset:         104
        .size:           4
        .value_kind:     by_value
      - .offset:         108
        .size:           4
        .value_kind:     by_value
      - .offset:         112
        .size:           4
        .value_kind:     by_value
      - .offset:         116
        .size:           4
        .value_kind:     by_value
      - .offset:         120
        .size:           4
        .value_kind:     by_value
      - .offset:         124
        .size:           4
        .value_kind:     by_value
      - .offset:         128
        .size:           4
        .value_kind:     by_value
      - .offset:         132
        .size:           4
        .value_kind:     by_value
      - .offset:         136
        .size:           4
        .value_kind:     by_value
      - .offset:         144
        .size:           4
        .value_kind:     hidden_block_count_x
      - .offset:         148
        .size:           4
        .value_kind:     hidden_block_count_y
      - .offset:         152
        .size:           4
        .value_kind:     hidden_block_count_z
      - .offset:         156
        .size:           2
        .value_kind:     hidden_group_size_x
      - .offset:         158
        .size:           2
        .value_kind:     hidden_group_size_y
      - .offset:         160
        .size:           2
        .value_kind:     hidden_group_size_z
      - .offset:         162
        .size:           2
        .value_kind:     hidden_remainder_x
      - .offset:         164
        .size:           2
        .value_kind:     hidden_remainder_y
      - .offset:         166
        .size:           2
        .value_kind:     hidden_remainder_z
      - .offset:         184
        .size:           8
        .value_kind:     hidden_global_offset_x
      - .offset:         192
        .size:           8
        .value_kind:     hidden_global_offset_y
      - .offset:         200
        .size:           8
        .value_kind:     hidden_global_offset_z
      - .offset:         208
        .size:           2
        .value_kind:     hidden_grid_dims
    .group_segment_fixed_size: 0
    .kernarg_segment_align: 8
    .kernarg_segment_size: 400
    .language:       OpenCL C
    .language_version:
      - 2
      - 0
    .max_flat_workgroup_size: 1024
    .name:           _ZN5aiter35fused_qk_rmsnorm_group_quant_kernelIDF16_DB8_Li64ELi4ELi16ELb1ELb0ELb0ELb0ELb0ELb0EEEvPT0_PvPT_S6_S6_PKS5_S8_S8_S8_S8_ffiiiiiiiiiiiii
    .private_segment_fixed_size: 0
    .sgpr_count:     44
    .sgpr_spill_count: 0
    .symbol:         _ZN5aiter35fused_qk_rmsnorm_group_quant_kernelIDF16_DB8_Li64ELi4ELi16ELb1ELb0ELb0ELb0ELb0ELb0EEEvPT0_PvPT_S6_S6_PKS5_S8_S8_S8_S8_ffiiiiiiiiiiiii.kd
    .uniform_work_group_size: 1
    .uses_dynamic_stack: false
    .vgpr_count:     16
    .vgpr_spill_count: 0
    .wavefront_size: 64
  - .agpr_count:     0
    .args:
      - .actual_access:  write_only
        .address_space:  global
        .offset:         0
        .size:           8
        .value_kind:     global_buffer
      - .actual_access:  write_only
        .address_space:  global
        .offset:         8
        .size:           8
        .value_kind:     global_buffer
      - .actual_access:  read_only
        .address_space:  global
        .offset:         16
        .size:           8
        .value_kind:     global_buffer
      - .actual_access:  write_only
        .address_space:  global
        .offset:         24
        .size:           8
        .value_kind:     global_buffer
      - .actual_access:  write_only
        .address_space:  global
        .offset:         32
        .size:           8
        .value_kind:     global_buffer
      - .actual_access:  read_only
        .address_space:  global
        .offset:         40
        .size:           8
        .value_kind:     global_buffer
      - .actual_access:  read_only
        .address_space:  global
        .offset:         48
        .size:           8
        .value_kind:     global_buffer
      - .actual_access:  read_only
        .address_space:  global
        .offset:         56
        .size:           8
        .value_kind:     global_buffer
      - .actual_access:  read_only
        .address_space:  global
        .offset:         64
        .size:           8
        .value_kind:     global_buffer
      - .actual_access:  read_only
        .address_space:  global
        .offset:         72
        .size:           8
        .value_kind:     global_buffer
      - .offset:         80
        .size:           4
        .value_kind:     by_value
      - .offset:         84
        .size:           4
        .value_kind:     by_value
      - .offset:         88
        .size:           4
        .value_kind:     by_value
      - .offset:         92
        .size:           4
        .value_kind:     by_value
      - .offset:         96
        .size:           4
        .value_kind:     by_value
      - .offset:         100
        .size:           4
        .value_kind:     by_value
      - .offset:         104
        .size:           4
        .value_kind:     by_value
      - .offset:         108
        .size:           4
        .value_kind:     by_value
      - .offset:         112
        .size:           4
        .value_kind:     by_value
      - .offset:         116
        .size:           4
        .value_kind:     by_value
      - .offset:         120
        .size:           4
        .value_kind:     by_value
      - .offset:         124
        .size:           4
        .value_kind:     by_value
      - .offset:         128
        .size:           4
        .value_kind:     by_value
      - .offset:         132
        .size:           4
        .value_kind:     by_value
      - .offset:         136
        .size:           4
        .value_kind:     by_value
      - .offset:         144
        .size:           4
        .value_kind:     hidden_block_count_x
      - .offset:         148
        .size:           4
        .value_kind:     hidden_block_count_y
      - .offset:         152
        .size:           4
        .value_kind:     hidden_block_count_z
      - .offset:         156
        .size:           2
        .value_kind:     hidden_group_size_x
      - .offset:         158
        .size:           2
        .value_kind:     hidden_group_size_y
      - .offset:         160
        .size:           2
        .value_kind:     hidden_group_size_z
      - .offset:         162
        .size:           2
        .value_kind:     hidden_remainder_x
      - .offset:         164
        .size:           2
        .value_kind:     hidden_remainder_y
      - .offset:         166
        .size:           2
        .value_kind:     hidden_remainder_z
      - .offset:         184
        .size:           8
        .value_kind:     hidden_global_offset_x
      - .offset:         192
        .size:           8
        .value_kind:     hidden_global_offset_y
      - .offset:         200
        .size:           8
        .value_kind:     hidden_global_offset_z
      - .offset:         208
        .size:           2
        .value_kind:     hidden_grid_dims
    .group_segment_fixed_size: 0
    .kernarg_segment_align: 8
    .kernarg_segment_size: 400
    .language:       OpenCL C
    .language_version:
      - 2
      - 0
    .max_flat_workgroup_size: 1024
    .name:           _ZN5aiter35fused_qk_rmsnorm_group_quant_kernelItDB8_Li64ELi4ELi16ELb1ELb0ELb0ELb0ELb0ELb0EEEvPT0_PvPT_S6_S6_PKS5_S8_S8_S8_S8_ffiiiiiiiiiiiii
    .private_segment_fixed_size: 0
    .sgpr_count:     44
    .sgpr_spill_count: 0
    .symbol:         _ZN5aiter35fused_qk_rmsnorm_group_quant_kernelItDB8_Li64ELi4ELi16ELb1ELb0ELb0ELb0ELb0ELb0EEEvPT0_PvPT_S6_S6_PKS5_S8_S8_S8_S8_ffiiiiiiiiiiiii.kd
    .uniform_work_group_size: 1
    .uses_dynamic_stack: false
    .vgpr_count:     16
    .vgpr_spill_count: 0
    .wavefront_size: 64
  - .agpr_count:     0
    .args:
      - .actual_access:  write_only
        .address_space:  global
        .offset:         0
        .size:           8
        .value_kind:     global_buffer
      - .actual_access:  write_only
        .address_space:  global
        .offset:         8
        .size:           8
        .value_kind:     global_buffer
      - .actual_access:  write_only
        .address_space:  global
        .offset:         16
        .size:           8
        .value_kind:     global_buffer
      - .actual_access:  write_only
        .address_space:  global
        .offset:         24
        .size:           8
        .value_kind:     global_buffer
      - .actual_access:  read_only
        .address_space:  global
        .offset:         32
        .size:           8
        .value_kind:     global_buffer
      - .actual_access:  read_only
        .address_space:  global
        .offset:         40
        .size:           8
        .value_kind:     global_buffer
      - .actual_access:  read_only
        .address_space:  global
        .offset:         48
        .size:           8
        .value_kind:     global_buffer
      - .actual_access:  read_only
        .address_space:  global
        .offset:         56
        .size:           8
        .value_kind:     global_buffer
      - .actual_access:  read_only
        .address_space:  global
        .offset:         64
        .size:           8
        .value_kind:     global_buffer
      - .actual_access:  read_only
        .address_space:  global
        .offset:         72
        .size:           8
        .value_kind:     global_buffer
      - .offset:         80
        .size:           4
        .value_kind:     by_value
      - .offset:         84
        .size:           4
        .value_kind:     by_value
      - .offset:         88
        .size:           4
        .value_kind:     by_value
      - .offset:         92
        .size:           4
        .value_kind:     by_value
      - .offset:         96
        .size:           4
        .value_kind:     by_value
      - .offset:         100
        .size:           4
        .value_kind:     by_value
      - .offset:         104
        .size:           4
        .value_kind:     by_value
      - .offset:         108
        .size:           4
        .value_kind:     by_value
      - .offset:         112
        .size:           4
        .value_kind:     by_value
      - .offset:         116
        .size:           4
        .value_kind:     by_value
      - .offset:         120
        .size:           4
        .value_kind:     by_value
      - .offset:         124
        .size:           4
        .value_kind:     by_value
      - .offset:         128
        .size:           4
        .value_kind:     by_value
      - .offset:         132
        .size:           4
        .value_kind:     by_value
      - .offset:         136
        .size:           4
        .value_kind:     by_value
      - .offset:         144
        .size:           4
        .value_kind:     hidden_block_count_x
      - .offset:         148
        .size:           4
        .value_kind:     hidden_block_count_y
      - .offset:         152
        .size:           4
        .value_kind:     hidden_block_count_z
      - .offset:         156
        .size:           2
        .value_kind:     hidden_group_size_x
      - .offset:         158
        .size:           2
        .value_kind:     hidden_group_size_y
      - .offset:         160
        .size:           2
        .value_kind:     hidden_group_size_z
      - .offset:         162
        .size:           2
        .value_kind:     hidden_remainder_x
      - .offset:         164
        .size:           2
        .value_kind:     hidden_remainder_y
      - .offset:         166
        .size:           2
        .value_kind:     hidden_remainder_z
      - .offset:         184
        .size:           8
        .value_kind:     hidden_global_offset_x
      - .offset:         192
        .size:           8
        .value_kind:     hidden_global_offset_y
      - .offset:         200
        .size:           8
        .value_kind:     hidden_global_offset_z
      - .offset:         208
        .size:           2
        .value_kind:     hidden_grid_dims
    .group_segment_fixed_size: 0
    .kernarg_segment_align: 8
    .kernarg_segment_size: 400
    .language:       OpenCL C
    .language_version:
      - 2
      - 0
    .max_flat_workgroup_size: 1024
    .name:           _ZN5aiter35fused_qk_rmsnorm_group_quant_kernelIDF16_DB8_Li64ELi4ELi16ELb0ELb1ELb1ELb0ELb0ELb0EEEvPT0_PvPT_S6_S6_PKS5_S8_S8_S8_S8_ffiiiiiiiiiiiii
    .private_segment_fixed_size: 0
    .sgpr_count:     36
    .sgpr_spill_count: 0
    .symbol:         _ZN5aiter35fused_qk_rmsnorm_group_quant_kernelIDF16_DB8_Li64ELi4ELi16ELb0ELb1ELb1ELb0ELb0ELb0EEEvPT0_PvPT_S6_S6_PKS5_S8_S8_S8_S8_ffiiiiiiiiiiiii.kd
    .uniform_work_group_size: 1
    .uses_dynamic_stack: false
    .vgpr_count:     17
    .vgpr_spill_count: 0
    .wavefront_size: 64
  - .agpr_count:     0
    .args:
      - .actual_access:  write_only
        .address_space:  global
        .offset:         0
        .size:           8
        .value_kind:     global_buffer
      - .actual_access:  write_only
        .address_space:  global
        .offset:         8
        .size:           8
        .value_kind:     global_buffer
      - .actual_access:  write_only
        .address_space:  global
        .offset:         16
        .size:           8
        .value_kind:     global_buffer
      - .actual_access:  write_only
        .address_space:  global
        .offset:         24
        .size:           8
        .value_kind:     global_buffer
      - .actual_access:  read_only
        .address_space:  global
        .offset:         32
        .size:           8
        .value_kind:     global_buffer
      - .actual_access:  read_only
        .address_space:  global
        .offset:         40
        .size:           8
        .value_kind:     global_buffer
      - .actual_access:  read_only
        .address_space:  global
        .offset:         48
        .size:           8
        .value_kind:     global_buffer
      - .actual_access:  read_only
        .address_space:  global
        .offset:         56
        .size:           8
        .value_kind:     global_buffer
      - .actual_access:  read_only
        .address_space:  global
        .offset:         64
        .size:           8
        .value_kind:     global_buffer
      - .actual_access:  read_only
        .address_space:  global
        .offset:         72
        .size:           8
        .value_kind:     global_buffer
      - .offset:         80
        .size:           4
        .value_kind:     by_value
      - .offset:         84
        .size:           4
        .value_kind:     by_value
      - .offset:         88
        .size:           4
        .value_kind:     by_value
      - .offset:         92
        .size:           4
        .value_kind:     by_value
      - .offset:         96
        .size:           4
        .value_kind:     by_value
      - .offset:         100
        .size:           4
        .value_kind:     by_value
      - .offset:         104
        .size:           4
        .value_kind:     by_value
      - .offset:         108
        .size:           4
        .value_kind:     by_value
      - .offset:         112
        .size:           4
        .value_kind:     by_value
      - .offset:         116
        .size:           4
        .value_kind:     by_value
      - .offset:         120
        .size:           4
        .value_kind:     by_value
      - .offset:         124
        .size:           4
        .value_kind:     by_value
      - .offset:         128
        .size:           4
        .value_kind:     by_value
      - .offset:         132
        .size:           4
        .value_kind:     by_value
      - .offset:         136
        .size:           4
        .value_kind:     by_value
      - .offset:         144
        .size:           4
        .value_kind:     hidden_block_count_x
      - .offset:         148
        .size:           4
        .value_kind:     hidden_block_count_y
      - .offset:         152
        .size:           4
        .value_kind:     hidden_block_count_z
      - .offset:         156
        .size:           2
        .value_kind:     hidden_group_size_x
      - .offset:         158
        .size:           2
        .value_kind:     hidden_group_size_y
      - .offset:         160
        .size:           2
        .value_kind:     hidden_group_size_z
      - .offset:         162
        .size:           2
        .value_kind:     hidden_remainder_x
      - .offset:         164
        .size:           2
        .value_kind:     hidden_remainder_y
      - .offset:         166
        .size:           2
        .value_kind:     hidden_remainder_z
      - .offset:         184
        .size:           8
        .value_kind:     hidden_global_offset_x
      - .offset:         192
        .size:           8
        .value_kind:     hidden_global_offset_y
      - .offset:         200
        .size:           8
        .value_kind:     hidden_global_offset_z
      - .offset:         208
        .size:           2
        .value_kind:     hidden_grid_dims
    .group_segment_fixed_size: 0
    .kernarg_segment_align: 8
    .kernarg_segment_size: 400
    .language:       OpenCL C
    .language_version:
      - 2
      - 0
    .max_flat_workgroup_size: 1024
    .name:           _ZN5aiter35fused_qk_rmsnorm_group_quant_kernelItDB8_Li64ELi4ELi16ELb0ELb1ELb1ELb0ELb0ELb0EEEvPT0_PvPT_S6_S6_PKS5_S8_S8_S8_S8_ffiiiiiiiiiiiii
    .private_segment_fixed_size: 0
    .sgpr_count:     36
    .sgpr_spill_count: 0
    .symbol:         _ZN5aiter35fused_qk_rmsnorm_group_quant_kernelItDB8_Li64ELi4ELi16ELb0ELb1ELb1ELb0ELb0ELb0EEEvPT0_PvPT_S6_S6_PKS5_S8_S8_S8_S8_ffiiiiiiiiiiiii.kd
    .uniform_work_group_size: 1
    .uses_dynamic_stack: false
    .vgpr_count:     17
    .vgpr_spill_count: 0
    .wavefront_size: 64
  - .agpr_count:     0
    .args:
      - .actual_access:  write_only
        .address_space:  global
        .offset:         0
        .size:           8
        .value_kind:     global_buffer
      - .actual_access:  write_only
        .address_space:  global
        .offset:         8
        .size:           8
        .value_kind:     global_buffer
      - .actual_access:  write_only
        .address_space:  global
        .offset:         16
        .size:           8
        .value_kind:     global_buffer
      - .actual_access:  write_only
        .address_space:  global
        .offset:         24
        .size:           8
        .value_kind:     global_buffer
      - .actual_access:  read_only
        .address_space:  global
        .offset:         32
        .size:           8
        .value_kind:     global_buffer
      - .actual_access:  read_only
        .address_space:  global
        .offset:         40
        .size:           8
        .value_kind:     global_buffer
      - .actual_access:  read_only
        .address_space:  global
        .offset:         48
        .size:           8
        .value_kind:     global_buffer
      - .actual_access:  read_only
        .address_space:  global
        .offset:         56
        .size:           8
        .value_kind:     global_buffer
      - .actual_access:  read_only
        .address_space:  global
        .offset:         64
        .size:           8
        .value_kind:     global_buffer
      - .actual_access:  read_only
        .address_space:  global
        .offset:         72
        .size:           8
        .value_kind:     global_buffer
      - .offset:         80
        .size:           4
        .value_kind:     by_value
      - .offset:         84
        .size:           4
        .value_kind:     by_value
      - .offset:         88
        .size:           4
        .value_kind:     by_value
      - .offset:         92
        .size:           4
        .value_kind:     by_value
      - .offset:         96
        .size:           4
        .value_kind:     by_value
      - .offset:         100
        .size:           4
        .value_kind:     by_value
      - .offset:         104
        .size:           4
        .value_kind:     by_value
      - .offset:         108
        .size:           4
        .value_kind:     by_value
      - .offset:         112
        .size:           4
        .value_kind:     by_value
      - .offset:         116
        .size:           4
        .value_kind:     by_value
      - .offset:         120
        .size:           4
        .value_kind:     by_value
      - .offset:         124
        .size:           4
        .value_kind:     by_value
      - .offset:         128
        .size:           4
        .value_kind:     by_value
      - .offset:         132
        .size:           4
        .value_kind:     by_value
      - .offset:         136
        .size:           4
        .value_kind:     by_value
      - .offset:         144
        .size:           4
        .value_kind:     hidden_block_count_x
      - .offset:         148
        .size:           4
        .value_kind:     hidden_block_count_y
      - .offset:         152
        .size:           4
        .value_kind:     hidden_block_count_z
      - .offset:         156
        .size:           2
        .value_kind:     hidden_group_size_x
      - .offset:         158
        .size:           2
        .value_kind:     hidden_group_size_y
      - .offset:         160
        .size:           2
        .value_kind:     hidden_group_size_z
      - .offset:         162
        .size:           2
        .value_kind:     hidden_remainder_x
      - .offset:         164
        .size:           2
        .value_kind:     hidden_remainder_y
      - .offset:         166
        .size:           2
        .value_kind:     hidden_remainder_z
      - .offset:         184
        .size:           8
        .value_kind:     hidden_global_offset_x
      - .offset:         192
        .size:           8
        .value_kind:     hidden_global_offset_y
      - .offset:         200
        .size:           8
        .value_kind:     hidden_global_offset_z
      - .offset:         208
        .size:           2
        .value_kind:     hidden_grid_dims
    .group_segment_fixed_size: 0
    .kernarg_segment_align: 8
    .kernarg_segment_size: 400
    .language:       OpenCL C
    .language_version:
      - 2
      - 0
    .max_flat_workgroup_size: 1024
    .name:           _ZN5aiter35fused_qk_rmsnorm_group_quant_kernelIDF16_DB8_Li64ELi4ELi16ELb0ELb1ELb0ELb0ELb0ELb0EEEvPT0_PvPT_S6_S6_PKS5_S8_S8_S8_S8_ffiiiiiiiiiiiii
    .private_segment_fixed_size: 0
    .sgpr_count:     36
    .sgpr_spill_count: 0
    .symbol:         _ZN5aiter35fused_qk_rmsnorm_group_quant_kernelIDF16_DB8_Li64ELi4ELi16ELb0ELb1ELb0ELb0ELb0ELb0EEEvPT0_PvPT_S6_S6_PKS5_S8_S8_S8_S8_ffiiiiiiiiiiiii.kd
    .uniform_work_group_size: 1
    .uses_dynamic_stack: false
    .vgpr_count:     17
    .vgpr_spill_count: 0
    .wavefront_size: 64
  - .agpr_count:     0
    .args:
      - .actual_access:  write_only
        .address_space:  global
        .offset:         0
        .size:           8
        .value_kind:     global_buffer
      - .actual_access:  write_only
        .address_space:  global
        .offset:         8
        .size:           8
        .value_kind:     global_buffer
      - .actual_access:  write_only
        .address_space:  global
        .offset:         16
        .size:           8
        .value_kind:     global_buffer
      - .actual_access:  write_only
        .address_space:  global
        .offset:         24
        .size:           8
        .value_kind:     global_buffer
      - .actual_access:  read_only
        .address_space:  global
        .offset:         32
        .size:           8
        .value_kind:     global_buffer
      - .actual_access:  read_only
        .address_space:  global
        .offset:         40
        .size:           8
        .value_kind:     global_buffer
      - .actual_access:  read_only
        .address_space:  global
        .offset:         48
        .size:           8
        .value_kind:     global_buffer
      - .actual_access:  read_only
        .address_space:  global
        .offset:         56
        .size:           8
        .value_kind:     global_buffer
      - .actual_access:  read_only
        .address_space:  global
        .offset:         64
        .size:           8
        .value_kind:     global_buffer
      - .actual_access:  read_only
        .address_space:  global
        .offset:         72
        .size:           8
        .value_kind:     global_buffer
      - .offset:         80
        .size:           4
        .value_kind:     by_value
      - .offset:         84
        .size:           4
        .value_kind:     by_value
      - .offset:         88
        .size:           4
        .value_kind:     by_value
      - .offset:         92
        .size:           4
        .value_kind:     by_value
      - .offset:         96
        .size:           4
        .value_kind:     by_value
      - .offset:         100
        .size:           4
        .value_kind:     by_value
      - .offset:         104
        .size:           4
        .value_kind:     by_value
      - .offset:         108
        .size:           4
        .value_kind:     by_value
      - .offset:         112
        .size:           4
        .value_kind:     by_value
      - .offset:         116
        .size:           4
        .value_kind:     by_value
      - .offset:         120
        .size:           4
        .value_kind:     by_value
      - .offset:         124
        .size:           4
        .value_kind:     by_value
      - .offset:         128
        .size:           4
        .value_kind:     by_value
      - .offset:         132
        .size:           4
        .value_kind:     by_value
      - .offset:         136
        .size:           4
        .value_kind:     by_value
      - .offset:         144
        .size:           4
        .value_kind:     hidden_block_count_x
      - .offset:         148
        .size:           4
        .value_kind:     hidden_block_count_y
      - .offset:         152
        .size:           4
        .value_kind:     hidden_block_count_z
      - .offset:         156
        .size:           2
        .value_kind:     hidden_group_size_x
      - .offset:         158
        .size:           2
        .value_kind:     hidden_group_size_y
      - .offset:         160
        .size:           2
        .value_kind:     hidden_group_size_z
      - .offset:         162
        .size:           2
        .value_kind:     hidden_remainder_x
      - .offset:         164
        .size:           2
        .value_kind:     hidden_remainder_y
      - .offset:         166
        .size:           2
        .value_kind:     hidden_remainder_z
      - .offset:         184
        .size:           8
        .value_kind:     hidden_global_offset_x
      - .offset:         192
        .size:           8
        .value_kind:     hidden_global_offset_y
      - .offset:         200
        .size:           8
        .value_kind:     hidden_global_offset_z
      - .offset:         208
        .size:           2
        .value_kind:     hidden_grid_dims
    .group_segment_fixed_size: 0
    .kernarg_segment_align: 8
    .kernarg_segment_size: 400
    .language:       OpenCL C
    .language_version:
      - 2
      - 0
    .max_flat_workgroup_size: 1024
    .name:           _ZN5aiter35fused_qk_rmsnorm_group_quant_kernelItDB8_Li64ELi4ELi16ELb0ELb1ELb0ELb0ELb0ELb0EEEvPT0_PvPT_S6_S6_PKS5_S8_S8_S8_S8_ffiiiiiiiiiiiii
    .private_segment_fixed_size: 0
    .sgpr_count:     36
    .sgpr_spill_count: 0
    .symbol:         _ZN5aiter35fused_qk_rmsnorm_group_quant_kernelItDB8_Li64ELi4ELi16ELb0ELb1ELb0ELb0ELb0ELb0EEEvPT0_PvPT_S6_S6_PKS5_S8_S8_S8_S8_ffiiiiiiiiiiiii.kd
    .uniform_work_group_size: 1
    .uses_dynamic_stack: false
    .vgpr_count:     17
    .vgpr_spill_count: 0
    .wavefront_size: 64
  - .agpr_count:     0
    .args:
      - .actual_access:  write_only
        .address_space:  global
        .offset:         0
        .size:           8
        .value_kind:     global_buffer
      - .actual_access:  write_only
        .address_space:  global
        .offset:         8
        .size:           8
        .value_kind:     global_buffer
      - .actual_access:  read_only
        .address_space:  global
        .offset:         16
        .size:           8
        .value_kind:     global_buffer
      - .actual_access:  write_only
        .address_space:  global
        .offset:         24
        .size:           8
        .value_kind:     global_buffer
      - .actual_access:  read_only
        .address_space:  global
        .offset:         32
        .size:           8
        .value_kind:     global_buffer
      - .actual_access:  read_only
        .address_space:  global
        .offset:         40
        .size:           8
        .value_kind:     global_buffer
      - .actual_access:  read_only
        .address_space:  global
        .offset:         48
        .size:           8
        .value_kind:     global_buffer
      - .actual_access:  read_only
        .address_space:  global
        .offset:         56
        .size:           8
        .value_kind:     global_buffer
      - .actual_access:  read_only
        .address_space:  global
        .offset:         64
        .size:           8
        .value_kind:     global_buffer
      - .actual_access:  read_only
        .address_space:  global
        .offset:         72
        .size:           8
        .value_kind:     global_buffer
      - .offset:         80
        .size:           4
        .value_kind:     by_value
      - .offset:         84
        .size:           4
        .value_kind:     by_value
      - .offset:         88
        .size:           4
        .value_kind:     by_value
      - .offset:         92
        .size:           4
        .value_kind:     by_value
      - .offset:         96
        .size:           4
        .value_kind:     by_value
      - .offset:         100
        .size:           4
        .value_kind:     by_value
      - .offset:         104
        .size:           4
        .value_kind:     by_value
      - .offset:         108
        .size:           4
        .value_kind:     by_value
      - .offset:         112
        .size:           4
        .value_kind:     by_value
      - .offset:         116
        .size:           4
        .value_kind:     by_value
      - .offset:         120
        .size:           4
        .value_kind:     by_value
      - .offset:         124
        .size:           4
        .value_kind:     by_value
      - .offset:         128
        .size:           4
        .value_kind:     by_value
      - .offset:         132
        .size:           4
        .value_kind:     by_value
      - .offset:         136
        .size:           4
        .value_kind:     by_value
      - .offset:         144
        .size:           4
        .value_kind:     hidden_block_count_x
      - .offset:         148
        .size:           4
        .value_kind:     hidden_block_count_y
      - .offset:         152
        .size:           4
        .value_kind:     hidden_block_count_z
      - .offset:         156
        .size:           2
        .value_kind:     hidden_group_size_x
      - .offset:         158
        .size:           2
        .value_kind:     hidden_group_size_y
      - .offset:         160
        .size:           2
        .value_kind:     hidden_group_size_z
      - .offset:         162
        .size:           2
        .value_kind:     hidden_remainder_x
      - .offset:         164
        .size:           2
        .value_kind:     hidden_remainder_y
      - .offset:         166
        .size:           2
        .value_kind:     hidden_remainder_z
      - .offset:         184
        .size:           8
        .value_kind:     hidden_global_offset_x
      - .offset:         192
        .size:           8
        .value_kind:     hidden_global_offset_y
      - .offset:         200
        .size:           8
        .value_kind:     hidden_global_offset_z
      - .offset:         208
        .size:           2
        .value_kind:     hidden_grid_dims
    .group_segment_fixed_size: 0
    .kernarg_segment_align: 8
    .kernarg_segment_size: 400
    .language:       OpenCL C
    .language_version:
      - 2
      - 0
    .max_flat_workgroup_size: 1024
    .name:           _ZN5aiter35fused_qk_rmsnorm_group_quant_kernelIDF16_DB8_Li64ELi4ELi16ELb0ELb0ELb1ELb0ELb0ELb0EEEvPT0_PvPT_S6_S6_PKS5_S8_S8_S8_S8_ffiiiiiiiiiiiii
    .private_segment_fixed_size: 0
    .sgpr_count:     36
    .sgpr_spill_count: 0
    .symbol:         _ZN5aiter35fused_qk_rmsnorm_group_quant_kernelIDF16_DB8_Li64ELi4ELi16ELb0ELb0ELb1ELb0ELb0ELb0EEEvPT0_PvPT_S6_S6_PKS5_S8_S8_S8_S8_ffiiiiiiiiiiiii.kd
    .uniform_work_group_size: 1
    .uses_dynamic_stack: false
    .vgpr_count:     17
    .vgpr_spill_count: 0
    .wavefront_size: 64
  - .agpr_count:     0
    .args:
      - .actual_access:  write_only
        .address_space:  global
        .offset:         0
        .size:           8
        .value_kind:     global_buffer
      - .actual_access:  write_only
        .address_space:  global
        .offset:         8
        .size:           8
        .value_kind:     global_buffer
      - .actual_access:  read_only
        .address_space:  global
        .offset:         16
        .size:           8
        .value_kind:     global_buffer
      - .actual_access:  write_only
        .address_space:  global
        .offset:         24
        .size:           8
        .value_kind:     global_buffer
      - .actual_access:  read_only
        .address_space:  global
        .offset:         32
        .size:           8
        .value_kind:     global_buffer
      - .actual_access:  read_only
        .address_space:  global
        .offset:         40
        .size:           8
        .value_kind:     global_buffer
      - .actual_access:  read_only
        .address_space:  global
        .offset:         48
        .size:           8
        .value_kind:     global_buffer
      - .actual_access:  read_only
        .address_space:  global
        .offset:         56
        .size:           8
        .value_kind:     global_buffer
      - .actual_access:  read_only
        .address_space:  global
        .offset:         64
        .size:           8
        .value_kind:     global_buffer
      - .actual_access:  read_only
        .address_space:  global
        .offset:         72
        .size:           8
        .value_kind:     global_buffer
      - .offset:         80
        .size:           4
        .value_kind:     by_value
      - .offset:         84
        .size:           4
        .value_kind:     by_value
      - .offset:         88
        .size:           4
        .value_kind:     by_value
      - .offset:         92
        .size:           4
        .value_kind:     by_value
      - .offset:         96
        .size:           4
        .value_kind:     by_value
      - .offset:         100
        .size:           4
        .value_kind:     by_value
      - .offset:         104
        .size:           4
        .value_kind:     by_value
      - .offset:         108
        .size:           4
        .value_kind:     by_value
      - .offset:         112
        .size:           4
        .value_kind:     by_value
      - .offset:         116
        .size:           4
        .value_kind:     by_value
      - .offset:         120
        .size:           4
        .value_kind:     by_value
      - .offset:         124
        .size:           4
        .value_kind:     by_value
      - .offset:         128
        .size:           4
        .value_kind:     by_value
      - .offset:         132
        .size:           4
        .value_kind:     by_value
      - .offset:         136
        .size:           4
        .value_kind:     by_value
      - .offset:         144
        .size:           4
        .value_kind:     hidden_block_count_x
      - .offset:         148
        .size:           4
        .value_kind:     hidden_block_count_y
      - .offset:         152
        .size:           4
        .value_kind:     hidden_block_count_z
      - .offset:         156
        .size:           2
        .value_kind:     hidden_group_size_x
      - .offset:         158
        .size:           2
        .value_kind:     hidden_group_size_y
      - .offset:         160
        .size:           2
        .value_kind:     hidden_group_size_z
      - .offset:         162
        .size:           2
        .value_kind:     hidden_remainder_x
      - .offset:         164
        .size:           2
        .value_kind:     hidden_remainder_y
      - .offset:         166
        .size:           2
        .value_kind:     hidden_remainder_z
      - .offset:         184
        .size:           8
        .value_kind:     hidden_global_offset_x
      - .offset:         192
        .size:           8
        .value_kind:     hidden_global_offset_y
      - .offset:         200
        .size:           8
        .value_kind:     hidden_global_offset_z
      - .offset:         208
        .size:           2
        .value_kind:     hidden_grid_dims
    .group_segment_fixed_size: 0
    .kernarg_segment_align: 8
    .kernarg_segment_size: 400
    .language:       OpenCL C
    .language_version:
      - 2
      - 0
    .max_flat_workgroup_size: 1024
    .name:           _ZN5aiter35fused_qk_rmsnorm_group_quant_kernelItDB8_Li64ELi4ELi16ELb0ELb0ELb1ELb0ELb0ELb0EEEvPT0_PvPT_S6_S6_PKS5_S8_S8_S8_S8_ffiiiiiiiiiiiii
    .private_segment_fixed_size: 0
    .sgpr_count:     36
    .sgpr_spill_count: 0
    .symbol:         _ZN5aiter35fused_qk_rmsnorm_group_quant_kernelItDB8_Li64ELi4ELi16ELb0ELb0ELb1ELb0ELb0ELb0EEEvPT0_PvPT_S6_S6_PKS5_S8_S8_S8_S8_ffiiiiiiiiiiiii.kd
    .uniform_work_group_size: 1
    .uses_dynamic_stack: false
    .vgpr_count:     17
    .vgpr_spill_count: 0
    .wavefront_size: 64
  - .agpr_count:     0
    .args:
      - .actual_access:  write_only
        .address_space:  global
        .offset:         0
        .size:           8
        .value_kind:     global_buffer
      - .actual_access:  write_only
        .address_space:  global
        .offset:         8
        .size:           8
        .value_kind:     global_buffer
      - .actual_access:  read_only
        .address_space:  global
        .offset:         16
        .size:           8
        .value_kind:     global_buffer
      - .actual_access:  write_only
        .address_space:  global
        .offset:         24
        .size:           8
        .value_kind:     global_buffer
      - .actual_access:  read_only
        .address_space:  global
        .offset:         32
        .size:           8
        .value_kind:     global_buffer
      - .actual_access:  read_only
        .address_space:  global
        .offset:         40
        .size:           8
        .value_kind:     global_buffer
      - .actual_access:  read_only
        .address_space:  global
        .offset:         48
        .size:           8
        .value_kind:     global_buffer
      - .actual_access:  read_only
        .address_space:  global
        .offset:         56
        .size:           8
        .value_kind:     global_buffer
      - .actual_access:  read_only
        .address_space:  global
        .offset:         64
        .size:           8
        .value_kind:     global_buffer
      - .actual_access:  read_only
        .address_space:  global
        .offset:         72
        .size:           8
        .value_kind:     global_buffer
      - .offset:         80
        .size:           4
        .value_kind:     by_value
      - .offset:         84
        .size:           4
        .value_kind:     by_value
      - .offset:         88
        .size:           4
        .value_kind:     by_value
      - .offset:         92
        .size:           4
        .value_kind:     by_value
      - .offset:         96
        .size:           4
        .value_kind:     by_value
      - .offset:         100
        .size:           4
        .value_kind:     by_value
      - .offset:         104
        .size:           4
        .value_kind:     by_value
      - .offset:         108
        .size:           4
        .value_kind:     by_value
      - .offset:         112
        .size:           4
        .value_kind:     by_value
      - .offset:         116
        .size:           4
        .value_kind:     by_value
      - .offset:         120
        .size:           4
        .value_kind:     by_value
      - .offset:         124
        .size:           4
        .value_kind:     by_value
      - .offset:         128
        .size:           4
        .value_kind:     by_value
      - .offset:         132
        .size:           4
        .value_kind:     by_value
      - .offset:         136
        .size:           4
        .value_kind:     by_value
      - .offset:         144
        .size:           4
        .value_kind:     hidden_block_count_x
      - .offset:         148
        .size:           4
        .value_kind:     hidden_block_count_y
      - .offset:         152
        .size:           4
        .value_kind:     hidden_block_count_z
      - .offset:         156
        .size:           2
        .value_kind:     hidden_group_size_x
      - .offset:         158
        .size:           2
        .value_kind:     hidden_group_size_y
      - .offset:         160
        .size:           2
        .value_kind:     hidden_group_size_z
      - .offset:         162
        .size:           2
        .value_kind:     hidden_remainder_x
      - .offset:         164
        .size:           2
        .value_kind:     hidden_remainder_y
      - .offset:         166
        .size:           2
        .value_kind:     hidden_remainder_z
      - .offset:         184
        .size:           8
        .value_kind:     hidden_global_offset_x
      - .offset:         192
        .size:           8
        .value_kind:     hidden_global_offset_y
      - .offset:         200
        .size:           8
        .value_kind:     hidden_global_offset_z
      - .offset:         208
        .size:           2
        .value_kind:     hidden_grid_dims
    .group_segment_fixed_size: 0
    .kernarg_segment_align: 8
    .kernarg_segment_size: 400
    .language:       OpenCL C
    .language_version:
      - 2
      - 0
    .max_flat_workgroup_size: 1024
    .name:           _ZN5aiter35fused_qk_rmsnorm_group_quant_kernelIDF16_DB8_Li64ELi4ELi16ELb0ELb0ELb0ELb0ELb0ELb0EEEvPT0_PvPT_S6_S6_PKS5_S8_S8_S8_S8_ffiiiiiiiiiiiii
    .private_segment_fixed_size: 0
    .sgpr_count:     36
    .sgpr_spill_count: 0
    .symbol:         _ZN5aiter35fused_qk_rmsnorm_group_quant_kernelIDF16_DB8_Li64ELi4ELi16ELb0ELb0ELb0ELb0ELb0ELb0EEEvPT0_PvPT_S6_S6_PKS5_S8_S8_S8_S8_ffiiiiiiiiiiiii.kd
    .uniform_work_group_size: 1
    .uses_dynamic_stack: false
    .vgpr_count:     17
    .vgpr_spill_count: 0
    .wavefront_size: 64
  - .agpr_count:     0
    .args:
      - .actual_access:  write_only
        .address_space:  global
        .offset:         0
        .size:           8
        .value_kind:     global_buffer
      - .actual_access:  write_only
        .address_space:  global
        .offset:         8
        .size:           8
        .value_kind:     global_buffer
      - .actual_access:  read_only
        .address_space:  global
        .offset:         16
        .size:           8
        .value_kind:     global_buffer
      - .actual_access:  write_only
        .address_space:  global
        .offset:         24
        .size:           8
        .value_kind:     global_buffer
      - .actual_access:  read_only
        .address_space:  global
        .offset:         32
        .size:           8
        .value_kind:     global_buffer
      - .actual_access:  read_only
        .address_space:  global
        .offset:         40
        .size:           8
        .value_kind:     global_buffer
      - .actual_access:  read_only
        .address_space:  global
        .offset:         48
        .size:           8
        .value_kind:     global_buffer
      - .actual_access:  read_only
        .address_space:  global
        .offset:         56
        .size:           8
        .value_kind:     global_buffer
      - .actual_access:  read_only
        .address_space:  global
        .offset:         64
        .size:           8
        .value_kind:     global_buffer
      - .actual_access:  read_only
        .address_space:  global
        .offset:         72
        .size:           8
        .value_kind:     global_buffer
      - .offset:         80
        .size:           4
        .value_kind:     by_value
      - .offset:         84
        .size:           4
        .value_kind:     by_value
      - .offset:         88
        .size:           4
        .value_kind:     by_value
      - .offset:         92
        .size:           4
        .value_kind:     by_value
      - .offset:         96
        .size:           4
        .value_kind:     by_value
      - .offset:         100
        .size:           4
        .value_kind:     by_value
      - .offset:         104
        .size:           4
        .value_kind:     by_value
      - .offset:         108
        .size:           4
        .value_kind:     by_value
      - .offset:         112
        .size:           4
        .value_kind:     by_value
      - .offset:         116
        .size:           4
        .value_kind:     by_value
      - .offset:         120
        .size:           4
        .value_kind:     by_value
      - .offset:         124
        .size:           4
        .value_kind:     by_value
      - .offset:         128
        .size:           4
        .value_kind:     by_value
      - .offset:         132
        .size:           4
        .value_kind:     by_value
      - .offset:         136
        .size:           4
        .value_kind:     by_value
      - .offset:         144
        .size:           4
        .value_kind:     hidden_block_count_x
      - .offset:         148
        .size:           4
        .value_kind:     hidden_block_count_y
      - .offset:         152
        .size:           4
        .value_kind:     hidden_block_count_z
      - .offset:         156
        .size:           2
        .value_kind:     hidden_group_size_x
      - .offset:         158
        .size:           2
        .value_kind:     hidden_group_size_y
      - .offset:         160
        .size:           2
        .value_kind:     hidden_group_size_z
      - .offset:         162
        .size:           2
        .value_kind:     hidden_remainder_x
      - .offset:         164
        .size:           2
        .value_kind:     hidden_remainder_y
      - .offset:         166
        .size:           2
        .value_kind:     hidden_remainder_z
      - .offset:         184
        .size:           8
        .value_kind:     hidden_global_offset_x
      - .offset:         192
        .size:           8
        .value_kind:     hidden_global_offset_y
      - .offset:         200
        .size:           8
        .value_kind:     hidden_global_offset_z
      - .offset:         208
        .size:           2
        .value_kind:     hidden_grid_dims
    .group_segment_fixed_size: 0
    .kernarg_segment_align: 8
    .kernarg_segment_size: 400
    .language:       OpenCL C
    .language_version:
      - 2
      - 0
    .max_flat_workgroup_size: 1024
    .name:           _ZN5aiter35fused_qk_rmsnorm_group_quant_kernelItDB8_Li64ELi4ELi16ELb0ELb0ELb0ELb0ELb0ELb0EEEvPT0_PvPT_S6_S6_PKS5_S8_S8_S8_S8_ffiiiiiiiiiiiii
    .private_segment_fixed_size: 0
    .sgpr_count:     36
    .sgpr_spill_count: 0
    .symbol:         _ZN5aiter35fused_qk_rmsnorm_group_quant_kernelItDB8_Li64ELi4ELi16ELb0ELb0ELb0ELb0ELb0ELb0EEEvPT0_PvPT_S6_S6_PKS5_S8_S8_S8_S8_ffiiiiiiiiiiiii.kd
    .uniform_work_group_size: 1
    .uses_dynamic_stack: false
    .vgpr_count:     17
    .vgpr_spill_count: 0
    .wavefront_size: 64
  - .agpr_count:     0
    .args:
      - .actual_access:  read_only
        .address_space:  global
        .offset:         0
        .size:           8
        .value_kind:     global_buffer
      - .actual_access:  read_only
        .address_space:  global
        .offset:         8
        .size:           8
        .value_kind:     global_buffer
      - .actual_access:  write_only
        .address_space:  global
        .offset:         16
        .size:           8
        .value_kind:     global_buffer
      - .actual_access:  write_only
        .address_space:  global
        .offset:         24
        .size:           8
        .value_kind:     global_buffer
      - .actual_access:  write_only
        .address_space:  global
        .offset:         32
        .size:           8
        .value_kind:     global_buffer
      - .actual_access:  read_only
        .address_space:  global
        .offset:         40
        .size:           8
        .value_kind:     global_buffer
      - .actual_access:  read_only
        .address_space:  global
        .offset:         48
        .size:           8
        .value_kind:     global_buffer
      - .actual_access:  read_only
        .address_space:  global
        .offset:         56
        .size:           8
        .value_kind:     global_buffer
      - .actual_access:  read_only
        .address_space:  global
        .offset:         64
        .size:           8
        .value_kind:     global_buffer
      - .actual_access:  read_only
        .address_space:  global
        .offset:         72
        .size:           8
        .value_kind:     global_buffer
      - .offset:         80
        .size:           4
        .value_kind:     by_value
      - .offset:         84
        .size:           4
        .value_kind:     by_value
      - .offset:         88
        .size:           4
        .value_kind:     by_value
      - .offset:         92
        .size:           4
        .value_kind:     by_value
      - .offset:         96
        .size:           4
        .value_kind:     by_value
      - .offset:         100
        .size:           4
        .value_kind:     by_value
      - .offset:         104
        .size:           4
        .value_kind:     by_value
      - .offset:         108
        .size:           4
        .value_kind:     by_value
      - .offset:         112
        .size:           4
        .value_kind:     by_value
      - .offset:         116
        .size:           4
        .value_kind:     by_value
      - .offset:         120
        .size:           4
        .value_kind:     by_value
      - .offset:         124
        .size:           4
        .value_kind:     by_value
      - .offset:         128
        .size:           4
        .value_kind:     by_value
      - .offset:         132
        .size:           4
        .value_kind:     by_value
      - .offset:         136
        .size:           4
        .value_kind:     by_value
      - .offset:         144
        .size:           4
        .value_kind:     hidden_block_count_x
      - .offset:         148
        .size:           4
        .value_kind:     hidden_block_count_y
      - .offset:         152
        .size:           4
        .value_kind:     hidden_block_count_z
      - .offset:         156
        .size:           2
        .value_kind:     hidden_group_size_x
      - .offset:         158
        .size:           2
        .value_kind:     hidden_group_size_y
      - .offset:         160
        .size:           2
        .value_kind:     hidden_group_size_z
      - .offset:         162
        .size:           2
        .value_kind:     hidden_remainder_x
      - .offset:         164
        .size:           2
        .value_kind:     hidden_remainder_y
      - .offset:         166
        .size:           2
        .value_kind:     hidden_remainder_z
      - .offset:         184
        .size:           8
        .value_kind:     hidden_global_offset_x
      - .offset:         192
        .size:           8
        .value_kind:     hidden_global_offset_y
      - .offset:         200
        .size:           8
        .value_kind:     hidden_global_offset_z
      - .offset:         208
        .size:           2
        .value_kind:     hidden_grid_dims
    .group_segment_fixed_size: 0
    .kernarg_segment_align: 8
    .kernarg_segment_size: 400
    .language:       OpenCL C
    .language_version:
      - 2
      - 0
    .max_flat_workgroup_size: 1024
    .name:           _ZN5aiter35fused_qk_rmsnorm_group_quant_kernelIDF16_DB8_Li64ELi4ELi8ELb1ELb1ELb1ELb1ELb0ELb0EEEvPT0_PvPT_S6_S6_PKS5_S8_S8_S8_S8_ffiiiiiiiiiiiii
    .private_segment_fixed_size: 0
    .sgpr_count:     36
    .sgpr_spill_count: 0
    .symbol:         _ZN5aiter35fused_qk_rmsnorm_group_quant_kernelIDF16_DB8_Li64ELi4ELi8ELb1ELb1ELb1ELb1ELb0ELb0EEEvPT0_PvPT_S6_S6_PKS5_S8_S8_S8_S8_ffiiiiiiiiiiiii.kd
    .uniform_work_group_size: 1
    .uses_dynamic_stack: false
    .vgpr_count:     16
    .vgpr_spill_count: 0
    .wavefront_size: 64
  - .agpr_count:     0
    .args:
      - .actual_access:  read_only
        .address_space:  global
        .offset:         0
        .size:           8
        .value_kind:     global_buffer
      - .actual_access:  read_only
        .address_space:  global
        .offset:         8
        .size:           8
        .value_kind:     global_buffer
      - .actual_access:  write_only
        .address_space:  global
        .offset:         16
        .size:           8
        .value_kind:     global_buffer
      - .actual_access:  write_only
        .address_space:  global
        .offset:         24
        .size:           8
        .value_kind:     global_buffer
      - .actual_access:  write_only
        .address_space:  global
        .offset:         32
        .size:           8
        .value_kind:     global_buffer
      - .actual_access:  read_only
        .address_space:  global
        .offset:         40
        .size:           8
        .value_kind:     global_buffer
      - .actual_access:  read_only
        .address_space:  global
        .offset:         48
        .size:           8
        .value_kind:     global_buffer
      - .actual_access:  read_only
        .address_space:  global
        .offset:         56
        .size:           8
        .value_kind:     global_buffer
      - .actual_access:  read_only
        .address_space:  global
        .offset:         64
        .size:           8
        .value_kind:     global_buffer
      - .actual_access:  read_only
        .address_space:  global
        .offset:         72
        .size:           8
        .value_kind:     global_buffer
      - .offset:         80
        .size:           4
        .value_kind:     by_value
      - .offset:         84
        .size:           4
        .value_kind:     by_value
      - .offset:         88
        .size:           4
        .value_kind:     by_value
      - .offset:         92
        .size:           4
        .value_kind:     by_value
      - .offset:         96
        .size:           4
        .value_kind:     by_value
      - .offset:         100
        .size:           4
        .value_kind:     by_value
      - .offset:         104
        .size:           4
        .value_kind:     by_value
      - .offset:         108
        .size:           4
        .value_kind:     by_value
      - .offset:         112
        .size:           4
        .value_kind:     by_value
      - .offset:         116
        .size:           4
        .value_kind:     by_value
      - .offset:         120
        .size:           4
        .value_kind:     by_value
      - .offset:         124
        .size:           4
        .value_kind:     by_value
      - .offset:         128
        .size:           4
        .value_kind:     by_value
      - .offset:         132
        .size:           4
        .value_kind:     by_value
      - .offset:         136
        .size:           4
        .value_kind:     by_value
      - .offset:         144
        .size:           4
        .value_kind:     hidden_block_count_x
      - .offset:         148
        .size:           4
        .value_kind:     hidden_block_count_y
      - .offset:         152
        .size:           4
        .value_kind:     hidden_block_count_z
      - .offset:         156
        .size:           2
        .value_kind:     hidden_group_size_x
      - .offset:         158
        .size:           2
        .value_kind:     hidden_group_size_y
      - .offset:         160
        .size:           2
        .value_kind:     hidden_group_size_z
      - .offset:         162
        .size:           2
        .value_kind:     hidden_remainder_x
      - .offset:         164
        .size:           2
        .value_kind:     hidden_remainder_y
      - .offset:         166
        .size:           2
        .value_kind:     hidden_remainder_z
      - .offset:         184
        .size:           8
        .value_kind:     hidden_global_offset_x
      - .offset:         192
        .size:           8
        .value_kind:     hidden_global_offset_y
      - .offset:         200
        .size:           8
        .value_kind:     hidden_global_offset_z
      - .offset:         208
        .size:           2
        .value_kind:     hidden_grid_dims
    .group_segment_fixed_size: 0
    .kernarg_segment_align: 8
    .kernarg_segment_size: 400
    .language:       OpenCL C
    .language_version:
      - 2
      - 0
    .max_flat_workgroup_size: 1024
    .name:           _ZN5aiter35fused_qk_rmsnorm_group_quant_kernelItDB8_Li64ELi4ELi8ELb1ELb1ELb1ELb1ELb0ELb0EEEvPT0_PvPT_S6_S6_PKS5_S8_S8_S8_S8_ffiiiiiiiiiiiii
    .private_segment_fixed_size: 0
    .sgpr_count:     36
    .sgpr_spill_count: 0
    .symbol:         _ZN5aiter35fused_qk_rmsnorm_group_quant_kernelItDB8_Li64ELi4ELi8ELb1ELb1ELb1ELb1ELb0ELb0EEEvPT0_PvPT_S6_S6_PKS5_S8_S8_S8_S8_ffiiiiiiiiiiiii.kd
    .uniform_work_group_size: 1
    .uses_dynamic_stack: false
    .vgpr_count:     16
    .vgpr_spill_count: 0
    .wavefront_size: 64
  - .agpr_count:     0
    .args:
      - .actual_access:  read_only
        .address_space:  global
        .offset:         0
        .size:           8
        .value_kind:     global_buffer
      - .actual_access:  read_only
        .address_space:  global
        .offset:         8
        .size:           8
        .value_kind:     global_buffer
      - .actual_access:  write_only
        .address_space:  global
        .offset:         16
        .size:           8
        .value_kind:     global_buffer
      - .actual_access:  write_only
        .address_space:  global
        .offset:         24
        .size:           8
        .value_kind:     global_buffer
      - .actual_access:  write_only
        .address_space:  global
        .offset:         32
        .size:           8
        .value_kind:     global_buffer
      - .actual_access:  read_only
        .address_space:  global
        .offset:         40
        .size:           8
        .value_kind:     global_buffer
      - .actual_access:  read_only
        .address_space:  global
        .offset:         48
        .size:           8
        .value_kind:     global_buffer
      - .actual_access:  read_only
        .address_space:  global
        .offset:         56
        .size:           8
        .value_kind:     global_buffer
      - .actual_access:  read_only
        .address_space:  global
        .offset:         64
        .size:           8
        .value_kind:     global_buffer
      - .actual_access:  read_only
        .address_space:  global
        .offset:         72
        .size:           8
        .value_kind:     global_buffer
      - .offset:         80
        .size:           4
        .value_kind:     by_value
      - .offset:         84
        .size:           4
        .value_kind:     by_value
      - .offset:         88
        .size:           4
        .value_kind:     by_value
      - .offset:         92
        .size:           4
        .value_kind:     by_value
      - .offset:         96
        .size:           4
        .value_kind:     by_value
      - .offset:         100
        .size:           4
        .value_kind:     by_value
      - .offset:         104
        .size:           4
        .value_kind:     by_value
      - .offset:         108
        .size:           4
        .value_kind:     by_value
      - .offset:         112
        .size:           4
        .value_kind:     by_value
      - .offset:         116
        .size:           4
        .value_kind:     by_value
      - .offset:         120
        .size:           4
        .value_kind:     by_value
      - .offset:         124
        .size:           4
        .value_kind:     by_value
      - .offset:         128
        .size:           4
        .value_kind:     by_value
      - .offset:         132
        .size:           4
        .value_kind:     by_value
      - .offset:         136
        .size:           4
        .value_kind:     by_value
      - .offset:         144
        .size:           4
        .value_kind:     hidden_block_count_x
      - .offset:         148
        .size:           4
        .value_kind:     hidden_block_count_y
      - .offset:         152
        .size:           4
        .value_kind:     hidden_block_count_z
      - .offset:         156
        .size:           2
        .value_kind:     hidden_group_size_x
      - .offset:         158
        .size:           2
        .value_kind:     hidden_group_size_y
      - .offset:         160
        .size:           2
        .value_kind:     hidden_group_size_z
      - .offset:         162
        .size:           2
        .value_kind:     hidden_remainder_x
      - .offset:         164
        .size:           2
        .value_kind:     hidden_remainder_y
      - .offset:         166
        .size:           2
        .value_kind:     hidden_remainder_z
      - .offset:         184
        .size:           8
        .value_kind:     hidden_global_offset_x
      - .offset:         192
        .size:           8
        .value_kind:     hidden_global_offset_y
      - .offset:         200
        .size:           8
        .value_kind:     hidden_global_offset_z
      - .offset:         208
        .size:           2
        .value_kind:     hidden_grid_dims
    .group_segment_fixed_size: 0
    .kernarg_segment_align: 8
    .kernarg_segment_size: 400
    .language:       OpenCL C
    .language_version:
      - 2
      - 0
    .max_flat_workgroup_size: 1024
    .name:           _ZN5aiter35fused_qk_rmsnorm_group_quant_kernelIDF16_DB8_Li64ELi4ELi8ELb1ELb1ELb0ELb1ELb0ELb0EEEvPT0_PvPT_S6_S6_PKS5_S8_S8_S8_S8_ffiiiiiiiiiiiii
    .private_segment_fixed_size: 0
    .sgpr_count:     36
    .sgpr_spill_count: 0
    .symbol:         _ZN5aiter35fused_qk_rmsnorm_group_quant_kernelIDF16_DB8_Li64ELi4ELi8ELb1ELb1ELb0ELb1ELb0ELb0EEEvPT0_PvPT_S6_S6_PKS5_S8_S8_S8_S8_ffiiiiiiiiiiiii.kd
    .uniform_work_group_size: 1
    .uses_dynamic_stack: false
    .vgpr_count:     16
    .vgpr_spill_count: 0
    .wavefront_size: 64
  - .agpr_count:     0
    .args:
      - .actual_access:  read_only
        .address_space:  global
        .offset:         0
        .size:           8
        .value_kind:     global_buffer
      - .actual_access:  read_only
        .address_space:  global
        .offset:         8
        .size:           8
        .value_kind:     global_buffer
      - .actual_access:  write_only
        .address_space:  global
        .offset:         16
        .size:           8
        .value_kind:     global_buffer
      - .actual_access:  write_only
        .address_space:  global
        .offset:         24
        .size:           8
        .value_kind:     global_buffer
      - .actual_access:  write_only
        .address_space:  global
        .offset:         32
        .size:           8
        .value_kind:     global_buffer
      - .actual_access:  read_only
        .address_space:  global
        .offset:         40
        .size:           8
        .value_kind:     global_buffer
      - .actual_access:  read_only
        .address_space:  global
        .offset:         48
        .size:           8
        .value_kind:     global_buffer
      - .actual_access:  read_only
        .address_space:  global
        .offset:         56
        .size:           8
        .value_kind:     global_buffer
      - .actual_access:  read_only
        .address_space:  global
        .offset:         64
        .size:           8
        .value_kind:     global_buffer
      - .actual_access:  read_only
        .address_space:  global
        .offset:         72
        .size:           8
        .value_kind:     global_buffer
      - .offset:         80
        .size:           4
        .value_kind:     by_value
      - .offset:         84
        .size:           4
        .value_kind:     by_value
      - .offset:         88
        .size:           4
        .value_kind:     by_value
      - .offset:         92
        .size:           4
        .value_kind:     by_value
      - .offset:         96
        .size:           4
        .value_kind:     by_value
      - .offset:         100
        .size:           4
        .value_kind:     by_value
      - .offset:         104
        .size:           4
        .value_kind:     by_value
      - .offset:         108
        .size:           4
        .value_kind:     by_value
      - .offset:         112
        .size:           4
        .value_kind:     by_value
      - .offset:         116
        .size:           4
        .value_kind:     by_value
      - .offset:         120
        .size:           4
        .value_kind:     by_value
      - .offset:         124
        .size:           4
        .value_kind:     by_value
      - .offset:         128
        .size:           4
        .value_kind:     by_value
      - .offset:         132
        .size:           4
        .value_kind:     by_value
      - .offset:         136
        .size:           4
        .value_kind:     by_value
      - .offset:         144
        .size:           4
        .value_kind:     hidden_block_count_x
      - .offset:         148
        .size:           4
        .value_kind:     hidden_block_count_y
      - .offset:         152
        .size:           4
        .value_kind:     hidden_block_count_z
      - .offset:         156
        .size:           2
        .value_kind:     hidden_group_size_x
      - .offset:         158
        .size:           2
        .value_kind:     hidden_group_size_y
      - .offset:         160
        .size:           2
        .value_kind:     hidden_group_size_z
      - .offset:         162
        .size:           2
        .value_kind:     hidden_remainder_x
      - .offset:         164
        .size:           2
        .value_kind:     hidden_remainder_y
      - .offset:         166
        .size:           2
        .value_kind:     hidden_remainder_z
      - .offset:         184
        .size:           8
        .value_kind:     hidden_global_offset_x
      - .offset:         192
        .size:           8
        .value_kind:     hidden_global_offset_y
      - .offset:         200
        .size:           8
        .value_kind:     hidden_global_offset_z
      - .offset:         208
        .size:           2
        .value_kind:     hidden_grid_dims
    .group_segment_fixed_size: 0
    .kernarg_segment_align: 8
    .kernarg_segment_size: 400
    .language:       OpenCL C
    .language_version:
      - 2
      - 0
    .max_flat_workgroup_size: 1024
    .name:           _ZN5aiter35fused_qk_rmsnorm_group_quant_kernelItDB8_Li64ELi4ELi8ELb1ELb1ELb0ELb1ELb0ELb0EEEvPT0_PvPT_S6_S6_PKS5_S8_S8_S8_S8_ffiiiiiiiiiiiii
    .private_segment_fixed_size: 0
    .sgpr_count:     36
    .sgpr_spill_count: 0
    .symbol:         _ZN5aiter35fused_qk_rmsnorm_group_quant_kernelItDB8_Li64ELi4ELi8ELb1ELb1ELb0ELb1ELb0ELb0EEEvPT0_PvPT_S6_S6_PKS5_S8_S8_S8_S8_ffiiiiiiiiiiiii.kd
    .uniform_work_group_size: 1
    .uses_dynamic_stack: false
    .vgpr_count:     16
    .vgpr_spill_count: 0
    .wavefront_size: 64
  - .agpr_count:     0
    .args:
      - .actual_access:  read_only
        .address_space:  global
        .offset:         0
        .size:           8
        .value_kind:     global_buffer
      - .actual_access:  read_only
        .address_space:  global
        .offset:         8
        .size:           8
        .value_kind:     global_buffer
      - .actual_access:  write_only
        .address_space:  global
        .offset:         16
        .size:           8
        .value_kind:     global_buffer
      - .actual_access:  write_only
        .address_space:  global
        .offset:         24
        .size:           8
        .value_kind:     global_buffer
      - .actual_access:  read_only
        .address_space:  global
        .offset:         32
        .size:           8
        .value_kind:     global_buffer
      - .actual_access:  read_only
        .address_space:  global
        .offset:         40
        .size:           8
        .value_kind:     global_buffer
      - .actual_access:  read_only
        .address_space:  global
        .offset:         48
        .size:           8
        .value_kind:     global_buffer
      - .actual_access:  read_only
        .address_space:  global
        .offset:         56
        .size:           8
        .value_kind:     global_buffer
      - .actual_access:  read_only
        .address_space:  global
        .offset:         64
        .size:           8
        .value_kind:     global_buffer
      - .actual_access:  read_only
        .address_space:  global
        .offset:         72
        .size:           8
        .value_kind:     global_buffer
      - .offset:         80
        .size:           4
        .value_kind:     by_value
      - .offset:         84
        .size:           4
        .value_kind:     by_value
      - .offset:         88
        .size:           4
        .value_kind:     by_value
      - .offset:         92
        .size:           4
        .value_kind:     by_value
      - .offset:         96
        .size:           4
        .value_kind:     by_value
      - .offset:         100
        .size:           4
        .value_kind:     by_value
      - .offset:         104
        .size:           4
        .value_kind:     by_value
      - .offset:         108
        .size:           4
        .value_kind:     by_value
      - .offset:         112
        .size:           4
        .value_kind:     by_value
      - .offset:         116
        .size:           4
        .value_kind:     by_value
      - .offset:         120
        .size:           4
        .value_kind:     by_value
      - .offset:         124
        .size:           4
        .value_kind:     by_value
      - .offset:         128
        .size:           4
        .value_kind:     by_value
      - .offset:         132
        .size:           4
        .value_kind:     by_value
      - .offset:         136
        .size:           4
        .value_kind:     by_value
      - .offset:         144
        .size:           4
        .value_kind:     hidden_block_count_x
      - .offset:         148
        .size:           4
        .value_kind:     hidden_block_count_y
      - .offset:         152
        .size:           4
        .value_kind:     hidden_block_count_z
      - .offset:         156
        .size:           2
        .value_kind:     hidden_group_size_x
      - .offset:         158
        .size:           2
        .value_kind:     hidden_group_size_y
      - .offset:         160
        .size:           2
        .value_kind:     hidden_group_size_z
      - .offset:         162
        .size:           2
        .value_kind:     hidden_remainder_x
      - .offset:         164
        .size:           2
        .value_kind:     hidden_remainder_y
      - .offset:         166
        .size:           2
        .value_kind:     hidden_remainder_z
      - .offset:         184
        .size:           8
        .value_kind:     hidden_global_offset_x
      - .offset:         192
        .size:           8
        .value_kind:     hidden_global_offset_y
      - .offset:         200
        .size:           8
        .value_kind:     hidden_global_offset_z
      - .offset:         208
        .size:           2
        .value_kind:     hidden_grid_dims
    .group_segment_fixed_size: 0
    .kernarg_segment_align: 8
    .kernarg_segment_size: 400
    .language:       OpenCL C
    .language_version:
      - 2
      - 0
    .max_flat_workgroup_size: 1024
    .name:           _ZN5aiter35fused_qk_rmsnorm_group_quant_kernelIDF16_DB8_Li64ELi4ELi8ELb0ELb1ELb1ELb1ELb0ELb0EEEvPT0_PvPT_S6_S6_PKS5_S8_S8_S8_S8_ffiiiiiiiiiiiii
    .private_segment_fixed_size: 0
    .sgpr_count:     36
    .sgpr_spill_count: 0
    .symbol:         _ZN5aiter35fused_qk_rmsnorm_group_quant_kernelIDF16_DB8_Li64ELi4ELi8ELb0ELb1ELb1ELb1ELb0ELb0EEEvPT0_PvPT_S6_S6_PKS5_S8_S8_S8_S8_ffiiiiiiiiiiiii.kd
    .uniform_work_group_size: 1
    .uses_dynamic_stack: false
    .vgpr_count:     17
    .vgpr_spill_count: 0
    .wavefront_size: 64
  - .agpr_count:     0
    .args:
      - .actual_access:  read_only
        .address_space:  global
        .offset:         0
        .size:           8
        .value_kind:     global_buffer
      - .actual_access:  read_only
        .address_space:  global
        .offset:         8
        .size:           8
        .value_kind:     global_buffer
      - .actual_access:  write_only
        .address_space:  global
        .offset:         16
        .size:           8
        .value_kind:     global_buffer
      - .actual_access:  write_only
        .address_space:  global
        .offset:         24
        .size:           8
        .value_kind:     global_buffer
      - .actual_access:  read_only
        .address_space:  global
        .offset:         32
        .size:           8
        .value_kind:     global_buffer
      - .actual_access:  read_only
        .address_space:  global
        .offset:         40
        .size:           8
        .value_kind:     global_buffer
      - .actual_access:  read_only
        .address_space:  global
        .offset:         48
        .size:           8
        .value_kind:     global_buffer
      - .actual_access:  read_only
        .address_space:  global
        .offset:         56
        .size:           8
        .value_kind:     global_buffer
      - .actual_access:  read_only
        .address_space:  global
        .offset:         64
        .size:           8
        .value_kind:     global_buffer
      - .actual_access:  read_only
        .address_space:  global
        .offset:         72
        .size:           8
        .value_kind:     global_buffer
      - .offset:         80
        .size:           4
        .value_kind:     by_value
      - .offset:         84
        .size:           4
        .value_kind:     by_value
      - .offset:         88
        .size:           4
        .value_kind:     by_value
      - .offset:         92
        .size:           4
        .value_kind:     by_value
      - .offset:         96
        .size:           4
        .value_kind:     by_value
      - .offset:         100
        .size:           4
        .value_kind:     by_value
      - .offset:         104
        .size:           4
        .value_kind:     by_value
      - .offset:         108
        .size:           4
        .value_kind:     by_value
      - .offset:         112
        .size:           4
        .value_kind:     by_value
      - .offset:         116
        .size:           4
        .value_kind:     by_value
      - .offset:         120
        .size:           4
        .value_kind:     by_value
      - .offset:         124
        .size:           4
        .value_kind:     by_value
      - .offset:         128
        .size:           4
        .value_kind:     by_value
      - .offset:         132
        .size:           4
        .value_kind:     by_value
      - .offset:         136
        .size:           4
        .value_kind:     by_value
      - .offset:         144
        .size:           4
        .value_kind:     hidden_block_count_x
      - .offset:         148
        .size:           4
        .value_kind:     hidden_block_count_y
      - .offset:         152
        .size:           4
        .value_kind:     hidden_block_count_z
      - .offset:         156
        .size:           2
        .value_kind:     hidden_group_size_x
      - .offset:         158
        .size:           2
        .value_kind:     hidden_group_size_y
      - .offset:         160
        .size:           2
        .value_kind:     hidden_group_size_z
      - .offset:         162
        .size:           2
        .value_kind:     hidden_remainder_x
      - .offset:         164
        .size:           2
        .value_kind:     hidden_remainder_y
      - .offset:         166
        .size:           2
        .value_kind:     hidden_remainder_z
      - .offset:         184
        .size:           8
        .value_kind:     hidden_global_offset_x
      - .offset:         192
        .size:           8
        .value_kind:     hidden_global_offset_y
      - .offset:         200
        .size:           8
        .value_kind:     hidden_global_offset_z
      - .offset:         208
        .size:           2
        .value_kind:     hidden_grid_dims
    .group_segment_fixed_size: 0
    .kernarg_segment_align: 8
    .kernarg_segment_size: 400
    .language:       OpenCL C
    .language_version:
      - 2
      - 0
    .max_flat_workgroup_size: 1024
    .name:           _ZN5aiter35fused_qk_rmsnorm_group_quant_kernelItDB8_Li64ELi4ELi8ELb0ELb1ELb1ELb1ELb0ELb0EEEvPT0_PvPT_S6_S6_PKS5_S8_S8_S8_S8_ffiiiiiiiiiiiii
    .private_segment_fixed_size: 0
    .sgpr_count:     36
    .sgpr_spill_count: 0
    .symbol:         _ZN5aiter35fused_qk_rmsnorm_group_quant_kernelItDB8_Li64ELi4ELi8ELb0ELb1ELb1ELb1ELb0ELb0EEEvPT0_PvPT_S6_S6_PKS5_S8_S8_S8_S8_ffiiiiiiiiiiiii.kd
    .uniform_work_group_size: 1
    .uses_dynamic_stack: false
    .vgpr_count:     17
    .vgpr_spill_count: 0
    .wavefront_size: 64
  - .agpr_count:     0
    .args:
      - .actual_access:  read_only
        .address_space:  global
        .offset:         0
        .size:           8
        .value_kind:     global_buffer
      - .actual_access:  read_only
        .address_space:  global
        .offset:         8
        .size:           8
        .value_kind:     global_buffer
      - .actual_access:  write_only
        .address_space:  global
        .offset:         16
        .size:           8
        .value_kind:     global_buffer
      - .actual_access:  write_only
        .address_space:  global
        .offset:         24
        .size:           8
        .value_kind:     global_buffer
      - .actual_access:  read_only
        .address_space:  global
        .offset:         32
        .size:           8
        .value_kind:     global_buffer
      - .actual_access:  read_only
        .address_space:  global
        .offset:         40
        .size:           8
        .value_kind:     global_buffer
      - .actual_access:  read_only
        .address_space:  global
        .offset:         48
        .size:           8
        .value_kind:     global_buffer
      - .actual_access:  read_only
        .address_space:  global
        .offset:         56
        .size:           8
        .value_kind:     global_buffer
      - .actual_access:  read_only
        .address_space:  global
        .offset:         64
        .size:           8
        .value_kind:     global_buffer
      - .actual_access:  read_only
        .address_space:  global
        .offset:         72
        .size:           8
        .value_kind:     global_buffer
      - .offset:         80
        .size:           4
        .value_kind:     by_value
      - .offset:         84
        .size:           4
        .value_kind:     by_value
      - .offset:         88
        .size:           4
        .value_kind:     by_value
      - .offset:         92
        .size:           4
        .value_kind:     by_value
      - .offset:         96
        .size:           4
        .value_kind:     by_value
      - .offset:         100
        .size:           4
        .value_kind:     by_value
      - .offset:         104
        .size:           4
        .value_kind:     by_value
      - .offset:         108
        .size:           4
        .value_kind:     by_value
      - .offset:         112
        .size:           4
        .value_kind:     by_value
      - .offset:         116
        .size:           4
        .value_kind:     by_value
      - .offset:         120
        .size:           4
        .value_kind:     by_value
      - .offset:         124
        .size:           4
        .value_kind:     by_value
      - .offset:         128
        .size:           4
        .value_kind:     by_value
      - .offset:         132
        .size:           4
        .value_kind:     by_value
      - .offset:         136
        .size:           4
        .value_kind:     by_value
      - .offset:         144
        .size:           4
        .value_kind:     hidden_block_count_x
      - .offset:         148
        .size:           4
        .value_kind:     hidden_block_count_y
      - .offset:         152
        .size:           4
        .value_kind:     hidden_block_count_z
      - .offset:         156
        .size:           2
        .value_kind:     hidden_group_size_x
      - .offset:         158
        .size:           2
        .value_kind:     hidden_group_size_y
      - .offset:         160
        .size:           2
        .value_kind:     hidden_group_size_z
      - .offset:         162
        .size:           2
        .value_kind:     hidden_remainder_x
      - .offset:         164
        .size:           2
        .value_kind:     hidden_remainder_y
      - .offset:         166
        .size:           2
        .value_kind:     hidden_remainder_z
      - .offset:         184
        .size:           8
        .value_kind:     hidden_global_offset_x
      - .offset:         192
        .size:           8
        .value_kind:     hidden_global_offset_y
      - .offset:         200
        .size:           8
        .value_kind:     hidden_global_offset_z
      - .offset:         208
        .size:           2
        .value_kind:     hidden_grid_dims
    .group_segment_fixed_size: 0
    .kernarg_segment_align: 8
    .kernarg_segment_size: 400
    .language:       OpenCL C
    .language_version:
      - 2
      - 0
    .max_flat_workgroup_size: 1024
    .name:           _ZN5aiter35fused_qk_rmsnorm_group_quant_kernelIDF16_DB8_Li64ELi4ELi8ELb0ELb1ELb0ELb1ELb0ELb0EEEvPT0_PvPT_S6_S6_PKS5_S8_S8_S8_S8_ffiiiiiiiiiiiii
    .private_segment_fixed_size: 0
    .sgpr_count:     36
    .sgpr_spill_count: 0
    .symbol:         _ZN5aiter35fused_qk_rmsnorm_group_quant_kernelIDF16_DB8_Li64ELi4ELi8ELb0ELb1ELb0ELb1ELb0ELb0EEEvPT0_PvPT_S6_S6_PKS5_S8_S8_S8_S8_ffiiiiiiiiiiiii.kd
    .uniform_work_group_size: 1
    .uses_dynamic_stack: false
    .vgpr_count:     17
    .vgpr_spill_count: 0
    .wavefront_size: 64
  - .agpr_count:     0
    .args:
      - .actual_access:  read_only
        .address_space:  global
        .offset:         0
        .size:           8
        .value_kind:     global_buffer
      - .actual_access:  read_only
        .address_space:  global
        .offset:         8
        .size:           8
        .value_kind:     global_buffer
      - .actual_access:  write_only
        .address_space:  global
        .offset:         16
        .size:           8
        .value_kind:     global_buffer
      - .actual_access:  write_only
        .address_space:  global
        .offset:         24
        .size:           8
        .value_kind:     global_buffer
      - .actual_access:  read_only
        .address_space:  global
        .offset:         32
        .size:           8
        .value_kind:     global_buffer
      - .actual_access:  read_only
        .address_space:  global
        .offset:         40
        .size:           8
        .value_kind:     global_buffer
      - .actual_access:  read_only
        .address_space:  global
        .offset:         48
        .size:           8
        .value_kind:     global_buffer
      - .actual_access:  read_only
        .address_space:  global
        .offset:         56
        .size:           8
        .value_kind:     global_buffer
      - .actual_access:  read_only
        .address_space:  global
        .offset:         64
        .size:           8
        .value_kind:     global_buffer
      - .actual_access:  read_only
        .address_space:  global
        .offset:         72
        .size:           8
        .value_kind:     global_buffer
      - .offset:         80
        .size:           4
        .value_kind:     by_value
      - .offset:         84
        .size:           4
        .value_kind:     by_value
      - .offset:         88
        .size:           4
        .value_kind:     by_value
      - .offset:         92
        .size:           4
        .value_kind:     by_value
      - .offset:         96
        .size:           4
        .value_kind:     by_value
      - .offset:         100
        .size:           4
        .value_kind:     by_value
      - .offset:         104
        .size:           4
        .value_kind:     by_value
      - .offset:         108
        .size:           4
        .value_kind:     by_value
      - .offset:         112
        .size:           4
        .value_kind:     by_value
      - .offset:         116
        .size:           4
        .value_kind:     by_value
      - .offset:         120
        .size:           4
        .value_kind:     by_value
      - .offset:         124
        .size:           4
        .value_kind:     by_value
      - .offset:         128
        .size:           4
        .value_kind:     by_value
      - .offset:         132
        .size:           4
        .value_kind:     by_value
      - .offset:         136
        .size:           4
        .value_kind:     by_value
      - .offset:         144
        .size:           4
        .value_kind:     hidden_block_count_x
      - .offset:         148
        .size:           4
        .value_kind:     hidden_block_count_y
      - .offset:         152
        .size:           4
        .value_kind:     hidden_block_count_z
      - .offset:         156
        .size:           2
        .value_kind:     hidden_group_size_x
      - .offset:         158
        .size:           2
        .value_kind:     hidden_group_size_y
      - .offset:         160
        .size:           2
        .value_kind:     hidden_group_size_z
      - .offset:         162
        .size:           2
        .value_kind:     hidden_remainder_x
      - .offset:         164
        .size:           2
        .value_kind:     hidden_remainder_y
      - .offset:         166
        .size:           2
        .value_kind:     hidden_remainder_z
      - .offset:         184
        .size:           8
        .value_kind:     hidden_global_offset_x
      - .offset:         192
        .size:           8
        .value_kind:     hidden_global_offset_y
      - .offset:         200
        .size:           8
        .value_kind:     hidden_global_offset_z
      - .offset:         208
        .size:           2
        .value_kind:     hidden_grid_dims
    .group_segment_fixed_size: 0
    .kernarg_segment_align: 8
    .kernarg_segment_size: 400
    .language:       OpenCL C
    .language_version:
      - 2
      - 0
    .max_flat_workgroup_size: 1024
    .name:           _ZN5aiter35fused_qk_rmsnorm_group_quant_kernelItDB8_Li64ELi4ELi8ELb0ELb1ELb0ELb1ELb0ELb0EEEvPT0_PvPT_S6_S6_PKS5_S8_S8_S8_S8_ffiiiiiiiiiiiii
    .private_segment_fixed_size: 0
    .sgpr_count:     36
    .sgpr_spill_count: 0
    .symbol:         _ZN5aiter35fused_qk_rmsnorm_group_quant_kernelItDB8_Li64ELi4ELi8ELb0ELb1ELb0ELb1ELb0ELb0EEEvPT0_PvPT_S6_S6_PKS5_S8_S8_S8_S8_ffiiiiiiiiiiiii.kd
    .uniform_work_group_size: 1
    .uses_dynamic_stack: false
    .vgpr_count:     17
    .vgpr_spill_count: 0
    .wavefront_size: 64
  - .agpr_count:     0
    .args:
      - .actual_access:  write_only
        .address_space:  global
        .offset:         0
        .size:           8
        .value_kind:     global_buffer
      - .actual_access:  write_only
        .address_space:  global
        .offset:         8
        .size:           8
        .value_kind:     global_buffer
      - .actual_access:  write_only
        .address_space:  global
        .offset:         16
        .size:           8
        .value_kind:     global_buffer
      - .actual_access:  write_only
        .address_space:  global
        .offset:         24
        .size:           8
        .value_kind:     global_buffer
      - .actual_access:  write_only
        .address_space:  global
        .offset:         32
        .size:           8
        .value_kind:     global_buffer
      - .actual_access:  read_only
        .address_space:  global
        .offset:         40
        .size:           8
        .value_kind:     global_buffer
      - .actual_access:  read_only
        .address_space:  global
        .offset:         48
        .size:           8
        .value_kind:     global_buffer
      - .actual_access:  read_only
        .address_space:  global
        .offset:         56
        .size:           8
        .value_kind:     global_buffer
      - .actual_access:  read_only
        .address_space:  global
        .offset:         64
        .size:           8
        .value_kind:     global_buffer
      - .actual_access:  read_only
        .address_space:  global
        .offset:         72
        .size:           8
        .value_kind:     global_buffer
      - .offset:         80
        .size:           4
        .value_kind:     by_value
      - .offset:         84
        .size:           4
        .value_kind:     by_value
      - .offset:         88
        .size:           4
        .value_kind:     by_value
      - .offset:         92
        .size:           4
        .value_kind:     by_value
      - .offset:         96
        .size:           4
        .value_kind:     by_value
      - .offset:         100
        .size:           4
        .value_kind:     by_value
      - .offset:         104
        .size:           4
        .value_kind:     by_value
      - .offset:         108
        .size:           4
        .value_kind:     by_value
      - .offset:         112
        .size:           4
        .value_kind:     by_value
      - .offset:         116
        .size:           4
        .value_kind:     by_value
      - .offset:         120
        .size:           4
        .value_kind:     by_value
      - .offset:         124
        .size:           4
        .value_kind:     by_value
      - .offset:         128
        .size:           4
        .value_kind:     by_value
      - .offset:         132
        .size:           4
        .value_kind:     by_value
      - .offset:         136
        .size:           4
        .value_kind:     by_value
      - .offset:         144
        .size:           4
        .value_kind:     hidden_block_count_x
      - .offset:         148
        .size:           4
        .value_kind:     hidden_block_count_y
      - .offset:         152
        .size:           4
        .value_kind:     hidden_block_count_z
      - .offset:         156
        .size:           2
        .value_kind:     hidden_group_size_x
      - .offset:         158
        .size:           2
        .value_kind:     hidden_group_size_y
      - .offset:         160
        .size:           2
        .value_kind:     hidden_group_size_z
      - .offset:         162
        .size:           2
        .value_kind:     hidden_remainder_x
      - .offset:         164
        .size:           2
        .value_kind:     hidden_remainder_y
      - .offset:         166
        .size:           2
        .value_kind:     hidden_remainder_z
      - .offset:         184
        .size:           8
        .value_kind:     hidden_global_offset_x
      - .offset:         192
        .size:           8
        .value_kind:     hidden_global_offset_y
      - .offset:         200
        .size:           8
        .value_kind:     hidden_global_offset_z
      - .offset:         208
        .size:           2
        .value_kind:     hidden_grid_dims
    .group_segment_fixed_size: 0
    .kernarg_segment_align: 8
    .kernarg_segment_size: 400
    .language:       OpenCL C
    .language_version:
      - 2
      - 0
    .max_flat_workgroup_size: 1024
    .name:           _ZN5aiter35fused_qk_rmsnorm_group_quant_kernelIDF16_DB8_Li64ELi4ELi8ELb1ELb1ELb1ELb0ELb0ELb0EEEvPT0_PvPT_S6_S6_PKS5_S8_S8_S8_S8_ffiiiiiiiiiiiii
    .private_segment_fixed_size: 0
    .sgpr_count:     44
    .sgpr_spill_count: 0
    .symbol:         _ZN5aiter35fused_qk_rmsnorm_group_quant_kernelIDF16_DB8_Li64ELi4ELi8ELb1ELb1ELb1ELb0ELb0ELb0EEEvPT0_PvPT_S6_S6_PKS5_S8_S8_S8_S8_ffiiiiiiiiiiiii.kd
    .uniform_work_group_size: 1
    .uses_dynamic_stack: false
    .vgpr_count:     16
    .vgpr_spill_count: 0
    .wavefront_size: 64
  - .agpr_count:     0
    .args:
      - .actual_access:  write_only
        .address_space:  global
        .offset:         0
        .size:           8
        .value_kind:     global_buffer
      - .actual_access:  write_only
        .address_space:  global
        .offset:         8
        .size:           8
        .value_kind:     global_buffer
      - .actual_access:  write_only
        .address_space:  global
        .offset:         16
        .size:           8
        .value_kind:     global_buffer
      - .actual_access:  write_only
        .address_space:  global
        .offset:         24
        .size:           8
        .value_kind:     global_buffer
      - .actual_access:  write_only
        .address_space:  global
        .offset:         32
        .size:           8
        .value_kind:     global_buffer
      - .actual_access:  read_only
        .address_space:  global
        .offset:         40
        .size:           8
        .value_kind:     global_buffer
      - .actual_access:  read_only
        .address_space:  global
        .offset:         48
        .size:           8
        .value_kind:     global_buffer
      - .actual_access:  read_only
        .address_space:  global
        .offset:         56
        .size:           8
        .value_kind:     global_buffer
      - .actual_access:  read_only
        .address_space:  global
        .offset:         64
        .size:           8
        .value_kind:     global_buffer
      - .actual_access:  read_only
        .address_space:  global
        .offset:         72
        .size:           8
        .value_kind:     global_buffer
      - .offset:         80
        .size:           4
        .value_kind:     by_value
      - .offset:         84
        .size:           4
        .value_kind:     by_value
      - .offset:         88
        .size:           4
        .value_kind:     by_value
      - .offset:         92
        .size:           4
        .value_kind:     by_value
      - .offset:         96
        .size:           4
        .value_kind:     by_value
      - .offset:         100
        .size:           4
        .value_kind:     by_value
      - .offset:         104
        .size:           4
        .value_kind:     by_value
      - .offset:         108
        .size:           4
        .value_kind:     by_value
      - .offset:         112
        .size:           4
        .value_kind:     by_value
      - .offset:         116
        .size:           4
        .value_kind:     by_value
      - .offset:         120
        .size:           4
        .value_kind:     by_value
      - .offset:         124
        .size:           4
        .value_kind:     by_value
      - .offset:         128
        .size:           4
        .value_kind:     by_value
      - .offset:         132
        .size:           4
        .value_kind:     by_value
      - .offset:         136
        .size:           4
        .value_kind:     by_value
      - .offset:         144
        .size:           4
        .value_kind:     hidden_block_count_x
      - .offset:         148
        .size:           4
        .value_kind:     hidden_block_count_y
      - .offset:         152
        .size:           4
        .value_kind:     hidden_block_count_z
      - .offset:         156
        .size:           2
        .value_kind:     hidden_group_size_x
      - .offset:         158
        .size:           2
        .value_kind:     hidden_group_size_y
      - .offset:         160
        .size:           2
        .value_kind:     hidden_group_size_z
      - .offset:         162
        .size:           2
        .value_kind:     hidden_remainder_x
      - .offset:         164
        .size:           2
        .value_kind:     hidden_remainder_y
      - .offset:         166
        .size:           2
        .value_kind:     hidden_remainder_z
      - .offset:         184
        .size:           8
        .value_kind:     hidden_global_offset_x
      - .offset:         192
        .size:           8
        .value_kind:     hidden_global_offset_y
      - .offset:         200
        .size:           8
        .value_kind:     hidden_global_offset_z
      - .offset:         208
        .size:           2
        .value_kind:     hidden_grid_dims
    .group_segment_fixed_size: 0
    .kernarg_segment_align: 8
    .kernarg_segment_size: 400
    .language:       OpenCL C
    .language_version:
      - 2
      - 0
    .max_flat_workgroup_size: 1024
    .name:           _ZN5aiter35fused_qk_rmsnorm_group_quant_kernelItDB8_Li64ELi4ELi8ELb1ELb1ELb1ELb0ELb0ELb0EEEvPT0_PvPT_S6_S6_PKS5_S8_S8_S8_S8_ffiiiiiiiiiiiii
    .private_segment_fixed_size: 0
    .sgpr_count:     44
    .sgpr_spill_count: 0
    .symbol:         _ZN5aiter35fused_qk_rmsnorm_group_quant_kernelItDB8_Li64ELi4ELi8ELb1ELb1ELb1ELb0ELb0ELb0EEEvPT0_PvPT_S6_S6_PKS5_S8_S8_S8_S8_ffiiiiiiiiiiiii.kd
    .uniform_work_group_size: 1
    .uses_dynamic_stack: false
    .vgpr_count:     16
    .vgpr_spill_count: 0
    .wavefront_size: 64
  - .agpr_count:     0
    .args:
      - .actual_access:  write_only
        .address_space:  global
        .offset:         0
        .size:           8
        .value_kind:     global_buffer
      - .actual_access:  write_only
        .address_space:  global
        .offset:         8
        .size:           8
        .value_kind:     global_buffer
      - .actual_access:  write_only
        .address_space:  global
        .offset:         16
        .size:           8
        .value_kind:     global_buffer
      - .actual_access:  write_only
        .address_space:  global
        .offset:         24
        .size:           8
        .value_kind:     global_buffer
      - .actual_access:  write_only
        .address_space:  global
        .offset:         32
        .size:           8
        .value_kind:     global_buffer
      - .actual_access:  read_only
        .address_space:  global
        .offset:         40
        .size:           8
        .value_kind:     global_buffer
      - .actual_access:  read_only
        .address_space:  global
        .offset:         48
        .size:           8
        .value_kind:     global_buffer
      - .actual_access:  read_only
        .address_space:  global
        .offset:         56
        .size:           8
        .value_kind:     global_buffer
      - .actual_access:  read_only
        .address_space:  global
        .offset:         64
        .size:           8
        .value_kind:     global_buffer
      - .actual_access:  read_only
        .address_space:  global
        .offset:         72
        .size:           8
        .value_kind:     global_buffer
      - .offset:         80
        .size:           4
        .value_kind:     by_value
      - .offset:         84
        .size:           4
        .value_kind:     by_value
      - .offset:         88
        .size:           4
        .value_kind:     by_value
      - .offset:         92
        .size:           4
        .value_kind:     by_value
      - .offset:         96
        .size:           4
        .value_kind:     by_value
      - .offset:         100
        .size:           4
        .value_kind:     by_value
      - .offset:         104
        .size:           4
        .value_kind:     by_value
      - .offset:         108
        .size:           4
        .value_kind:     by_value
      - .offset:         112
        .size:           4
        .value_kind:     by_value
      - .offset:         116
        .size:           4
        .value_kind:     by_value
      - .offset:         120
        .size:           4
        .value_kind:     by_value
      - .offset:         124
        .size:           4
        .value_kind:     by_value
      - .offset:         128
        .size:           4
        .value_kind:     by_value
      - .offset:         132
        .size:           4
        .value_kind:     by_value
      - .offset:         136
        .size:           4
        .value_kind:     by_value
      - .offset:         144
        .size:           4
        .value_kind:     hidden_block_count_x
      - .offset:         148
        .size:           4
        .value_kind:     hidden_block_count_y
      - .offset:         152
        .size:           4
        .value_kind:     hidden_block_count_z
      - .offset:         156
        .size:           2
        .value_kind:     hidden_group_size_x
      - .offset:         158
        .size:           2
        .value_kind:     hidden_group_size_y
      - .offset:         160
        .size:           2
        .value_kind:     hidden_group_size_z
      - .offset:         162
        .size:           2
        .value_kind:     hidden_remainder_x
      - .offset:         164
        .size:           2
        .value_kind:     hidden_remainder_y
      - .offset:         166
        .size:           2
        .value_kind:     hidden_remainder_z
      - .offset:         184
        .size:           8
        .value_kind:     hidden_global_offset_x
      - .offset:         192
        .size:           8
        .value_kind:     hidden_global_offset_y
      - .offset:         200
        .size:           8
        .value_kind:     hidden_global_offset_z
      - .offset:         208
        .size:           2
        .value_kind:     hidden_grid_dims
    .group_segment_fixed_size: 0
    .kernarg_segment_align: 8
    .kernarg_segment_size: 400
    .language:       OpenCL C
    .language_version:
      - 2
      - 0
    .max_flat_workgroup_size: 1024
    .name:           _ZN5aiter35fused_qk_rmsnorm_group_quant_kernelIDF16_DB8_Li64ELi4ELi8ELb1ELb1ELb0ELb0ELb0ELb0EEEvPT0_PvPT_S6_S6_PKS5_S8_S8_S8_S8_ffiiiiiiiiiiiii
    .private_segment_fixed_size: 0
    .sgpr_count:     44
    .sgpr_spill_count: 0
    .symbol:         _ZN5aiter35fused_qk_rmsnorm_group_quant_kernelIDF16_DB8_Li64ELi4ELi8ELb1ELb1ELb0ELb0ELb0ELb0EEEvPT0_PvPT_S6_S6_PKS5_S8_S8_S8_S8_ffiiiiiiiiiiiii.kd
    .uniform_work_group_size: 1
    .uses_dynamic_stack: false
    .vgpr_count:     16
    .vgpr_spill_count: 0
    .wavefront_size: 64
  - .agpr_count:     0
    .args:
      - .actual_access:  write_only
        .address_space:  global
        .offset:         0
        .size:           8
        .value_kind:     global_buffer
      - .actual_access:  write_only
        .address_space:  global
        .offset:         8
        .size:           8
        .value_kind:     global_buffer
      - .actual_access:  write_only
        .address_space:  global
        .offset:         16
        .size:           8
        .value_kind:     global_buffer
      - .actual_access:  write_only
        .address_space:  global
        .offset:         24
        .size:           8
        .value_kind:     global_buffer
      - .actual_access:  write_only
        .address_space:  global
        .offset:         32
        .size:           8
        .value_kind:     global_buffer
      - .actual_access:  read_only
        .address_space:  global
        .offset:         40
        .size:           8
        .value_kind:     global_buffer
      - .actual_access:  read_only
        .address_space:  global
        .offset:         48
        .size:           8
        .value_kind:     global_buffer
      - .actual_access:  read_only
        .address_space:  global
        .offset:         56
        .size:           8
        .value_kind:     global_buffer
      - .actual_access:  read_only
        .address_space:  global
        .offset:         64
        .size:           8
        .value_kind:     global_buffer
      - .actual_access:  read_only
        .address_space:  global
        .offset:         72
        .size:           8
        .value_kind:     global_buffer
      - .offset:         80
        .size:           4
        .value_kind:     by_value
      - .offset:         84
        .size:           4
        .value_kind:     by_value
      - .offset:         88
        .size:           4
        .value_kind:     by_value
      - .offset:         92
        .size:           4
        .value_kind:     by_value
      - .offset:         96
        .size:           4
        .value_kind:     by_value
      - .offset:         100
        .size:           4
        .value_kind:     by_value
      - .offset:         104
        .size:           4
        .value_kind:     by_value
      - .offset:         108
        .size:           4
        .value_kind:     by_value
      - .offset:         112
        .size:           4
        .value_kind:     by_value
      - .offset:         116
        .size:           4
        .value_kind:     by_value
      - .offset:         120
        .size:           4
        .value_kind:     by_value
      - .offset:         124
        .size:           4
        .value_kind:     by_value
      - .offset:         128
        .size:           4
        .value_kind:     by_value
      - .offset:         132
        .size:           4
        .value_kind:     by_value
      - .offset:         136
        .size:           4
        .value_kind:     by_value
      - .offset:         144
        .size:           4
        .value_kind:     hidden_block_count_x
      - .offset:         148
        .size:           4
        .value_kind:     hidden_block_count_y
      - .offset:         152
        .size:           4
        .value_kind:     hidden_block_count_z
      - .offset:         156
        .size:           2
        .value_kind:     hidden_group_size_x
      - .offset:         158
        .size:           2
        .value_kind:     hidden_group_size_y
      - .offset:         160
        .size:           2
        .value_kind:     hidden_group_size_z
      - .offset:         162
        .size:           2
        .value_kind:     hidden_remainder_x
      - .offset:         164
        .size:           2
        .value_kind:     hidden_remainder_y
      - .offset:         166
        .size:           2
        .value_kind:     hidden_remainder_z
      - .offset:         184
        .size:           8
        .value_kind:     hidden_global_offset_x
      - .offset:         192
        .size:           8
        .value_kind:     hidden_global_offset_y
      - .offset:         200
        .size:           8
        .value_kind:     hidden_global_offset_z
      - .offset:         208
        .size:           2
        .value_kind:     hidden_grid_dims
    .group_segment_fixed_size: 0
    .kernarg_segment_align: 8
    .kernarg_segment_size: 400
    .language:       OpenCL C
    .language_version:
      - 2
      - 0
    .max_flat_workgroup_size: 1024
    .name:           _ZN5aiter35fused_qk_rmsnorm_group_quant_kernelItDB8_Li64ELi4ELi8ELb1ELb1ELb0ELb0ELb0ELb0EEEvPT0_PvPT_S6_S6_PKS5_S8_S8_S8_S8_ffiiiiiiiiiiiii
    .private_segment_fixed_size: 0
    .sgpr_count:     44
    .sgpr_spill_count: 0
    .symbol:         _ZN5aiter35fused_qk_rmsnorm_group_quant_kernelItDB8_Li64ELi4ELi8ELb1ELb1ELb0ELb0ELb0ELb0EEEvPT0_PvPT_S6_S6_PKS5_S8_S8_S8_S8_ffiiiiiiiiiiiii.kd
    .uniform_work_group_size: 1
    .uses_dynamic_stack: false
    .vgpr_count:     16
    .vgpr_spill_count: 0
    .wavefront_size: 64
  - .agpr_count:     0
    .args:
      - .actual_access:  write_only
        .address_space:  global
        .offset:         0
        .size:           8
        .value_kind:     global_buffer
      - .actual_access:  write_only
        .address_space:  global
        .offset:         8
        .size:           8
        .value_kind:     global_buffer
      - .actual_access:  read_only
        .address_space:  global
        .offset:         16
        .size:           8
        .value_kind:     global_buffer
      - .actual_access:  write_only
        .address_space:  global
        .offset:         24
        .size:           8
        .value_kind:     global_buffer
      - .actual_access:  write_only
        .address_space:  global
        .offset:         32
        .size:           8
        .value_kind:     global_buffer
      - .actual_access:  read_only
        .address_space:  global
        .offset:         40
        .size:           8
        .value_kind:     global_buffer
      - .actual_access:  read_only
        .address_space:  global
        .offset:         48
        .size:           8
        .value_kind:     global_buffer
      - .actual_access:  read_only
        .address_space:  global
        .offset:         56
        .size:           8
        .value_kind:     global_buffer
      - .actual_access:  read_only
        .address_space:  global
        .offset:         64
        .size:           8
        .value_kind:     global_buffer
      - .actual_access:  read_only
        .address_space:  global
        .offset:         72
        .size:           8
        .value_kind:     global_buffer
      - .offset:         80
        .size:           4
        .value_kind:     by_value
      - .offset:         84
        .size:           4
        .value_kind:     by_value
      - .offset:         88
        .size:           4
        .value_kind:     by_value
      - .offset:         92
        .size:           4
        .value_kind:     by_value
      - .offset:         96
        .size:           4
        .value_kind:     by_value
      - .offset:         100
        .size:           4
        .value_kind:     by_value
      - .offset:         104
        .size:           4
        .value_kind:     by_value
      - .offset:         108
        .size:           4
        .value_kind:     by_value
      - .offset:         112
        .size:           4
        .value_kind:     by_value
      - .offset:         116
        .size:           4
        .value_kind:     by_value
      - .offset:         120
        .size:           4
        .value_kind:     by_value
      - .offset:         124
        .size:           4
        .value_kind:     by_value
      - .offset:         128
        .size:           4
        .value_kind:     by_value
      - .offset:         132
        .size:           4
        .value_kind:     by_value
      - .offset:         136
        .size:           4
        .value_kind:     by_value
      - .offset:         144
        .size:           4
        .value_kind:     hidden_block_count_x
      - .offset:         148
        .size:           4
        .value_kind:     hidden_block_count_y
      - .offset:         152
        .size:           4
        .value_kind:     hidden_block_count_z
      - .offset:         156
        .size:           2
        .value_kind:     hidden_group_size_x
      - .offset:         158
        .size:           2
        .value_kind:     hidden_group_size_y
      - .offset:         160
        .size:           2
        .value_kind:     hidden_group_size_z
      - .offset:         162
        .size:           2
        .value_kind:     hidden_remainder_x
      - .offset:         164
        .size:           2
        .value_kind:     hidden_remainder_y
      - .offset:         166
        .size:           2
        .value_kind:     hidden_remainder_z
      - .offset:         184
        .size:           8
        .value_kind:     hidden_global_offset_x
      - .offset:         192
        .size:           8
        .value_kind:     hidden_global_offset_y
      - .offset:         200
        .size:           8
        .value_kind:     hidden_global_offset_z
      - .offset:         208
        .size:           2
        .value_kind:     hidden_grid_dims
    .group_segment_fixed_size: 0
    .kernarg_segment_align: 8
    .kernarg_segment_size: 400
    .language:       OpenCL C
    .language_version:
      - 2
      - 0
    .max_flat_workgroup_size: 1024
    .name:           _ZN5aiter35fused_qk_rmsnorm_group_quant_kernelIDF16_DB8_Li64ELi4ELi8ELb1ELb0ELb1ELb0ELb0ELb0EEEvPT0_PvPT_S6_S6_PKS5_S8_S8_S8_S8_ffiiiiiiiiiiiii
    .private_segment_fixed_size: 0
    .sgpr_count:     44
    .sgpr_spill_count: 0
    .symbol:         _ZN5aiter35fused_qk_rmsnorm_group_quant_kernelIDF16_DB8_Li64ELi4ELi8ELb1ELb0ELb1ELb0ELb0ELb0EEEvPT0_PvPT_S6_S6_PKS5_S8_S8_S8_S8_ffiiiiiiiiiiiii.kd
    .uniform_work_group_size: 1
    .uses_dynamic_stack: false
    .vgpr_count:     16
    .vgpr_spill_count: 0
    .wavefront_size: 64
  - .agpr_count:     0
    .args:
      - .actual_access:  write_only
        .address_space:  global
        .offset:         0
        .size:           8
        .value_kind:     global_buffer
      - .actual_access:  write_only
        .address_space:  global
        .offset:         8
        .size:           8
        .value_kind:     global_buffer
      - .actual_access:  read_only
        .address_space:  global
        .offset:         16
        .size:           8
        .value_kind:     global_buffer
      - .actual_access:  write_only
        .address_space:  global
        .offset:         24
        .size:           8
        .value_kind:     global_buffer
      - .actual_access:  write_only
        .address_space:  global
        .offset:         32
        .size:           8
        .value_kind:     global_buffer
      - .actual_access:  read_only
        .address_space:  global
        .offset:         40
        .size:           8
        .value_kind:     global_buffer
      - .actual_access:  read_only
        .address_space:  global
        .offset:         48
        .size:           8
        .value_kind:     global_buffer
      - .actual_access:  read_only
        .address_space:  global
        .offset:         56
        .size:           8
        .value_kind:     global_buffer
      - .actual_access:  read_only
        .address_space:  global
        .offset:         64
        .size:           8
        .value_kind:     global_buffer
      - .actual_access:  read_only
        .address_space:  global
        .offset:         72
        .size:           8
        .value_kind:     global_buffer
      - .offset:         80
        .size:           4
        .value_kind:     by_value
      - .offset:         84
        .size:           4
        .value_kind:     by_value
      - .offset:         88
        .size:           4
        .value_kind:     by_value
      - .offset:         92
        .size:           4
        .value_kind:     by_value
      - .offset:         96
        .size:           4
        .value_kind:     by_value
      - .offset:         100
        .size:           4
        .value_kind:     by_value
      - .offset:         104
        .size:           4
        .value_kind:     by_value
      - .offset:         108
        .size:           4
        .value_kind:     by_value
      - .offset:         112
        .size:           4
        .value_kind:     by_value
      - .offset:         116
        .size:           4
        .value_kind:     by_value
      - .offset:         120
        .size:           4
        .value_kind:     by_value
      - .offset:         124
        .size:           4
        .value_kind:     by_value
      - .offset:         128
        .size:           4
        .value_kind:     by_value
      - .offset:         132
        .size:           4
        .value_kind:     by_value
      - .offset:         136
        .size:           4
        .value_kind:     by_value
      - .offset:         144
        .size:           4
        .value_kind:     hidden_block_count_x
      - .offset:         148
        .size:           4
        .value_kind:     hidden_block_count_y
      - .offset:         152
        .size:           4
        .value_kind:     hidden_block_count_z
      - .offset:         156
        .size:           2
        .value_kind:     hidden_group_size_x
      - .offset:         158
        .size:           2
        .value_kind:     hidden_group_size_y
      - .offset:         160
        .size:           2
        .value_kind:     hidden_group_size_z
      - .offset:         162
        .size:           2
        .value_kind:     hidden_remainder_x
      - .offset:         164
        .size:           2
        .value_kind:     hidden_remainder_y
      - .offset:         166
        .size:           2
        .value_kind:     hidden_remainder_z
      - .offset:         184
        .size:           8
        .value_kind:     hidden_global_offset_x
      - .offset:         192
        .size:           8
        .value_kind:     hidden_global_offset_y
      - .offset:         200
        .size:           8
        .value_kind:     hidden_global_offset_z
      - .offset:         208
        .size:           2
        .value_kind:     hidden_grid_dims
    .group_segment_fixed_size: 0
    .kernarg_segment_align: 8
    .kernarg_segment_size: 400
    .language:       OpenCL C
    .language_version:
      - 2
      - 0
    .max_flat_workgroup_size: 1024
    .name:           _ZN5aiter35fused_qk_rmsnorm_group_quant_kernelItDB8_Li64ELi4ELi8ELb1ELb0ELb1ELb0ELb0ELb0EEEvPT0_PvPT_S6_S6_PKS5_S8_S8_S8_S8_ffiiiiiiiiiiiii
    .private_segment_fixed_size: 0
    .sgpr_count:     44
    .sgpr_spill_count: 0
    .symbol:         _ZN5aiter35fused_qk_rmsnorm_group_quant_kernelItDB8_Li64ELi4ELi8ELb1ELb0ELb1ELb0ELb0ELb0EEEvPT0_PvPT_S6_S6_PKS5_S8_S8_S8_S8_ffiiiiiiiiiiiii.kd
    .uniform_work_group_size: 1
    .uses_dynamic_stack: false
    .vgpr_count:     16
    .vgpr_spill_count: 0
    .wavefront_size: 64
  - .agpr_count:     0
    .args:
      - .actual_access:  write_only
        .address_space:  global
        .offset:         0
        .size:           8
        .value_kind:     global_buffer
      - .actual_access:  write_only
        .address_space:  global
        .offset:         8
        .size:           8
        .value_kind:     global_buffer
      - .actual_access:  read_only
        .address_space:  global
        .offset:         16
        .size:           8
        .value_kind:     global_buffer
      - .actual_access:  write_only
        .address_space:  global
        .offset:         24
        .size:           8
        .value_kind:     global_buffer
      - .actual_access:  write_only
        .address_space:  global
        .offset:         32
        .size:           8
        .value_kind:     global_buffer
      - .actual_access:  read_only
        .address_space:  global
        .offset:         40
        .size:           8
        .value_kind:     global_buffer
      - .actual_access:  read_only
        .address_space:  global
        .offset:         48
        .size:           8
        .value_kind:     global_buffer
      - .actual_access:  read_only
        .address_space:  global
        .offset:         56
        .size:           8
        .value_kind:     global_buffer
      - .actual_access:  read_only
        .address_space:  global
        .offset:         64
        .size:           8
        .value_kind:     global_buffer
      - .actual_access:  read_only
        .address_space:  global
        .offset:         72
        .size:           8
        .value_kind:     global_buffer
      - .offset:         80
        .size:           4
        .value_kind:     by_value
      - .offset:         84
        .size:           4
        .value_kind:     by_value
      - .offset:         88
        .size:           4
        .value_kind:     by_value
      - .offset:         92
        .size:           4
        .value_kind:     by_value
      - .offset:         96
        .size:           4
        .value_kind:     by_value
      - .offset:         100
        .size:           4
        .value_kind:     by_value
      - .offset:         104
        .size:           4
        .value_kind:     by_value
      - .offset:         108
        .size:           4
        .value_kind:     by_value
      - .offset:         112
        .size:           4
        .value_kind:     by_value
      - .offset:         116
        .size:           4
        .value_kind:     by_value
      - .offset:         120
        .size:           4
        .value_kind:     by_value
      - .offset:         124
        .size:           4
        .value_kind:     by_value
      - .offset:         128
        .size:           4
        .value_kind:     by_value
      - .offset:         132
        .size:           4
        .value_kind:     by_value
      - .offset:         136
        .size:           4
        .value_kind:     by_value
      - .offset:         144
        .size:           4
        .value_kind:     hidden_block_count_x
      - .offset:         148
        .size:           4
        .value_kind:     hidden_block_count_y
      - .offset:         152
        .size:           4
        .value_kind:     hidden_block_count_z
      - .offset:         156
        .size:           2
        .value_kind:     hidden_group_size_x
      - .offset:         158
        .size:           2
        .value_kind:     hidden_group_size_y
      - .offset:         160
        .size:           2
        .value_kind:     hidden_group_size_z
      - .offset:         162
        .size:           2
        .value_kind:     hidden_remainder_x
      - .offset:         164
        .size:           2
        .value_kind:     hidden_remainder_y
      - .offset:         166
        .size:           2
        .value_kind:     hidden_remainder_z
      - .offset:         184
        .size:           8
        .value_kind:     hidden_global_offset_x
      - .offset:         192
        .size:           8
        .value_kind:     hidden_global_offset_y
      - .offset:         200
        .size:           8
        .value_kind:     hidden_global_offset_z
      - .offset:         208
        .size:           2
        .value_kind:     hidden_grid_dims
    .group_segment_fixed_size: 0
    .kernarg_segment_align: 8
    .kernarg_segment_size: 400
    .language:       OpenCL C
    .language_version:
      - 2
      - 0
    .max_flat_workgroup_size: 1024
    .name:           _ZN5aiter35fused_qk_rmsnorm_group_quant_kernelIDF16_DB8_Li64ELi4ELi8ELb1ELb0ELb0ELb0ELb0ELb0EEEvPT0_PvPT_S6_S6_PKS5_S8_S8_S8_S8_ffiiiiiiiiiiiii
    .private_segment_fixed_size: 0
    .sgpr_count:     44
    .sgpr_spill_count: 0
    .symbol:         _ZN5aiter35fused_qk_rmsnorm_group_quant_kernelIDF16_DB8_Li64ELi4ELi8ELb1ELb0ELb0ELb0ELb0ELb0EEEvPT0_PvPT_S6_S6_PKS5_S8_S8_S8_S8_ffiiiiiiiiiiiii.kd
    .uniform_work_group_size: 1
    .uses_dynamic_stack: false
    .vgpr_count:     16
    .vgpr_spill_count: 0
    .wavefront_size: 64
  - .agpr_count:     0
    .args:
      - .actual_access:  write_only
        .address_space:  global
        .offset:         0
        .size:           8
        .value_kind:     global_buffer
      - .actual_access:  write_only
        .address_space:  global
        .offset:         8
        .size:           8
        .value_kind:     global_buffer
      - .actual_access:  read_only
        .address_space:  global
        .offset:         16
        .size:           8
        .value_kind:     global_buffer
      - .actual_access:  write_only
        .address_space:  global
        .offset:         24
        .size:           8
        .value_kind:     global_buffer
      - .actual_access:  write_only
        .address_space:  global
        .offset:         32
        .size:           8
        .value_kind:     global_buffer
      - .actual_access:  read_only
        .address_space:  global
        .offset:         40
        .size:           8
        .value_kind:     global_buffer
      - .actual_access:  read_only
        .address_space:  global
        .offset:         48
        .size:           8
        .value_kind:     global_buffer
      - .actual_access:  read_only
        .address_space:  global
        .offset:         56
        .size:           8
        .value_kind:     global_buffer
      - .actual_access:  read_only
        .address_space:  global
        .offset:         64
        .size:           8
        .value_kind:     global_buffer
      - .actual_access:  read_only
        .address_space:  global
        .offset:         72
        .size:           8
        .value_kind:     global_buffer
      - .offset:         80
        .size:           4
        .value_kind:     by_value
      - .offset:         84
        .size:           4
        .value_kind:     by_value
      - .offset:         88
        .size:           4
        .value_kind:     by_value
      - .offset:         92
        .size:           4
        .value_kind:     by_value
      - .offset:         96
        .size:           4
        .value_kind:     by_value
      - .offset:         100
        .size:           4
        .value_kind:     by_value
      - .offset:         104
        .size:           4
        .value_kind:     by_value
      - .offset:         108
        .size:           4
        .value_kind:     by_value
      - .offset:         112
        .size:           4
        .value_kind:     by_value
      - .offset:         116
        .size:           4
        .value_kind:     by_value
      - .offset:         120
        .size:           4
        .value_kind:     by_value
      - .offset:         124
        .size:           4
        .value_kind:     by_value
      - .offset:         128
        .size:           4
        .value_kind:     by_value
      - .offset:         132
        .size:           4
        .value_kind:     by_value
      - .offset:         136
        .size:           4
        .value_kind:     by_value
      - .offset:         144
        .size:           4
        .value_kind:     hidden_block_count_x
      - .offset:         148
        .size:           4
        .value_kind:     hidden_block_count_y
      - .offset:         152
        .size:           4
        .value_kind:     hidden_block_count_z
      - .offset:         156
        .size:           2
        .value_kind:     hidden_group_size_x
      - .offset:         158
        .size:           2
        .value_kind:     hidden_group_size_y
      - .offset:         160
        .size:           2
        .value_kind:     hidden_group_size_z
      - .offset:         162
        .size:           2
        .value_kind:     hidden_remainder_x
      - .offset:         164
        .size:           2
        .value_kind:     hidden_remainder_y
      - .offset:         166
        .size:           2
        .value_kind:     hidden_remainder_z
      - .offset:         184
        .size:           8
        .value_kind:     hidden_global_offset_x
      - .offset:         192
        .size:           8
        .value_kind:     hidden_global_offset_y
      - .offset:         200
        .size:           8
        .value_kind:     hidden_global_offset_z
      - .offset:         208
        .size:           2
        .value_kind:     hidden_grid_dims
    .group_segment_fixed_size: 0
    .kernarg_segment_align: 8
    .kernarg_segment_size: 400
    .language:       OpenCL C
    .language_version:
      - 2
      - 0
    .max_flat_workgroup_size: 1024
    .name:           _ZN5aiter35fused_qk_rmsnorm_group_quant_kernelItDB8_Li64ELi4ELi8ELb1ELb0ELb0ELb0ELb0ELb0EEEvPT0_PvPT_S6_S6_PKS5_S8_S8_S8_S8_ffiiiiiiiiiiiii
    .private_segment_fixed_size: 0
    .sgpr_count:     44
    .sgpr_spill_count: 0
    .symbol:         _ZN5aiter35fused_qk_rmsnorm_group_quant_kernelItDB8_Li64ELi4ELi8ELb1ELb0ELb0ELb0ELb0ELb0EEEvPT0_PvPT_S6_S6_PKS5_S8_S8_S8_S8_ffiiiiiiiiiiiii.kd
    .uniform_work_group_size: 1
    .uses_dynamic_stack: false
    .vgpr_count:     16
    .vgpr_spill_count: 0
    .wavefront_size: 64
  - .agpr_count:     0
    .args:
      - .actual_access:  write_only
        .address_space:  global
        .offset:         0
        .size:           8
        .value_kind:     global_buffer
      - .actual_access:  write_only
        .address_space:  global
        .offset:         8
        .size:           8
        .value_kind:     global_buffer
      - .actual_access:  write_only
        .address_space:  global
        .offset:         16
        .size:           8
        .value_kind:     global_buffer
      - .actual_access:  write_only
        .address_space:  global
        .offset:         24
        .size:           8
        .value_kind:     global_buffer
      - .actual_access:  read_only
        .address_space:  global
        .offset:         32
        .size:           8
        .value_kind:     global_buffer
      - .actual_access:  read_only
        .address_space:  global
        .offset:         40
        .size:           8
        .value_kind:     global_buffer
      - .actual_access:  read_only
        .address_space:  global
        .offset:         48
        .size:           8
        .value_kind:     global_buffer
      - .actual_access:  read_only
        .address_space:  global
        .offset:         56
        .size:           8
        .value_kind:     global_buffer
      - .actual_access:  read_only
        .address_space:  global
        .offset:         64
        .size:           8
        .value_kind:     global_buffer
      - .actual_access:  read_only
        .address_space:  global
        .offset:         72
        .size:           8
        .value_kind:     global_buffer
      - .offset:         80
        .size:           4
        .value_kind:     by_value
      - .offset:         84
        .size:           4
        .value_kind:     by_value
      - .offset:         88
        .size:           4
        .value_kind:     by_value
      - .offset:         92
        .size:           4
        .value_kind:     by_value
      - .offset:         96
        .size:           4
        .value_kind:     by_value
      - .offset:         100
        .size:           4
        .value_kind:     by_value
      - .offset:         104
        .size:           4
        .value_kind:     by_value
      - .offset:         108
        .size:           4
        .value_kind:     by_value
      - .offset:         112
        .size:           4
        .value_kind:     by_value
      - .offset:         116
        .size:           4
        .value_kind:     by_value
      - .offset:         120
        .size:           4
        .value_kind:     by_value
      - .offset:         124
        .size:           4
        .value_kind:     by_value
      - .offset:         128
        .size:           4
        .value_kind:     by_value
      - .offset:         132
        .size:           4
        .value_kind:     by_value
      - .offset:         136
        .size:           4
        .value_kind:     by_value
      - .offset:         144
        .size:           4
        .value_kind:     hidden_block_count_x
      - .offset:         148
        .size:           4
        .value_kind:     hidden_block_count_y
      - .offset:         152
        .size:           4
        .value_kind:     hidden_block_count_z
      - .offset:         156
        .size:           2
        .value_kind:     hidden_group_size_x
      - .offset:         158
        .size:           2
        .value_kind:     hidden_group_size_y
      - .offset:         160
        .size:           2
        .value_kind:     hidden_group_size_z
      - .offset:         162
        .size:           2
        .value_kind:     hidden_remainder_x
      - .offset:         164
        .size:           2
        .value_kind:     hidden_remainder_y
      - .offset:         166
        .size:           2
        .value_kind:     hidden_remainder_z
      - .offset:         184
        .size:           8
        .value_kind:     hidden_global_offset_x
      - .offset:         192
        .size:           8
        .value_kind:     hidden_global_offset_y
      - .offset:         200
        .size:           8
        .value_kind:     hidden_global_offset_z
      - .offset:         208
        .size:           2
        .value_kind:     hidden_grid_dims
    .group_segment_fixed_size: 0
    .kernarg_segment_align: 8
    .kernarg_segment_size: 400
    .language:       OpenCL C
    .language_version:
      - 2
      - 0
    .max_flat_workgroup_size: 1024
    .name:           _ZN5aiter35fused_qk_rmsnorm_group_quant_kernelIDF16_DB8_Li64ELi4ELi8ELb0ELb1ELb1ELb0ELb0ELb0EEEvPT0_PvPT_S6_S6_PKS5_S8_S8_S8_S8_ffiiiiiiiiiiiii
    .private_segment_fixed_size: 0
    .sgpr_count:     36
    .sgpr_spill_count: 0
    .symbol:         _ZN5aiter35fused_qk_rmsnorm_group_quant_kernelIDF16_DB8_Li64ELi4ELi8ELb0ELb1ELb1ELb0ELb0ELb0EEEvPT0_PvPT_S6_S6_PKS5_S8_S8_S8_S8_ffiiiiiiiiiiiii.kd
    .uniform_work_group_size: 1
    .uses_dynamic_stack: false
    .vgpr_count:     17
    .vgpr_spill_count: 0
    .wavefront_size: 64
  - .agpr_count:     0
    .args:
      - .actual_access:  write_only
        .address_space:  global
        .offset:         0
        .size:           8
        .value_kind:     global_buffer
      - .actual_access:  write_only
        .address_space:  global
        .offset:         8
        .size:           8
        .value_kind:     global_buffer
      - .actual_access:  write_only
        .address_space:  global
        .offset:         16
        .size:           8
        .value_kind:     global_buffer
      - .actual_access:  write_only
        .address_space:  global
        .offset:         24
        .size:           8
        .value_kind:     global_buffer
      - .actual_access:  read_only
        .address_space:  global
        .offset:         32
        .size:           8
        .value_kind:     global_buffer
      - .actual_access:  read_only
        .address_space:  global
        .offset:         40
        .size:           8
        .value_kind:     global_buffer
      - .actual_access:  read_only
        .address_space:  global
        .offset:         48
        .size:           8
        .value_kind:     global_buffer
      - .actual_access:  read_only
        .address_space:  global
        .offset:         56
        .size:           8
        .value_kind:     global_buffer
      - .actual_access:  read_only
        .address_space:  global
        .offset:         64
        .size:           8
        .value_kind:     global_buffer
      - .actual_access:  read_only
        .address_space:  global
        .offset:         72
        .size:           8
        .value_kind:     global_buffer
      - .offset:         80
        .size:           4
        .value_kind:     by_value
      - .offset:         84
        .size:           4
        .value_kind:     by_value
      - .offset:         88
        .size:           4
        .value_kind:     by_value
      - .offset:         92
        .size:           4
        .value_kind:     by_value
      - .offset:         96
        .size:           4
        .value_kind:     by_value
      - .offset:         100
        .size:           4
        .value_kind:     by_value
      - .offset:         104
        .size:           4
        .value_kind:     by_value
      - .offset:         108
        .size:           4
        .value_kind:     by_value
      - .offset:         112
        .size:           4
        .value_kind:     by_value
      - .offset:         116
        .size:           4
        .value_kind:     by_value
      - .offset:         120
        .size:           4
        .value_kind:     by_value
      - .offset:         124
        .size:           4
        .value_kind:     by_value
      - .offset:         128
        .size:           4
        .value_kind:     by_value
      - .offset:         132
        .size:           4
        .value_kind:     by_value
      - .offset:         136
        .size:           4
        .value_kind:     by_value
      - .offset:         144
        .size:           4
        .value_kind:     hidden_block_count_x
      - .offset:         148
        .size:           4
        .value_kind:     hidden_block_count_y
      - .offset:         152
        .size:           4
        .value_kind:     hidden_block_count_z
      - .offset:         156
        .size:           2
        .value_kind:     hidden_group_size_x
      - .offset:         158
        .size:           2
        .value_kind:     hidden_group_size_y
      - .offset:         160
        .size:           2
        .value_kind:     hidden_group_size_z
      - .offset:         162
        .size:           2
        .value_kind:     hidden_remainder_x
      - .offset:         164
        .size:           2
        .value_kind:     hidden_remainder_y
      - .offset:         166
        .size:           2
        .value_kind:     hidden_remainder_z
      - .offset:         184
        .size:           8
        .value_kind:     hidden_global_offset_x
      - .offset:         192
        .size:           8
        .value_kind:     hidden_global_offset_y
      - .offset:         200
        .size:           8
        .value_kind:     hidden_global_offset_z
      - .offset:         208
        .size:           2
        .value_kind:     hidden_grid_dims
    .group_segment_fixed_size: 0
    .kernarg_segment_align: 8
    .kernarg_segment_size: 400
    .language:       OpenCL C
    .language_version:
      - 2
      - 0
    .max_flat_workgroup_size: 1024
    .name:           _ZN5aiter35fused_qk_rmsnorm_group_quant_kernelItDB8_Li64ELi4ELi8ELb0ELb1ELb1ELb0ELb0ELb0EEEvPT0_PvPT_S6_S6_PKS5_S8_S8_S8_S8_ffiiiiiiiiiiiii
    .private_segment_fixed_size: 0
    .sgpr_count:     36
    .sgpr_spill_count: 0
    .symbol:         _ZN5aiter35fused_qk_rmsnorm_group_quant_kernelItDB8_Li64ELi4ELi8ELb0ELb1ELb1ELb0ELb0ELb0EEEvPT0_PvPT_S6_S6_PKS5_S8_S8_S8_S8_ffiiiiiiiiiiiii.kd
    .uniform_work_group_size: 1
    .uses_dynamic_stack: false
    .vgpr_count:     17
    .vgpr_spill_count: 0
    .wavefront_size: 64
  - .agpr_count:     0
    .args:
      - .actual_access:  write_only
        .address_space:  global
        .offset:         0
        .size:           8
        .value_kind:     global_buffer
      - .actual_access:  write_only
        .address_space:  global
        .offset:         8
        .size:           8
        .value_kind:     global_buffer
      - .actual_access:  write_only
        .address_space:  global
        .offset:         16
        .size:           8
        .value_kind:     global_buffer
      - .actual_access:  write_only
        .address_space:  global
        .offset:         24
        .size:           8
        .value_kind:     global_buffer
      - .actual_access:  read_only
        .address_space:  global
        .offset:         32
        .size:           8
        .value_kind:     global_buffer
      - .actual_access:  read_only
        .address_space:  global
        .offset:         40
        .size:           8
        .value_kind:     global_buffer
      - .actual_access:  read_only
        .address_space:  global
        .offset:         48
        .size:           8
        .value_kind:     global_buffer
      - .actual_access:  read_only
        .address_space:  global
        .offset:         56
        .size:           8
        .value_kind:     global_buffer
      - .actual_access:  read_only
        .address_space:  global
        .offset:         64
        .size:           8
        .value_kind:     global_buffer
      - .actual_access:  read_only
        .address_space:  global
        .offset:         72
        .size:           8
        .value_kind:     global_buffer
      - .offset:         80
        .size:           4
        .value_kind:     by_value
      - .offset:         84
        .size:           4
        .value_kind:     by_value
      - .offset:         88
        .size:           4
        .value_kind:     by_value
      - .offset:         92
        .size:           4
        .value_kind:     by_value
      - .offset:         96
        .size:           4
        .value_kind:     by_value
      - .offset:         100
        .size:           4
        .value_kind:     by_value
      - .offset:         104
        .size:           4
        .value_kind:     by_value
      - .offset:         108
        .size:           4
        .value_kind:     by_value
      - .offset:         112
        .size:           4
        .value_kind:     by_value
      - .offset:         116
        .size:           4
        .value_kind:     by_value
      - .offset:         120
        .size:           4
        .value_kind:     by_value
      - .offset:         124
        .size:           4
        .value_kind:     by_value
      - .offset:         128
        .size:           4
        .value_kind:     by_value
      - .offset:         132
        .size:           4
        .value_kind:     by_value
      - .offset:         136
        .size:           4
        .value_kind:     by_value
      - .offset:         144
        .size:           4
        .value_kind:     hidden_block_count_x
      - .offset:         148
        .size:           4
        .value_kind:     hidden_block_count_y
      - .offset:         152
        .size:           4
        .value_kind:     hidden_block_count_z
      - .offset:         156
        .size:           2
        .value_kind:     hidden_group_size_x
      - .offset:         158
        .size:           2
        .value_kind:     hidden_group_size_y
      - .offset:         160
        .size:           2
        .value_kind:     hidden_group_size_z
      - .offset:         162
        .size:           2
        .value_kind:     hidden_remainder_x
      - .offset:         164
        .size:           2
        .value_kind:     hidden_remainder_y
      - .offset:         166
        .size:           2
        .value_kind:     hidden_remainder_z
      - .offset:         184
        .size:           8
        .value_kind:     hidden_global_offset_x
      - .offset:         192
        .size:           8
        .value_kind:     hidden_global_offset_y
      - .offset:         200
        .size:           8
        .value_kind:     hidden_global_offset_z
      - .offset:         208
        .size:           2
        .value_kind:     hidden_grid_dims
    .group_segment_fixed_size: 0
    .kernarg_segment_align: 8
    .kernarg_segment_size: 400
    .language:       OpenCL C
    .language_version:
      - 2
      - 0
    .max_flat_workgroup_size: 1024
    .name:           _ZN5aiter35fused_qk_rmsnorm_group_quant_kernelIDF16_DB8_Li64ELi4ELi8ELb0ELb1ELb0ELb0ELb0ELb0EEEvPT0_PvPT_S6_S6_PKS5_S8_S8_S8_S8_ffiiiiiiiiiiiii
    .private_segment_fixed_size: 0
    .sgpr_count:     36
    .sgpr_spill_count: 0
    .symbol:         _ZN5aiter35fused_qk_rmsnorm_group_quant_kernelIDF16_DB8_Li64ELi4ELi8ELb0ELb1ELb0ELb0ELb0ELb0EEEvPT0_PvPT_S6_S6_PKS5_S8_S8_S8_S8_ffiiiiiiiiiiiii.kd
    .uniform_work_group_size: 1
    .uses_dynamic_stack: false
    .vgpr_count:     17
    .vgpr_spill_count: 0
    .wavefront_size: 64
  - .agpr_count:     0
    .args:
      - .actual_access:  write_only
        .address_space:  global
        .offset:         0
        .size:           8
        .value_kind:     global_buffer
      - .actual_access:  write_only
        .address_space:  global
        .offset:         8
        .size:           8
        .value_kind:     global_buffer
      - .actual_access:  write_only
        .address_space:  global
        .offset:         16
        .size:           8
        .value_kind:     global_buffer
      - .actual_access:  write_only
        .address_space:  global
        .offset:         24
        .size:           8
        .value_kind:     global_buffer
      - .actual_access:  read_only
        .address_space:  global
        .offset:         32
        .size:           8
        .value_kind:     global_buffer
      - .actual_access:  read_only
        .address_space:  global
        .offset:         40
        .size:           8
        .value_kind:     global_buffer
      - .actual_access:  read_only
        .address_space:  global
        .offset:         48
        .size:           8
        .value_kind:     global_buffer
      - .actual_access:  read_only
        .address_space:  global
        .offset:         56
        .size:           8
        .value_kind:     global_buffer
      - .actual_access:  read_only
        .address_space:  global
        .offset:         64
        .size:           8
        .value_kind:     global_buffer
      - .actual_access:  read_only
        .address_space:  global
        .offset:         72
        .size:           8
        .value_kind:     global_buffer
      - .offset:         80
        .size:           4
        .value_kind:     by_value
      - .offset:         84
        .size:           4
        .value_kind:     by_value
      - .offset:         88
        .size:           4
        .value_kind:     by_value
      - .offset:         92
        .size:           4
        .value_kind:     by_value
      - .offset:         96
        .size:           4
        .value_kind:     by_value
      - .offset:         100
        .size:           4
        .value_kind:     by_value
      - .offset:         104
        .size:           4
        .value_kind:     by_value
      - .offset:         108
        .size:           4
        .value_kind:     by_value
      - .offset:         112
        .size:           4
        .value_kind:     by_value
      - .offset:         116
        .size:           4
        .value_kind:     by_value
      - .offset:         120
        .size:           4
        .value_kind:     by_value
      - .offset:         124
        .size:           4
        .value_kind:     by_value
      - .offset:         128
        .size:           4
        .value_kind:     by_value
      - .offset:         132
        .size:           4
        .value_kind:     by_value
      - .offset:         136
        .size:           4
        .value_kind:     by_value
      - .offset:         144
        .size:           4
        .value_kind:     hidden_block_count_x
      - .offset:         148
        .size:           4
        .value_kind:     hidden_block_count_y
      - .offset:         152
        .size:           4
        .value_kind:     hidden_block_count_z
      - .offset:         156
        .size:           2
        .value_kind:     hidden_group_size_x
      - .offset:         158
        .size:           2
        .value_kind:     hidden_group_size_y
      - .offset:         160
        .size:           2
        .value_kind:     hidden_group_size_z
      - .offset:         162
        .size:           2
        .value_kind:     hidden_remainder_x
      - .offset:         164
        .size:           2
        .value_kind:     hidden_remainder_y
      - .offset:         166
        .size:           2
        .value_kind:     hidden_remainder_z
      - .offset:         184
        .size:           8
        .value_kind:     hidden_global_offset_x
      - .offset:         192
        .size:           8
        .value_kind:     hidden_global_offset_y
      - .offset:         200
        .size:           8
        .value_kind:     hidden_global_offset_z
      - .offset:         208
        .size:           2
        .value_kind:     hidden_grid_dims
    .group_segment_fixed_size: 0
    .kernarg_segment_align: 8
    .kernarg_segment_size: 400
    .language:       OpenCL C
    .language_version:
      - 2
      - 0
    .max_flat_workgroup_size: 1024
    .name:           _ZN5aiter35fused_qk_rmsnorm_group_quant_kernelItDB8_Li64ELi4ELi8ELb0ELb1ELb0ELb0ELb0ELb0EEEvPT0_PvPT_S6_S6_PKS5_S8_S8_S8_S8_ffiiiiiiiiiiiii
    .private_segment_fixed_size: 0
    .sgpr_count:     36
    .sgpr_spill_count: 0
    .symbol:         _ZN5aiter35fused_qk_rmsnorm_group_quant_kernelItDB8_Li64ELi4ELi8ELb0ELb1ELb0ELb0ELb0ELb0EEEvPT0_PvPT_S6_S6_PKS5_S8_S8_S8_S8_ffiiiiiiiiiiiii.kd
    .uniform_work_group_size: 1
    .uses_dynamic_stack: false
    .vgpr_count:     17
    .vgpr_spill_count: 0
    .wavefront_size: 64
  - .agpr_count:     0
    .args:
      - .actual_access:  write_only
        .address_space:  global
        .offset:         0
        .size:           8
        .value_kind:     global_buffer
      - .actual_access:  write_only
        .address_space:  global
        .offset:         8
        .size:           8
        .value_kind:     global_buffer
      - .actual_access:  read_only
        .address_space:  global
        .offset:         16
        .size:           8
        .value_kind:     global_buffer
      - .actual_access:  write_only
        .address_space:  global
        .offset:         24
        .size:           8
        .value_kind:     global_buffer
      - .actual_access:  read_only
        .address_space:  global
        .offset:         32
        .size:           8
        .value_kind:     global_buffer
      - .actual_access:  read_only
        .address_space:  global
        .offset:         40
        .size:           8
        .value_kind:     global_buffer
      - .actual_access:  read_only
        .address_space:  global
        .offset:         48
        .size:           8
        .value_kind:     global_buffer
      - .actual_access:  read_only
        .address_space:  global
        .offset:         56
        .size:           8
        .value_kind:     global_buffer
      - .actual_access:  read_only
        .address_space:  global
        .offset:         64
        .size:           8
        .value_kind:     global_buffer
      - .actual_access:  read_only
        .address_space:  global
        .offset:         72
        .size:           8
        .value_kind:     global_buffer
      - .offset:         80
        .size:           4
        .value_kind:     by_value
      - .offset:         84
        .size:           4
        .value_kind:     by_value
      - .offset:         88
        .size:           4
        .value_kind:     by_value
      - .offset:         92
        .size:           4
        .value_kind:     by_value
      - .offset:         96
        .size:           4
        .value_kind:     by_value
      - .offset:         100
        .size:           4
        .value_kind:     by_value
      - .offset:         104
        .size:           4
        .value_kind:     by_value
      - .offset:         108
        .size:           4
        .value_kind:     by_value
      - .offset:         112
        .size:           4
        .value_kind:     by_value
      - .offset:         116
        .size:           4
        .value_kind:     by_value
      - .offset:         120
        .size:           4
        .value_kind:     by_value
      - .offset:         124
        .size:           4
        .value_kind:     by_value
      - .offset:         128
        .size:           4
        .value_kind:     by_value
      - .offset:         132
        .size:           4
        .value_kind:     by_value
      - .offset:         136
        .size:           4
        .value_kind:     by_value
      - .offset:         144
        .size:           4
        .value_kind:     hidden_block_count_x
      - .offset:         148
        .size:           4
        .value_kind:     hidden_block_count_y
      - .offset:         152
        .size:           4
        .value_kind:     hidden_block_count_z
      - .offset:         156
        .size:           2
        .value_kind:     hidden_group_size_x
      - .offset:         158
        .size:           2
        .value_kind:     hidden_group_size_y
      - .offset:         160
        .size:           2
        .value_kind:     hidden_group_size_z
      - .offset:         162
        .size:           2
        .value_kind:     hidden_remainder_x
      - .offset:         164
        .size:           2
        .value_kind:     hidden_remainder_y
      - .offset:         166
        .size:           2
        .value_kind:     hidden_remainder_z
      - .offset:         184
        .size:           8
        .value_kind:     hidden_global_offset_x
      - .offset:         192
        .size:           8
        .value_kind:     hidden_global_offset_y
      - .offset:         200
        .size:           8
        .value_kind:     hidden_global_offset_z
      - .offset:         208
        .size:           2
        .value_kind:     hidden_grid_dims
    .group_segment_fixed_size: 0
    .kernarg_segment_align: 8
    .kernarg_segment_size: 400
    .language:       OpenCL C
    .language_version:
      - 2
      - 0
    .max_flat_workgroup_size: 1024
    .name:           _ZN5aiter35fused_qk_rmsnorm_group_quant_kernelIDF16_DB8_Li64ELi4ELi8ELb0ELb0ELb1ELb0ELb0ELb0EEEvPT0_PvPT_S6_S6_PKS5_S8_S8_S8_S8_ffiiiiiiiiiiiii
    .private_segment_fixed_size: 0
    .sgpr_count:     36
    .sgpr_spill_count: 0
    .symbol:         _ZN5aiter35fused_qk_rmsnorm_group_quant_kernelIDF16_DB8_Li64ELi4ELi8ELb0ELb0ELb1ELb0ELb0ELb0EEEvPT0_PvPT_S6_S6_PKS5_S8_S8_S8_S8_ffiiiiiiiiiiiii.kd
    .uniform_work_group_size: 1
    .uses_dynamic_stack: false
    .vgpr_count:     17
    .vgpr_spill_count: 0
    .wavefront_size: 64
  - .agpr_count:     0
    .args:
      - .actual_access:  write_only
        .address_space:  global
        .offset:         0
        .size:           8
        .value_kind:     global_buffer
      - .actual_access:  write_only
        .address_space:  global
        .offset:         8
        .size:           8
        .value_kind:     global_buffer
      - .actual_access:  read_only
        .address_space:  global
        .offset:         16
        .size:           8
        .value_kind:     global_buffer
      - .actual_access:  write_only
        .address_space:  global
        .offset:         24
        .size:           8
        .value_kind:     global_buffer
      - .actual_access:  read_only
        .address_space:  global
        .offset:         32
        .size:           8
        .value_kind:     global_buffer
      - .actual_access:  read_only
        .address_space:  global
        .offset:         40
        .size:           8
        .value_kind:     global_buffer
      - .actual_access:  read_only
        .address_space:  global
        .offset:         48
        .size:           8
        .value_kind:     global_buffer
      - .actual_access:  read_only
        .address_space:  global
        .offset:         56
        .size:           8
        .value_kind:     global_buffer
      - .actual_access:  read_only
        .address_space:  global
        .offset:         64
        .size:           8
        .value_kind:     global_buffer
      - .actual_access:  read_only
        .address_space:  global
        .offset:         72
        .size:           8
        .value_kind:     global_buffer
      - .offset:         80
        .size:           4
        .value_kind:     by_value
      - .offset:         84
        .size:           4
        .value_kind:     by_value
      - .offset:         88
        .size:           4
        .value_kind:     by_value
      - .offset:         92
        .size:           4
        .value_kind:     by_value
      - .offset:         96
        .size:           4
        .value_kind:     by_value
      - .offset:         100
        .size:           4
        .value_kind:     by_value
      - .offset:         104
        .size:           4
        .value_kind:     by_value
      - .offset:         108
        .size:           4
        .value_kind:     by_value
      - .offset:         112
        .size:           4
        .value_kind:     by_value
      - .offset:         116
        .size:           4
        .value_kind:     by_value
      - .offset:         120
        .size:           4
        .value_kind:     by_value
      - .offset:         124
        .size:           4
        .value_kind:     by_value
      - .offset:         128
        .size:           4
        .value_kind:     by_value
      - .offset:         132
        .size:           4
        .value_kind:     by_value
      - .offset:         136
        .size:           4
        .value_kind:     by_value
      - .offset:         144
        .size:           4
        .value_kind:     hidden_block_count_x
      - .offset:         148
        .size:           4
        .value_kind:     hidden_block_count_y
      - .offset:         152
        .size:           4
        .value_kind:     hidden_block_count_z
      - .offset:         156
        .size:           2
        .value_kind:     hidden_group_size_x
      - .offset:         158
        .size:           2
        .value_kind:     hidden_group_size_y
      - .offset:         160
        .size:           2
        .value_kind:     hidden_group_size_z
      - .offset:         162
        .size:           2
        .value_kind:     hidden_remainder_x
      - .offset:         164
        .size:           2
        .value_kind:     hidden_remainder_y
      - .offset:         166
        .size:           2
        .value_kind:     hidden_remainder_z
      - .offset:         184
        .size:           8
        .value_kind:     hidden_global_offset_x
      - .offset:         192
        .size:           8
        .value_kind:     hidden_global_offset_y
      - .offset:         200
        .size:           8
        .value_kind:     hidden_global_offset_z
      - .offset:         208
        .size:           2
        .value_kind:     hidden_grid_dims
    .group_segment_fixed_size: 0
    .kernarg_segment_align: 8
    .kernarg_segment_size: 400
    .language:       OpenCL C
    .language_version:
      - 2
      - 0
    .max_flat_workgroup_size: 1024
    .name:           _ZN5aiter35fused_qk_rmsnorm_group_quant_kernelItDB8_Li64ELi4ELi8ELb0ELb0ELb1ELb0ELb0ELb0EEEvPT0_PvPT_S6_S6_PKS5_S8_S8_S8_S8_ffiiiiiiiiiiiii
    .private_segment_fixed_size: 0
    .sgpr_count:     36
    .sgpr_spill_count: 0
    .symbol:         _ZN5aiter35fused_qk_rmsnorm_group_quant_kernelItDB8_Li64ELi4ELi8ELb0ELb0ELb1ELb0ELb0ELb0EEEvPT0_PvPT_S6_S6_PKS5_S8_S8_S8_S8_ffiiiiiiiiiiiii.kd
    .uniform_work_group_size: 1
    .uses_dynamic_stack: false
    .vgpr_count:     17
    .vgpr_spill_count: 0
    .wavefront_size: 64
  - .agpr_count:     0
    .args:
      - .actual_access:  write_only
        .address_space:  global
        .offset:         0
        .size:           8
        .value_kind:     global_buffer
      - .actual_access:  write_only
        .address_space:  global
        .offset:         8
        .size:           8
        .value_kind:     global_buffer
      - .actual_access:  read_only
        .address_space:  global
        .offset:         16
        .size:           8
        .value_kind:     global_buffer
      - .actual_access:  write_only
        .address_space:  global
        .offset:         24
        .size:           8
        .value_kind:     global_buffer
      - .actual_access:  read_only
        .address_space:  global
        .offset:         32
        .size:           8
        .value_kind:     global_buffer
      - .actual_access:  read_only
        .address_space:  global
        .offset:         40
        .size:           8
        .value_kind:     global_buffer
      - .actual_access:  read_only
        .address_space:  global
        .offset:         48
        .size:           8
        .value_kind:     global_buffer
      - .actual_access:  read_only
        .address_space:  global
        .offset:         56
        .size:           8
        .value_kind:     global_buffer
      - .actual_access:  read_only
        .address_space:  global
        .offset:         64
        .size:           8
        .value_kind:     global_buffer
      - .actual_access:  read_only
        .address_space:  global
        .offset:         72
        .size:           8
        .value_kind:     global_buffer
      - .offset:         80
        .size:           4
        .value_kind:     by_value
      - .offset:         84
        .size:           4
        .value_kind:     by_value
      - .offset:         88
        .size:           4
        .value_kind:     by_value
      - .offset:         92
        .size:           4
        .value_kind:     by_value
      - .offset:         96
        .size:           4
        .value_kind:     by_value
      - .offset:         100
        .size:           4
        .value_kind:     by_value
      - .offset:         104
        .size:           4
        .value_kind:     by_value
      - .offset:         108
        .size:           4
        .value_kind:     by_value
      - .offset:         112
        .size:           4
        .value_kind:     by_value
      - .offset:         116
        .size:           4
        .value_kind:     by_value
      - .offset:         120
        .size:           4
        .value_kind:     by_value
      - .offset:         124
        .size:           4
        .value_kind:     by_value
      - .offset:         128
        .size:           4
        .value_kind:     by_value
      - .offset:         132
        .size:           4
        .value_kind:     by_value
      - .offset:         136
        .size:           4
        .value_kind:     by_value
      - .offset:         144
        .size:           4
        .value_kind:     hidden_block_count_x
      - .offset:         148
        .size:           4
        .value_kind:     hidden_block_count_y
      - .offset:         152
        .size:           4
        .value_kind:     hidden_block_count_z
      - .offset:         156
        .size:           2
        .value_kind:     hidden_group_size_x
      - .offset:         158
        .size:           2
        .value_kind:     hidden_group_size_y
      - .offset:         160
        .size:           2
        .value_kind:     hidden_group_size_z
      - .offset:         162
        .size:           2
        .value_kind:     hidden_remainder_x
      - .offset:         164
        .size:           2
        .value_kind:     hidden_remainder_y
      - .offset:         166
        .size:           2
        .value_kind:     hidden_remainder_z
      - .offset:         184
        .size:           8
        .value_kind:     hidden_global_offset_x
      - .offset:         192
        .size:           8
        .value_kind:     hidden_global_offset_y
      - .offset:         200
        .size:           8
        .value_kind:     hidden_global_offset_z
      - .offset:         208
        .size:           2
        .value_kind:     hidden_grid_dims
    .group_segment_fixed_size: 0
    .kernarg_segment_align: 8
    .kernarg_segment_size: 400
    .language:       OpenCL C
    .language_version:
      - 2
      - 0
    .max_flat_workgroup_size: 1024
    .name:           _ZN5aiter35fused_qk_rmsnorm_group_quant_kernelIDF16_DB8_Li64ELi4ELi8ELb0ELb0ELb0ELb0ELb0ELb0EEEvPT0_PvPT_S6_S6_PKS5_S8_S8_S8_S8_ffiiiiiiiiiiiii
    .private_segment_fixed_size: 0
    .sgpr_count:     36
    .sgpr_spill_count: 0
    .symbol:         _ZN5aiter35fused_qk_rmsnorm_group_quant_kernelIDF16_DB8_Li64ELi4ELi8ELb0ELb0ELb0ELb0ELb0ELb0EEEvPT0_PvPT_S6_S6_PKS5_S8_S8_S8_S8_ffiiiiiiiiiiiii.kd
    .uniform_work_group_size: 1
    .uses_dynamic_stack: false
    .vgpr_count:     17
    .vgpr_spill_count: 0
    .wavefront_size: 64
  - .agpr_count:     0
    .args:
      - .actual_access:  write_only
        .address_space:  global
        .offset:         0
        .size:           8
        .value_kind:     global_buffer
      - .actual_access:  write_only
        .address_space:  global
        .offset:         8
        .size:           8
        .value_kind:     global_buffer
      - .actual_access:  read_only
        .address_space:  global
        .offset:         16
        .size:           8
        .value_kind:     global_buffer
      - .actual_access:  write_only
        .address_space:  global
        .offset:         24
        .size:           8
        .value_kind:     global_buffer
      - .actual_access:  read_only
        .address_space:  global
        .offset:         32
        .size:           8
        .value_kind:     global_buffer
      - .actual_access:  read_only
        .address_space:  global
        .offset:         40
        .size:           8
        .value_kind:     global_buffer
      - .actual_access:  read_only
        .address_space:  global
        .offset:         48
        .size:           8
        .value_kind:     global_buffer
      - .actual_access:  read_only
        .address_space:  global
        .offset:         56
        .size:           8
        .value_kind:     global_buffer
      - .actual_access:  read_only
        .address_space:  global
        .offset:         64
        .size:           8
        .value_kind:     global_buffer
      - .actual_access:  read_only
        .address_space:  global
        .offset:         72
        .size:           8
        .value_kind:     global_buffer
      - .offset:         80
        .size:           4
        .value_kind:     by_value
      - .offset:         84
        .size:           4
        .value_kind:     by_value
      - .offset:         88
        .size:           4
        .value_kind:     by_value
      - .offset:         92
        .size:           4
        .value_kind:     by_value
      - .offset:         96
        .size:           4
        .value_kind:     by_value
      - .offset:         100
        .size:           4
        .value_kind:     by_value
      - .offset:         104
        .size:           4
        .value_kind:     by_value
      - .offset:         108
        .size:           4
        .value_kind:     by_value
      - .offset:         112
        .size:           4
        .value_kind:     by_value
      - .offset:         116
        .size:           4
        .value_kind:     by_value
      - .offset:         120
        .size:           4
        .value_kind:     by_value
      - .offset:         124
        .size:           4
        .value_kind:     by_value
      - .offset:         128
        .size:           4
        .value_kind:     by_value
      - .offset:         132
        .size:           4
        .value_kind:     by_value
      - .offset:         136
        .size:           4
        .value_kind:     by_value
      - .offset:         144
        .size:           4
        .value_kind:     hidden_block_count_x
      - .offset:         148
        .size:           4
        .value_kind:     hidden_block_count_y
      - .offset:         152
        .size:           4
        .value_kind:     hidden_block_count_z
      - .offset:         156
        .size:           2
        .value_kind:     hidden_group_size_x
      - .offset:         158
        .size:           2
        .value_kind:     hidden_group_size_y
      - .offset:         160
        .size:           2
        .value_kind:     hidden_group_size_z
      - .offset:         162
        .size:           2
        .value_kind:     hidden_remainder_x
      - .offset:         164
        .size:           2
        .value_kind:     hidden_remainder_y
      - .offset:         166
        .size:           2
        .value_kind:     hidden_remainder_z
      - .offset:         184
        .size:           8
        .value_kind:     hidden_global_offset_x
      - .offset:         192
        .size:           8
        .value_kind:     hidden_global_offset_y
      - .offset:         200
        .size:           8
        .value_kind:     hidden_global_offset_z
      - .offset:         208
        .size:           2
        .value_kind:     hidden_grid_dims
    .group_segment_fixed_size: 0
    .kernarg_segment_align: 8
    .kernarg_segment_size: 400
    .language:       OpenCL C
    .language_version:
      - 2
      - 0
    .max_flat_workgroup_size: 1024
    .name:           _ZN5aiter35fused_qk_rmsnorm_group_quant_kernelItDB8_Li64ELi4ELi8ELb0ELb0ELb0ELb0ELb0ELb0EEEvPT0_PvPT_S6_S6_PKS5_S8_S8_S8_S8_ffiiiiiiiiiiiii
    .private_segment_fixed_size: 0
    .sgpr_count:     36
    .sgpr_spill_count: 0
    .symbol:         _ZN5aiter35fused_qk_rmsnorm_group_quant_kernelItDB8_Li64ELi4ELi8ELb0ELb0ELb0ELb0ELb0ELb0EEEvPT0_PvPT_S6_S6_PKS5_S8_S8_S8_S8_ffiiiiiiiiiiiii.kd
    .uniform_work_group_size: 1
    .uses_dynamic_stack: false
    .vgpr_count:     17
    .vgpr_spill_count: 0
    .wavefront_size: 64
  - .agpr_count:     0
    .args:
      - .actual_access:  read_only
        .address_space:  global
        .offset:         0
        .size:           8
        .value_kind:     global_buffer
      - .actual_access:  read_only
        .address_space:  global
        .offset:         8
        .size:           8
        .value_kind:     global_buffer
      - .actual_access:  write_only
        .address_space:  global
        .offset:         16
        .size:           8
        .value_kind:     global_buffer
      - .actual_access:  write_only
        .address_space:  global
        .offset:         24
        .size:           8
        .value_kind:     global_buffer
      - .actual_access:  write_only
        .address_space:  global
        .offset:         32
        .size:           8
        .value_kind:     global_buffer
      - .actual_access:  read_only
        .address_space:  global
        .offset:         40
        .size:           8
        .value_kind:     global_buffer
      - .actual_access:  read_only
        .address_space:  global
        .offset:         48
        .size:           8
        .value_kind:     global_buffer
      - .actual_access:  read_only
        .address_space:  global
        .offset:         56
        .size:           8
        .value_kind:     global_buffer
      - .actual_access:  read_only
        .address_space:  global
        .offset:         64
        .size:           8
        .value_kind:     global_buffer
      - .actual_access:  read_only
        .address_space:  global
        .offset:         72
        .size:           8
        .value_kind:     global_buffer
      - .offset:         80
        .size:           4
        .value_kind:     by_value
      - .offset:         84
        .size:           4
        .value_kind:     by_value
      - .offset:         88
        .size:           4
        .value_kind:     by_value
      - .offset:         92
        .size:           4
        .value_kind:     by_value
      - .offset:         96
        .size:           4
        .value_kind:     by_value
      - .offset:         100
        .size:           4
        .value_kind:     by_value
      - .offset:         104
        .size:           4
        .value_kind:     by_value
      - .offset:         108
        .size:           4
        .value_kind:     by_value
      - .offset:         112
        .size:           4
        .value_kind:     by_value
      - .offset:         116
        .size:           4
        .value_kind:     by_value
      - .offset:         120
        .size:           4
        .value_kind:     by_value
      - .offset:         124
        .size:           4
        .value_kind:     by_value
      - .offset:         128
        .size:           4
        .value_kind:     by_value
      - .offset:         132
        .size:           4
        .value_kind:     by_value
      - .offset:         136
        .size:           4
        .value_kind:     by_value
      - .offset:         144
        .size:           4
        .value_kind:     hidden_block_count_x
      - .offset:         148
        .size:           4
        .value_kind:     hidden_block_count_y
      - .offset:         152
        .size:           4
        .value_kind:     hidden_block_count_z
      - .offset:         156
        .size:           2
        .value_kind:     hidden_group_size_x
      - .offset:         158
        .size:           2
        .value_kind:     hidden_group_size_y
      - .offset:         160
        .size:           2
        .value_kind:     hidden_group_size_z
      - .offset:         162
        .size:           2
        .value_kind:     hidden_remainder_x
      - .offset:         164
        .size:           2
        .value_kind:     hidden_remainder_y
      - .offset:         166
        .size:           2
        .value_kind:     hidden_remainder_z
      - .offset:         184
        .size:           8
        .value_kind:     hidden_global_offset_x
      - .offset:         192
        .size:           8
        .value_kind:     hidden_global_offset_y
      - .offset:         200
        .size:           8
        .value_kind:     hidden_global_offset_z
      - .offset:         208
        .size:           2
        .value_kind:     hidden_grid_dims
    .group_segment_fixed_size: 16
    .kernarg_segment_align: 8
    .kernarg_segment_size: 400
    .language:       OpenCL C
    .language_version:
      - 2
      - 0
    .max_flat_workgroup_size: 1024
    .name:           _ZN5aiter35fused_qk_rmsnorm_group_quant_kernelIDF16_DB8_Li128ELi8ELi16ELb1ELb1ELb1ELb1ELb0ELb0EEEvPT0_PvPT_S6_S6_PKS5_S8_S8_S8_S8_ffiiiiiiiiiiiii
    .private_segment_fixed_size: 0
    .sgpr_count:     36
    .sgpr_spill_count: 0
    .symbol:         _ZN5aiter35fused_qk_rmsnorm_group_quant_kernelIDF16_DB8_Li128ELi8ELi16ELb1ELb1ELb1ELb1ELb0ELb0EEEvPT0_PvPT_S6_S6_PKS5_S8_S8_S8_S8_ffiiiiiiiiiiiii.kd
    .uniform_work_group_size: 1
    .uses_dynamic_stack: false
    .vgpr_count:     25
    .vgpr_spill_count: 0
    .wavefront_size: 64
  - .agpr_count:     0
    .args:
      - .actual_access:  read_only
        .address_space:  global
        .offset:         0
        .size:           8
        .value_kind:     global_buffer
      - .actual_access:  read_only
        .address_space:  global
        .offset:         8
        .size:           8
        .value_kind:     global_buffer
      - .actual_access:  write_only
        .address_space:  global
        .offset:         16
        .size:           8
        .value_kind:     global_buffer
      - .actual_access:  write_only
        .address_space:  global
        .offset:         24
        .size:           8
        .value_kind:     global_buffer
      - .actual_access:  write_only
        .address_space:  global
        .offset:         32
        .size:           8
        .value_kind:     global_buffer
      - .actual_access:  read_only
        .address_space:  global
        .offset:         40
        .size:           8
        .value_kind:     global_buffer
      - .actual_access:  read_only
        .address_space:  global
        .offset:         48
        .size:           8
        .value_kind:     global_buffer
      - .actual_access:  read_only
        .address_space:  global
        .offset:         56
        .size:           8
        .value_kind:     global_buffer
      - .actual_access:  read_only
        .address_space:  global
        .offset:         64
        .size:           8
        .value_kind:     global_buffer
      - .actual_access:  read_only
        .address_space:  global
        .offset:         72
        .size:           8
        .value_kind:     global_buffer
      - .offset:         80
        .size:           4
        .value_kind:     by_value
      - .offset:         84
        .size:           4
        .value_kind:     by_value
      - .offset:         88
        .size:           4
        .value_kind:     by_value
      - .offset:         92
        .size:           4
        .value_kind:     by_value
      - .offset:         96
        .size:           4
        .value_kind:     by_value
      - .offset:         100
        .size:           4
        .value_kind:     by_value
      - .offset:         104
        .size:           4
        .value_kind:     by_value
      - .offset:         108
        .size:           4
        .value_kind:     by_value
      - .offset:         112
        .size:           4
        .value_kind:     by_value
      - .offset:         116
        .size:           4
        .value_kind:     by_value
      - .offset:         120
        .size:           4
        .value_kind:     by_value
      - .offset:         124
        .size:           4
        .value_kind:     by_value
      - .offset:         128
        .size:           4
        .value_kind:     by_value
      - .offset:         132
        .size:           4
        .value_kind:     by_value
      - .offset:         136
        .size:           4
        .value_kind:     by_value
      - .offset:         144
        .size:           4
        .value_kind:     hidden_block_count_x
      - .offset:         148
        .size:           4
        .value_kind:     hidden_block_count_y
      - .offset:         152
        .size:           4
        .value_kind:     hidden_block_count_z
      - .offset:         156
        .size:           2
        .value_kind:     hidden_group_size_x
      - .offset:         158
        .size:           2
        .value_kind:     hidden_group_size_y
      - .offset:         160
        .size:           2
        .value_kind:     hidden_group_size_z
      - .offset:         162
        .size:           2
        .value_kind:     hidden_remainder_x
      - .offset:         164
        .size:           2
        .value_kind:     hidden_remainder_y
      - .offset:         166
        .size:           2
        .value_kind:     hidden_remainder_z
      - .offset:         184
        .size:           8
        .value_kind:     hidden_global_offset_x
      - .offset:         192
        .size:           8
        .value_kind:     hidden_global_offset_y
      - .offset:         200
        .size:           8
        .value_kind:     hidden_global_offset_z
      - .offset:         208
        .size:           2
        .value_kind:     hidden_grid_dims
    .group_segment_fixed_size: 16
    .kernarg_segment_align: 8
    .kernarg_segment_size: 400
    .language:       OpenCL C
    .language_version:
      - 2
      - 0
    .max_flat_workgroup_size: 1024
    .name:           _ZN5aiter35fused_qk_rmsnorm_group_quant_kernelItDB8_Li128ELi8ELi16ELb1ELb1ELb1ELb1ELb0ELb0EEEvPT0_PvPT_S6_S6_PKS5_S8_S8_S8_S8_ffiiiiiiiiiiiii
    .private_segment_fixed_size: 0
    .sgpr_count:     48
    .sgpr_spill_count: 0
    .symbol:         _ZN5aiter35fused_qk_rmsnorm_group_quant_kernelItDB8_Li128ELi8ELi16ELb1ELb1ELb1ELb1ELb0ELb0EEEvPT0_PvPT_S6_S6_PKS5_S8_S8_S8_S8_ffiiiiiiiiiiiii.kd
    .uniform_work_group_size: 1
    .uses_dynamic_stack: false
    .vgpr_count:     27
    .vgpr_spill_count: 0
    .wavefront_size: 64
  - .agpr_count:     0
    .args:
      - .actual_access:  read_only
        .address_space:  global
        .offset:         0
        .size:           8
        .value_kind:     global_buffer
      - .actual_access:  read_only
        .address_space:  global
        .offset:         8
        .size:           8
        .value_kind:     global_buffer
      - .actual_access:  write_only
        .address_space:  global
        .offset:         16
        .size:           8
        .value_kind:     global_buffer
      - .actual_access:  write_only
        .address_space:  global
        .offset:         24
        .size:           8
        .value_kind:     global_buffer
      - .actual_access:  write_only
        .address_space:  global
        .offset:         32
        .size:           8
        .value_kind:     global_buffer
      - .actual_access:  read_only
        .address_space:  global
        .offset:         40
        .size:           8
        .value_kind:     global_buffer
      - .actual_access:  read_only
        .address_space:  global
        .offset:         48
        .size:           8
        .value_kind:     global_buffer
      - .actual_access:  read_only
        .address_space:  global
        .offset:         56
        .size:           8
        .value_kind:     global_buffer
      - .actual_access:  read_only
        .address_space:  global
        .offset:         64
        .size:           8
        .value_kind:     global_buffer
      - .actual_access:  read_only
        .address_space:  global
        .offset:         72
        .size:           8
        .value_kind:     global_buffer
      - .offset:         80
        .size:           4
        .value_kind:     by_value
      - .offset:         84
        .size:           4
        .value_kind:     by_value
      - .offset:         88
        .size:           4
        .value_kind:     by_value
      - .offset:         92
        .size:           4
        .value_kind:     by_value
      - .offset:         96
        .size:           4
        .value_kind:     by_value
      - .offset:         100
        .size:           4
        .value_kind:     by_value
      - .offset:         104
        .size:           4
        .value_kind:     by_value
      - .offset:         108
        .size:           4
        .value_kind:     by_value
      - .offset:         112
        .size:           4
        .value_kind:     by_value
      - .offset:         116
        .size:           4
        .value_kind:     by_value
      - .offset:         120
        .size:           4
        .value_kind:     by_value
      - .offset:         124
        .size:           4
        .value_kind:     by_value
      - .offset:         128
        .size:           4
        .value_kind:     by_value
      - .offset:         132
        .size:           4
        .value_kind:     by_value
      - .offset:         136
        .size:           4
        .value_kind:     by_value
      - .offset:         144
        .size:           4
        .value_kind:     hidden_block_count_x
      - .offset:         148
        .size:           4
        .value_kind:     hidden_block_count_y
      - .offset:         152
        .size:           4
        .value_kind:     hidden_block_count_z
      - .offset:         156
        .size:           2
        .value_kind:     hidden_group_size_x
      - .offset:         158
        .size:           2
        .value_kind:     hidden_group_size_y
      - .offset:         160
        .size:           2
        .value_kind:     hidden_group_size_z
      - .offset:         162
        .size:           2
        .value_kind:     hidden_remainder_x
      - .offset:         164
        .size:           2
        .value_kind:     hidden_remainder_y
      - .offset:         166
        .size:           2
        .value_kind:     hidden_remainder_z
      - .offset:         184
        .size:           8
        .value_kind:     hidden_global_offset_x
      - .offset:         192
        .size:           8
        .value_kind:     hidden_global_offset_y
      - .offset:         200
        .size:           8
        .value_kind:     hidden_global_offset_z
      - .offset:         208
        .size:           2
        .value_kind:     hidden_grid_dims
    .group_segment_fixed_size: 16
    .kernarg_segment_align: 8
    .kernarg_segment_size: 400
    .language:       OpenCL C
    .language_version:
      - 2
      - 0
    .max_flat_workgroup_size: 1024
    .name:           _ZN5aiter35fused_qk_rmsnorm_group_quant_kernelIDF16_N4opus5fp4_tELi128ELi8ELi16ELb1ELb1ELb1ELb1ELb0ELb0EEEvPT0_PvPT_S7_S7_PKS6_S9_S9_S9_S9_ffiiiiiiiiiiiii
    .private_segment_fixed_size: 0
    .sgpr_count:     36
    .sgpr_spill_count: 0
    .symbol:         _ZN5aiter35fused_qk_rmsnorm_group_quant_kernelIDF16_N4opus5fp4_tELi128ELi8ELi16ELb1ELb1ELb1ELb1ELb0ELb0EEEvPT0_PvPT_S7_S7_PKS6_S9_S9_S9_S9_ffiiiiiiiiiiiii.kd
    .uniform_work_group_size: 1
    .uses_dynamic_stack: false
    .vgpr_count:     25
    .vgpr_spill_count: 0
    .wavefront_size: 64
  - .agpr_count:     0
    .args:
      - .actual_access:  read_only
        .address_space:  global
        .offset:         0
        .size:           8
        .value_kind:     global_buffer
      - .actual_access:  read_only
        .address_space:  global
        .offset:         8
        .size:           8
        .value_kind:     global_buffer
      - .actual_access:  write_only
        .address_space:  global
        .offset:         16
        .size:           8
        .value_kind:     global_buffer
      - .actual_access:  write_only
        .address_space:  global
        .offset:         24
        .size:           8
        .value_kind:     global_buffer
      - .actual_access:  write_only
        .address_space:  global
        .offset:         32
        .size:           8
        .value_kind:     global_buffer
      - .actual_access:  read_only
        .address_space:  global
        .offset:         40
        .size:           8
        .value_kind:     global_buffer
      - .actual_access:  read_only
        .address_space:  global
        .offset:         48
        .size:           8
        .value_kind:     global_buffer
      - .actual_access:  read_only
        .address_space:  global
        .offset:         56
        .size:           8
        .value_kind:     global_buffer
      - .actual_access:  read_only
        .address_space:  global
        .offset:         64
        .size:           8
        .value_kind:     global_buffer
      - .actual_access:  read_only
        .address_space:  global
        .offset:         72
        .size:           8
        .value_kind:     global_buffer
      - .offset:         80
        .size:           4
        .value_kind:     by_value
      - .offset:         84
        .size:           4
        .value_kind:     by_value
      - .offset:         88
        .size:           4
        .value_kind:     by_value
      - .offset:         92
        .size:           4
        .value_kind:     by_value
      - .offset:         96
        .size:           4
        .value_kind:     by_value
      - .offset:         100
        .size:           4
        .value_kind:     by_value
      - .offset:         104
        .size:           4
        .value_kind:     by_value
      - .offset:         108
        .size:           4
        .value_kind:     by_value
      - .offset:         112
        .size:           4
        .value_kind:     by_value
      - .offset:         116
        .size:           4
        .value_kind:     by_value
      - .offset:         120
        .size:           4
        .value_kind:     by_value
      - .offset:         124
        .size:           4
        .value_kind:     by_value
      - .offset:         128
        .size:           4
        .value_kind:     by_value
      - .offset:         132
        .size:           4
        .value_kind:     by_value
      - .offset:         136
        .size:           4
        .value_kind:     by_value
      - .offset:         144
        .size:           4
        .value_kind:     hidden_block_count_x
      - .offset:         148
        .size:           4
        .value_kind:     hidden_block_count_y
      - .offset:         152
        .size:           4
        .value_kind:     hidden_block_count_z
      - .offset:         156
        .size:           2
        .value_kind:     hidden_group_size_x
      - .offset:         158
        .size:           2
        .value_kind:     hidden_group_size_y
      - .offset:         160
        .size:           2
        .value_kind:     hidden_group_size_z
      - .offset:         162
        .size:           2
        .value_kind:     hidden_remainder_x
      - .offset:         164
        .size:           2
        .value_kind:     hidden_remainder_y
      - .offset:         166
        .size:           2
        .value_kind:     hidden_remainder_z
      - .offset:         184
        .size:           8
        .value_kind:     hidden_global_offset_x
      - .offset:         192
        .size:           8
        .value_kind:     hidden_global_offset_y
      - .offset:         200
        .size:           8
        .value_kind:     hidden_global_offset_z
      - .offset:         208
        .size:           2
        .value_kind:     hidden_grid_dims
    .group_segment_fixed_size: 16
    .kernarg_segment_align: 8
    .kernarg_segment_size: 400
    .language:       OpenCL C
    .language_version:
      - 2
      - 0
    .max_flat_workgroup_size: 1024
    .name:           _ZN5aiter35fused_qk_rmsnorm_group_quant_kernelItN4opus5fp4_tELi128ELi8ELi16ELb1ELb1ELb1ELb1ELb0ELb0EEEvPT0_PvPT_S7_S7_PKS6_S9_S9_S9_S9_ffiiiiiiiiiiiii
    .private_segment_fixed_size: 0
    .sgpr_count:     48
    .sgpr_spill_count: 0
    .symbol:         _ZN5aiter35fused_qk_rmsnorm_group_quant_kernelItN4opus5fp4_tELi128ELi8ELi16ELb1ELb1ELb1ELb1ELb0ELb0EEEvPT0_PvPT_S7_S7_PKS6_S9_S9_S9_S9_ffiiiiiiiiiiiii.kd
    .uniform_work_group_size: 1
    .uses_dynamic_stack: false
    .vgpr_count:     27
    .vgpr_spill_count: 0
    .wavefront_size: 64
  - .agpr_count:     0
    .args:
      - .actual_access:  read_only
        .address_space:  global
        .offset:         0
        .size:           8
        .value_kind:     global_buffer
      - .actual_access:  read_only
        .address_space:  global
        .offset:         8
        .size:           8
        .value_kind:     global_buffer
      - .actual_access:  write_only
        .address_space:  global
        .offset:         16
        .size:           8
        .value_kind:     global_buffer
      - .actual_access:  write_only
        .address_space:  global
        .offset:         24
        .size:           8
        .value_kind:     global_buffer
      - .actual_access:  write_only
        .address_space:  global
        .offset:         32
        .size:           8
        .value_kind:     global_buffer
      - .actual_access:  read_only
        .address_space:  global
        .offset:         40
        .size:           8
        .value_kind:     global_buffer
      - .actual_access:  read_only
        .address_space:  global
        .offset:         48
        .size:           8
        .value_kind:     global_buffer
      - .actual_access:  read_only
        .address_space:  global
        .offset:         56
        .size:           8
        .value_kind:     global_buffer
      - .actual_access:  read_only
        .address_space:  global
        .offset:         64
        .size:           8
        .value_kind:     global_buffer
      - .actual_access:  read_only
        .address_space:  global
        .offset:         72
        .size:           8
        .value_kind:     global_buffer
      - .offset:         80
        .size:           4
        .value_kind:     by_value
      - .offset:         84
        .size:           4
        .value_kind:     by_value
      - .offset:         88
        .size:           4
        .value_kind:     by_value
      - .offset:         92
        .size:           4
        .value_kind:     by_value
      - .offset:         96
        .size:           4
        .value_kind:     by_value
      - .offset:         100
        .size:           4
        .value_kind:     by_value
      - .offset:         104
        .size:           4
        .value_kind:     by_value
      - .offset:         108
        .size:           4
        .value_kind:     by_value
      - .offset:         112
        .size:           4
        .value_kind:     by_value
      - .offset:         116
        .size:           4
        .value_kind:     by_value
      - .offset:         120
        .size:           4
        .value_kind:     by_value
      - .offset:         124
        .size:           4
        .value_kind:     by_value
      - .offset:         128
        .size:           4
        .value_kind:     by_value
      - .offset:         132
        .size:           4
        .value_kind:     by_value
      - .offset:         136
        .size:           4
        .value_kind:     by_value
      - .offset:         144
        .size:           4
        .value_kind:     hidden_block_count_x
      - .offset:         148
        .size:           4
        .value_kind:     hidden_block_count_y
      - .offset:         152
        .size:           4
        .value_kind:     hidden_block_count_z
      - .offset:         156
        .size:           2
        .value_kind:     hidden_group_size_x
      - .offset:         158
        .size:           2
        .value_kind:     hidden_group_size_y
      - .offset:         160
        .size:           2
        .value_kind:     hidden_group_size_z
      - .offset:         162
        .size:           2
        .value_kind:     hidden_remainder_x
      - .offset:         164
        .size:           2
        .value_kind:     hidden_remainder_y
      - .offset:         166
        .size:           2
        .value_kind:     hidden_remainder_z
      - .offset:         184
        .size:           8
        .value_kind:     hidden_global_offset_x
      - .offset:         192
        .size:           8
        .value_kind:     hidden_global_offset_y
      - .offset:         200
        .size:           8
        .value_kind:     hidden_global_offset_z
      - .offset:         208
        .size:           2
        .value_kind:     hidden_grid_dims
    .group_segment_fixed_size: 16
    .kernarg_segment_align: 8
    .kernarg_segment_size: 400
    .language:       OpenCL C
    .language_version:
      - 2
      - 0
    .max_flat_workgroup_size: 1024
    .name:           _ZN5aiter35fused_qk_rmsnorm_group_quant_kernelIDF16_DB8_Li128ELi8ELi16ELb1ELb1ELb0ELb1ELb0ELb0EEEvPT0_PvPT_S6_S6_PKS5_S8_S8_S8_S8_ffiiiiiiiiiiiii
    .private_segment_fixed_size: 0
    .sgpr_count:     36
    .sgpr_spill_count: 0
    .symbol:         _ZN5aiter35fused_qk_rmsnorm_group_quant_kernelIDF16_DB8_Li128ELi8ELi16ELb1ELb1ELb0ELb1ELb0ELb0EEEvPT0_PvPT_S6_S6_PKS5_S8_S8_S8_S8_ffiiiiiiiiiiiii.kd
    .uniform_work_group_size: 1
    .uses_dynamic_stack: false
    .vgpr_count:     27
    .vgpr_spill_count: 0
    .wavefront_size: 64
  - .agpr_count:     0
    .args:
      - .actual_access:  read_only
        .address_space:  global
        .offset:         0
        .size:           8
        .value_kind:     global_buffer
      - .actual_access:  read_only
        .address_space:  global
        .offset:         8
        .size:           8
        .value_kind:     global_buffer
      - .actual_access:  write_only
        .address_space:  global
        .offset:         16
        .size:           8
        .value_kind:     global_buffer
      - .actual_access:  write_only
        .address_space:  global
        .offset:         24
        .size:           8
        .value_kind:     global_buffer
      - .actual_access:  write_only
        .address_space:  global
        .offset:         32
        .size:           8
        .value_kind:     global_buffer
      - .actual_access:  read_only
        .address_space:  global
        .offset:         40
        .size:           8
        .value_kind:     global_buffer
      - .actual_access:  read_only
        .address_space:  global
        .offset:         48
        .size:           8
        .value_kind:     global_buffer
      - .actual_access:  read_only
        .address_space:  global
        .offset:         56
        .size:           8
        .value_kind:     global_buffer
      - .actual_access:  read_only
        .address_space:  global
        .offset:         64
        .size:           8
        .value_kind:     global_buffer
      - .actual_access:  read_only
        .address_space:  global
        .offset:         72
        .size:           8
        .value_kind:     global_buffer
      - .offset:         80
        .size:           4
        .value_kind:     by_value
      - .offset:         84
        .size:           4
        .value_kind:     by_value
      - .offset:         88
        .size:           4
        .value_kind:     by_value
      - .offset:         92
        .size:           4
        .value_kind:     by_value
      - .offset:         96
        .size:           4
        .value_kind:     by_value
      - .offset:         100
        .size:           4
        .value_kind:     by_value
      - .offset:         104
        .size:           4
        .value_kind:     by_value
      - .offset:         108
        .size:           4
        .value_kind:     by_value
      - .offset:         112
        .size:           4
        .value_kind:     by_value
      - .offset:         116
        .size:           4
        .value_kind:     by_value
      - .offset:         120
        .size:           4
        .value_kind:     by_value
      - .offset:         124
        .size:           4
        .value_kind:     by_value
      - .offset:         128
        .size:           4
        .value_kind:     by_value
      - .offset:         132
        .size:           4
        .value_kind:     by_value
      - .offset:         136
        .size:           4
        .value_kind:     by_value
      - .offset:         144
        .size:           4
        .value_kind:     hidden_block_count_x
      - .offset:         148
        .size:           4
        .value_kind:     hidden_block_count_y
      - .offset:         152
        .size:           4
        .value_kind:     hidden_block_count_z
      - .offset:         156
        .size:           2
        .value_kind:     hidden_group_size_x
      - .offset:         158
        .size:           2
        .value_kind:     hidden_group_size_y
      - .offset:         160
        .size:           2
        .value_kind:     hidden_group_size_z
      - .offset:         162
        .size:           2
        .value_kind:     hidden_remainder_x
      - .offset:         164
        .size:           2
        .value_kind:     hidden_remainder_y
      - .offset:         166
        .size:           2
        .value_kind:     hidden_remainder_z
      - .offset:         184
        .size:           8
        .value_kind:     hidden_global_offset_x
      - .offset:         192
        .size:           8
        .value_kind:     hidden_global_offset_y
      - .offset:         200
        .size:           8
        .value_kind:     hidden_global_offset_z
      - .offset:         208
        .size:           2
        .value_kind:     hidden_grid_dims
    .group_segment_fixed_size: 16
    .kernarg_segment_align: 8
    .kernarg_segment_size: 400
    .language:       OpenCL C
    .language_version:
      - 2
      - 0
    .max_flat_workgroup_size: 1024
    .name:           _ZN5aiter35fused_qk_rmsnorm_group_quant_kernelItDB8_Li128ELi8ELi16ELb1ELb1ELb0ELb1ELb0ELb0EEEvPT0_PvPT_S6_S6_PKS5_S8_S8_S8_S8_ffiiiiiiiiiiiii
    .private_segment_fixed_size: 0
    .sgpr_count:     48
    .sgpr_spill_count: 0
    .symbol:         _ZN5aiter35fused_qk_rmsnorm_group_quant_kernelItDB8_Li128ELi8ELi16ELb1ELb1ELb0ELb1ELb0ELb0EEEvPT0_PvPT_S6_S6_PKS5_S8_S8_S8_S8_ffiiiiiiiiiiiii.kd
    .uniform_work_group_size: 1
    .uses_dynamic_stack: false
    .vgpr_count:     27
    .vgpr_spill_count: 0
    .wavefront_size: 64
  - .agpr_count:     0
    .args:
      - .actual_access:  read_only
        .address_space:  global
        .offset:         0
        .size:           8
        .value_kind:     global_buffer
      - .actual_access:  read_only
        .address_space:  global
        .offset:         8
        .size:           8
        .value_kind:     global_buffer
      - .actual_access:  write_only
        .address_space:  global
        .offset:         16
        .size:           8
        .value_kind:     global_buffer
      - .actual_access:  write_only
        .address_space:  global
        .offset:         24
        .size:           8
        .value_kind:     global_buffer
      - .actual_access:  write_only
        .address_space:  global
        .offset:         32
        .size:           8
        .value_kind:     global_buffer
      - .actual_access:  read_only
        .address_space:  global
        .offset:         40
        .size:           8
        .value_kind:     global_buffer
      - .actual_access:  read_only
        .address_space:  global
        .offset:         48
        .size:           8
        .value_kind:     global_buffer
      - .actual_access:  read_only
        .address_space:  global
        .offset:         56
        .size:           8
        .value_kind:     global_buffer
      - .actual_access:  read_only
        .address_space:  global
        .offset:         64
        .size:           8
        .value_kind:     global_buffer
      - .actual_access:  read_only
        .address_space:  global
        .offset:         72
        .size:           8
        .value_kind:     global_buffer
      - .offset:         80
        .size:           4
        .value_kind:     by_value
      - .offset:         84
        .size:           4
        .value_kind:     by_value
      - .offset:         88
        .size:           4
        .value_kind:     by_value
      - .offset:         92
        .size:           4
        .value_kind:     by_value
      - .offset:         96
        .size:           4
        .value_kind:     by_value
      - .offset:         100
        .size:           4
        .value_kind:     by_value
      - .offset:         104
        .size:           4
        .value_kind:     by_value
      - .offset:         108
        .size:           4
        .value_kind:     by_value
      - .offset:         112
        .size:           4
        .value_kind:     by_value
      - .offset:         116
        .size:           4
        .value_kind:     by_value
      - .offset:         120
        .size:           4
        .value_kind:     by_value
      - .offset:         124
        .size:           4
        .value_kind:     by_value
      - .offset:         128
        .size:           4
        .value_kind:     by_value
      - .offset:         132
        .size:           4
        .value_kind:     by_value
      - .offset:         136
        .size:           4
        .value_kind:     by_value
      - .offset:         144
        .size:           4
        .value_kind:     hidden_block_count_x
      - .offset:         148
        .size:           4
        .value_kind:     hidden_block_count_y
      - .offset:         152
        .size:           4
        .value_kind:     hidden_block_count_z
      - .offset:         156
        .size:           2
        .value_kind:     hidden_group_size_x
      - .offset:         158
        .size:           2
        .value_kind:     hidden_group_size_y
      - .offset:         160
        .size:           2
        .value_kind:     hidden_group_size_z
      - .offset:         162
        .size:           2
        .value_kind:     hidden_remainder_x
      - .offset:         164
        .size:           2
        .value_kind:     hidden_remainder_y
      - .offset:         166
        .size:           2
        .value_kind:     hidden_remainder_z
      - .offset:         184
        .size:           8
        .value_kind:     hidden_global_offset_x
      - .offset:         192
        .size:           8
        .value_kind:     hidden_global_offset_y
      - .offset:         200
        .size:           8
        .value_kind:     hidden_global_offset_z
      - .offset:         208
        .size:           2
        .value_kind:     hidden_grid_dims
    .group_segment_fixed_size: 16
    .kernarg_segment_align: 8
    .kernarg_segment_size: 400
    .language:       OpenCL C
    .language_version:
      - 2
      - 0
    .max_flat_workgroup_size: 1024
    .name:           _ZN5aiter35fused_qk_rmsnorm_group_quant_kernelIDF16_N4opus5fp4_tELi128ELi8ELi16ELb1ELb1ELb0ELb1ELb0ELb0EEEvPT0_PvPT_S7_S7_PKS6_S9_S9_S9_S9_ffiiiiiiiiiiiii
    .private_segment_fixed_size: 0
    .sgpr_count:     36
    .sgpr_spill_count: 0
    .symbol:         _ZN5aiter35fused_qk_rmsnorm_group_quant_kernelIDF16_N4opus5fp4_tELi128ELi8ELi16ELb1ELb1ELb0ELb1ELb0ELb0EEEvPT0_PvPT_S7_S7_PKS6_S9_S9_S9_S9_ffiiiiiiiiiiiii.kd
    .uniform_work_group_size: 1
    .uses_dynamic_stack: false
    .vgpr_count:     27
    .vgpr_spill_count: 0
    .wavefront_size: 64
  - .agpr_count:     0
    .args:
      - .actual_access:  read_only
        .address_space:  global
        .offset:         0
        .size:           8
        .value_kind:     global_buffer
      - .actual_access:  read_only
        .address_space:  global
        .offset:         8
        .size:           8
        .value_kind:     global_buffer
      - .actual_access:  write_only
        .address_space:  global
        .offset:         16
        .size:           8
        .value_kind:     global_buffer
      - .actual_access:  write_only
        .address_space:  global
        .offset:         24
        .size:           8
        .value_kind:     global_buffer
      - .actual_access:  write_only
        .address_space:  global
        .offset:         32
        .size:           8
        .value_kind:     global_buffer
      - .actual_access:  read_only
        .address_space:  global
        .offset:         40
        .size:           8
        .value_kind:     global_buffer
      - .actual_access:  read_only
        .address_space:  global
        .offset:         48
        .size:           8
        .value_kind:     global_buffer
      - .actual_access:  read_only
        .address_space:  global
        .offset:         56
        .size:           8
        .value_kind:     global_buffer
      - .actual_access:  read_only
        .address_space:  global
        .offset:         64
        .size:           8
        .value_kind:     global_buffer
      - .actual_access:  read_only
        .address_space:  global
        .offset:         72
        .size:           8
        .value_kind:     global_buffer
      - .offset:         80
        .size:           4
        .value_kind:     by_value
      - .offset:         84
        .size:           4
        .value_kind:     by_value
      - .offset:         88
        .size:           4
        .value_kind:     by_value
      - .offset:         92
        .size:           4
        .value_kind:     by_value
      - .offset:         96
        .size:           4
        .value_kind:     by_value
      - .offset:         100
        .size:           4
        .value_kind:     by_value
      - .offset:         104
        .size:           4
        .value_kind:     by_value
      - .offset:         108
        .size:           4
        .value_kind:     by_value
      - .offset:         112
        .size:           4
        .value_kind:     by_value
      - .offset:         116
        .size:           4
        .value_kind:     by_value
      - .offset:         120
        .size:           4
        .value_kind:     by_value
      - .offset:         124
        .size:           4
        .value_kind:     by_value
      - .offset:         128
        .size:           4
        .value_kind:     by_value
      - .offset:         132
        .size:           4
        .value_kind:     by_value
      - .offset:         136
        .size:           4
        .value_kind:     by_value
      - .offset:         144
        .size:           4
        .value_kind:     hidden_block_count_x
      - .offset:         148
        .size:           4
        .value_kind:     hidden_block_count_y
      - .offset:         152
        .size:           4
        .value_kind:     hidden_block_count_z
      - .offset:         156
        .size:           2
        .value_kind:     hidden_group_size_x
      - .offset:         158
        .size:           2
        .value_kind:     hidden_group_size_y
      - .offset:         160
        .size:           2
        .value_kind:     hidden_group_size_z
      - .offset:         162
        .size:           2
        .value_kind:     hidden_remainder_x
      - .offset:         164
        .size:           2
        .value_kind:     hidden_remainder_y
      - .offset:         166
        .size:           2
        .value_kind:     hidden_remainder_z
      - .offset:         184
        .size:           8
        .value_kind:     hidden_global_offset_x
      - .offset:         192
        .size:           8
        .value_kind:     hidden_global_offset_y
      - .offset:         200
        .size:           8
        .value_kind:     hidden_global_offset_z
      - .offset:         208
        .size:           2
        .value_kind:     hidden_grid_dims
    .group_segment_fixed_size: 16
    .kernarg_segment_align: 8
    .kernarg_segment_size: 400
    .language:       OpenCL C
    .language_version:
      - 2
      - 0
    .max_flat_workgroup_size: 1024
    .name:           _ZN5aiter35fused_qk_rmsnorm_group_quant_kernelItN4opus5fp4_tELi128ELi8ELi16ELb1ELb1ELb0ELb1ELb0ELb0EEEvPT0_PvPT_S7_S7_PKS6_S9_S9_S9_S9_ffiiiiiiiiiiiii
    .private_segment_fixed_size: 0
    .sgpr_count:     48
    .sgpr_spill_count: 0
    .symbol:         _ZN5aiter35fused_qk_rmsnorm_group_quant_kernelItN4opus5fp4_tELi128ELi8ELi16ELb1ELb1ELb0ELb1ELb0ELb0EEEvPT0_PvPT_S7_S7_PKS6_S9_S9_S9_S9_ffiiiiiiiiiiiii.kd
    .uniform_work_group_size: 1
    .uses_dynamic_stack: false
    .vgpr_count:     27
    .vgpr_spill_count: 0
    .wavefront_size: 64
  - .agpr_count:     0
    .args:
      - .actual_access:  read_only
        .address_space:  global
        .offset:         0
        .size:           8
        .value_kind:     global_buffer
      - .actual_access:  read_only
        .address_space:  global
        .offset:         8
        .size:           8
        .value_kind:     global_buffer
      - .actual_access:  write_only
        .address_space:  global
        .offset:         16
        .size:           8
        .value_kind:     global_buffer
      - .actual_access:  write_only
        .address_space:  global
        .offset:         24
        .size:           8
        .value_kind:     global_buffer
      - .actual_access:  read_only
        .address_space:  global
        .offset:         32
        .size:           8
        .value_kind:     global_buffer
      - .actual_access:  read_only
        .address_space:  global
        .offset:         40
        .size:           8
        .value_kind:     global_buffer
      - .actual_access:  read_only
        .address_space:  global
        .offset:         48
        .size:           8
        .value_kind:     global_buffer
      - .actual_access:  read_only
        .address_space:  global
        .offset:         56
        .size:           8
        .value_kind:     global_buffer
      - .actual_access:  read_only
        .address_space:  global
        .offset:         64
        .size:           8
        .value_kind:     global_buffer
      - .actual_access:  read_only
        .address_space:  global
        .offset:         72
        .size:           8
        .value_kind:     global_buffer
      - .offset:         80
        .size:           4
        .value_kind:     by_value
      - .offset:         84
        .size:           4
        .value_kind:     by_value
      - .offset:         88
        .size:           4
        .value_kind:     by_value
      - .offset:         92
        .size:           4
        .value_kind:     by_value
      - .offset:         96
        .size:           4
        .value_kind:     by_value
      - .offset:         100
        .size:           4
        .value_kind:     by_value
      - .offset:         104
        .size:           4
        .value_kind:     by_value
      - .offset:         108
        .size:           4
        .value_kind:     by_value
      - .offset:         112
        .size:           4
        .value_kind:     by_value
      - .offset:         116
        .size:           4
        .value_kind:     by_value
      - .offset:         120
        .size:           4
        .value_kind:     by_value
      - .offset:         124
        .size:           4
        .value_kind:     by_value
      - .offset:         128
        .size:           4
        .value_kind:     by_value
      - .offset:         132
        .size:           4
        .value_kind:     by_value
      - .offset:         136
        .size:           4
        .value_kind:     by_value
      - .offset:         144
        .size:           4
        .value_kind:     hidden_block_count_x
      - .offset:         148
        .size:           4
        .value_kind:     hidden_block_count_y
      - .offset:         152
        .size:           4
        .value_kind:     hidden_block_count_z
      - .offset:         156
        .size:           2
        .value_kind:     hidden_group_size_x
      - .offset:         158
        .size:           2
        .value_kind:     hidden_group_size_y
      - .offset:         160
        .size:           2
        .value_kind:     hidden_group_size_z
      - .offset:         162
        .size:           2
        .value_kind:     hidden_remainder_x
      - .offset:         164
        .size:           2
        .value_kind:     hidden_remainder_y
      - .offset:         166
        .size:           2
        .value_kind:     hidden_remainder_z
      - .offset:         184
        .size:           8
        .value_kind:     hidden_global_offset_x
      - .offset:         192
        .size:           8
        .value_kind:     hidden_global_offset_y
      - .offset:         200
        .size:           8
        .value_kind:     hidden_global_offset_z
      - .offset:         208
        .size:           2
        .value_kind:     hidden_grid_dims
    .group_segment_fixed_size: 16
    .kernarg_segment_align: 8
    .kernarg_segment_size: 400
    .language:       OpenCL C
    .language_version:
      - 2
      - 0
    .max_flat_workgroup_size: 1024
    .name:           _ZN5aiter35fused_qk_rmsnorm_group_quant_kernelIDF16_DB8_Li128ELi8ELi16ELb0ELb1ELb1ELb1ELb0ELb0EEEvPT0_PvPT_S6_S6_PKS5_S8_S8_S8_S8_ffiiiiiiiiiiiii
    .private_segment_fixed_size: 0
    .sgpr_count:     36
    .sgpr_spill_count: 0
    .symbol:         _ZN5aiter35fused_qk_rmsnorm_group_quant_kernelIDF16_DB8_Li128ELi8ELi16ELb0ELb1ELb1ELb1ELb0ELb0EEEvPT0_PvPT_S6_S6_PKS5_S8_S8_S8_S8_ffiiiiiiiiiiiii.kd
    .uniform_work_group_size: 1
    .uses_dynamic_stack: false
    .vgpr_count:     23
    .vgpr_spill_count: 0
    .wavefront_size: 64
  - .agpr_count:     0
    .args:
      - .actual_access:  read_only
        .address_space:  global
        .offset:         0
        .size:           8
        .value_kind:     global_buffer
      - .actual_access:  read_only
        .address_space:  global
        .offset:         8
        .size:           8
        .value_kind:     global_buffer
      - .actual_access:  write_only
        .address_space:  global
        .offset:         16
        .size:           8
        .value_kind:     global_buffer
      - .actual_access:  write_only
        .address_space:  global
        .offset:         24
        .size:           8
        .value_kind:     global_buffer
      - .actual_access:  read_only
        .address_space:  global
        .offset:         32
        .size:           8
        .value_kind:     global_buffer
      - .actual_access:  read_only
        .address_space:  global
        .offset:         40
        .size:           8
        .value_kind:     global_buffer
      - .actual_access:  read_only
        .address_space:  global
        .offset:         48
        .size:           8
        .value_kind:     global_buffer
      - .actual_access:  read_only
        .address_space:  global
        .offset:         56
        .size:           8
        .value_kind:     global_buffer
      - .actual_access:  read_only
        .address_space:  global
        .offset:         64
        .size:           8
        .value_kind:     global_buffer
      - .actual_access:  read_only
        .address_space:  global
        .offset:         72
        .size:           8
        .value_kind:     global_buffer
      - .offset:         80
        .size:           4
        .value_kind:     by_value
      - .offset:         84
        .size:           4
        .value_kind:     by_value
      - .offset:         88
        .size:           4
        .value_kind:     by_value
      - .offset:         92
        .size:           4
        .value_kind:     by_value
      - .offset:         96
        .size:           4
        .value_kind:     by_value
      - .offset:         100
        .size:           4
        .value_kind:     by_value
      - .offset:         104
        .size:           4
        .value_kind:     by_value
      - .offset:         108
        .size:           4
        .value_kind:     by_value
      - .offset:         112
        .size:           4
        .value_kind:     by_value
      - .offset:         116
        .size:           4
        .value_kind:     by_value
      - .offset:         120
        .size:           4
        .value_kind:     by_value
      - .offset:         124
        .size:           4
        .value_kind:     by_value
      - .offset:         128
        .size:           4
        .value_kind:     by_value
      - .offset:         132
        .size:           4
        .value_kind:     by_value
      - .offset:         136
        .size:           4
        .value_kind:     by_value
      - .offset:         144
        .size:           4
        .value_kind:     hidden_block_count_x
      - .offset:         148
        .size:           4
        .value_kind:     hidden_block_count_y
      - .offset:         152
        .size:           4
        .value_kind:     hidden_block_count_z
      - .offset:         156
        .size:           2
        .value_kind:     hidden_group_size_x
      - .offset:         158
        .size:           2
        .value_kind:     hidden_group_size_y
      - .offset:         160
        .size:           2
        .value_kind:     hidden_group_size_z
      - .offset:         162
        .size:           2
        .value_kind:     hidden_remainder_x
      - .offset:         164
        .size:           2
        .value_kind:     hidden_remainder_y
      - .offset:         166
        .size:           2
        .value_kind:     hidden_remainder_z
      - .offset:         184
        .size:           8
        .value_kind:     hidden_global_offset_x
      - .offset:         192
        .size:           8
        .value_kind:     hidden_global_offset_y
      - .offset:         200
        .size:           8
        .value_kind:     hidden_global_offset_z
      - .offset:         208
        .size:           2
        .value_kind:     hidden_grid_dims
    .group_segment_fixed_size: 16
    .kernarg_segment_align: 8
    .kernarg_segment_size: 400
    .language:       OpenCL C
    .language_version:
      - 2
      - 0
    .max_flat_workgroup_size: 1024
    .name:           _ZN5aiter35fused_qk_rmsnorm_group_quant_kernelItDB8_Li128ELi8ELi16ELb0ELb1ELb1ELb1ELb0ELb0EEEvPT0_PvPT_S6_S6_PKS5_S8_S8_S8_S8_ffiiiiiiiiiiiii
    .private_segment_fixed_size: 0
    .sgpr_count:     36
    .sgpr_spill_count: 0
    .symbol:         _ZN5aiter35fused_qk_rmsnorm_group_quant_kernelItDB8_Li128ELi8ELi16ELb0ELb1ELb1ELb1ELb0ELb0EEEvPT0_PvPT_S6_S6_PKS5_S8_S8_S8_S8_ffiiiiiiiiiiiii.kd
    .uniform_work_group_size: 1
    .uses_dynamic_stack: false
    .vgpr_count:     23
    .vgpr_spill_count: 0
    .wavefront_size: 64
  - .agpr_count:     0
    .args:
      - .actual_access:  read_only
        .address_space:  global
        .offset:         0
        .size:           8
        .value_kind:     global_buffer
      - .actual_access:  read_only
        .address_space:  global
        .offset:         8
        .size:           8
        .value_kind:     global_buffer
      - .actual_access:  write_only
        .address_space:  global
        .offset:         16
        .size:           8
        .value_kind:     global_buffer
      - .actual_access:  write_only
        .address_space:  global
        .offset:         24
        .size:           8
        .value_kind:     global_buffer
      - .actual_access:  read_only
        .address_space:  global
        .offset:         32
        .size:           8
        .value_kind:     global_buffer
      - .actual_access:  read_only
        .address_space:  global
        .offset:         40
        .size:           8
        .value_kind:     global_buffer
      - .actual_access:  read_only
        .address_space:  global
        .offset:         48
        .size:           8
        .value_kind:     global_buffer
      - .actual_access:  read_only
        .address_space:  global
        .offset:         56
        .size:           8
        .value_kind:     global_buffer
      - .actual_access:  read_only
        .address_space:  global
        .offset:         64
        .size:           8
        .value_kind:     global_buffer
      - .actual_access:  read_only
        .address_space:  global
        .offset:         72
        .size:           8
        .value_kind:     global_buffer
      - .offset:         80
        .size:           4
        .value_kind:     by_value
      - .offset:         84
        .size:           4
        .value_kind:     by_value
      - .offset:         88
        .size:           4
        .value_kind:     by_value
      - .offset:         92
        .size:           4
        .value_kind:     by_value
      - .offset:         96
        .size:           4
        .value_kind:     by_value
      - .offset:         100
        .size:           4
        .value_kind:     by_value
      - .offset:         104
        .size:           4
        .value_kind:     by_value
      - .offset:         108
        .size:           4
        .value_kind:     by_value
      - .offset:         112
        .size:           4
        .value_kind:     by_value
      - .offset:         116
        .size:           4
        .value_kind:     by_value
      - .offset:         120
        .size:           4
        .value_kind:     by_value
      - .offset:         124
        .size:           4
        .value_kind:     by_value
      - .offset:         128
        .size:           4
        .value_kind:     by_value
      - .offset:         132
        .size:           4
        .value_kind:     by_value
      - .offset:         136
        .size:           4
        .value_kind:     by_value
      - .offset:         144
        .size:           4
        .value_kind:     hidden_block_count_x
      - .offset:         148
        .size:           4
        .value_kind:     hidden_block_count_y
      - .offset:         152
        .size:           4
        .value_kind:     hidden_block_count_z
      - .offset:         156
        .size:           2
        .value_kind:     hidden_group_size_x
      - .offset:         158
        .size:           2
        .value_kind:     hidden_group_size_y
      - .offset:         160
        .size:           2
        .value_kind:     hidden_group_size_z
      - .offset:         162
        .size:           2
        .value_kind:     hidden_remainder_x
      - .offset:         164
        .size:           2
        .value_kind:     hidden_remainder_y
      - .offset:         166
        .size:           2
        .value_kind:     hidden_remainder_z
      - .offset:         184
        .size:           8
        .value_kind:     hidden_global_offset_x
      - .offset:         192
        .size:           8
        .value_kind:     hidden_global_offset_y
      - .offset:         200
        .size:           8
        .value_kind:     hidden_global_offset_z
      - .offset:         208
        .size:           2
        .value_kind:     hidden_grid_dims
    .group_segment_fixed_size: 16
    .kernarg_segment_align: 8
    .kernarg_segment_size: 400
    .language:       OpenCL C
    .language_version:
      - 2
      - 0
    .max_flat_workgroup_size: 1024
    .name:           _ZN5aiter35fused_qk_rmsnorm_group_quant_kernelIDF16_N4opus5fp4_tELi128ELi8ELi16ELb0ELb1ELb1ELb1ELb0ELb0EEEvPT0_PvPT_S7_S7_PKS6_S9_S9_S9_S9_ffiiiiiiiiiiiii
    .private_segment_fixed_size: 0
    .sgpr_count:     36
    .sgpr_spill_count: 0
    .symbol:         _ZN5aiter35fused_qk_rmsnorm_group_quant_kernelIDF16_N4opus5fp4_tELi128ELi8ELi16ELb0ELb1ELb1ELb1ELb0ELb0EEEvPT0_PvPT_S7_S7_PKS6_S9_S9_S9_S9_ffiiiiiiiiiiiii.kd
    .uniform_work_group_size: 1
    .uses_dynamic_stack: false
    .vgpr_count:     23
    .vgpr_spill_count: 0
    .wavefront_size: 64
  - .agpr_count:     0
    .args:
      - .actual_access:  read_only
        .address_space:  global
        .offset:         0
        .size:           8
        .value_kind:     global_buffer
      - .actual_access:  read_only
        .address_space:  global
        .offset:         8
        .size:           8
        .value_kind:     global_buffer
      - .actual_access:  write_only
        .address_space:  global
        .offset:         16
        .size:           8
        .value_kind:     global_buffer
      - .actual_access:  write_only
        .address_space:  global
        .offset:         24
        .size:           8
        .value_kind:     global_buffer
      - .actual_access:  read_only
        .address_space:  global
        .offset:         32
        .size:           8
        .value_kind:     global_buffer
      - .actual_access:  read_only
        .address_space:  global
        .offset:         40
        .size:           8
        .value_kind:     global_buffer
      - .actual_access:  read_only
        .address_space:  global
        .offset:         48
        .size:           8
        .value_kind:     global_buffer
      - .actual_access:  read_only
        .address_space:  global
        .offset:         56
        .size:           8
        .value_kind:     global_buffer
      - .actual_access:  read_only
        .address_space:  global
        .offset:         64
        .size:           8
        .value_kind:     global_buffer
      - .actual_access:  read_only
        .address_space:  global
        .offset:         72
        .size:           8
        .value_kind:     global_buffer
      - .offset:         80
        .size:           4
        .value_kind:     by_value
      - .offset:         84
        .size:           4
        .value_kind:     by_value
      - .offset:         88
        .size:           4
        .value_kind:     by_value
      - .offset:         92
        .size:           4
        .value_kind:     by_value
      - .offset:         96
        .size:           4
        .value_kind:     by_value
      - .offset:         100
        .size:           4
        .value_kind:     by_value
      - .offset:         104
        .size:           4
        .value_kind:     by_value
      - .offset:         108
        .size:           4
        .value_kind:     by_value
      - .offset:         112
        .size:           4
        .value_kind:     by_value
      - .offset:         116
        .size:           4
        .value_kind:     by_value
      - .offset:         120
        .size:           4
        .value_kind:     by_value
      - .offset:         124
        .size:           4
        .value_kind:     by_value
      - .offset:         128
        .size:           4
        .value_kind:     by_value
      - .offset:         132
        .size:           4
        .value_kind:     by_value
      - .offset:         136
        .size:           4
        .value_kind:     by_value
      - .offset:         144
        .size:           4
        .value_kind:     hidden_block_count_x
      - .offset:         148
        .size:           4
        .value_kind:     hidden_block_count_y
      - .offset:         152
        .size:           4
        .value_kind:     hidden_block_count_z
      - .offset:         156
        .size:           2
        .value_kind:     hidden_group_size_x
      - .offset:         158
        .size:           2
        .value_kind:     hidden_group_size_y
      - .offset:         160
        .size:           2
        .value_kind:     hidden_group_size_z
      - .offset:         162
        .size:           2
        .value_kind:     hidden_remainder_x
      - .offset:         164
        .size:           2
        .value_kind:     hidden_remainder_y
      - .offset:         166
        .size:           2
        .value_kind:     hidden_remainder_z
      - .offset:         184
        .size:           8
        .value_kind:     hidden_global_offset_x
      - .offset:         192
        .size:           8
        .value_kind:     hidden_global_offset_y
      - .offset:         200
        .size:           8
        .value_kind:     hidden_global_offset_z
      - .offset:         208
        .size:           2
        .value_kind:     hidden_grid_dims
    .group_segment_fixed_size: 16
    .kernarg_segment_align: 8
    .kernarg_segment_size: 400
    .language:       OpenCL C
    .language_version:
      - 2
      - 0
    .max_flat_workgroup_size: 1024
    .name:           _ZN5aiter35fused_qk_rmsnorm_group_quant_kernelItN4opus5fp4_tELi128ELi8ELi16ELb0ELb1ELb1ELb1ELb0ELb0EEEvPT0_PvPT_S7_S7_PKS6_S9_S9_S9_S9_ffiiiiiiiiiiiii
    .private_segment_fixed_size: 0
    .sgpr_count:     36
    .sgpr_spill_count: 0
    .symbol:         _ZN5aiter35fused_qk_rmsnorm_group_quant_kernelItN4opus5fp4_tELi128ELi8ELi16ELb0ELb1ELb1ELb1ELb0ELb0EEEvPT0_PvPT_S7_S7_PKS6_S9_S9_S9_S9_ffiiiiiiiiiiiii.kd
    .uniform_work_group_size: 1
    .uses_dynamic_stack: false
    .vgpr_count:     23
    .vgpr_spill_count: 0
    .wavefront_size: 64
  - .agpr_count:     0
    .args:
      - .actual_access:  read_only
        .address_space:  global
        .offset:         0
        .size:           8
        .value_kind:     global_buffer
      - .actual_access:  read_only
        .address_space:  global
        .offset:         8
        .size:           8
        .value_kind:     global_buffer
      - .actual_access:  write_only
        .address_space:  global
        .offset:         16
        .size:           8
        .value_kind:     global_buffer
      - .actual_access:  write_only
        .address_space:  global
        .offset:         24
        .size:           8
        .value_kind:     global_buffer
      - .actual_access:  read_only
        .address_space:  global
        .offset:         32
        .size:           8
        .value_kind:     global_buffer
      - .actual_access:  read_only
        .address_space:  global
        .offset:         40
        .size:           8
        .value_kind:     global_buffer
      - .actual_access:  read_only
        .address_space:  global
        .offset:         48
        .size:           8
        .value_kind:     global_buffer
      - .actual_access:  read_only
        .address_space:  global
        .offset:         56
        .size:           8
        .value_kind:     global_buffer
      - .actual_access:  read_only
        .address_space:  global
        .offset:         64
        .size:           8
        .value_kind:     global_buffer
      - .actual_access:  read_only
        .address_space:  global
        .offset:         72
        .size:           8
        .value_kind:     global_buffer
      - .offset:         80
        .size:           4
        .value_kind:     by_value
      - .offset:         84
        .size:           4
        .value_kind:     by_value
      - .offset:         88
        .size:           4
        .value_kind:     by_value
      - .offset:         92
        .size:           4
        .value_kind:     by_value
      - .offset:         96
        .size:           4
        .value_kind:     by_value
      - .offset:         100
        .size:           4
        .value_kind:     by_value
      - .offset:         104
        .size:           4
        .value_kind:     by_value
      - .offset:         108
        .size:           4
        .value_kind:     by_value
      - .offset:         112
        .size:           4
        .value_kind:     by_value
      - .offset:         116
        .size:           4
        .value_kind:     by_value
      - .offset:         120
        .size:           4
        .value_kind:     by_value
      - .offset:         124
        .size:           4
        .value_kind:     by_value
      - .offset:         128
        .size:           4
        .value_kind:     by_value
      - .offset:         132
        .size:           4
        .value_kind:     by_value
      - .offset:         136
        .size:           4
        .value_kind:     by_value
      - .offset:         144
        .size:           4
        .value_kind:     hidden_block_count_x
      - .offset:         148
        .size:           4
        .value_kind:     hidden_block_count_y
      - .offset:         152
        .size:           4
        .value_kind:     hidden_block_count_z
      - .offset:         156
        .size:           2
        .value_kind:     hidden_group_size_x
      - .offset:         158
        .size:           2
        .value_kind:     hidden_group_size_y
      - .offset:         160
        .size:           2
        .value_kind:     hidden_group_size_z
      - .offset:         162
        .size:           2
        .value_kind:     hidden_remainder_x
      - .offset:         164
        .size:           2
        .value_kind:     hidden_remainder_y
      - .offset:         166
        .size:           2
        .value_kind:     hidden_remainder_z
      - .offset:         184
        .size:           8
        .value_kind:     hidden_global_offset_x
      - .offset:         192
        .size:           8
        .value_kind:     hidden_global_offset_y
      - .offset:         200
        .size:           8
        .value_kind:     hidden_global_offset_z
      - .offset:         208
        .size:           2
        .value_kind:     hidden_grid_dims
    .group_segment_fixed_size: 16
    .kernarg_segment_align: 8
    .kernarg_segment_size: 400
    .language:       OpenCL C
    .language_version:
      - 2
      - 0
    .max_flat_workgroup_size: 1024
    .name:           _ZN5aiter35fused_qk_rmsnorm_group_quant_kernelIDF16_DB8_Li128ELi8ELi16ELb0ELb1ELb0ELb1ELb0ELb0EEEvPT0_PvPT_S6_S6_PKS5_S8_S8_S8_S8_ffiiiiiiiiiiiii
    .private_segment_fixed_size: 0
    .sgpr_count:     36
    .sgpr_spill_count: 0
    .symbol:         _ZN5aiter35fused_qk_rmsnorm_group_quant_kernelIDF16_DB8_Li128ELi8ELi16ELb0ELb1ELb0ELb1ELb0ELb0EEEvPT0_PvPT_S6_S6_PKS5_S8_S8_S8_S8_ffiiiiiiiiiiiii.kd
    .uniform_work_group_size: 1
    .uses_dynamic_stack: false
    .vgpr_count:     23
    .vgpr_spill_count: 0
    .wavefront_size: 64
  - .agpr_count:     0
    .args:
      - .actual_access:  read_only
        .address_space:  global
        .offset:         0
        .size:           8
        .value_kind:     global_buffer
      - .actual_access:  read_only
        .address_space:  global
        .offset:         8
        .size:           8
        .value_kind:     global_buffer
      - .actual_access:  write_only
        .address_space:  global
        .offset:         16
        .size:           8
        .value_kind:     global_buffer
      - .actual_access:  write_only
        .address_space:  global
        .offset:         24
        .size:           8
        .value_kind:     global_buffer
      - .actual_access:  read_only
        .address_space:  global
        .offset:         32
        .size:           8
        .value_kind:     global_buffer
      - .actual_access:  read_only
        .address_space:  global
        .offset:         40
        .size:           8
        .value_kind:     global_buffer
      - .actual_access:  read_only
        .address_space:  global
        .offset:         48
        .size:           8
        .value_kind:     global_buffer
      - .actual_access:  read_only
        .address_space:  global
        .offset:         56
        .size:           8
        .value_kind:     global_buffer
      - .actual_access:  read_only
        .address_space:  global
        .offset:         64
        .size:           8
        .value_kind:     global_buffer
      - .actual_access:  read_only
        .address_space:  global
        .offset:         72
        .size:           8
        .value_kind:     global_buffer
      - .offset:         80
        .size:           4
        .value_kind:     by_value
      - .offset:         84
        .size:           4
        .value_kind:     by_value
      - .offset:         88
        .size:           4
        .value_kind:     by_value
      - .offset:         92
        .size:           4
        .value_kind:     by_value
      - .offset:         96
        .size:           4
        .value_kind:     by_value
      - .offset:         100
        .size:           4
        .value_kind:     by_value
      - .offset:         104
        .size:           4
        .value_kind:     by_value
      - .offset:         108
        .size:           4
        .value_kind:     by_value
      - .offset:         112
        .size:           4
        .value_kind:     by_value
      - .offset:         116
        .size:           4
        .value_kind:     by_value
      - .offset:         120
        .size:           4
        .value_kind:     by_value
      - .offset:         124
        .size:           4
        .value_kind:     by_value
      - .offset:         128
        .size:           4
        .value_kind:     by_value
      - .offset:         132
        .size:           4
        .value_kind:     by_value
      - .offset:         136
        .size:           4
        .value_kind:     by_value
      - .offset:         144
        .size:           4
        .value_kind:     hidden_block_count_x
      - .offset:         148
        .size:           4
        .value_kind:     hidden_block_count_y
      - .offset:         152
        .size:           4
        .value_kind:     hidden_block_count_z
      - .offset:         156
        .size:           2
        .value_kind:     hidden_group_size_x
      - .offset:         158
        .size:           2
        .value_kind:     hidden_group_size_y
      - .offset:         160
        .size:           2
        .value_kind:     hidden_group_size_z
      - .offset:         162
        .size:           2
        .value_kind:     hidden_remainder_x
      - .offset:         164
        .size:           2
        .value_kind:     hidden_remainder_y
      - .offset:         166
        .size:           2
        .value_kind:     hidden_remainder_z
      - .offset:         184
        .size:           8
        .value_kind:     hidden_global_offset_x
      - .offset:         192
        .size:           8
        .value_kind:     hidden_global_offset_y
      - .offset:         200
        .size:           8
        .value_kind:     hidden_global_offset_z
      - .offset:         208
        .size:           2
        .value_kind:     hidden_grid_dims
    .group_segment_fixed_size: 16
    .kernarg_segment_align: 8
    .kernarg_segment_size: 400
    .language:       OpenCL C
    .language_version:
      - 2
      - 0
    .max_flat_workgroup_size: 1024
    .name:           _ZN5aiter35fused_qk_rmsnorm_group_quant_kernelItDB8_Li128ELi8ELi16ELb0ELb1ELb0ELb1ELb0ELb0EEEvPT0_PvPT_S6_S6_PKS5_S8_S8_S8_S8_ffiiiiiiiiiiiii
    .private_segment_fixed_size: 0
    .sgpr_count:     36
    .sgpr_spill_count: 0
    .symbol:         _ZN5aiter35fused_qk_rmsnorm_group_quant_kernelItDB8_Li128ELi8ELi16ELb0ELb1ELb0ELb1ELb0ELb0EEEvPT0_PvPT_S6_S6_PKS5_S8_S8_S8_S8_ffiiiiiiiiiiiii.kd
    .uniform_work_group_size: 1
    .uses_dynamic_stack: false
    .vgpr_count:     23
    .vgpr_spill_count: 0
    .wavefront_size: 64
  - .agpr_count:     0
    .args:
      - .actual_access:  read_only
        .address_space:  global
        .offset:         0
        .size:           8
        .value_kind:     global_buffer
      - .actual_access:  read_only
        .address_space:  global
        .offset:         8
        .size:           8
        .value_kind:     global_buffer
      - .actual_access:  write_only
        .address_space:  global
        .offset:         16
        .size:           8
        .value_kind:     global_buffer
      - .actual_access:  write_only
        .address_space:  global
        .offset:         24
        .size:           8
        .value_kind:     global_buffer
      - .actual_access:  read_only
        .address_space:  global
        .offset:         32
        .size:           8
        .value_kind:     global_buffer
      - .actual_access:  read_only
        .address_space:  global
        .offset:         40
        .size:           8
        .value_kind:     global_buffer
      - .actual_access:  read_only
        .address_space:  global
        .offset:         48
        .size:           8
        .value_kind:     global_buffer
      - .actual_access:  read_only
        .address_space:  global
        .offset:         56
        .size:           8
        .value_kind:     global_buffer
      - .actual_access:  read_only
        .address_space:  global
        .offset:         64
        .size:           8
        .value_kind:     global_buffer
      - .actual_access:  read_only
        .address_space:  global
        .offset:         72
        .size:           8
        .value_kind:     global_buffer
      - .offset:         80
        .size:           4
        .value_kind:     by_value
      - .offset:         84
        .size:           4
        .value_kind:     by_value
      - .offset:         88
        .size:           4
        .value_kind:     by_value
      - .offset:         92
        .size:           4
        .value_kind:     by_value
      - .offset:         96
        .size:           4
        .value_kind:     by_value
      - .offset:         100
        .size:           4
        .value_kind:     by_value
      - .offset:         104
        .size:           4
        .value_kind:     by_value
      - .offset:         108
        .size:           4
        .value_kind:     by_value
      - .offset:         112
        .size:           4
        .value_kind:     by_value
      - .offset:         116
        .size:           4
        .value_kind:     by_value
      - .offset:         120
        .size:           4
        .value_kind:     by_value
      - .offset:         124
        .size:           4
        .value_kind:     by_value
      - .offset:         128
        .size:           4
        .value_kind:     by_value
      - .offset:         132
        .size:           4
        .value_kind:     by_value
      - .offset:         136
        .size:           4
        .value_kind:     by_value
      - .offset:         144
        .size:           4
        .value_kind:     hidden_block_count_x
      - .offset:         148
        .size:           4
        .value_kind:     hidden_block_count_y
      - .offset:         152
        .size:           4
        .value_kind:     hidden_block_count_z
      - .offset:         156
        .size:           2
        .value_kind:     hidden_group_size_x
      - .offset:         158
        .size:           2
        .value_kind:     hidden_group_size_y
      - .offset:         160
        .size:           2
        .value_kind:     hidden_group_size_z
      - .offset:         162
        .size:           2
        .value_kind:     hidden_remainder_x
      - .offset:         164
        .size:           2
        .value_kind:     hidden_remainder_y
      - .offset:         166
        .size:           2
        .value_kind:     hidden_remainder_z
      - .offset:         184
        .size:           8
        .value_kind:     hidden_global_offset_x
      - .offset:         192
        .size:           8
        .value_kind:     hidden_global_offset_y
      - .offset:         200
        .size:           8
        .value_kind:     hidden_global_offset_z
      - .offset:         208
        .size:           2
        .value_kind:     hidden_grid_dims
    .group_segment_fixed_size: 16
    .kernarg_segment_align: 8
    .kernarg_segment_size: 400
    .language:       OpenCL C
    .language_version:
      - 2
      - 0
    .max_flat_workgroup_size: 1024
    .name:           _ZN5aiter35fused_qk_rmsnorm_group_quant_kernelIDF16_N4opus5fp4_tELi128ELi8ELi16ELb0ELb1ELb0ELb1ELb0ELb0EEEvPT0_PvPT_S7_S7_PKS6_S9_S9_S9_S9_ffiiiiiiiiiiiii
    .private_segment_fixed_size: 0
    .sgpr_count:     36
    .sgpr_spill_count: 0
    .symbol:         _ZN5aiter35fused_qk_rmsnorm_group_quant_kernelIDF16_N4opus5fp4_tELi128ELi8ELi16ELb0ELb1ELb0ELb1ELb0ELb0EEEvPT0_PvPT_S7_S7_PKS6_S9_S9_S9_S9_ffiiiiiiiiiiiii.kd
    .uniform_work_group_size: 1
    .uses_dynamic_stack: false
    .vgpr_count:     23
    .vgpr_spill_count: 0
    .wavefront_size: 64
  - .agpr_count:     0
    .args:
      - .actual_access:  read_only
        .address_space:  global
        .offset:         0
        .size:           8
        .value_kind:     global_buffer
      - .actual_access:  read_only
        .address_space:  global
        .offset:         8
        .size:           8
        .value_kind:     global_buffer
      - .actual_access:  write_only
        .address_space:  global
        .offset:         16
        .size:           8
        .value_kind:     global_buffer
      - .actual_access:  write_only
        .address_space:  global
        .offset:         24
        .size:           8
        .value_kind:     global_buffer
      - .actual_access:  read_only
        .address_space:  global
        .offset:         32
        .size:           8
        .value_kind:     global_buffer
      - .actual_access:  read_only
        .address_space:  global
        .offset:         40
        .size:           8
        .value_kind:     global_buffer
      - .actual_access:  read_only
        .address_space:  global
        .offset:         48
        .size:           8
        .value_kind:     global_buffer
      - .actual_access:  read_only
        .address_space:  global
        .offset:         56
        .size:           8
        .value_kind:     global_buffer
      - .actual_access:  read_only
        .address_space:  global
        .offset:         64
        .size:           8
        .value_kind:     global_buffer
      - .actual_access:  read_only
        .address_space:  global
        .offset:         72
        .size:           8
        .value_kind:     global_buffer
      - .offset:         80
        .size:           4
        .value_kind:     by_value
      - .offset:         84
        .size:           4
        .value_kind:     by_value
      - .offset:         88
        .size:           4
        .value_kind:     by_value
      - .offset:         92
        .size:           4
        .value_kind:     by_value
      - .offset:         96
        .size:           4
        .value_kind:     by_value
      - .offset:         100
        .size:           4
        .value_kind:     by_value
      - .offset:         104
        .size:           4
        .value_kind:     by_value
      - .offset:         108
        .size:           4
        .value_kind:     by_value
      - .offset:         112
        .size:           4
        .value_kind:     by_value
      - .offset:         116
        .size:           4
        .value_kind:     by_value
      - .offset:         120
        .size:           4
        .value_kind:     by_value
      - .offset:         124
        .size:           4
        .value_kind:     by_value
      - .offset:         128
        .size:           4
        .value_kind:     by_value
      - .offset:         132
        .size:           4
        .value_kind:     by_value
      - .offset:         136
        .size:           4
        .value_kind:     by_value
      - .offset:         144
        .size:           4
        .value_kind:     hidden_block_count_x
      - .offset:         148
        .size:           4
        .value_kind:     hidden_block_count_y
      - .offset:         152
        .size:           4
        .value_kind:     hidden_block_count_z
      - .offset:         156
        .size:           2
        .value_kind:     hidden_group_size_x
      - .offset:         158
        .size:           2
        .value_kind:     hidden_group_size_y
      - .offset:         160
        .size:           2
        .value_kind:     hidden_group_size_z
      - .offset:         162
        .size:           2
        .value_kind:     hidden_remainder_x
      - .offset:         164
        .size:           2
        .value_kind:     hidden_remainder_y
      - .offset:         166
        .size:           2
        .value_kind:     hidden_remainder_z
      - .offset:         184
        .size:           8
        .value_kind:     hidden_global_offset_x
      - .offset:         192
        .size:           8
        .value_kind:     hidden_global_offset_y
      - .offset:         200
        .size:           8
        .value_kind:     hidden_global_offset_z
      - .offset:         208
        .size:           2
        .value_kind:     hidden_grid_dims
    .group_segment_fixed_size: 16
    .kernarg_segment_align: 8
    .kernarg_segment_size: 400
    .language:       OpenCL C
    .language_version:
      - 2
      - 0
    .max_flat_workgroup_size: 1024
    .name:           _ZN5aiter35fused_qk_rmsnorm_group_quant_kernelItN4opus5fp4_tELi128ELi8ELi16ELb0ELb1ELb0ELb1ELb0ELb0EEEvPT0_PvPT_S7_S7_PKS6_S9_S9_S9_S9_ffiiiiiiiiiiiii
    .private_segment_fixed_size: 0
    .sgpr_count:     36
    .sgpr_spill_count: 0
    .symbol:         _ZN5aiter35fused_qk_rmsnorm_group_quant_kernelItN4opus5fp4_tELi128ELi8ELi16ELb0ELb1ELb0ELb1ELb0ELb0EEEvPT0_PvPT_S7_S7_PKS6_S9_S9_S9_S9_ffiiiiiiiiiiiii.kd
    .uniform_work_group_size: 1
    .uses_dynamic_stack: false
    .vgpr_count:     23
    .vgpr_spill_count: 0
    .wavefront_size: 64
  - .agpr_count:     0
    .args:
      - .actual_access:  write_only
        .address_space:  global
        .offset:         0
        .size:           8
        .value_kind:     global_buffer
      - .actual_access:  write_only
        .address_space:  global
        .offset:         8
        .size:           8
        .value_kind:     global_buffer
      - .actual_access:  write_only
        .address_space:  global
        .offset:         16
        .size:           8
        .value_kind:     global_buffer
      - .actual_access:  write_only
        .address_space:  global
        .offset:         24
        .size:           8
        .value_kind:     global_buffer
      - .actual_access:  write_only
        .address_space:  global
        .offset:         32
        .size:           8
        .value_kind:     global_buffer
      - .actual_access:  read_only
        .address_space:  global
        .offset:         40
        .size:           8
        .value_kind:     global_buffer
      - .actual_access:  read_only
        .address_space:  global
        .offset:         48
        .size:           8
        .value_kind:     global_buffer
      - .actual_access:  read_only
        .address_space:  global
        .offset:         56
        .size:           8
        .value_kind:     global_buffer
      - .actual_access:  read_only
        .address_space:  global
        .offset:         64
        .size:           8
        .value_kind:     global_buffer
      - .actual_access:  read_only
        .address_space:  global
        .offset:         72
        .size:           8
        .value_kind:     global_buffer
      - .offset:         80
        .size:           4
        .value_kind:     by_value
      - .offset:         84
        .size:           4
        .value_kind:     by_value
      - .offset:         88
        .size:           4
        .value_kind:     by_value
      - .offset:         92
        .size:           4
        .value_kind:     by_value
      - .offset:         96
        .size:           4
        .value_kind:     by_value
      - .offset:         100
        .size:           4
        .value_kind:     by_value
      - .offset:         104
        .size:           4
        .value_kind:     by_value
      - .offset:         108
        .size:           4
        .value_kind:     by_value
      - .offset:         112
        .size:           4
        .value_kind:     by_value
      - .offset:         116
        .size:           4
        .value_kind:     by_value
      - .offset:         120
        .size:           4
        .value_kind:     by_value
      - .offset:         124
        .size:           4
        .value_kind:     by_value
      - .offset:         128
        .size:           4
        .value_kind:     by_value
      - .offset:         132
        .size:           4
        .value_kind:     by_value
      - .offset:         136
        .size:           4
        .value_kind:     by_value
      - .offset:         144
        .size:           4
        .value_kind:     hidden_block_count_x
      - .offset:         148
        .size:           4
        .value_kind:     hidden_block_count_y
      - .offset:         152
        .size:           4
        .value_kind:     hidden_block_count_z
      - .offset:         156
        .size:           2
        .value_kind:     hidden_group_size_x
      - .offset:         158
        .size:           2
        .value_kind:     hidden_group_size_y
      - .offset:         160
        .size:           2
        .value_kind:     hidden_group_size_z
      - .offset:         162
        .size:           2
        .value_kind:     hidden_remainder_x
      - .offset:         164
        .size:           2
        .value_kind:     hidden_remainder_y
      - .offset:         166
        .size:           2
        .value_kind:     hidden_remainder_z
      - .offset:         184
        .size:           8
        .value_kind:     hidden_global_offset_x
      - .offset:         192
        .size:           8
        .value_kind:     hidden_global_offset_y
      - .offset:         200
        .size:           8
        .value_kind:     hidden_global_offset_z
      - .offset:         208
        .size:           2
        .value_kind:     hidden_grid_dims
    .group_segment_fixed_size: 16
    .kernarg_segment_align: 8
    .kernarg_segment_size: 400
    .language:       OpenCL C
    .language_version:
      - 2
      - 0
    .max_flat_workgroup_size: 1024
    .name:           _ZN5aiter35fused_qk_rmsnorm_group_quant_kernelIDF16_DB8_Li128ELi8ELi16ELb1ELb1ELb1ELb0ELb0ELb0EEEvPT0_PvPT_S6_S6_PKS5_S8_S8_S8_S8_ffiiiiiiiiiiiii
    .private_segment_fixed_size: 0
    .sgpr_count:     48
    .sgpr_spill_count: 0
    .symbol:         _ZN5aiter35fused_qk_rmsnorm_group_quant_kernelIDF16_DB8_Li128ELi8ELi16ELb1ELb1ELb1ELb0ELb0ELb0EEEvPT0_PvPT_S6_S6_PKS5_S8_S8_S8_S8_ffiiiiiiiiiiiii.kd
    .uniform_work_group_size: 1
    .uses_dynamic_stack: false
    .vgpr_count:     31
    .vgpr_spill_count: 0
    .wavefront_size: 64
  - .agpr_count:     0
    .args:
      - .actual_access:  write_only
        .address_space:  global
        .offset:         0
        .size:           8
        .value_kind:     global_buffer
      - .actual_access:  write_only
        .address_space:  global
        .offset:         8
        .size:           8
        .value_kind:     global_buffer
      - .actual_access:  write_only
        .address_space:  global
        .offset:         16
        .size:           8
        .value_kind:     global_buffer
      - .actual_access:  write_only
        .address_space:  global
        .offset:         24
        .size:           8
        .value_kind:     global_buffer
      - .actual_access:  write_only
        .address_space:  global
        .offset:         32
        .size:           8
        .value_kind:     global_buffer
      - .actual_access:  read_only
        .address_space:  global
        .offset:         40
        .size:           8
        .value_kind:     global_buffer
      - .actual_access:  read_only
        .address_space:  global
        .offset:         48
        .size:           8
        .value_kind:     global_buffer
      - .actual_access:  read_only
        .address_space:  global
        .offset:         56
        .size:           8
        .value_kind:     global_buffer
      - .actual_access:  read_only
        .address_space:  global
        .offset:         64
        .size:           8
        .value_kind:     global_buffer
      - .actual_access:  read_only
        .address_space:  global
        .offset:         72
        .size:           8
        .value_kind:     global_buffer
      - .offset:         80
        .size:           4
        .value_kind:     by_value
      - .offset:         84
        .size:           4
        .value_kind:     by_value
      - .offset:         88
        .size:           4
        .value_kind:     by_value
      - .offset:         92
        .size:           4
        .value_kind:     by_value
      - .offset:         96
        .size:           4
        .value_kind:     by_value
      - .offset:         100
        .size:           4
        .value_kind:     by_value
      - .offset:         104
        .size:           4
        .value_kind:     by_value
      - .offset:         108
        .size:           4
        .value_kind:     by_value
      - .offset:         112
        .size:           4
        .value_kind:     by_value
      - .offset:         116
        .size:           4
        .value_kind:     by_value
      - .offset:         120
        .size:           4
        .value_kind:     by_value
      - .offset:         124
        .size:           4
        .value_kind:     by_value
      - .offset:         128
        .size:           4
        .value_kind:     by_value
      - .offset:         132
        .size:           4
        .value_kind:     by_value
      - .offset:         136
        .size:           4
        .value_kind:     by_value
      - .offset:         144
        .size:           4
        .value_kind:     hidden_block_count_x
      - .offset:         148
        .size:           4
        .value_kind:     hidden_block_count_y
      - .offset:         152
        .size:           4
        .value_kind:     hidden_block_count_z
      - .offset:         156
        .size:           2
        .value_kind:     hidden_group_size_x
      - .offset:         158
        .size:           2
        .value_kind:     hidden_group_size_y
      - .offset:         160
        .size:           2
        .value_kind:     hidden_group_size_z
      - .offset:         162
        .size:           2
        .value_kind:     hidden_remainder_x
      - .offset:         164
        .size:           2
        .value_kind:     hidden_remainder_y
      - .offset:         166
        .size:           2
        .value_kind:     hidden_remainder_z
      - .offset:         184
        .size:           8
        .value_kind:     hidden_global_offset_x
      - .offset:         192
        .size:           8
        .value_kind:     hidden_global_offset_y
      - .offset:         200
        .size:           8
        .value_kind:     hidden_global_offset_z
      - .offset:         208
        .size:           2
        .value_kind:     hidden_grid_dims
    .group_segment_fixed_size: 16
    .kernarg_segment_align: 8
    .kernarg_segment_size: 400
    .language:       OpenCL C
    .language_version:
      - 2
      - 0
    .max_flat_workgroup_size: 1024
    .name:           _ZN5aiter35fused_qk_rmsnorm_group_quant_kernelItDB8_Li128ELi8ELi16ELb1ELb1ELb1ELb0ELb0ELb0EEEvPT0_PvPT_S6_S6_PKS5_S8_S8_S8_S8_ffiiiiiiiiiiiii
    .private_segment_fixed_size: 0
    .sgpr_count:     52
    .sgpr_spill_count: 0
    .symbol:         _ZN5aiter35fused_qk_rmsnorm_group_quant_kernelItDB8_Li128ELi8ELi16ELb1ELb1ELb1ELb0ELb0ELb0EEEvPT0_PvPT_S6_S6_PKS5_S8_S8_S8_S8_ffiiiiiiiiiiiii.kd
    .uniform_work_group_size: 1
    .uses_dynamic_stack: false
    .vgpr_count:     27
    .vgpr_spill_count: 0
    .wavefront_size: 64
  - .agpr_count:     0
    .args:
      - .actual_access:  write_only
        .address_space:  global
        .offset:         0
        .size:           8
        .value_kind:     global_buffer
      - .actual_access:  write_only
        .address_space:  global
        .offset:         8
        .size:           8
        .value_kind:     global_buffer
      - .actual_access:  write_only
        .address_space:  global
        .offset:         16
        .size:           8
        .value_kind:     global_buffer
      - .actual_access:  write_only
        .address_space:  global
        .offset:         24
        .size:           8
        .value_kind:     global_buffer
      - .actual_access:  write_only
        .address_space:  global
        .offset:         32
        .size:           8
        .value_kind:     global_buffer
      - .actual_access:  read_only
        .address_space:  global
        .offset:         40
        .size:           8
        .value_kind:     global_buffer
      - .actual_access:  read_only
        .address_space:  global
        .offset:         48
        .size:           8
        .value_kind:     global_buffer
      - .actual_access:  read_only
        .address_space:  global
        .offset:         56
        .size:           8
        .value_kind:     global_buffer
      - .actual_access:  read_only
        .address_space:  global
        .offset:         64
        .size:           8
        .value_kind:     global_buffer
      - .actual_access:  read_only
        .address_space:  global
        .offset:         72
        .size:           8
        .value_kind:     global_buffer
      - .offset:         80
        .size:           4
        .value_kind:     by_value
      - .offset:         84
        .size:           4
        .value_kind:     by_value
      - .offset:         88
        .size:           4
        .value_kind:     by_value
      - .offset:         92
        .size:           4
        .value_kind:     by_value
      - .offset:         96
        .size:           4
        .value_kind:     by_value
      - .offset:         100
        .size:           4
        .value_kind:     by_value
      - .offset:         104
        .size:           4
        .value_kind:     by_value
      - .offset:         108
        .size:           4
        .value_kind:     by_value
      - .offset:         112
        .size:           4
        .value_kind:     by_value
      - .offset:         116
        .size:           4
        .value_kind:     by_value
      - .offset:         120
        .size:           4
        .value_kind:     by_value
      - .offset:         124
        .size:           4
        .value_kind:     by_value
      - .offset:         128
        .size:           4
        .value_kind:     by_value
      - .offset:         132
        .size:           4
        .value_kind:     by_value
      - .offset:         136
        .size:           4
        .value_kind:     by_value
      - .offset:         144
        .size:           4
        .value_kind:     hidden_block_count_x
      - .offset:         148
        .size:           4
        .value_kind:     hidden_block_count_y
      - .offset:         152
        .size:           4
        .value_kind:     hidden_block_count_z
      - .offset:         156
        .size:           2
        .value_kind:     hidden_group_size_x
      - .offset:         158
        .size:           2
        .value_kind:     hidden_group_size_y
      - .offset:         160
        .size:           2
        .value_kind:     hidden_group_size_z
      - .offset:         162
        .size:           2
        .value_kind:     hidden_remainder_x
      - .offset:         164
        .size:           2
        .value_kind:     hidden_remainder_y
      - .offset:         166
        .size:           2
        .value_kind:     hidden_remainder_z
      - .offset:         184
        .size:           8
        .value_kind:     hidden_global_offset_x
      - .offset:         192
        .size:           8
        .value_kind:     hidden_global_offset_y
      - .offset:         200
        .size:           8
        .value_kind:     hidden_global_offset_z
      - .offset:         208
        .size:           2
        .value_kind:     hidden_grid_dims
    .group_segment_fixed_size: 16
    .kernarg_segment_align: 8
    .kernarg_segment_size: 400
    .language:       OpenCL C
    .language_version:
      - 2
      - 0
    .max_flat_workgroup_size: 1024
    .name:           _ZN5aiter35fused_qk_rmsnorm_group_quant_kernelIDF16_N4opus5fp4_tELi128ELi8ELi16ELb1ELb1ELb1ELb0ELb0ELb0EEEvPT0_PvPT_S7_S7_PKS6_S9_S9_S9_S9_ffiiiiiiiiiiiii
    .private_segment_fixed_size: 0
    .sgpr_count:     48
    .sgpr_spill_count: 0
    .symbol:         _ZN5aiter35fused_qk_rmsnorm_group_quant_kernelIDF16_N4opus5fp4_tELi128ELi8ELi16ELb1ELb1ELb1ELb0ELb0ELb0EEEvPT0_PvPT_S7_S7_PKS6_S9_S9_S9_S9_ffiiiiiiiiiiiii.kd
    .uniform_work_group_size: 1
    .uses_dynamic_stack: false
    .vgpr_count:     25
    .vgpr_spill_count: 0
    .wavefront_size: 64
  - .agpr_count:     0
    .args:
      - .actual_access:  write_only
        .address_space:  global
        .offset:         0
        .size:           8
        .value_kind:     global_buffer
      - .actual_access:  write_only
        .address_space:  global
        .offset:         8
        .size:           8
        .value_kind:     global_buffer
      - .actual_access:  write_only
        .address_space:  global
        .offset:         16
        .size:           8
        .value_kind:     global_buffer
      - .actual_access:  write_only
        .address_space:  global
        .offset:         24
        .size:           8
        .value_kind:     global_buffer
      - .actual_access:  write_only
        .address_space:  global
        .offset:         32
        .size:           8
        .value_kind:     global_buffer
      - .actual_access:  read_only
        .address_space:  global
        .offset:         40
        .size:           8
        .value_kind:     global_buffer
      - .actual_access:  read_only
        .address_space:  global
        .offset:         48
        .size:           8
        .value_kind:     global_buffer
      - .actual_access:  read_only
        .address_space:  global
        .offset:         56
        .size:           8
        .value_kind:     global_buffer
      - .actual_access:  read_only
        .address_space:  global
        .offset:         64
        .size:           8
        .value_kind:     global_buffer
      - .actual_access:  read_only
        .address_space:  global
        .offset:         72
        .size:           8
        .value_kind:     global_buffer
      - .offset:         80
        .size:           4
        .value_kind:     by_value
      - .offset:         84
        .size:           4
        .value_kind:     by_value
      - .offset:         88
        .size:           4
        .value_kind:     by_value
      - .offset:         92
        .size:           4
        .value_kind:     by_value
      - .offset:         96
        .size:           4
        .value_kind:     by_value
      - .offset:         100
        .size:           4
        .value_kind:     by_value
      - .offset:         104
        .size:           4
        .value_kind:     by_value
      - .offset:         108
        .size:           4
        .value_kind:     by_value
      - .offset:         112
        .size:           4
        .value_kind:     by_value
      - .offset:         116
        .size:           4
        .value_kind:     by_value
      - .offset:         120
        .size:           4
        .value_kind:     by_value
      - .offset:         124
        .size:           4
        .value_kind:     by_value
      - .offset:         128
        .size:           4
        .value_kind:     by_value
      - .offset:         132
        .size:           4
        .value_kind:     by_value
      - .offset:         136
        .size:           4
        .value_kind:     by_value
      - .offset:         144
        .size:           4
        .value_kind:     hidden_block_count_x
      - .offset:         148
        .size:           4
        .value_kind:     hidden_block_count_y
      - .offset:         152
        .size:           4
        .value_kind:     hidden_block_count_z
      - .offset:         156
        .size:           2
        .value_kind:     hidden_group_size_x
      - .offset:         158
        .size:           2
        .value_kind:     hidden_group_size_y
      - .offset:         160
        .size:           2
        .value_kind:     hidden_group_size_z
      - .offset:         162
        .size:           2
        .value_kind:     hidden_remainder_x
      - .offset:         164
        .size:           2
        .value_kind:     hidden_remainder_y
      - .offset:         166
        .size:           2
        .value_kind:     hidden_remainder_z
      - .offset:         184
        .size:           8
        .value_kind:     hidden_global_offset_x
      - .offset:         192
        .size:           8
        .value_kind:     hidden_global_offset_y
      - .offset:         200
        .size:           8
        .value_kind:     hidden_global_offset_z
      - .offset:         208
        .size:           2
        .value_kind:     hidden_grid_dims
    .group_segment_fixed_size: 16
    .kernarg_segment_align: 8
    .kernarg_segment_size: 400
    .language:       OpenCL C
    .language_version:
      - 2
      - 0
    .max_flat_workgroup_size: 1024
    .name:           _ZN5aiter35fused_qk_rmsnorm_group_quant_kernelItN4opus5fp4_tELi128ELi8ELi16ELb1ELb1ELb1ELb0ELb0ELb0EEEvPT0_PvPT_S7_S7_PKS6_S9_S9_S9_S9_ffiiiiiiiiiiiii
    .private_segment_fixed_size: 0
    .sgpr_count:     52
    .sgpr_spill_count: 0
    .symbol:         _ZN5aiter35fused_qk_rmsnorm_group_quant_kernelItN4opus5fp4_tELi128ELi8ELi16ELb1ELb1ELb1ELb0ELb0ELb0EEEvPT0_PvPT_S7_S7_PKS6_S9_S9_S9_S9_ffiiiiiiiiiiiii.kd
    .uniform_work_group_size: 1
    .uses_dynamic_stack: false
    .vgpr_count:     27
    .vgpr_spill_count: 0
    .wavefront_size: 64
  - .agpr_count:     0
    .args:
      - .actual_access:  write_only
        .address_space:  global
        .offset:         0
        .size:           8
        .value_kind:     global_buffer
      - .actual_access:  write_only
        .address_space:  global
        .offset:         8
        .size:           8
        .value_kind:     global_buffer
      - .actual_access:  write_only
        .address_space:  global
        .offset:         16
        .size:           8
        .value_kind:     global_buffer
      - .actual_access:  write_only
        .address_space:  global
        .offset:         24
        .size:           8
        .value_kind:     global_buffer
      - .actual_access:  write_only
        .address_space:  global
        .offset:         32
        .size:           8
        .value_kind:     global_buffer
      - .actual_access:  read_only
        .address_space:  global
        .offset:         40
        .size:           8
        .value_kind:     global_buffer
      - .actual_access:  read_only
        .address_space:  global
        .offset:         48
        .size:           8
        .value_kind:     global_buffer
      - .actual_access:  read_only
        .address_space:  global
        .offset:         56
        .size:           8
        .value_kind:     global_buffer
      - .actual_access:  read_only
        .address_space:  global
        .offset:         64
        .size:           8
        .value_kind:     global_buffer
      - .actual_access:  read_only
        .address_space:  global
        .offset:         72
        .size:           8
        .value_kind:     global_buffer
      - .offset:         80
        .size:           4
        .value_kind:     by_value
      - .offset:         84
        .size:           4
        .value_kind:     by_value
      - .offset:         88
        .size:           4
        .value_kind:     by_value
      - .offset:         92
        .size:           4
        .value_kind:     by_value
      - .offset:         96
        .size:           4
        .value_kind:     by_value
      - .offset:         100
        .size:           4
        .value_kind:     by_value
      - .offset:         104
        .size:           4
        .value_kind:     by_value
      - .offset:         108
        .size:           4
        .value_kind:     by_value
      - .offset:         112
        .size:           4
        .value_kind:     by_value
      - .offset:         116
        .size:           4
        .value_kind:     by_value
      - .offset:         120
        .size:           4
        .value_kind:     by_value
      - .offset:         124
        .size:           4
        .value_kind:     by_value
      - .offset:         128
        .size:           4
        .value_kind:     by_value
      - .offset:         132
        .size:           4
        .value_kind:     by_value
      - .offset:         136
        .size:           4
        .value_kind:     by_value
      - .offset:         144
        .size:           4
        .value_kind:     hidden_block_count_x
      - .offset:         148
        .size:           4
        .value_kind:     hidden_block_count_y
      - .offset:         152
        .size:           4
        .value_kind:     hidden_block_count_z
      - .offset:         156
        .size:           2
        .value_kind:     hidden_group_size_x
      - .offset:         158
        .size:           2
        .value_kind:     hidden_group_size_y
      - .offset:         160
        .size:           2
        .value_kind:     hidden_group_size_z
      - .offset:         162
        .size:           2
        .value_kind:     hidden_remainder_x
      - .offset:         164
        .size:           2
        .value_kind:     hidden_remainder_y
      - .offset:         166
        .size:           2
        .value_kind:     hidden_remainder_z
      - .offset:         184
        .size:           8
        .value_kind:     hidden_global_offset_x
      - .offset:         192
        .size:           8
        .value_kind:     hidden_global_offset_y
      - .offset:         200
        .size:           8
        .value_kind:     hidden_global_offset_z
      - .offset:         208
        .size:           2
        .value_kind:     hidden_grid_dims
    .group_segment_fixed_size: 16
    .kernarg_segment_align: 8
    .kernarg_segment_size: 400
    .language:       OpenCL C
    .language_version:
      - 2
      - 0
    .max_flat_workgroup_size: 1024
    .name:           _ZN5aiter35fused_qk_rmsnorm_group_quant_kernelIDF16_DB8_Li128ELi8ELi16ELb1ELb1ELb0ELb0ELb0ELb0EEEvPT0_PvPT_S6_S6_PKS5_S8_S8_S8_S8_ffiiiiiiiiiiiii
    .private_segment_fixed_size: 0
    .sgpr_count:     48
    .sgpr_spill_count: 0
    .symbol:         _ZN5aiter35fused_qk_rmsnorm_group_quant_kernelIDF16_DB8_Li128ELi8ELi16ELb1ELb1ELb0ELb0ELb0ELb0EEEvPT0_PvPT_S6_S6_PKS5_S8_S8_S8_S8_ffiiiiiiiiiiiii.kd
    .uniform_work_group_size: 1
    .uses_dynamic_stack: false
    .vgpr_count:     34
    .vgpr_spill_count: 0
    .wavefront_size: 64
  - .agpr_count:     0
    .args:
      - .actual_access:  write_only
        .address_space:  global
        .offset:         0
        .size:           8
        .value_kind:     global_buffer
      - .actual_access:  write_only
        .address_space:  global
        .offset:         8
        .size:           8
        .value_kind:     global_buffer
      - .actual_access:  write_only
        .address_space:  global
        .offset:         16
        .size:           8
        .value_kind:     global_buffer
      - .actual_access:  write_only
        .address_space:  global
        .offset:         24
        .size:           8
        .value_kind:     global_buffer
      - .actual_access:  write_only
        .address_space:  global
        .offset:         32
        .size:           8
        .value_kind:     global_buffer
      - .actual_access:  read_only
        .address_space:  global
        .offset:         40
        .size:           8
        .value_kind:     global_buffer
      - .actual_access:  read_only
        .address_space:  global
        .offset:         48
        .size:           8
        .value_kind:     global_buffer
      - .actual_access:  read_only
        .address_space:  global
        .offset:         56
        .size:           8
        .value_kind:     global_buffer
      - .actual_access:  read_only
        .address_space:  global
        .offset:         64
        .size:           8
        .value_kind:     global_buffer
      - .actual_access:  read_only
        .address_space:  global
        .offset:         72
        .size:           8
        .value_kind:     global_buffer
      - .offset:         80
        .size:           4
        .value_kind:     by_value
      - .offset:         84
        .size:           4
        .value_kind:     by_value
      - .offset:         88
        .size:           4
        .value_kind:     by_value
      - .offset:         92
        .size:           4
        .value_kind:     by_value
      - .offset:         96
        .size:           4
        .value_kind:     by_value
      - .offset:         100
        .size:           4
        .value_kind:     by_value
      - .offset:         104
        .size:           4
        .value_kind:     by_value
      - .offset:         108
        .size:           4
        .value_kind:     by_value
      - .offset:         112
        .size:           4
        .value_kind:     by_value
      - .offset:         116
        .size:           4
        .value_kind:     by_value
      - .offset:         120
        .size:           4
        .value_kind:     by_value
      - .offset:         124
        .size:           4
        .value_kind:     by_value
      - .offset:         128
        .size:           4
        .value_kind:     by_value
      - .offset:         132
        .size:           4
        .value_kind:     by_value
      - .offset:         136
        .size:           4
        .value_kind:     by_value
      - .offset:         144
        .size:           4
        .value_kind:     hidden_block_count_x
      - .offset:         148
        .size:           4
        .value_kind:     hidden_block_count_y
      - .offset:         152
        .size:           4
        .value_kind:     hidden_block_count_z
      - .offset:         156
        .size:           2
        .value_kind:     hidden_group_size_x
      - .offset:         158
        .size:           2
        .value_kind:     hidden_group_size_y
      - .offset:         160
        .size:           2
        .value_kind:     hidden_group_size_z
      - .offset:         162
        .size:           2
        .value_kind:     hidden_remainder_x
      - .offset:         164
        .size:           2
        .value_kind:     hidden_remainder_y
      - .offset:         166
        .size:           2
        .value_kind:     hidden_remainder_z
      - .offset:         184
        .size:           8
        .value_kind:     hidden_global_offset_x
      - .offset:         192
        .size:           8
        .value_kind:     hidden_global_offset_y
      - .offset:         200
        .size:           8
        .value_kind:     hidden_global_offset_z
      - .offset:         208
        .size:           2
        .value_kind:     hidden_grid_dims
    .group_segment_fixed_size: 16
    .kernarg_segment_align: 8
    .kernarg_segment_size: 400
    .language:       OpenCL C
    .language_version:
      - 2
      - 0
    .max_flat_workgroup_size: 1024
    .name:           _ZN5aiter35fused_qk_rmsnorm_group_quant_kernelItDB8_Li128ELi8ELi16ELb1ELb1ELb0ELb0ELb0ELb0EEEvPT0_PvPT_S6_S6_PKS5_S8_S8_S8_S8_ffiiiiiiiiiiiii
    .private_segment_fixed_size: 0
    .sgpr_count:     52
    .sgpr_spill_count: 0
    .symbol:         _ZN5aiter35fused_qk_rmsnorm_group_quant_kernelItDB8_Li128ELi8ELi16ELb1ELb1ELb0ELb0ELb0ELb0EEEvPT0_PvPT_S6_S6_PKS5_S8_S8_S8_S8_ffiiiiiiiiiiiii.kd
    .uniform_work_group_size: 1
    .uses_dynamic_stack: false
    .vgpr_count:     27
    .vgpr_spill_count: 0
    .wavefront_size: 64
  - .agpr_count:     0
    .args:
      - .actual_access:  write_only
        .address_space:  global
        .offset:         0
        .size:           8
        .value_kind:     global_buffer
      - .actual_access:  write_only
        .address_space:  global
        .offset:         8
        .size:           8
        .value_kind:     global_buffer
      - .actual_access:  write_only
        .address_space:  global
        .offset:         16
        .size:           8
        .value_kind:     global_buffer
      - .actual_access:  write_only
        .address_space:  global
        .offset:         24
        .size:           8
        .value_kind:     global_buffer
      - .actual_access:  write_only
        .address_space:  global
        .offset:         32
        .size:           8
        .value_kind:     global_buffer
      - .actual_access:  read_only
        .address_space:  global
        .offset:         40
        .size:           8
        .value_kind:     global_buffer
      - .actual_access:  read_only
        .address_space:  global
        .offset:         48
        .size:           8
        .value_kind:     global_buffer
      - .actual_access:  read_only
        .address_space:  global
        .offset:         56
        .size:           8
        .value_kind:     global_buffer
      - .actual_access:  read_only
        .address_space:  global
        .offset:         64
        .size:           8
        .value_kind:     global_buffer
      - .actual_access:  read_only
        .address_space:  global
        .offset:         72
        .size:           8
        .value_kind:     global_buffer
      - .offset:         80
        .size:           4
        .value_kind:     by_value
      - .offset:         84
        .size:           4
        .value_kind:     by_value
      - .offset:         88
        .size:           4
        .value_kind:     by_value
      - .offset:         92
        .size:           4
        .value_kind:     by_value
      - .offset:         96
        .size:           4
        .value_kind:     by_value
      - .offset:         100
        .size:           4
        .value_kind:     by_value
      - .offset:         104
        .size:           4
        .value_kind:     by_value
      - .offset:         108
        .size:           4
        .value_kind:     by_value
      - .offset:         112
        .size:           4
        .value_kind:     by_value
      - .offset:         116
        .size:           4
        .value_kind:     by_value
      - .offset:         120
        .size:           4
        .value_kind:     by_value
      - .offset:         124
        .size:           4
        .value_kind:     by_value
      - .offset:         128
        .size:           4
        .value_kind:     by_value
      - .offset:         132
        .size:           4
        .value_kind:     by_value
      - .offset:         136
        .size:           4
        .value_kind:     by_value
      - .offset:         144
        .size:           4
        .value_kind:     hidden_block_count_x
      - .offset:         148
        .size:           4
        .value_kind:     hidden_block_count_y
      - .offset:         152
        .size:           4
        .value_kind:     hidden_block_count_z
      - .offset:         156
        .size:           2
        .value_kind:     hidden_group_size_x
      - .offset:         158
        .size:           2
        .value_kind:     hidden_group_size_y
      - .offset:         160
        .size:           2
        .value_kind:     hidden_group_size_z
      - .offset:         162
        .size:           2
        .value_kind:     hidden_remainder_x
      - .offset:         164
        .size:           2
        .value_kind:     hidden_remainder_y
      - .offset:         166
        .size:           2
        .value_kind:     hidden_remainder_z
      - .offset:         184
        .size:           8
        .value_kind:     hidden_global_offset_x
      - .offset:         192
        .size:           8
        .value_kind:     hidden_global_offset_y
      - .offset:         200
        .size:           8
        .value_kind:     hidden_global_offset_z
      - .offset:         208
        .size:           2
        .value_kind:     hidden_grid_dims
    .group_segment_fixed_size: 16
    .kernarg_segment_align: 8
    .kernarg_segment_size: 400
    .language:       OpenCL C
    .language_version:
      - 2
      - 0
    .max_flat_workgroup_size: 1024
    .name:           _ZN5aiter35fused_qk_rmsnorm_group_quant_kernelIDF16_N4opus5fp4_tELi128ELi8ELi16ELb1ELb1ELb0ELb0ELb0ELb0EEEvPT0_PvPT_S7_S7_PKS6_S9_S9_S9_S9_ffiiiiiiiiiiiii
    .private_segment_fixed_size: 0
    .sgpr_count:     48
    .sgpr_spill_count: 0
    .symbol:         _ZN5aiter35fused_qk_rmsnorm_group_quant_kernelIDF16_N4opus5fp4_tELi128ELi8ELi16ELb1ELb1ELb0ELb0ELb0ELb0EEEvPT0_PvPT_S7_S7_PKS6_S9_S9_S9_S9_ffiiiiiiiiiiiii.kd
    .uniform_work_group_size: 1
    .uses_dynamic_stack: false
    .vgpr_count:     27
    .vgpr_spill_count: 0
    .wavefront_size: 64
  - .agpr_count:     0
    .args:
      - .actual_access:  write_only
        .address_space:  global
        .offset:         0
        .size:           8
        .value_kind:     global_buffer
      - .actual_access:  write_only
        .address_space:  global
        .offset:         8
        .size:           8
        .value_kind:     global_buffer
      - .actual_access:  write_only
        .address_space:  global
        .offset:         16
        .size:           8
        .value_kind:     global_buffer
      - .actual_access:  write_only
        .address_space:  global
        .offset:         24
        .size:           8
        .value_kind:     global_buffer
      - .actual_access:  write_only
        .address_space:  global
        .offset:         32
        .size:           8
        .value_kind:     global_buffer
      - .actual_access:  read_only
        .address_space:  global
        .offset:         40
        .size:           8
        .value_kind:     global_buffer
      - .actual_access:  read_only
        .address_space:  global
        .offset:         48
        .size:           8
        .value_kind:     global_buffer
      - .actual_access:  read_only
        .address_space:  global
        .offset:         56
        .size:           8
        .value_kind:     global_buffer
      - .actual_access:  read_only
        .address_space:  global
        .offset:         64
        .size:           8
        .value_kind:     global_buffer
      - .actual_access:  read_only
        .address_space:  global
        .offset:         72
        .size:           8
        .value_kind:     global_buffer
      - .offset:         80
        .size:           4
        .value_kind:     by_value
      - .offset:         84
        .size:           4
        .value_kind:     by_value
      - .offset:         88
        .size:           4
        .value_kind:     by_value
      - .offset:         92
        .size:           4
        .value_kind:     by_value
      - .offset:         96
        .size:           4
        .value_kind:     by_value
      - .offset:         100
        .size:           4
        .value_kind:     by_value
      - .offset:         104
        .size:           4
        .value_kind:     by_value
      - .offset:         108
        .size:           4
        .value_kind:     by_value
      - .offset:         112
        .size:           4
        .value_kind:     by_value
      - .offset:         116
        .size:           4
        .value_kind:     by_value
      - .offset:         120
        .size:           4
        .value_kind:     by_value
      - .offset:         124
        .size:           4
        .value_kind:     by_value
      - .offset:         128
        .size:           4
        .value_kind:     by_value
      - .offset:         132
        .size:           4
        .value_kind:     by_value
      - .offset:         136
        .size:           4
        .value_kind:     by_value
      - .offset:         144
        .size:           4
        .value_kind:     hidden_block_count_x
      - .offset:         148
        .size:           4
        .value_kind:     hidden_block_count_y
      - .offset:         152
        .size:           4
        .value_kind:     hidden_block_count_z
      - .offset:         156
        .size:           2
        .value_kind:     hidden_group_size_x
      - .offset:         158
        .size:           2
        .value_kind:     hidden_group_size_y
      - .offset:         160
        .size:           2
        .value_kind:     hidden_group_size_z
      - .offset:         162
        .size:           2
        .value_kind:     hidden_remainder_x
      - .offset:         164
        .size:           2
        .value_kind:     hidden_remainder_y
      - .offset:         166
        .size:           2
        .value_kind:     hidden_remainder_z
      - .offset:         184
        .size:           8
        .value_kind:     hidden_global_offset_x
      - .offset:         192
        .size:           8
        .value_kind:     hidden_global_offset_y
      - .offset:         200
        .size:           8
        .value_kind:     hidden_global_offset_z
      - .offset:         208
        .size:           2
        .value_kind:     hidden_grid_dims
    .group_segment_fixed_size: 16
    .kernarg_segment_align: 8
    .kernarg_segment_size: 400
    .language:       OpenCL C
    .language_version:
      - 2
      - 0
    .max_flat_workgroup_size: 1024
    .name:           _ZN5aiter35fused_qk_rmsnorm_group_quant_kernelItN4opus5fp4_tELi128ELi8ELi16ELb1ELb1ELb0ELb0ELb0ELb0EEEvPT0_PvPT_S7_S7_PKS6_S9_S9_S9_S9_ffiiiiiiiiiiiii
    .private_segment_fixed_size: 0
    .sgpr_count:     52
    .sgpr_spill_count: 0
    .symbol:         _ZN5aiter35fused_qk_rmsnorm_group_quant_kernelItN4opus5fp4_tELi128ELi8ELi16ELb1ELb1ELb0ELb0ELb0ELb0EEEvPT0_PvPT_S7_S7_PKS6_S9_S9_S9_S9_ffiiiiiiiiiiiii.kd
    .uniform_work_group_size: 1
    .uses_dynamic_stack: false
    .vgpr_count:     27
    .vgpr_spill_count: 0
    .wavefront_size: 64
  - .agpr_count:     0
    .args:
      - .actual_access:  write_only
        .address_space:  global
        .offset:         0
        .size:           8
        .value_kind:     global_buffer
      - .actual_access:  write_only
        .address_space:  global
        .offset:         8
        .size:           8
        .value_kind:     global_buffer
      - .actual_access:  read_only
        .address_space:  global
        .offset:         16
        .size:           8
        .value_kind:     global_buffer
      - .actual_access:  write_only
        .address_space:  global
        .offset:         24
        .size:           8
        .value_kind:     global_buffer
      - .actual_access:  write_only
        .address_space:  global
        .offset:         32
        .size:           8
        .value_kind:     global_buffer
      - .actual_access:  read_only
        .address_space:  global
        .offset:         40
        .size:           8
        .value_kind:     global_buffer
      - .actual_access:  read_only
        .address_space:  global
        .offset:         48
        .size:           8
        .value_kind:     global_buffer
      - .actual_access:  read_only
        .address_space:  global
        .offset:         56
        .size:           8
        .value_kind:     global_buffer
      - .actual_access:  read_only
        .address_space:  global
        .offset:         64
        .size:           8
        .value_kind:     global_buffer
      - .actual_access:  read_only
        .address_space:  global
        .offset:         72
        .size:           8
        .value_kind:     global_buffer
      - .offset:         80
        .size:           4
        .value_kind:     by_value
      - .offset:         84
        .size:           4
        .value_kind:     by_value
      - .offset:         88
        .size:           4
        .value_kind:     by_value
      - .offset:         92
        .size:           4
        .value_kind:     by_value
      - .offset:         96
        .size:           4
        .value_kind:     by_value
      - .offset:         100
        .size:           4
        .value_kind:     by_value
      - .offset:         104
        .size:           4
        .value_kind:     by_value
      - .offset:         108
        .size:           4
        .value_kind:     by_value
      - .offset:         112
        .size:           4
        .value_kind:     by_value
      - .offset:         116
        .size:           4
        .value_kind:     by_value
      - .offset:         120
        .size:           4
        .value_kind:     by_value
      - .offset:         124
        .size:           4
        .value_kind:     by_value
      - .offset:         128
        .size:           4
        .value_kind:     by_value
      - .offset:         132
        .size:           4
        .value_kind:     by_value
      - .offset:         136
        .size:           4
        .value_kind:     by_value
      - .offset:         144
        .size:           4
        .value_kind:     hidden_block_count_x
      - .offset:         148
        .size:           4
        .value_kind:     hidden_block_count_y
      - .offset:         152
        .size:           4
        .value_kind:     hidden_block_count_z
      - .offset:         156
        .size:           2
        .value_kind:     hidden_group_size_x
      - .offset:         158
        .size:           2
        .value_kind:     hidden_group_size_y
      - .offset:         160
        .size:           2
        .value_kind:     hidden_group_size_z
      - .offset:         162
        .size:           2
        .value_kind:     hidden_remainder_x
      - .offset:         164
        .size:           2
        .value_kind:     hidden_remainder_y
      - .offset:         166
        .size:           2
        .value_kind:     hidden_remainder_z
      - .offset:         184
        .size:           8
        .value_kind:     hidden_global_offset_x
      - .offset:         192
        .size:           8
        .value_kind:     hidden_global_offset_y
      - .offset:         200
        .size:           8
        .value_kind:     hidden_global_offset_z
      - .offset:         208
        .size:           2
        .value_kind:     hidden_grid_dims
    .group_segment_fixed_size: 16
    .kernarg_segment_align: 8
    .kernarg_segment_size: 400
    .language:       OpenCL C
    .language_version:
      - 2
      - 0
    .max_flat_workgroup_size: 1024
    .name:           _ZN5aiter35fused_qk_rmsnorm_group_quant_kernelIDF16_DB8_Li128ELi8ELi16ELb1ELb0ELb1ELb0ELb0ELb0EEEvPT0_PvPT_S6_S6_PKS5_S8_S8_S8_S8_ffiiiiiiiiiiiii
    .private_segment_fixed_size: 0
    .sgpr_count:     48
    .sgpr_spill_count: 0
    .symbol:         _ZN5aiter35fused_qk_rmsnorm_group_quant_kernelIDF16_DB8_Li128ELi8ELi16ELb1ELb0ELb1ELb0ELb0ELb0EEEvPT0_PvPT_S6_S6_PKS5_S8_S8_S8_S8_ffiiiiiiiiiiiii.kd
    .uniform_work_group_size: 1
    .uses_dynamic_stack: false
    .vgpr_count:     31
    .vgpr_spill_count: 0
    .wavefront_size: 64
  - .agpr_count:     0
    .args:
      - .actual_access:  write_only
        .address_space:  global
        .offset:         0
        .size:           8
        .value_kind:     global_buffer
      - .actual_access:  write_only
        .address_space:  global
        .offset:         8
        .size:           8
        .value_kind:     global_buffer
      - .actual_access:  read_only
        .address_space:  global
        .offset:         16
        .size:           8
        .value_kind:     global_buffer
      - .actual_access:  write_only
        .address_space:  global
        .offset:         24
        .size:           8
        .value_kind:     global_buffer
      - .actual_access:  write_only
        .address_space:  global
        .offset:         32
        .size:           8
        .value_kind:     global_buffer
      - .actual_access:  read_only
        .address_space:  global
        .offset:         40
        .size:           8
        .value_kind:     global_buffer
      - .actual_access:  read_only
        .address_space:  global
        .offset:         48
        .size:           8
        .value_kind:     global_buffer
      - .actual_access:  read_only
        .address_space:  global
        .offset:         56
        .size:           8
        .value_kind:     global_buffer
      - .actual_access:  read_only
        .address_space:  global
        .offset:         64
        .size:           8
        .value_kind:     global_buffer
      - .actual_access:  read_only
        .address_space:  global
        .offset:         72
        .size:           8
        .value_kind:     global_buffer
      - .offset:         80
        .size:           4
        .value_kind:     by_value
      - .offset:         84
        .size:           4
        .value_kind:     by_value
      - .offset:         88
        .size:           4
        .value_kind:     by_value
      - .offset:         92
        .size:           4
        .value_kind:     by_value
      - .offset:         96
        .size:           4
        .value_kind:     by_value
      - .offset:         100
        .size:           4
        .value_kind:     by_value
      - .offset:         104
        .size:           4
        .value_kind:     by_value
      - .offset:         108
        .size:           4
        .value_kind:     by_value
      - .offset:         112
        .size:           4
        .value_kind:     by_value
      - .offset:         116
        .size:           4
        .value_kind:     by_value
      - .offset:         120
        .size:           4
        .value_kind:     by_value
      - .offset:         124
        .size:           4
        .value_kind:     by_value
      - .offset:         128
        .size:           4
        .value_kind:     by_value
      - .offset:         132
        .size:           4
        .value_kind:     by_value
      - .offset:         136
        .size:           4
        .value_kind:     by_value
      - .offset:         144
        .size:           4
        .value_kind:     hidden_block_count_x
      - .offset:         148
        .size:           4
        .value_kind:     hidden_block_count_y
      - .offset:         152
        .size:           4
        .value_kind:     hidden_block_count_z
      - .offset:         156
        .size:           2
        .value_kind:     hidden_group_size_x
      - .offset:         158
        .size:           2
        .value_kind:     hidden_group_size_y
      - .offset:         160
        .size:           2
        .value_kind:     hidden_group_size_z
      - .offset:         162
        .size:           2
        .value_kind:     hidden_remainder_x
      - .offset:         164
        .size:           2
        .value_kind:     hidden_remainder_y
      - .offset:         166
        .size:           2
        .value_kind:     hidden_remainder_z
      - .offset:         184
        .size:           8
        .value_kind:     hidden_global_offset_x
      - .offset:         192
        .size:           8
        .value_kind:     hidden_global_offset_y
      - .offset:         200
        .size:           8
        .value_kind:     hidden_global_offset_z
      - .offset:         208
        .size:           2
        .value_kind:     hidden_grid_dims
    .group_segment_fixed_size: 16
    .kernarg_segment_align: 8
    .kernarg_segment_size: 400
    .language:       OpenCL C
    .language_version:
      - 2
      - 0
    .max_flat_workgroup_size: 1024
    .name:           _ZN5aiter35fused_qk_rmsnorm_group_quant_kernelItDB8_Li128ELi8ELi16ELb1ELb0ELb1ELb0ELb0ELb0EEEvPT0_PvPT_S6_S6_PKS5_S8_S8_S8_S8_ffiiiiiiiiiiiii
    .private_segment_fixed_size: 0
    .sgpr_count:     52
    .sgpr_spill_count: 0
    .symbol:         _ZN5aiter35fused_qk_rmsnorm_group_quant_kernelItDB8_Li128ELi8ELi16ELb1ELb0ELb1ELb0ELb0ELb0EEEvPT0_PvPT_S6_S6_PKS5_S8_S8_S8_S8_ffiiiiiiiiiiiii.kd
    .uniform_work_group_size: 1
    .uses_dynamic_stack: false
    .vgpr_count:     27
    .vgpr_spill_count: 0
    .wavefront_size: 64
  - .agpr_count:     0
    .args:
      - .actual_access:  write_only
        .address_space:  global
        .offset:         0
        .size:           8
        .value_kind:     global_buffer
      - .actual_access:  write_only
        .address_space:  global
        .offset:         8
        .size:           8
        .value_kind:     global_buffer
      - .actual_access:  read_only
        .address_space:  global
        .offset:         16
        .size:           8
        .value_kind:     global_buffer
      - .actual_access:  write_only
        .address_space:  global
        .offset:         24
        .size:           8
        .value_kind:     global_buffer
      - .actual_access:  write_only
        .address_space:  global
        .offset:         32
        .size:           8
        .value_kind:     global_buffer
      - .actual_access:  read_only
        .address_space:  global
        .offset:         40
        .size:           8
        .value_kind:     global_buffer
      - .actual_access:  read_only
        .address_space:  global
        .offset:         48
        .size:           8
        .value_kind:     global_buffer
      - .actual_access:  read_only
        .address_space:  global
        .offset:         56
        .size:           8
        .value_kind:     global_buffer
      - .actual_access:  read_only
        .address_space:  global
        .offset:         64
        .size:           8
        .value_kind:     global_buffer
      - .actual_access:  read_only
        .address_space:  global
        .offset:         72
        .size:           8
        .value_kind:     global_buffer
      - .offset:         80
        .size:           4
        .value_kind:     by_value
      - .offset:         84
        .size:           4
        .value_kind:     by_value
      - .offset:         88
        .size:           4
        .value_kind:     by_value
      - .offset:         92
        .size:           4
        .value_kind:     by_value
      - .offset:         96
        .size:           4
        .value_kind:     by_value
      - .offset:         100
        .size:           4
        .value_kind:     by_value
      - .offset:         104
        .size:           4
        .value_kind:     by_value
      - .offset:         108
        .size:           4
        .value_kind:     by_value
      - .offset:         112
        .size:           4
        .value_kind:     by_value
      - .offset:         116
        .size:           4
        .value_kind:     by_value
      - .offset:         120
        .size:           4
        .value_kind:     by_value
      - .offset:         124
        .size:           4
        .value_kind:     by_value
      - .offset:         128
        .size:           4
        .value_kind:     by_value
      - .offset:         132
        .size:           4
        .value_kind:     by_value
      - .offset:         136
        .size:           4
        .value_kind:     by_value
      - .offset:         144
        .size:           4
        .value_kind:     hidden_block_count_x
      - .offset:         148
        .size:           4
        .value_kind:     hidden_block_count_y
      - .offset:         152
        .size:           4
        .value_kind:     hidden_block_count_z
      - .offset:         156
        .size:           2
        .value_kind:     hidden_group_size_x
      - .offset:         158
        .size:           2
        .value_kind:     hidden_group_size_y
      - .offset:         160
        .size:           2
        .value_kind:     hidden_group_size_z
      - .offset:         162
        .size:           2
        .value_kind:     hidden_remainder_x
      - .offset:         164
        .size:           2
        .value_kind:     hidden_remainder_y
      - .offset:         166
        .size:           2
        .value_kind:     hidden_remainder_z
      - .offset:         184
        .size:           8
        .value_kind:     hidden_global_offset_x
      - .offset:         192
        .size:           8
        .value_kind:     hidden_global_offset_y
      - .offset:         200
        .size:           8
        .value_kind:     hidden_global_offset_z
      - .offset:         208
        .size:           2
        .value_kind:     hidden_grid_dims
    .group_segment_fixed_size: 16
    .kernarg_segment_align: 8
    .kernarg_segment_size: 400
    .language:       OpenCL C
    .language_version:
      - 2
      - 0
    .max_flat_workgroup_size: 1024
    .name:           _ZN5aiter35fused_qk_rmsnorm_group_quant_kernelIDF16_N4opus5fp4_tELi128ELi8ELi16ELb1ELb0ELb1ELb0ELb0ELb0EEEvPT0_PvPT_S7_S7_PKS6_S9_S9_S9_S9_ffiiiiiiiiiiiii
    .private_segment_fixed_size: 0
    .sgpr_count:     44
    .sgpr_spill_count: 0
    .symbol:         _ZN5aiter35fused_qk_rmsnorm_group_quant_kernelIDF16_N4opus5fp4_tELi128ELi8ELi16ELb1ELb0ELb1ELb0ELb0ELb0EEEvPT0_PvPT_S7_S7_PKS6_S9_S9_S9_S9_ffiiiiiiiiiiiii.kd
    .uniform_work_group_size: 1
    .uses_dynamic_stack: false
    .vgpr_count:     25
    .vgpr_spill_count: 0
    .wavefront_size: 64
  - .agpr_count:     0
    .args:
      - .actual_access:  write_only
        .address_space:  global
        .offset:         0
        .size:           8
        .value_kind:     global_buffer
      - .actual_access:  write_only
        .address_space:  global
        .offset:         8
        .size:           8
        .value_kind:     global_buffer
      - .actual_access:  read_only
        .address_space:  global
        .offset:         16
        .size:           8
        .value_kind:     global_buffer
      - .actual_access:  write_only
        .address_space:  global
        .offset:         24
        .size:           8
        .value_kind:     global_buffer
      - .actual_access:  write_only
        .address_space:  global
        .offset:         32
        .size:           8
        .value_kind:     global_buffer
      - .actual_access:  read_only
        .address_space:  global
        .offset:         40
        .size:           8
        .value_kind:     global_buffer
      - .actual_access:  read_only
        .address_space:  global
        .offset:         48
        .size:           8
        .value_kind:     global_buffer
      - .actual_access:  read_only
        .address_space:  global
        .offset:         56
        .size:           8
        .value_kind:     global_buffer
      - .actual_access:  read_only
        .address_space:  global
        .offset:         64
        .size:           8
        .value_kind:     global_buffer
      - .actual_access:  read_only
        .address_space:  global
        .offset:         72
        .size:           8
        .value_kind:     global_buffer
      - .offset:         80
        .size:           4
        .value_kind:     by_value
      - .offset:         84
        .size:           4
        .value_kind:     by_value
      - .offset:         88
        .size:           4
        .value_kind:     by_value
      - .offset:         92
        .size:           4
        .value_kind:     by_value
      - .offset:         96
        .size:           4
        .value_kind:     by_value
      - .offset:         100
        .size:           4
        .value_kind:     by_value
      - .offset:         104
        .size:           4
        .value_kind:     by_value
      - .offset:         108
        .size:           4
        .value_kind:     by_value
      - .offset:         112
        .size:           4
        .value_kind:     by_value
      - .offset:         116
        .size:           4
        .value_kind:     by_value
      - .offset:         120
        .size:           4
        .value_kind:     by_value
      - .offset:         124
        .size:           4
        .value_kind:     by_value
      - .offset:         128
        .size:           4
        .value_kind:     by_value
      - .offset:         132
        .size:           4
        .value_kind:     by_value
      - .offset:         136
        .size:           4
        .value_kind:     by_value
      - .offset:         144
        .size:           4
        .value_kind:     hidden_block_count_x
      - .offset:         148
        .size:           4
        .value_kind:     hidden_block_count_y
      - .offset:         152
        .size:           4
        .value_kind:     hidden_block_count_z
      - .offset:         156
        .size:           2
        .value_kind:     hidden_group_size_x
      - .offset:         158
        .size:           2
        .value_kind:     hidden_group_size_y
      - .offset:         160
        .size:           2
        .value_kind:     hidden_group_size_z
      - .offset:         162
        .size:           2
        .value_kind:     hidden_remainder_x
      - .offset:         164
        .size:           2
        .value_kind:     hidden_remainder_y
      - .offset:         166
        .size:           2
        .value_kind:     hidden_remainder_z
      - .offset:         184
        .size:           8
        .value_kind:     hidden_global_offset_x
      - .offset:         192
        .size:           8
        .value_kind:     hidden_global_offset_y
      - .offset:         200
        .size:           8
        .value_kind:     hidden_global_offset_z
      - .offset:         208
        .size:           2
        .value_kind:     hidden_grid_dims
    .group_segment_fixed_size: 16
    .kernarg_segment_align: 8
    .kernarg_segment_size: 400
    .language:       OpenCL C
    .language_version:
      - 2
      - 0
    .max_flat_workgroup_size: 1024
    .name:           _ZN5aiter35fused_qk_rmsnorm_group_quant_kernelItN4opus5fp4_tELi128ELi8ELi16ELb1ELb0ELb1ELb0ELb0ELb0EEEvPT0_PvPT_S7_S7_PKS6_S9_S9_S9_S9_ffiiiiiiiiiiiii
    .private_segment_fixed_size: 0
    .sgpr_count:     48
    .sgpr_spill_count: 0
    .symbol:         _ZN5aiter35fused_qk_rmsnorm_group_quant_kernelItN4opus5fp4_tELi128ELi8ELi16ELb1ELb0ELb1ELb0ELb0ELb0EEEvPT0_PvPT_S7_S7_PKS6_S9_S9_S9_S9_ffiiiiiiiiiiiii.kd
    .uniform_work_group_size: 1
    .uses_dynamic_stack: false
    .vgpr_count:     27
    .vgpr_spill_count: 0
    .wavefront_size: 64
  - .agpr_count:     0
    .args:
      - .actual_access:  write_only
        .address_space:  global
        .offset:         0
        .size:           8
        .value_kind:     global_buffer
      - .actual_access:  write_only
        .address_space:  global
        .offset:         8
        .size:           8
        .value_kind:     global_buffer
      - .actual_access:  read_only
        .address_space:  global
        .offset:         16
        .size:           8
        .value_kind:     global_buffer
      - .actual_access:  write_only
        .address_space:  global
        .offset:         24
        .size:           8
        .value_kind:     global_buffer
      - .actual_access:  write_only
        .address_space:  global
        .offset:         32
        .size:           8
        .value_kind:     global_buffer
      - .actual_access:  read_only
        .address_space:  global
        .offset:         40
        .size:           8
        .value_kind:     global_buffer
      - .actual_access:  read_only
        .address_space:  global
        .offset:         48
        .size:           8
        .value_kind:     global_buffer
      - .actual_access:  read_only
        .address_space:  global
        .offset:         56
        .size:           8
        .value_kind:     global_buffer
      - .actual_access:  read_only
        .address_space:  global
        .offset:         64
        .size:           8
        .value_kind:     global_buffer
      - .actual_access:  read_only
        .address_space:  global
        .offset:         72
        .size:           8
        .value_kind:     global_buffer
      - .offset:         80
        .size:           4
        .value_kind:     by_value
      - .offset:         84
        .size:           4
        .value_kind:     by_value
      - .offset:         88
        .size:           4
        .value_kind:     by_value
      - .offset:         92
        .size:           4
        .value_kind:     by_value
      - .offset:         96
        .size:           4
        .value_kind:     by_value
      - .offset:         100
        .size:           4
        .value_kind:     by_value
      - .offset:         104
        .size:           4
        .value_kind:     by_value
      - .offset:         108
        .size:           4
        .value_kind:     by_value
      - .offset:         112
        .size:           4
        .value_kind:     by_value
      - .offset:         116
        .size:           4
        .value_kind:     by_value
      - .offset:         120
        .size:           4
        .value_kind:     by_value
      - .offset:         124
        .size:           4
        .value_kind:     by_value
      - .offset:         128
        .size:           4
        .value_kind:     by_value
      - .offset:         132
        .size:           4
        .value_kind:     by_value
      - .offset:         136
        .size:           4
        .value_kind:     by_value
      - .offset:         144
        .size:           4
        .value_kind:     hidden_block_count_x
      - .offset:         148
        .size:           4
        .value_kind:     hidden_block_count_y
      - .offset:         152
        .size:           4
        .value_kind:     hidden_block_count_z
      - .offset:         156
        .size:           2
        .value_kind:     hidden_group_size_x
      - .offset:         158
        .size:           2
        .value_kind:     hidden_group_size_y
      - .offset:         160
        .size:           2
        .value_kind:     hidden_group_size_z
      - .offset:         162
        .size:           2
        .value_kind:     hidden_remainder_x
      - .offset:         164
        .size:           2
        .value_kind:     hidden_remainder_y
      - .offset:         166
        .size:           2
        .value_kind:     hidden_remainder_z
      - .offset:         184
        .size:           8
        .value_kind:     hidden_global_offset_x
      - .offset:         192
        .size:           8
        .value_kind:     hidden_global_offset_y
      - .offset:         200
        .size:           8
        .value_kind:     hidden_global_offset_z
      - .offset:         208
        .size:           2
        .value_kind:     hidden_grid_dims
    .group_segment_fixed_size: 16
    .kernarg_segment_align: 8
    .kernarg_segment_size: 400
    .language:       OpenCL C
    .language_version:
      - 2
      - 0
    .max_flat_workgroup_size: 1024
    .name:           _ZN5aiter35fused_qk_rmsnorm_group_quant_kernelIDF16_DB8_Li128ELi8ELi16ELb1ELb0ELb0ELb0ELb0ELb0EEEvPT0_PvPT_S6_S6_PKS5_S8_S8_S8_S8_ffiiiiiiiiiiiii
    .private_segment_fixed_size: 0
    .sgpr_count:     48
    .sgpr_spill_count: 0
    .symbol:         _ZN5aiter35fused_qk_rmsnorm_group_quant_kernelIDF16_DB8_Li128ELi8ELi16ELb1ELb0ELb0ELb0ELb0ELb0EEEvPT0_PvPT_S6_S6_PKS5_S8_S8_S8_S8_ffiiiiiiiiiiiii.kd
    .uniform_work_group_size: 1
    .uses_dynamic_stack: false
    .vgpr_count:     34
    .vgpr_spill_count: 0
    .wavefront_size: 64
  - .agpr_count:     0
    .args:
      - .actual_access:  write_only
        .address_space:  global
        .offset:         0
        .size:           8
        .value_kind:     global_buffer
      - .actual_access:  write_only
        .address_space:  global
        .offset:         8
        .size:           8
        .value_kind:     global_buffer
      - .actual_access:  read_only
        .address_space:  global
        .offset:         16
        .size:           8
        .value_kind:     global_buffer
      - .actual_access:  write_only
        .address_space:  global
        .offset:         24
        .size:           8
        .value_kind:     global_buffer
      - .actual_access:  write_only
        .address_space:  global
        .offset:         32
        .size:           8
        .value_kind:     global_buffer
      - .actual_access:  read_only
        .address_space:  global
        .offset:         40
        .size:           8
        .value_kind:     global_buffer
      - .actual_access:  read_only
        .address_space:  global
        .offset:         48
        .size:           8
        .value_kind:     global_buffer
      - .actual_access:  read_only
        .address_space:  global
        .offset:         56
        .size:           8
        .value_kind:     global_buffer
      - .actual_access:  read_only
        .address_space:  global
        .offset:         64
        .size:           8
        .value_kind:     global_buffer
      - .actual_access:  read_only
        .address_space:  global
        .offset:         72
        .size:           8
        .value_kind:     global_buffer
      - .offset:         80
        .size:           4
        .value_kind:     by_value
      - .offset:         84
        .size:           4
        .value_kind:     by_value
      - .offset:         88
        .size:           4
        .value_kind:     by_value
      - .offset:         92
        .size:           4
        .value_kind:     by_value
      - .offset:         96
        .size:           4
        .value_kind:     by_value
      - .offset:         100
        .size:           4
        .value_kind:     by_value
      - .offset:         104
        .size:           4
        .value_kind:     by_value
      - .offset:         108
        .size:           4
        .value_kind:     by_value
      - .offset:         112
        .size:           4
        .value_kind:     by_value
      - .offset:         116
        .size:           4
        .value_kind:     by_value
      - .offset:         120
        .size:           4
        .value_kind:     by_value
      - .offset:         124
        .size:           4
        .value_kind:     by_value
      - .offset:         128
        .size:           4
        .value_kind:     by_value
      - .offset:         132
        .size:           4
        .value_kind:     by_value
      - .offset:         136
        .size:           4
        .value_kind:     by_value
      - .offset:         144
        .size:           4
        .value_kind:     hidden_block_count_x
      - .offset:         148
        .size:           4
        .value_kind:     hidden_block_count_y
      - .offset:         152
        .size:           4
        .value_kind:     hidden_block_count_z
      - .offset:         156
        .size:           2
        .value_kind:     hidden_group_size_x
      - .offset:         158
        .size:           2
        .value_kind:     hidden_group_size_y
      - .offset:         160
        .size:           2
        .value_kind:     hidden_group_size_z
      - .offset:         162
        .size:           2
        .value_kind:     hidden_remainder_x
      - .offset:         164
        .size:           2
        .value_kind:     hidden_remainder_y
      - .offset:         166
        .size:           2
        .value_kind:     hidden_remainder_z
      - .offset:         184
        .size:           8
        .value_kind:     hidden_global_offset_x
      - .offset:         192
        .size:           8
        .value_kind:     hidden_global_offset_y
      - .offset:         200
        .size:           8
        .value_kind:     hidden_global_offset_z
      - .offset:         208
        .size:           2
        .value_kind:     hidden_grid_dims
    .group_segment_fixed_size: 16
    .kernarg_segment_align: 8
    .kernarg_segment_size: 400
    .language:       OpenCL C
    .language_version:
      - 2
      - 0
    .max_flat_workgroup_size: 1024
    .name:           _ZN5aiter35fused_qk_rmsnorm_group_quant_kernelItDB8_Li128ELi8ELi16ELb1ELb0ELb0ELb0ELb0ELb0EEEvPT0_PvPT_S6_S6_PKS5_S8_S8_S8_S8_ffiiiiiiiiiiiii
    .private_segment_fixed_size: 0
    .sgpr_count:     52
    .sgpr_spill_count: 0
    .symbol:         _ZN5aiter35fused_qk_rmsnorm_group_quant_kernelItDB8_Li128ELi8ELi16ELb1ELb0ELb0ELb0ELb0ELb0EEEvPT0_PvPT_S6_S6_PKS5_S8_S8_S8_S8_ffiiiiiiiiiiiii.kd
    .uniform_work_group_size: 1
    .uses_dynamic_stack: false
    .vgpr_count:     27
    .vgpr_spill_count: 0
    .wavefront_size: 64
  - .agpr_count:     0
    .args:
      - .actual_access:  write_only
        .address_space:  global
        .offset:         0
        .size:           8
        .value_kind:     global_buffer
      - .actual_access:  write_only
        .address_space:  global
        .offset:         8
        .size:           8
        .value_kind:     global_buffer
      - .actual_access:  read_only
        .address_space:  global
        .offset:         16
        .size:           8
        .value_kind:     global_buffer
      - .actual_access:  write_only
        .address_space:  global
        .offset:         24
        .size:           8
        .value_kind:     global_buffer
      - .actual_access:  write_only
        .address_space:  global
        .offset:         32
        .size:           8
        .value_kind:     global_buffer
      - .actual_access:  read_only
        .address_space:  global
        .offset:         40
        .size:           8
        .value_kind:     global_buffer
      - .actual_access:  read_only
        .address_space:  global
        .offset:         48
        .size:           8
        .value_kind:     global_buffer
      - .actual_access:  read_only
        .address_space:  global
        .offset:         56
        .size:           8
        .value_kind:     global_buffer
      - .actual_access:  read_only
        .address_space:  global
        .offset:         64
        .size:           8
        .value_kind:     global_buffer
      - .actual_access:  read_only
        .address_space:  global
        .offset:         72
        .size:           8
        .value_kind:     global_buffer
      - .offset:         80
        .size:           4
        .value_kind:     by_value
      - .offset:         84
        .size:           4
        .value_kind:     by_value
      - .offset:         88
        .size:           4
        .value_kind:     by_value
      - .offset:         92
        .size:           4
        .value_kind:     by_value
      - .offset:         96
        .size:           4
        .value_kind:     by_value
      - .offset:         100
        .size:           4
        .value_kind:     by_value
      - .offset:         104
        .size:           4
        .value_kind:     by_value
      - .offset:         108
        .size:           4
        .value_kind:     by_value
      - .offset:         112
        .size:           4
        .value_kind:     by_value
      - .offset:         116
        .size:           4
        .value_kind:     by_value
      - .offset:         120
        .size:           4
        .value_kind:     by_value
      - .offset:         124
        .size:           4
        .value_kind:     by_value
      - .offset:         128
        .size:           4
        .value_kind:     by_value
      - .offset:         132
        .size:           4
        .value_kind:     by_value
      - .offset:         136
        .size:           4
        .value_kind:     by_value
      - .offset:         144
        .size:           4
        .value_kind:     hidden_block_count_x
      - .offset:         148
        .size:           4
        .value_kind:     hidden_block_count_y
      - .offset:         152
        .size:           4
        .value_kind:     hidden_block_count_z
      - .offset:         156
        .size:           2
        .value_kind:     hidden_group_size_x
      - .offset:         158
        .size:           2
        .value_kind:     hidden_group_size_y
      - .offset:         160
        .size:           2
        .value_kind:     hidden_group_size_z
      - .offset:         162
        .size:           2
        .value_kind:     hidden_remainder_x
      - .offset:         164
        .size:           2
        .value_kind:     hidden_remainder_y
      - .offset:         166
        .size:           2
        .value_kind:     hidden_remainder_z
      - .offset:         184
        .size:           8
        .value_kind:     hidden_global_offset_x
      - .offset:         192
        .size:           8
        .value_kind:     hidden_global_offset_y
      - .offset:         200
        .size:           8
        .value_kind:     hidden_global_offset_z
      - .offset:         208
        .size:           2
        .value_kind:     hidden_grid_dims
    .group_segment_fixed_size: 16
    .kernarg_segment_align: 8
    .kernarg_segment_size: 400
    .language:       OpenCL C
    .language_version:
      - 2
      - 0
    .max_flat_workgroup_size: 1024
    .name:           _ZN5aiter35fused_qk_rmsnorm_group_quant_kernelIDF16_N4opus5fp4_tELi128ELi8ELi16ELb1ELb0ELb0ELb0ELb0ELb0EEEvPT0_PvPT_S7_S7_PKS6_S9_S9_S9_S9_ffiiiiiiiiiiiii
    .private_segment_fixed_size: 0
    .sgpr_count:     44
    .sgpr_spill_count: 0
    .symbol:         _ZN5aiter35fused_qk_rmsnorm_group_quant_kernelIDF16_N4opus5fp4_tELi128ELi8ELi16ELb1ELb0ELb0ELb0ELb0ELb0EEEvPT0_PvPT_S7_S7_PKS6_S9_S9_S9_S9_ffiiiiiiiiiiiii.kd
    .uniform_work_group_size: 1
    .uses_dynamic_stack: false
    .vgpr_count:     27
    .vgpr_spill_count: 0
    .wavefront_size: 64
  - .agpr_count:     0
    .args:
      - .actual_access:  write_only
        .address_space:  global
        .offset:         0
        .size:           8
        .value_kind:     global_buffer
      - .actual_access:  write_only
        .address_space:  global
        .offset:         8
        .size:           8
        .value_kind:     global_buffer
      - .actual_access:  read_only
        .address_space:  global
        .offset:         16
        .size:           8
        .value_kind:     global_buffer
      - .actual_access:  write_only
        .address_space:  global
        .offset:         24
        .size:           8
        .value_kind:     global_buffer
      - .actual_access:  write_only
        .address_space:  global
        .offset:         32
        .size:           8
        .value_kind:     global_buffer
      - .actual_access:  read_only
        .address_space:  global
        .offset:         40
        .size:           8
        .value_kind:     global_buffer
      - .actual_access:  read_only
        .address_space:  global
        .offset:         48
        .size:           8
        .value_kind:     global_buffer
      - .actual_access:  read_only
        .address_space:  global
        .offset:         56
        .size:           8
        .value_kind:     global_buffer
      - .actual_access:  read_only
        .address_space:  global
        .offset:         64
        .size:           8
        .value_kind:     global_buffer
      - .actual_access:  read_only
        .address_space:  global
        .offset:         72
        .size:           8
        .value_kind:     global_buffer
      - .offset:         80
        .size:           4
        .value_kind:     by_value
      - .offset:         84
        .size:           4
        .value_kind:     by_value
      - .offset:         88
        .size:           4
        .value_kind:     by_value
      - .offset:         92
        .size:           4
        .value_kind:     by_value
      - .offset:         96
        .size:           4
        .value_kind:     by_value
      - .offset:         100
        .size:           4
        .value_kind:     by_value
      - .offset:         104
        .size:           4
        .value_kind:     by_value
      - .offset:         108
        .size:           4
        .value_kind:     by_value
      - .offset:         112
        .size:           4
        .value_kind:     by_value
      - .offset:         116
        .size:           4
        .value_kind:     by_value
      - .offset:         120
        .size:           4
        .value_kind:     by_value
      - .offset:         124
        .size:           4
        .value_kind:     by_value
      - .offset:         128
        .size:           4
        .value_kind:     by_value
      - .offset:         132
        .size:           4
        .value_kind:     by_value
      - .offset:         136
        .size:           4
        .value_kind:     by_value
      - .offset:         144
        .size:           4
        .value_kind:     hidden_block_count_x
      - .offset:         148
        .size:           4
        .value_kind:     hidden_block_count_y
      - .offset:         152
        .size:           4
        .value_kind:     hidden_block_count_z
      - .offset:         156
        .size:           2
        .value_kind:     hidden_group_size_x
      - .offset:         158
        .size:           2
        .value_kind:     hidden_group_size_y
      - .offset:         160
        .size:           2
        .value_kind:     hidden_group_size_z
      - .offset:         162
        .size:           2
        .value_kind:     hidden_remainder_x
      - .offset:         164
        .size:           2
        .value_kind:     hidden_remainder_y
      - .offset:         166
        .size:           2
        .value_kind:     hidden_remainder_z
      - .offset:         184
        .size:           8
        .value_kind:     hidden_global_offset_x
      - .offset:         192
        .size:           8
        .value_kind:     hidden_global_offset_y
      - .offset:         200
        .size:           8
        .value_kind:     hidden_global_offset_z
      - .offset:         208
        .size:           2
        .value_kind:     hidden_grid_dims
    .group_segment_fixed_size: 16
    .kernarg_segment_align: 8
    .kernarg_segment_size: 400
    .language:       OpenCL C
    .language_version:
      - 2
      - 0
    .max_flat_workgroup_size: 1024
    .name:           _ZN5aiter35fused_qk_rmsnorm_group_quant_kernelItN4opus5fp4_tELi128ELi8ELi16ELb1ELb0ELb0ELb0ELb0ELb0EEEvPT0_PvPT_S7_S7_PKS6_S9_S9_S9_S9_ffiiiiiiiiiiiii
    .private_segment_fixed_size: 0
    .sgpr_count:     48
    .sgpr_spill_count: 0
    .symbol:         _ZN5aiter35fused_qk_rmsnorm_group_quant_kernelItN4opus5fp4_tELi128ELi8ELi16ELb1ELb0ELb0ELb0ELb0ELb0EEEvPT0_PvPT_S7_S7_PKS6_S9_S9_S9_S9_ffiiiiiiiiiiiii.kd
    .uniform_work_group_size: 1
    .uses_dynamic_stack: false
    .vgpr_count:     27
    .vgpr_spill_count: 0
    .wavefront_size: 64
  - .agpr_count:     0
    .args:
      - .actual_access:  write_only
        .address_space:  global
        .offset:         0
        .size:           8
        .value_kind:     global_buffer
      - .actual_access:  write_only
        .address_space:  global
        .offset:         8
        .size:           8
        .value_kind:     global_buffer
      - .actual_access:  write_only
        .address_space:  global
        .offset:         16
        .size:           8
        .value_kind:     global_buffer
      - .actual_access:  write_only
        .address_space:  global
        .offset:         24
        .size:           8
        .value_kind:     global_buffer
      - .actual_access:  read_only
        .address_space:  global
        .offset:         32
        .size:           8
        .value_kind:     global_buffer
      - .actual_access:  read_only
        .address_space:  global
        .offset:         40
        .size:           8
        .value_kind:     global_buffer
      - .actual_access:  read_only
        .address_space:  global
        .offset:         48
        .size:           8
        .value_kind:     global_buffer
      - .actual_access:  read_only
        .address_space:  global
        .offset:         56
        .size:           8
        .value_kind:     global_buffer
      - .actual_access:  read_only
        .address_space:  global
        .offset:         64
        .size:           8
        .value_kind:     global_buffer
      - .actual_access:  read_only
        .address_space:  global
        .offset:         72
        .size:           8
        .value_kind:     global_buffer
      - .offset:         80
        .size:           4
        .value_kind:     by_value
      - .offset:         84
        .size:           4
        .value_kind:     by_value
      - .offset:         88
        .size:           4
        .value_kind:     by_value
      - .offset:         92
        .size:           4
        .value_kind:     by_value
      - .offset:         96
        .size:           4
        .value_kind:     by_value
      - .offset:         100
        .size:           4
        .value_kind:     by_value
      - .offset:         104
        .size:           4
        .value_kind:     by_value
      - .offset:         108
        .size:           4
        .value_kind:     by_value
      - .offset:         112
        .size:           4
        .value_kind:     by_value
      - .offset:         116
        .size:           4
        .value_kind:     by_value
      - .offset:         120
        .size:           4
        .value_kind:     by_value
      - .offset:         124
        .size:           4
        .value_kind:     by_value
      - .offset:         128
        .size:           4
        .value_kind:     by_value
      - .offset:         132
        .size:           4
        .value_kind:     by_value
      - .offset:         136
        .size:           4
        .value_kind:     by_value
      - .offset:         144
        .size:           4
        .value_kind:     hidden_block_count_x
      - .offset:         148
        .size:           4
        .value_kind:     hidden_block_count_y
      - .offset:         152
        .size:           4
        .value_kind:     hidden_block_count_z
      - .offset:         156
        .size:           2
        .value_kind:     hidden_group_size_x
      - .offset:         158
        .size:           2
        .value_kind:     hidden_group_size_y
      - .offset:         160
        .size:           2
        .value_kind:     hidden_group_size_z
      - .offset:         162
        .size:           2
        .value_kind:     hidden_remainder_x
      - .offset:         164
        .size:           2
        .value_kind:     hidden_remainder_y
      - .offset:         166
        .size:           2
        .value_kind:     hidden_remainder_z
      - .offset:         184
        .size:           8
        .value_kind:     hidden_global_offset_x
      - .offset:         192
        .size:           8
        .value_kind:     hidden_global_offset_y
      - .offset:         200
        .size:           8
        .value_kind:     hidden_global_offset_z
      - .offset:         208
        .size:           2
        .value_kind:     hidden_grid_dims
    .group_segment_fixed_size: 16
    .kernarg_segment_align: 8
    .kernarg_segment_size: 400
    .language:       OpenCL C
    .language_version:
      - 2
      - 0
    .max_flat_workgroup_size: 1024
    .name:           _ZN5aiter35fused_qk_rmsnorm_group_quant_kernelIDF16_DB8_Li128ELi8ELi16ELb0ELb1ELb1ELb0ELb0ELb0EEEvPT0_PvPT_S6_S6_PKS5_S8_S8_S8_S8_ffiiiiiiiiiiiii
    .private_segment_fixed_size: 0
    .sgpr_count:     40
    .sgpr_spill_count: 0
    .symbol:         _ZN5aiter35fused_qk_rmsnorm_group_quant_kernelIDF16_DB8_Li128ELi8ELi16ELb0ELb1ELb1ELb0ELb0ELb0EEEvPT0_PvPT_S6_S6_PKS5_S8_S8_S8_S8_ffiiiiiiiiiiiii.kd
    .uniform_work_group_size: 1
    .uses_dynamic_stack: false
    .vgpr_count:     23
    .vgpr_spill_count: 0
    .wavefront_size: 64
  - .agpr_count:     0
    .args:
      - .actual_access:  write_only
        .address_space:  global
        .offset:         0
        .size:           8
        .value_kind:     global_buffer
      - .actual_access:  write_only
        .address_space:  global
        .offset:         8
        .size:           8
        .value_kind:     global_buffer
      - .actual_access:  write_only
        .address_space:  global
        .offset:         16
        .size:           8
        .value_kind:     global_buffer
      - .actual_access:  write_only
        .address_space:  global
        .offset:         24
        .size:           8
        .value_kind:     global_buffer
      - .actual_access:  read_only
        .address_space:  global
        .offset:         32
        .size:           8
        .value_kind:     global_buffer
      - .actual_access:  read_only
        .address_space:  global
        .offset:         40
        .size:           8
        .value_kind:     global_buffer
      - .actual_access:  read_only
        .address_space:  global
        .offset:         48
        .size:           8
        .value_kind:     global_buffer
      - .actual_access:  read_only
        .address_space:  global
        .offset:         56
        .size:           8
        .value_kind:     global_buffer
      - .actual_access:  read_only
        .address_space:  global
        .offset:         64
        .size:           8
        .value_kind:     global_buffer
      - .actual_access:  read_only
        .address_space:  global
        .offset:         72
        .size:           8
        .value_kind:     global_buffer
      - .offset:         80
        .size:           4
        .value_kind:     by_value
      - .offset:         84
        .size:           4
        .value_kind:     by_value
      - .offset:         88
        .size:           4
        .value_kind:     by_value
      - .offset:         92
        .size:           4
        .value_kind:     by_value
      - .offset:         96
        .size:           4
        .value_kind:     by_value
      - .offset:         100
        .size:           4
        .value_kind:     by_value
      - .offset:         104
        .size:           4
        .value_kind:     by_value
      - .offset:         108
        .size:           4
        .value_kind:     by_value
      - .offset:         112
        .size:           4
        .value_kind:     by_value
      - .offset:         116
        .size:           4
        .value_kind:     by_value
      - .offset:         120
        .size:           4
        .value_kind:     by_value
      - .offset:         124
        .size:           4
        .value_kind:     by_value
      - .offset:         128
        .size:           4
        .value_kind:     by_value
      - .offset:         132
        .size:           4
        .value_kind:     by_value
      - .offset:         136
        .size:           4
        .value_kind:     by_value
      - .offset:         144
        .size:           4
        .value_kind:     hidden_block_count_x
      - .offset:         148
        .size:           4
        .value_kind:     hidden_block_count_y
      - .offset:         152
        .size:           4
        .value_kind:     hidden_block_count_z
      - .offset:         156
        .size:           2
        .value_kind:     hidden_group_size_x
      - .offset:         158
        .size:           2
        .value_kind:     hidden_group_size_y
      - .offset:         160
        .size:           2
        .value_kind:     hidden_group_size_z
      - .offset:         162
        .size:           2
        .value_kind:     hidden_remainder_x
      - .offset:         164
        .size:           2
        .value_kind:     hidden_remainder_y
      - .offset:         166
        .size:           2
        .value_kind:     hidden_remainder_z
      - .offset:         184
        .size:           8
        .value_kind:     hidden_global_offset_x
      - .offset:         192
        .size:           8
        .value_kind:     hidden_global_offset_y
      - .offset:         200
        .size:           8
        .value_kind:     hidden_global_offset_z
      - .offset:         208
        .size:           2
        .value_kind:     hidden_grid_dims
    .group_segment_fixed_size: 16
    .kernarg_segment_align: 8
    .kernarg_segment_size: 400
    .language:       OpenCL C
    .language_version:
      - 2
      - 0
    .max_flat_workgroup_size: 1024
    .name:           _ZN5aiter35fused_qk_rmsnorm_group_quant_kernelItDB8_Li128ELi8ELi16ELb0ELb1ELb1ELb0ELb0ELb0EEEvPT0_PvPT_S6_S6_PKS5_S8_S8_S8_S8_ffiiiiiiiiiiiii
    .private_segment_fixed_size: 0
    .sgpr_count:     40
    .sgpr_spill_count: 0
    .symbol:         _ZN5aiter35fused_qk_rmsnorm_group_quant_kernelItDB8_Li128ELi8ELi16ELb0ELb1ELb1ELb0ELb0ELb0EEEvPT0_PvPT_S6_S6_PKS5_S8_S8_S8_S8_ffiiiiiiiiiiiii.kd
    .uniform_work_group_size: 1
    .uses_dynamic_stack: false
    .vgpr_count:     23
    .vgpr_spill_count: 0
    .wavefront_size: 64
  - .agpr_count:     0
    .args:
      - .actual_access:  write_only
        .address_space:  global
        .offset:         0
        .size:           8
        .value_kind:     global_buffer
      - .actual_access:  write_only
        .address_space:  global
        .offset:         8
        .size:           8
        .value_kind:     global_buffer
      - .actual_access:  write_only
        .address_space:  global
        .offset:         16
        .size:           8
        .value_kind:     global_buffer
      - .actual_access:  write_only
        .address_space:  global
        .offset:         24
        .size:           8
        .value_kind:     global_buffer
      - .actual_access:  read_only
        .address_space:  global
        .offset:         32
        .size:           8
        .value_kind:     global_buffer
      - .actual_access:  read_only
        .address_space:  global
        .offset:         40
        .size:           8
        .value_kind:     global_buffer
      - .actual_access:  read_only
        .address_space:  global
        .offset:         48
        .size:           8
        .value_kind:     global_buffer
      - .actual_access:  read_only
        .address_space:  global
        .offset:         56
        .size:           8
        .value_kind:     global_buffer
      - .actual_access:  read_only
        .address_space:  global
        .offset:         64
        .size:           8
        .value_kind:     global_buffer
      - .actual_access:  read_only
        .address_space:  global
        .offset:         72
        .size:           8
        .value_kind:     global_buffer
      - .offset:         80
        .size:           4
        .value_kind:     by_value
      - .offset:         84
        .size:           4
        .value_kind:     by_value
      - .offset:         88
        .size:           4
        .value_kind:     by_value
      - .offset:         92
        .size:           4
        .value_kind:     by_value
      - .offset:         96
        .size:           4
        .value_kind:     by_value
      - .offset:         100
        .size:           4
        .value_kind:     by_value
      - .offset:         104
        .size:           4
        .value_kind:     by_value
      - .offset:         108
        .size:           4
        .value_kind:     by_value
      - .offset:         112
        .size:           4
        .value_kind:     by_value
      - .offset:         116
        .size:           4
        .value_kind:     by_value
      - .offset:         120
        .size:           4
        .value_kind:     by_value
      - .offset:         124
        .size:           4
        .value_kind:     by_value
      - .offset:         128
        .size:           4
        .value_kind:     by_value
      - .offset:         132
        .size:           4
        .value_kind:     by_value
      - .offset:         136
        .size:           4
        .value_kind:     by_value
      - .offset:         144
        .size:           4
        .value_kind:     hidden_block_count_x
      - .offset:         148
        .size:           4
        .value_kind:     hidden_block_count_y
      - .offset:         152
        .size:           4
        .value_kind:     hidden_block_count_z
      - .offset:         156
        .size:           2
        .value_kind:     hidden_group_size_x
      - .offset:         158
        .size:           2
        .value_kind:     hidden_group_size_y
      - .offset:         160
        .size:           2
        .value_kind:     hidden_group_size_z
      - .offset:         162
        .size:           2
        .value_kind:     hidden_remainder_x
      - .offset:         164
        .size:           2
        .value_kind:     hidden_remainder_y
      - .offset:         166
        .size:           2
        .value_kind:     hidden_remainder_z
      - .offset:         184
        .size:           8
        .value_kind:     hidden_global_offset_x
      - .offset:         192
        .size:           8
        .value_kind:     hidden_global_offset_y
      - .offset:         200
        .size:           8
        .value_kind:     hidden_global_offset_z
      - .offset:         208
        .size:           2
        .value_kind:     hidden_grid_dims
    .group_segment_fixed_size: 16
    .kernarg_segment_align: 8
    .kernarg_segment_size: 400
    .language:       OpenCL C
    .language_version:
      - 2
      - 0
    .max_flat_workgroup_size: 1024
    .name:           _ZN5aiter35fused_qk_rmsnorm_group_quant_kernelIDF16_N4opus5fp4_tELi128ELi8ELi16ELb0ELb1ELb1ELb0ELb0ELb0EEEvPT0_PvPT_S7_S7_PKS6_S9_S9_S9_S9_ffiiiiiiiiiiiii
    .private_segment_fixed_size: 0
    .sgpr_count:     40
    .sgpr_spill_count: 0
    .symbol:         _ZN5aiter35fused_qk_rmsnorm_group_quant_kernelIDF16_N4opus5fp4_tELi128ELi8ELi16ELb0ELb1ELb1ELb0ELb0ELb0EEEvPT0_PvPT_S7_S7_PKS6_S9_S9_S9_S9_ffiiiiiiiiiiiii.kd
    .uniform_work_group_size: 1
    .uses_dynamic_stack: false
    .vgpr_count:     23
    .vgpr_spill_count: 0
    .wavefront_size: 64
  - .agpr_count:     0
    .args:
      - .actual_access:  write_only
        .address_space:  global
        .offset:         0
        .size:           8
        .value_kind:     global_buffer
      - .actual_access:  write_only
        .address_space:  global
        .offset:         8
        .size:           8
        .value_kind:     global_buffer
      - .actual_access:  write_only
        .address_space:  global
        .offset:         16
        .size:           8
        .value_kind:     global_buffer
      - .actual_access:  write_only
        .address_space:  global
        .offset:         24
        .size:           8
        .value_kind:     global_buffer
      - .actual_access:  read_only
        .address_space:  global
        .offset:         32
        .size:           8
        .value_kind:     global_buffer
      - .actual_access:  read_only
        .address_space:  global
        .offset:         40
        .size:           8
        .value_kind:     global_buffer
      - .actual_access:  read_only
        .address_space:  global
        .offset:         48
        .size:           8
        .value_kind:     global_buffer
      - .actual_access:  read_only
        .address_space:  global
        .offset:         56
        .size:           8
        .value_kind:     global_buffer
      - .actual_access:  read_only
        .address_space:  global
        .offset:         64
        .size:           8
        .value_kind:     global_buffer
      - .actual_access:  read_only
        .address_space:  global
        .offset:         72
        .size:           8
        .value_kind:     global_buffer
      - .offset:         80
        .size:           4
        .value_kind:     by_value
      - .offset:         84
        .size:           4
        .value_kind:     by_value
      - .offset:         88
        .size:           4
        .value_kind:     by_value
      - .offset:         92
        .size:           4
        .value_kind:     by_value
      - .offset:         96
        .size:           4
        .value_kind:     by_value
      - .offset:         100
        .size:           4
        .value_kind:     by_value
      - .offset:         104
        .size:           4
        .value_kind:     by_value
      - .offset:         108
        .size:           4
        .value_kind:     by_value
      - .offset:         112
        .size:           4
        .value_kind:     by_value
      - .offset:         116
        .size:           4
        .value_kind:     by_value
      - .offset:         120
        .size:           4
        .value_kind:     by_value
      - .offset:         124
        .size:           4
        .value_kind:     by_value
      - .offset:         128
        .size:           4
        .value_kind:     by_value
      - .offset:         132
        .size:           4
        .value_kind:     by_value
      - .offset:         136
        .size:           4
        .value_kind:     by_value
      - .offset:         144
        .size:           4
        .value_kind:     hidden_block_count_x
      - .offset:         148
        .size:           4
        .value_kind:     hidden_block_count_y
      - .offset:         152
        .size:           4
        .value_kind:     hidden_block_count_z
      - .offset:         156
        .size:           2
        .value_kind:     hidden_group_size_x
      - .offset:         158
        .size:           2
        .value_kind:     hidden_group_size_y
      - .offset:         160
        .size:           2
        .value_kind:     hidden_group_size_z
      - .offset:         162
        .size:           2
        .value_kind:     hidden_remainder_x
      - .offset:         164
        .size:           2
        .value_kind:     hidden_remainder_y
      - .offset:         166
        .size:           2
        .value_kind:     hidden_remainder_z
      - .offset:         184
        .size:           8
        .value_kind:     hidden_global_offset_x
      - .offset:         192
        .size:           8
        .value_kind:     hidden_global_offset_y
      - .offset:         200
        .size:           8
        .value_kind:     hidden_global_offset_z
      - .offset:         208
        .size:           2
        .value_kind:     hidden_grid_dims
    .group_segment_fixed_size: 16
    .kernarg_segment_align: 8
    .kernarg_segment_size: 400
    .language:       OpenCL C
    .language_version:
      - 2
      - 0
    .max_flat_workgroup_size: 1024
    .name:           _ZN5aiter35fused_qk_rmsnorm_group_quant_kernelItN4opus5fp4_tELi128ELi8ELi16ELb0ELb1ELb1ELb0ELb0ELb0EEEvPT0_PvPT_S7_S7_PKS6_S9_S9_S9_S9_ffiiiiiiiiiiiii
    .private_segment_fixed_size: 0
    .sgpr_count:     40
    .sgpr_spill_count: 0
    .symbol:         _ZN5aiter35fused_qk_rmsnorm_group_quant_kernelItN4opus5fp4_tELi128ELi8ELi16ELb0ELb1ELb1ELb0ELb0ELb0EEEvPT0_PvPT_S7_S7_PKS6_S9_S9_S9_S9_ffiiiiiiiiiiiii.kd
    .uniform_work_group_size: 1
    .uses_dynamic_stack: false
    .vgpr_count:     23
    .vgpr_spill_count: 0
    .wavefront_size: 64
  - .agpr_count:     0
    .args:
      - .actual_access:  write_only
        .address_space:  global
        .offset:         0
        .size:           8
        .value_kind:     global_buffer
      - .actual_access:  write_only
        .address_space:  global
        .offset:         8
        .size:           8
        .value_kind:     global_buffer
      - .actual_access:  write_only
        .address_space:  global
        .offset:         16
        .size:           8
        .value_kind:     global_buffer
      - .actual_access:  write_only
        .address_space:  global
        .offset:         24
        .size:           8
        .value_kind:     global_buffer
      - .actual_access:  read_only
        .address_space:  global
        .offset:         32
        .size:           8
        .value_kind:     global_buffer
      - .actual_access:  read_only
        .address_space:  global
        .offset:         40
        .size:           8
        .value_kind:     global_buffer
      - .actual_access:  read_only
        .address_space:  global
        .offset:         48
        .size:           8
        .value_kind:     global_buffer
      - .actual_access:  read_only
        .address_space:  global
        .offset:         56
        .size:           8
        .value_kind:     global_buffer
      - .actual_access:  read_only
        .address_space:  global
        .offset:         64
        .size:           8
        .value_kind:     global_buffer
      - .actual_access:  read_only
        .address_space:  global
        .offset:         72
        .size:           8
        .value_kind:     global_buffer
      - .offset:         80
        .size:           4
        .value_kind:     by_value
      - .offset:         84
        .size:           4
        .value_kind:     by_value
      - .offset:         88
        .size:           4
        .value_kind:     by_value
      - .offset:         92
        .size:           4
        .value_kind:     by_value
      - .offset:         96
        .size:           4
        .value_kind:     by_value
      - .offset:         100
        .size:           4
        .value_kind:     by_value
      - .offset:         104
        .size:           4
        .value_kind:     by_value
      - .offset:         108
        .size:           4
        .value_kind:     by_value
      - .offset:         112
        .size:           4
        .value_kind:     by_value
      - .offset:         116
        .size:           4
        .value_kind:     by_value
      - .offset:         120
        .size:           4
        .value_kind:     by_value
      - .offset:         124
        .size:           4
        .value_kind:     by_value
      - .offset:         128
        .size:           4
        .value_kind:     by_value
      - .offset:         132
        .size:           4
        .value_kind:     by_value
      - .offset:         136
        .size:           4
        .value_kind:     by_value
      - .offset:         144
        .size:           4
        .value_kind:     hidden_block_count_x
      - .offset:         148
        .size:           4
        .value_kind:     hidden_block_count_y
      - .offset:         152
        .size:           4
        .value_kind:     hidden_block_count_z
      - .offset:         156
        .size:           2
        .value_kind:     hidden_group_size_x
      - .offset:         158
        .size:           2
        .value_kind:     hidden_group_size_y
      - .offset:         160
        .size:           2
        .value_kind:     hidden_group_size_z
      - .offset:         162
        .size:           2
        .value_kind:     hidden_remainder_x
      - .offset:         164
        .size:           2
        .value_kind:     hidden_remainder_y
      - .offset:         166
        .size:           2
        .value_kind:     hidden_remainder_z
      - .offset:         184
        .size:           8
        .value_kind:     hidden_global_offset_x
      - .offset:         192
        .size:           8
        .value_kind:     hidden_global_offset_y
      - .offset:         200
        .size:           8
        .value_kind:     hidden_global_offset_z
      - .offset:         208
        .size:           2
        .value_kind:     hidden_grid_dims
    .group_segment_fixed_size: 16
    .kernarg_segment_align: 8
    .kernarg_segment_size: 400
    .language:       OpenCL C
    .language_version:
      - 2
      - 0
    .max_flat_workgroup_size: 1024
    .name:           _ZN5aiter35fused_qk_rmsnorm_group_quant_kernelIDF16_DB8_Li128ELi8ELi16ELb0ELb1ELb0ELb0ELb0ELb0EEEvPT0_PvPT_S6_S6_PKS5_S8_S8_S8_S8_ffiiiiiiiiiiiii
    .private_segment_fixed_size: 0
    .sgpr_count:     40
    .sgpr_spill_count: 0
    .symbol:         _ZN5aiter35fused_qk_rmsnorm_group_quant_kernelIDF16_DB8_Li128ELi8ELi16ELb0ELb1ELb0ELb0ELb0ELb0EEEvPT0_PvPT_S6_S6_PKS5_S8_S8_S8_S8_ffiiiiiiiiiiiii.kd
    .uniform_work_group_size: 1
    .uses_dynamic_stack: false
    .vgpr_count:     23
    .vgpr_spill_count: 0
    .wavefront_size: 64
  - .agpr_count:     0
    .args:
      - .actual_access:  write_only
        .address_space:  global
        .offset:         0
        .size:           8
        .value_kind:     global_buffer
      - .actual_access:  write_only
        .address_space:  global
        .offset:         8
        .size:           8
        .value_kind:     global_buffer
      - .actual_access:  write_only
        .address_space:  global
        .offset:         16
        .size:           8
        .value_kind:     global_buffer
      - .actual_access:  write_only
        .address_space:  global
        .offset:         24
        .size:           8
        .value_kind:     global_buffer
      - .actual_access:  read_only
        .address_space:  global
        .offset:         32
        .size:           8
        .value_kind:     global_buffer
      - .actual_access:  read_only
        .address_space:  global
        .offset:         40
        .size:           8
        .value_kind:     global_buffer
      - .actual_access:  read_only
        .address_space:  global
        .offset:         48
        .size:           8
        .value_kind:     global_buffer
      - .actual_access:  read_only
        .address_space:  global
        .offset:         56
        .size:           8
        .value_kind:     global_buffer
      - .actual_access:  read_only
        .address_space:  global
        .offset:         64
        .size:           8
        .value_kind:     global_buffer
      - .actual_access:  read_only
        .address_space:  global
        .offset:         72
        .size:           8
        .value_kind:     global_buffer
      - .offset:         80
        .size:           4
        .value_kind:     by_value
      - .offset:         84
        .size:           4
        .value_kind:     by_value
      - .offset:         88
        .size:           4
        .value_kind:     by_value
      - .offset:         92
        .size:           4
        .value_kind:     by_value
      - .offset:         96
        .size:           4
        .value_kind:     by_value
      - .offset:         100
        .size:           4
        .value_kind:     by_value
      - .offset:         104
        .size:           4
        .value_kind:     by_value
      - .offset:         108
        .size:           4
        .value_kind:     by_value
      - .offset:         112
        .size:           4
        .value_kind:     by_value
      - .offset:         116
        .size:           4
        .value_kind:     by_value
      - .offset:         120
        .size:           4
        .value_kind:     by_value
      - .offset:         124
        .size:           4
        .value_kind:     by_value
      - .offset:         128
        .size:           4
        .value_kind:     by_value
      - .offset:         132
        .size:           4
        .value_kind:     by_value
      - .offset:         136
        .size:           4
        .value_kind:     by_value
      - .offset:         144
        .size:           4
        .value_kind:     hidden_block_count_x
      - .offset:         148
        .size:           4
        .value_kind:     hidden_block_count_y
      - .offset:         152
        .size:           4
        .value_kind:     hidden_block_count_z
      - .offset:         156
        .size:           2
        .value_kind:     hidden_group_size_x
      - .offset:         158
        .size:           2
        .value_kind:     hidden_group_size_y
      - .offset:         160
        .size:           2
        .value_kind:     hidden_group_size_z
      - .offset:         162
        .size:           2
        .value_kind:     hidden_remainder_x
      - .offset:         164
        .size:           2
        .value_kind:     hidden_remainder_y
      - .offset:         166
        .size:           2
        .value_kind:     hidden_remainder_z
      - .offset:         184
        .size:           8
        .value_kind:     hidden_global_offset_x
      - .offset:         192
        .size:           8
        .value_kind:     hidden_global_offset_y
      - .offset:         200
        .size:           8
        .value_kind:     hidden_global_offset_z
      - .offset:         208
        .size:           2
        .value_kind:     hidden_grid_dims
    .group_segment_fixed_size: 16
    .kernarg_segment_align: 8
    .kernarg_segment_size: 400
    .language:       OpenCL C
    .language_version:
      - 2
      - 0
    .max_flat_workgroup_size: 1024
    .name:           _ZN5aiter35fused_qk_rmsnorm_group_quant_kernelItDB8_Li128ELi8ELi16ELb0ELb1ELb0ELb0ELb0ELb0EEEvPT0_PvPT_S6_S6_PKS5_S8_S8_S8_S8_ffiiiiiiiiiiiii
    .private_segment_fixed_size: 0
    .sgpr_count:     40
    .sgpr_spill_count: 0
    .symbol:         _ZN5aiter35fused_qk_rmsnorm_group_quant_kernelItDB8_Li128ELi8ELi16ELb0ELb1ELb0ELb0ELb0ELb0EEEvPT0_PvPT_S6_S6_PKS5_S8_S8_S8_S8_ffiiiiiiiiiiiii.kd
    .uniform_work_group_size: 1
    .uses_dynamic_stack: false
    .vgpr_count:     23
    .vgpr_spill_count: 0
    .wavefront_size: 64
  - .agpr_count:     0
    .args:
      - .actual_access:  write_only
        .address_space:  global
        .offset:         0
        .size:           8
        .value_kind:     global_buffer
      - .actual_access:  write_only
        .address_space:  global
        .offset:         8
        .size:           8
        .value_kind:     global_buffer
      - .actual_access:  write_only
        .address_space:  global
        .offset:         16
        .size:           8
        .value_kind:     global_buffer
      - .actual_access:  write_only
        .address_space:  global
        .offset:         24
        .size:           8
        .value_kind:     global_buffer
      - .actual_access:  read_only
        .address_space:  global
        .offset:         32
        .size:           8
        .value_kind:     global_buffer
      - .actual_access:  read_only
        .address_space:  global
        .offset:         40
        .size:           8
        .value_kind:     global_buffer
      - .actual_access:  read_only
        .address_space:  global
        .offset:         48
        .size:           8
        .value_kind:     global_buffer
      - .actual_access:  read_only
        .address_space:  global
        .offset:         56
        .size:           8
        .value_kind:     global_buffer
      - .actual_access:  read_only
        .address_space:  global
        .offset:         64
        .size:           8
        .value_kind:     global_buffer
      - .actual_access:  read_only
        .address_space:  global
        .offset:         72
        .size:           8
        .value_kind:     global_buffer
      - .offset:         80
        .size:           4
        .value_kind:     by_value
      - .offset:         84
        .size:           4
        .value_kind:     by_value
      - .offset:         88
        .size:           4
        .value_kind:     by_value
      - .offset:         92
        .size:           4
        .value_kind:     by_value
      - .offset:         96
        .size:           4
        .value_kind:     by_value
      - .offset:         100
        .size:           4
        .value_kind:     by_value
      - .offset:         104
        .size:           4
        .value_kind:     by_value
      - .offset:         108
        .size:           4
        .value_kind:     by_value
      - .offset:         112
        .size:           4
        .value_kind:     by_value
      - .offset:         116
        .size:           4
        .value_kind:     by_value
      - .offset:         120
        .size:           4
        .value_kind:     by_value
      - .offset:         124
        .size:           4
        .value_kind:     by_value
      - .offset:         128
        .size:           4
        .value_kind:     by_value
      - .offset:         132
        .size:           4
        .value_kind:     by_value
      - .offset:         136
        .size:           4
        .value_kind:     by_value
      - .offset:         144
        .size:           4
        .value_kind:     hidden_block_count_x
      - .offset:         148
        .size:           4
        .value_kind:     hidden_block_count_y
      - .offset:         152
        .size:           4
        .value_kind:     hidden_block_count_z
      - .offset:         156
        .size:           2
        .value_kind:     hidden_group_size_x
      - .offset:         158
        .size:           2
        .value_kind:     hidden_group_size_y
      - .offset:         160
        .size:           2
        .value_kind:     hidden_group_size_z
      - .offset:         162
        .size:           2
        .value_kind:     hidden_remainder_x
      - .offset:         164
        .size:           2
        .value_kind:     hidden_remainder_y
      - .offset:         166
        .size:           2
        .value_kind:     hidden_remainder_z
      - .offset:         184
        .size:           8
        .value_kind:     hidden_global_offset_x
      - .offset:         192
        .size:           8
        .value_kind:     hidden_global_offset_y
      - .offset:         200
        .size:           8
        .value_kind:     hidden_global_offset_z
      - .offset:         208
        .size:           2
        .value_kind:     hidden_grid_dims
    .group_segment_fixed_size: 16
    .kernarg_segment_align: 8
    .kernarg_segment_size: 400
    .language:       OpenCL C
    .language_version:
      - 2
      - 0
    .max_flat_workgroup_size: 1024
    .name:           _ZN5aiter35fused_qk_rmsnorm_group_quant_kernelIDF16_N4opus5fp4_tELi128ELi8ELi16ELb0ELb1ELb0ELb0ELb0ELb0EEEvPT0_PvPT_S7_S7_PKS6_S9_S9_S9_S9_ffiiiiiiiiiiiii
    .private_segment_fixed_size: 0
    .sgpr_count:     40
    .sgpr_spill_count: 0
    .symbol:         _ZN5aiter35fused_qk_rmsnorm_group_quant_kernelIDF16_N4opus5fp4_tELi128ELi8ELi16ELb0ELb1ELb0ELb0ELb0ELb0EEEvPT0_PvPT_S7_S7_PKS6_S9_S9_S9_S9_ffiiiiiiiiiiiii.kd
    .uniform_work_group_size: 1
    .uses_dynamic_stack: false
    .vgpr_count:     23
    .vgpr_spill_count: 0
    .wavefront_size: 64
  - .agpr_count:     0
    .args:
      - .actual_access:  write_only
        .address_space:  global
        .offset:         0
        .size:           8
        .value_kind:     global_buffer
      - .actual_access:  write_only
        .address_space:  global
        .offset:         8
        .size:           8
        .value_kind:     global_buffer
      - .actual_access:  write_only
        .address_space:  global
        .offset:         16
        .size:           8
        .value_kind:     global_buffer
      - .actual_access:  write_only
        .address_space:  global
        .offset:         24
        .size:           8
        .value_kind:     global_buffer
      - .actual_access:  read_only
        .address_space:  global
        .offset:         32
        .size:           8
        .value_kind:     global_buffer
      - .actual_access:  read_only
        .address_space:  global
        .offset:         40
        .size:           8
        .value_kind:     global_buffer
      - .actual_access:  read_only
        .address_space:  global
        .offset:         48
        .size:           8
        .value_kind:     global_buffer
      - .actual_access:  read_only
        .address_space:  global
        .offset:         56
        .size:           8
        .value_kind:     global_buffer
      - .actual_access:  read_only
        .address_space:  global
        .offset:         64
        .size:           8
        .value_kind:     global_buffer
      - .actual_access:  read_only
        .address_space:  global
        .offset:         72
        .size:           8
        .value_kind:     global_buffer
      - .offset:         80
        .size:           4
        .value_kind:     by_value
      - .offset:         84
        .size:           4
        .value_kind:     by_value
      - .offset:         88
        .size:           4
        .value_kind:     by_value
      - .offset:         92
        .size:           4
        .value_kind:     by_value
      - .offset:         96
        .size:           4
        .value_kind:     by_value
      - .offset:         100
        .size:           4
        .value_kind:     by_value
      - .offset:         104
        .size:           4
        .value_kind:     by_value
      - .offset:         108
        .size:           4
        .value_kind:     by_value
      - .offset:         112
        .size:           4
        .value_kind:     by_value
      - .offset:         116
        .size:           4
        .value_kind:     by_value
      - .offset:         120
        .size:           4
        .value_kind:     by_value
      - .offset:         124
        .size:           4
        .value_kind:     by_value
      - .offset:         128
        .size:           4
        .value_kind:     by_value
      - .offset:         132
        .size:           4
        .value_kind:     by_value
      - .offset:         136
        .size:           4
        .value_kind:     by_value
      - .offset:         144
        .size:           4
        .value_kind:     hidden_block_count_x
      - .offset:         148
        .size:           4
        .value_kind:     hidden_block_count_y
      - .offset:         152
        .size:           4
        .value_kind:     hidden_block_count_z
      - .offset:         156
        .size:           2
        .value_kind:     hidden_group_size_x
      - .offset:         158
        .size:           2
        .value_kind:     hidden_group_size_y
      - .offset:         160
        .size:           2
        .value_kind:     hidden_group_size_z
      - .offset:         162
        .size:           2
        .value_kind:     hidden_remainder_x
      - .offset:         164
        .size:           2
        .value_kind:     hidden_remainder_y
      - .offset:         166
        .size:           2
        .value_kind:     hidden_remainder_z
      - .offset:         184
        .size:           8
        .value_kind:     hidden_global_offset_x
      - .offset:         192
        .size:           8
        .value_kind:     hidden_global_offset_y
      - .offset:         200
        .size:           8
        .value_kind:     hidden_global_offset_z
      - .offset:         208
        .size:           2
        .value_kind:     hidden_grid_dims
    .group_segment_fixed_size: 16
    .kernarg_segment_align: 8
    .kernarg_segment_size: 400
    .language:       OpenCL C
    .language_version:
      - 2
      - 0
    .max_flat_workgroup_size: 1024
    .name:           _ZN5aiter35fused_qk_rmsnorm_group_quant_kernelItN4opus5fp4_tELi128ELi8ELi16ELb0ELb1ELb0ELb0ELb0ELb0EEEvPT0_PvPT_S7_S7_PKS6_S9_S9_S9_S9_ffiiiiiiiiiiiii
    .private_segment_fixed_size: 0
    .sgpr_count:     40
    .sgpr_spill_count: 0
    .symbol:         _ZN5aiter35fused_qk_rmsnorm_group_quant_kernelItN4opus5fp4_tELi128ELi8ELi16ELb0ELb1ELb0ELb0ELb0ELb0EEEvPT0_PvPT_S7_S7_PKS6_S9_S9_S9_S9_ffiiiiiiiiiiiii.kd
    .uniform_work_group_size: 1
    .uses_dynamic_stack: false
    .vgpr_count:     23
    .vgpr_spill_count: 0
    .wavefront_size: 64
  - .agpr_count:     0
    .args:
      - .actual_access:  write_only
        .address_space:  global
        .offset:         0
        .size:           8
        .value_kind:     global_buffer
      - .actual_access:  write_only
        .address_space:  global
        .offset:         8
        .size:           8
        .value_kind:     global_buffer
      - .actual_access:  read_only
        .address_space:  global
        .offset:         16
        .size:           8
        .value_kind:     global_buffer
      - .actual_access:  write_only
        .address_space:  global
        .offset:         24
        .size:           8
        .value_kind:     global_buffer
      - .actual_access:  read_only
        .address_space:  global
        .offset:         32
        .size:           8
        .value_kind:     global_buffer
      - .actual_access:  read_only
        .address_space:  global
        .offset:         40
        .size:           8
        .value_kind:     global_buffer
      - .actual_access:  read_only
        .address_space:  global
        .offset:         48
        .size:           8
        .value_kind:     global_buffer
      - .actual_access:  read_only
        .address_space:  global
        .offset:         56
        .size:           8
        .value_kind:     global_buffer
      - .actual_access:  read_only
        .address_space:  global
        .offset:         64
        .size:           8
        .value_kind:     global_buffer
      - .actual_access:  read_only
        .address_space:  global
        .offset:         72
        .size:           8
        .value_kind:     global_buffer
      - .offset:         80
        .size:           4
        .value_kind:     by_value
      - .offset:         84
        .size:           4
        .value_kind:     by_value
      - .offset:         88
        .size:           4
        .value_kind:     by_value
      - .offset:         92
        .size:           4
        .value_kind:     by_value
      - .offset:         96
        .size:           4
        .value_kind:     by_value
      - .offset:         100
        .size:           4
        .value_kind:     by_value
      - .offset:         104
        .size:           4
        .value_kind:     by_value
      - .offset:         108
        .size:           4
        .value_kind:     by_value
      - .offset:         112
        .size:           4
        .value_kind:     by_value
      - .offset:         116
        .size:           4
        .value_kind:     by_value
      - .offset:         120
        .size:           4
        .value_kind:     by_value
      - .offset:         124
        .size:           4
        .value_kind:     by_value
      - .offset:         128
        .size:           4
        .value_kind:     by_value
      - .offset:         132
        .size:           4
        .value_kind:     by_value
      - .offset:         136
        .size:           4
        .value_kind:     by_value
      - .offset:         144
        .size:           4
        .value_kind:     hidden_block_count_x
      - .offset:         148
        .size:           4
        .value_kind:     hidden_block_count_y
      - .offset:         152
        .size:           4
        .value_kind:     hidden_block_count_z
      - .offset:         156
        .size:           2
        .value_kind:     hidden_group_size_x
      - .offset:         158
        .size:           2
        .value_kind:     hidden_group_size_y
      - .offset:         160
        .size:           2
        .value_kind:     hidden_group_size_z
      - .offset:         162
        .size:           2
        .value_kind:     hidden_remainder_x
      - .offset:         164
        .size:           2
        .value_kind:     hidden_remainder_y
      - .offset:         166
        .size:           2
        .value_kind:     hidden_remainder_z
      - .offset:         184
        .size:           8
        .value_kind:     hidden_global_offset_x
      - .offset:         192
        .size:           8
        .value_kind:     hidden_global_offset_y
      - .offset:         200
        .size:           8
        .value_kind:     hidden_global_offset_z
      - .offset:         208
        .size:           2
        .value_kind:     hidden_grid_dims
    .group_segment_fixed_size: 16
    .kernarg_segment_align: 8
    .kernarg_segment_size: 400
    .language:       OpenCL C
    .language_version:
      - 2
      - 0
    .max_flat_workgroup_size: 1024
    .name:           _ZN5aiter35fused_qk_rmsnorm_group_quant_kernelIDF16_DB8_Li128ELi8ELi16ELb0ELb0ELb1ELb0ELb0ELb0EEEvPT0_PvPT_S6_S6_PKS5_S8_S8_S8_S8_ffiiiiiiiiiiiii
    .private_segment_fixed_size: 0
    .sgpr_count:     36
    .sgpr_spill_count: 0
    .symbol:         _ZN5aiter35fused_qk_rmsnorm_group_quant_kernelIDF16_DB8_Li128ELi8ELi16ELb0ELb0ELb1ELb0ELb0ELb0EEEvPT0_PvPT_S6_S6_PKS5_S8_S8_S8_S8_ffiiiiiiiiiiiii.kd
    .uniform_work_group_size: 1
    .uses_dynamic_stack: false
    .vgpr_count:     23
    .vgpr_spill_count: 0
    .wavefront_size: 64
  - .agpr_count:     0
    .args:
      - .actual_access:  write_only
        .address_space:  global
        .offset:         0
        .size:           8
        .value_kind:     global_buffer
      - .actual_access:  write_only
        .address_space:  global
        .offset:         8
        .size:           8
        .value_kind:     global_buffer
      - .actual_access:  read_only
        .address_space:  global
        .offset:         16
        .size:           8
        .value_kind:     global_buffer
      - .actual_access:  write_only
        .address_space:  global
        .offset:         24
        .size:           8
        .value_kind:     global_buffer
      - .actual_access:  read_only
        .address_space:  global
        .offset:         32
        .size:           8
        .value_kind:     global_buffer
      - .actual_access:  read_only
        .address_space:  global
        .offset:         40
        .size:           8
        .value_kind:     global_buffer
      - .actual_access:  read_only
        .address_space:  global
        .offset:         48
        .size:           8
        .value_kind:     global_buffer
      - .actual_access:  read_only
        .address_space:  global
        .offset:         56
        .size:           8
        .value_kind:     global_buffer
      - .actual_access:  read_only
        .address_space:  global
        .offset:         64
        .size:           8
        .value_kind:     global_buffer
      - .actual_access:  read_only
        .address_space:  global
        .offset:         72
        .size:           8
        .value_kind:     global_buffer
      - .offset:         80
        .size:           4
        .value_kind:     by_value
      - .offset:         84
        .size:           4
        .value_kind:     by_value
      - .offset:         88
        .size:           4
        .value_kind:     by_value
      - .offset:         92
        .size:           4
        .value_kind:     by_value
      - .offset:         96
        .size:           4
        .value_kind:     by_value
      - .offset:         100
        .size:           4
        .value_kind:     by_value
      - .offset:         104
        .size:           4
        .value_kind:     by_value
      - .offset:         108
        .size:           4
        .value_kind:     by_value
      - .offset:         112
        .size:           4
        .value_kind:     by_value
      - .offset:         116
        .size:           4
        .value_kind:     by_value
      - .offset:         120
        .size:           4
        .value_kind:     by_value
      - .offset:         124
        .size:           4
        .value_kind:     by_value
      - .offset:         128
        .size:           4
        .value_kind:     by_value
      - .offset:         132
        .size:           4
        .value_kind:     by_value
      - .offset:         136
        .size:           4
        .value_kind:     by_value
      - .offset:         144
        .size:           4
        .value_kind:     hidden_block_count_x
      - .offset:         148
        .size:           4
        .value_kind:     hidden_block_count_y
      - .offset:         152
        .size:           4
        .value_kind:     hidden_block_count_z
      - .offset:         156
        .size:           2
        .value_kind:     hidden_group_size_x
      - .offset:         158
        .size:           2
        .value_kind:     hidden_group_size_y
      - .offset:         160
        .size:           2
        .value_kind:     hidden_group_size_z
      - .offset:         162
        .size:           2
        .value_kind:     hidden_remainder_x
      - .offset:         164
        .size:           2
        .value_kind:     hidden_remainder_y
      - .offset:         166
        .size:           2
        .value_kind:     hidden_remainder_z
      - .offset:         184
        .size:           8
        .value_kind:     hidden_global_offset_x
      - .offset:         192
        .size:           8
        .value_kind:     hidden_global_offset_y
      - .offset:         200
        .size:           8
        .value_kind:     hidden_global_offset_z
      - .offset:         208
        .size:           2
        .value_kind:     hidden_grid_dims
    .group_segment_fixed_size: 16
    .kernarg_segment_align: 8
    .kernarg_segment_size: 400
    .language:       OpenCL C
    .language_version:
      - 2
      - 0
    .max_flat_workgroup_size: 1024
    .name:           _ZN5aiter35fused_qk_rmsnorm_group_quant_kernelItDB8_Li128ELi8ELi16ELb0ELb0ELb1ELb0ELb0ELb0EEEvPT0_PvPT_S6_S6_PKS5_S8_S8_S8_S8_ffiiiiiiiiiiiii
    .private_segment_fixed_size: 0
    .sgpr_count:     36
    .sgpr_spill_count: 0
    .symbol:         _ZN5aiter35fused_qk_rmsnorm_group_quant_kernelItDB8_Li128ELi8ELi16ELb0ELb0ELb1ELb0ELb0ELb0EEEvPT0_PvPT_S6_S6_PKS5_S8_S8_S8_S8_ffiiiiiiiiiiiii.kd
    .uniform_work_group_size: 1
    .uses_dynamic_stack: false
    .vgpr_count:     23
    .vgpr_spill_count: 0
    .wavefront_size: 64
  - .agpr_count:     0
    .args:
      - .actual_access:  write_only
        .address_space:  global
        .offset:         0
        .size:           8
        .value_kind:     global_buffer
      - .actual_access:  write_only
        .address_space:  global
        .offset:         8
        .size:           8
        .value_kind:     global_buffer
      - .actual_access:  read_only
        .address_space:  global
        .offset:         16
        .size:           8
        .value_kind:     global_buffer
      - .actual_access:  write_only
        .address_space:  global
        .offset:         24
        .size:           8
        .value_kind:     global_buffer
      - .actual_access:  read_only
        .address_space:  global
        .offset:         32
        .size:           8
        .value_kind:     global_buffer
      - .actual_access:  read_only
        .address_space:  global
        .offset:         40
        .size:           8
        .value_kind:     global_buffer
      - .actual_access:  read_only
        .address_space:  global
        .offset:         48
        .size:           8
        .value_kind:     global_buffer
      - .actual_access:  read_only
        .address_space:  global
        .offset:         56
        .size:           8
        .value_kind:     global_buffer
      - .actual_access:  read_only
        .address_space:  global
        .offset:         64
        .size:           8
        .value_kind:     global_buffer
      - .actual_access:  read_only
        .address_space:  global
        .offset:         72
        .size:           8
        .value_kind:     global_buffer
      - .offset:         80
        .size:           4
        .value_kind:     by_value
      - .offset:         84
        .size:           4
        .value_kind:     by_value
      - .offset:         88
        .size:           4
        .value_kind:     by_value
      - .offset:         92
        .size:           4
        .value_kind:     by_value
      - .offset:         96
        .size:           4
        .value_kind:     by_value
      - .offset:         100
        .size:           4
        .value_kind:     by_value
      - .offset:         104
        .size:           4
        .value_kind:     by_value
      - .offset:         108
        .size:           4
        .value_kind:     by_value
      - .offset:         112
        .size:           4
        .value_kind:     by_value
      - .offset:         116
        .size:           4
        .value_kind:     by_value
      - .offset:         120
        .size:           4
        .value_kind:     by_value
      - .offset:         124
        .size:           4
        .value_kind:     by_value
      - .offset:         128
        .size:           4
        .value_kind:     by_value
      - .offset:         132
        .size:           4
        .value_kind:     by_value
      - .offset:         136
        .size:           4
        .value_kind:     by_value
      - .offset:         144
        .size:           4
        .value_kind:     hidden_block_count_x
      - .offset:         148
        .size:           4
        .value_kind:     hidden_block_count_y
      - .offset:         152
        .size:           4
        .value_kind:     hidden_block_count_z
      - .offset:         156
        .size:           2
        .value_kind:     hidden_group_size_x
      - .offset:         158
        .size:           2
        .value_kind:     hidden_group_size_y
      - .offset:         160
        .size:           2
        .value_kind:     hidden_group_size_z
      - .offset:         162
        .size:           2
        .value_kind:     hidden_remainder_x
      - .offset:         164
        .size:           2
        .value_kind:     hidden_remainder_y
      - .offset:         166
        .size:           2
        .value_kind:     hidden_remainder_z
      - .offset:         184
        .size:           8
        .value_kind:     hidden_global_offset_x
      - .offset:         192
        .size:           8
        .value_kind:     hidden_global_offset_y
      - .offset:         200
        .size:           8
        .value_kind:     hidden_global_offset_z
      - .offset:         208
        .size:           2
        .value_kind:     hidden_grid_dims
    .group_segment_fixed_size: 16
    .kernarg_segment_align: 8
    .kernarg_segment_size: 400
    .language:       OpenCL C
    .language_version:
      - 2
      - 0
    .max_flat_workgroup_size: 1024
    .name:           _ZN5aiter35fused_qk_rmsnorm_group_quant_kernelIDF16_N4opus5fp4_tELi128ELi8ELi16ELb0ELb0ELb1ELb0ELb0ELb0EEEvPT0_PvPT_S7_S7_PKS6_S9_S9_S9_S9_ffiiiiiiiiiiiii
    .private_segment_fixed_size: 0
    .sgpr_count:     36
    .sgpr_spill_count: 0
    .symbol:         _ZN5aiter35fused_qk_rmsnorm_group_quant_kernelIDF16_N4opus5fp4_tELi128ELi8ELi16ELb0ELb0ELb1ELb0ELb0ELb0EEEvPT0_PvPT_S7_S7_PKS6_S9_S9_S9_S9_ffiiiiiiiiiiiii.kd
    .uniform_work_group_size: 1
    .uses_dynamic_stack: false
    .vgpr_count:     23
    .vgpr_spill_count: 0
    .wavefront_size: 64
  - .agpr_count:     0
    .args:
      - .actual_access:  write_only
        .address_space:  global
        .offset:         0
        .size:           8
        .value_kind:     global_buffer
      - .actual_access:  write_only
        .address_space:  global
        .offset:         8
        .size:           8
        .value_kind:     global_buffer
      - .actual_access:  read_only
        .address_space:  global
        .offset:         16
        .size:           8
        .value_kind:     global_buffer
      - .actual_access:  write_only
        .address_space:  global
        .offset:         24
        .size:           8
        .value_kind:     global_buffer
      - .actual_access:  read_only
        .address_space:  global
        .offset:         32
        .size:           8
        .value_kind:     global_buffer
      - .actual_access:  read_only
        .address_space:  global
        .offset:         40
        .size:           8
        .value_kind:     global_buffer
      - .actual_access:  read_only
        .address_space:  global
        .offset:         48
        .size:           8
        .value_kind:     global_buffer
      - .actual_access:  read_only
        .address_space:  global
        .offset:         56
        .size:           8
        .value_kind:     global_buffer
      - .actual_access:  read_only
        .address_space:  global
        .offset:         64
        .size:           8
        .value_kind:     global_buffer
      - .actual_access:  read_only
        .address_space:  global
        .offset:         72
        .size:           8
        .value_kind:     global_buffer
      - .offset:         80
        .size:           4
        .value_kind:     by_value
      - .offset:         84
        .size:           4
        .value_kind:     by_value
      - .offset:         88
        .size:           4
        .value_kind:     by_value
      - .offset:         92
        .size:           4
        .value_kind:     by_value
      - .offset:         96
        .size:           4
        .value_kind:     by_value
      - .offset:         100
        .size:           4
        .value_kind:     by_value
      - .offset:         104
        .size:           4
        .value_kind:     by_value
      - .offset:         108
        .size:           4
        .value_kind:     by_value
      - .offset:         112
        .size:           4
        .value_kind:     by_value
      - .offset:         116
        .size:           4
        .value_kind:     by_value
      - .offset:         120
        .size:           4
        .value_kind:     by_value
      - .offset:         124
        .size:           4
        .value_kind:     by_value
      - .offset:         128
        .size:           4
        .value_kind:     by_value
      - .offset:         132
        .size:           4
        .value_kind:     by_value
      - .offset:         136
        .size:           4
        .value_kind:     by_value
      - .offset:         144
        .size:           4
        .value_kind:     hidden_block_count_x
      - .offset:         148
        .size:           4
        .value_kind:     hidden_block_count_y
      - .offset:         152
        .size:           4
        .value_kind:     hidden_block_count_z
      - .offset:         156
        .size:           2
        .value_kind:     hidden_group_size_x
      - .offset:         158
        .size:           2
        .value_kind:     hidden_group_size_y
      - .offset:         160
        .size:           2
        .value_kind:     hidden_group_size_z
      - .offset:         162
        .size:           2
        .value_kind:     hidden_remainder_x
      - .offset:         164
        .size:           2
        .value_kind:     hidden_remainder_y
      - .offset:         166
        .size:           2
        .value_kind:     hidden_remainder_z
      - .offset:         184
        .size:           8
        .value_kind:     hidden_global_offset_x
      - .offset:         192
        .size:           8
        .value_kind:     hidden_global_offset_y
      - .offset:         200
        .size:           8
        .value_kind:     hidden_global_offset_z
      - .offset:         208
        .size:           2
        .value_kind:     hidden_grid_dims
    .group_segment_fixed_size: 16
    .kernarg_segment_align: 8
    .kernarg_segment_size: 400
    .language:       OpenCL C
    .language_version:
      - 2
      - 0
    .max_flat_workgroup_size: 1024
    .name:           _ZN5aiter35fused_qk_rmsnorm_group_quant_kernelItN4opus5fp4_tELi128ELi8ELi16ELb0ELb0ELb1ELb0ELb0ELb0EEEvPT0_PvPT_S7_S7_PKS6_S9_S9_S9_S9_ffiiiiiiiiiiiii
    .private_segment_fixed_size: 0
    .sgpr_count:     36
    .sgpr_spill_count: 0
    .symbol:         _ZN5aiter35fused_qk_rmsnorm_group_quant_kernelItN4opus5fp4_tELi128ELi8ELi16ELb0ELb0ELb1ELb0ELb0ELb0EEEvPT0_PvPT_S7_S7_PKS6_S9_S9_S9_S9_ffiiiiiiiiiiiii.kd
    .uniform_work_group_size: 1
    .uses_dynamic_stack: false
    .vgpr_count:     23
    .vgpr_spill_count: 0
    .wavefront_size: 64
  - .agpr_count:     0
    .args:
      - .actual_access:  write_only
        .address_space:  global
        .offset:         0
        .size:           8
        .value_kind:     global_buffer
      - .actual_access:  write_only
        .address_space:  global
        .offset:         8
        .size:           8
        .value_kind:     global_buffer
      - .actual_access:  read_only
        .address_space:  global
        .offset:         16
        .size:           8
        .value_kind:     global_buffer
      - .actual_access:  write_only
        .address_space:  global
        .offset:         24
        .size:           8
        .value_kind:     global_buffer
      - .actual_access:  read_only
        .address_space:  global
        .offset:         32
        .size:           8
        .value_kind:     global_buffer
      - .actual_access:  read_only
        .address_space:  global
        .offset:         40
        .size:           8
        .value_kind:     global_buffer
      - .actual_access:  read_only
        .address_space:  global
        .offset:         48
        .size:           8
        .value_kind:     global_buffer
      - .actual_access:  read_only
        .address_space:  global
        .offset:         56
        .size:           8
        .value_kind:     global_buffer
      - .actual_access:  read_only
        .address_space:  global
        .offset:         64
        .size:           8
        .value_kind:     global_buffer
      - .actual_access:  read_only
        .address_space:  global
        .offset:         72
        .size:           8
        .value_kind:     global_buffer
      - .offset:         80
        .size:           4
        .value_kind:     by_value
      - .offset:         84
        .size:           4
        .value_kind:     by_value
      - .offset:         88
        .size:           4
        .value_kind:     by_value
      - .offset:         92
        .size:           4
        .value_kind:     by_value
      - .offset:         96
        .size:           4
        .value_kind:     by_value
      - .offset:         100
        .size:           4
        .value_kind:     by_value
      - .offset:         104
        .size:           4
        .value_kind:     by_value
      - .offset:         108
        .size:           4
        .value_kind:     by_value
      - .offset:         112
        .size:           4
        .value_kind:     by_value
      - .offset:         116
        .size:           4
        .value_kind:     by_value
      - .offset:         120
        .size:           4
        .value_kind:     by_value
      - .offset:         124
        .size:           4
        .value_kind:     by_value
      - .offset:         128
        .size:           4
        .value_kind:     by_value
      - .offset:         132
        .size:           4
        .value_kind:     by_value
      - .offset:         136
        .size:           4
        .value_kind:     by_value
      - .offset:         144
        .size:           4
        .value_kind:     hidden_block_count_x
      - .offset:         148
        .size:           4
        .value_kind:     hidden_block_count_y
      - .offset:         152
        .size:           4
        .value_kind:     hidden_block_count_z
      - .offset:         156
        .size:           2
        .value_kind:     hidden_group_size_x
      - .offset:         158
        .size:           2
        .value_kind:     hidden_group_size_y
      - .offset:         160
        .size:           2
        .value_kind:     hidden_group_size_z
      - .offset:         162
        .size:           2
        .value_kind:     hidden_remainder_x
      - .offset:         164
        .size:           2
        .value_kind:     hidden_remainder_y
      - .offset:         166
        .size:           2
        .value_kind:     hidden_remainder_z
      - .offset:         184
        .size:           8
        .value_kind:     hidden_global_offset_x
      - .offset:         192
        .size:           8
        .value_kind:     hidden_global_offset_y
      - .offset:         200
        .size:           8
        .value_kind:     hidden_global_offset_z
      - .offset:         208
        .size:           2
        .value_kind:     hidden_grid_dims
    .group_segment_fixed_size: 16
    .kernarg_segment_align: 8
    .kernarg_segment_size: 400
    .language:       OpenCL C
    .language_version:
      - 2
      - 0
    .max_flat_workgroup_size: 1024
    .name:           _ZN5aiter35fused_qk_rmsnorm_group_quant_kernelIDF16_DB8_Li128ELi8ELi16ELb0ELb0ELb0ELb0ELb0ELb0EEEvPT0_PvPT_S6_S6_PKS5_S8_S8_S8_S8_ffiiiiiiiiiiiii
    .private_segment_fixed_size: 0
    .sgpr_count:     36
    .sgpr_spill_count: 0
    .symbol:         _ZN5aiter35fused_qk_rmsnorm_group_quant_kernelIDF16_DB8_Li128ELi8ELi16ELb0ELb0ELb0ELb0ELb0ELb0EEEvPT0_PvPT_S6_S6_PKS5_S8_S8_S8_S8_ffiiiiiiiiiiiii.kd
    .uniform_work_group_size: 1
    .uses_dynamic_stack: false
    .vgpr_count:     23
    .vgpr_spill_count: 0
    .wavefront_size: 64
  - .agpr_count:     0
    .args:
      - .actual_access:  write_only
        .address_space:  global
        .offset:         0
        .size:           8
        .value_kind:     global_buffer
      - .actual_access:  write_only
        .address_space:  global
        .offset:         8
        .size:           8
        .value_kind:     global_buffer
      - .actual_access:  read_only
        .address_space:  global
        .offset:         16
        .size:           8
        .value_kind:     global_buffer
      - .actual_access:  write_only
        .address_space:  global
        .offset:         24
        .size:           8
        .value_kind:     global_buffer
      - .actual_access:  read_only
        .address_space:  global
        .offset:         32
        .size:           8
        .value_kind:     global_buffer
      - .actual_access:  read_only
        .address_space:  global
        .offset:         40
        .size:           8
        .value_kind:     global_buffer
      - .actual_access:  read_only
        .address_space:  global
        .offset:         48
        .size:           8
        .value_kind:     global_buffer
      - .actual_access:  read_only
        .address_space:  global
        .offset:         56
        .size:           8
        .value_kind:     global_buffer
      - .actual_access:  read_only
        .address_space:  global
        .offset:         64
        .size:           8
        .value_kind:     global_buffer
      - .actual_access:  read_only
        .address_space:  global
        .offset:         72
        .size:           8
        .value_kind:     global_buffer
      - .offset:         80
        .size:           4
        .value_kind:     by_value
      - .offset:         84
        .size:           4
        .value_kind:     by_value
      - .offset:         88
        .size:           4
        .value_kind:     by_value
      - .offset:         92
        .size:           4
        .value_kind:     by_value
      - .offset:         96
        .size:           4
        .value_kind:     by_value
      - .offset:         100
        .size:           4
        .value_kind:     by_value
      - .offset:         104
        .size:           4
        .value_kind:     by_value
      - .offset:         108
        .size:           4
        .value_kind:     by_value
      - .offset:         112
        .size:           4
        .value_kind:     by_value
      - .offset:         116
        .size:           4
        .value_kind:     by_value
      - .offset:         120
        .size:           4
        .value_kind:     by_value
      - .offset:         124
        .size:           4
        .value_kind:     by_value
      - .offset:         128
        .size:           4
        .value_kind:     by_value
      - .offset:         132
        .size:           4
        .value_kind:     by_value
      - .offset:         136
        .size:           4
        .value_kind:     by_value
      - .offset:         144
        .size:           4
        .value_kind:     hidden_block_count_x
      - .offset:         148
        .size:           4
        .value_kind:     hidden_block_count_y
      - .offset:         152
        .size:           4
        .value_kind:     hidden_block_count_z
      - .offset:         156
        .size:           2
        .value_kind:     hidden_group_size_x
      - .offset:         158
        .size:           2
        .value_kind:     hidden_group_size_y
      - .offset:         160
        .size:           2
        .value_kind:     hidden_group_size_z
      - .offset:         162
        .size:           2
        .value_kind:     hidden_remainder_x
      - .offset:         164
        .size:           2
        .value_kind:     hidden_remainder_y
      - .offset:         166
        .size:           2
        .value_kind:     hidden_remainder_z
      - .offset:         184
        .size:           8
        .value_kind:     hidden_global_offset_x
      - .offset:         192
        .size:           8
        .value_kind:     hidden_global_offset_y
      - .offset:         200
        .size:           8
        .value_kind:     hidden_global_offset_z
      - .offset:         208
        .size:           2
        .value_kind:     hidden_grid_dims
    .group_segment_fixed_size: 16
    .kernarg_segment_align: 8
    .kernarg_segment_size: 400
    .language:       OpenCL C
    .language_version:
      - 2
      - 0
    .max_flat_workgroup_size: 1024
    .name:           _ZN5aiter35fused_qk_rmsnorm_group_quant_kernelItDB8_Li128ELi8ELi16ELb0ELb0ELb0ELb0ELb0ELb0EEEvPT0_PvPT_S6_S6_PKS5_S8_S8_S8_S8_ffiiiiiiiiiiiii
    .private_segment_fixed_size: 0
    .sgpr_count:     36
    .sgpr_spill_count: 0
    .symbol:         _ZN5aiter35fused_qk_rmsnorm_group_quant_kernelItDB8_Li128ELi8ELi16ELb0ELb0ELb0ELb0ELb0ELb0EEEvPT0_PvPT_S6_S6_PKS5_S8_S8_S8_S8_ffiiiiiiiiiiiii.kd
    .uniform_work_group_size: 1
    .uses_dynamic_stack: false
    .vgpr_count:     23
    .vgpr_spill_count: 0
    .wavefront_size: 64
  - .agpr_count:     0
    .args:
      - .actual_access:  write_only
        .address_space:  global
        .offset:         0
        .size:           8
        .value_kind:     global_buffer
      - .actual_access:  write_only
        .address_space:  global
        .offset:         8
        .size:           8
        .value_kind:     global_buffer
      - .actual_access:  read_only
        .address_space:  global
        .offset:         16
        .size:           8
        .value_kind:     global_buffer
      - .actual_access:  write_only
        .address_space:  global
        .offset:         24
        .size:           8
        .value_kind:     global_buffer
      - .actual_access:  read_only
        .address_space:  global
        .offset:         32
        .size:           8
        .value_kind:     global_buffer
      - .actual_access:  read_only
        .address_space:  global
        .offset:         40
        .size:           8
        .value_kind:     global_buffer
      - .actual_access:  read_only
        .address_space:  global
        .offset:         48
        .size:           8
        .value_kind:     global_buffer
      - .actual_access:  read_only
        .address_space:  global
        .offset:         56
        .size:           8
        .value_kind:     global_buffer
      - .actual_access:  read_only
        .address_space:  global
        .offset:         64
        .size:           8
        .value_kind:     global_buffer
      - .actual_access:  read_only
        .address_space:  global
        .offset:         72
        .size:           8
        .value_kind:     global_buffer
      - .offset:         80
        .size:           4
        .value_kind:     by_value
      - .offset:         84
        .size:           4
        .value_kind:     by_value
      - .offset:         88
        .size:           4
        .value_kind:     by_value
      - .offset:         92
        .size:           4
        .value_kind:     by_value
      - .offset:         96
        .size:           4
        .value_kind:     by_value
      - .offset:         100
        .size:           4
        .value_kind:     by_value
      - .offset:         104
        .size:           4
        .value_kind:     by_value
      - .offset:         108
        .size:           4
        .value_kind:     by_value
      - .offset:         112
        .size:           4
        .value_kind:     by_value
      - .offset:         116
        .size:           4
        .value_kind:     by_value
      - .offset:         120
        .size:           4
        .value_kind:     by_value
      - .offset:         124
        .size:           4
        .value_kind:     by_value
      - .offset:         128
        .size:           4
        .value_kind:     by_value
      - .offset:         132
        .size:           4
        .value_kind:     by_value
      - .offset:         136
        .size:           4
        .value_kind:     by_value
      - .offset:         144
        .size:           4
        .value_kind:     hidden_block_count_x
      - .offset:         148
        .size:           4
        .value_kind:     hidden_block_count_y
      - .offset:         152
        .size:           4
        .value_kind:     hidden_block_count_z
      - .offset:         156
        .size:           2
        .value_kind:     hidden_group_size_x
      - .offset:         158
        .size:           2
        .value_kind:     hidden_group_size_y
      - .offset:         160
        .size:           2
        .value_kind:     hidden_group_size_z
      - .offset:         162
        .size:           2
        .value_kind:     hidden_remainder_x
      - .offset:         164
        .size:           2
        .value_kind:     hidden_remainder_y
      - .offset:         166
        .size:           2
        .value_kind:     hidden_remainder_z
      - .offset:         184
        .size:           8
        .value_kind:     hidden_global_offset_x
      - .offset:         192
        .size:           8
        .value_kind:     hidden_global_offset_y
      - .offset:         200
        .size:           8
        .value_kind:     hidden_global_offset_z
      - .offset:         208
        .size:           2
        .value_kind:     hidden_grid_dims
    .group_segment_fixed_size: 16
    .kernarg_segment_align: 8
    .kernarg_segment_size: 400
    .language:       OpenCL C
    .language_version:
      - 2
      - 0
    .max_flat_workgroup_size: 1024
    .name:           _ZN5aiter35fused_qk_rmsnorm_group_quant_kernelIDF16_N4opus5fp4_tELi128ELi8ELi16ELb0ELb0ELb0ELb0ELb0ELb0EEEvPT0_PvPT_S7_S7_PKS6_S9_S9_S9_S9_ffiiiiiiiiiiiii
    .private_segment_fixed_size: 0
    .sgpr_count:     36
    .sgpr_spill_count: 0
    .symbol:         _ZN5aiter35fused_qk_rmsnorm_group_quant_kernelIDF16_N4opus5fp4_tELi128ELi8ELi16ELb0ELb0ELb0ELb0ELb0ELb0EEEvPT0_PvPT_S7_S7_PKS6_S9_S9_S9_S9_ffiiiiiiiiiiiii.kd
    .uniform_work_group_size: 1
    .uses_dynamic_stack: false
    .vgpr_count:     23
    .vgpr_spill_count: 0
    .wavefront_size: 64
  - .agpr_count:     0
    .args:
      - .actual_access:  write_only
        .address_space:  global
        .offset:         0
        .size:           8
        .value_kind:     global_buffer
      - .actual_access:  write_only
        .address_space:  global
        .offset:         8
        .size:           8
        .value_kind:     global_buffer
      - .actual_access:  read_only
        .address_space:  global
        .offset:         16
        .size:           8
        .value_kind:     global_buffer
      - .actual_access:  write_only
        .address_space:  global
        .offset:         24
        .size:           8
        .value_kind:     global_buffer
      - .actual_access:  read_only
        .address_space:  global
        .offset:         32
        .size:           8
        .value_kind:     global_buffer
      - .actual_access:  read_only
        .address_space:  global
        .offset:         40
        .size:           8
        .value_kind:     global_buffer
      - .actual_access:  read_only
        .address_space:  global
        .offset:         48
        .size:           8
        .value_kind:     global_buffer
      - .actual_access:  read_only
        .address_space:  global
        .offset:         56
        .size:           8
        .value_kind:     global_buffer
      - .actual_access:  read_only
        .address_space:  global
        .offset:         64
        .size:           8
        .value_kind:     global_buffer
      - .actual_access:  read_only
        .address_space:  global
        .offset:         72
        .size:           8
        .value_kind:     global_buffer
      - .offset:         80
        .size:           4
        .value_kind:     by_value
      - .offset:         84
        .size:           4
        .value_kind:     by_value
      - .offset:         88
        .size:           4
        .value_kind:     by_value
      - .offset:         92
        .size:           4
        .value_kind:     by_value
      - .offset:         96
        .size:           4
        .value_kind:     by_value
      - .offset:         100
        .size:           4
        .value_kind:     by_value
      - .offset:         104
        .size:           4
        .value_kind:     by_value
      - .offset:         108
        .size:           4
        .value_kind:     by_value
      - .offset:         112
        .size:           4
        .value_kind:     by_value
      - .offset:         116
        .size:           4
        .value_kind:     by_value
      - .offset:         120
        .size:           4
        .value_kind:     by_value
      - .offset:         124
        .size:           4
        .value_kind:     by_value
      - .offset:         128
        .size:           4
        .value_kind:     by_value
      - .offset:         132
        .size:           4
        .value_kind:     by_value
      - .offset:         136
        .size:           4
        .value_kind:     by_value
      - .offset:         144
        .size:           4
        .value_kind:     hidden_block_count_x
      - .offset:         148
        .size:           4
        .value_kind:     hidden_block_count_y
      - .offset:         152
        .size:           4
        .value_kind:     hidden_block_count_z
      - .offset:         156
        .size:           2
        .value_kind:     hidden_group_size_x
      - .offset:         158
        .size:           2
        .value_kind:     hidden_group_size_y
      - .offset:         160
        .size:           2
        .value_kind:     hidden_group_size_z
      - .offset:         162
        .size:           2
        .value_kind:     hidden_remainder_x
      - .offset:         164
        .size:           2
        .value_kind:     hidden_remainder_y
      - .offset:         166
        .size:           2
        .value_kind:     hidden_remainder_z
      - .offset:         184
        .size:           8
        .value_kind:     hidden_global_offset_x
      - .offset:         192
        .size:           8
        .value_kind:     hidden_global_offset_y
      - .offset:         200
        .size:           8
        .value_kind:     hidden_global_offset_z
      - .offset:         208
        .size:           2
        .value_kind:     hidden_grid_dims
    .group_segment_fixed_size: 16
    .kernarg_segment_align: 8
    .kernarg_segment_size: 400
    .language:       OpenCL C
    .language_version:
      - 2
      - 0
    .max_flat_workgroup_size: 1024
    .name:           _ZN5aiter35fused_qk_rmsnorm_group_quant_kernelItN4opus5fp4_tELi128ELi8ELi16ELb0ELb0ELb0ELb0ELb0ELb0EEEvPT0_PvPT_S7_S7_PKS6_S9_S9_S9_S9_ffiiiiiiiiiiiii
    .private_segment_fixed_size: 0
    .sgpr_count:     36
    .sgpr_spill_count: 0
    .symbol:         _ZN5aiter35fused_qk_rmsnorm_group_quant_kernelItN4opus5fp4_tELi128ELi8ELi16ELb0ELb0ELb0ELb0ELb0ELb0EEEvPT0_PvPT_S7_S7_PKS6_S9_S9_S9_S9_ffiiiiiiiiiiiii.kd
    .uniform_work_group_size: 1
    .uses_dynamic_stack: false
    .vgpr_count:     23
    .vgpr_spill_count: 0
    .wavefront_size: 64
  - .agpr_count:     0
    .args:
      - .actual_access:  read_only
        .address_space:  global
        .offset:         0
        .size:           8
        .value_kind:     global_buffer
      - .actual_access:  read_only
        .address_space:  global
        .offset:         8
        .size:           8
        .value_kind:     global_buffer
      - .actual_access:  write_only
        .address_space:  global
        .offset:         16
        .size:           8
        .value_kind:     global_buffer
      - .actual_access:  write_only
        .address_space:  global
        .offset:         24
        .size:           8
        .value_kind:     global_buffer
      - .actual_access:  write_only
        .address_space:  global
        .offset:         32
        .size:           8
        .value_kind:     global_buffer
      - .actual_access:  read_only
        .address_space:  global
        .offset:         40
        .size:           8
        .value_kind:     global_buffer
      - .actual_access:  read_only
        .address_space:  global
        .offset:         48
        .size:           8
        .value_kind:     global_buffer
      - .actual_access:  read_only
        .address_space:  global
        .offset:         56
        .size:           8
        .value_kind:     global_buffer
      - .actual_access:  read_only
        .address_space:  global
        .offset:         64
        .size:           8
        .value_kind:     global_buffer
      - .actual_access:  read_only
        .address_space:  global
        .offset:         72
        .size:           8
        .value_kind:     global_buffer
      - .offset:         80
        .size:           4
        .value_kind:     by_value
      - .offset:         84
        .size:           4
        .value_kind:     by_value
      - .offset:         88
        .size:           4
        .value_kind:     by_value
      - .offset:         92
        .size:           4
        .value_kind:     by_value
      - .offset:         96
        .size:           4
        .value_kind:     by_value
      - .offset:         100
        .size:           4
        .value_kind:     by_value
      - .offset:         104
        .size:           4
        .value_kind:     by_value
      - .offset:         108
        .size:           4
        .value_kind:     by_value
      - .offset:         112
        .size:           4
        .value_kind:     by_value
      - .offset:         116
        .size:           4
        .value_kind:     by_value
      - .offset:         120
        .size:           4
        .value_kind:     by_value
      - .offset:         124
        .size:           4
        .value_kind:     by_value
      - .offset:         128
        .size:           4
        .value_kind:     by_value
      - .offset:         132
        .size:           4
        .value_kind:     by_value
      - .offset:         136
        .size:           4
        .value_kind:     by_value
      - .offset:         144
        .size:           4
        .value_kind:     hidden_block_count_x
      - .offset:         148
        .size:           4
        .value_kind:     hidden_block_count_y
      - .offset:         152
        .size:           4
        .value_kind:     hidden_block_count_z
      - .offset:         156
        .size:           2
        .value_kind:     hidden_group_size_x
      - .offset:         158
        .size:           2
        .value_kind:     hidden_group_size_y
      - .offset:         160
        .size:           2
        .value_kind:     hidden_group_size_z
      - .offset:         162
        .size:           2
        .value_kind:     hidden_remainder_x
      - .offset:         164
        .size:           2
        .value_kind:     hidden_remainder_y
      - .offset:         166
        .size:           2
        .value_kind:     hidden_remainder_z
      - .offset:         184
        .size:           8
        .value_kind:     hidden_global_offset_x
      - .offset:         192
        .size:           8
        .value_kind:     hidden_global_offset_y
      - .offset:         200
        .size:           8
        .value_kind:     hidden_global_offset_z
      - .offset:         208
        .size:           2
        .value_kind:     hidden_grid_dims
    .group_segment_fixed_size: 16
    .kernarg_segment_align: 8
    .kernarg_segment_size: 400
    .language:       OpenCL C
    .language_version:
      - 2
      - 0
    .max_flat_workgroup_size: 1024
    .name:           _ZN5aiter35fused_qk_rmsnorm_group_quant_kernelIDF16_DB8_Li128ELi8ELi8ELb1ELb1ELb1ELb1ELb0ELb0EEEvPT0_PvPT_S6_S6_PKS5_S8_S8_S8_S8_ffiiiiiiiiiiiii
    .private_segment_fixed_size: 0
    .sgpr_count:     36
    .sgpr_spill_count: 0
    .symbol:         _ZN5aiter35fused_qk_rmsnorm_group_quant_kernelIDF16_DB8_Li128ELi8ELi8ELb1ELb1ELb1ELb1ELb0ELb0EEEvPT0_PvPT_S6_S6_PKS5_S8_S8_S8_S8_ffiiiiiiiiiiiii.kd
    .uniform_work_group_size: 1
    .uses_dynamic_stack: false
    .vgpr_count:     25
    .vgpr_spill_count: 0
    .wavefront_size: 64
  - .agpr_count:     0
    .args:
      - .actual_access:  read_only
        .address_space:  global
        .offset:         0
        .size:           8
        .value_kind:     global_buffer
      - .actual_access:  read_only
        .address_space:  global
        .offset:         8
        .size:           8
        .value_kind:     global_buffer
      - .actual_access:  write_only
        .address_space:  global
        .offset:         16
        .size:           8
        .value_kind:     global_buffer
      - .actual_access:  write_only
        .address_space:  global
        .offset:         24
        .size:           8
        .value_kind:     global_buffer
      - .actual_access:  write_only
        .address_space:  global
        .offset:         32
        .size:           8
        .value_kind:     global_buffer
      - .actual_access:  read_only
        .address_space:  global
        .offset:         40
        .size:           8
        .value_kind:     global_buffer
      - .actual_access:  read_only
        .address_space:  global
        .offset:         48
        .size:           8
        .value_kind:     global_buffer
      - .actual_access:  read_only
        .address_space:  global
        .offset:         56
        .size:           8
        .value_kind:     global_buffer
      - .actual_access:  read_only
        .address_space:  global
        .offset:         64
        .size:           8
        .value_kind:     global_buffer
      - .actual_access:  read_only
        .address_space:  global
        .offset:         72
        .size:           8
        .value_kind:     global_buffer
      - .offset:         80
        .size:           4
        .value_kind:     by_value
      - .offset:         84
        .size:           4
        .value_kind:     by_value
      - .offset:         88
        .size:           4
        .value_kind:     by_value
      - .offset:         92
        .size:           4
        .value_kind:     by_value
      - .offset:         96
        .size:           4
        .value_kind:     by_value
      - .offset:         100
        .size:           4
        .value_kind:     by_value
      - .offset:         104
        .size:           4
        .value_kind:     by_value
      - .offset:         108
        .size:           4
        .value_kind:     by_value
      - .offset:         112
        .size:           4
        .value_kind:     by_value
      - .offset:         116
        .size:           4
        .value_kind:     by_value
      - .offset:         120
        .size:           4
        .value_kind:     by_value
      - .offset:         124
        .size:           4
        .value_kind:     by_value
      - .offset:         128
        .size:           4
        .value_kind:     by_value
      - .offset:         132
        .size:           4
        .value_kind:     by_value
      - .offset:         136
        .size:           4
        .value_kind:     by_value
      - .offset:         144
        .size:           4
        .value_kind:     hidden_block_count_x
      - .offset:         148
        .size:           4
        .value_kind:     hidden_block_count_y
      - .offset:         152
        .size:           4
        .value_kind:     hidden_block_count_z
      - .offset:         156
        .size:           2
        .value_kind:     hidden_group_size_x
      - .offset:         158
        .size:           2
        .value_kind:     hidden_group_size_y
      - .offset:         160
        .size:           2
        .value_kind:     hidden_group_size_z
      - .offset:         162
        .size:           2
        .value_kind:     hidden_remainder_x
      - .offset:         164
        .size:           2
        .value_kind:     hidden_remainder_y
      - .offset:         166
        .size:           2
        .value_kind:     hidden_remainder_z
      - .offset:         184
        .size:           8
        .value_kind:     hidden_global_offset_x
      - .offset:         192
        .size:           8
        .value_kind:     hidden_global_offset_y
      - .offset:         200
        .size:           8
        .value_kind:     hidden_global_offset_z
      - .offset:         208
        .size:           2
        .value_kind:     hidden_grid_dims
    .group_segment_fixed_size: 16
    .kernarg_segment_align: 8
    .kernarg_segment_size: 400
    .language:       OpenCL C
    .language_version:
      - 2
      - 0
    .max_flat_workgroup_size: 1024
    .name:           _ZN5aiter35fused_qk_rmsnorm_group_quant_kernelItDB8_Li128ELi8ELi8ELb1ELb1ELb1ELb1ELb0ELb0EEEvPT0_PvPT_S6_S6_PKS5_S8_S8_S8_S8_ffiiiiiiiiiiiii
    .private_segment_fixed_size: 0
    .sgpr_count:     48
    .sgpr_spill_count: 0
    .symbol:         _ZN5aiter35fused_qk_rmsnorm_group_quant_kernelItDB8_Li128ELi8ELi8ELb1ELb1ELb1ELb1ELb0ELb0EEEvPT0_PvPT_S6_S6_PKS5_S8_S8_S8_S8_ffiiiiiiiiiiiii.kd
    .uniform_work_group_size: 1
    .uses_dynamic_stack: false
    .vgpr_count:     27
    .vgpr_spill_count: 0
    .wavefront_size: 64
  - .agpr_count:     0
    .args:
      - .actual_access:  read_only
        .address_space:  global
        .offset:         0
        .size:           8
        .value_kind:     global_buffer
      - .actual_access:  read_only
        .address_space:  global
        .offset:         8
        .size:           8
        .value_kind:     global_buffer
      - .actual_access:  write_only
        .address_space:  global
        .offset:         16
        .size:           8
        .value_kind:     global_buffer
      - .actual_access:  write_only
        .address_space:  global
        .offset:         24
        .size:           8
        .value_kind:     global_buffer
      - .actual_access:  write_only
        .address_space:  global
        .offset:         32
        .size:           8
        .value_kind:     global_buffer
      - .actual_access:  read_only
        .address_space:  global
        .offset:         40
        .size:           8
        .value_kind:     global_buffer
      - .actual_access:  read_only
        .address_space:  global
        .offset:         48
        .size:           8
        .value_kind:     global_buffer
      - .actual_access:  read_only
        .address_space:  global
        .offset:         56
        .size:           8
        .value_kind:     global_buffer
      - .actual_access:  read_only
        .address_space:  global
        .offset:         64
        .size:           8
        .value_kind:     global_buffer
      - .actual_access:  read_only
        .address_space:  global
        .offset:         72
        .size:           8
        .value_kind:     global_buffer
      - .offset:         80
        .size:           4
        .value_kind:     by_value
      - .offset:         84
        .size:           4
        .value_kind:     by_value
      - .offset:         88
        .size:           4
        .value_kind:     by_value
      - .offset:         92
        .size:           4
        .value_kind:     by_value
      - .offset:         96
        .size:           4
        .value_kind:     by_value
      - .offset:         100
        .size:           4
        .value_kind:     by_value
      - .offset:         104
        .size:           4
        .value_kind:     by_value
      - .offset:         108
        .size:           4
        .value_kind:     by_value
      - .offset:         112
        .size:           4
        .value_kind:     by_value
      - .offset:         116
        .size:           4
        .value_kind:     by_value
      - .offset:         120
        .size:           4
        .value_kind:     by_value
      - .offset:         124
        .size:           4
        .value_kind:     by_value
      - .offset:         128
        .size:           4
        .value_kind:     by_value
      - .offset:         132
        .size:           4
        .value_kind:     by_value
      - .offset:         136
        .size:           4
        .value_kind:     by_value
      - .offset:         144
        .size:           4
        .value_kind:     hidden_block_count_x
      - .offset:         148
        .size:           4
        .value_kind:     hidden_block_count_y
      - .offset:         152
        .size:           4
        .value_kind:     hidden_block_count_z
      - .offset:         156
        .size:           2
        .value_kind:     hidden_group_size_x
      - .offset:         158
        .size:           2
        .value_kind:     hidden_group_size_y
      - .offset:         160
        .size:           2
        .value_kind:     hidden_group_size_z
      - .offset:         162
        .size:           2
        .value_kind:     hidden_remainder_x
      - .offset:         164
        .size:           2
        .value_kind:     hidden_remainder_y
      - .offset:         166
        .size:           2
        .value_kind:     hidden_remainder_z
      - .offset:         184
        .size:           8
        .value_kind:     hidden_global_offset_x
      - .offset:         192
        .size:           8
        .value_kind:     hidden_global_offset_y
      - .offset:         200
        .size:           8
        .value_kind:     hidden_global_offset_z
      - .offset:         208
        .size:           2
        .value_kind:     hidden_grid_dims
    .group_segment_fixed_size: 16
    .kernarg_segment_align: 8
    .kernarg_segment_size: 400
    .language:       OpenCL C
    .language_version:
      - 2
      - 0
    .max_flat_workgroup_size: 1024
    .name:           _ZN5aiter35fused_qk_rmsnorm_group_quant_kernelIDF16_N4opus5fp4_tELi128ELi8ELi8ELb1ELb1ELb1ELb1ELb0ELb0EEEvPT0_PvPT_S7_S7_PKS6_S9_S9_S9_S9_ffiiiiiiiiiiiii
    .private_segment_fixed_size: 0
    .sgpr_count:     36
    .sgpr_spill_count: 0
    .symbol:         _ZN5aiter35fused_qk_rmsnorm_group_quant_kernelIDF16_N4opus5fp4_tELi128ELi8ELi8ELb1ELb1ELb1ELb1ELb0ELb0EEEvPT0_PvPT_S7_S7_PKS6_S9_S9_S9_S9_ffiiiiiiiiiiiii.kd
    .uniform_work_group_size: 1
    .uses_dynamic_stack: false
    .vgpr_count:     25
    .vgpr_spill_count: 0
    .wavefront_size: 64
  - .agpr_count:     0
    .args:
      - .actual_access:  read_only
        .address_space:  global
        .offset:         0
        .size:           8
        .value_kind:     global_buffer
      - .actual_access:  read_only
        .address_space:  global
        .offset:         8
        .size:           8
        .value_kind:     global_buffer
      - .actual_access:  write_only
        .address_space:  global
        .offset:         16
        .size:           8
        .value_kind:     global_buffer
      - .actual_access:  write_only
        .address_space:  global
        .offset:         24
        .size:           8
        .value_kind:     global_buffer
      - .actual_access:  write_only
        .address_space:  global
        .offset:         32
        .size:           8
        .value_kind:     global_buffer
      - .actual_access:  read_only
        .address_space:  global
        .offset:         40
        .size:           8
        .value_kind:     global_buffer
      - .actual_access:  read_only
        .address_space:  global
        .offset:         48
        .size:           8
        .value_kind:     global_buffer
      - .actual_access:  read_only
        .address_space:  global
        .offset:         56
        .size:           8
        .value_kind:     global_buffer
      - .actual_access:  read_only
        .address_space:  global
        .offset:         64
        .size:           8
        .value_kind:     global_buffer
      - .actual_access:  read_only
        .address_space:  global
        .offset:         72
        .size:           8
        .value_kind:     global_buffer
      - .offset:         80
        .size:           4
        .value_kind:     by_value
      - .offset:         84
        .size:           4
        .value_kind:     by_value
      - .offset:         88
        .size:           4
        .value_kind:     by_value
      - .offset:         92
        .size:           4
        .value_kind:     by_value
      - .offset:         96
        .size:           4
        .value_kind:     by_value
      - .offset:         100
        .size:           4
        .value_kind:     by_value
      - .offset:         104
        .size:           4
        .value_kind:     by_value
      - .offset:         108
        .size:           4
        .value_kind:     by_value
      - .offset:         112
        .size:           4
        .value_kind:     by_value
      - .offset:         116
        .size:           4
        .value_kind:     by_value
      - .offset:         120
        .size:           4
        .value_kind:     by_value
      - .offset:         124
        .size:           4
        .value_kind:     by_value
      - .offset:         128
        .size:           4
        .value_kind:     by_value
      - .offset:         132
        .size:           4
        .value_kind:     by_value
      - .offset:         136
        .size:           4
        .value_kind:     by_value
      - .offset:         144
        .size:           4
        .value_kind:     hidden_block_count_x
      - .offset:         148
        .size:           4
        .value_kind:     hidden_block_count_y
      - .offset:         152
        .size:           4
        .value_kind:     hidden_block_count_z
      - .offset:         156
        .size:           2
        .value_kind:     hidden_group_size_x
      - .offset:         158
        .size:           2
        .value_kind:     hidden_group_size_y
      - .offset:         160
        .size:           2
        .value_kind:     hidden_group_size_z
      - .offset:         162
        .size:           2
        .value_kind:     hidden_remainder_x
      - .offset:         164
        .size:           2
        .value_kind:     hidden_remainder_y
      - .offset:         166
        .size:           2
        .value_kind:     hidden_remainder_z
      - .offset:         184
        .size:           8
        .value_kind:     hidden_global_offset_x
      - .offset:         192
        .size:           8
        .value_kind:     hidden_global_offset_y
      - .offset:         200
        .size:           8
        .value_kind:     hidden_global_offset_z
      - .offset:         208
        .size:           2
        .value_kind:     hidden_grid_dims
    .group_segment_fixed_size: 16
    .kernarg_segment_align: 8
    .kernarg_segment_size: 400
    .language:       OpenCL C
    .language_version:
      - 2
      - 0
    .max_flat_workgroup_size: 1024
    .name:           _ZN5aiter35fused_qk_rmsnorm_group_quant_kernelItN4opus5fp4_tELi128ELi8ELi8ELb1ELb1ELb1ELb1ELb0ELb0EEEvPT0_PvPT_S7_S7_PKS6_S9_S9_S9_S9_ffiiiiiiiiiiiii
    .private_segment_fixed_size: 0
    .sgpr_count:     48
    .sgpr_spill_count: 0
    .symbol:         _ZN5aiter35fused_qk_rmsnorm_group_quant_kernelItN4opus5fp4_tELi128ELi8ELi8ELb1ELb1ELb1ELb1ELb0ELb0EEEvPT0_PvPT_S7_S7_PKS6_S9_S9_S9_S9_ffiiiiiiiiiiiii.kd
    .uniform_work_group_size: 1
    .uses_dynamic_stack: false
    .vgpr_count:     27
    .vgpr_spill_count: 0
    .wavefront_size: 64
  - .agpr_count:     0
    .args:
      - .actual_access:  read_only
        .address_space:  global
        .offset:         0
        .size:           8
        .value_kind:     global_buffer
      - .actual_access:  read_only
        .address_space:  global
        .offset:         8
        .size:           8
        .value_kind:     global_buffer
      - .actual_access:  write_only
        .address_space:  global
        .offset:         16
        .size:           8
        .value_kind:     global_buffer
      - .actual_access:  write_only
        .address_space:  global
        .offset:         24
        .size:           8
        .value_kind:     global_buffer
      - .actual_access:  write_only
        .address_space:  global
        .offset:         32
        .size:           8
        .value_kind:     global_buffer
      - .actual_access:  read_only
        .address_space:  global
        .offset:         40
        .size:           8
        .value_kind:     global_buffer
      - .actual_access:  read_only
        .address_space:  global
        .offset:         48
        .size:           8
        .value_kind:     global_buffer
      - .actual_access:  read_only
        .address_space:  global
        .offset:         56
        .size:           8
        .value_kind:     global_buffer
      - .actual_access:  read_only
        .address_space:  global
        .offset:         64
        .size:           8
        .value_kind:     global_buffer
      - .actual_access:  read_only
        .address_space:  global
        .offset:         72
        .size:           8
        .value_kind:     global_buffer
      - .offset:         80
        .size:           4
        .value_kind:     by_value
      - .offset:         84
        .size:           4
        .value_kind:     by_value
      - .offset:         88
        .size:           4
        .value_kind:     by_value
      - .offset:         92
        .size:           4
        .value_kind:     by_value
      - .offset:         96
        .size:           4
        .value_kind:     by_value
      - .offset:         100
        .size:           4
        .value_kind:     by_value
      - .offset:         104
        .size:           4
        .value_kind:     by_value
      - .offset:         108
        .size:           4
        .value_kind:     by_value
      - .offset:         112
        .size:           4
        .value_kind:     by_value
      - .offset:         116
        .size:           4
        .value_kind:     by_value
      - .offset:         120
        .size:           4
        .value_kind:     by_value
      - .offset:         124
        .size:           4
        .value_kind:     by_value
      - .offset:         128
        .size:           4
        .value_kind:     by_value
      - .offset:         132
        .size:           4
        .value_kind:     by_value
      - .offset:         136
        .size:           4
        .value_kind:     by_value
      - .offset:         144
        .size:           4
        .value_kind:     hidden_block_count_x
      - .offset:         148
        .size:           4
        .value_kind:     hidden_block_count_y
      - .offset:         152
        .size:           4
        .value_kind:     hidden_block_count_z
      - .offset:         156
        .size:           2
        .value_kind:     hidden_group_size_x
      - .offset:         158
        .size:           2
        .value_kind:     hidden_group_size_y
      - .offset:         160
        .size:           2
        .value_kind:     hidden_group_size_z
      - .offset:         162
        .size:           2
        .value_kind:     hidden_remainder_x
      - .offset:         164
        .size:           2
        .value_kind:     hidden_remainder_y
      - .offset:         166
        .size:           2
        .value_kind:     hidden_remainder_z
      - .offset:         184
        .size:           8
        .value_kind:     hidden_global_offset_x
      - .offset:         192
        .size:           8
        .value_kind:     hidden_global_offset_y
      - .offset:         200
        .size:           8
        .value_kind:     hidden_global_offset_z
      - .offset:         208
        .size:           2
        .value_kind:     hidden_grid_dims
    .group_segment_fixed_size: 16
    .kernarg_segment_align: 8
    .kernarg_segment_size: 400
    .language:       OpenCL C
    .language_version:
      - 2
      - 0
    .max_flat_workgroup_size: 1024
    .name:           _ZN5aiter35fused_qk_rmsnorm_group_quant_kernelIDF16_DB8_Li128ELi8ELi8ELb1ELb1ELb0ELb1ELb0ELb0EEEvPT0_PvPT_S6_S6_PKS5_S8_S8_S8_S8_ffiiiiiiiiiiiii
    .private_segment_fixed_size: 0
    .sgpr_count:     36
    .sgpr_spill_count: 0
    .symbol:         _ZN5aiter35fused_qk_rmsnorm_group_quant_kernelIDF16_DB8_Li128ELi8ELi8ELb1ELb1ELb0ELb1ELb0ELb0EEEvPT0_PvPT_S6_S6_PKS5_S8_S8_S8_S8_ffiiiiiiiiiiiii.kd
    .uniform_work_group_size: 1
    .uses_dynamic_stack: false
    .vgpr_count:     27
    .vgpr_spill_count: 0
    .wavefront_size: 64
  - .agpr_count:     0
    .args:
      - .actual_access:  read_only
        .address_space:  global
        .offset:         0
        .size:           8
        .value_kind:     global_buffer
      - .actual_access:  read_only
        .address_space:  global
        .offset:         8
        .size:           8
        .value_kind:     global_buffer
      - .actual_access:  write_only
        .address_space:  global
        .offset:         16
        .size:           8
        .value_kind:     global_buffer
      - .actual_access:  write_only
        .address_space:  global
        .offset:         24
        .size:           8
        .value_kind:     global_buffer
      - .actual_access:  write_only
        .address_space:  global
        .offset:         32
        .size:           8
        .value_kind:     global_buffer
      - .actual_access:  read_only
        .address_space:  global
        .offset:         40
        .size:           8
        .value_kind:     global_buffer
      - .actual_access:  read_only
        .address_space:  global
        .offset:         48
        .size:           8
        .value_kind:     global_buffer
      - .actual_access:  read_only
        .address_space:  global
        .offset:         56
        .size:           8
        .value_kind:     global_buffer
      - .actual_access:  read_only
        .address_space:  global
        .offset:         64
        .size:           8
        .value_kind:     global_buffer
      - .actual_access:  read_only
        .address_space:  global
        .offset:         72
        .size:           8
        .value_kind:     global_buffer
      - .offset:         80
        .size:           4
        .value_kind:     by_value
      - .offset:         84
        .size:           4
        .value_kind:     by_value
      - .offset:         88
        .size:           4
        .value_kind:     by_value
      - .offset:         92
        .size:           4
        .value_kind:     by_value
      - .offset:         96
        .size:           4
        .value_kind:     by_value
      - .offset:         100
        .size:           4
        .value_kind:     by_value
      - .offset:         104
        .size:           4
        .value_kind:     by_value
      - .offset:         108
        .size:           4
        .value_kind:     by_value
      - .offset:         112
        .size:           4
        .value_kind:     by_value
      - .offset:         116
        .size:           4
        .value_kind:     by_value
      - .offset:         120
        .size:           4
        .value_kind:     by_value
      - .offset:         124
        .size:           4
        .value_kind:     by_value
      - .offset:         128
        .size:           4
        .value_kind:     by_value
      - .offset:         132
        .size:           4
        .value_kind:     by_value
      - .offset:         136
        .size:           4
        .value_kind:     by_value
      - .offset:         144
        .size:           4
        .value_kind:     hidden_block_count_x
      - .offset:         148
        .size:           4
        .value_kind:     hidden_block_count_y
      - .offset:         152
        .size:           4
        .value_kind:     hidden_block_count_z
      - .offset:         156
        .size:           2
        .value_kind:     hidden_group_size_x
      - .offset:         158
        .size:           2
        .value_kind:     hidden_group_size_y
      - .offset:         160
        .size:           2
        .value_kind:     hidden_group_size_z
      - .offset:         162
        .size:           2
        .value_kind:     hidden_remainder_x
      - .offset:         164
        .size:           2
        .value_kind:     hidden_remainder_y
      - .offset:         166
        .size:           2
        .value_kind:     hidden_remainder_z
      - .offset:         184
        .size:           8
        .value_kind:     hidden_global_offset_x
      - .offset:         192
        .size:           8
        .value_kind:     hidden_global_offset_y
      - .offset:         200
        .size:           8
        .value_kind:     hidden_global_offset_z
      - .offset:         208
        .size:           2
        .value_kind:     hidden_grid_dims
    .group_segment_fixed_size: 16
    .kernarg_segment_align: 8
    .kernarg_segment_size: 400
    .language:       OpenCL C
    .language_version:
      - 2
      - 0
    .max_flat_workgroup_size: 1024
    .name:           _ZN5aiter35fused_qk_rmsnorm_group_quant_kernelItDB8_Li128ELi8ELi8ELb1ELb1ELb0ELb1ELb0ELb0EEEvPT0_PvPT_S6_S6_PKS5_S8_S8_S8_S8_ffiiiiiiiiiiiii
    .private_segment_fixed_size: 0
    .sgpr_count:     48
    .sgpr_spill_count: 0
    .symbol:         _ZN5aiter35fused_qk_rmsnorm_group_quant_kernelItDB8_Li128ELi8ELi8ELb1ELb1ELb0ELb1ELb0ELb0EEEvPT0_PvPT_S6_S6_PKS5_S8_S8_S8_S8_ffiiiiiiiiiiiii.kd
    .uniform_work_group_size: 1
    .uses_dynamic_stack: false
    .vgpr_count:     27
    .vgpr_spill_count: 0
    .wavefront_size: 64
  - .agpr_count:     0
    .args:
      - .actual_access:  read_only
        .address_space:  global
        .offset:         0
        .size:           8
        .value_kind:     global_buffer
      - .actual_access:  read_only
        .address_space:  global
        .offset:         8
        .size:           8
        .value_kind:     global_buffer
      - .actual_access:  write_only
        .address_space:  global
        .offset:         16
        .size:           8
        .value_kind:     global_buffer
      - .actual_access:  write_only
        .address_space:  global
        .offset:         24
        .size:           8
        .value_kind:     global_buffer
      - .actual_access:  write_only
        .address_space:  global
        .offset:         32
        .size:           8
        .value_kind:     global_buffer
      - .actual_access:  read_only
        .address_space:  global
        .offset:         40
        .size:           8
        .value_kind:     global_buffer
      - .actual_access:  read_only
        .address_space:  global
        .offset:         48
        .size:           8
        .value_kind:     global_buffer
      - .actual_access:  read_only
        .address_space:  global
        .offset:         56
        .size:           8
        .value_kind:     global_buffer
      - .actual_access:  read_only
        .address_space:  global
        .offset:         64
        .size:           8
        .value_kind:     global_buffer
      - .actual_access:  read_only
        .address_space:  global
        .offset:         72
        .size:           8
        .value_kind:     global_buffer
      - .offset:         80
        .size:           4
        .value_kind:     by_value
      - .offset:         84
        .size:           4
        .value_kind:     by_value
      - .offset:         88
        .size:           4
        .value_kind:     by_value
      - .offset:         92
        .size:           4
        .value_kind:     by_value
      - .offset:         96
        .size:           4
        .value_kind:     by_value
      - .offset:         100
        .size:           4
        .value_kind:     by_value
      - .offset:         104
        .size:           4
        .value_kind:     by_value
      - .offset:         108
        .size:           4
        .value_kind:     by_value
      - .offset:         112
        .size:           4
        .value_kind:     by_value
      - .offset:         116
        .size:           4
        .value_kind:     by_value
      - .offset:         120
        .size:           4
        .value_kind:     by_value
      - .offset:         124
        .size:           4
        .value_kind:     by_value
      - .offset:         128
        .size:           4
        .value_kind:     by_value
      - .offset:         132
        .size:           4
        .value_kind:     by_value
      - .offset:         136
        .size:           4
        .value_kind:     by_value
      - .offset:         144
        .size:           4
        .value_kind:     hidden_block_count_x
      - .offset:         148
        .size:           4
        .value_kind:     hidden_block_count_y
      - .offset:         152
        .size:           4
        .value_kind:     hidden_block_count_z
      - .offset:         156
        .size:           2
        .value_kind:     hidden_group_size_x
      - .offset:         158
        .size:           2
        .value_kind:     hidden_group_size_y
      - .offset:         160
        .size:           2
        .value_kind:     hidden_group_size_z
      - .offset:         162
        .size:           2
        .value_kind:     hidden_remainder_x
      - .offset:         164
        .size:           2
        .value_kind:     hidden_remainder_y
      - .offset:         166
        .size:           2
        .value_kind:     hidden_remainder_z
      - .offset:         184
        .size:           8
        .value_kind:     hidden_global_offset_x
      - .offset:         192
        .size:           8
        .value_kind:     hidden_global_offset_y
      - .offset:         200
        .size:           8
        .value_kind:     hidden_global_offset_z
      - .offset:         208
        .size:           2
        .value_kind:     hidden_grid_dims
    .group_segment_fixed_size: 16
    .kernarg_segment_align: 8
    .kernarg_segment_size: 400
    .language:       OpenCL C
    .language_version:
      - 2
      - 0
    .max_flat_workgroup_size: 1024
    .name:           _ZN5aiter35fused_qk_rmsnorm_group_quant_kernelIDF16_N4opus5fp4_tELi128ELi8ELi8ELb1ELb1ELb0ELb1ELb0ELb0EEEvPT0_PvPT_S7_S7_PKS6_S9_S9_S9_S9_ffiiiiiiiiiiiii
    .private_segment_fixed_size: 0
    .sgpr_count:     36
    .sgpr_spill_count: 0
    .symbol:         _ZN5aiter35fused_qk_rmsnorm_group_quant_kernelIDF16_N4opus5fp4_tELi128ELi8ELi8ELb1ELb1ELb0ELb1ELb0ELb0EEEvPT0_PvPT_S7_S7_PKS6_S9_S9_S9_S9_ffiiiiiiiiiiiii.kd
    .uniform_work_group_size: 1
    .uses_dynamic_stack: false
    .vgpr_count:     27
    .vgpr_spill_count: 0
    .wavefront_size: 64
  - .agpr_count:     0
    .args:
      - .actual_access:  read_only
        .address_space:  global
        .offset:         0
        .size:           8
        .value_kind:     global_buffer
      - .actual_access:  read_only
        .address_space:  global
        .offset:         8
        .size:           8
        .value_kind:     global_buffer
      - .actual_access:  write_only
        .address_space:  global
        .offset:         16
        .size:           8
        .value_kind:     global_buffer
      - .actual_access:  write_only
        .address_space:  global
        .offset:         24
        .size:           8
        .value_kind:     global_buffer
      - .actual_access:  write_only
        .address_space:  global
        .offset:         32
        .size:           8
        .value_kind:     global_buffer
      - .actual_access:  read_only
        .address_space:  global
        .offset:         40
        .size:           8
        .value_kind:     global_buffer
      - .actual_access:  read_only
        .address_space:  global
        .offset:         48
        .size:           8
        .value_kind:     global_buffer
      - .actual_access:  read_only
        .address_space:  global
        .offset:         56
        .size:           8
        .value_kind:     global_buffer
      - .actual_access:  read_only
        .address_space:  global
        .offset:         64
        .size:           8
        .value_kind:     global_buffer
      - .actual_access:  read_only
        .address_space:  global
        .offset:         72
        .size:           8
        .value_kind:     global_buffer
      - .offset:         80
        .size:           4
        .value_kind:     by_value
      - .offset:         84
        .size:           4
        .value_kind:     by_value
      - .offset:         88
        .size:           4
        .value_kind:     by_value
      - .offset:         92
        .size:           4
        .value_kind:     by_value
      - .offset:         96
        .size:           4
        .value_kind:     by_value
      - .offset:         100
        .size:           4
        .value_kind:     by_value
      - .offset:         104
        .size:           4
        .value_kind:     by_value
      - .offset:         108
        .size:           4
        .value_kind:     by_value
      - .offset:         112
        .size:           4
        .value_kind:     by_value
      - .offset:         116
        .size:           4
        .value_kind:     by_value
      - .offset:         120
        .size:           4
        .value_kind:     by_value
      - .offset:         124
        .size:           4
        .value_kind:     by_value
      - .offset:         128
        .size:           4
        .value_kind:     by_value
      - .offset:         132
        .size:           4
        .value_kind:     by_value
      - .offset:         136
        .size:           4
        .value_kind:     by_value
      - .offset:         144
        .size:           4
        .value_kind:     hidden_block_count_x
      - .offset:         148
        .size:           4
        .value_kind:     hidden_block_count_y
      - .offset:         152
        .size:           4
        .value_kind:     hidden_block_count_z
      - .offset:         156
        .size:           2
        .value_kind:     hidden_group_size_x
      - .offset:         158
        .size:           2
        .value_kind:     hidden_group_size_y
      - .offset:         160
        .size:           2
        .value_kind:     hidden_group_size_z
      - .offset:         162
        .size:           2
        .value_kind:     hidden_remainder_x
      - .offset:         164
        .size:           2
        .value_kind:     hidden_remainder_y
      - .offset:         166
        .size:           2
        .value_kind:     hidden_remainder_z
      - .offset:         184
        .size:           8
        .value_kind:     hidden_global_offset_x
      - .offset:         192
        .size:           8
        .value_kind:     hidden_global_offset_y
      - .offset:         200
        .size:           8
        .value_kind:     hidden_global_offset_z
      - .offset:         208
        .size:           2
        .value_kind:     hidden_grid_dims
    .group_segment_fixed_size: 16
    .kernarg_segment_align: 8
    .kernarg_segment_size: 400
    .language:       OpenCL C
    .language_version:
      - 2
      - 0
    .max_flat_workgroup_size: 1024
    .name:           _ZN5aiter35fused_qk_rmsnorm_group_quant_kernelItN4opus5fp4_tELi128ELi8ELi8ELb1ELb1ELb0ELb1ELb0ELb0EEEvPT0_PvPT_S7_S7_PKS6_S9_S9_S9_S9_ffiiiiiiiiiiiii
    .private_segment_fixed_size: 0
    .sgpr_count:     48
    .sgpr_spill_count: 0
    .symbol:         _ZN5aiter35fused_qk_rmsnorm_group_quant_kernelItN4opus5fp4_tELi128ELi8ELi8ELb1ELb1ELb0ELb1ELb0ELb0EEEvPT0_PvPT_S7_S7_PKS6_S9_S9_S9_S9_ffiiiiiiiiiiiii.kd
    .uniform_work_group_size: 1
    .uses_dynamic_stack: false
    .vgpr_count:     27
    .vgpr_spill_count: 0
    .wavefront_size: 64
  - .agpr_count:     0
    .args:
      - .actual_access:  read_only
        .address_space:  global
        .offset:         0
        .size:           8
        .value_kind:     global_buffer
      - .actual_access:  read_only
        .address_space:  global
        .offset:         8
        .size:           8
        .value_kind:     global_buffer
      - .actual_access:  write_only
        .address_space:  global
        .offset:         16
        .size:           8
        .value_kind:     global_buffer
      - .actual_access:  write_only
        .address_space:  global
        .offset:         24
        .size:           8
        .value_kind:     global_buffer
      - .actual_access:  read_only
        .address_space:  global
        .offset:         32
        .size:           8
        .value_kind:     global_buffer
      - .actual_access:  read_only
        .address_space:  global
        .offset:         40
        .size:           8
        .value_kind:     global_buffer
      - .actual_access:  read_only
        .address_space:  global
        .offset:         48
        .size:           8
        .value_kind:     global_buffer
      - .actual_access:  read_only
        .address_space:  global
        .offset:         56
        .size:           8
        .value_kind:     global_buffer
      - .actual_access:  read_only
        .address_space:  global
        .offset:         64
        .size:           8
        .value_kind:     global_buffer
      - .actual_access:  read_only
        .address_space:  global
        .offset:         72
        .size:           8
        .value_kind:     global_buffer
      - .offset:         80
        .size:           4
        .value_kind:     by_value
      - .offset:         84
        .size:           4
        .value_kind:     by_value
      - .offset:         88
        .size:           4
        .value_kind:     by_value
      - .offset:         92
        .size:           4
        .value_kind:     by_value
      - .offset:         96
        .size:           4
        .value_kind:     by_value
      - .offset:         100
        .size:           4
        .value_kind:     by_value
      - .offset:         104
        .size:           4
        .value_kind:     by_value
      - .offset:         108
        .size:           4
        .value_kind:     by_value
      - .offset:         112
        .size:           4
        .value_kind:     by_value
      - .offset:         116
        .size:           4
        .value_kind:     by_value
      - .offset:         120
        .size:           4
        .value_kind:     by_value
      - .offset:         124
        .size:           4
        .value_kind:     by_value
      - .offset:         128
        .size:           4
        .value_kind:     by_value
      - .offset:         132
        .size:           4
        .value_kind:     by_value
      - .offset:         136
        .size:           4
        .value_kind:     by_value
      - .offset:         144
        .size:           4
        .value_kind:     hidden_block_count_x
      - .offset:         148
        .size:           4
        .value_kind:     hidden_block_count_y
      - .offset:         152
        .size:           4
        .value_kind:     hidden_block_count_z
      - .offset:         156
        .size:           2
        .value_kind:     hidden_group_size_x
      - .offset:         158
        .size:           2
        .value_kind:     hidden_group_size_y
      - .offset:         160
        .size:           2
        .value_kind:     hidden_group_size_z
      - .offset:         162
        .size:           2
        .value_kind:     hidden_remainder_x
      - .offset:         164
        .size:           2
        .value_kind:     hidden_remainder_y
      - .offset:         166
        .size:           2
        .value_kind:     hidden_remainder_z
      - .offset:         184
        .size:           8
        .value_kind:     hidden_global_offset_x
      - .offset:         192
        .size:           8
        .value_kind:     hidden_global_offset_y
      - .offset:         200
        .size:           8
        .value_kind:     hidden_global_offset_z
      - .offset:         208
        .size:           2
        .value_kind:     hidden_grid_dims
    .group_segment_fixed_size: 16
    .kernarg_segment_align: 8
    .kernarg_segment_size: 400
    .language:       OpenCL C
    .language_version:
      - 2
      - 0
    .max_flat_workgroup_size: 1024
    .name:           _ZN5aiter35fused_qk_rmsnorm_group_quant_kernelIDF16_DB8_Li128ELi8ELi8ELb0ELb1ELb1ELb1ELb0ELb0EEEvPT0_PvPT_S6_S6_PKS5_S8_S8_S8_S8_ffiiiiiiiiiiiii
    .private_segment_fixed_size: 0
    .sgpr_count:     36
    .sgpr_spill_count: 0
    .symbol:         _ZN5aiter35fused_qk_rmsnorm_group_quant_kernelIDF16_DB8_Li128ELi8ELi8ELb0ELb1ELb1ELb1ELb0ELb0EEEvPT0_PvPT_S6_S6_PKS5_S8_S8_S8_S8_ffiiiiiiiiiiiii.kd
    .uniform_work_group_size: 1
    .uses_dynamic_stack: false
    .vgpr_count:     23
    .vgpr_spill_count: 0
    .wavefront_size: 64
  - .agpr_count:     0
    .args:
      - .actual_access:  read_only
        .address_space:  global
        .offset:         0
        .size:           8
        .value_kind:     global_buffer
      - .actual_access:  read_only
        .address_space:  global
        .offset:         8
        .size:           8
        .value_kind:     global_buffer
      - .actual_access:  write_only
        .address_space:  global
        .offset:         16
        .size:           8
        .value_kind:     global_buffer
      - .actual_access:  write_only
        .address_space:  global
        .offset:         24
        .size:           8
        .value_kind:     global_buffer
      - .actual_access:  read_only
        .address_space:  global
        .offset:         32
        .size:           8
        .value_kind:     global_buffer
      - .actual_access:  read_only
        .address_space:  global
        .offset:         40
        .size:           8
        .value_kind:     global_buffer
      - .actual_access:  read_only
        .address_space:  global
        .offset:         48
        .size:           8
        .value_kind:     global_buffer
      - .actual_access:  read_only
        .address_space:  global
        .offset:         56
        .size:           8
        .value_kind:     global_buffer
      - .actual_access:  read_only
        .address_space:  global
        .offset:         64
        .size:           8
        .value_kind:     global_buffer
      - .actual_access:  read_only
        .address_space:  global
        .offset:         72
        .size:           8
        .value_kind:     global_buffer
      - .offset:         80
        .size:           4
        .value_kind:     by_value
      - .offset:         84
        .size:           4
        .value_kind:     by_value
      - .offset:         88
        .size:           4
        .value_kind:     by_value
      - .offset:         92
        .size:           4
        .value_kind:     by_value
      - .offset:         96
        .size:           4
        .value_kind:     by_value
      - .offset:         100
        .size:           4
        .value_kind:     by_value
      - .offset:         104
        .size:           4
        .value_kind:     by_value
      - .offset:         108
        .size:           4
        .value_kind:     by_value
      - .offset:         112
        .size:           4
        .value_kind:     by_value
      - .offset:         116
        .size:           4
        .value_kind:     by_value
      - .offset:         120
        .size:           4
        .value_kind:     by_value
      - .offset:         124
        .size:           4
        .value_kind:     by_value
      - .offset:         128
        .size:           4
        .value_kind:     by_value
      - .offset:         132
        .size:           4
        .value_kind:     by_value
      - .offset:         136
        .size:           4
        .value_kind:     by_value
      - .offset:         144
        .size:           4
        .value_kind:     hidden_block_count_x
      - .offset:         148
        .size:           4
        .value_kind:     hidden_block_count_y
      - .offset:         152
        .size:           4
        .value_kind:     hidden_block_count_z
      - .offset:         156
        .size:           2
        .value_kind:     hidden_group_size_x
      - .offset:         158
        .size:           2
        .value_kind:     hidden_group_size_y
      - .offset:         160
        .size:           2
        .value_kind:     hidden_group_size_z
      - .offset:         162
        .size:           2
        .value_kind:     hidden_remainder_x
      - .offset:         164
        .size:           2
        .value_kind:     hidden_remainder_y
      - .offset:         166
        .size:           2
        .value_kind:     hidden_remainder_z
      - .offset:         184
        .size:           8
        .value_kind:     hidden_global_offset_x
      - .offset:         192
        .size:           8
        .value_kind:     hidden_global_offset_y
      - .offset:         200
        .size:           8
        .value_kind:     hidden_global_offset_z
      - .offset:         208
        .size:           2
        .value_kind:     hidden_grid_dims
    .group_segment_fixed_size: 16
    .kernarg_segment_align: 8
    .kernarg_segment_size: 400
    .language:       OpenCL C
    .language_version:
      - 2
      - 0
    .max_flat_workgroup_size: 1024
    .name:           _ZN5aiter35fused_qk_rmsnorm_group_quant_kernelItDB8_Li128ELi8ELi8ELb0ELb1ELb1ELb1ELb0ELb0EEEvPT0_PvPT_S6_S6_PKS5_S8_S8_S8_S8_ffiiiiiiiiiiiii
    .private_segment_fixed_size: 0
    .sgpr_count:     36
    .sgpr_spill_count: 0
    .symbol:         _ZN5aiter35fused_qk_rmsnorm_group_quant_kernelItDB8_Li128ELi8ELi8ELb0ELb1ELb1ELb1ELb0ELb0EEEvPT0_PvPT_S6_S6_PKS5_S8_S8_S8_S8_ffiiiiiiiiiiiii.kd
    .uniform_work_group_size: 1
    .uses_dynamic_stack: false
    .vgpr_count:     23
    .vgpr_spill_count: 0
    .wavefront_size: 64
  - .agpr_count:     0
    .args:
      - .actual_access:  read_only
        .address_space:  global
        .offset:         0
        .size:           8
        .value_kind:     global_buffer
      - .actual_access:  read_only
        .address_space:  global
        .offset:         8
        .size:           8
        .value_kind:     global_buffer
      - .actual_access:  write_only
        .address_space:  global
        .offset:         16
        .size:           8
        .value_kind:     global_buffer
      - .actual_access:  write_only
        .address_space:  global
        .offset:         24
        .size:           8
        .value_kind:     global_buffer
      - .actual_access:  read_only
        .address_space:  global
        .offset:         32
        .size:           8
        .value_kind:     global_buffer
      - .actual_access:  read_only
        .address_space:  global
        .offset:         40
        .size:           8
        .value_kind:     global_buffer
      - .actual_access:  read_only
        .address_space:  global
        .offset:         48
        .size:           8
        .value_kind:     global_buffer
      - .actual_access:  read_only
        .address_space:  global
        .offset:         56
        .size:           8
        .value_kind:     global_buffer
      - .actual_access:  read_only
        .address_space:  global
        .offset:         64
        .size:           8
        .value_kind:     global_buffer
      - .actual_access:  read_only
        .address_space:  global
        .offset:         72
        .size:           8
        .value_kind:     global_buffer
      - .offset:         80
        .size:           4
        .value_kind:     by_value
      - .offset:         84
        .size:           4
        .value_kind:     by_value
      - .offset:         88
        .size:           4
        .value_kind:     by_value
      - .offset:         92
        .size:           4
        .value_kind:     by_value
      - .offset:         96
        .size:           4
        .value_kind:     by_value
      - .offset:         100
        .size:           4
        .value_kind:     by_value
      - .offset:         104
        .size:           4
        .value_kind:     by_value
      - .offset:         108
        .size:           4
        .value_kind:     by_value
      - .offset:         112
        .size:           4
        .value_kind:     by_value
      - .offset:         116
        .size:           4
        .value_kind:     by_value
      - .offset:         120
        .size:           4
        .value_kind:     by_value
      - .offset:         124
        .size:           4
        .value_kind:     by_value
      - .offset:         128
        .size:           4
        .value_kind:     by_value
      - .offset:         132
        .size:           4
        .value_kind:     by_value
      - .offset:         136
        .size:           4
        .value_kind:     by_value
      - .offset:         144
        .size:           4
        .value_kind:     hidden_block_count_x
      - .offset:         148
        .size:           4
        .value_kind:     hidden_block_count_y
      - .offset:         152
        .size:           4
        .value_kind:     hidden_block_count_z
      - .offset:         156
        .size:           2
        .value_kind:     hidden_group_size_x
      - .offset:         158
        .size:           2
        .value_kind:     hidden_group_size_y
      - .offset:         160
        .size:           2
        .value_kind:     hidden_group_size_z
      - .offset:         162
        .size:           2
        .value_kind:     hidden_remainder_x
      - .offset:         164
        .size:           2
        .value_kind:     hidden_remainder_y
      - .offset:         166
        .size:           2
        .value_kind:     hidden_remainder_z
      - .offset:         184
        .size:           8
        .value_kind:     hidden_global_offset_x
      - .offset:         192
        .size:           8
        .value_kind:     hidden_global_offset_y
      - .offset:         200
        .size:           8
        .value_kind:     hidden_global_offset_z
      - .offset:         208
        .size:           2
        .value_kind:     hidden_grid_dims
    .group_segment_fixed_size: 16
    .kernarg_segment_align: 8
    .kernarg_segment_size: 400
    .language:       OpenCL C
    .language_version:
      - 2
      - 0
    .max_flat_workgroup_size: 1024
    .name:           _ZN5aiter35fused_qk_rmsnorm_group_quant_kernelIDF16_N4opus5fp4_tELi128ELi8ELi8ELb0ELb1ELb1ELb1ELb0ELb0EEEvPT0_PvPT_S7_S7_PKS6_S9_S9_S9_S9_ffiiiiiiiiiiiii
    .private_segment_fixed_size: 0
    .sgpr_count:     36
    .sgpr_spill_count: 0
    .symbol:         _ZN5aiter35fused_qk_rmsnorm_group_quant_kernelIDF16_N4opus5fp4_tELi128ELi8ELi8ELb0ELb1ELb1ELb1ELb0ELb0EEEvPT0_PvPT_S7_S7_PKS6_S9_S9_S9_S9_ffiiiiiiiiiiiii.kd
    .uniform_work_group_size: 1
    .uses_dynamic_stack: false
    .vgpr_count:     23
    .vgpr_spill_count: 0
    .wavefront_size: 64
  - .agpr_count:     0
    .args:
      - .actual_access:  read_only
        .address_space:  global
        .offset:         0
        .size:           8
        .value_kind:     global_buffer
      - .actual_access:  read_only
        .address_space:  global
        .offset:         8
        .size:           8
        .value_kind:     global_buffer
      - .actual_access:  write_only
        .address_space:  global
        .offset:         16
        .size:           8
        .value_kind:     global_buffer
      - .actual_access:  write_only
        .address_space:  global
        .offset:         24
        .size:           8
        .value_kind:     global_buffer
      - .actual_access:  read_only
        .address_space:  global
        .offset:         32
        .size:           8
        .value_kind:     global_buffer
      - .actual_access:  read_only
        .address_space:  global
        .offset:         40
        .size:           8
        .value_kind:     global_buffer
      - .actual_access:  read_only
        .address_space:  global
        .offset:         48
        .size:           8
        .value_kind:     global_buffer
      - .actual_access:  read_only
        .address_space:  global
        .offset:         56
        .size:           8
        .value_kind:     global_buffer
      - .actual_access:  read_only
        .address_space:  global
        .offset:         64
        .size:           8
        .value_kind:     global_buffer
      - .actual_access:  read_only
        .address_space:  global
        .offset:         72
        .size:           8
        .value_kind:     global_buffer
      - .offset:         80
        .size:           4
        .value_kind:     by_value
      - .offset:         84
        .size:           4
        .value_kind:     by_value
      - .offset:         88
        .size:           4
        .value_kind:     by_value
      - .offset:         92
        .size:           4
        .value_kind:     by_value
      - .offset:         96
        .size:           4
        .value_kind:     by_value
      - .offset:         100
        .size:           4
        .value_kind:     by_value
      - .offset:         104
        .size:           4
        .value_kind:     by_value
      - .offset:         108
        .size:           4
        .value_kind:     by_value
      - .offset:         112
        .size:           4
        .value_kind:     by_value
      - .offset:         116
        .size:           4
        .value_kind:     by_value
      - .offset:         120
        .size:           4
        .value_kind:     by_value
      - .offset:         124
        .size:           4
        .value_kind:     by_value
      - .offset:         128
        .size:           4
        .value_kind:     by_value
      - .offset:         132
        .size:           4
        .value_kind:     by_value
      - .offset:         136
        .size:           4
        .value_kind:     by_value
      - .offset:         144
        .size:           4
        .value_kind:     hidden_block_count_x
      - .offset:         148
        .size:           4
        .value_kind:     hidden_block_count_y
      - .offset:         152
        .size:           4
        .value_kind:     hidden_block_count_z
      - .offset:         156
        .size:           2
        .value_kind:     hidden_group_size_x
      - .offset:         158
        .size:           2
        .value_kind:     hidden_group_size_y
      - .offset:         160
        .size:           2
        .value_kind:     hidden_group_size_z
      - .offset:         162
        .size:           2
        .value_kind:     hidden_remainder_x
      - .offset:         164
        .size:           2
        .value_kind:     hidden_remainder_y
      - .offset:         166
        .size:           2
        .value_kind:     hidden_remainder_z
      - .offset:         184
        .size:           8
        .value_kind:     hidden_global_offset_x
      - .offset:         192
        .size:           8
        .value_kind:     hidden_global_offset_y
      - .offset:         200
        .size:           8
        .value_kind:     hidden_global_offset_z
      - .offset:         208
        .size:           2
        .value_kind:     hidden_grid_dims
    .group_segment_fixed_size: 16
    .kernarg_segment_align: 8
    .kernarg_segment_size: 400
    .language:       OpenCL C
    .language_version:
      - 2
      - 0
    .max_flat_workgroup_size: 1024
    .name:           _ZN5aiter35fused_qk_rmsnorm_group_quant_kernelItN4opus5fp4_tELi128ELi8ELi8ELb0ELb1ELb1ELb1ELb0ELb0EEEvPT0_PvPT_S7_S7_PKS6_S9_S9_S9_S9_ffiiiiiiiiiiiii
    .private_segment_fixed_size: 0
    .sgpr_count:     36
    .sgpr_spill_count: 0
    .symbol:         _ZN5aiter35fused_qk_rmsnorm_group_quant_kernelItN4opus5fp4_tELi128ELi8ELi8ELb0ELb1ELb1ELb1ELb0ELb0EEEvPT0_PvPT_S7_S7_PKS6_S9_S9_S9_S9_ffiiiiiiiiiiiii.kd
    .uniform_work_group_size: 1
    .uses_dynamic_stack: false
    .vgpr_count:     23
    .vgpr_spill_count: 0
    .wavefront_size: 64
  - .agpr_count:     0
    .args:
      - .actual_access:  read_only
        .address_space:  global
        .offset:         0
        .size:           8
        .value_kind:     global_buffer
      - .actual_access:  read_only
        .address_space:  global
        .offset:         8
        .size:           8
        .value_kind:     global_buffer
      - .actual_access:  write_only
        .address_space:  global
        .offset:         16
        .size:           8
        .value_kind:     global_buffer
      - .actual_access:  write_only
        .address_space:  global
        .offset:         24
        .size:           8
        .value_kind:     global_buffer
      - .actual_access:  read_only
        .address_space:  global
        .offset:         32
        .size:           8
        .value_kind:     global_buffer
      - .actual_access:  read_only
        .address_space:  global
        .offset:         40
        .size:           8
        .value_kind:     global_buffer
      - .actual_access:  read_only
        .address_space:  global
        .offset:         48
        .size:           8
        .value_kind:     global_buffer
      - .actual_access:  read_only
        .address_space:  global
        .offset:         56
        .size:           8
        .value_kind:     global_buffer
      - .actual_access:  read_only
        .address_space:  global
        .offset:         64
        .size:           8
        .value_kind:     global_buffer
      - .actual_access:  read_only
        .address_space:  global
        .offset:         72
        .size:           8
        .value_kind:     global_buffer
      - .offset:         80
        .size:           4
        .value_kind:     by_value
      - .offset:         84
        .size:           4
        .value_kind:     by_value
      - .offset:         88
        .size:           4
        .value_kind:     by_value
      - .offset:         92
        .size:           4
        .value_kind:     by_value
      - .offset:         96
        .size:           4
        .value_kind:     by_value
      - .offset:         100
        .size:           4
        .value_kind:     by_value
      - .offset:         104
        .size:           4
        .value_kind:     by_value
      - .offset:         108
        .size:           4
        .value_kind:     by_value
      - .offset:         112
        .size:           4
        .value_kind:     by_value
      - .offset:         116
        .size:           4
        .value_kind:     by_value
      - .offset:         120
        .size:           4
        .value_kind:     by_value
      - .offset:         124
        .size:           4
        .value_kind:     by_value
      - .offset:         128
        .size:           4
        .value_kind:     by_value
      - .offset:         132
        .size:           4
        .value_kind:     by_value
      - .offset:         136
        .size:           4
        .value_kind:     by_value
      - .offset:         144
        .size:           4
        .value_kind:     hidden_block_count_x
      - .offset:         148
        .size:           4
        .value_kind:     hidden_block_count_y
      - .offset:         152
        .size:           4
        .value_kind:     hidden_block_count_z
      - .offset:         156
        .size:           2
        .value_kind:     hidden_group_size_x
      - .offset:         158
        .size:           2
        .value_kind:     hidden_group_size_y
      - .offset:         160
        .size:           2
        .value_kind:     hidden_group_size_z
      - .offset:         162
        .size:           2
        .value_kind:     hidden_remainder_x
      - .offset:         164
        .size:           2
        .value_kind:     hidden_remainder_y
      - .offset:         166
        .size:           2
        .value_kind:     hidden_remainder_z
      - .offset:         184
        .size:           8
        .value_kind:     hidden_global_offset_x
      - .offset:         192
        .size:           8
        .value_kind:     hidden_global_offset_y
      - .offset:         200
        .size:           8
        .value_kind:     hidden_global_offset_z
      - .offset:         208
        .size:           2
        .value_kind:     hidden_grid_dims
    .group_segment_fixed_size: 16
    .kernarg_segment_align: 8
    .kernarg_segment_size: 400
    .language:       OpenCL C
    .language_version:
      - 2
      - 0
    .max_flat_workgroup_size: 1024
    .name:           _ZN5aiter35fused_qk_rmsnorm_group_quant_kernelIDF16_DB8_Li128ELi8ELi8ELb0ELb1ELb0ELb1ELb0ELb0EEEvPT0_PvPT_S6_S6_PKS5_S8_S8_S8_S8_ffiiiiiiiiiiiii
    .private_segment_fixed_size: 0
    .sgpr_count:     36
    .sgpr_spill_count: 0
    .symbol:         _ZN5aiter35fused_qk_rmsnorm_group_quant_kernelIDF16_DB8_Li128ELi8ELi8ELb0ELb1ELb0ELb1ELb0ELb0EEEvPT0_PvPT_S6_S6_PKS5_S8_S8_S8_S8_ffiiiiiiiiiiiii.kd
    .uniform_work_group_size: 1
    .uses_dynamic_stack: false
    .vgpr_count:     23
    .vgpr_spill_count: 0
    .wavefront_size: 64
  - .agpr_count:     0
    .args:
      - .actual_access:  read_only
        .address_space:  global
        .offset:         0
        .size:           8
        .value_kind:     global_buffer
      - .actual_access:  read_only
        .address_space:  global
        .offset:         8
        .size:           8
        .value_kind:     global_buffer
      - .actual_access:  write_only
        .address_space:  global
        .offset:         16
        .size:           8
        .value_kind:     global_buffer
      - .actual_access:  write_only
        .address_space:  global
        .offset:         24
        .size:           8
        .value_kind:     global_buffer
      - .actual_access:  read_only
        .address_space:  global
        .offset:         32
        .size:           8
        .value_kind:     global_buffer
      - .actual_access:  read_only
        .address_space:  global
        .offset:         40
        .size:           8
        .value_kind:     global_buffer
      - .actual_access:  read_only
        .address_space:  global
        .offset:         48
        .size:           8
        .value_kind:     global_buffer
      - .actual_access:  read_only
        .address_space:  global
        .offset:         56
        .size:           8
        .value_kind:     global_buffer
      - .actual_access:  read_only
        .address_space:  global
        .offset:         64
        .size:           8
        .value_kind:     global_buffer
      - .actual_access:  read_only
        .address_space:  global
        .offset:         72
        .size:           8
        .value_kind:     global_buffer
      - .offset:         80
        .size:           4
        .value_kind:     by_value
      - .offset:         84
        .size:           4
        .value_kind:     by_value
      - .offset:         88
        .size:           4
        .value_kind:     by_value
      - .offset:         92
        .size:           4
        .value_kind:     by_value
      - .offset:         96
        .size:           4
        .value_kind:     by_value
      - .offset:         100
        .size:           4
        .value_kind:     by_value
      - .offset:         104
        .size:           4
        .value_kind:     by_value
      - .offset:         108
        .size:           4
        .value_kind:     by_value
      - .offset:         112
        .size:           4
        .value_kind:     by_value
      - .offset:         116
        .size:           4
        .value_kind:     by_value
      - .offset:         120
        .size:           4
        .value_kind:     by_value
      - .offset:         124
        .size:           4
        .value_kind:     by_value
      - .offset:         128
        .size:           4
        .value_kind:     by_value
      - .offset:         132
        .size:           4
        .value_kind:     by_value
      - .offset:         136
        .size:           4
        .value_kind:     by_value
      - .offset:         144
        .size:           4
        .value_kind:     hidden_block_count_x
      - .offset:         148
        .size:           4
        .value_kind:     hidden_block_count_y
      - .offset:         152
        .size:           4
        .value_kind:     hidden_block_count_z
      - .offset:         156
        .size:           2
        .value_kind:     hidden_group_size_x
      - .offset:         158
        .size:           2
        .value_kind:     hidden_group_size_y
      - .offset:         160
        .size:           2
        .value_kind:     hidden_group_size_z
      - .offset:         162
        .size:           2
        .value_kind:     hidden_remainder_x
      - .offset:         164
        .size:           2
        .value_kind:     hidden_remainder_y
      - .offset:         166
        .size:           2
        .value_kind:     hidden_remainder_z
      - .offset:         184
        .size:           8
        .value_kind:     hidden_global_offset_x
      - .offset:         192
        .size:           8
        .value_kind:     hidden_global_offset_y
      - .offset:         200
        .size:           8
        .value_kind:     hidden_global_offset_z
      - .offset:         208
        .size:           2
        .value_kind:     hidden_grid_dims
    .group_segment_fixed_size: 16
    .kernarg_segment_align: 8
    .kernarg_segment_size: 400
    .language:       OpenCL C
    .language_version:
      - 2
      - 0
    .max_flat_workgroup_size: 1024
    .name:           _ZN5aiter35fused_qk_rmsnorm_group_quant_kernelItDB8_Li128ELi8ELi8ELb0ELb1ELb0ELb1ELb0ELb0EEEvPT0_PvPT_S6_S6_PKS5_S8_S8_S8_S8_ffiiiiiiiiiiiii
    .private_segment_fixed_size: 0
    .sgpr_count:     36
    .sgpr_spill_count: 0
    .symbol:         _ZN5aiter35fused_qk_rmsnorm_group_quant_kernelItDB8_Li128ELi8ELi8ELb0ELb1ELb0ELb1ELb0ELb0EEEvPT0_PvPT_S6_S6_PKS5_S8_S8_S8_S8_ffiiiiiiiiiiiii.kd
    .uniform_work_group_size: 1
    .uses_dynamic_stack: false
    .vgpr_count:     23
    .vgpr_spill_count: 0
    .wavefront_size: 64
  - .agpr_count:     0
    .args:
      - .actual_access:  read_only
        .address_space:  global
        .offset:         0
        .size:           8
        .value_kind:     global_buffer
      - .actual_access:  read_only
        .address_space:  global
        .offset:         8
        .size:           8
        .value_kind:     global_buffer
      - .actual_access:  write_only
        .address_space:  global
        .offset:         16
        .size:           8
        .value_kind:     global_buffer
      - .actual_access:  write_only
        .address_space:  global
        .offset:         24
        .size:           8
        .value_kind:     global_buffer
      - .actual_access:  read_only
        .address_space:  global
        .offset:         32
        .size:           8
        .value_kind:     global_buffer
      - .actual_access:  read_only
        .address_space:  global
        .offset:         40
        .size:           8
        .value_kind:     global_buffer
      - .actual_access:  read_only
        .address_space:  global
        .offset:         48
        .size:           8
        .value_kind:     global_buffer
      - .actual_access:  read_only
        .address_space:  global
        .offset:         56
        .size:           8
        .value_kind:     global_buffer
      - .actual_access:  read_only
        .address_space:  global
        .offset:         64
        .size:           8
        .value_kind:     global_buffer
      - .actual_access:  read_only
        .address_space:  global
        .offset:         72
        .size:           8
        .value_kind:     global_buffer
      - .offset:         80
        .size:           4
        .value_kind:     by_value
      - .offset:         84
        .size:           4
        .value_kind:     by_value
      - .offset:         88
        .size:           4
        .value_kind:     by_value
      - .offset:         92
        .size:           4
        .value_kind:     by_value
      - .offset:         96
        .size:           4
        .value_kind:     by_value
      - .offset:         100
        .size:           4
        .value_kind:     by_value
      - .offset:         104
        .size:           4
        .value_kind:     by_value
      - .offset:         108
        .size:           4
        .value_kind:     by_value
      - .offset:         112
        .size:           4
        .value_kind:     by_value
      - .offset:         116
        .size:           4
        .value_kind:     by_value
      - .offset:         120
        .size:           4
        .value_kind:     by_value
      - .offset:         124
        .size:           4
        .value_kind:     by_value
      - .offset:         128
        .size:           4
        .value_kind:     by_value
      - .offset:         132
        .size:           4
        .value_kind:     by_value
      - .offset:         136
        .size:           4
        .value_kind:     by_value
      - .offset:         144
        .size:           4
        .value_kind:     hidden_block_count_x
      - .offset:         148
        .size:           4
        .value_kind:     hidden_block_count_y
      - .offset:         152
        .size:           4
        .value_kind:     hidden_block_count_z
      - .offset:         156
        .size:           2
        .value_kind:     hidden_group_size_x
      - .offset:         158
        .size:           2
        .value_kind:     hidden_group_size_y
      - .offset:         160
        .size:           2
        .value_kind:     hidden_group_size_z
      - .offset:         162
        .size:           2
        .value_kind:     hidden_remainder_x
      - .offset:         164
        .size:           2
        .value_kind:     hidden_remainder_y
      - .offset:         166
        .size:           2
        .value_kind:     hidden_remainder_z
      - .offset:         184
        .size:           8
        .value_kind:     hidden_global_offset_x
      - .offset:         192
        .size:           8
        .value_kind:     hidden_global_offset_y
      - .offset:         200
        .size:           8
        .value_kind:     hidden_global_offset_z
      - .offset:         208
        .size:           2
        .value_kind:     hidden_grid_dims
    .group_segment_fixed_size: 16
    .kernarg_segment_align: 8
    .kernarg_segment_size: 400
    .language:       OpenCL C
    .language_version:
      - 2
      - 0
    .max_flat_workgroup_size: 1024
    .name:           _ZN5aiter35fused_qk_rmsnorm_group_quant_kernelIDF16_N4opus5fp4_tELi128ELi8ELi8ELb0ELb1ELb0ELb1ELb0ELb0EEEvPT0_PvPT_S7_S7_PKS6_S9_S9_S9_S9_ffiiiiiiiiiiiii
    .private_segment_fixed_size: 0
    .sgpr_count:     36
    .sgpr_spill_count: 0
    .symbol:         _ZN5aiter35fused_qk_rmsnorm_group_quant_kernelIDF16_N4opus5fp4_tELi128ELi8ELi8ELb0ELb1ELb0ELb1ELb0ELb0EEEvPT0_PvPT_S7_S7_PKS6_S9_S9_S9_S9_ffiiiiiiiiiiiii.kd
    .uniform_work_group_size: 1
    .uses_dynamic_stack: false
    .vgpr_count:     23
    .vgpr_spill_count: 0
    .wavefront_size: 64
  - .agpr_count:     0
    .args:
      - .actual_access:  read_only
        .address_space:  global
        .offset:         0
        .size:           8
        .value_kind:     global_buffer
      - .actual_access:  read_only
        .address_space:  global
        .offset:         8
        .size:           8
        .value_kind:     global_buffer
      - .actual_access:  write_only
        .address_space:  global
        .offset:         16
        .size:           8
        .value_kind:     global_buffer
      - .actual_access:  write_only
        .address_space:  global
        .offset:         24
        .size:           8
        .value_kind:     global_buffer
      - .actual_access:  read_only
        .address_space:  global
        .offset:         32
        .size:           8
        .value_kind:     global_buffer
      - .actual_access:  read_only
        .address_space:  global
        .offset:         40
        .size:           8
        .value_kind:     global_buffer
      - .actual_access:  read_only
        .address_space:  global
        .offset:         48
        .size:           8
        .value_kind:     global_buffer
      - .actual_access:  read_only
        .address_space:  global
        .offset:         56
        .size:           8
        .value_kind:     global_buffer
      - .actual_access:  read_only
        .address_space:  global
        .offset:         64
        .size:           8
        .value_kind:     global_buffer
      - .actual_access:  read_only
        .address_space:  global
        .offset:         72
        .size:           8
        .value_kind:     global_buffer
      - .offset:         80
        .size:           4
        .value_kind:     by_value
      - .offset:         84
        .size:           4
        .value_kind:     by_value
      - .offset:         88
        .size:           4
        .value_kind:     by_value
      - .offset:         92
        .size:           4
        .value_kind:     by_value
      - .offset:         96
        .size:           4
        .value_kind:     by_value
      - .offset:         100
        .size:           4
        .value_kind:     by_value
      - .offset:         104
        .size:           4
        .value_kind:     by_value
      - .offset:         108
        .size:           4
        .value_kind:     by_value
      - .offset:         112
        .size:           4
        .value_kind:     by_value
      - .offset:         116
        .size:           4
        .value_kind:     by_value
      - .offset:         120
        .size:           4
        .value_kind:     by_value
      - .offset:         124
        .size:           4
        .value_kind:     by_value
      - .offset:         128
        .size:           4
        .value_kind:     by_value
      - .offset:         132
        .size:           4
        .value_kind:     by_value
      - .offset:         136
        .size:           4
        .value_kind:     by_value
      - .offset:         144
        .size:           4
        .value_kind:     hidden_block_count_x
      - .offset:         148
        .size:           4
        .value_kind:     hidden_block_count_y
      - .offset:         152
        .size:           4
        .value_kind:     hidden_block_count_z
      - .offset:         156
        .size:           2
        .value_kind:     hidden_group_size_x
      - .offset:         158
        .size:           2
        .value_kind:     hidden_group_size_y
      - .offset:         160
        .size:           2
        .value_kind:     hidden_group_size_z
      - .offset:         162
        .size:           2
        .value_kind:     hidden_remainder_x
      - .offset:         164
        .size:           2
        .value_kind:     hidden_remainder_y
      - .offset:         166
        .size:           2
        .value_kind:     hidden_remainder_z
      - .offset:         184
        .size:           8
        .value_kind:     hidden_global_offset_x
      - .offset:         192
        .size:           8
        .value_kind:     hidden_global_offset_y
      - .offset:         200
        .size:           8
        .value_kind:     hidden_global_offset_z
      - .offset:         208
        .size:           2
        .value_kind:     hidden_grid_dims
    .group_segment_fixed_size: 16
    .kernarg_segment_align: 8
    .kernarg_segment_size: 400
    .language:       OpenCL C
    .language_version:
      - 2
      - 0
    .max_flat_workgroup_size: 1024
    .name:           _ZN5aiter35fused_qk_rmsnorm_group_quant_kernelItN4opus5fp4_tELi128ELi8ELi8ELb0ELb1ELb0ELb1ELb0ELb0EEEvPT0_PvPT_S7_S7_PKS6_S9_S9_S9_S9_ffiiiiiiiiiiiii
    .private_segment_fixed_size: 0
    .sgpr_count:     36
    .sgpr_spill_count: 0
    .symbol:         _ZN5aiter35fused_qk_rmsnorm_group_quant_kernelItN4opus5fp4_tELi128ELi8ELi8ELb0ELb1ELb0ELb1ELb0ELb0EEEvPT0_PvPT_S7_S7_PKS6_S9_S9_S9_S9_ffiiiiiiiiiiiii.kd
    .uniform_work_group_size: 1
    .uses_dynamic_stack: false
    .vgpr_count:     23
    .vgpr_spill_count: 0
    .wavefront_size: 64
  - .agpr_count:     0
    .args:
      - .actual_access:  write_only
        .address_space:  global
        .offset:         0
        .size:           8
        .value_kind:     global_buffer
      - .actual_access:  write_only
        .address_space:  global
        .offset:         8
        .size:           8
        .value_kind:     global_buffer
      - .actual_access:  write_only
        .address_space:  global
        .offset:         16
        .size:           8
        .value_kind:     global_buffer
      - .actual_access:  write_only
        .address_space:  global
        .offset:         24
        .size:           8
        .value_kind:     global_buffer
      - .actual_access:  write_only
        .address_space:  global
        .offset:         32
        .size:           8
        .value_kind:     global_buffer
      - .actual_access:  read_only
        .address_space:  global
        .offset:         40
        .size:           8
        .value_kind:     global_buffer
      - .actual_access:  read_only
        .address_space:  global
        .offset:         48
        .size:           8
        .value_kind:     global_buffer
      - .actual_access:  read_only
        .address_space:  global
        .offset:         56
        .size:           8
        .value_kind:     global_buffer
      - .actual_access:  read_only
        .address_space:  global
        .offset:         64
        .size:           8
        .value_kind:     global_buffer
      - .actual_access:  read_only
        .address_space:  global
        .offset:         72
        .size:           8
        .value_kind:     global_buffer
      - .offset:         80
        .size:           4
        .value_kind:     by_value
      - .offset:         84
        .size:           4
        .value_kind:     by_value
      - .offset:         88
        .size:           4
        .value_kind:     by_value
      - .offset:         92
        .size:           4
        .value_kind:     by_value
      - .offset:         96
        .size:           4
        .value_kind:     by_value
      - .offset:         100
        .size:           4
        .value_kind:     by_value
      - .offset:         104
        .size:           4
        .value_kind:     by_value
      - .offset:         108
        .size:           4
        .value_kind:     by_value
      - .offset:         112
        .size:           4
        .value_kind:     by_value
      - .offset:         116
        .size:           4
        .value_kind:     by_value
      - .offset:         120
        .size:           4
        .value_kind:     by_value
      - .offset:         124
        .size:           4
        .value_kind:     by_value
      - .offset:         128
        .size:           4
        .value_kind:     by_value
      - .offset:         132
        .size:           4
        .value_kind:     by_value
      - .offset:         136
        .size:           4
        .value_kind:     by_value
      - .offset:         144
        .size:           4
        .value_kind:     hidden_block_count_x
      - .offset:         148
        .size:           4
        .value_kind:     hidden_block_count_y
      - .offset:         152
        .size:           4
        .value_kind:     hidden_block_count_z
      - .offset:         156
        .size:           2
        .value_kind:     hidden_group_size_x
      - .offset:         158
        .size:           2
        .value_kind:     hidden_group_size_y
      - .offset:         160
        .size:           2
        .value_kind:     hidden_group_size_z
      - .offset:         162
        .size:           2
        .value_kind:     hidden_remainder_x
      - .offset:         164
        .size:           2
        .value_kind:     hidden_remainder_y
      - .offset:         166
        .size:           2
        .value_kind:     hidden_remainder_z
      - .offset:         184
        .size:           8
        .value_kind:     hidden_global_offset_x
      - .offset:         192
        .size:           8
        .value_kind:     hidden_global_offset_y
      - .offset:         200
        .size:           8
        .value_kind:     hidden_global_offset_z
      - .offset:         208
        .size:           2
        .value_kind:     hidden_grid_dims
    .group_segment_fixed_size: 16
    .kernarg_segment_align: 8
    .kernarg_segment_size: 400
    .language:       OpenCL C
    .language_version:
      - 2
      - 0
    .max_flat_workgroup_size: 1024
    .name:           _ZN5aiter35fused_qk_rmsnorm_group_quant_kernelIDF16_DB8_Li128ELi8ELi8ELb1ELb1ELb1ELb0ELb0ELb0EEEvPT0_PvPT_S6_S6_PKS5_S8_S8_S8_S8_ffiiiiiiiiiiiii
    .private_segment_fixed_size: 0
    .sgpr_count:     48
    .sgpr_spill_count: 0
    .symbol:         _ZN5aiter35fused_qk_rmsnorm_group_quant_kernelIDF16_DB8_Li128ELi8ELi8ELb1ELb1ELb1ELb0ELb0ELb0EEEvPT0_PvPT_S6_S6_PKS5_S8_S8_S8_S8_ffiiiiiiiiiiiii.kd
    .uniform_work_group_size: 1
    .uses_dynamic_stack: false
    .vgpr_count:     31
    .vgpr_spill_count: 0
    .wavefront_size: 64
  - .agpr_count:     0
    .args:
      - .actual_access:  write_only
        .address_space:  global
        .offset:         0
        .size:           8
        .value_kind:     global_buffer
      - .actual_access:  write_only
        .address_space:  global
        .offset:         8
        .size:           8
        .value_kind:     global_buffer
      - .actual_access:  write_only
        .address_space:  global
        .offset:         16
        .size:           8
        .value_kind:     global_buffer
      - .actual_access:  write_only
        .address_space:  global
        .offset:         24
        .size:           8
        .value_kind:     global_buffer
      - .actual_access:  write_only
        .address_space:  global
        .offset:         32
        .size:           8
        .value_kind:     global_buffer
      - .actual_access:  read_only
        .address_space:  global
        .offset:         40
        .size:           8
        .value_kind:     global_buffer
      - .actual_access:  read_only
        .address_space:  global
        .offset:         48
        .size:           8
        .value_kind:     global_buffer
      - .actual_access:  read_only
        .address_space:  global
        .offset:         56
        .size:           8
        .value_kind:     global_buffer
      - .actual_access:  read_only
        .address_space:  global
        .offset:         64
        .size:           8
        .value_kind:     global_buffer
      - .actual_access:  read_only
        .address_space:  global
        .offset:         72
        .size:           8
        .value_kind:     global_buffer
      - .offset:         80
        .size:           4
        .value_kind:     by_value
      - .offset:         84
        .size:           4
        .value_kind:     by_value
      - .offset:         88
        .size:           4
        .value_kind:     by_value
      - .offset:         92
        .size:           4
        .value_kind:     by_value
      - .offset:         96
        .size:           4
        .value_kind:     by_value
      - .offset:         100
        .size:           4
        .value_kind:     by_value
      - .offset:         104
        .size:           4
        .value_kind:     by_value
      - .offset:         108
        .size:           4
        .value_kind:     by_value
      - .offset:         112
        .size:           4
        .value_kind:     by_value
      - .offset:         116
        .size:           4
        .value_kind:     by_value
      - .offset:         120
        .size:           4
        .value_kind:     by_value
      - .offset:         124
        .size:           4
        .value_kind:     by_value
      - .offset:         128
        .size:           4
        .value_kind:     by_value
      - .offset:         132
        .size:           4
        .value_kind:     by_value
      - .offset:         136
        .size:           4
        .value_kind:     by_value
      - .offset:         144
        .size:           4
        .value_kind:     hidden_block_count_x
      - .offset:         148
        .size:           4
        .value_kind:     hidden_block_count_y
      - .offset:         152
        .size:           4
        .value_kind:     hidden_block_count_z
      - .offset:         156
        .size:           2
        .value_kind:     hidden_group_size_x
      - .offset:         158
        .size:           2
        .value_kind:     hidden_group_size_y
      - .offset:         160
        .size:           2
        .value_kind:     hidden_group_size_z
      - .offset:         162
        .size:           2
        .value_kind:     hidden_remainder_x
      - .offset:         164
        .size:           2
        .value_kind:     hidden_remainder_y
      - .offset:         166
        .size:           2
        .value_kind:     hidden_remainder_z
      - .offset:         184
        .size:           8
        .value_kind:     hidden_global_offset_x
      - .offset:         192
        .size:           8
        .value_kind:     hidden_global_offset_y
      - .offset:         200
        .size:           8
        .value_kind:     hidden_global_offset_z
      - .offset:         208
        .size:           2
        .value_kind:     hidden_grid_dims
    .group_segment_fixed_size: 16
    .kernarg_segment_align: 8
    .kernarg_segment_size: 400
    .language:       OpenCL C
    .language_version:
      - 2
      - 0
    .max_flat_workgroup_size: 1024
    .name:           _ZN5aiter35fused_qk_rmsnorm_group_quant_kernelItDB8_Li128ELi8ELi8ELb1ELb1ELb1ELb0ELb0ELb0EEEvPT0_PvPT_S6_S6_PKS5_S8_S8_S8_S8_ffiiiiiiiiiiiii
    .private_segment_fixed_size: 0
    .sgpr_count:     52
    .sgpr_spill_count: 0
    .symbol:         _ZN5aiter35fused_qk_rmsnorm_group_quant_kernelItDB8_Li128ELi8ELi8ELb1ELb1ELb1ELb0ELb0ELb0EEEvPT0_PvPT_S6_S6_PKS5_S8_S8_S8_S8_ffiiiiiiiiiiiii.kd
    .uniform_work_group_size: 1
    .uses_dynamic_stack: false
    .vgpr_count:     27
    .vgpr_spill_count: 0
    .wavefront_size: 64
  - .agpr_count:     0
    .args:
      - .actual_access:  write_only
        .address_space:  global
        .offset:         0
        .size:           8
        .value_kind:     global_buffer
      - .actual_access:  write_only
        .address_space:  global
        .offset:         8
        .size:           8
        .value_kind:     global_buffer
      - .actual_access:  write_only
        .address_space:  global
        .offset:         16
        .size:           8
        .value_kind:     global_buffer
      - .actual_access:  write_only
        .address_space:  global
        .offset:         24
        .size:           8
        .value_kind:     global_buffer
      - .actual_access:  write_only
        .address_space:  global
        .offset:         32
        .size:           8
        .value_kind:     global_buffer
      - .actual_access:  read_only
        .address_space:  global
        .offset:         40
        .size:           8
        .value_kind:     global_buffer
      - .actual_access:  read_only
        .address_space:  global
        .offset:         48
        .size:           8
        .value_kind:     global_buffer
      - .actual_access:  read_only
        .address_space:  global
        .offset:         56
        .size:           8
        .value_kind:     global_buffer
      - .actual_access:  read_only
        .address_space:  global
        .offset:         64
        .size:           8
        .value_kind:     global_buffer
      - .actual_access:  read_only
        .address_space:  global
        .offset:         72
        .size:           8
        .value_kind:     global_buffer
      - .offset:         80
        .size:           4
        .value_kind:     by_value
      - .offset:         84
        .size:           4
        .value_kind:     by_value
      - .offset:         88
        .size:           4
        .value_kind:     by_value
      - .offset:         92
        .size:           4
        .value_kind:     by_value
      - .offset:         96
        .size:           4
        .value_kind:     by_value
      - .offset:         100
        .size:           4
        .value_kind:     by_value
      - .offset:         104
        .size:           4
        .value_kind:     by_value
      - .offset:         108
        .size:           4
        .value_kind:     by_value
      - .offset:         112
        .size:           4
        .value_kind:     by_value
      - .offset:         116
        .size:           4
        .value_kind:     by_value
      - .offset:         120
        .size:           4
        .value_kind:     by_value
      - .offset:         124
        .size:           4
        .value_kind:     by_value
      - .offset:         128
        .size:           4
        .value_kind:     by_value
      - .offset:         132
        .size:           4
        .value_kind:     by_value
      - .offset:         136
        .size:           4
        .value_kind:     by_value
      - .offset:         144
        .size:           4
        .value_kind:     hidden_block_count_x
      - .offset:         148
        .size:           4
        .value_kind:     hidden_block_count_y
      - .offset:         152
        .size:           4
        .value_kind:     hidden_block_count_z
      - .offset:         156
        .size:           2
        .value_kind:     hidden_group_size_x
      - .offset:         158
        .size:           2
        .value_kind:     hidden_group_size_y
      - .offset:         160
        .size:           2
        .value_kind:     hidden_group_size_z
      - .offset:         162
        .size:           2
        .value_kind:     hidden_remainder_x
      - .offset:         164
        .size:           2
        .value_kind:     hidden_remainder_y
      - .offset:         166
        .size:           2
        .value_kind:     hidden_remainder_z
      - .offset:         184
        .size:           8
        .value_kind:     hidden_global_offset_x
      - .offset:         192
        .size:           8
        .value_kind:     hidden_global_offset_y
      - .offset:         200
        .size:           8
        .value_kind:     hidden_global_offset_z
      - .offset:         208
        .size:           2
        .value_kind:     hidden_grid_dims
    .group_segment_fixed_size: 16
    .kernarg_segment_align: 8
    .kernarg_segment_size: 400
    .language:       OpenCL C
    .language_version:
      - 2
      - 0
    .max_flat_workgroup_size: 1024
    .name:           _ZN5aiter35fused_qk_rmsnorm_group_quant_kernelIDF16_N4opus5fp4_tELi128ELi8ELi8ELb1ELb1ELb1ELb0ELb0ELb0EEEvPT0_PvPT_S7_S7_PKS6_S9_S9_S9_S9_ffiiiiiiiiiiiii
    .private_segment_fixed_size: 0
    .sgpr_count:     48
    .sgpr_spill_count: 0
    .symbol:         _ZN5aiter35fused_qk_rmsnorm_group_quant_kernelIDF16_N4opus5fp4_tELi128ELi8ELi8ELb1ELb1ELb1ELb0ELb0ELb0EEEvPT0_PvPT_S7_S7_PKS6_S9_S9_S9_S9_ffiiiiiiiiiiiii.kd
    .uniform_work_group_size: 1
    .uses_dynamic_stack: false
    .vgpr_count:     25
    .vgpr_spill_count: 0
    .wavefront_size: 64
  - .agpr_count:     0
    .args:
      - .actual_access:  write_only
        .address_space:  global
        .offset:         0
        .size:           8
        .value_kind:     global_buffer
      - .actual_access:  write_only
        .address_space:  global
        .offset:         8
        .size:           8
        .value_kind:     global_buffer
      - .actual_access:  write_only
        .address_space:  global
        .offset:         16
        .size:           8
        .value_kind:     global_buffer
      - .actual_access:  write_only
        .address_space:  global
        .offset:         24
        .size:           8
        .value_kind:     global_buffer
      - .actual_access:  write_only
        .address_space:  global
        .offset:         32
        .size:           8
        .value_kind:     global_buffer
      - .actual_access:  read_only
        .address_space:  global
        .offset:         40
        .size:           8
        .value_kind:     global_buffer
      - .actual_access:  read_only
        .address_space:  global
        .offset:         48
        .size:           8
        .value_kind:     global_buffer
      - .actual_access:  read_only
        .address_space:  global
        .offset:         56
        .size:           8
        .value_kind:     global_buffer
      - .actual_access:  read_only
        .address_space:  global
        .offset:         64
        .size:           8
        .value_kind:     global_buffer
      - .actual_access:  read_only
        .address_space:  global
        .offset:         72
        .size:           8
        .value_kind:     global_buffer
      - .offset:         80
        .size:           4
        .value_kind:     by_value
      - .offset:         84
        .size:           4
        .value_kind:     by_value
      - .offset:         88
        .size:           4
        .value_kind:     by_value
      - .offset:         92
        .size:           4
        .value_kind:     by_value
      - .offset:         96
        .size:           4
        .value_kind:     by_value
      - .offset:         100
        .size:           4
        .value_kind:     by_value
      - .offset:         104
        .size:           4
        .value_kind:     by_value
      - .offset:         108
        .size:           4
        .value_kind:     by_value
      - .offset:         112
        .size:           4
        .value_kind:     by_value
      - .offset:         116
        .size:           4
        .value_kind:     by_value
      - .offset:         120
        .size:           4
        .value_kind:     by_value
      - .offset:         124
        .size:           4
        .value_kind:     by_value
      - .offset:         128
        .size:           4
        .value_kind:     by_value
      - .offset:         132
        .size:           4
        .value_kind:     by_value
      - .offset:         136
        .size:           4
        .value_kind:     by_value
      - .offset:         144
        .size:           4
        .value_kind:     hidden_block_count_x
      - .offset:         148
        .size:           4
        .value_kind:     hidden_block_count_y
      - .offset:         152
        .size:           4
        .value_kind:     hidden_block_count_z
      - .offset:         156
        .size:           2
        .value_kind:     hidden_group_size_x
      - .offset:         158
        .size:           2
        .value_kind:     hidden_group_size_y
      - .offset:         160
        .size:           2
        .value_kind:     hidden_group_size_z
      - .offset:         162
        .size:           2
        .value_kind:     hidden_remainder_x
      - .offset:         164
        .size:           2
        .value_kind:     hidden_remainder_y
      - .offset:         166
        .size:           2
        .value_kind:     hidden_remainder_z
      - .offset:         184
        .size:           8
        .value_kind:     hidden_global_offset_x
      - .offset:         192
        .size:           8
        .value_kind:     hidden_global_offset_y
      - .offset:         200
        .size:           8
        .value_kind:     hidden_global_offset_z
      - .offset:         208
        .size:           2
        .value_kind:     hidden_grid_dims
    .group_segment_fixed_size: 16
    .kernarg_segment_align: 8
    .kernarg_segment_size: 400
    .language:       OpenCL C
    .language_version:
      - 2
      - 0
    .max_flat_workgroup_size: 1024
    .name:           _ZN5aiter35fused_qk_rmsnorm_group_quant_kernelItN4opus5fp4_tELi128ELi8ELi8ELb1ELb1ELb1ELb0ELb0ELb0EEEvPT0_PvPT_S7_S7_PKS6_S9_S9_S9_S9_ffiiiiiiiiiiiii
    .private_segment_fixed_size: 0
    .sgpr_count:     52
    .sgpr_spill_count: 0
    .symbol:         _ZN5aiter35fused_qk_rmsnorm_group_quant_kernelItN4opus5fp4_tELi128ELi8ELi8ELb1ELb1ELb1ELb0ELb0ELb0EEEvPT0_PvPT_S7_S7_PKS6_S9_S9_S9_S9_ffiiiiiiiiiiiii.kd
    .uniform_work_group_size: 1
    .uses_dynamic_stack: false
    .vgpr_count:     27
    .vgpr_spill_count: 0
    .wavefront_size: 64
  - .agpr_count:     0
    .args:
      - .actual_access:  write_only
        .address_space:  global
        .offset:         0
        .size:           8
        .value_kind:     global_buffer
      - .actual_access:  write_only
        .address_space:  global
        .offset:         8
        .size:           8
        .value_kind:     global_buffer
      - .actual_access:  write_only
        .address_space:  global
        .offset:         16
        .size:           8
        .value_kind:     global_buffer
      - .actual_access:  write_only
        .address_space:  global
        .offset:         24
        .size:           8
        .value_kind:     global_buffer
      - .actual_access:  write_only
        .address_space:  global
        .offset:         32
        .size:           8
        .value_kind:     global_buffer
      - .actual_access:  read_only
        .address_space:  global
        .offset:         40
        .size:           8
        .value_kind:     global_buffer
      - .actual_access:  read_only
        .address_space:  global
        .offset:         48
        .size:           8
        .value_kind:     global_buffer
      - .actual_access:  read_only
        .address_space:  global
        .offset:         56
        .size:           8
        .value_kind:     global_buffer
      - .actual_access:  read_only
        .address_space:  global
        .offset:         64
        .size:           8
        .value_kind:     global_buffer
      - .actual_access:  read_only
        .address_space:  global
        .offset:         72
        .size:           8
        .value_kind:     global_buffer
      - .offset:         80
        .size:           4
        .value_kind:     by_value
      - .offset:         84
        .size:           4
        .value_kind:     by_value
      - .offset:         88
        .size:           4
        .value_kind:     by_value
      - .offset:         92
        .size:           4
        .value_kind:     by_value
      - .offset:         96
        .size:           4
        .value_kind:     by_value
      - .offset:         100
        .size:           4
        .value_kind:     by_value
      - .offset:         104
        .size:           4
        .value_kind:     by_value
      - .offset:         108
        .size:           4
        .value_kind:     by_value
      - .offset:         112
        .size:           4
        .value_kind:     by_value
      - .offset:         116
        .size:           4
        .value_kind:     by_value
      - .offset:         120
        .size:           4
        .value_kind:     by_value
      - .offset:         124
        .size:           4
        .value_kind:     by_value
      - .offset:         128
        .size:           4
        .value_kind:     by_value
      - .offset:         132
        .size:           4
        .value_kind:     by_value
      - .offset:         136
        .size:           4
        .value_kind:     by_value
      - .offset:         144
        .size:           4
        .value_kind:     hidden_block_count_x
      - .offset:         148
        .size:           4
        .value_kind:     hidden_block_count_y
      - .offset:         152
        .size:           4
        .value_kind:     hidden_block_count_z
      - .offset:         156
        .size:           2
        .value_kind:     hidden_group_size_x
      - .offset:         158
        .size:           2
        .value_kind:     hidden_group_size_y
      - .offset:         160
        .size:           2
        .value_kind:     hidden_group_size_z
      - .offset:         162
        .size:           2
        .value_kind:     hidden_remainder_x
      - .offset:         164
        .size:           2
        .value_kind:     hidden_remainder_y
      - .offset:         166
        .size:           2
        .value_kind:     hidden_remainder_z
      - .offset:         184
        .size:           8
        .value_kind:     hidden_global_offset_x
      - .offset:         192
        .size:           8
        .value_kind:     hidden_global_offset_y
      - .offset:         200
        .size:           8
        .value_kind:     hidden_global_offset_z
      - .offset:         208
        .size:           2
        .value_kind:     hidden_grid_dims
    .group_segment_fixed_size: 16
    .kernarg_segment_align: 8
    .kernarg_segment_size: 400
    .language:       OpenCL C
    .language_version:
      - 2
      - 0
    .max_flat_workgroup_size: 1024
    .name:           _ZN5aiter35fused_qk_rmsnorm_group_quant_kernelIDF16_DB8_Li128ELi8ELi8ELb1ELb1ELb0ELb0ELb0ELb0EEEvPT0_PvPT_S6_S6_PKS5_S8_S8_S8_S8_ffiiiiiiiiiiiii
    .private_segment_fixed_size: 0
    .sgpr_count:     48
    .sgpr_spill_count: 0
    .symbol:         _ZN5aiter35fused_qk_rmsnorm_group_quant_kernelIDF16_DB8_Li128ELi8ELi8ELb1ELb1ELb0ELb0ELb0ELb0EEEvPT0_PvPT_S6_S6_PKS5_S8_S8_S8_S8_ffiiiiiiiiiiiii.kd
    .uniform_work_group_size: 1
    .uses_dynamic_stack: false
    .vgpr_count:     34
    .vgpr_spill_count: 0
    .wavefront_size: 64
  - .agpr_count:     0
    .args:
      - .actual_access:  write_only
        .address_space:  global
        .offset:         0
        .size:           8
        .value_kind:     global_buffer
      - .actual_access:  write_only
        .address_space:  global
        .offset:         8
        .size:           8
        .value_kind:     global_buffer
      - .actual_access:  write_only
        .address_space:  global
        .offset:         16
        .size:           8
        .value_kind:     global_buffer
      - .actual_access:  write_only
        .address_space:  global
        .offset:         24
        .size:           8
        .value_kind:     global_buffer
      - .actual_access:  write_only
        .address_space:  global
        .offset:         32
        .size:           8
        .value_kind:     global_buffer
      - .actual_access:  read_only
        .address_space:  global
        .offset:         40
        .size:           8
        .value_kind:     global_buffer
      - .actual_access:  read_only
        .address_space:  global
        .offset:         48
        .size:           8
        .value_kind:     global_buffer
      - .actual_access:  read_only
        .address_space:  global
        .offset:         56
        .size:           8
        .value_kind:     global_buffer
      - .actual_access:  read_only
        .address_space:  global
        .offset:         64
        .size:           8
        .value_kind:     global_buffer
      - .actual_access:  read_only
        .address_space:  global
        .offset:         72
        .size:           8
        .value_kind:     global_buffer
      - .offset:         80
        .size:           4
        .value_kind:     by_value
      - .offset:         84
        .size:           4
        .value_kind:     by_value
      - .offset:         88
        .size:           4
        .value_kind:     by_value
      - .offset:         92
        .size:           4
        .value_kind:     by_value
      - .offset:         96
        .size:           4
        .value_kind:     by_value
      - .offset:         100
        .size:           4
        .value_kind:     by_value
      - .offset:         104
        .size:           4
        .value_kind:     by_value
      - .offset:         108
        .size:           4
        .value_kind:     by_value
      - .offset:         112
        .size:           4
        .value_kind:     by_value
      - .offset:         116
        .size:           4
        .value_kind:     by_value
      - .offset:         120
        .size:           4
        .value_kind:     by_value
      - .offset:         124
        .size:           4
        .value_kind:     by_value
      - .offset:         128
        .size:           4
        .value_kind:     by_value
      - .offset:         132
        .size:           4
        .value_kind:     by_value
      - .offset:         136
        .size:           4
        .value_kind:     by_value
      - .offset:         144
        .size:           4
        .value_kind:     hidden_block_count_x
      - .offset:         148
        .size:           4
        .value_kind:     hidden_block_count_y
      - .offset:         152
        .size:           4
        .value_kind:     hidden_block_count_z
      - .offset:         156
        .size:           2
        .value_kind:     hidden_group_size_x
      - .offset:         158
        .size:           2
        .value_kind:     hidden_group_size_y
      - .offset:         160
        .size:           2
        .value_kind:     hidden_group_size_z
      - .offset:         162
        .size:           2
        .value_kind:     hidden_remainder_x
      - .offset:         164
        .size:           2
        .value_kind:     hidden_remainder_y
      - .offset:         166
        .size:           2
        .value_kind:     hidden_remainder_z
      - .offset:         184
        .size:           8
        .value_kind:     hidden_global_offset_x
      - .offset:         192
        .size:           8
        .value_kind:     hidden_global_offset_y
      - .offset:         200
        .size:           8
        .value_kind:     hidden_global_offset_z
      - .offset:         208
        .size:           2
        .value_kind:     hidden_grid_dims
    .group_segment_fixed_size: 16
    .kernarg_segment_align: 8
    .kernarg_segment_size: 400
    .language:       OpenCL C
    .language_version:
      - 2
      - 0
    .max_flat_workgroup_size: 1024
    .name:           _ZN5aiter35fused_qk_rmsnorm_group_quant_kernelItDB8_Li128ELi8ELi8ELb1ELb1ELb0ELb0ELb0ELb0EEEvPT0_PvPT_S6_S6_PKS5_S8_S8_S8_S8_ffiiiiiiiiiiiii
    .private_segment_fixed_size: 0
    .sgpr_count:     52
    .sgpr_spill_count: 0
    .symbol:         _ZN5aiter35fused_qk_rmsnorm_group_quant_kernelItDB8_Li128ELi8ELi8ELb1ELb1ELb0ELb0ELb0ELb0EEEvPT0_PvPT_S6_S6_PKS5_S8_S8_S8_S8_ffiiiiiiiiiiiii.kd
    .uniform_work_group_size: 1
    .uses_dynamic_stack: false
    .vgpr_count:     27
    .vgpr_spill_count: 0
    .wavefront_size: 64
  - .agpr_count:     0
    .args:
      - .actual_access:  write_only
        .address_space:  global
        .offset:         0
        .size:           8
        .value_kind:     global_buffer
      - .actual_access:  write_only
        .address_space:  global
        .offset:         8
        .size:           8
        .value_kind:     global_buffer
      - .actual_access:  write_only
        .address_space:  global
        .offset:         16
        .size:           8
        .value_kind:     global_buffer
      - .actual_access:  write_only
        .address_space:  global
        .offset:         24
        .size:           8
        .value_kind:     global_buffer
      - .actual_access:  write_only
        .address_space:  global
        .offset:         32
        .size:           8
        .value_kind:     global_buffer
      - .actual_access:  read_only
        .address_space:  global
        .offset:         40
        .size:           8
        .value_kind:     global_buffer
      - .actual_access:  read_only
        .address_space:  global
        .offset:         48
        .size:           8
        .value_kind:     global_buffer
      - .actual_access:  read_only
        .address_space:  global
        .offset:         56
        .size:           8
        .value_kind:     global_buffer
      - .actual_access:  read_only
        .address_space:  global
        .offset:         64
        .size:           8
        .value_kind:     global_buffer
      - .actual_access:  read_only
        .address_space:  global
        .offset:         72
        .size:           8
        .value_kind:     global_buffer
      - .offset:         80
        .size:           4
        .value_kind:     by_value
      - .offset:         84
        .size:           4
        .value_kind:     by_value
      - .offset:         88
        .size:           4
        .value_kind:     by_value
      - .offset:         92
        .size:           4
        .value_kind:     by_value
      - .offset:         96
        .size:           4
        .value_kind:     by_value
      - .offset:         100
        .size:           4
        .value_kind:     by_value
      - .offset:         104
        .size:           4
        .value_kind:     by_value
      - .offset:         108
        .size:           4
        .value_kind:     by_value
      - .offset:         112
        .size:           4
        .value_kind:     by_value
      - .offset:         116
        .size:           4
        .value_kind:     by_value
      - .offset:         120
        .size:           4
        .value_kind:     by_value
      - .offset:         124
        .size:           4
        .value_kind:     by_value
      - .offset:         128
        .size:           4
        .value_kind:     by_value
      - .offset:         132
        .size:           4
        .value_kind:     by_value
      - .offset:         136
        .size:           4
        .value_kind:     by_value
      - .offset:         144
        .size:           4
        .value_kind:     hidden_block_count_x
      - .offset:         148
        .size:           4
        .value_kind:     hidden_block_count_y
      - .offset:         152
        .size:           4
        .value_kind:     hidden_block_count_z
      - .offset:         156
        .size:           2
        .value_kind:     hidden_group_size_x
      - .offset:         158
        .size:           2
        .value_kind:     hidden_group_size_y
      - .offset:         160
        .size:           2
        .value_kind:     hidden_group_size_z
      - .offset:         162
        .size:           2
        .value_kind:     hidden_remainder_x
      - .offset:         164
        .size:           2
        .value_kind:     hidden_remainder_y
      - .offset:         166
        .size:           2
        .value_kind:     hidden_remainder_z
      - .offset:         184
        .size:           8
        .value_kind:     hidden_global_offset_x
      - .offset:         192
        .size:           8
        .value_kind:     hidden_global_offset_y
      - .offset:         200
        .size:           8
        .value_kind:     hidden_global_offset_z
      - .offset:         208
        .size:           2
        .value_kind:     hidden_grid_dims
    .group_segment_fixed_size: 16
    .kernarg_segment_align: 8
    .kernarg_segment_size: 400
    .language:       OpenCL C
    .language_version:
      - 2
      - 0
    .max_flat_workgroup_size: 1024
    .name:           _ZN5aiter35fused_qk_rmsnorm_group_quant_kernelIDF16_N4opus5fp4_tELi128ELi8ELi8ELb1ELb1ELb0ELb0ELb0ELb0EEEvPT0_PvPT_S7_S7_PKS6_S9_S9_S9_S9_ffiiiiiiiiiiiii
    .private_segment_fixed_size: 0
    .sgpr_count:     48
    .sgpr_spill_count: 0
    .symbol:         _ZN5aiter35fused_qk_rmsnorm_group_quant_kernelIDF16_N4opus5fp4_tELi128ELi8ELi8ELb1ELb1ELb0ELb0ELb0ELb0EEEvPT0_PvPT_S7_S7_PKS6_S9_S9_S9_S9_ffiiiiiiiiiiiii.kd
    .uniform_work_group_size: 1
    .uses_dynamic_stack: false
    .vgpr_count:     27
    .vgpr_spill_count: 0
    .wavefront_size: 64
  - .agpr_count:     0
    .args:
      - .actual_access:  write_only
        .address_space:  global
        .offset:         0
        .size:           8
        .value_kind:     global_buffer
      - .actual_access:  write_only
        .address_space:  global
        .offset:         8
        .size:           8
        .value_kind:     global_buffer
      - .actual_access:  write_only
        .address_space:  global
        .offset:         16
        .size:           8
        .value_kind:     global_buffer
      - .actual_access:  write_only
        .address_space:  global
        .offset:         24
        .size:           8
        .value_kind:     global_buffer
      - .actual_access:  write_only
        .address_space:  global
        .offset:         32
        .size:           8
        .value_kind:     global_buffer
      - .actual_access:  read_only
        .address_space:  global
        .offset:         40
        .size:           8
        .value_kind:     global_buffer
      - .actual_access:  read_only
        .address_space:  global
        .offset:         48
        .size:           8
        .value_kind:     global_buffer
      - .actual_access:  read_only
        .address_space:  global
        .offset:         56
        .size:           8
        .value_kind:     global_buffer
      - .actual_access:  read_only
        .address_space:  global
        .offset:         64
        .size:           8
        .value_kind:     global_buffer
      - .actual_access:  read_only
        .address_space:  global
        .offset:         72
        .size:           8
        .value_kind:     global_buffer
      - .offset:         80
        .size:           4
        .value_kind:     by_value
      - .offset:         84
        .size:           4
        .value_kind:     by_value
      - .offset:         88
        .size:           4
        .value_kind:     by_value
      - .offset:         92
        .size:           4
        .value_kind:     by_value
      - .offset:         96
        .size:           4
        .value_kind:     by_value
      - .offset:         100
        .size:           4
        .value_kind:     by_value
      - .offset:         104
        .size:           4
        .value_kind:     by_value
      - .offset:         108
        .size:           4
        .value_kind:     by_value
      - .offset:         112
        .size:           4
        .value_kind:     by_value
      - .offset:         116
        .size:           4
        .value_kind:     by_value
      - .offset:         120
        .size:           4
        .value_kind:     by_value
      - .offset:         124
        .size:           4
        .value_kind:     by_value
      - .offset:         128
        .size:           4
        .value_kind:     by_value
      - .offset:         132
        .size:           4
        .value_kind:     by_value
      - .offset:         136
        .size:           4
        .value_kind:     by_value
      - .offset:         144
        .size:           4
        .value_kind:     hidden_block_count_x
      - .offset:         148
        .size:           4
        .value_kind:     hidden_block_count_y
      - .offset:         152
        .size:           4
        .value_kind:     hidden_block_count_z
      - .offset:         156
        .size:           2
        .value_kind:     hidden_group_size_x
      - .offset:         158
        .size:           2
        .value_kind:     hidden_group_size_y
      - .offset:         160
        .size:           2
        .value_kind:     hidden_group_size_z
      - .offset:         162
        .size:           2
        .value_kind:     hidden_remainder_x
      - .offset:         164
        .size:           2
        .value_kind:     hidden_remainder_y
      - .offset:         166
        .size:           2
        .value_kind:     hidden_remainder_z
      - .offset:         184
        .size:           8
        .value_kind:     hidden_global_offset_x
      - .offset:         192
        .size:           8
        .value_kind:     hidden_global_offset_y
      - .offset:         200
        .size:           8
        .value_kind:     hidden_global_offset_z
      - .offset:         208
        .size:           2
        .value_kind:     hidden_grid_dims
    .group_segment_fixed_size: 16
    .kernarg_segment_align: 8
    .kernarg_segment_size: 400
    .language:       OpenCL C
    .language_version:
      - 2
      - 0
    .max_flat_workgroup_size: 1024
    .name:           _ZN5aiter35fused_qk_rmsnorm_group_quant_kernelItN4opus5fp4_tELi128ELi8ELi8ELb1ELb1ELb0ELb0ELb0ELb0EEEvPT0_PvPT_S7_S7_PKS6_S9_S9_S9_S9_ffiiiiiiiiiiiii
    .private_segment_fixed_size: 0
    .sgpr_count:     52
    .sgpr_spill_count: 0
    .symbol:         _ZN5aiter35fused_qk_rmsnorm_group_quant_kernelItN4opus5fp4_tELi128ELi8ELi8ELb1ELb1ELb0ELb0ELb0ELb0EEEvPT0_PvPT_S7_S7_PKS6_S9_S9_S9_S9_ffiiiiiiiiiiiii.kd
    .uniform_work_group_size: 1
    .uses_dynamic_stack: false
    .vgpr_count:     27
    .vgpr_spill_count: 0
    .wavefront_size: 64
  - .agpr_count:     0
    .args:
      - .actual_access:  write_only
        .address_space:  global
        .offset:         0
        .size:           8
        .value_kind:     global_buffer
      - .actual_access:  write_only
        .address_space:  global
        .offset:         8
        .size:           8
        .value_kind:     global_buffer
      - .actual_access:  read_only
        .address_space:  global
        .offset:         16
        .size:           8
        .value_kind:     global_buffer
      - .actual_access:  write_only
        .address_space:  global
        .offset:         24
        .size:           8
        .value_kind:     global_buffer
      - .actual_access:  write_only
        .address_space:  global
        .offset:         32
        .size:           8
        .value_kind:     global_buffer
      - .actual_access:  read_only
        .address_space:  global
        .offset:         40
        .size:           8
        .value_kind:     global_buffer
      - .actual_access:  read_only
        .address_space:  global
        .offset:         48
        .size:           8
        .value_kind:     global_buffer
      - .actual_access:  read_only
        .address_space:  global
        .offset:         56
        .size:           8
        .value_kind:     global_buffer
      - .actual_access:  read_only
        .address_space:  global
        .offset:         64
        .size:           8
        .value_kind:     global_buffer
      - .actual_access:  read_only
        .address_space:  global
        .offset:         72
        .size:           8
        .value_kind:     global_buffer
      - .offset:         80
        .size:           4
        .value_kind:     by_value
      - .offset:         84
        .size:           4
        .value_kind:     by_value
      - .offset:         88
        .size:           4
        .value_kind:     by_value
      - .offset:         92
        .size:           4
        .value_kind:     by_value
      - .offset:         96
        .size:           4
        .value_kind:     by_value
      - .offset:         100
        .size:           4
        .value_kind:     by_value
      - .offset:         104
        .size:           4
        .value_kind:     by_value
      - .offset:         108
        .size:           4
        .value_kind:     by_value
      - .offset:         112
        .size:           4
        .value_kind:     by_value
      - .offset:         116
        .size:           4
        .value_kind:     by_value
      - .offset:         120
        .size:           4
        .value_kind:     by_value
      - .offset:         124
        .size:           4
        .value_kind:     by_value
      - .offset:         128
        .size:           4
        .value_kind:     by_value
      - .offset:         132
        .size:           4
        .value_kind:     by_value
      - .offset:         136
        .size:           4
        .value_kind:     by_value
      - .offset:         144
        .size:           4
        .value_kind:     hidden_block_count_x
      - .offset:         148
        .size:           4
        .value_kind:     hidden_block_count_y
      - .offset:         152
        .size:           4
        .value_kind:     hidden_block_count_z
      - .offset:         156
        .size:           2
        .value_kind:     hidden_group_size_x
      - .offset:         158
        .size:           2
        .value_kind:     hidden_group_size_y
      - .offset:         160
        .size:           2
        .value_kind:     hidden_group_size_z
      - .offset:         162
        .size:           2
        .value_kind:     hidden_remainder_x
      - .offset:         164
        .size:           2
        .value_kind:     hidden_remainder_y
      - .offset:         166
        .size:           2
        .value_kind:     hidden_remainder_z
      - .offset:         184
        .size:           8
        .value_kind:     hidden_global_offset_x
      - .offset:         192
        .size:           8
        .value_kind:     hidden_global_offset_y
      - .offset:         200
        .size:           8
        .value_kind:     hidden_global_offset_z
      - .offset:         208
        .size:           2
        .value_kind:     hidden_grid_dims
    .group_segment_fixed_size: 16
    .kernarg_segment_align: 8
    .kernarg_segment_size: 400
    .language:       OpenCL C
    .language_version:
      - 2
      - 0
    .max_flat_workgroup_size: 1024
    .name:           _ZN5aiter35fused_qk_rmsnorm_group_quant_kernelIDF16_DB8_Li128ELi8ELi8ELb1ELb0ELb1ELb0ELb0ELb0EEEvPT0_PvPT_S6_S6_PKS5_S8_S8_S8_S8_ffiiiiiiiiiiiii
    .private_segment_fixed_size: 0
    .sgpr_count:     48
    .sgpr_spill_count: 0
    .symbol:         _ZN5aiter35fused_qk_rmsnorm_group_quant_kernelIDF16_DB8_Li128ELi8ELi8ELb1ELb0ELb1ELb0ELb0ELb0EEEvPT0_PvPT_S6_S6_PKS5_S8_S8_S8_S8_ffiiiiiiiiiiiii.kd
    .uniform_work_group_size: 1
    .uses_dynamic_stack: false
    .vgpr_count:     31
    .vgpr_spill_count: 0
    .wavefront_size: 64
  - .agpr_count:     0
    .args:
      - .actual_access:  write_only
        .address_space:  global
        .offset:         0
        .size:           8
        .value_kind:     global_buffer
      - .actual_access:  write_only
        .address_space:  global
        .offset:         8
        .size:           8
        .value_kind:     global_buffer
      - .actual_access:  read_only
        .address_space:  global
        .offset:         16
        .size:           8
        .value_kind:     global_buffer
      - .actual_access:  write_only
        .address_space:  global
        .offset:         24
        .size:           8
        .value_kind:     global_buffer
      - .actual_access:  write_only
        .address_space:  global
        .offset:         32
        .size:           8
        .value_kind:     global_buffer
      - .actual_access:  read_only
        .address_space:  global
        .offset:         40
        .size:           8
        .value_kind:     global_buffer
      - .actual_access:  read_only
        .address_space:  global
        .offset:         48
        .size:           8
        .value_kind:     global_buffer
      - .actual_access:  read_only
        .address_space:  global
        .offset:         56
        .size:           8
        .value_kind:     global_buffer
      - .actual_access:  read_only
        .address_space:  global
        .offset:         64
        .size:           8
        .value_kind:     global_buffer
      - .actual_access:  read_only
        .address_space:  global
        .offset:         72
        .size:           8
        .value_kind:     global_buffer
      - .offset:         80
        .size:           4
        .value_kind:     by_value
      - .offset:         84
        .size:           4
        .value_kind:     by_value
      - .offset:         88
        .size:           4
        .value_kind:     by_value
      - .offset:         92
        .size:           4
        .value_kind:     by_value
      - .offset:         96
        .size:           4
        .value_kind:     by_value
      - .offset:         100
        .size:           4
        .value_kind:     by_value
      - .offset:         104
        .size:           4
        .value_kind:     by_value
      - .offset:         108
        .size:           4
        .value_kind:     by_value
      - .offset:         112
        .size:           4
        .value_kind:     by_value
      - .offset:         116
        .size:           4
        .value_kind:     by_value
      - .offset:         120
        .size:           4
        .value_kind:     by_value
      - .offset:         124
        .size:           4
        .value_kind:     by_value
      - .offset:         128
        .size:           4
        .value_kind:     by_value
      - .offset:         132
        .size:           4
        .value_kind:     by_value
      - .offset:         136
        .size:           4
        .value_kind:     by_value
      - .offset:         144
        .size:           4
        .value_kind:     hidden_block_count_x
      - .offset:         148
        .size:           4
        .value_kind:     hidden_block_count_y
      - .offset:         152
        .size:           4
        .value_kind:     hidden_block_count_z
      - .offset:         156
        .size:           2
        .value_kind:     hidden_group_size_x
      - .offset:         158
        .size:           2
        .value_kind:     hidden_group_size_y
      - .offset:         160
        .size:           2
        .value_kind:     hidden_group_size_z
      - .offset:         162
        .size:           2
        .value_kind:     hidden_remainder_x
      - .offset:         164
        .size:           2
        .value_kind:     hidden_remainder_y
      - .offset:         166
        .size:           2
        .value_kind:     hidden_remainder_z
      - .offset:         184
        .size:           8
        .value_kind:     hidden_global_offset_x
      - .offset:         192
        .size:           8
        .value_kind:     hidden_global_offset_y
      - .offset:         200
        .size:           8
        .value_kind:     hidden_global_offset_z
      - .offset:         208
        .size:           2
        .value_kind:     hidden_grid_dims
    .group_segment_fixed_size: 16
    .kernarg_segment_align: 8
    .kernarg_segment_size: 400
    .language:       OpenCL C
    .language_version:
      - 2
      - 0
    .max_flat_workgroup_size: 1024
    .name:           _ZN5aiter35fused_qk_rmsnorm_group_quant_kernelItDB8_Li128ELi8ELi8ELb1ELb0ELb1ELb0ELb0ELb0EEEvPT0_PvPT_S6_S6_PKS5_S8_S8_S8_S8_ffiiiiiiiiiiiii
    .private_segment_fixed_size: 0
    .sgpr_count:     52
    .sgpr_spill_count: 0
    .symbol:         _ZN5aiter35fused_qk_rmsnorm_group_quant_kernelItDB8_Li128ELi8ELi8ELb1ELb0ELb1ELb0ELb0ELb0EEEvPT0_PvPT_S6_S6_PKS5_S8_S8_S8_S8_ffiiiiiiiiiiiii.kd
    .uniform_work_group_size: 1
    .uses_dynamic_stack: false
    .vgpr_count:     27
    .vgpr_spill_count: 0
    .wavefront_size: 64
  - .agpr_count:     0
    .args:
      - .actual_access:  write_only
        .address_space:  global
        .offset:         0
        .size:           8
        .value_kind:     global_buffer
      - .actual_access:  write_only
        .address_space:  global
        .offset:         8
        .size:           8
        .value_kind:     global_buffer
      - .actual_access:  read_only
        .address_space:  global
        .offset:         16
        .size:           8
        .value_kind:     global_buffer
      - .actual_access:  write_only
        .address_space:  global
        .offset:         24
        .size:           8
        .value_kind:     global_buffer
      - .actual_access:  write_only
        .address_space:  global
        .offset:         32
        .size:           8
        .value_kind:     global_buffer
      - .actual_access:  read_only
        .address_space:  global
        .offset:         40
        .size:           8
        .value_kind:     global_buffer
      - .actual_access:  read_only
        .address_space:  global
        .offset:         48
        .size:           8
        .value_kind:     global_buffer
      - .actual_access:  read_only
        .address_space:  global
        .offset:         56
        .size:           8
        .value_kind:     global_buffer
      - .actual_access:  read_only
        .address_space:  global
        .offset:         64
        .size:           8
        .value_kind:     global_buffer
      - .actual_access:  read_only
        .address_space:  global
        .offset:         72
        .size:           8
        .value_kind:     global_buffer
      - .offset:         80
        .size:           4
        .value_kind:     by_value
      - .offset:         84
        .size:           4
        .value_kind:     by_value
      - .offset:         88
        .size:           4
        .value_kind:     by_value
      - .offset:         92
        .size:           4
        .value_kind:     by_value
      - .offset:         96
        .size:           4
        .value_kind:     by_value
      - .offset:         100
        .size:           4
        .value_kind:     by_value
      - .offset:         104
        .size:           4
        .value_kind:     by_value
      - .offset:         108
        .size:           4
        .value_kind:     by_value
      - .offset:         112
        .size:           4
        .value_kind:     by_value
      - .offset:         116
        .size:           4
        .value_kind:     by_value
      - .offset:         120
        .size:           4
        .value_kind:     by_value
      - .offset:         124
        .size:           4
        .value_kind:     by_value
      - .offset:         128
        .size:           4
        .value_kind:     by_value
      - .offset:         132
        .size:           4
        .value_kind:     by_value
      - .offset:         136
        .size:           4
        .value_kind:     by_value
      - .offset:         144
        .size:           4
        .value_kind:     hidden_block_count_x
      - .offset:         148
        .size:           4
        .value_kind:     hidden_block_count_y
      - .offset:         152
        .size:           4
        .value_kind:     hidden_block_count_z
      - .offset:         156
        .size:           2
        .value_kind:     hidden_group_size_x
      - .offset:         158
        .size:           2
        .value_kind:     hidden_group_size_y
      - .offset:         160
        .size:           2
        .value_kind:     hidden_group_size_z
      - .offset:         162
        .size:           2
        .value_kind:     hidden_remainder_x
      - .offset:         164
        .size:           2
        .value_kind:     hidden_remainder_y
      - .offset:         166
        .size:           2
        .value_kind:     hidden_remainder_z
      - .offset:         184
        .size:           8
        .value_kind:     hidden_global_offset_x
      - .offset:         192
        .size:           8
        .value_kind:     hidden_global_offset_y
      - .offset:         200
        .size:           8
        .value_kind:     hidden_global_offset_z
      - .offset:         208
        .size:           2
        .value_kind:     hidden_grid_dims
    .group_segment_fixed_size: 16
    .kernarg_segment_align: 8
    .kernarg_segment_size: 400
    .language:       OpenCL C
    .language_version:
      - 2
      - 0
    .max_flat_workgroup_size: 1024
    .name:           _ZN5aiter35fused_qk_rmsnorm_group_quant_kernelIDF16_N4opus5fp4_tELi128ELi8ELi8ELb1ELb0ELb1ELb0ELb0ELb0EEEvPT0_PvPT_S7_S7_PKS6_S9_S9_S9_S9_ffiiiiiiiiiiiii
    .private_segment_fixed_size: 0
    .sgpr_count:     44
    .sgpr_spill_count: 0
    .symbol:         _ZN5aiter35fused_qk_rmsnorm_group_quant_kernelIDF16_N4opus5fp4_tELi128ELi8ELi8ELb1ELb0ELb1ELb0ELb0ELb0EEEvPT0_PvPT_S7_S7_PKS6_S9_S9_S9_S9_ffiiiiiiiiiiiii.kd
    .uniform_work_group_size: 1
    .uses_dynamic_stack: false
    .vgpr_count:     25
    .vgpr_spill_count: 0
    .wavefront_size: 64
  - .agpr_count:     0
    .args:
      - .actual_access:  write_only
        .address_space:  global
        .offset:         0
        .size:           8
        .value_kind:     global_buffer
      - .actual_access:  write_only
        .address_space:  global
        .offset:         8
        .size:           8
        .value_kind:     global_buffer
      - .actual_access:  read_only
        .address_space:  global
        .offset:         16
        .size:           8
        .value_kind:     global_buffer
      - .actual_access:  write_only
        .address_space:  global
        .offset:         24
        .size:           8
        .value_kind:     global_buffer
      - .actual_access:  write_only
        .address_space:  global
        .offset:         32
        .size:           8
        .value_kind:     global_buffer
      - .actual_access:  read_only
        .address_space:  global
        .offset:         40
        .size:           8
        .value_kind:     global_buffer
      - .actual_access:  read_only
        .address_space:  global
        .offset:         48
        .size:           8
        .value_kind:     global_buffer
      - .actual_access:  read_only
        .address_space:  global
        .offset:         56
        .size:           8
        .value_kind:     global_buffer
      - .actual_access:  read_only
        .address_space:  global
        .offset:         64
        .size:           8
        .value_kind:     global_buffer
      - .actual_access:  read_only
        .address_space:  global
        .offset:         72
        .size:           8
        .value_kind:     global_buffer
      - .offset:         80
        .size:           4
        .value_kind:     by_value
      - .offset:         84
        .size:           4
        .value_kind:     by_value
      - .offset:         88
        .size:           4
        .value_kind:     by_value
      - .offset:         92
        .size:           4
        .value_kind:     by_value
      - .offset:         96
        .size:           4
        .value_kind:     by_value
      - .offset:         100
        .size:           4
        .value_kind:     by_value
      - .offset:         104
        .size:           4
        .value_kind:     by_value
      - .offset:         108
        .size:           4
        .value_kind:     by_value
      - .offset:         112
        .size:           4
        .value_kind:     by_value
      - .offset:         116
        .size:           4
        .value_kind:     by_value
      - .offset:         120
        .size:           4
        .value_kind:     by_value
      - .offset:         124
        .size:           4
        .value_kind:     by_value
      - .offset:         128
        .size:           4
        .value_kind:     by_value
      - .offset:         132
        .size:           4
        .value_kind:     by_value
      - .offset:         136
        .size:           4
        .value_kind:     by_value
      - .offset:         144
        .size:           4
        .value_kind:     hidden_block_count_x
      - .offset:         148
        .size:           4
        .value_kind:     hidden_block_count_y
      - .offset:         152
        .size:           4
        .value_kind:     hidden_block_count_z
      - .offset:         156
        .size:           2
        .value_kind:     hidden_group_size_x
      - .offset:         158
        .size:           2
        .value_kind:     hidden_group_size_y
      - .offset:         160
        .size:           2
        .value_kind:     hidden_group_size_z
      - .offset:         162
        .size:           2
        .value_kind:     hidden_remainder_x
      - .offset:         164
        .size:           2
        .value_kind:     hidden_remainder_y
      - .offset:         166
        .size:           2
        .value_kind:     hidden_remainder_z
      - .offset:         184
        .size:           8
        .value_kind:     hidden_global_offset_x
      - .offset:         192
        .size:           8
        .value_kind:     hidden_global_offset_y
      - .offset:         200
        .size:           8
        .value_kind:     hidden_global_offset_z
      - .offset:         208
        .size:           2
        .value_kind:     hidden_grid_dims
    .group_segment_fixed_size: 16
    .kernarg_segment_align: 8
    .kernarg_segment_size: 400
    .language:       OpenCL C
    .language_version:
      - 2
      - 0
    .max_flat_workgroup_size: 1024
    .name:           _ZN5aiter35fused_qk_rmsnorm_group_quant_kernelItN4opus5fp4_tELi128ELi8ELi8ELb1ELb0ELb1ELb0ELb0ELb0EEEvPT0_PvPT_S7_S7_PKS6_S9_S9_S9_S9_ffiiiiiiiiiiiii
    .private_segment_fixed_size: 0
    .sgpr_count:     48
    .sgpr_spill_count: 0
    .symbol:         _ZN5aiter35fused_qk_rmsnorm_group_quant_kernelItN4opus5fp4_tELi128ELi8ELi8ELb1ELb0ELb1ELb0ELb0ELb0EEEvPT0_PvPT_S7_S7_PKS6_S9_S9_S9_S9_ffiiiiiiiiiiiii.kd
    .uniform_work_group_size: 1
    .uses_dynamic_stack: false
    .vgpr_count:     27
    .vgpr_spill_count: 0
    .wavefront_size: 64
  - .agpr_count:     0
    .args:
      - .actual_access:  write_only
        .address_space:  global
        .offset:         0
        .size:           8
        .value_kind:     global_buffer
      - .actual_access:  write_only
        .address_space:  global
        .offset:         8
        .size:           8
        .value_kind:     global_buffer
      - .actual_access:  read_only
        .address_space:  global
        .offset:         16
        .size:           8
        .value_kind:     global_buffer
      - .actual_access:  write_only
        .address_space:  global
        .offset:         24
        .size:           8
        .value_kind:     global_buffer
      - .actual_access:  write_only
        .address_space:  global
        .offset:         32
        .size:           8
        .value_kind:     global_buffer
      - .actual_access:  read_only
        .address_space:  global
        .offset:         40
        .size:           8
        .value_kind:     global_buffer
      - .actual_access:  read_only
        .address_space:  global
        .offset:         48
        .size:           8
        .value_kind:     global_buffer
      - .actual_access:  read_only
        .address_space:  global
        .offset:         56
        .size:           8
        .value_kind:     global_buffer
      - .actual_access:  read_only
        .address_space:  global
        .offset:         64
        .size:           8
        .value_kind:     global_buffer
      - .actual_access:  read_only
        .address_space:  global
        .offset:         72
        .size:           8
        .value_kind:     global_buffer
      - .offset:         80
        .size:           4
        .value_kind:     by_value
      - .offset:         84
        .size:           4
        .value_kind:     by_value
      - .offset:         88
        .size:           4
        .value_kind:     by_value
      - .offset:         92
        .size:           4
        .value_kind:     by_value
      - .offset:         96
        .size:           4
        .value_kind:     by_value
      - .offset:         100
        .size:           4
        .value_kind:     by_value
      - .offset:         104
        .size:           4
        .value_kind:     by_value
      - .offset:         108
        .size:           4
        .value_kind:     by_value
      - .offset:         112
        .size:           4
        .value_kind:     by_value
      - .offset:         116
        .size:           4
        .value_kind:     by_value
      - .offset:         120
        .size:           4
        .value_kind:     by_value
      - .offset:         124
        .size:           4
        .value_kind:     by_value
      - .offset:         128
        .size:           4
        .value_kind:     by_value
      - .offset:         132
        .size:           4
        .value_kind:     by_value
      - .offset:         136
        .size:           4
        .value_kind:     by_value
      - .offset:         144
        .size:           4
        .value_kind:     hidden_block_count_x
      - .offset:         148
        .size:           4
        .value_kind:     hidden_block_count_y
      - .offset:         152
        .size:           4
        .value_kind:     hidden_block_count_z
      - .offset:         156
        .size:           2
        .value_kind:     hidden_group_size_x
      - .offset:         158
        .size:           2
        .value_kind:     hidden_group_size_y
      - .offset:         160
        .size:           2
        .value_kind:     hidden_group_size_z
      - .offset:         162
        .size:           2
        .value_kind:     hidden_remainder_x
      - .offset:         164
        .size:           2
        .value_kind:     hidden_remainder_y
      - .offset:         166
        .size:           2
        .value_kind:     hidden_remainder_z
      - .offset:         184
        .size:           8
        .value_kind:     hidden_global_offset_x
      - .offset:         192
        .size:           8
        .value_kind:     hidden_global_offset_y
      - .offset:         200
        .size:           8
        .value_kind:     hidden_global_offset_z
      - .offset:         208
        .size:           2
        .value_kind:     hidden_grid_dims
    .group_segment_fixed_size: 16
    .kernarg_segment_align: 8
    .kernarg_segment_size: 400
    .language:       OpenCL C
    .language_version:
      - 2
      - 0
    .max_flat_workgroup_size: 1024
    .name:           _ZN5aiter35fused_qk_rmsnorm_group_quant_kernelIDF16_DB8_Li128ELi8ELi8ELb1ELb0ELb0ELb0ELb0ELb0EEEvPT0_PvPT_S6_S6_PKS5_S8_S8_S8_S8_ffiiiiiiiiiiiii
    .private_segment_fixed_size: 0
    .sgpr_count:     48
    .sgpr_spill_count: 0
    .symbol:         _ZN5aiter35fused_qk_rmsnorm_group_quant_kernelIDF16_DB8_Li128ELi8ELi8ELb1ELb0ELb0ELb0ELb0ELb0EEEvPT0_PvPT_S6_S6_PKS5_S8_S8_S8_S8_ffiiiiiiiiiiiii.kd
    .uniform_work_group_size: 1
    .uses_dynamic_stack: false
    .vgpr_count:     34
    .vgpr_spill_count: 0
    .wavefront_size: 64
  - .agpr_count:     0
    .args:
      - .actual_access:  write_only
        .address_space:  global
        .offset:         0
        .size:           8
        .value_kind:     global_buffer
      - .actual_access:  write_only
        .address_space:  global
        .offset:         8
        .size:           8
        .value_kind:     global_buffer
      - .actual_access:  read_only
        .address_space:  global
        .offset:         16
        .size:           8
        .value_kind:     global_buffer
      - .actual_access:  write_only
        .address_space:  global
        .offset:         24
        .size:           8
        .value_kind:     global_buffer
      - .actual_access:  write_only
        .address_space:  global
        .offset:         32
        .size:           8
        .value_kind:     global_buffer
      - .actual_access:  read_only
        .address_space:  global
        .offset:         40
        .size:           8
        .value_kind:     global_buffer
      - .actual_access:  read_only
        .address_space:  global
        .offset:         48
        .size:           8
        .value_kind:     global_buffer
      - .actual_access:  read_only
        .address_space:  global
        .offset:         56
        .size:           8
        .value_kind:     global_buffer
      - .actual_access:  read_only
        .address_space:  global
        .offset:         64
        .size:           8
        .value_kind:     global_buffer
      - .actual_access:  read_only
        .address_space:  global
        .offset:         72
        .size:           8
        .value_kind:     global_buffer
      - .offset:         80
        .size:           4
        .value_kind:     by_value
      - .offset:         84
        .size:           4
        .value_kind:     by_value
      - .offset:         88
        .size:           4
        .value_kind:     by_value
      - .offset:         92
        .size:           4
        .value_kind:     by_value
      - .offset:         96
        .size:           4
        .value_kind:     by_value
      - .offset:         100
        .size:           4
        .value_kind:     by_value
      - .offset:         104
        .size:           4
        .value_kind:     by_value
      - .offset:         108
        .size:           4
        .value_kind:     by_value
      - .offset:         112
        .size:           4
        .value_kind:     by_value
      - .offset:         116
        .size:           4
        .value_kind:     by_value
      - .offset:         120
        .size:           4
        .value_kind:     by_value
      - .offset:         124
        .size:           4
        .value_kind:     by_value
      - .offset:         128
        .size:           4
        .value_kind:     by_value
      - .offset:         132
        .size:           4
        .value_kind:     by_value
      - .offset:         136
        .size:           4
        .value_kind:     by_value
      - .offset:         144
        .size:           4
        .value_kind:     hidden_block_count_x
      - .offset:         148
        .size:           4
        .value_kind:     hidden_block_count_y
      - .offset:         152
        .size:           4
        .value_kind:     hidden_block_count_z
      - .offset:         156
        .size:           2
        .value_kind:     hidden_group_size_x
      - .offset:         158
        .size:           2
        .value_kind:     hidden_group_size_y
      - .offset:         160
        .size:           2
        .value_kind:     hidden_group_size_z
      - .offset:         162
        .size:           2
        .value_kind:     hidden_remainder_x
      - .offset:         164
        .size:           2
        .value_kind:     hidden_remainder_y
      - .offset:         166
        .size:           2
        .value_kind:     hidden_remainder_z
      - .offset:         184
        .size:           8
        .value_kind:     hidden_global_offset_x
      - .offset:         192
        .size:           8
        .value_kind:     hidden_global_offset_y
      - .offset:         200
        .size:           8
        .value_kind:     hidden_global_offset_z
      - .offset:         208
        .size:           2
        .value_kind:     hidden_grid_dims
    .group_segment_fixed_size: 16
    .kernarg_segment_align: 8
    .kernarg_segment_size: 400
    .language:       OpenCL C
    .language_version:
      - 2
      - 0
    .max_flat_workgroup_size: 1024
    .name:           _ZN5aiter35fused_qk_rmsnorm_group_quant_kernelItDB8_Li128ELi8ELi8ELb1ELb0ELb0ELb0ELb0ELb0EEEvPT0_PvPT_S6_S6_PKS5_S8_S8_S8_S8_ffiiiiiiiiiiiii
    .private_segment_fixed_size: 0
    .sgpr_count:     52
    .sgpr_spill_count: 0
    .symbol:         _ZN5aiter35fused_qk_rmsnorm_group_quant_kernelItDB8_Li128ELi8ELi8ELb1ELb0ELb0ELb0ELb0ELb0EEEvPT0_PvPT_S6_S6_PKS5_S8_S8_S8_S8_ffiiiiiiiiiiiii.kd
    .uniform_work_group_size: 1
    .uses_dynamic_stack: false
    .vgpr_count:     27
    .vgpr_spill_count: 0
    .wavefront_size: 64
  - .agpr_count:     0
    .args:
      - .actual_access:  write_only
        .address_space:  global
        .offset:         0
        .size:           8
        .value_kind:     global_buffer
      - .actual_access:  write_only
        .address_space:  global
        .offset:         8
        .size:           8
        .value_kind:     global_buffer
      - .actual_access:  read_only
        .address_space:  global
        .offset:         16
        .size:           8
        .value_kind:     global_buffer
      - .actual_access:  write_only
        .address_space:  global
        .offset:         24
        .size:           8
        .value_kind:     global_buffer
      - .actual_access:  write_only
        .address_space:  global
        .offset:         32
        .size:           8
        .value_kind:     global_buffer
      - .actual_access:  read_only
        .address_space:  global
        .offset:         40
        .size:           8
        .value_kind:     global_buffer
      - .actual_access:  read_only
        .address_space:  global
        .offset:         48
        .size:           8
        .value_kind:     global_buffer
      - .actual_access:  read_only
        .address_space:  global
        .offset:         56
        .size:           8
        .value_kind:     global_buffer
      - .actual_access:  read_only
        .address_space:  global
        .offset:         64
        .size:           8
        .value_kind:     global_buffer
      - .actual_access:  read_only
        .address_space:  global
        .offset:         72
        .size:           8
        .value_kind:     global_buffer
      - .offset:         80
        .size:           4
        .value_kind:     by_value
      - .offset:         84
        .size:           4
        .value_kind:     by_value
      - .offset:         88
        .size:           4
        .value_kind:     by_value
      - .offset:         92
        .size:           4
        .value_kind:     by_value
      - .offset:         96
        .size:           4
        .value_kind:     by_value
      - .offset:         100
        .size:           4
        .value_kind:     by_value
      - .offset:         104
        .size:           4
        .value_kind:     by_value
      - .offset:         108
        .size:           4
        .value_kind:     by_value
      - .offset:         112
        .size:           4
        .value_kind:     by_value
      - .offset:         116
        .size:           4
        .value_kind:     by_value
      - .offset:         120
        .size:           4
        .value_kind:     by_value
      - .offset:         124
        .size:           4
        .value_kind:     by_value
      - .offset:         128
        .size:           4
        .value_kind:     by_value
      - .offset:         132
        .size:           4
        .value_kind:     by_value
      - .offset:         136
        .size:           4
        .value_kind:     by_value
      - .offset:         144
        .size:           4
        .value_kind:     hidden_block_count_x
      - .offset:         148
        .size:           4
        .value_kind:     hidden_block_count_y
      - .offset:         152
        .size:           4
        .value_kind:     hidden_block_count_z
      - .offset:         156
        .size:           2
        .value_kind:     hidden_group_size_x
      - .offset:         158
        .size:           2
        .value_kind:     hidden_group_size_y
      - .offset:         160
        .size:           2
        .value_kind:     hidden_group_size_z
      - .offset:         162
        .size:           2
        .value_kind:     hidden_remainder_x
      - .offset:         164
        .size:           2
        .value_kind:     hidden_remainder_y
      - .offset:         166
        .size:           2
        .value_kind:     hidden_remainder_z
      - .offset:         184
        .size:           8
        .value_kind:     hidden_global_offset_x
      - .offset:         192
        .size:           8
        .value_kind:     hidden_global_offset_y
      - .offset:         200
        .size:           8
        .value_kind:     hidden_global_offset_z
      - .offset:         208
        .size:           2
        .value_kind:     hidden_grid_dims
    .group_segment_fixed_size: 16
    .kernarg_segment_align: 8
    .kernarg_segment_size: 400
    .language:       OpenCL C
    .language_version:
      - 2
      - 0
    .max_flat_workgroup_size: 1024
    .name:           _ZN5aiter35fused_qk_rmsnorm_group_quant_kernelIDF16_N4opus5fp4_tELi128ELi8ELi8ELb1ELb0ELb0ELb0ELb0ELb0EEEvPT0_PvPT_S7_S7_PKS6_S9_S9_S9_S9_ffiiiiiiiiiiiii
    .private_segment_fixed_size: 0
    .sgpr_count:     44
    .sgpr_spill_count: 0
    .symbol:         _ZN5aiter35fused_qk_rmsnorm_group_quant_kernelIDF16_N4opus5fp4_tELi128ELi8ELi8ELb1ELb0ELb0ELb0ELb0ELb0EEEvPT0_PvPT_S7_S7_PKS6_S9_S9_S9_S9_ffiiiiiiiiiiiii.kd
    .uniform_work_group_size: 1
    .uses_dynamic_stack: false
    .vgpr_count:     27
    .vgpr_spill_count: 0
    .wavefront_size: 64
  - .agpr_count:     0
    .args:
      - .actual_access:  write_only
        .address_space:  global
        .offset:         0
        .size:           8
        .value_kind:     global_buffer
      - .actual_access:  write_only
        .address_space:  global
        .offset:         8
        .size:           8
        .value_kind:     global_buffer
      - .actual_access:  read_only
        .address_space:  global
        .offset:         16
        .size:           8
        .value_kind:     global_buffer
      - .actual_access:  write_only
        .address_space:  global
        .offset:         24
        .size:           8
        .value_kind:     global_buffer
      - .actual_access:  write_only
        .address_space:  global
        .offset:         32
        .size:           8
        .value_kind:     global_buffer
      - .actual_access:  read_only
        .address_space:  global
        .offset:         40
        .size:           8
        .value_kind:     global_buffer
      - .actual_access:  read_only
        .address_space:  global
        .offset:         48
        .size:           8
        .value_kind:     global_buffer
      - .actual_access:  read_only
        .address_space:  global
        .offset:         56
        .size:           8
        .value_kind:     global_buffer
      - .actual_access:  read_only
        .address_space:  global
        .offset:         64
        .size:           8
        .value_kind:     global_buffer
      - .actual_access:  read_only
        .address_space:  global
        .offset:         72
        .size:           8
        .value_kind:     global_buffer
      - .offset:         80
        .size:           4
        .value_kind:     by_value
      - .offset:         84
        .size:           4
        .value_kind:     by_value
      - .offset:         88
        .size:           4
        .value_kind:     by_value
      - .offset:         92
        .size:           4
        .value_kind:     by_value
      - .offset:         96
        .size:           4
        .value_kind:     by_value
      - .offset:         100
        .size:           4
        .value_kind:     by_value
      - .offset:         104
        .size:           4
        .value_kind:     by_value
      - .offset:         108
        .size:           4
        .value_kind:     by_value
      - .offset:         112
        .size:           4
        .value_kind:     by_value
      - .offset:         116
        .size:           4
        .value_kind:     by_value
      - .offset:         120
        .size:           4
        .value_kind:     by_value
      - .offset:         124
        .size:           4
        .value_kind:     by_value
      - .offset:         128
        .size:           4
        .value_kind:     by_value
      - .offset:         132
        .size:           4
        .value_kind:     by_value
      - .offset:         136
        .size:           4
        .value_kind:     by_value
      - .offset:         144
        .size:           4
        .value_kind:     hidden_block_count_x
      - .offset:         148
        .size:           4
        .value_kind:     hidden_block_count_y
      - .offset:         152
        .size:           4
        .value_kind:     hidden_block_count_z
      - .offset:         156
        .size:           2
        .value_kind:     hidden_group_size_x
      - .offset:         158
        .size:           2
        .value_kind:     hidden_group_size_y
      - .offset:         160
        .size:           2
        .value_kind:     hidden_group_size_z
      - .offset:         162
        .size:           2
        .value_kind:     hidden_remainder_x
      - .offset:         164
        .size:           2
        .value_kind:     hidden_remainder_y
      - .offset:         166
        .size:           2
        .value_kind:     hidden_remainder_z
      - .offset:         184
        .size:           8
        .value_kind:     hidden_global_offset_x
      - .offset:         192
        .size:           8
        .value_kind:     hidden_global_offset_y
      - .offset:         200
        .size:           8
        .value_kind:     hidden_global_offset_z
      - .offset:         208
        .size:           2
        .value_kind:     hidden_grid_dims
    .group_segment_fixed_size: 16
    .kernarg_segment_align: 8
    .kernarg_segment_size: 400
    .language:       OpenCL C
    .language_version:
      - 2
      - 0
    .max_flat_workgroup_size: 1024
    .name:           _ZN5aiter35fused_qk_rmsnorm_group_quant_kernelItN4opus5fp4_tELi128ELi8ELi8ELb1ELb0ELb0ELb0ELb0ELb0EEEvPT0_PvPT_S7_S7_PKS6_S9_S9_S9_S9_ffiiiiiiiiiiiii
    .private_segment_fixed_size: 0
    .sgpr_count:     48
    .sgpr_spill_count: 0
    .symbol:         _ZN5aiter35fused_qk_rmsnorm_group_quant_kernelItN4opus5fp4_tELi128ELi8ELi8ELb1ELb0ELb0ELb0ELb0ELb0EEEvPT0_PvPT_S7_S7_PKS6_S9_S9_S9_S9_ffiiiiiiiiiiiii.kd
    .uniform_work_group_size: 1
    .uses_dynamic_stack: false
    .vgpr_count:     27
    .vgpr_spill_count: 0
    .wavefront_size: 64
  - .agpr_count:     0
    .args:
      - .actual_access:  write_only
        .address_space:  global
        .offset:         0
        .size:           8
        .value_kind:     global_buffer
      - .actual_access:  write_only
        .address_space:  global
        .offset:         8
        .size:           8
        .value_kind:     global_buffer
      - .actual_access:  write_only
        .address_space:  global
        .offset:         16
        .size:           8
        .value_kind:     global_buffer
      - .actual_access:  write_only
        .address_space:  global
        .offset:         24
        .size:           8
        .value_kind:     global_buffer
      - .actual_access:  read_only
        .address_space:  global
        .offset:         32
        .size:           8
        .value_kind:     global_buffer
      - .actual_access:  read_only
        .address_space:  global
        .offset:         40
        .size:           8
        .value_kind:     global_buffer
      - .actual_access:  read_only
        .address_space:  global
        .offset:         48
        .size:           8
        .value_kind:     global_buffer
      - .actual_access:  read_only
        .address_space:  global
        .offset:         56
        .size:           8
        .value_kind:     global_buffer
      - .actual_access:  read_only
        .address_space:  global
        .offset:         64
        .size:           8
        .value_kind:     global_buffer
      - .actual_access:  read_only
        .address_space:  global
        .offset:         72
        .size:           8
        .value_kind:     global_buffer
      - .offset:         80
        .size:           4
        .value_kind:     by_value
      - .offset:         84
        .size:           4
        .value_kind:     by_value
      - .offset:         88
        .size:           4
        .value_kind:     by_value
      - .offset:         92
        .size:           4
        .value_kind:     by_value
      - .offset:         96
        .size:           4
        .value_kind:     by_value
      - .offset:         100
        .size:           4
        .value_kind:     by_value
      - .offset:         104
        .size:           4
        .value_kind:     by_value
      - .offset:         108
        .size:           4
        .value_kind:     by_value
      - .offset:         112
        .size:           4
        .value_kind:     by_value
      - .offset:         116
        .size:           4
        .value_kind:     by_value
      - .offset:         120
        .size:           4
        .value_kind:     by_value
      - .offset:         124
        .size:           4
        .value_kind:     by_value
      - .offset:         128
        .size:           4
        .value_kind:     by_value
      - .offset:         132
        .size:           4
        .value_kind:     by_value
      - .offset:         136
        .size:           4
        .value_kind:     by_value
      - .offset:         144
        .size:           4
        .value_kind:     hidden_block_count_x
      - .offset:         148
        .size:           4
        .value_kind:     hidden_block_count_y
      - .offset:         152
        .size:           4
        .value_kind:     hidden_block_count_z
      - .offset:         156
        .size:           2
        .value_kind:     hidden_group_size_x
      - .offset:         158
        .size:           2
        .value_kind:     hidden_group_size_y
      - .offset:         160
        .size:           2
        .value_kind:     hidden_group_size_z
      - .offset:         162
        .size:           2
        .value_kind:     hidden_remainder_x
      - .offset:         164
        .size:           2
        .value_kind:     hidden_remainder_y
      - .offset:         166
        .size:           2
        .value_kind:     hidden_remainder_z
      - .offset:         184
        .size:           8
        .value_kind:     hidden_global_offset_x
      - .offset:         192
        .size:           8
        .value_kind:     hidden_global_offset_y
      - .offset:         200
        .size:           8
        .value_kind:     hidden_global_offset_z
      - .offset:         208
        .size:           2
        .value_kind:     hidden_grid_dims
    .group_segment_fixed_size: 16
    .kernarg_segment_align: 8
    .kernarg_segment_size: 400
    .language:       OpenCL C
    .language_version:
      - 2
      - 0
    .max_flat_workgroup_size: 1024
    .name:           _ZN5aiter35fused_qk_rmsnorm_group_quant_kernelIDF16_DB8_Li128ELi8ELi8ELb0ELb1ELb1ELb0ELb0ELb0EEEvPT0_PvPT_S6_S6_PKS5_S8_S8_S8_S8_ffiiiiiiiiiiiii
    .private_segment_fixed_size: 0
    .sgpr_count:     40
    .sgpr_spill_count: 0
    .symbol:         _ZN5aiter35fused_qk_rmsnorm_group_quant_kernelIDF16_DB8_Li128ELi8ELi8ELb0ELb1ELb1ELb0ELb0ELb0EEEvPT0_PvPT_S6_S6_PKS5_S8_S8_S8_S8_ffiiiiiiiiiiiii.kd
    .uniform_work_group_size: 1
    .uses_dynamic_stack: false
    .vgpr_count:     23
    .vgpr_spill_count: 0
    .wavefront_size: 64
  - .agpr_count:     0
    .args:
      - .actual_access:  write_only
        .address_space:  global
        .offset:         0
        .size:           8
        .value_kind:     global_buffer
      - .actual_access:  write_only
        .address_space:  global
        .offset:         8
        .size:           8
        .value_kind:     global_buffer
      - .actual_access:  write_only
        .address_space:  global
        .offset:         16
        .size:           8
        .value_kind:     global_buffer
      - .actual_access:  write_only
        .address_space:  global
        .offset:         24
        .size:           8
        .value_kind:     global_buffer
      - .actual_access:  read_only
        .address_space:  global
        .offset:         32
        .size:           8
        .value_kind:     global_buffer
      - .actual_access:  read_only
        .address_space:  global
        .offset:         40
        .size:           8
        .value_kind:     global_buffer
      - .actual_access:  read_only
        .address_space:  global
        .offset:         48
        .size:           8
        .value_kind:     global_buffer
      - .actual_access:  read_only
        .address_space:  global
        .offset:         56
        .size:           8
        .value_kind:     global_buffer
      - .actual_access:  read_only
        .address_space:  global
        .offset:         64
        .size:           8
        .value_kind:     global_buffer
      - .actual_access:  read_only
        .address_space:  global
        .offset:         72
        .size:           8
        .value_kind:     global_buffer
      - .offset:         80
        .size:           4
        .value_kind:     by_value
      - .offset:         84
        .size:           4
        .value_kind:     by_value
      - .offset:         88
        .size:           4
        .value_kind:     by_value
      - .offset:         92
        .size:           4
        .value_kind:     by_value
      - .offset:         96
        .size:           4
        .value_kind:     by_value
      - .offset:         100
        .size:           4
        .value_kind:     by_value
      - .offset:         104
        .size:           4
        .value_kind:     by_value
      - .offset:         108
        .size:           4
        .value_kind:     by_value
      - .offset:         112
        .size:           4
        .value_kind:     by_value
      - .offset:         116
        .size:           4
        .value_kind:     by_value
      - .offset:         120
        .size:           4
        .value_kind:     by_value
      - .offset:         124
        .size:           4
        .value_kind:     by_value
      - .offset:         128
        .size:           4
        .value_kind:     by_value
      - .offset:         132
        .size:           4
        .value_kind:     by_value
      - .offset:         136
        .size:           4
        .value_kind:     by_value
      - .offset:         144
        .size:           4
        .value_kind:     hidden_block_count_x
      - .offset:         148
        .size:           4
        .value_kind:     hidden_block_count_y
      - .offset:         152
        .size:           4
        .value_kind:     hidden_block_count_z
      - .offset:         156
        .size:           2
        .value_kind:     hidden_group_size_x
      - .offset:         158
        .size:           2
        .value_kind:     hidden_group_size_y
      - .offset:         160
        .size:           2
        .value_kind:     hidden_group_size_z
      - .offset:         162
        .size:           2
        .value_kind:     hidden_remainder_x
      - .offset:         164
        .size:           2
        .value_kind:     hidden_remainder_y
      - .offset:         166
        .size:           2
        .value_kind:     hidden_remainder_z
      - .offset:         184
        .size:           8
        .value_kind:     hidden_global_offset_x
      - .offset:         192
        .size:           8
        .value_kind:     hidden_global_offset_y
      - .offset:         200
        .size:           8
        .value_kind:     hidden_global_offset_z
      - .offset:         208
        .size:           2
        .value_kind:     hidden_grid_dims
    .group_segment_fixed_size: 16
    .kernarg_segment_align: 8
    .kernarg_segment_size: 400
    .language:       OpenCL C
    .language_version:
      - 2
      - 0
    .max_flat_workgroup_size: 1024
    .name:           _ZN5aiter35fused_qk_rmsnorm_group_quant_kernelItDB8_Li128ELi8ELi8ELb0ELb1ELb1ELb0ELb0ELb0EEEvPT0_PvPT_S6_S6_PKS5_S8_S8_S8_S8_ffiiiiiiiiiiiii
    .private_segment_fixed_size: 0
    .sgpr_count:     40
    .sgpr_spill_count: 0
    .symbol:         _ZN5aiter35fused_qk_rmsnorm_group_quant_kernelItDB8_Li128ELi8ELi8ELb0ELb1ELb1ELb0ELb0ELb0EEEvPT0_PvPT_S6_S6_PKS5_S8_S8_S8_S8_ffiiiiiiiiiiiii.kd
    .uniform_work_group_size: 1
    .uses_dynamic_stack: false
    .vgpr_count:     23
    .vgpr_spill_count: 0
    .wavefront_size: 64
  - .agpr_count:     0
    .args:
      - .actual_access:  write_only
        .address_space:  global
        .offset:         0
        .size:           8
        .value_kind:     global_buffer
      - .actual_access:  write_only
        .address_space:  global
        .offset:         8
        .size:           8
        .value_kind:     global_buffer
      - .actual_access:  write_only
        .address_space:  global
        .offset:         16
        .size:           8
        .value_kind:     global_buffer
      - .actual_access:  write_only
        .address_space:  global
        .offset:         24
        .size:           8
        .value_kind:     global_buffer
      - .actual_access:  read_only
        .address_space:  global
        .offset:         32
        .size:           8
        .value_kind:     global_buffer
      - .actual_access:  read_only
        .address_space:  global
        .offset:         40
        .size:           8
        .value_kind:     global_buffer
      - .actual_access:  read_only
        .address_space:  global
        .offset:         48
        .size:           8
        .value_kind:     global_buffer
      - .actual_access:  read_only
        .address_space:  global
        .offset:         56
        .size:           8
        .value_kind:     global_buffer
      - .actual_access:  read_only
        .address_space:  global
        .offset:         64
        .size:           8
        .value_kind:     global_buffer
      - .actual_access:  read_only
        .address_space:  global
        .offset:         72
        .size:           8
        .value_kind:     global_buffer
      - .offset:         80
        .size:           4
        .value_kind:     by_value
      - .offset:         84
        .size:           4
        .value_kind:     by_value
      - .offset:         88
        .size:           4
        .value_kind:     by_value
      - .offset:         92
        .size:           4
        .value_kind:     by_value
      - .offset:         96
        .size:           4
        .value_kind:     by_value
      - .offset:         100
        .size:           4
        .value_kind:     by_value
      - .offset:         104
        .size:           4
        .value_kind:     by_value
      - .offset:         108
        .size:           4
        .value_kind:     by_value
      - .offset:         112
        .size:           4
        .value_kind:     by_value
      - .offset:         116
        .size:           4
        .value_kind:     by_value
      - .offset:         120
        .size:           4
        .value_kind:     by_value
      - .offset:         124
        .size:           4
        .value_kind:     by_value
      - .offset:         128
        .size:           4
        .value_kind:     by_value
      - .offset:         132
        .size:           4
        .value_kind:     by_value
      - .offset:         136
        .size:           4
        .value_kind:     by_value
      - .offset:         144
        .size:           4
        .value_kind:     hidden_block_count_x
      - .offset:         148
        .size:           4
        .value_kind:     hidden_block_count_y
      - .offset:         152
        .size:           4
        .value_kind:     hidden_block_count_z
      - .offset:         156
        .size:           2
        .value_kind:     hidden_group_size_x
      - .offset:         158
        .size:           2
        .value_kind:     hidden_group_size_y
      - .offset:         160
        .size:           2
        .value_kind:     hidden_group_size_z
      - .offset:         162
        .size:           2
        .value_kind:     hidden_remainder_x
      - .offset:         164
        .size:           2
        .value_kind:     hidden_remainder_y
      - .offset:         166
        .size:           2
        .value_kind:     hidden_remainder_z
      - .offset:         184
        .size:           8
        .value_kind:     hidden_global_offset_x
      - .offset:         192
        .size:           8
        .value_kind:     hidden_global_offset_y
      - .offset:         200
        .size:           8
        .value_kind:     hidden_global_offset_z
      - .offset:         208
        .size:           2
        .value_kind:     hidden_grid_dims
    .group_segment_fixed_size: 16
    .kernarg_segment_align: 8
    .kernarg_segment_size: 400
    .language:       OpenCL C
    .language_version:
      - 2
      - 0
    .max_flat_workgroup_size: 1024
    .name:           _ZN5aiter35fused_qk_rmsnorm_group_quant_kernelIDF16_N4opus5fp4_tELi128ELi8ELi8ELb0ELb1ELb1ELb0ELb0ELb0EEEvPT0_PvPT_S7_S7_PKS6_S9_S9_S9_S9_ffiiiiiiiiiiiii
    .private_segment_fixed_size: 0
    .sgpr_count:     40
    .sgpr_spill_count: 0
    .symbol:         _ZN5aiter35fused_qk_rmsnorm_group_quant_kernelIDF16_N4opus5fp4_tELi128ELi8ELi8ELb0ELb1ELb1ELb0ELb0ELb0EEEvPT0_PvPT_S7_S7_PKS6_S9_S9_S9_S9_ffiiiiiiiiiiiii.kd
    .uniform_work_group_size: 1
    .uses_dynamic_stack: false
    .vgpr_count:     23
    .vgpr_spill_count: 0
    .wavefront_size: 64
  - .agpr_count:     0
    .args:
      - .actual_access:  write_only
        .address_space:  global
        .offset:         0
        .size:           8
        .value_kind:     global_buffer
      - .actual_access:  write_only
        .address_space:  global
        .offset:         8
        .size:           8
        .value_kind:     global_buffer
      - .actual_access:  write_only
        .address_space:  global
        .offset:         16
        .size:           8
        .value_kind:     global_buffer
      - .actual_access:  write_only
        .address_space:  global
        .offset:         24
        .size:           8
        .value_kind:     global_buffer
      - .actual_access:  read_only
        .address_space:  global
        .offset:         32
        .size:           8
        .value_kind:     global_buffer
      - .actual_access:  read_only
        .address_space:  global
        .offset:         40
        .size:           8
        .value_kind:     global_buffer
      - .actual_access:  read_only
        .address_space:  global
        .offset:         48
        .size:           8
        .value_kind:     global_buffer
      - .actual_access:  read_only
        .address_space:  global
        .offset:         56
        .size:           8
        .value_kind:     global_buffer
      - .actual_access:  read_only
        .address_space:  global
        .offset:         64
        .size:           8
        .value_kind:     global_buffer
      - .actual_access:  read_only
        .address_space:  global
        .offset:         72
        .size:           8
        .value_kind:     global_buffer
      - .offset:         80
        .size:           4
        .value_kind:     by_value
      - .offset:         84
        .size:           4
        .value_kind:     by_value
      - .offset:         88
        .size:           4
        .value_kind:     by_value
      - .offset:         92
        .size:           4
        .value_kind:     by_value
      - .offset:         96
        .size:           4
        .value_kind:     by_value
      - .offset:         100
        .size:           4
        .value_kind:     by_value
      - .offset:         104
        .size:           4
        .value_kind:     by_value
      - .offset:         108
        .size:           4
        .value_kind:     by_value
      - .offset:         112
        .size:           4
        .value_kind:     by_value
      - .offset:         116
        .size:           4
        .value_kind:     by_value
      - .offset:         120
        .size:           4
        .value_kind:     by_value
      - .offset:         124
        .size:           4
        .value_kind:     by_value
      - .offset:         128
        .size:           4
        .value_kind:     by_value
      - .offset:         132
        .size:           4
        .value_kind:     by_value
      - .offset:         136
        .size:           4
        .value_kind:     by_value
      - .offset:         144
        .size:           4
        .value_kind:     hidden_block_count_x
      - .offset:         148
        .size:           4
        .value_kind:     hidden_block_count_y
      - .offset:         152
        .size:           4
        .value_kind:     hidden_block_count_z
      - .offset:         156
        .size:           2
        .value_kind:     hidden_group_size_x
      - .offset:         158
        .size:           2
        .value_kind:     hidden_group_size_y
      - .offset:         160
        .size:           2
        .value_kind:     hidden_group_size_z
      - .offset:         162
        .size:           2
        .value_kind:     hidden_remainder_x
      - .offset:         164
        .size:           2
        .value_kind:     hidden_remainder_y
      - .offset:         166
        .size:           2
        .value_kind:     hidden_remainder_z
      - .offset:         184
        .size:           8
        .value_kind:     hidden_global_offset_x
      - .offset:         192
        .size:           8
        .value_kind:     hidden_global_offset_y
      - .offset:         200
        .size:           8
        .value_kind:     hidden_global_offset_z
      - .offset:         208
        .size:           2
        .value_kind:     hidden_grid_dims
    .group_segment_fixed_size: 16
    .kernarg_segment_align: 8
    .kernarg_segment_size: 400
    .language:       OpenCL C
    .language_version:
      - 2
      - 0
    .max_flat_workgroup_size: 1024
    .name:           _ZN5aiter35fused_qk_rmsnorm_group_quant_kernelItN4opus5fp4_tELi128ELi8ELi8ELb0ELb1ELb1ELb0ELb0ELb0EEEvPT0_PvPT_S7_S7_PKS6_S9_S9_S9_S9_ffiiiiiiiiiiiii
    .private_segment_fixed_size: 0
    .sgpr_count:     40
    .sgpr_spill_count: 0
    .symbol:         _ZN5aiter35fused_qk_rmsnorm_group_quant_kernelItN4opus5fp4_tELi128ELi8ELi8ELb0ELb1ELb1ELb0ELb0ELb0EEEvPT0_PvPT_S7_S7_PKS6_S9_S9_S9_S9_ffiiiiiiiiiiiii.kd
    .uniform_work_group_size: 1
    .uses_dynamic_stack: false
    .vgpr_count:     23
    .vgpr_spill_count: 0
    .wavefront_size: 64
  - .agpr_count:     0
    .args:
      - .actual_access:  write_only
        .address_space:  global
        .offset:         0
        .size:           8
        .value_kind:     global_buffer
      - .actual_access:  write_only
        .address_space:  global
        .offset:         8
        .size:           8
        .value_kind:     global_buffer
      - .actual_access:  write_only
        .address_space:  global
        .offset:         16
        .size:           8
        .value_kind:     global_buffer
      - .actual_access:  write_only
        .address_space:  global
        .offset:         24
        .size:           8
        .value_kind:     global_buffer
      - .actual_access:  read_only
        .address_space:  global
        .offset:         32
        .size:           8
        .value_kind:     global_buffer
      - .actual_access:  read_only
        .address_space:  global
        .offset:         40
        .size:           8
        .value_kind:     global_buffer
      - .actual_access:  read_only
        .address_space:  global
        .offset:         48
        .size:           8
        .value_kind:     global_buffer
      - .actual_access:  read_only
        .address_space:  global
        .offset:         56
        .size:           8
        .value_kind:     global_buffer
      - .actual_access:  read_only
        .address_space:  global
        .offset:         64
        .size:           8
        .value_kind:     global_buffer
      - .actual_access:  read_only
        .address_space:  global
        .offset:         72
        .size:           8
        .value_kind:     global_buffer
      - .offset:         80
        .size:           4
        .value_kind:     by_value
      - .offset:         84
        .size:           4
        .value_kind:     by_value
      - .offset:         88
        .size:           4
        .value_kind:     by_value
      - .offset:         92
        .size:           4
        .value_kind:     by_value
      - .offset:         96
        .size:           4
        .value_kind:     by_value
      - .offset:         100
        .size:           4
        .value_kind:     by_value
      - .offset:         104
        .size:           4
        .value_kind:     by_value
      - .offset:         108
        .size:           4
        .value_kind:     by_value
      - .offset:         112
        .size:           4
        .value_kind:     by_value
      - .offset:         116
        .size:           4
        .value_kind:     by_value
      - .offset:         120
        .size:           4
        .value_kind:     by_value
      - .offset:         124
        .size:           4
        .value_kind:     by_value
      - .offset:         128
        .size:           4
        .value_kind:     by_value
      - .offset:         132
        .size:           4
        .value_kind:     by_value
      - .offset:         136
        .size:           4
        .value_kind:     by_value
      - .offset:         144
        .size:           4
        .value_kind:     hidden_block_count_x
      - .offset:         148
        .size:           4
        .value_kind:     hidden_block_count_y
      - .offset:         152
        .size:           4
        .value_kind:     hidden_block_count_z
      - .offset:         156
        .size:           2
        .value_kind:     hidden_group_size_x
      - .offset:         158
        .size:           2
        .value_kind:     hidden_group_size_y
      - .offset:         160
        .size:           2
        .value_kind:     hidden_group_size_z
      - .offset:         162
        .size:           2
        .value_kind:     hidden_remainder_x
      - .offset:         164
        .size:           2
        .value_kind:     hidden_remainder_y
      - .offset:         166
        .size:           2
        .value_kind:     hidden_remainder_z
      - .offset:         184
        .size:           8
        .value_kind:     hidden_global_offset_x
      - .offset:         192
        .size:           8
        .value_kind:     hidden_global_offset_y
      - .offset:         200
        .size:           8
        .value_kind:     hidden_global_offset_z
      - .offset:         208
        .size:           2
        .value_kind:     hidden_grid_dims
    .group_segment_fixed_size: 16
    .kernarg_segment_align: 8
    .kernarg_segment_size: 400
    .language:       OpenCL C
    .language_version:
      - 2
      - 0
    .max_flat_workgroup_size: 1024
    .name:           _ZN5aiter35fused_qk_rmsnorm_group_quant_kernelIDF16_DB8_Li128ELi8ELi8ELb0ELb1ELb0ELb0ELb0ELb0EEEvPT0_PvPT_S6_S6_PKS5_S8_S8_S8_S8_ffiiiiiiiiiiiii
    .private_segment_fixed_size: 0
    .sgpr_count:     40
    .sgpr_spill_count: 0
    .symbol:         _ZN5aiter35fused_qk_rmsnorm_group_quant_kernelIDF16_DB8_Li128ELi8ELi8ELb0ELb1ELb0ELb0ELb0ELb0EEEvPT0_PvPT_S6_S6_PKS5_S8_S8_S8_S8_ffiiiiiiiiiiiii.kd
    .uniform_work_group_size: 1
    .uses_dynamic_stack: false
    .vgpr_count:     23
    .vgpr_spill_count: 0
    .wavefront_size: 64
  - .agpr_count:     0
    .args:
      - .actual_access:  write_only
        .address_space:  global
        .offset:         0
        .size:           8
        .value_kind:     global_buffer
      - .actual_access:  write_only
        .address_space:  global
        .offset:         8
        .size:           8
        .value_kind:     global_buffer
      - .actual_access:  write_only
        .address_space:  global
        .offset:         16
        .size:           8
        .value_kind:     global_buffer
      - .actual_access:  write_only
        .address_space:  global
        .offset:         24
        .size:           8
        .value_kind:     global_buffer
      - .actual_access:  read_only
        .address_space:  global
        .offset:         32
        .size:           8
        .value_kind:     global_buffer
      - .actual_access:  read_only
        .address_space:  global
        .offset:         40
        .size:           8
        .value_kind:     global_buffer
      - .actual_access:  read_only
        .address_space:  global
        .offset:         48
        .size:           8
        .value_kind:     global_buffer
      - .actual_access:  read_only
        .address_space:  global
        .offset:         56
        .size:           8
        .value_kind:     global_buffer
      - .actual_access:  read_only
        .address_space:  global
        .offset:         64
        .size:           8
        .value_kind:     global_buffer
      - .actual_access:  read_only
        .address_space:  global
        .offset:         72
        .size:           8
        .value_kind:     global_buffer
      - .offset:         80
        .size:           4
        .value_kind:     by_value
      - .offset:         84
        .size:           4
        .value_kind:     by_value
      - .offset:         88
        .size:           4
        .value_kind:     by_value
      - .offset:         92
        .size:           4
        .value_kind:     by_value
      - .offset:         96
        .size:           4
        .value_kind:     by_value
      - .offset:         100
        .size:           4
        .value_kind:     by_value
      - .offset:         104
        .size:           4
        .value_kind:     by_value
      - .offset:         108
        .size:           4
        .value_kind:     by_value
      - .offset:         112
        .size:           4
        .value_kind:     by_value
      - .offset:         116
        .size:           4
        .value_kind:     by_value
      - .offset:         120
        .size:           4
        .value_kind:     by_value
      - .offset:         124
        .size:           4
        .value_kind:     by_value
      - .offset:         128
        .size:           4
        .value_kind:     by_value
      - .offset:         132
        .size:           4
        .value_kind:     by_value
      - .offset:         136
        .size:           4
        .value_kind:     by_value
      - .offset:         144
        .size:           4
        .value_kind:     hidden_block_count_x
      - .offset:         148
        .size:           4
        .value_kind:     hidden_block_count_y
      - .offset:         152
        .size:           4
        .value_kind:     hidden_block_count_z
      - .offset:         156
        .size:           2
        .value_kind:     hidden_group_size_x
      - .offset:         158
        .size:           2
        .value_kind:     hidden_group_size_y
      - .offset:         160
        .size:           2
        .value_kind:     hidden_group_size_z
      - .offset:         162
        .size:           2
        .value_kind:     hidden_remainder_x
      - .offset:         164
        .size:           2
        .value_kind:     hidden_remainder_y
      - .offset:         166
        .size:           2
        .value_kind:     hidden_remainder_z
      - .offset:         184
        .size:           8
        .value_kind:     hidden_global_offset_x
      - .offset:         192
        .size:           8
        .value_kind:     hidden_global_offset_y
      - .offset:         200
        .size:           8
        .value_kind:     hidden_global_offset_z
      - .offset:         208
        .size:           2
        .value_kind:     hidden_grid_dims
    .group_segment_fixed_size: 16
    .kernarg_segment_align: 8
    .kernarg_segment_size: 400
    .language:       OpenCL C
    .language_version:
      - 2
      - 0
    .max_flat_workgroup_size: 1024
    .name:           _ZN5aiter35fused_qk_rmsnorm_group_quant_kernelItDB8_Li128ELi8ELi8ELb0ELb1ELb0ELb0ELb0ELb0EEEvPT0_PvPT_S6_S6_PKS5_S8_S8_S8_S8_ffiiiiiiiiiiiii
    .private_segment_fixed_size: 0
    .sgpr_count:     40
    .sgpr_spill_count: 0
    .symbol:         _ZN5aiter35fused_qk_rmsnorm_group_quant_kernelItDB8_Li128ELi8ELi8ELb0ELb1ELb0ELb0ELb0ELb0EEEvPT0_PvPT_S6_S6_PKS5_S8_S8_S8_S8_ffiiiiiiiiiiiii.kd
    .uniform_work_group_size: 1
    .uses_dynamic_stack: false
    .vgpr_count:     23
    .vgpr_spill_count: 0
    .wavefront_size: 64
  - .agpr_count:     0
    .args:
      - .actual_access:  write_only
        .address_space:  global
        .offset:         0
        .size:           8
        .value_kind:     global_buffer
      - .actual_access:  write_only
        .address_space:  global
        .offset:         8
        .size:           8
        .value_kind:     global_buffer
      - .actual_access:  write_only
        .address_space:  global
        .offset:         16
        .size:           8
        .value_kind:     global_buffer
      - .actual_access:  write_only
        .address_space:  global
        .offset:         24
        .size:           8
        .value_kind:     global_buffer
      - .actual_access:  read_only
        .address_space:  global
        .offset:         32
        .size:           8
        .value_kind:     global_buffer
      - .actual_access:  read_only
        .address_space:  global
        .offset:         40
        .size:           8
        .value_kind:     global_buffer
      - .actual_access:  read_only
        .address_space:  global
        .offset:         48
        .size:           8
        .value_kind:     global_buffer
      - .actual_access:  read_only
        .address_space:  global
        .offset:         56
        .size:           8
        .value_kind:     global_buffer
      - .actual_access:  read_only
        .address_space:  global
        .offset:         64
        .size:           8
        .value_kind:     global_buffer
      - .actual_access:  read_only
        .address_space:  global
        .offset:         72
        .size:           8
        .value_kind:     global_buffer
      - .offset:         80
        .size:           4
        .value_kind:     by_value
      - .offset:         84
        .size:           4
        .value_kind:     by_value
      - .offset:         88
        .size:           4
        .value_kind:     by_value
      - .offset:         92
        .size:           4
        .value_kind:     by_value
      - .offset:         96
        .size:           4
        .value_kind:     by_value
      - .offset:         100
        .size:           4
        .value_kind:     by_value
      - .offset:         104
        .size:           4
        .value_kind:     by_value
      - .offset:         108
        .size:           4
        .value_kind:     by_value
      - .offset:         112
        .size:           4
        .value_kind:     by_value
      - .offset:         116
        .size:           4
        .value_kind:     by_value
      - .offset:         120
        .size:           4
        .value_kind:     by_value
      - .offset:         124
        .size:           4
        .value_kind:     by_value
      - .offset:         128
        .size:           4
        .value_kind:     by_value
      - .offset:         132
        .size:           4
        .value_kind:     by_value
      - .offset:         136
        .size:           4
        .value_kind:     by_value
      - .offset:         144
        .size:           4
        .value_kind:     hidden_block_count_x
      - .offset:         148
        .size:           4
        .value_kind:     hidden_block_count_y
      - .offset:         152
        .size:           4
        .value_kind:     hidden_block_count_z
      - .offset:         156
        .size:           2
        .value_kind:     hidden_group_size_x
      - .offset:         158
        .size:           2
        .value_kind:     hidden_group_size_y
      - .offset:         160
        .size:           2
        .value_kind:     hidden_group_size_z
      - .offset:         162
        .size:           2
        .value_kind:     hidden_remainder_x
      - .offset:         164
        .size:           2
        .value_kind:     hidden_remainder_y
      - .offset:         166
        .size:           2
        .value_kind:     hidden_remainder_z
      - .offset:         184
        .size:           8
        .value_kind:     hidden_global_offset_x
      - .offset:         192
        .size:           8
        .value_kind:     hidden_global_offset_y
      - .offset:         200
        .size:           8
        .value_kind:     hidden_global_offset_z
      - .offset:         208
        .size:           2
        .value_kind:     hidden_grid_dims
    .group_segment_fixed_size: 16
    .kernarg_segment_align: 8
    .kernarg_segment_size: 400
    .language:       OpenCL C
    .language_version:
      - 2
      - 0
    .max_flat_workgroup_size: 1024
    .name:           _ZN5aiter35fused_qk_rmsnorm_group_quant_kernelIDF16_N4opus5fp4_tELi128ELi8ELi8ELb0ELb1ELb0ELb0ELb0ELb0EEEvPT0_PvPT_S7_S7_PKS6_S9_S9_S9_S9_ffiiiiiiiiiiiii
    .private_segment_fixed_size: 0
    .sgpr_count:     40
    .sgpr_spill_count: 0
    .symbol:         _ZN5aiter35fused_qk_rmsnorm_group_quant_kernelIDF16_N4opus5fp4_tELi128ELi8ELi8ELb0ELb1ELb0ELb0ELb0ELb0EEEvPT0_PvPT_S7_S7_PKS6_S9_S9_S9_S9_ffiiiiiiiiiiiii.kd
    .uniform_work_group_size: 1
    .uses_dynamic_stack: false
    .vgpr_count:     23
    .vgpr_spill_count: 0
    .wavefront_size: 64
  - .agpr_count:     0
    .args:
      - .actual_access:  write_only
        .address_space:  global
        .offset:         0
        .size:           8
        .value_kind:     global_buffer
      - .actual_access:  write_only
        .address_space:  global
        .offset:         8
        .size:           8
        .value_kind:     global_buffer
      - .actual_access:  write_only
        .address_space:  global
        .offset:         16
        .size:           8
        .value_kind:     global_buffer
      - .actual_access:  write_only
        .address_space:  global
        .offset:         24
        .size:           8
        .value_kind:     global_buffer
      - .actual_access:  read_only
        .address_space:  global
        .offset:         32
        .size:           8
        .value_kind:     global_buffer
      - .actual_access:  read_only
        .address_space:  global
        .offset:         40
        .size:           8
        .value_kind:     global_buffer
      - .actual_access:  read_only
        .address_space:  global
        .offset:         48
        .size:           8
        .value_kind:     global_buffer
      - .actual_access:  read_only
        .address_space:  global
        .offset:         56
        .size:           8
        .value_kind:     global_buffer
      - .actual_access:  read_only
        .address_space:  global
        .offset:         64
        .size:           8
        .value_kind:     global_buffer
      - .actual_access:  read_only
        .address_space:  global
        .offset:         72
        .size:           8
        .value_kind:     global_buffer
      - .offset:         80
        .size:           4
        .value_kind:     by_value
      - .offset:         84
        .size:           4
        .value_kind:     by_value
      - .offset:         88
        .size:           4
        .value_kind:     by_value
      - .offset:         92
        .size:           4
        .value_kind:     by_value
      - .offset:         96
        .size:           4
        .value_kind:     by_value
      - .offset:         100
        .size:           4
        .value_kind:     by_value
      - .offset:         104
        .size:           4
        .value_kind:     by_value
      - .offset:         108
        .size:           4
        .value_kind:     by_value
      - .offset:         112
        .size:           4
        .value_kind:     by_value
      - .offset:         116
        .size:           4
        .value_kind:     by_value
      - .offset:         120
        .size:           4
        .value_kind:     by_value
      - .offset:         124
        .size:           4
        .value_kind:     by_value
      - .offset:         128
        .size:           4
        .value_kind:     by_value
      - .offset:         132
        .size:           4
        .value_kind:     by_value
      - .offset:         136
        .size:           4
        .value_kind:     by_value
      - .offset:         144
        .size:           4
        .value_kind:     hidden_block_count_x
      - .offset:         148
        .size:           4
        .value_kind:     hidden_block_count_y
      - .offset:         152
        .size:           4
        .value_kind:     hidden_block_count_z
      - .offset:         156
        .size:           2
        .value_kind:     hidden_group_size_x
      - .offset:         158
        .size:           2
        .value_kind:     hidden_group_size_y
      - .offset:         160
        .size:           2
        .value_kind:     hidden_group_size_z
      - .offset:         162
        .size:           2
        .value_kind:     hidden_remainder_x
      - .offset:         164
        .size:           2
        .value_kind:     hidden_remainder_y
      - .offset:         166
        .size:           2
        .value_kind:     hidden_remainder_z
      - .offset:         184
        .size:           8
        .value_kind:     hidden_global_offset_x
      - .offset:         192
        .size:           8
        .value_kind:     hidden_global_offset_y
      - .offset:         200
        .size:           8
        .value_kind:     hidden_global_offset_z
      - .offset:         208
        .size:           2
        .value_kind:     hidden_grid_dims
    .group_segment_fixed_size: 16
    .kernarg_segment_align: 8
    .kernarg_segment_size: 400
    .language:       OpenCL C
    .language_version:
      - 2
      - 0
    .max_flat_workgroup_size: 1024
    .name:           _ZN5aiter35fused_qk_rmsnorm_group_quant_kernelItN4opus5fp4_tELi128ELi8ELi8ELb0ELb1ELb0ELb0ELb0ELb0EEEvPT0_PvPT_S7_S7_PKS6_S9_S9_S9_S9_ffiiiiiiiiiiiii
    .private_segment_fixed_size: 0
    .sgpr_count:     40
    .sgpr_spill_count: 0
    .symbol:         _ZN5aiter35fused_qk_rmsnorm_group_quant_kernelItN4opus5fp4_tELi128ELi8ELi8ELb0ELb1ELb0ELb0ELb0ELb0EEEvPT0_PvPT_S7_S7_PKS6_S9_S9_S9_S9_ffiiiiiiiiiiiii.kd
    .uniform_work_group_size: 1
    .uses_dynamic_stack: false
    .vgpr_count:     23
    .vgpr_spill_count: 0
    .wavefront_size: 64
  - .agpr_count:     0
    .args:
      - .actual_access:  write_only
        .address_space:  global
        .offset:         0
        .size:           8
        .value_kind:     global_buffer
      - .actual_access:  write_only
        .address_space:  global
        .offset:         8
        .size:           8
        .value_kind:     global_buffer
      - .actual_access:  read_only
        .address_space:  global
        .offset:         16
        .size:           8
        .value_kind:     global_buffer
      - .actual_access:  write_only
        .address_space:  global
        .offset:         24
        .size:           8
        .value_kind:     global_buffer
      - .actual_access:  read_only
        .address_space:  global
        .offset:         32
        .size:           8
        .value_kind:     global_buffer
      - .actual_access:  read_only
        .address_space:  global
        .offset:         40
        .size:           8
        .value_kind:     global_buffer
      - .actual_access:  read_only
        .address_space:  global
        .offset:         48
        .size:           8
        .value_kind:     global_buffer
      - .actual_access:  read_only
        .address_space:  global
        .offset:         56
        .size:           8
        .value_kind:     global_buffer
      - .actual_access:  read_only
        .address_space:  global
        .offset:         64
        .size:           8
        .value_kind:     global_buffer
      - .actual_access:  read_only
        .address_space:  global
        .offset:         72
        .size:           8
        .value_kind:     global_buffer
      - .offset:         80
        .size:           4
        .value_kind:     by_value
      - .offset:         84
        .size:           4
        .value_kind:     by_value
      - .offset:         88
        .size:           4
        .value_kind:     by_value
      - .offset:         92
        .size:           4
        .value_kind:     by_value
      - .offset:         96
        .size:           4
        .value_kind:     by_value
      - .offset:         100
        .size:           4
        .value_kind:     by_value
      - .offset:         104
        .size:           4
        .value_kind:     by_value
      - .offset:         108
        .size:           4
        .value_kind:     by_value
      - .offset:         112
        .size:           4
        .value_kind:     by_value
      - .offset:         116
        .size:           4
        .value_kind:     by_value
      - .offset:         120
        .size:           4
        .value_kind:     by_value
      - .offset:         124
        .size:           4
        .value_kind:     by_value
      - .offset:         128
        .size:           4
        .value_kind:     by_value
      - .offset:         132
        .size:           4
        .value_kind:     by_value
      - .offset:         136
        .size:           4
        .value_kind:     by_value
      - .offset:         144
        .size:           4
        .value_kind:     hidden_block_count_x
      - .offset:         148
        .size:           4
        .value_kind:     hidden_block_count_y
      - .offset:         152
        .size:           4
        .value_kind:     hidden_block_count_z
      - .offset:         156
        .size:           2
        .value_kind:     hidden_group_size_x
      - .offset:         158
        .size:           2
        .value_kind:     hidden_group_size_y
      - .offset:         160
        .size:           2
        .value_kind:     hidden_group_size_z
      - .offset:         162
        .size:           2
        .value_kind:     hidden_remainder_x
      - .offset:         164
        .size:           2
        .value_kind:     hidden_remainder_y
      - .offset:         166
        .size:           2
        .value_kind:     hidden_remainder_z
      - .offset:         184
        .size:           8
        .value_kind:     hidden_global_offset_x
      - .offset:         192
        .size:           8
        .value_kind:     hidden_global_offset_y
      - .offset:         200
        .size:           8
        .value_kind:     hidden_global_offset_z
      - .offset:         208
        .size:           2
        .value_kind:     hidden_grid_dims
    .group_segment_fixed_size: 16
    .kernarg_segment_align: 8
    .kernarg_segment_size: 400
    .language:       OpenCL C
    .language_version:
      - 2
      - 0
    .max_flat_workgroup_size: 1024
    .name:           _ZN5aiter35fused_qk_rmsnorm_group_quant_kernelIDF16_DB8_Li128ELi8ELi8ELb0ELb0ELb1ELb0ELb0ELb0EEEvPT0_PvPT_S6_S6_PKS5_S8_S8_S8_S8_ffiiiiiiiiiiiii
    .private_segment_fixed_size: 0
    .sgpr_count:     36
    .sgpr_spill_count: 0
    .symbol:         _ZN5aiter35fused_qk_rmsnorm_group_quant_kernelIDF16_DB8_Li128ELi8ELi8ELb0ELb0ELb1ELb0ELb0ELb0EEEvPT0_PvPT_S6_S6_PKS5_S8_S8_S8_S8_ffiiiiiiiiiiiii.kd
    .uniform_work_group_size: 1
    .uses_dynamic_stack: false
    .vgpr_count:     23
    .vgpr_spill_count: 0
    .wavefront_size: 64
  - .agpr_count:     0
    .args:
      - .actual_access:  write_only
        .address_space:  global
        .offset:         0
        .size:           8
        .value_kind:     global_buffer
      - .actual_access:  write_only
        .address_space:  global
        .offset:         8
        .size:           8
        .value_kind:     global_buffer
      - .actual_access:  read_only
        .address_space:  global
        .offset:         16
        .size:           8
        .value_kind:     global_buffer
      - .actual_access:  write_only
        .address_space:  global
        .offset:         24
        .size:           8
        .value_kind:     global_buffer
      - .actual_access:  read_only
        .address_space:  global
        .offset:         32
        .size:           8
        .value_kind:     global_buffer
      - .actual_access:  read_only
        .address_space:  global
        .offset:         40
        .size:           8
        .value_kind:     global_buffer
      - .actual_access:  read_only
        .address_space:  global
        .offset:         48
        .size:           8
        .value_kind:     global_buffer
      - .actual_access:  read_only
        .address_space:  global
        .offset:         56
        .size:           8
        .value_kind:     global_buffer
      - .actual_access:  read_only
        .address_space:  global
        .offset:         64
        .size:           8
        .value_kind:     global_buffer
      - .actual_access:  read_only
        .address_space:  global
        .offset:         72
        .size:           8
        .value_kind:     global_buffer
      - .offset:         80
        .size:           4
        .value_kind:     by_value
      - .offset:         84
        .size:           4
        .value_kind:     by_value
      - .offset:         88
        .size:           4
        .value_kind:     by_value
      - .offset:         92
        .size:           4
        .value_kind:     by_value
      - .offset:         96
        .size:           4
        .value_kind:     by_value
      - .offset:         100
        .size:           4
        .value_kind:     by_value
      - .offset:         104
        .size:           4
        .value_kind:     by_value
      - .offset:         108
        .size:           4
        .value_kind:     by_value
      - .offset:         112
        .size:           4
        .value_kind:     by_value
      - .offset:         116
        .size:           4
        .value_kind:     by_value
      - .offset:         120
        .size:           4
        .value_kind:     by_value
      - .offset:         124
        .size:           4
        .value_kind:     by_value
      - .offset:         128
        .size:           4
        .value_kind:     by_value
      - .offset:         132
        .size:           4
        .value_kind:     by_value
      - .offset:         136
        .size:           4
        .value_kind:     by_value
      - .offset:         144
        .size:           4
        .value_kind:     hidden_block_count_x
      - .offset:         148
        .size:           4
        .value_kind:     hidden_block_count_y
      - .offset:         152
        .size:           4
        .value_kind:     hidden_block_count_z
      - .offset:         156
        .size:           2
        .value_kind:     hidden_group_size_x
      - .offset:         158
        .size:           2
        .value_kind:     hidden_group_size_y
      - .offset:         160
        .size:           2
        .value_kind:     hidden_group_size_z
      - .offset:         162
        .size:           2
        .value_kind:     hidden_remainder_x
      - .offset:         164
        .size:           2
        .value_kind:     hidden_remainder_y
      - .offset:         166
        .size:           2
        .value_kind:     hidden_remainder_z
      - .offset:         184
        .size:           8
        .value_kind:     hidden_global_offset_x
      - .offset:         192
        .size:           8
        .value_kind:     hidden_global_offset_y
      - .offset:         200
        .size:           8
        .value_kind:     hidden_global_offset_z
      - .offset:         208
        .size:           2
        .value_kind:     hidden_grid_dims
    .group_segment_fixed_size: 16
    .kernarg_segment_align: 8
    .kernarg_segment_size: 400
    .language:       OpenCL C
    .language_version:
      - 2
      - 0
    .max_flat_workgroup_size: 1024
    .name:           _ZN5aiter35fused_qk_rmsnorm_group_quant_kernelItDB8_Li128ELi8ELi8ELb0ELb0ELb1ELb0ELb0ELb0EEEvPT0_PvPT_S6_S6_PKS5_S8_S8_S8_S8_ffiiiiiiiiiiiii
    .private_segment_fixed_size: 0
    .sgpr_count:     36
    .sgpr_spill_count: 0
    .symbol:         _ZN5aiter35fused_qk_rmsnorm_group_quant_kernelItDB8_Li128ELi8ELi8ELb0ELb0ELb1ELb0ELb0ELb0EEEvPT0_PvPT_S6_S6_PKS5_S8_S8_S8_S8_ffiiiiiiiiiiiii.kd
    .uniform_work_group_size: 1
    .uses_dynamic_stack: false
    .vgpr_count:     23
    .vgpr_spill_count: 0
    .wavefront_size: 64
  - .agpr_count:     0
    .args:
      - .actual_access:  write_only
        .address_space:  global
        .offset:         0
        .size:           8
        .value_kind:     global_buffer
      - .actual_access:  write_only
        .address_space:  global
        .offset:         8
        .size:           8
        .value_kind:     global_buffer
      - .actual_access:  read_only
        .address_space:  global
        .offset:         16
        .size:           8
        .value_kind:     global_buffer
      - .actual_access:  write_only
        .address_space:  global
        .offset:         24
        .size:           8
        .value_kind:     global_buffer
      - .actual_access:  read_only
        .address_space:  global
        .offset:         32
        .size:           8
        .value_kind:     global_buffer
      - .actual_access:  read_only
        .address_space:  global
        .offset:         40
        .size:           8
        .value_kind:     global_buffer
      - .actual_access:  read_only
        .address_space:  global
        .offset:         48
        .size:           8
        .value_kind:     global_buffer
      - .actual_access:  read_only
        .address_space:  global
        .offset:         56
        .size:           8
        .value_kind:     global_buffer
      - .actual_access:  read_only
        .address_space:  global
        .offset:         64
        .size:           8
        .value_kind:     global_buffer
      - .actual_access:  read_only
        .address_space:  global
        .offset:         72
        .size:           8
        .value_kind:     global_buffer
      - .offset:         80
        .size:           4
        .value_kind:     by_value
      - .offset:         84
        .size:           4
        .value_kind:     by_value
      - .offset:         88
        .size:           4
        .value_kind:     by_value
      - .offset:         92
        .size:           4
        .value_kind:     by_value
      - .offset:         96
        .size:           4
        .value_kind:     by_value
      - .offset:         100
        .size:           4
        .value_kind:     by_value
      - .offset:         104
        .size:           4
        .value_kind:     by_value
      - .offset:         108
        .size:           4
        .value_kind:     by_value
      - .offset:         112
        .size:           4
        .value_kind:     by_value
      - .offset:         116
        .size:           4
        .value_kind:     by_value
      - .offset:         120
        .size:           4
        .value_kind:     by_value
      - .offset:         124
        .size:           4
        .value_kind:     by_value
      - .offset:         128
        .size:           4
        .value_kind:     by_value
      - .offset:         132
        .size:           4
        .value_kind:     by_value
      - .offset:         136
        .size:           4
        .value_kind:     by_value
      - .offset:         144
        .size:           4
        .value_kind:     hidden_block_count_x
      - .offset:         148
        .size:           4
        .value_kind:     hidden_block_count_y
      - .offset:         152
        .size:           4
        .value_kind:     hidden_block_count_z
      - .offset:         156
        .size:           2
        .value_kind:     hidden_group_size_x
      - .offset:         158
        .size:           2
        .value_kind:     hidden_group_size_y
      - .offset:         160
        .size:           2
        .value_kind:     hidden_group_size_z
      - .offset:         162
        .size:           2
        .value_kind:     hidden_remainder_x
      - .offset:         164
        .size:           2
        .value_kind:     hidden_remainder_y
      - .offset:         166
        .size:           2
        .value_kind:     hidden_remainder_z
      - .offset:         184
        .size:           8
        .value_kind:     hidden_global_offset_x
      - .offset:         192
        .size:           8
        .value_kind:     hidden_global_offset_y
      - .offset:         200
        .size:           8
        .value_kind:     hidden_global_offset_z
      - .offset:         208
        .size:           2
        .value_kind:     hidden_grid_dims
    .group_segment_fixed_size: 16
    .kernarg_segment_align: 8
    .kernarg_segment_size: 400
    .language:       OpenCL C
    .language_version:
      - 2
      - 0
    .max_flat_workgroup_size: 1024
    .name:           _ZN5aiter35fused_qk_rmsnorm_group_quant_kernelIDF16_N4opus5fp4_tELi128ELi8ELi8ELb0ELb0ELb1ELb0ELb0ELb0EEEvPT0_PvPT_S7_S7_PKS6_S9_S9_S9_S9_ffiiiiiiiiiiiii
    .private_segment_fixed_size: 0
    .sgpr_count:     36
    .sgpr_spill_count: 0
    .symbol:         _ZN5aiter35fused_qk_rmsnorm_group_quant_kernelIDF16_N4opus5fp4_tELi128ELi8ELi8ELb0ELb0ELb1ELb0ELb0ELb0EEEvPT0_PvPT_S7_S7_PKS6_S9_S9_S9_S9_ffiiiiiiiiiiiii.kd
    .uniform_work_group_size: 1
    .uses_dynamic_stack: false
    .vgpr_count:     23
    .vgpr_spill_count: 0
    .wavefront_size: 64
  - .agpr_count:     0
    .args:
      - .actual_access:  write_only
        .address_space:  global
        .offset:         0
        .size:           8
        .value_kind:     global_buffer
      - .actual_access:  write_only
        .address_space:  global
        .offset:         8
        .size:           8
        .value_kind:     global_buffer
      - .actual_access:  read_only
        .address_space:  global
        .offset:         16
        .size:           8
        .value_kind:     global_buffer
      - .actual_access:  write_only
        .address_space:  global
        .offset:         24
        .size:           8
        .value_kind:     global_buffer
      - .actual_access:  read_only
        .address_space:  global
        .offset:         32
        .size:           8
        .value_kind:     global_buffer
      - .actual_access:  read_only
        .address_space:  global
        .offset:         40
        .size:           8
        .value_kind:     global_buffer
      - .actual_access:  read_only
        .address_space:  global
        .offset:         48
        .size:           8
        .value_kind:     global_buffer
      - .actual_access:  read_only
        .address_space:  global
        .offset:         56
        .size:           8
        .value_kind:     global_buffer
      - .actual_access:  read_only
        .address_space:  global
        .offset:         64
        .size:           8
        .value_kind:     global_buffer
      - .actual_access:  read_only
        .address_space:  global
        .offset:         72
        .size:           8
        .value_kind:     global_buffer
      - .offset:         80
        .size:           4
        .value_kind:     by_value
      - .offset:         84
        .size:           4
        .value_kind:     by_value
      - .offset:         88
        .size:           4
        .value_kind:     by_value
      - .offset:         92
        .size:           4
        .value_kind:     by_value
      - .offset:         96
        .size:           4
        .value_kind:     by_value
      - .offset:         100
        .size:           4
        .value_kind:     by_value
      - .offset:         104
        .size:           4
        .value_kind:     by_value
      - .offset:         108
        .size:           4
        .value_kind:     by_value
      - .offset:         112
        .size:           4
        .value_kind:     by_value
      - .offset:         116
        .size:           4
        .value_kind:     by_value
      - .offset:         120
        .size:           4
        .value_kind:     by_value
      - .offset:         124
        .size:           4
        .value_kind:     by_value
      - .offset:         128
        .size:           4
        .value_kind:     by_value
      - .offset:         132
        .size:           4
        .value_kind:     by_value
      - .offset:         136
        .size:           4
        .value_kind:     by_value
      - .offset:         144
        .size:           4
        .value_kind:     hidden_block_count_x
      - .offset:         148
        .size:           4
        .value_kind:     hidden_block_count_y
      - .offset:         152
        .size:           4
        .value_kind:     hidden_block_count_z
      - .offset:         156
        .size:           2
        .value_kind:     hidden_group_size_x
      - .offset:         158
        .size:           2
        .value_kind:     hidden_group_size_y
      - .offset:         160
        .size:           2
        .value_kind:     hidden_group_size_z
      - .offset:         162
        .size:           2
        .value_kind:     hidden_remainder_x
      - .offset:         164
        .size:           2
        .value_kind:     hidden_remainder_y
      - .offset:         166
        .size:           2
        .value_kind:     hidden_remainder_z
      - .offset:         184
        .size:           8
        .value_kind:     hidden_global_offset_x
      - .offset:         192
        .size:           8
        .value_kind:     hidden_global_offset_y
      - .offset:         200
        .size:           8
        .value_kind:     hidden_global_offset_z
      - .offset:         208
        .size:           2
        .value_kind:     hidden_grid_dims
    .group_segment_fixed_size: 16
    .kernarg_segment_align: 8
    .kernarg_segment_size: 400
    .language:       OpenCL C
    .language_version:
      - 2
      - 0
    .max_flat_workgroup_size: 1024
    .name:           _ZN5aiter35fused_qk_rmsnorm_group_quant_kernelItN4opus5fp4_tELi128ELi8ELi8ELb0ELb0ELb1ELb0ELb0ELb0EEEvPT0_PvPT_S7_S7_PKS6_S9_S9_S9_S9_ffiiiiiiiiiiiii
    .private_segment_fixed_size: 0
    .sgpr_count:     36
    .sgpr_spill_count: 0
    .symbol:         _ZN5aiter35fused_qk_rmsnorm_group_quant_kernelItN4opus5fp4_tELi128ELi8ELi8ELb0ELb0ELb1ELb0ELb0ELb0EEEvPT0_PvPT_S7_S7_PKS6_S9_S9_S9_S9_ffiiiiiiiiiiiii.kd
    .uniform_work_group_size: 1
    .uses_dynamic_stack: false
    .vgpr_count:     23
    .vgpr_spill_count: 0
    .wavefront_size: 64
  - .agpr_count:     0
    .args:
      - .actual_access:  write_only
        .address_space:  global
        .offset:         0
        .size:           8
        .value_kind:     global_buffer
      - .actual_access:  write_only
        .address_space:  global
        .offset:         8
        .size:           8
        .value_kind:     global_buffer
      - .actual_access:  read_only
        .address_space:  global
        .offset:         16
        .size:           8
        .value_kind:     global_buffer
      - .actual_access:  write_only
        .address_space:  global
        .offset:         24
        .size:           8
        .value_kind:     global_buffer
      - .actual_access:  read_only
        .address_space:  global
        .offset:         32
        .size:           8
        .value_kind:     global_buffer
      - .actual_access:  read_only
        .address_space:  global
        .offset:         40
        .size:           8
        .value_kind:     global_buffer
      - .actual_access:  read_only
        .address_space:  global
        .offset:         48
        .size:           8
        .value_kind:     global_buffer
      - .actual_access:  read_only
        .address_space:  global
        .offset:         56
        .size:           8
        .value_kind:     global_buffer
      - .actual_access:  read_only
        .address_space:  global
        .offset:         64
        .size:           8
        .value_kind:     global_buffer
      - .actual_access:  read_only
        .address_space:  global
        .offset:         72
        .size:           8
        .value_kind:     global_buffer
      - .offset:         80
        .size:           4
        .value_kind:     by_value
      - .offset:         84
        .size:           4
        .value_kind:     by_value
      - .offset:         88
        .size:           4
        .value_kind:     by_value
      - .offset:         92
        .size:           4
        .value_kind:     by_value
      - .offset:         96
        .size:           4
        .value_kind:     by_value
      - .offset:         100
        .size:           4
        .value_kind:     by_value
      - .offset:         104
        .size:           4
        .value_kind:     by_value
      - .offset:         108
        .size:           4
        .value_kind:     by_value
      - .offset:         112
        .size:           4
        .value_kind:     by_value
      - .offset:         116
        .size:           4
        .value_kind:     by_value
      - .offset:         120
        .size:           4
        .value_kind:     by_value
      - .offset:         124
        .size:           4
        .value_kind:     by_value
      - .offset:         128
        .size:           4
        .value_kind:     by_value
      - .offset:         132
        .size:           4
        .value_kind:     by_value
      - .offset:         136
        .size:           4
        .value_kind:     by_value
      - .offset:         144
        .size:           4
        .value_kind:     hidden_block_count_x
      - .offset:         148
        .size:           4
        .value_kind:     hidden_block_count_y
      - .offset:         152
        .size:           4
        .value_kind:     hidden_block_count_z
      - .offset:         156
        .size:           2
        .value_kind:     hidden_group_size_x
      - .offset:         158
        .size:           2
        .value_kind:     hidden_group_size_y
      - .offset:         160
        .size:           2
        .value_kind:     hidden_group_size_z
      - .offset:         162
        .size:           2
        .value_kind:     hidden_remainder_x
      - .offset:         164
        .size:           2
        .value_kind:     hidden_remainder_y
      - .offset:         166
        .size:           2
        .value_kind:     hidden_remainder_z
      - .offset:         184
        .size:           8
        .value_kind:     hidden_global_offset_x
      - .offset:         192
        .size:           8
        .value_kind:     hidden_global_offset_y
      - .offset:         200
        .size:           8
        .value_kind:     hidden_global_offset_z
      - .offset:         208
        .size:           2
        .value_kind:     hidden_grid_dims
    .group_segment_fixed_size: 16
    .kernarg_segment_align: 8
    .kernarg_segment_size: 400
    .language:       OpenCL C
    .language_version:
      - 2
      - 0
    .max_flat_workgroup_size: 1024
    .name:           _ZN5aiter35fused_qk_rmsnorm_group_quant_kernelIDF16_DB8_Li128ELi8ELi8ELb0ELb0ELb0ELb0ELb0ELb0EEEvPT0_PvPT_S6_S6_PKS5_S8_S8_S8_S8_ffiiiiiiiiiiiii
    .private_segment_fixed_size: 0
    .sgpr_count:     36
    .sgpr_spill_count: 0
    .symbol:         _ZN5aiter35fused_qk_rmsnorm_group_quant_kernelIDF16_DB8_Li128ELi8ELi8ELb0ELb0ELb0ELb0ELb0ELb0EEEvPT0_PvPT_S6_S6_PKS5_S8_S8_S8_S8_ffiiiiiiiiiiiii.kd
    .uniform_work_group_size: 1
    .uses_dynamic_stack: false
    .vgpr_count:     23
    .vgpr_spill_count: 0
    .wavefront_size: 64
  - .agpr_count:     0
    .args:
      - .actual_access:  write_only
        .address_space:  global
        .offset:         0
        .size:           8
        .value_kind:     global_buffer
      - .actual_access:  write_only
        .address_space:  global
        .offset:         8
        .size:           8
        .value_kind:     global_buffer
      - .actual_access:  read_only
        .address_space:  global
        .offset:         16
        .size:           8
        .value_kind:     global_buffer
      - .actual_access:  write_only
        .address_space:  global
        .offset:         24
        .size:           8
        .value_kind:     global_buffer
      - .actual_access:  read_only
        .address_space:  global
        .offset:         32
        .size:           8
        .value_kind:     global_buffer
      - .actual_access:  read_only
        .address_space:  global
        .offset:         40
        .size:           8
        .value_kind:     global_buffer
      - .actual_access:  read_only
        .address_space:  global
        .offset:         48
        .size:           8
        .value_kind:     global_buffer
      - .actual_access:  read_only
        .address_space:  global
        .offset:         56
        .size:           8
        .value_kind:     global_buffer
      - .actual_access:  read_only
        .address_space:  global
        .offset:         64
        .size:           8
        .value_kind:     global_buffer
      - .actual_access:  read_only
        .address_space:  global
        .offset:         72
        .size:           8
        .value_kind:     global_buffer
      - .offset:         80
        .size:           4
        .value_kind:     by_value
      - .offset:         84
        .size:           4
        .value_kind:     by_value
      - .offset:         88
        .size:           4
        .value_kind:     by_value
      - .offset:         92
        .size:           4
        .value_kind:     by_value
      - .offset:         96
        .size:           4
        .value_kind:     by_value
      - .offset:         100
        .size:           4
        .value_kind:     by_value
      - .offset:         104
        .size:           4
        .value_kind:     by_value
      - .offset:         108
        .size:           4
        .value_kind:     by_value
      - .offset:         112
        .size:           4
        .value_kind:     by_value
      - .offset:         116
        .size:           4
        .value_kind:     by_value
      - .offset:         120
        .size:           4
        .value_kind:     by_value
      - .offset:         124
        .size:           4
        .value_kind:     by_value
      - .offset:         128
        .size:           4
        .value_kind:     by_value
      - .offset:         132
        .size:           4
        .value_kind:     by_value
      - .offset:         136
        .size:           4
        .value_kind:     by_value
      - .offset:         144
        .size:           4
        .value_kind:     hidden_block_count_x
      - .offset:         148
        .size:           4
        .value_kind:     hidden_block_count_y
      - .offset:         152
        .size:           4
        .value_kind:     hidden_block_count_z
      - .offset:         156
        .size:           2
        .value_kind:     hidden_group_size_x
      - .offset:         158
        .size:           2
        .value_kind:     hidden_group_size_y
      - .offset:         160
        .size:           2
        .value_kind:     hidden_group_size_z
      - .offset:         162
        .size:           2
        .value_kind:     hidden_remainder_x
      - .offset:         164
        .size:           2
        .value_kind:     hidden_remainder_y
      - .offset:         166
        .size:           2
        .value_kind:     hidden_remainder_z
      - .offset:         184
        .size:           8
        .value_kind:     hidden_global_offset_x
      - .offset:         192
        .size:           8
        .value_kind:     hidden_global_offset_y
      - .offset:         200
        .size:           8
        .value_kind:     hidden_global_offset_z
      - .offset:         208
        .size:           2
        .value_kind:     hidden_grid_dims
    .group_segment_fixed_size: 16
    .kernarg_segment_align: 8
    .kernarg_segment_size: 400
    .language:       OpenCL C
    .language_version:
      - 2
      - 0
    .max_flat_workgroup_size: 1024
    .name:           _ZN5aiter35fused_qk_rmsnorm_group_quant_kernelItDB8_Li128ELi8ELi8ELb0ELb0ELb0ELb0ELb0ELb0EEEvPT0_PvPT_S6_S6_PKS5_S8_S8_S8_S8_ffiiiiiiiiiiiii
    .private_segment_fixed_size: 0
    .sgpr_count:     36
    .sgpr_spill_count: 0
    .symbol:         _ZN5aiter35fused_qk_rmsnorm_group_quant_kernelItDB8_Li128ELi8ELi8ELb0ELb0ELb0ELb0ELb0ELb0EEEvPT0_PvPT_S6_S6_PKS5_S8_S8_S8_S8_ffiiiiiiiiiiiii.kd
    .uniform_work_group_size: 1
    .uses_dynamic_stack: false
    .vgpr_count:     23
    .vgpr_spill_count: 0
    .wavefront_size: 64
  - .agpr_count:     0
    .args:
      - .actual_access:  write_only
        .address_space:  global
        .offset:         0
        .size:           8
        .value_kind:     global_buffer
      - .actual_access:  write_only
        .address_space:  global
        .offset:         8
        .size:           8
        .value_kind:     global_buffer
      - .actual_access:  read_only
        .address_space:  global
        .offset:         16
        .size:           8
        .value_kind:     global_buffer
      - .actual_access:  write_only
        .address_space:  global
        .offset:         24
        .size:           8
        .value_kind:     global_buffer
      - .actual_access:  read_only
        .address_space:  global
        .offset:         32
        .size:           8
        .value_kind:     global_buffer
      - .actual_access:  read_only
        .address_space:  global
        .offset:         40
        .size:           8
        .value_kind:     global_buffer
      - .actual_access:  read_only
        .address_space:  global
        .offset:         48
        .size:           8
        .value_kind:     global_buffer
      - .actual_access:  read_only
        .address_space:  global
        .offset:         56
        .size:           8
        .value_kind:     global_buffer
      - .actual_access:  read_only
        .address_space:  global
        .offset:         64
        .size:           8
        .value_kind:     global_buffer
      - .actual_access:  read_only
        .address_space:  global
        .offset:         72
        .size:           8
        .value_kind:     global_buffer
      - .offset:         80
        .size:           4
        .value_kind:     by_value
      - .offset:         84
        .size:           4
        .value_kind:     by_value
      - .offset:         88
        .size:           4
        .value_kind:     by_value
      - .offset:         92
        .size:           4
        .value_kind:     by_value
      - .offset:         96
        .size:           4
        .value_kind:     by_value
      - .offset:         100
        .size:           4
        .value_kind:     by_value
      - .offset:         104
        .size:           4
        .value_kind:     by_value
      - .offset:         108
        .size:           4
        .value_kind:     by_value
      - .offset:         112
        .size:           4
        .value_kind:     by_value
      - .offset:         116
        .size:           4
        .value_kind:     by_value
      - .offset:         120
        .size:           4
        .value_kind:     by_value
      - .offset:         124
        .size:           4
        .value_kind:     by_value
      - .offset:         128
        .size:           4
        .value_kind:     by_value
      - .offset:         132
        .size:           4
        .value_kind:     by_value
      - .offset:         136
        .size:           4
        .value_kind:     by_value
      - .offset:         144
        .size:           4
        .value_kind:     hidden_block_count_x
      - .offset:         148
        .size:           4
        .value_kind:     hidden_block_count_y
      - .offset:         152
        .size:           4
        .value_kind:     hidden_block_count_z
      - .offset:         156
        .size:           2
        .value_kind:     hidden_group_size_x
      - .offset:         158
        .size:           2
        .value_kind:     hidden_group_size_y
      - .offset:         160
        .size:           2
        .value_kind:     hidden_group_size_z
      - .offset:         162
        .size:           2
        .value_kind:     hidden_remainder_x
      - .offset:         164
        .size:           2
        .value_kind:     hidden_remainder_y
      - .offset:         166
        .size:           2
        .value_kind:     hidden_remainder_z
      - .offset:         184
        .size:           8
        .value_kind:     hidden_global_offset_x
      - .offset:         192
        .size:           8
        .value_kind:     hidden_global_offset_y
      - .offset:         200
        .size:           8
        .value_kind:     hidden_global_offset_z
      - .offset:         208
        .size:           2
        .value_kind:     hidden_grid_dims
    .group_segment_fixed_size: 16
    .kernarg_segment_align: 8
    .kernarg_segment_size: 400
    .language:       OpenCL C
    .language_version:
      - 2
      - 0
    .max_flat_workgroup_size: 1024
    .name:           _ZN5aiter35fused_qk_rmsnorm_group_quant_kernelIDF16_N4opus5fp4_tELi128ELi8ELi8ELb0ELb0ELb0ELb0ELb0ELb0EEEvPT0_PvPT_S7_S7_PKS6_S9_S9_S9_S9_ffiiiiiiiiiiiii
    .private_segment_fixed_size: 0
    .sgpr_count:     36
    .sgpr_spill_count: 0
    .symbol:         _ZN5aiter35fused_qk_rmsnorm_group_quant_kernelIDF16_N4opus5fp4_tELi128ELi8ELi8ELb0ELb0ELb0ELb0ELb0ELb0EEEvPT0_PvPT_S7_S7_PKS6_S9_S9_S9_S9_ffiiiiiiiiiiiii.kd
    .uniform_work_group_size: 1
    .uses_dynamic_stack: false
    .vgpr_count:     23
    .vgpr_spill_count: 0
    .wavefront_size: 64
  - .agpr_count:     0
    .args:
      - .actual_access:  write_only
        .address_space:  global
        .offset:         0
        .size:           8
        .value_kind:     global_buffer
      - .actual_access:  write_only
        .address_space:  global
        .offset:         8
        .size:           8
        .value_kind:     global_buffer
      - .actual_access:  read_only
        .address_space:  global
        .offset:         16
        .size:           8
        .value_kind:     global_buffer
      - .actual_access:  write_only
        .address_space:  global
        .offset:         24
        .size:           8
        .value_kind:     global_buffer
      - .actual_access:  read_only
        .address_space:  global
        .offset:         32
        .size:           8
        .value_kind:     global_buffer
      - .actual_access:  read_only
        .address_space:  global
        .offset:         40
        .size:           8
        .value_kind:     global_buffer
      - .actual_access:  read_only
        .address_space:  global
        .offset:         48
        .size:           8
        .value_kind:     global_buffer
      - .actual_access:  read_only
        .address_space:  global
        .offset:         56
        .size:           8
        .value_kind:     global_buffer
      - .actual_access:  read_only
        .address_space:  global
        .offset:         64
        .size:           8
        .value_kind:     global_buffer
      - .actual_access:  read_only
        .address_space:  global
        .offset:         72
        .size:           8
        .value_kind:     global_buffer
      - .offset:         80
        .size:           4
        .value_kind:     by_value
      - .offset:         84
        .size:           4
        .value_kind:     by_value
      - .offset:         88
        .size:           4
        .value_kind:     by_value
      - .offset:         92
        .size:           4
        .value_kind:     by_value
      - .offset:         96
        .size:           4
        .value_kind:     by_value
      - .offset:         100
        .size:           4
        .value_kind:     by_value
      - .offset:         104
        .size:           4
        .value_kind:     by_value
      - .offset:         108
        .size:           4
        .value_kind:     by_value
      - .offset:         112
        .size:           4
        .value_kind:     by_value
      - .offset:         116
        .size:           4
        .value_kind:     by_value
      - .offset:         120
        .size:           4
        .value_kind:     by_value
      - .offset:         124
        .size:           4
        .value_kind:     by_value
      - .offset:         128
        .size:           4
        .value_kind:     by_value
      - .offset:         132
        .size:           4
        .value_kind:     by_value
      - .offset:         136
        .size:           4
        .value_kind:     by_value
      - .offset:         144
        .size:           4
        .value_kind:     hidden_block_count_x
      - .offset:         148
        .size:           4
        .value_kind:     hidden_block_count_y
      - .offset:         152
        .size:           4
        .value_kind:     hidden_block_count_z
      - .offset:         156
        .size:           2
        .value_kind:     hidden_group_size_x
      - .offset:         158
        .size:           2
        .value_kind:     hidden_group_size_y
      - .offset:         160
        .size:           2
        .value_kind:     hidden_group_size_z
      - .offset:         162
        .size:           2
        .value_kind:     hidden_remainder_x
      - .offset:         164
        .size:           2
        .value_kind:     hidden_remainder_y
      - .offset:         166
        .size:           2
        .value_kind:     hidden_remainder_z
      - .offset:         184
        .size:           8
        .value_kind:     hidden_global_offset_x
      - .offset:         192
        .size:           8
        .value_kind:     hidden_global_offset_y
      - .offset:         200
        .size:           8
        .value_kind:     hidden_global_offset_z
      - .offset:         208
        .size:           2
        .value_kind:     hidden_grid_dims
    .group_segment_fixed_size: 16
    .kernarg_segment_align: 8
    .kernarg_segment_size: 400
    .language:       OpenCL C
    .language_version:
      - 2
      - 0
    .max_flat_workgroup_size: 1024
    .name:           _ZN5aiter35fused_qk_rmsnorm_group_quant_kernelItN4opus5fp4_tELi128ELi8ELi8ELb0ELb0ELb0ELb0ELb0ELb0EEEvPT0_PvPT_S7_S7_PKS6_S9_S9_S9_S9_ffiiiiiiiiiiiii
    .private_segment_fixed_size: 0
    .sgpr_count:     36
    .sgpr_spill_count: 0
    .symbol:         _ZN5aiter35fused_qk_rmsnorm_group_quant_kernelItN4opus5fp4_tELi128ELi8ELi8ELb0ELb0ELb0ELb0ELb0ELb0EEEvPT0_PvPT_S7_S7_PKS6_S9_S9_S9_S9_ffiiiiiiiiiiiii.kd
    .uniform_work_group_size: 1
    .uses_dynamic_stack: false
    .vgpr_count:     23
    .vgpr_spill_count: 0
    .wavefront_size: 64
  - .agpr_count:     0
    .args:
      - .actual_access:  read_only
        .address_space:  global
        .offset:         0
        .size:           8
        .value_kind:     global_buffer
      - .actual_access:  read_only
        .address_space:  global
        .offset:         8
        .size:           8
        .value_kind:     global_buffer
      - .actual_access:  write_only
        .address_space:  global
        .offset:         16
        .size:           8
        .value_kind:     global_buffer
      - .actual_access:  write_only
        .address_space:  global
        .offset:         24
        .size:           8
        .value_kind:     global_buffer
      - .actual_access:  write_only
        .address_space:  global
        .offset:         32
        .size:           8
        .value_kind:     global_buffer
      - .actual_access:  read_only
        .address_space:  global
        .offset:         40
        .size:           8
        .value_kind:     global_buffer
      - .actual_access:  read_only
        .address_space:  global
        .offset:         48
        .size:           8
        .value_kind:     global_buffer
      - .actual_access:  read_only
        .address_space:  global
        .offset:         56
        .size:           8
        .value_kind:     global_buffer
      - .actual_access:  read_only
        .address_space:  global
        .offset:         64
        .size:           8
        .value_kind:     global_buffer
      - .actual_access:  read_only
        .address_space:  global
        .offset:         72
        .size:           8
        .value_kind:     global_buffer
      - .offset:         80
        .size:           4
        .value_kind:     by_value
      - .offset:         84
        .size:           4
        .value_kind:     by_value
      - .offset:         88
        .size:           4
        .value_kind:     by_value
      - .offset:         92
        .size:           4
        .value_kind:     by_value
      - .offset:         96
        .size:           4
        .value_kind:     by_value
      - .offset:         100
        .size:           4
        .value_kind:     by_value
      - .offset:         104
        .size:           4
        .value_kind:     by_value
      - .offset:         108
        .size:           4
        .value_kind:     by_value
      - .offset:         112
        .size:           4
        .value_kind:     by_value
      - .offset:         116
        .size:           4
        .value_kind:     by_value
      - .offset:         120
        .size:           4
        .value_kind:     by_value
      - .offset:         124
        .size:           4
        .value_kind:     by_value
      - .offset:         128
        .size:           4
        .value_kind:     by_value
      - .offset:         132
        .size:           4
        .value_kind:     by_value
      - .offset:         136
        .size:           4
        .value_kind:     by_value
      - .offset:         144
        .size:           4
        .value_kind:     hidden_block_count_x
      - .offset:         148
        .size:           4
        .value_kind:     hidden_block_count_y
      - .offset:         152
        .size:           4
        .value_kind:     hidden_block_count_z
      - .offset:         156
        .size:           2
        .value_kind:     hidden_group_size_x
      - .offset:         158
        .size:           2
        .value_kind:     hidden_group_size_y
      - .offset:         160
        .size:           2
        .value_kind:     hidden_group_size_z
      - .offset:         162
        .size:           2
        .value_kind:     hidden_remainder_x
      - .offset:         164
        .size:           2
        .value_kind:     hidden_remainder_y
      - .offset:         166
        .size:           2
        .value_kind:     hidden_remainder_z
      - .offset:         184
        .size:           8
        .value_kind:     hidden_global_offset_x
      - .offset:         192
        .size:           8
        .value_kind:     hidden_global_offset_y
      - .offset:         200
        .size:           8
        .value_kind:     hidden_global_offset_z
      - .offset:         208
        .size:           2
        .value_kind:     hidden_grid_dims
    .group_segment_fixed_size: 16
    .kernarg_segment_align: 8
    .kernarg_segment_size: 400
    .language:       OpenCL C
    .language_version:
      - 2
      - 0
    .max_flat_workgroup_size: 1024
    .name:           _ZN5aiter35fused_qk_rmsnorm_group_quant_kernelIDF16_DB8_Li128ELi8ELi4ELb1ELb1ELb1ELb1ELb0ELb0EEEvPT0_PvPT_S6_S6_PKS5_S8_S8_S8_S8_ffiiiiiiiiiiiii
    .private_segment_fixed_size: 0
    .sgpr_count:     36
    .sgpr_spill_count: 0
    .symbol:         _ZN5aiter35fused_qk_rmsnorm_group_quant_kernelIDF16_DB8_Li128ELi8ELi4ELb1ELb1ELb1ELb1ELb0ELb0EEEvPT0_PvPT_S6_S6_PKS5_S8_S8_S8_S8_ffiiiiiiiiiiiii.kd
    .uniform_work_group_size: 1
    .uses_dynamic_stack: false
    .vgpr_count:     25
    .vgpr_spill_count: 0
    .wavefront_size: 64
  - .agpr_count:     0
    .args:
      - .actual_access:  read_only
        .address_space:  global
        .offset:         0
        .size:           8
        .value_kind:     global_buffer
      - .actual_access:  read_only
        .address_space:  global
        .offset:         8
        .size:           8
        .value_kind:     global_buffer
      - .actual_access:  write_only
        .address_space:  global
        .offset:         16
        .size:           8
        .value_kind:     global_buffer
      - .actual_access:  write_only
        .address_space:  global
        .offset:         24
        .size:           8
        .value_kind:     global_buffer
      - .actual_access:  write_only
        .address_space:  global
        .offset:         32
        .size:           8
        .value_kind:     global_buffer
      - .actual_access:  read_only
        .address_space:  global
        .offset:         40
        .size:           8
        .value_kind:     global_buffer
      - .actual_access:  read_only
        .address_space:  global
        .offset:         48
        .size:           8
        .value_kind:     global_buffer
      - .actual_access:  read_only
        .address_space:  global
        .offset:         56
        .size:           8
        .value_kind:     global_buffer
      - .actual_access:  read_only
        .address_space:  global
        .offset:         64
        .size:           8
        .value_kind:     global_buffer
      - .actual_access:  read_only
        .address_space:  global
        .offset:         72
        .size:           8
        .value_kind:     global_buffer
      - .offset:         80
        .size:           4
        .value_kind:     by_value
      - .offset:         84
        .size:           4
        .value_kind:     by_value
      - .offset:         88
        .size:           4
        .value_kind:     by_value
      - .offset:         92
        .size:           4
        .value_kind:     by_value
      - .offset:         96
        .size:           4
        .value_kind:     by_value
      - .offset:         100
        .size:           4
        .value_kind:     by_value
      - .offset:         104
        .size:           4
        .value_kind:     by_value
      - .offset:         108
        .size:           4
        .value_kind:     by_value
      - .offset:         112
        .size:           4
        .value_kind:     by_value
      - .offset:         116
        .size:           4
        .value_kind:     by_value
      - .offset:         120
        .size:           4
        .value_kind:     by_value
      - .offset:         124
        .size:           4
        .value_kind:     by_value
      - .offset:         128
        .size:           4
        .value_kind:     by_value
      - .offset:         132
        .size:           4
        .value_kind:     by_value
      - .offset:         136
        .size:           4
        .value_kind:     by_value
      - .offset:         144
        .size:           4
        .value_kind:     hidden_block_count_x
      - .offset:         148
        .size:           4
        .value_kind:     hidden_block_count_y
      - .offset:         152
        .size:           4
        .value_kind:     hidden_block_count_z
      - .offset:         156
        .size:           2
        .value_kind:     hidden_group_size_x
      - .offset:         158
        .size:           2
        .value_kind:     hidden_group_size_y
      - .offset:         160
        .size:           2
        .value_kind:     hidden_group_size_z
      - .offset:         162
        .size:           2
        .value_kind:     hidden_remainder_x
      - .offset:         164
        .size:           2
        .value_kind:     hidden_remainder_y
      - .offset:         166
        .size:           2
        .value_kind:     hidden_remainder_z
      - .offset:         184
        .size:           8
        .value_kind:     hidden_global_offset_x
      - .offset:         192
        .size:           8
        .value_kind:     hidden_global_offset_y
      - .offset:         200
        .size:           8
        .value_kind:     hidden_global_offset_z
      - .offset:         208
        .size:           2
        .value_kind:     hidden_grid_dims
    .group_segment_fixed_size: 16
    .kernarg_segment_align: 8
    .kernarg_segment_size: 400
    .language:       OpenCL C
    .language_version:
      - 2
      - 0
    .max_flat_workgroup_size: 1024
    .name:           _ZN5aiter35fused_qk_rmsnorm_group_quant_kernelItDB8_Li128ELi8ELi4ELb1ELb1ELb1ELb1ELb0ELb0EEEvPT0_PvPT_S6_S6_PKS5_S8_S8_S8_S8_ffiiiiiiiiiiiii
    .private_segment_fixed_size: 0
    .sgpr_count:     48
    .sgpr_spill_count: 0
    .symbol:         _ZN5aiter35fused_qk_rmsnorm_group_quant_kernelItDB8_Li128ELi8ELi4ELb1ELb1ELb1ELb1ELb0ELb0EEEvPT0_PvPT_S6_S6_PKS5_S8_S8_S8_S8_ffiiiiiiiiiiiii.kd
    .uniform_work_group_size: 1
    .uses_dynamic_stack: false
    .vgpr_count:     27
    .vgpr_spill_count: 0
    .wavefront_size: 64
  - .agpr_count:     0
    .args:
      - .actual_access:  read_only
        .address_space:  global
        .offset:         0
        .size:           8
        .value_kind:     global_buffer
      - .actual_access:  read_only
        .address_space:  global
        .offset:         8
        .size:           8
        .value_kind:     global_buffer
      - .actual_access:  write_only
        .address_space:  global
        .offset:         16
        .size:           8
        .value_kind:     global_buffer
      - .actual_access:  write_only
        .address_space:  global
        .offset:         24
        .size:           8
        .value_kind:     global_buffer
      - .actual_access:  write_only
        .address_space:  global
        .offset:         32
        .size:           8
        .value_kind:     global_buffer
      - .actual_access:  read_only
        .address_space:  global
        .offset:         40
        .size:           8
        .value_kind:     global_buffer
      - .actual_access:  read_only
        .address_space:  global
        .offset:         48
        .size:           8
        .value_kind:     global_buffer
      - .actual_access:  read_only
        .address_space:  global
        .offset:         56
        .size:           8
        .value_kind:     global_buffer
      - .actual_access:  read_only
        .address_space:  global
        .offset:         64
        .size:           8
        .value_kind:     global_buffer
      - .actual_access:  read_only
        .address_space:  global
        .offset:         72
        .size:           8
        .value_kind:     global_buffer
      - .offset:         80
        .size:           4
        .value_kind:     by_value
      - .offset:         84
        .size:           4
        .value_kind:     by_value
      - .offset:         88
        .size:           4
        .value_kind:     by_value
      - .offset:         92
        .size:           4
        .value_kind:     by_value
      - .offset:         96
        .size:           4
        .value_kind:     by_value
      - .offset:         100
        .size:           4
        .value_kind:     by_value
      - .offset:         104
        .size:           4
        .value_kind:     by_value
      - .offset:         108
        .size:           4
        .value_kind:     by_value
      - .offset:         112
        .size:           4
        .value_kind:     by_value
      - .offset:         116
        .size:           4
        .value_kind:     by_value
      - .offset:         120
        .size:           4
        .value_kind:     by_value
      - .offset:         124
        .size:           4
        .value_kind:     by_value
      - .offset:         128
        .size:           4
        .value_kind:     by_value
      - .offset:         132
        .size:           4
        .value_kind:     by_value
      - .offset:         136
        .size:           4
        .value_kind:     by_value
      - .offset:         144
        .size:           4
        .value_kind:     hidden_block_count_x
      - .offset:         148
        .size:           4
        .value_kind:     hidden_block_count_y
      - .offset:         152
        .size:           4
        .value_kind:     hidden_block_count_z
      - .offset:         156
        .size:           2
        .value_kind:     hidden_group_size_x
      - .offset:         158
        .size:           2
        .value_kind:     hidden_group_size_y
      - .offset:         160
        .size:           2
        .value_kind:     hidden_group_size_z
      - .offset:         162
        .size:           2
        .value_kind:     hidden_remainder_x
      - .offset:         164
        .size:           2
        .value_kind:     hidden_remainder_y
      - .offset:         166
        .size:           2
        .value_kind:     hidden_remainder_z
      - .offset:         184
        .size:           8
        .value_kind:     hidden_global_offset_x
      - .offset:         192
        .size:           8
        .value_kind:     hidden_global_offset_y
      - .offset:         200
        .size:           8
        .value_kind:     hidden_global_offset_z
      - .offset:         208
        .size:           2
        .value_kind:     hidden_grid_dims
    .group_segment_fixed_size: 16
    .kernarg_segment_align: 8
    .kernarg_segment_size: 400
    .language:       OpenCL C
    .language_version:
      - 2
      - 0
    .max_flat_workgroup_size: 1024
    .name:           _ZN5aiter35fused_qk_rmsnorm_group_quant_kernelIDF16_N4opus5fp4_tELi128ELi8ELi4ELb1ELb1ELb1ELb1ELb0ELb0EEEvPT0_PvPT_S7_S7_PKS6_S9_S9_S9_S9_ffiiiiiiiiiiiii
    .private_segment_fixed_size: 0
    .sgpr_count:     36
    .sgpr_spill_count: 0
    .symbol:         _ZN5aiter35fused_qk_rmsnorm_group_quant_kernelIDF16_N4opus5fp4_tELi128ELi8ELi4ELb1ELb1ELb1ELb1ELb0ELb0EEEvPT0_PvPT_S7_S7_PKS6_S9_S9_S9_S9_ffiiiiiiiiiiiii.kd
    .uniform_work_group_size: 1
    .uses_dynamic_stack: false
    .vgpr_count:     25
    .vgpr_spill_count: 0
    .wavefront_size: 64
  - .agpr_count:     0
    .args:
      - .actual_access:  read_only
        .address_space:  global
        .offset:         0
        .size:           8
        .value_kind:     global_buffer
      - .actual_access:  read_only
        .address_space:  global
        .offset:         8
        .size:           8
        .value_kind:     global_buffer
      - .actual_access:  write_only
        .address_space:  global
        .offset:         16
        .size:           8
        .value_kind:     global_buffer
      - .actual_access:  write_only
        .address_space:  global
        .offset:         24
        .size:           8
        .value_kind:     global_buffer
      - .actual_access:  write_only
        .address_space:  global
        .offset:         32
        .size:           8
        .value_kind:     global_buffer
      - .actual_access:  read_only
        .address_space:  global
        .offset:         40
        .size:           8
        .value_kind:     global_buffer
      - .actual_access:  read_only
        .address_space:  global
        .offset:         48
        .size:           8
        .value_kind:     global_buffer
      - .actual_access:  read_only
        .address_space:  global
        .offset:         56
        .size:           8
        .value_kind:     global_buffer
      - .actual_access:  read_only
        .address_space:  global
        .offset:         64
        .size:           8
        .value_kind:     global_buffer
      - .actual_access:  read_only
        .address_space:  global
        .offset:         72
        .size:           8
        .value_kind:     global_buffer
      - .offset:         80
        .size:           4
        .value_kind:     by_value
      - .offset:         84
        .size:           4
        .value_kind:     by_value
      - .offset:         88
        .size:           4
        .value_kind:     by_value
      - .offset:         92
        .size:           4
        .value_kind:     by_value
      - .offset:         96
        .size:           4
        .value_kind:     by_value
      - .offset:         100
        .size:           4
        .value_kind:     by_value
      - .offset:         104
        .size:           4
        .value_kind:     by_value
      - .offset:         108
        .size:           4
        .value_kind:     by_value
      - .offset:         112
        .size:           4
        .value_kind:     by_value
      - .offset:         116
        .size:           4
        .value_kind:     by_value
      - .offset:         120
        .size:           4
        .value_kind:     by_value
      - .offset:         124
        .size:           4
        .value_kind:     by_value
      - .offset:         128
        .size:           4
        .value_kind:     by_value
      - .offset:         132
        .size:           4
        .value_kind:     by_value
      - .offset:         136
        .size:           4
        .value_kind:     by_value
      - .offset:         144
        .size:           4
        .value_kind:     hidden_block_count_x
      - .offset:         148
        .size:           4
        .value_kind:     hidden_block_count_y
      - .offset:         152
        .size:           4
        .value_kind:     hidden_block_count_z
      - .offset:         156
        .size:           2
        .value_kind:     hidden_group_size_x
      - .offset:         158
        .size:           2
        .value_kind:     hidden_group_size_y
      - .offset:         160
        .size:           2
        .value_kind:     hidden_group_size_z
      - .offset:         162
        .size:           2
        .value_kind:     hidden_remainder_x
      - .offset:         164
        .size:           2
        .value_kind:     hidden_remainder_y
      - .offset:         166
        .size:           2
        .value_kind:     hidden_remainder_z
      - .offset:         184
        .size:           8
        .value_kind:     hidden_global_offset_x
      - .offset:         192
        .size:           8
        .value_kind:     hidden_global_offset_y
      - .offset:         200
        .size:           8
        .value_kind:     hidden_global_offset_z
      - .offset:         208
        .size:           2
        .value_kind:     hidden_grid_dims
    .group_segment_fixed_size: 16
    .kernarg_segment_align: 8
    .kernarg_segment_size: 400
    .language:       OpenCL C
    .language_version:
      - 2
      - 0
    .max_flat_workgroup_size: 1024
    .name:           _ZN5aiter35fused_qk_rmsnorm_group_quant_kernelItN4opus5fp4_tELi128ELi8ELi4ELb1ELb1ELb1ELb1ELb0ELb0EEEvPT0_PvPT_S7_S7_PKS6_S9_S9_S9_S9_ffiiiiiiiiiiiii
    .private_segment_fixed_size: 0
    .sgpr_count:     48
    .sgpr_spill_count: 0
    .symbol:         _ZN5aiter35fused_qk_rmsnorm_group_quant_kernelItN4opus5fp4_tELi128ELi8ELi4ELb1ELb1ELb1ELb1ELb0ELb0EEEvPT0_PvPT_S7_S7_PKS6_S9_S9_S9_S9_ffiiiiiiiiiiiii.kd
    .uniform_work_group_size: 1
    .uses_dynamic_stack: false
    .vgpr_count:     27
    .vgpr_spill_count: 0
    .wavefront_size: 64
  - .agpr_count:     0
    .args:
      - .actual_access:  read_only
        .address_space:  global
        .offset:         0
        .size:           8
        .value_kind:     global_buffer
      - .actual_access:  read_only
        .address_space:  global
        .offset:         8
        .size:           8
        .value_kind:     global_buffer
      - .actual_access:  write_only
        .address_space:  global
        .offset:         16
        .size:           8
        .value_kind:     global_buffer
      - .actual_access:  write_only
        .address_space:  global
        .offset:         24
        .size:           8
        .value_kind:     global_buffer
      - .actual_access:  write_only
        .address_space:  global
        .offset:         32
        .size:           8
        .value_kind:     global_buffer
      - .actual_access:  read_only
        .address_space:  global
        .offset:         40
        .size:           8
        .value_kind:     global_buffer
      - .actual_access:  read_only
        .address_space:  global
        .offset:         48
        .size:           8
        .value_kind:     global_buffer
      - .actual_access:  read_only
        .address_space:  global
        .offset:         56
        .size:           8
        .value_kind:     global_buffer
      - .actual_access:  read_only
        .address_space:  global
        .offset:         64
        .size:           8
        .value_kind:     global_buffer
      - .actual_access:  read_only
        .address_space:  global
        .offset:         72
        .size:           8
        .value_kind:     global_buffer
      - .offset:         80
        .size:           4
        .value_kind:     by_value
      - .offset:         84
        .size:           4
        .value_kind:     by_value
      - .offset:         88
        .size:           4
        .value_kind:     by_value
      - .offset:         92
        .size:           4
        .value_kind:     by_value
      - .offset:         96
        .size:           4
        .value_kind:     by_value
      - .offset:         100
        .size:           4
        .value_kind:     by_value
      - .offset:         104
        .size:           4
        .value_kind:     by_value
      - .offset:         108
        .size:           4
        .value_kind:     by_value
      - .offset:         112
        .size:           4
        .value_kind:     by_value
      - .offset:         116
        .size:           4
        .value_kind:     by_value
      - .offset:         120
        .size:           4
        .value_kind:     by_value
      - .offset:         124
        .size:           4
        .value_kind:     by_value
      - .offset:         128
        .size:           4
        .value_kind:     by_value
      - .offset:         132
        .size:           4
        .value_kind:     by_value
      - .offset:         136
        .size:           4
        .value_kind:     by_value
      - .offset:         144
        .size:           4
        .value_kind:     hidden_block_count_x
      - .offset:         148
        .size:           4
        .value_kind:     hidden_block_count_y
      - .offset:         152
        .size:           4
        .value_kind:     hidden_block_count_z
      - .offset:         156
        .size:           2
        .value_kind:     hidden_group_size_x
      - .offset:         158
        .size:           2
        .value_kind:     hidden_group_size_y
      - .offset:         160
        .size:           2
        .value_kind:     hidden_group_size_z
      - .offset:         162
        .size:           2
        .value_kind:     hidden_remainder_x
      - .offset:         164
        .size:           2
        .value_kind:     hidden_remainder_y
      - .offset:         166
        .size:           2
        .value_kind:     hidden_remainder_z
      - .offset:         184
        .size:           8
        .value_kind:     hidden_global_offset_x
      - .offset:         192
        .size:           8
        .value_kind:     hidden_global_offset_y
      - .offset:         200
        .size:           8
        .value_kind:     hidden_global_offset_z
      - .offset:         208
        .size:           2
        .value_kind:     hidden_grid_dims
    .group_segment_fixed_size: 16
    .kernarg_segment_align: 8
    .kernarg_segment_size: 400
    .language:       OpenCL C
    .language_version:
      - 2
      - 0
    .max_flat_workgroup_size: 1024
    .name:           _ZN5aiter35fused_qk_rmsnorm_group_quant_kernelIDF16_DB8_Li128ELi8ELi4ELb1ELb1ELb0ELb1ELb0ELb0EEEvPT0_PvPT_S6_S6_PKS5_S8_S8_S8_S8_ffiiiiiiiiiiiii
    .private_segment_fixed_size: 0
    .sgpr_count:     36
    .sgpr_spill_count: 0
    .symbol:         _ZN5aiter35fused_qk_rmsnorm_group_quant_kernelIDF16_DB8_Li128ELi8ELi4ELb1ELb1ELb0ELb1ELb0ELb0EEEvPT0_PvPT_S6_S6_PKS5_S8_S8_S8_S8_ffiiiiiiiiiiiii.kd
    .uniform_work_group_size: 1
    .uses_dynamic_stack: false
    .vgpr_count:     27
    .vgpr_spill_count: 0
    .wavefront_size: 64
  - .agpr_count:     0
    .args:
      - .actual_access:  read_only
        .address_space:  global
        .offset:         0
        .size:           8
        .value_kind:     global_buffer
      - .actual_access:  read_only
        .address_space:  global
        .offset:         8
        .size:           8
        .value_kind:     global_buffer
      - .actual_access:  write_only
        .address_space:  global
        .offset:         16
        .size:           8
        .value_kind:     global_buffer
      - .actual_access:  write_only
        .address_space:  global
        .offset:         24
        .size:           8
        .value_kind:     global_buffer
      - .actual_access:  write_only
        .address_space:  global
        .offset:         32
        .size:           8
        .value_kind:     global_buffer
      - .actual_access:  read_only
        .address_space:  global
        .offset:         40
        .size:           8
        .value_kind:     global_buffer
      - .actual_access:  read_only
        .address_space:  global
        .offset:         48
        .size:           8
        .value_kind:     global_buffer
      - .actual_access:  read_only
        .address_space:  global
        .offset:         56
        .size:           8
        .value_kind:     global_buffer
      - .actual_access:  read_only
        .address_space:  global
        .offset:         64
        .size:           8
        .value_kind:     global_buffer
      - .actual_access:  read_only
        .address_space:  global
        .offset:         72
        .size:           8
        .value_kind:     global_buffer
      - .offset:         80
        .size:           4
        .value_kind:     by_value
      - .offset:         84
        .size:           4
        .value_kind:     by_value
      - .offset:         88
        .size:           4
        .value_kind:     by_value
      - .offset:         92
        .size:           4
        .value_kind:     by_value
      - .offset:         96
        .size:           4
        .value_kind:     by_value
      - .offset:         100
        .size:           4
        .value_kind:     by_value
      - .offset:         104
        .size:           4
        .value_kind:     by_value
      - .offset:         108
        .size:           4
        .value_kind:     by_value
      - .offset:         112
        .size:           4
        .value_kind:     by_value
      - .offset:         116
        .size:           4
        .value_kind:     by_value
      - .offset:         120
        .size:           4
        .value_kind:     by_value
      - .offset:         124
        .size:           4
        .value_kind:     by_value
      - .offset:         128
        .size:           4
        .value_kind:     by_value
      - .offset:         132
        .size:           4
        .value_kind:     by_value
      - .offset:         136
        .size:           4
        .value_kind:     by_value
      - .offset:         144
        .size:           4
        .value_kind:     hidden_block_count_x
      - .offset:         148
        .size:           4
        .value_kind:     hidden_block_count_y
      - .offset:         152
        .size:           4
        .value_kind:     hidden_block_count_z
      - .offset:         156
        .size:           2
        .value_kind:     hidden_group_size_x
      - .offset:         158
        .size:           2
        .value_kind:     hidden_group_size_y
      - .offset:         160
        .size:           2
        .value_kind:     hidden_group_size_z
      - .offset:         162
        .size:           2
        .value_kind:     hidden_remainder_x
      - .offset:         164
        .size:           2
        .value_kind:     hidden_remainder_y
      - .offset:         166
        .size:           2
        .value_kind:     hidden_remainder_z
      - .offset:         184
        .size:           8
        .value_kind:     hidden_global_offset_x
      - .offset:         192
        .size:           8
        .value_kind:     hidden_global_offset_y
      - .offset:         200
        .size:           8
        .value_kind:     hidden_global_offset_z
      - .offset:         208
        .size:           2
        .value_kind:     hidden_grid_dims
    .group_segment_fixed_size: 16
    .kernarg_segment_align: 8
    .kernarg_segment_size: 400
    .language:       OpenCL C
    .language_version:
      - 2
      - 0
    .max_flat_workgroup_size: 1024
    .name:           _ZN5aiter35fused_qk_rmsnorm_group_quant_kernelItDB8_Li128ELi8ELi4ELb1ELb1ELb0ELb1ELb0ELb0EEEvPT0_PvPT_S6_S6_PKS5_S8_S8_S8_S8_ffiiiiiiiiiiiii
    .private_segment_fixed_size: 0
    .sgpr_count:     48
    .sgpr_spill_count: 0
    .symbol:         _ZN5aiter35fused_qk_rmsnorm_group_quant_kernelItDB8_Li128ELi8ELi4ELb1ELb1ELb0ELb1ELb0ELb0EEEvPT0_PvPT_S6_S6_PKS5_S8_S8_S8_S8_ffiiiiiiiiiiiii.kd
    .uniform_work_group_size: 1
    .uses_dynamic_stack: false
    .vgpr_count:     27
    .vgpr_spill_count: 0
    .wavefront_size: 64
  - .agpr_count:     0
    .args:
      - .actual_access:  read_only
        .address_space:  global
        .offset:         0
        .size:           8
        .value_kind:     global_buffer
      - .actual_access:  read_only
        .address_space:  global
        .offset:         8
        .size:           8
        .value_kind:     global_buffer
      - .actual_access:  write_only
        .address_space:  global
        .offset:         16
        .size:           8
        .value_kind:     global_buffer
      - .actual_access:  write_only
        .address_space:  global
        .offset:         24
        .size:           8
        .value_kind:     global_buffer
      - .actual_access:  write_only
        .address_space:  global
        .offset:         32
        .size:           8
        .value_kind:     global_buffer
      - .actual_access:  read_only
        .address_space:  global
        .offset:         40
        .size:           8
        .value_kind:     global_buffer
      - .actual_access:  read_only
        .address_space:  global
        .offset:         48
        .size:           8
        .value_kind:     global_buffer
      - .actual_access:  read_only
        .address_space:  global
        .offset:         56
        .size:           8
        .value_kind:     global_buffer
      - .actual_access:  read_only
        .address_space:  global
        .offset:         64
        .size:           8
        .value_kind:     global_buffer
      - .actual_access:  read_only
        .address_space:  global
        .offset:         72
        .size:           8
        .value_kind:     global_buffer
      - .offset:         80
        .size:           4
        .value_kind:     by_value
      - .offset:         84
        .size:           4
        .value_kind:     by_value
      - .offset:         88
        .size:           4
        .value_kind:     by_value
      - .offset:         92
        .size:           4
        .value_kind:     by_value
      - .offset:         96
        .size:           4
        .value_kind:     by_value
      - .offset:         100
        .size:           4
        .value_kind:     by_value
      - .offset:         104
        .size:           4
        .value_kind:     by_value
      - .offset:         108
        .size:           4
        .value_kind:     by_value
      - .offset:         112
        .size:           4
        .value_kind:     by_value
      - .offset:         116
        .size:           4
        .value_kind:     by_value
      - .offset:         120
        .size:           4
        .value_kind:     by_value
      - .offset:         124
        .size:           4
        .value_kind:     by_value
      - .offset:         128
        .size:           4
        .value_kind:     by_value
      - .offset:         132
        .size:           4
        .value_kind:     by_value
      - .offset:         136
        .size:           4
        .value_kind:     by_value
      - .offset:         144
        .size:           4
        .value_kind:     hidden_block_count_x
      - .offset:         148
        .size:           4
        .value_kind:     hidden_block_count_y
      - .offset:         152
        .size:           4
        .value_kind:     hidden_block_count_z
      - .offset:         156
        .size:           2
        .value_kind:     hidden_group_size_x
      - .offset:         158
        .size:           2
        .value_kind:     hidden_group_size_y
      - .offset:         160
        .size:           2
        .value_kind:     hidden_group_size_z
      - .offset:         162
        .size:           2
        .value_kind:     hidden_remainder_x
      - .offset:         164
        .size:           2
        .value_kind:     hidden_remainder_y
      - .offset:         166
        .size:           2
        .value_kind:     hidden_remainder_z
      - .offset:         184
        .size:           8
        .value_kind:     hidden_global_offset_x
      - .offset:         192
        .size:           8
        .value_kind:     hidden_global_offset_y
      - .offset:         200
        .size:           8
        .value_kind:     hidden_global_offset_z
      - .offset:         208
        .size:           2
        .value_kind:     hidden_grid_dims
    .group_segment_fixed_size: 16
    .kernarg_segment_align: 8
    .kernarg_segment_size: 400
    .language:       OpenCL C
    .language_version:
      - 2
      - 0
    .max_flat_workgroup_size: 1024
    .name:           _ZN5aiter35fused_qk_rmsnorm_group_quant_kernelIDF16_N4opus5fp4_tELi128ELi8ELi4ELb1ELb1ELb0ELb1ELb0ELb0EEEvPT0_PvPT_S7_S7_PKS6_S9_S9_S9_S9_ffiiiiiiiiiiiii
    .private_segment_fixed_size: 0
    .sgpr_count:     36
    .sgpr_spill_count: 0
    .symbol:         _ZN5aiter35fused_qk_rmsnorm_group_quant_kernelIDF16_N4opus5fp4_tELi128ELi8ELi4ELb1ELb1ELb0ELb1ELb0ELb0EEEvPT0_PvPT_S7_S7_PKS6_S9_S9_S9_S9_ffiiiiiiiiiiiii.kd
    .uniform_work_group_size: 1
    .uses_dynamic_stack: false
    .vgpr_count:     27
    .vgpr_spill_count: 0
    .wavefront_size: 64
  - .agpr_count:     0
    .args:
      - .actual_access:  read_only
        .address_space:  global
        .offset:         0
        .size:           8
        .value_kind:     global_buffer
      - .actual_access:  read_only
        .address_space:  global
        .offset:         8
        .size:           8
        .value_kind:     global_buffer
      - .actual_access:  write_only
        .address_space:  global
        .offset:         16
        .size:           8
        .value_kind:     global_buffer
      - .actual_access:  write_only
        .address_space:  global
        .offset:         24
        .size:           8
        .value_kind:     global_buffer
      - .actual_access:  write_only
        .address_space:  global
        .offset:         32
        .size:           8
        .value_kind:     global_buffer
      - .actual_access:  read_only
        .address_space:  global
        .offset:         40
        .size:           8
        .value_kind:     global_buffer
      - .actual_access:  read_only
        .address_space:  global
        .offset:         48
        .size:           8
        .value_kind:     global_buffer
      - .actual_access:  read_only
        .address_space:  global
        .offset:         56
        .size:           8
        .value_kind:     global_buffer
      - .actual_access:  read_only
        .address_space:  global
        .offset:         64
        .size:           8
        .value_kind:     global_buffer
      - .actual_access:  read_only
        .address_space:  global
        .offset:         72
        .size:           8
        .value_kind:     global_buffer
      - .offset:         80
        .size:           4
        .value_kind:     by_value
      - .offset:         84
        .size:           4
        .value_kind:     by_value
      - .offset:         88
        .size:           4
        .value_kind:     by_value
      - .offset:         92
        .size:           4
        .value_kind:     by_value
      - .offset:         96
        .size:           4
        .value_kind:     by_value
      - .offset:         100
        .size:           4
        .value_kind:     by_value
      - .offset:         104
        .size:           4
        .value_kind:     by_value
      - .offset:         108
        .size:           4
        .value_kind:     by_value
      - .offset:         112
        .size:           4
        .value_kind:     by_value
      - .offset:         116
        .size:           4
        .value_kind:     by_value
      - .offset:         120
        .size:           4
        .value_kind:     by_value
      - .offset:         124
        .size:           4
        .value_kind:     by_value
      - .offset:         128
        .size:           4
        .value_kind:     by_value
      - .offset:         132
        .size:           4
        .value_kind:     by_value
      - .offset:         136
        .size:           4
        .value_kind:     by_value
      - .offset:         144
        .size:           4
        .value_kind:     hidden_block_count_x
      - .offset:         148
        .size:           4
        .value_kind:     hidden_block_count_y
      - .offset:         152
        .size:           4
        .value_kind:     hidden_block_count_z
      - .offset:         156
        .size:           2
        .value_kind:     hidden_group_size_x
      - .offset:         158
        .size:           2
        .value_kind:     hidden_group_size_y
      - .offset:         160
        .size:           2
        .value_kind:     hidden_group_size_z
      - .offset:         162
        .size:           2
        .value_kind:     hidden_remainder_x
      - .offset:         164
        .size:           2
        .value_kind:     hidden_remainder_y
      - .offset:         166
        .size:           2
        .value_kind:     hidden_remainder_z
      - .offset:         184
        .size:           8
        .value_kind:     hidden_global_offset_x
      - .offset:         192
        .size:           8
        .value_kind:     hidden_global_offset_y
      - .offset:         200
        .size:           8
        .value_kind:     hidden_global_offset_z
      - .offset:         208
        .size:           2
        .value_kind:     hidden_grid_dims
    .group_segment_fixed_size: 16
    .kernarg_segment_align: 8
    .kernarg_segment_size: 400
    .language:       OpenCL C
    .language_version:
      - 2
      - 0
    .max_flat_workgroup_size: 1024
    .name:           _ZN5aiter35fused_qk_rmsnorm_group_quant_kernelItN4opus5fp4_tELi128ELi8ELi4ELb1ELb1ELb0ELb1ELb0ELb0EEEvPT0_PvPT_S7_S7_PKS6_S9_S9_S9_S9_ffiiiiiiiiiiiii
    .private_segment_fixed_size: 0
    .sgpr_count:     48
    .sgpr_spill_count: 0
    .symbol:         _ZN5aiter35fused_qk_rmsnorm_group_quant_kernelItN4opus5fp4_tELi128ELi8ELi4ELb1ELb1ELb0ELb1ELb0ELb0EEEvPT0_PvPT_S7_S7_PKS6_S9_S9_S9_S9_ffiiiiiiiiiiiii.kd
    .uniform_work_group_size: 1
    .uses_dynamic_stack: false
    .vgpr_count:     27
    .vgpr_spill_count: 0
    .wavefront_size: 64
  - .agpr_count:     0
    .args:
      - .actual_access:  read_only
        .address_space:  global
        .offset:         0
        .size:           8
        .value_kind:     global_buffer
      - .actual_access:  read_only
        .address_space:  global
        .offset:         8
        .size:           8
        .value_kind:     global_buffer
      - .actual_access:  write_only
        .address_space:  global
        .offset:         16
        .size:           8
        .value_kind:     global_buffer
      - .actual_access:  write_only
        .address_space:  global
        .offset:         24
        .size:           8
        .value_kind:     global_buffer
      - .actual_access:  read_only
        .address_space:  global
        .offset:         32
        .size:           8
        .value_kind:     global_buffer
      - .actual_access:  read_only
        .address_space:  global
        .offset:         40
        .size:           8
        .value_kind:     global_buffer
      - .actual_access:  read_only
        .address_space:  global
        .offset:         48
        .size:           8
        .value_kind:     global_buffer
      - .actual_access:  read_only
        .address_space:  global
        .offset:         56
        .size:           8
        .value_kind:     global_buffer
      - .actual_access:  read_only
        .address_space:  global
        .offset:         64
        .size:           8
        .value_kind:     global_buffer
      - .actual_access:  read_only
        .address_space:  global
        .offset:         72
        .size:           8
        .value_kind:     global_buffer
      - .offset:         80
        .size:           4
        .value_kind:     by_value
      - .offset:         84
        .size:           4
        .value_kind:     by_value
      - .offset:         88
        .size:           4
        .value_kind:     by_value
      - .offset:         92
        .size:           4
        .value_kind:     by_value
      - .offset:         96
        .size:           4
        .value_kind:     by_value
      - .offset:         100
        .size:           4
        .value_kind:     by_value
      - .offset:         104
        .size:           4
        .value_kind:     by_value
      - .offset:         108
        .size:           4
        .value_kind:     by_value
      - .offset:         112
        .size:           4
        .value_kind:     by_value
      - .offset:         116
        .size:           4
        .value_kind:     by_value
      - .offset:         120
        .size:           4
        .value_kind:     by_value
      - .offset:         124
        .size:           4
        .value_kind:     by_value
      - .offset:         128
        .size:           4
        .value_kind:     by_value
      - .offset:         132
        .size:           4
        .value_kind:     by_value
      - .offset:         136
        .size:           4
        .value_kind:     by_value
      - .offset:         144
        .size:           4
        .value_kind:     hidden_block_count_x
      - .offset:         148
        .size:           4
        .value_kind:     hidden_block_count_y
      - .offset:         152
        .size:           4
        .value_kind:     hidden_block_count_z
      - .offset:         156
        .size:           2
        .value_kind:     hidden_group_size_x
      - .offset:         158
        .size:           2
        .value_kind:     hidden_group_size_y
      - .offset:         160
        .size:           2
        .value_kind:     hidden_group_size_z
      - .offset:         162
        .size:           2
        .value_kind:     hidden_remainder_x
      - .offset:         164
        .size:           2
        .value_kind:     hidden_remainder_y
      - .offset:         166
        .size:           2
        .value_kind:     hidden_remainder_z
      - .offset:         184
        .size:           8
        .value_kind:     hidden_global_offset_x
      - .offset:         192
        .size:           8
        .value_kind:     hidden_global_offset_y
      - .offset:         200
        .size:           8
        .value_kind:     hidden_global_offset_z
      - .offset:         208
        .size:           2
        .value_kind:     hidden_grid_dims
    .group_segment_fixed_size: 16
    .kernarg_segment_align: 8
    .kernarg_segment_size: 400
    .language:       OpenCL C
    .language_version:
      - 2
      - 0
    .max_flat_workgroup_size: 1024
    .name:           _ZN5aiter35fused_qk_rmsnorm_group_quant_kernelIDF16_DB8_Li128ELi8ELi4ELb0ELb1ELb1ELb1ELb0ELb0EEEvPT0_PvPT_S6_S6_PKS5_S8_S8_S8_S8_ffiiiiiiiiiiiii
    .private_segment_fixed_size: 0
    .sgpr_count:     36
    .sgpr_spill_count: 0
    .symbol:         _ZN5aiter35fused_qk_rmsnorm_group_quant_kernelIDF16_DB8_Li128ELi8ELi4ELb0ELb1ELb1ELb1ELb0ELb0EEEvPT0_PvPT_S6_S6_PKS5_S8_S8_S8_S8_ffiiiiiiiiiiiii.kd
    .uniform_work_group_size: 1
    .uses_dynamic_stack: false
    .vgpr_count:     23
    .vgpr_spill_count: 0
    .wavefront_size: 64
  - .agpr_count:     0
    .args:
      - .actual_access:  read_only
        .address_space:  global
        .offset:         0
        .size:           8
        .value_kind:     global_buffer
      - .actual_access:  read_only
        .address_space:  global
        .offset:         8
        .size:           8
        .value_kind:     global_buffer
      - .actual_access:  write_only
        .address_space:  global
        .offset:         16
        .size:           8
        .value_kind:     global_buffer
      - .actual_access:  write_only
        .address_space:  global
        .offset:         24
        .size:           8
        .value_kind:     global_buffer
      - .actual_access:  read_only
        .address_space:  global
        .offset:         32
        .size:           8
        .value_kind:     global_buffer
      - .actual_access:  read_only
        .address_space:  global
        .offset:         40
        .size:           8
        .value_kind:     global_buffer
      - .actual_access:  read_only
        .address_space:  global
        .offset:         48
        .size:           8
        .value_kind:     global_buffer
      - .actual_access:  read_only
        .address_space:  global
        .offset:         56
        .size:           8
        .value_kind:     global_buffer
      - .actual_access:  read_only
        .address_space:  global
        .offset:         64
        .size:           8
        .value_kind:     global_buffer
      - .actual_access:  read_only
        .address_space:  global
        .offset:         72
        .size:           8
        .value_kind:     global_buffer
      - .offset:         80
        .size:           4
        .value_kind:     by_value
      - .offset:         84
        .size:           4
        .value_kind:     by_value
      - .offset:         88
        .size:           4
        .value_kind:     by_value
      - .offset:         92
        .size:           4
        .value_kind:     by_value
      - .offset:         96
        .size:           4
        .value_kind:     by_value
      - .offset:         100
        .size:           4
        .value_kind:     by_value
      - .offset:         104
        .size:           4
        .value_kind:     by_value
      - .offset:         108
        .size:           4
        .value_kind:     by_value
      - .offset:         112
        .size:           4
        .value_kind:     by_value
      - .offset:         116
        .size:           4
        .value_kind:     by_value
      - .offset:         120
        .size:           4
        .value_kind:     by_value
      - .offset:         124
        .size:           4
        .value_kind:     by_value
      - .offset:         128
        .size:           4
        .value_kind:     by_value
      - .offset:         132
        .size:           4
        .value_kind:     by_value
      - .offset:         136
        .size:           4
        .value_kind:     by_value
      - .offset:         144
        .size:           4
        .value_kind:     hidden_block_count_x
      - .offset:         148
        .size:           4
        .value_kind:     hidden_block_count_y
      - .offset:         152
        .size:           4
        .value_kind:     hidden_block_count_z
      - .offset:         156
        .size:           2
        .value_kind:     hidden_group_size_x
      - .offset:         158
        .size:           2
        .value_kind:     hidden_group_size_y
      - .offset:         160
        .size:           2
        .value_kind:     hidden_group_size_z
      - .offset:         162
        .size:           2
        .value_kind:     hidden_remainder_x
      - .offset:         164
        .size:           2
        .value_kind:     hidden_remainder_y
      - .offset:         166
        .size:           2
        .value_kind:     hidden_remainder_z
      - .offset:         184
        .size:           8
        .value_kind:     hidden_global_offset_x
      - .offset:         192
        .size:           8
        .value_kind:     hidden_global_offset_y
      - .offset:         200
        .size:           8
        .value_kind:     hidden_global_offset_z
      - .offset:         208
        .size:           2
        .value_kind:     hidden_grid_dims
    .group_segment_fixed_size: 16
    .kernarg_segment_align: 8
    .kernarg_segment_size: 400
    .language:       OpenCL C
    .language_version:
      - 2
      - 0
    .max_flat_workgroup_size: 1024
    .name:           _ZN5aiter35fused_qk_rmsnorm_group_quant_kernelItDB8_Li128ELi8ELi4ELb0ELb1ELb1ELb1ELb0ELb0EEEvPT0_PvPT_S6_S6_PKS5_S8_S8_S8_S8_ffiiiiiiiiiiiii
    .private_segment_fixed_size: 0
    .sgpr_count:     36
    .sgpr_spill_count: 0
    .symbol:         _ZN5aiter35fused_qk_rmsnorm_group_quant_kernelItDB8_Li128ELi8ELi4ELb0ELb1ELb1ELb1ELb0ELb0EEEvPT0_PvPT_S6_S6_PKS5_S8_S8_S8_S8_ffiiiiiiiiiiiii.kd
    .uniform_work_group_size: 1
    .uses_dynamic_stack: false
    .vgpr_count:     23
    .vgpr_spill_count: 0
    .wavefront_size: 64
  - .agpr_count:     0
    .args:
      - .actual_access:  read_only
        .address_space:  global
        .offset:         0
        .size:           8
        .value_kind:     global_buffer
      - .actual_access:  read_only
        .address_space:  global
        .offset:         8
        .size:           8
        .value_kind:     global_buffer
      - .actual_access:  write_only
        .address_space:  global
        .offset:         16
        .size:           8
        .value_kind:     global_buffer
      - .actual_access:  write_only
        .address_space:  global
        .offset:         24
        .size:           8
        .value_kind:     global_buffer
      - .actual_access:  read_only
        .address_space:  global
        .offset:         32
        .size:           8
        .value_kind:     global_buffer
      - .actual_access:  read_only
        .address_space:  global
        .offset:         40
        .size:           8
        .value_kind:     global_buffer
      - .actual_access:  read_only
        .address_space:  global
        .offset:         48
        .size:           8
        .value_kind:     global_buffer
      - .actual_access:  read_only
        .address_space:  global
        .offset:         56
        .size:           8
        .value_kind:     global_buffer
      - .actual_access:  read_only
        .address_space:  global
        .offset:         64
        .size:           8
        .value_kind:     global_buffer
      - .actual_access:  read_only
        .address_space:  global
        .offset:         72
        .size:           8
        .value_kind:     global_buffer
      - .offset:         80
        .size:           4
        .value_kind:     by_value
      - .offset:         84
        .size:           4
        .value_kind:     by_value
      - .offset:         88
        .size:           4
        .value_kind:     by_value
      - .offset:         92
        .size:           4
        .value_kind:     by_value
      - .offset:         96
        .size:           4
        .value_kind:     by_value
      - .offset:         100
        .size:           4
        .value_kind:     by_value
      - .offset:         104
        .size:           4
        .value_kind:     by_value
      - .offset:         108
        .size:           4
        .value_kind:     by_value
      - .offset:         112
        .size:           4
        .value_kind:     by_value
      - .offset:         116
        .size:           4
        .value_kind:     by_value
      - .offset:         120
        .size:           4
        .value_kind:     by_value
      - .offset:         124
        .size:           4
        .value_kind:     by_value
      - .offset:         128
        .size:           4
        .value_kind:     by_value
      - .offset:         132
        .size:           4
        .value_kind:     by_value
      - .offset:         136
        .size:           4
        .value_kind:     by_value
      - .offset:         144
        .size:           4
        .value_kind:     hidden_block_count_x
      - .offset:         148
        .size:           4
        .value_kind:     hidden_block_count_y
      - .offset:         152
        .size:           4
        .value_kind:     hidden_block_count_z
      - .offset:         156
        .size:           2
        .value_kind:     hidden_group_size_x
      - .offset:         158
        .size:           2
        .value_kind:     hidden_group_size_y
      - .offset:         160
        .size:           2
        .value_kind:     hidden_group_size_z
      - .offset:         162
        .size:           2
        .value_kind:     hidden_remainder_x
      - .offset:         164
        .size:           2
        .value_kind:     hidden_remainder_y
      - .offset:         166
        .size:           2
        .value_kind:     hidden_remainder_z
      - .offset:         184
        .size:           8
        .value_kind:     hidden_global_offset_x
      - .offset:         192
        .size:           8
        .value_kind:     hidden_global_offset_y
      - .offset:         200
        .size:           8
        .value_kind:     hidden_global_offset_z
      - .offset:         208
        .size:           2
        .value_kind:     hidden_grid_dims
    .group_segment_fixed_size: 16
    .kernarg_segment_align: 8
    .kernarg_segment_size: 400
    .language:       OpenCL C
    .language_version:
      - 2
      - 0
    .max_flat_workgroup_size: 1024
    .name:           _ZN5aiter35fused_qk_rmsnorm_group_quant_kernelIDF16_N4opus5fp4_tELi128ELi8ELi4ELb0ELb1ELb1ELb1ELb0ELb0EEEvPT0_PvPT_S7_S7_PKS6_S9_S9_S9_S9_ffiiiiiiiiiiiii
    .private_segment_fixed_size: 0
    .sgpr_count:     36
    .sgpr_spill_count: 0
    .symbol:         _ZN5aiter35fused_qk_rmsnorm_group_quant_kernelIDF16_N4opus5fp4_tELi128ELi8ELi4ELb0ELb1ELb1ELb1ELb0ELb0EEEvPT0_PvPT_S7_S7_PKS6_S9_S9_S9_S9_ffiiiiiiiiiiiii.kd
    .uniform_work_group_size: 1
    .uses_dynamic_stack: false
    .vgpr_count:     23
    .vgpr_spill_count: 0
    .wavefront_size: 64
  - .agpr_count:     0
    .args:
      - .actual_access:  read_only
        .address_space:  global
        .offset:         0
        .size:           8
        .value_kind:     global_buffer
      - .actual_access:  read_only
        .address_space:  global
        .offset:         8
        .size:           8
        .value_kind:     global_buffer
      - .actual_access:  write_only
        .address_space:  global
        .offset:         16
        .size:           8
        .value_kind:     global_buffer
      - .actual_access:  write_only
        .address_space:  global
        .offset:         24
        .size:           8
        .value_kind:     global_buffer
      - .actual_access:  read_only
        .address_space:  global
        .offset:         32
        .size:           8
        .value_kind:     global_buffer
      - .actual_access:  read_only
        .address_space:  global
        .offset:         40
        .size:           8
        .value_kind:     global_buffer
      - .actual_access:  read_only
        .address_space:  global
        .offset:         48
        .size:           8
        .value_kind:     global_buffer
      - .actual_access:  read_only
        .address_space:  global
        .offset:         56
        .size:           8
        .value_kind:     global_buffer
      - .actual_access:  read_only
        .address_space:  global
        .offset:         64
        .size:           8
        .value_kind:     global_buffer
      - .actual_access:  read_only
        .address_space:  global
        .offset:         72
        .size:           8
        .value_kind:     global_buffer
      - .offset:         80
        .size:           4
        .value_kind:     by_value
      - .offset:         84
        .size:           4
        .value_kind:     by_value
      - .offset:         88
        .size:           4
        .value_kind:     by_value
      - .offset:         92
        .size:           4
        .value_kind:     by_value
      - .offset:         96
        .size:           4
        .value_kind:     by_value
      - .offset:         100
        .size:           4
        .value_kind:     by_value
      - .offset:         104
        .size:           4
        .value_kind:     by_value
      - .offset:         108
        .size:           4
        .value_kind:     by_value
      - .offset:         112
        .size:           4
        .value_kind:     by_value
      - .offset:         116
        .size:           4
        .value_kind:     by_value
      - .offset:         120
        .size:           4
        .value_kind:     by_value
      - .offset:         124
        .size:           4
        .value_kind:     by_value
      - .offset:         128
        .size:           4
        .value_kind:     by_value
      - .offset:         132
        .size:           4
        .value_kind:     by_value
      - .offset:         136
        .size:           4
        .value_kind:     by_value
      - .offset:         144
        .size:           4
        .value_kind:     hidden_block_count_x
      - .offset:         148
        .size:           4
        .value_kind:     hidden_block_count_y
      - .offset:         152
        .size:           4
        .value_kind:     hidden_block_count_z
      - .offset:         156
        .size:           2
        .value_kind:     hidden_group_size_x
      - .offset:         158
        .size:           2
        .value_kind:     hidden_group_size_y
      - .offset:         160
        .size:           2
        .value_kind:     hidden_group_size_z
      - .offset:         162
        .size:           2
        .value_kind:     hidden_remainder_x
      - .offset:         164
        .size:           2
        .value_kind:     hidden_remainder_y
      - .offset:         166
        .size:           2
        .value_kind:     hidden_remainder_z
      - .offset:         184
        .size:           8
        .value_kind:     hidden_global_offset_x
      - .offset:         192
        .size:           8
        .value_kind:     hidden_global_offset_y
      - .offset:         200
        .size:           8
        .value_kind:     hidden_global_offset_z
      - .offset:         208
        .size:           2
        .value_kind:     hidden_grid_dims
    .group_segment_fixed_size: 16
    .kernarg_segment_align: 8
    .kernarg_segment_size: 400
    .language:       OpenCL C
    .language_version:
      - 2
      - 0
    .max_flat_workgroup_size: 1024
    .name:           _ZN5aiter35fused_qk_rmsnorm_group_quant_kernelItN4opus5fp4_tELi128ELi8ELi4ELb0ELb1ELb1ELb1ELb0ELb0EEEvPT0_PvPT_S7_S7_PKS6_S9_S9_S9_S9_ffiiiiiiiiiiiii
    .private_segment_fixed_size: 0
    .sgpr_count:     36
    .sgpr_spill_count: 0
    .symbol:         _ZN5aiter35fused_qk_rmsnorm_group_quant_kernelItN4opus5fp4_tELi128ELi8ELi4ELb0ELb1ELb1ELb1ELb0ELb0EEEvPT0_PvPT_S7_S7_PKS6_S9_S9_S9_S9_ffiiiiiiiiiiiii.kd
    .uniform_work_group_size: 1
    .uses_dynamic_stack: false
    .vgpr_count:     23
    .vgpr_spill_count: 0
    .wavefront_size: 64
  - .agpr_count:     0
    .args:
      - .actual_access:  read_only
        .address_space:  global
        .offset:         0
        .size:           8
        .value_kind:     global_buffer
      - .actual_access:  read_only
        .address_space:  global
        .offset:         8
        .size:           8
        .value_kind:     global_buffer
      - .actual_access:  write_only
        .address_space:  global
        .offset:         16
        .size:           8
        .value_kind:     global_buffer
      - .actual_access:  write_only
        .address_space:  global
        .offset:         24
        .size:           8
        .value_kind:     global_buffer
      - .actual_access:  read_only
        .address_space:  global
        .offset:         32
        .size:           8
        .value_kind:     global_buffer
      - .actual_access:  read_only
        .address_space:  global
        .offset:         40
        .size:           8
        .value_kind:     global_buffer
      - .actual_access:  read_only
        .address_space:  global
        .offset:         48
        .size:           8
        .value_kind:     global_buffer
      - .actual_access:  read_only
        .address_space:  global
        .offset:         56
        .size:           8
        .value_kind:     global_buffer
      - .actual_access:  read_only
        .address_space:  global
        .offset:         64
        .size:           8
        .value_kind:     global_buffer
      - .actual_access:  read_only
        .address_space:  global
        .offset:         72
        .size:           8
        .value_kind:     global_buffer
      - .offset:         80
        .size:           4
        .value_kind:     by_value
      - .offset:         84
        .size:           4
        .value_kind:     by_value
      - .offset:         88
        .size:           4
        .value_kind:     by_value
      - .offset:         92
        .size:           4
        .value_kind:     by_value
      - .offset:         96
        .size:           4
        .value_kind:     by_value
      - .offset:         100
        .size:           4
        .value_kind:     by_value
      - .offset:         104
        .size:           4
        .value_kind:     by_value
      - .offset:         108
        .size:           4
        .value_kind:     by_value
      - .offset:         112
        .size:           4
        .value_kind:     by_value
      - .offset:         116
        .size:           4
        .value_kind:     by_value
      - .offset:         120
        .size:           4
        .value_kind:     by_value
      - .offset:         124
        .size:           4
        .value_kind:     by_value
      - .offset:         128
        .size:           4
        .value_kind:     by_value
      - .offset:         132
        .size:           4
        .value_kind:     by_value
      - .offset:         136
        .size:           4
        .value_kind:     by_value
      - .offset:         144
        .size:           4
        .value_kind:     hidden_block_count_x
      - .offset:         148
        .size:           4
        .value_kind:     hidden_block_count_y
      - .offset:         152
        .size:           4
        .value_kind:     hidden_block_count_z
      - .offset:         156
        .size:           2
        .value_kind:     hidden_group_size_x
      - .offset:         158
        .size:           2
        .value_kind:     hidden_group_size_y
      - .offset:         160
        .size:           2
        .value_kind:     hidden_group_size_z
      - .offset:         162
        .size:           2
        .value_kind:     hidden_remainder_x
      - .offset:         164
        .size:           2
        .value_kind:     hidden_remainder_y
      - .offset:         166
        .size:           2
        .value_kind:     hidden_remainder_z
      - .offset:         184
        .size:           8
        .value_kind:     hidden_global_offset_x
      - .offset:         192
        .size:           8
        .value_kind:     hidden_global_offset_y
      - .offset:         200
        .size:           8
        .value_kind:     hidden_global_offset_z
      - .offset:         208
        .size:           2
        .value_kind:     hidden_grid_dims
    .group_segment_fixed_size: 16
    .kernarg_segment_align: 8
    .kernarg_segment_size: 400
    .language:       OpenCL C
    .language_version:
      - 2
      - 0
    .max_flat_workgroup_size: 1024
    .name:           _ZN5aiter35fused_qk_rmsnorm_group_quant_kernelIDF16_DB8_Li128ELi8ELi4ELb0ELb1ELb0ELb1ELb0ELb0EEEvPT0_PvPT_S6_S6_PKS5_S8_S8_S8_S8_ffiiiiiiiiiiiii
    .private_segment_fixed_size: 0
    .sgpr_count:     36
    .sgpr_spill_count: 0
    .symbol:         _ZN5aiter35fused_qk_rmsnorm_group_quant_kernelIDF16_DB8_Li128ELi8ELi4ELb0ELb1ELb0ELb1ELb0ELb0EEEvPT0_PvPT_S6_S6_PKS5_S8_S8_S8_S8_ffiiiiiiiiiiiii.kd
    .uniform_work_group_size: 1
    .uses_dynamic_stack: false
    .vgpr_count:     23
    .vgpr_spill_count: 0
    .wavefront_size: 64
  - .agpr_count:     0
    .args:
      - .actual_access:  read_only
        .address_space:  global
        .offset:         0
        .size:           8
        .value_kind:     global_buffer
      - .actual_access:  read_only
        .address_space:  global
        .offset:         8
        .size:           8
        .value_kind:     global_buffer
      - .actual_access:  write_only
        .address_space:  global
        .offset:         16
        .size:           8
        .value_kind:     global_buffer
      - .actual_access:  write_only
        .address_space:  global
        .offset:         24
        .size:           8
        .value_kind:     global_buffer
      - .actual_access:  read_only
        .address_space:  global
        .offset:         32
        .size:           8
        .value_kind:     global_buffer
      - .actual_access:  read_only
        .address_space:  global
        .offset:         40
        .size:           8
        .value_kind:     global_buffer
      - .actual_access:  read_only
        .address_space:  global
        .offset:         48
        .size:           8
        .value_kind:     global_buffer
      - .actual_access:  read_only
        .address_space:  global
        .offset:         56
        .size:           8
        .value_kind:     global_buffer
      - .actual_access:  read_only
        .address_space:  global
        .offset:         64
        .size:           8
        .value_kind:     global_buffer
      - .actual_access:  read_only
        .address_space:  global
        .offset:         72
        .size:           8
        .value_kind:     global_buffer
      - .offset:         80
        .size:           4
        .value_kind:     by_value
      - .offset:         84
        .size:           4
        .value_kind:     by_value
      - .offset:         88
        .size:           4
        .value_kind:     by_value
      - .offset:         92
        .size:           4
        .value_kind:     by_value
      - .offset:         96
        .size:           4
        .value_kind:     by_value
      - .offset:         100
        .size:           4
        .value_kind:     by_value
      - .offset:         104
        .size:           4
        .value_kind:     by_value
      - .offset:         108
        .size:           4
        .value_kind:     by_value
      - .offset:         112
        .size:           4
        .value_kind:     by_value
      - .offset:         116
        .size:           4
        .value_kind:     by_value
      - .offset:         120
        .size:           4
        .value_kind:     by_value
      - .offset:         124
        .size:           4
        .value_kind:     by_value
      - .offset:         128
        .size:           4
        .value_kind:     by_value
      - .offset:         132
        .size:           4
        .value_kind:     by_value
      - .offset:         136
        .size:           4
        .value_kind:     by_value
      - .offset:         144
        .size:           4
        .value_kind:     hidden_block_count_x
      - .offset:         148
        .size:           4
        .value_kind:     hidden_block_count_y
      - .offset:         152
        .size:           4
        .value_kind:     hidden_block_count_z
      - .offset:         156
        .size:           2
        .value_kind:     hidden_group_size_x
      - .offset:         158
        .size:           2
        .value_kind:     hidden_group_size_y
      - .offset:         160
        .size:           2
        .value_kind:     hidden_group_size_z
      - .offset:         162
        .size:           2
        .value_kind:     hidden_remainder_x
      - .offset:         164
        .size:           2
        .value_kind:     hidden_remainder_y
      - .offset:         166
        .size:           2
        .value_kind:     hidden_remainder_z
      - .offset:         184
        .size:           8
        .value_kind:     hidden_global_offset_x
      - .offset:         192
        .size:           8
        .value_kind:     hidden_global_offset_y
      - .offset:         200
        .size:           8
        .value_kind:     hidden_global_offset_z
      - .offset:         208
        .size:           2
        .value_kind:     hidden_grid_dims
    .group_segment_fixed_size: 16
    .kernarg_segment_align: 8
    .kernarg_segment_size: 400
    .language:       OpenCL C
    .language_version:
      - 2
      - 0
    .max_flat_workgroup_size: 1024
    .name:           _ZN5aiter35fused_qk_rmsnorm_group_quant_kernelItDB8_Li128ELi8ELi4ELb0ELb1ELb0ELb1ELb0ELb0EEEvPT0_PvPT_S6_S6_PKS5_S8_S8_S8_S8_ffiiiiiiiiiiiii
    .private_segment_fixed_size: 0
    .sgpr_count:     36
    .sgpr_spill_count: 0
    .symbol:         _ZN5aiter35fused_qk_rmsnorm_group_quant_kernelItDB8_Li128ELi8ELi4ELb0ELb1ELb0ELb1ELb0ELb0EEEvPT0_PvPT_S6_S6_PKS5_S8_S8_S8_S8_ffiiiiiiiiiiiii.kd
    .uniform_work_group_size: 1
    .uses_dynamic_stack: false
    .vgpr_count:     23
    .vgpr_spill_count: 0
    .wavefront_size: 64
  - .agpr_count:     0
    .args:
      - .actual_access:  read_only
        .address_space:  global
        .offset:         0
        .size:           8
        .value_kind:     global_buffer
      - .actual_access:  read_only
        .address_space:  global
        .offset:         8
        .size:           8
        .value_kind:     global_buffer
      - .actual_access:  write_only
        .address_space:  global
        .offset:         16
        .size:           8
        .value_kind:     global_buffer
      - .actual_access:  write_only
        .address_space:  global
        .offset:         24
        .size:           8
        .value_kind:     global_buffer
      - .actual_access:  read_only
        .address_space:  global
        .offset:         32
        .size:           8
        .value_kind:     global_buffer
      - .actual_access:  read_only
        .address_space:  global
        .offset:         40
        .size:           8
        .value_kind:     global_buffer
      - .actual_access:  read_only
        .address_space:  global
        .offset:         48
        .size:           8
        .value_kind:     global_buffer
      - .actual_access:  read_only
        .address_space:  global
        .offset:         56
        .size:           8
        .value_kind:     global_buffer
      - .actual_access:  read_only
        .address_space:  global
        .offset:         64
        .size:           8
        .value_kind:     global_buffer
      - .actual_access:  read_only
        .address_space:  global
        .offset:         72
        .size:           8
        .value_kind:     global_buffer
      - .offset:         80
        .size:           4
        .value_kind:     by_value
      - .offset:         84
        .size:           4
        .value_kind:     by_value
      - .offset:         88
        .size:           4
        .value_kind:     by_value
      - .offset:         92
        .size:           4
        .value_kind:     by_value
      - .offset:         96
        .size:           4
        .value_kind:     by_value
      - .offset:         100
        .size:           4
        .value_kind:     by_value
      - .offset:         104
        .size:           4
        .value_kind:     by_value
      - .offset:         108
        .size:           4
        .value_kind:     by_value
      - .offset:         112
        .size:           4
        .value_kind:     by_value
      - .offset:         116
        .size:           4
        .value_kind:     by_value
      - .offset:         120
        .size:           4
        .value_kind:     by_value
      - .offset:         124
        .size:           4
        .value_kind:     by_value
      - .offset:         128
        .size:           4
        .value_kind:     by_value
      - .offset:         132
        .size:           4
        .value_kind:     by_value
      - .offset:         136
        .size:           4
        .value_kind:     by_value
      - .offset:         144
        .size:           4
        .value_kind:     hidden_block_count_x
      - .offset:         148
        .size:           4
        .value_kind:     hidden_block_count_y
      - .offset:         152
        .size:           4
        .value_kind:     hidden_block_count_z
      - .offset:         156
        .size:           2
        .value_kind:     hidden_group_size_x
      - .offset:         158
        .size:           2
        .value_kind:     hidden_group_size_y
      - .offset:         160
        .size:           2
        .value_kind:     hidden_group_size_z
      - .offset:         162
        .size:           2
        .value_kind:     hidden_remainder_x
      - .offset:         164
        .size:           2
        .value_kind:     hidden_remainder_y
      - .offset:         166
        .size:           2
        .value_kind:     hidden_remainder_z
      - .offset:         184
        .size:           8
        .value_kind:     hidden_global_offset_x
      - .offset:         192
        .size:           8
        .value_kind:     hidden_global_offset_y
      - .offset:         200
        .size:           8
        .value_kind:     hidden_global_offset_z
      - .offset:         208
        .size:           2
        .value_kind:     hidden_grid_dims
    .group_segment_fixed_size: 16
    .kernarg_segment_align: 8
    .kernarg_segment_size: 400
    .language:       OpenCL C
    .language_version:
      - 2
      - 0
    .max_flat_workgroup_size: 1024
    .name:           _ZN5aiter35fused_qk_rmsnorm_group_quant_kernelIDF16_N4opus5fp4_tELi128ELi8ELi4ELb0ELb1ELb0ELb1ELb0ELb0EEEvPT0_PvPT_S7_S7_PKS6_S9_S9_S9_S9_ffiiiiiiiiiiiii
    .private_segment_fixed_size: 0
    .sgpr_count:     36
    .sgpr_spill_count: 0
    .symbol:         _ZN5aiter35fused_qk_rmsnorm_group_quant_kernelIDF16_N4opus5fp4_tELi128ELi8ELi4ELb0ELb1ELb0ELb1ELb0ELb0EEEvPT0_PvPT_S7_S7_PKS6_S9_S9_S9_S9_ffiiiiiiiiiiiii.kd
    .uniform_work_group_size: 1
    .uses_dynamic_stack: false
    .vgpr_count:     23
    .vgpr_spill_count: 0
    .wavefront_size: 64
  - .agpr_count:     0
    .args:
      - .actual_access:  read_only
        .address_space:  global
        .offset:         0
        .size:           8
        .value_kind:     global_buffer
      - .actual_access:  read_only
        .address_space:  global
        .offset:         8
        .size:           8
        .value_kind:     global_buffer
      - .actual_access:  write_only
        .address_space:  global
        .offset:         16
        .size:           8
        .value_kind:     global_buffer
      - .actual_access:  write_only
        .address_space:  global
        .offset:         24
        .size:           8
        .value_kind:     global_buffer
      - .actual_access:  read_only
        .address_space:  global
        .offset:         32
        .size:           8
        .value_kind:     global_buffer
      - .actual_access:  read_only
        .address_space:  global
        .offset:         40
        .size:           8
        .value_kind:     global_buffer
      - .actual_access:  read_only
        .address_space:  global
        .offset:         48
        .size:           8
        .value_kind:     global_buffer
      - .actual_access:  read_only
        .address_space:  global
        .offset:         56
        .size:           8
        .value_kind:     global_buffer
      - .actual_access:  read_only
        .address_space:  global
        .offset:         64
        .size:           8
        .value_kind:     global_buffer
      - .actual_access:  read_only
        .address_space:  global
        .offset:         72
        .size:           8
        .value_kind:     global_buffer
      - .offset:         80
        .size:           4
        .value_kind:     by_value
      - .offset:         84
        .size:           4
        .value_kind:     by_value
      - .offset:         88
        .size:           4
        .value_kind:     by_value
      - .offset:         92
        .size:           4
        .value_kind:     by_value
      - .offset:         96
        .size:           4
        .value_kind:     by_value
      - .offset:         100
        .size:           4
        .value_kind:     by_value
      - .offset:         104
        .size:           4
        .value_kind:     by_value
      - .offset:         108
        .size:           4
        .value_kind:     by_value
      - .offset:         112
        .size:           4
        .value_kind:     by_value
      - .offset:         116
        .size:           4
        .value_kind:     by_value
      - .offset:         120
        .size:           4
        .value_kind:     by_value
      - .offset:         124
        .size:           4
        .value_kind:     by_value
      - .offset:         128
        .size:           4
        .value_kind:     by_value
      - .offset:         132
        .size:           4
        .value_kind:     by_value
      - .offset:         136
        .size:           4
        .value_kind:     by_value
      - .offset:         144
        .size:           4
        .value_kind:     hidden_block_count_x
      - .offset:         148
        .size:           4
        .value_kind:     hidden_block_count_y
      - .offset:         152
        .size:           4
        .value_kind:     hidden_block_count_z
      - .offset:         156
        .size:           2
        .value_kind:     hidden_group_size_x
      - .offset:         158
        .size:           2
        .value_kind:     hidden_group_size_y
      - .offset:         160
        .size:           2
        .value_kind:     hidden_group_size_z
      - .offset:         162
        .size:           2
        .value_kind:     hidden_remainder_x
      - .offset:         164
        .size:           2
        .value_kind:     hidden_remainder_y
      - .offset:         166
        .size:           2
        .value_kind:     hidden_remainder_z
      - .offset:         184
        .size:           8
        .value_kind:     hidden_global_offset_x
      - .offset:         192
        .size:           8
        .value_kind:     hidden_global_offset_y
      - .offset:         200
        .size:           8
        .value_kind:     hidden_global_offset_z
      - .offset:         208
        .size:           2
        .value_kind:     hidden_grid_dims
    .group_segment_fixed_size: 16
    .kernarg_segment_align: 8
    .kernarg_segment_size: 400
    .language:       OpenCL C
    .language_version:
      - 2
      - 0
    .max_flat_workgroup_size: 1024
    .name:           _ZN5aiter35fused_qk_rmsnorm_group_quant_kernelItN4opus5fp4_tELi128ELi8ELi4ELb0ELb1ELb0ELb1ELb0ELb0EEEvPT0_PvPT_S7_S7_PKS6_S9_S9_S9_S9_ffiiiiiiiiiiiii
    .private_segment_fixed_size: 0
    .sgpr_count:     36
    .sgpr_spill_count: 0
    .symbol:         _ZN5aiter35fused_qk_rmsnorm_group_quant_kernelItN4opus5fp4_tELi128ELi8ELi4ELb0ELb1ELb0ELb1ELb0ELb0EEEvPT0_PvPT_S7_S7_PKS6_S9_S9_S9_S9_ffiiiiiiiiiiiii.kd
    .uniform_work_group_size: 1
    .uses_dynamic_stack: false
    .vgpr_count:     23
    .vgpr_spill_count: 0
    .wavefront_size: 64
  - .agpr_count:     0
    .args:
      - .actual_access:  write_only
        .address_space:  global
        .offset:         0
        .size:           8
        .value_kind:     global_buffer
      - .actual_access:  write_only
        .address_space:  global
        .offset:         8
        .size:           8
        .value_kind:     global_buffer
      - .actual_access:  write_only
        .address_space:  global
        .offset:         16
        .size:           8
        .value_kind:     global_buffer
      - .actual_access:  write_only
        .address_space:  global
        .offset:         24
        .size:           8
        .value_kind:     global_buffer
      - .actual_access:  write_only
        .address_space:  global
        .offset:         32
        .size:           8
        .value_kind:     global_buffer
      - .actual_access:  read_only
        .address_space:  global
        .offset:         40
        .size:           8
        .value_kind:     global_buffer
      - .actual_access:  read_only
        .address_space:  global
        .offset:         48
        .size:           8
        .value_kind:     global_buffer
      - .actual_access:  read_only
        .address_space:  global
        .offset:         56
        .size:           8
        .value_kind:     global_buffer
      - .actual_access:  read_only
        .address_space:  global
        .offset:         64
        .size:           8
        .value_kind:     global_buffer
      - .actual_access:  read_only
        .address_space:  global
        .offset:         72
        .size:           8
        .value_kind:     global_buffer
      - .offset:         80
        .size:           4
        .value_kind:     by_value
      - .offset:         84
        .size:           4
        .value_kind:     by_value
      - .offset:         88
        .size:           4
        .value_kind:     by_value
      - .offset:         92
        .size:           4
        .value_kind:     by_value
      - .offset:         96
        .size:           4
        .value_kind:     by_value
      - .offset:         100
        .size:           4
        .value_kind:     by_value
      - .offset:         104
        .size:           4
        .value_kind:     by_value
      - .offset:         108
        .size:           4
        .value_kind:     by_value
      - .offset:         112
        .size:           4
        .value_kind:     by_value
      - .offset:         116
        .size:           4
        .value_kind:     by_value
      - .offset:         120
        .size:           4
        .value_kind:     by_value
      - .offset:         124
        .size:           4
        .value_kind:     by_value
      - .offset:         128
        .size:           4
        .value_kind:     by_value
      - .offset:         132
        .size:           4
        .value_kind:     by_value
      - .offset:         136
        .size:           4
        .value_kind:     by_value
      - .offset:         144
        .size:           4
        .value_kind:     hidden_block_count_x
      - .offset:         148
        .size:           4
        .value_kind:     hidden_block_count_y
      - .offset:         152
        .size:           4
        .value_kind:     hidden_block_count_z
      - .offset:         156
        .size:           2
        .value_kind:     hidden_group_size_x
      - .offset:         158
        .size:           2
        .value_kind:     hidden_group_size_y
      - .offset:         160
        .size:           2
        .value_kind:     hidden_group_size_z
      - .offset:         162
        .size:           2
        .value_kind:     hidden_remainder_x
      - .offset:         164
        .size:           2
        .value_kind:     hidden_remainder_y
      - .offset:         166
        .size:           2
        .value_kind:     hidden_remainder_z
      - .offset:         184
        .size:           8
        .value_kind:     hidden_global_offset_x
      - .offset:         192
        .size:           8
        .value_kind:     hidden_global_offset_y
      - .offset:         200
        .size:           8
        .value_kind:     hidden_global_offset_z
      - .offset:         208
        .size:           2
        .value_kind:     hidden_grid_dims
    .group_segment_fixed_size: 16
    .kernarg_segment_align: 8
    .kernarg_segment_size: 400
    .language:       OpenCL C
    .language_version:
      - 2
      - 0
    .max_flat_workgroup_size: 1024
    .name:           _ZN5aiter35fused_qk_rmsnorm_group_quant_kernelIDF16_DB8_Li128ELi8ELi4ELb1ELb1ELb1ELb0ELb0ELb0EEEvPT0_PvPT_S6_S6_PKS5_S8_S8_S8_S8_ffiiiiiiiiiiiii
    .private_segment_fixed_size: 0
    .sgpr_count:     48
    .sgpr_spill_count: 0
    .symbol:         _ZN5aiter35fused_qk_rmsnorm_group_quant_kernelIDF16_DB8_Li128ELi8ELi4ELb1ELb1ELb1ELb0ELb0ELb0EEEvPT0_PvPT_S6_S6_PKS5_S8_S8_S8_S8_ffiiiiiiiiiiiii.kd
    .uniform_work_group_size: 1
    .uses_dynamic_stack: false
    .vgpr_count:     31
    .vgpr_spill_count: 0
    .wavefront_size: 64
  - .agpr_count:     0
    .args:
      - .actual_access:  write_only
        .address_space:  global
        .offset:         0
        .size:           8
        .value_kind:     global_buffer
      - .actual_access:  write_only
        .address_space:  global
        .offset:         8
        .size:           8
        .value_kind:     global_buffer
      - .actual_access:  write_only
        .address_space:  global
        .offset:         16
        .size:           8
        .value_kind:     global_buffer
      - .actual_access:  write_only
        .address_space:  global
        .offset:         24
        .size:           8
        .value_kind:     global_buffer
      - .actual_access:  write_only
        .address_space:  global
        .offset:         32
        .size:           8
        .value_kind:     global_buffer
      - .actual_access:  read_only
        .address_space:  global
        .offset:         40
        .size:           8
        .value_kind:     global_buffer
      - .actual_access:  read_only
        .address_space:  global
        .offset:         48
        .size:           8
        .value_kind:     global_buffer
      - .actual_access:  read_only
        .address_space:  global
        .offset:         56
        .size:           8
        .value_kind:     global_buffer
      - .actual_access:  read_only
        .address_space:  global
        .offset:         64
        .size:           8
        .value_kind:     global_buffer
      - .actual_access:  read_only
        .address_space:  global
        .offset:         72
        .size:           8
        .value_kind:     global_buffer
      - .offset:         80
        .size:           4
        .value_kind:     by_value
      - .offset:         84
        .size:           4
        .value_kind:     by_value
      - .offset:         88
        .size:           4
        .value_kind:     by_value
      - .offset:         92
        .size:           4
        .value_kind:     by_value
      - .offset:         96
        .size:           4
        .value_kind:     by_value
      - .offset:         100
        .size:           4
        .value_kind:     by_value
      - .offset:         104
        .size:           4
        .value_kind:     by_value
      - .offset:         108
        .size:           4
        .value_kind:     by_value
      - .offset:         112
        .size:           4
        .value_kind:     by_value
      - .offset:         116
        .size:           4
        .value_kind:     by_value
      - .offset:         120
        .size:           4
        .value_kind:     by_value
      - .offset:         124
        .size:           4
        .value_kind:     by_value
      - .offset:         128
        .size:           4
        .value_kind:     by_value
      - .offset:         132
        .size:           4
        .value_kind:     by_value
      - .offset:         136
        .size:           4
        .value_kind:     by_value
      - .offset:         144
        .size:           4
        .value_kind:     hidden_block_count_x
      - .offset:         148
        .size:           4
        .value_kind:     hidden_block_count_y
      - .offset:         152
        .size:           4
        .value_kind:     hidden_block_count_z
      - .offset:         156
        .size:           2
        .value_kind:     hidden_group_size_x
      - .offset:         158
        .size:           2
        .value_kind:     hidden_group_size_y
      - .offset:         160
        .size:           2
        .value_kind:     hidden_group_size_z
      - .offset:         162
        .size:           2
        .value_kind:     hidden_remainder_x
      - .offset:         164
        .size:           2
        .value_kind:     hidden_remainder_y
      - .offset:         166
        .size:           2
        .value_kind:     hidden_remainder_z
      - .offset:         184
        .size:           8
        .value_kind:     hidden_global_offset_x
      - .offset:         192
        .size:           8
        .value_kind:     hidden_global_offset_y
      - .offset:         200
        .size:           8
        .value_kind:     hidden_global_offset_z
      - .offset:         208
        .size:           2
        .value_kind:     hidden_grid_dims
    .group_segment_fixed_size: 16
    .kernarg_segment_align: 8
    .kernarg_segment_size: 400
    .language:       OpenCL C
    .language_version:
      - 2
      - 0
    .max_flat_workgroup_size: 1024
    .name:           _ZN5aiter35fused_qk_rmsnorm_group_quant_kernelItDB8_Li128ELi8ELi4ELb1ELb1ELb1ELb0ELb0ELb0EEEvPT0_PvPT_S6_S6_PKS5_S8_S8_S8_S8_ffiiiiiiiiiiiii
    .private_segment_fixed_size: 0
    .sgpr_count:     52
    .sgpr_spill_count: 0
    .symbol:         _ZN5aiter35fused_qk_rmsnorm_group_quant_kernelItDB8_Li128ELi8ELi4ELb1ELb1ELb1ELb0ELb0ELb0EEEvPT0_PvPT_S6_S6_PKS5_S8_S8_S8_S8_ffiiiiiiiiiiiii.kd
    .uniform_work_group_size: 1
    .uses_dynamic_stack: false
    .vgpr_count:     27
    .vgpr_spill_count: 0
    .wavefront_size: 64
  - .agpr_count:     0
    .args:
      - .actual_access:  write_only
        .address_space:  global
        .offset:         0
        .size:           8
        .value_kind:     global_buffer
      - .actual_access:  write_only
        .address_space:  global
        .offset:         8
        .size:           8
        .value_kind:     global_buffer
      - .actual_access:  write_only
        .address_space:  global
        .offset:         16
        .size:           8
        .value_kind:     global_buffer
      - .actual_access:  write_only
        .address_space:  global
        .offset:         24
        .size:           8
        .value_kind:     global_buffer
      - .actual_access:  write_only
        .address_space:  global
        .offset:         32
        .size:           8
        .value_kind:     global_buffer
      - .actual_access:  read_only
        .address_space:  global
        .offset:         40
        .size:           8
        .value_kind:     global_buffer
      - .actual_access:  read_only
        .address_space:  global
        .offset:         48
        .size:           8
        .value_kind:     global_buffer
      - .actual_access:  read_only
        .address_space:  global
        .offset:         56
        .size:           8
        .value_kind:     global_buffer
      - .actual_access:  read_only
        .address_space:  global
        .offset:         64
        .size:           8
        .value_kind:     global_buffer
      - .actual_access:  read_only
        .address_space:  global
        .offset:         72
        .size:           8
        .value_kind:     global_buffer
      - .offset:         80
        .size:           4
        .value_kind:     by_value
      - .offset:         84
        .size:           4
        .value_kind:     by_value
      - .offset:         88
        .size:           4
        .value_kind:     by_value
      - .offset:         92
        .size:           4
        .value_kind:     by_value
      - .offset:         96
        .size:           4
        .value_kind:     by_value
      - .offset:         100
        .size:           4
        .value_kind:     by_value
      - .offset:         104
        .size:           4
        .value_kind:     by_value
      - .offset:         108
        .size:           4
        .value_kind:     by_value
      - .offset:         112
        .size:           4
        .value_kind:     by_value
      - .offset:         116
        .size:           4
        .value_kind:     by_value
      - .offset:         120
        .size:           4
        .value_kind:     by_value
      - .offset:         124
        .size:           4
        .value_kind:     by_value
      - .offset:         128
        .size:           4
        .value_kind:     by_value
      - .offset:         132
        .size:           4
        .value_kind:     by_value
      - .offset:         136
        .size:           4
        .value_kind:     by_value
      - .offset:         144
        .size:           4
        .value_kind:     hidden_block_count_x
      - .offset:         148
        .size:           4
        .value_kind:     hidden_block_count_y
      - .offset:         152
        .size:           4
        .value_kind:     hidden_block_count_z
      - .offset:         156
        .size:           2
        .value_kind:     hidden_group_size_x
      - .offset:         158
        .size:           2
        .value_kind:     hidden_group_size_y
      - .offset:         160
        .size:           2
        .value_kind:     hidden_group_size_z
      - .offset:         162
        .size:           2
        .value_kind:     hidden_remainder_x
      - .offset:         164
        .size:           2
        .value_kind:     hidden_remainder_y
      - .offset:         166
        .size:           2
        .value_kind:     hidden_remainder_z
      - .offset:         184
        .size:           8
        .value_kind:     hidden_global_offset_x
      - .offset:         192
        .size:           8
        .value_kind:     hidden_global_offset_y
      - .offset:         200
        .size:           8
        .value_kind:     hidden_global_offset_z
      - .offset:         208
        .size:           2
        .value_kind:     hidden_grid_dims
    .group_segment_fixed_size: 16
    .kernarg_segment_align: 8
    .kernarg_segment_size: 400
    .language:       OpenCL C
    .language_version:
      - 2
      - 0
    .max_flat_workgroup_size: 1024
    .name:           _ZN5aiter35fused_qk_rmsnorm_group_quant_kernelIDF16_N4opus5fp4_tELi128ELi8ELi4ELb1ELb1ELb1ELb0ELb0ELb0EEEvPT0_PvPT_S7_S7_PKS6_S9_S9_S9_S9_ffiiiiiiiiiiiii
    .private_segment_fixed_size: 0
    .sgpr_count:     48
    .sgpr_spill_count: 0
    .symbol:         _ZN5aiter35fused_qk_rmsnorm_group_quant_kernelIDF16_N4opus5fp4_tELi128ELi8ELi4ELb1ELb1ELb1ELb0ELb0ELb0EEEvPT0_PvPT_S7_S7_PKS6_S9_S9_S9_S9_ffiiiiiiiiiiiii.kd
    .uniform_work_group_size: 1
    .uses_dynamic_stack: false
    .vgpr_count:     25
    .vgpr_spill_count: 0
    .wavefront_size: 64
  - .agpr_count:     0
    .args:
      - .actual_access:  write_only
        .address_space:  global
        .offset:         0
        .size:           8
        .value_kind:     global_buffer
      - .actual_access:  write_only
        .address_space:  global
        .offset:         8
        .size:           8
        .value_kind:     global_buffer
      - .actual_access:  write_only
        .address_space:  global
        .offset:         16
        .size:           8
        .value_kind:     global_buffer
      - .actual_access:  write_only
        .address_space:  global
        .offset:         24
        .size:           8
        .value_kind:     global_buffer
      - .actual_access:  write_only
        .address_space:  global
        .offset:         32
        .size:           8
        .value_kind:     global_buffer
      - .actual_access:  read_only
        .address_space:  global
        .offset:         40
        .size:           8
        .value_kind:     global_buffer
      - .actual_access:  read_only
        .address_space:  global
        .offset:         48
        .size:           8
        .value_kind:     global_buffer
      - .actual_access:  read_only
        .address_space:  global
        .offset:         56
        .size:           8
        .value_kind:     global_buffer
      - .actual_access:  read_only
        .address_space:  global
        .offset:         64
        .size:           8
        .value_kind:     global_buffer
      - .actual_access:  read_only
        .address_space:  global
        .offset:         72
        .size:           8
        .value_kind:     global_buffer
      - .offset:         80
        .size:           4
        .value_kind:     by_value
      - .offset:         84
        .size:           4
        .value_kind:     by_value
      - .offset:         88
        .size:           4
        .value_kind:     by_value
      - .offset:         92
        .size:           4
        .value_kind:     by_value
      - .offset:         96
        .size:           4
        .value_kind:     by_value
      - .offset:         100
        .size:           4
        .value_kind:     by_value
      - .offset:         104
        .size:           4
        .value_kind:     by_value
      - .offset:         108
        .size:           4
        .value_kind:     by_value
      - .offset:         112
        .size:           4
        .value_kind:     by_value
      - .offset:         116
        .size:           4
        .value_kind:     by_value
      - .offset:         120
        .size:           4
        .value_kind:     by_value
      - .offset:         124
        .size:           4
        .value_kind:     by_value
      - .offset:         128
        .size:           4
        .value_kind:     by_value
      - .offset:         132
        .size:           4
        .value_kind:     by_value
      - .offset:         136
        .size:           4
        .value_kind:     by_value
      - .offset:         144
        .size:           4
        .value_kind:     hidden_block_count_x
      - .offset:         148
        .size:           4
        .value_kind:     hidden_block_count_y
      - .offset:         152
        .size:           4
        .value_kind:     hidden_block_count_z
      - .offset:         156
        .size:           2
        .value_kind:     hidden_group_size_x
      - .offset:         158
        .size:           2
        .value_kind:     hidden_group_size_y
      - .offset:         160
        .size:           2
        .value_kind:     hidden_group_size_z
      - .offset:         162
        .size:           2
        .value_kind:     hidden_remainder_x
      - .offset:         164
        .size:           2
        .value_kind:     hidden_remainder_y
      - .offset:         166
        .size:           2
        .value_kind:     hidden_remainder_z
      - .offset:         184
        .size:           8
        .value_kind:     hidden_global_offset_x
      - .offset:         192
        .size:           8
        .value_kind:     hidden_global_offset_y
      - .offset:         200
        .size:           8
        .value_kind:     hidden_global_offset_z
      - .offset:         208
        .size:           2
        .value_kind:     hidden_grid_dims
    .group_segment_fixed_size: 16
    .kernarg_segment_align: 8
    .kernarg_segment_size: 400
    .language:       OpenCL C
    .language_version:
      - 2
      - 0
    .max_flat_workgroup_size: 1024
    .name:           _ZN5aiter35fused_qk_rmsnorm_group_quant_kernelItN4opus5fp4_tELi128ELi8ELi4ELb1ELb1ELb1ELb0ELb0ELb0EEEvPT0_PvPT_S7_S7_PKS6_S9_S9_S9_S9_ffiiiiiiiiiiiii
    .private_segment_fixed_size: 0
    .sgpr_count:     52
    .sgpr_spill_count: 0
    .symbol:         _ZN5aiter35fused_qk_rmsnorm_group_quant_kernelItN4opus5fp4_tELi128ELi8ELi4ELb1ELb1ELb1ELb0ELb0ELb0EEEvPT0_PvPT_S7_S7_PKS6_S9_S9_S9_S9_ffiiiiiiiiiiiii.kd
    .uniform_work_group_size: 1
    .uses_dynamic_stack: false
    .vgpr_count:     27
    .vgpr_spill_count: 0
    .wavefront_size: 64
  - .agpr_count:     0
    .args:
      - .actual_access:  write_only
        .address_space:  global
        .offset:         0
        .size:           8
        .value_kind:     global_buffer
      - .actual_access:  write_only
        .address_space:  global
        .offset:         8
        .size:           8
        .value_kind:     global_buffer
      - .actual_access:  write_only
        .address_space:  global
        .offset:         16
        .size:           8
        .value_kind:     global_buffer
      - .actual_access:  write_only
        .address_space:  global
        .offset:         24
        .size:           8
        .value_kind:     global_buffer
      - .actual_access:  write_only
        .address_space:  global
        .offset:         32
        .size:           8
        .value_kind:     global_buffer
      - .actual_access:  read_only
        .address_space:  global
        .offset:         40
        .size:           8
        .value_kind:     global_buffer
      - .actual_access:  read_only
        .address_space:  global
        .offset:         48
        .size:           8
        .value_kind:     global_buffer
      - .actual_access:  read_only
        .address_space:  global
        .offset:         56
        .size:           8
        .value_kind:     global_buffer
      - .actual_access:  read_only
        .address_space:  global
        .offset:         64
        .size:           8
        .value_kind:     global_buffer
      - .actual_access:  read_only
        .address_space:  global
        .offset:         72
        .size:           8
        .value_kind:     global_buffer
      - .offset:         80
        .size:           4
        .value_kind:     by_value
      - .offset:         84
        .size:           4
        .value_kind:     by_value
      - .offset:         88
        .size:           4
        .value_kind:     by_value
      - .offset:         92
        .size:           4
        .value_kind:     by_value
      - .offset:         96
        .size:           4
        .value_kind:     by_value
      - .offset:         100
        .size:           4
        .value_kind:     by_value
      - .offset:         104
        .size:           4
        .value_kind:     by_value
      - .offset:         108
        .size:           4
        .value_kind:     by_value
      - .offset:         112
        .size:           4
        .value_kind:     by_value
      - .offset:         116
        .size:           4
        .value_kind:     by_value
      - .offset:         120
        .size:           4
        .value_kind:     by_value
      - .offset:         124
        .size:           4
        .value_kind:     by_value
      - .offset:         128
        .size:           4
        .value_kind:     by_value
      - .offset:         132
        .size:           4
        .value_kind:     by_value
      - .offset:         136
        .size:           4
        .value_kind:     by_value
      - .offset:         144
        .size:           4
        .value_kind:     hidden_block_count_x
      - .offset:         148
        .size:           4
        .value_kind:     hidden_block_count_y
      - .offset:         152
        .size:           4
        .value_kind:     hidden_block_count_z
      - .offset:         156
        .size:           2
        .value_kind:     hidden_group_size_x
      - .offset:         158
        .size:           2
        .value_kind:     hidden_group_size_y
      - .offset:         160
        .size:           2
        .value_kind:     hidden_group_size_z
      - .offset:         162
        .size:           2
        .value_kind:     hidden_remainder_x
      - .offset:         164
        .size:           2
        .value_kind:     hidden_remainder_y
      - .offset:         166
        .size:           2
        .value_kind:     hidden_remainder_z
      - .offset:         184
        .size:           8
        .value_kind:     hidden_global_offset_x
      - .offset:         192
        .size:           8
        .value_kind:     hidden_global_offset_y
      - .offset:         200
        .size:           8
        .value_kind:     hidden_global_offset_z
      - .offset:         208
        .size:           2
        .value_kind:     hidden_grid_dims
    .group_segment_fixed_size: 16
    .kernarg_segment_align: 8
    .kernarg_segment_size: 400
    .language:       OpenCL C
    .language_version:
      - 2
      - 0
    .max_flat_workgroup_size: 1024
    .name:           _ZN5aiter35fused_qk_rmsnorm_group_quant_kernelIDF16_DB8_Li128ELi8ELi4ELb1ELb1ELb0ELb0ELb0ELb0EEEvPT0_PvPT_S6_S6_PKS5_S8_S8_S8_S8_ffiiiiiiiiiiiii
    .private_segment_fixed_size: 0
    .sgpr_count:     48
    .sgpr_spill_count: 0
    .symbol:         _ZN5aiter35fused_qk_rmsnorm_group_quant_kernelIDF16_DB8_Li128ELi8ELi4ELb1ELb1ELb0ELb0ELb0ELb0EEEvPT0_PvPT_S6_S6_PKS5_S8_S8_S8_S8_ffiiiiiiiiiiiii.kd
    .uniform_work_group_size: 1
    .uses_dynamic_stack: false
    .vgpr_count:     34
    .vgpr_spill_count: 0
    .wavefront_size: 64
  - .agpr_count:     0
    .args:
      - .actual_access:  write_only
        .address_space:  global
        .offset:         0
        .size:           8
        .value_kind:     global_buffer
      - .actual_access:  write_only
        .address_space:  global
        .offset:         8
        .size:           8
        .value_kind:     global_buffer
      - .actual_access:  write_only
        .address_space:  global
        .offset:         16
        .size:           8
        .value_kind:     global_buffer
      - .actual_access:  write_only
        .address_space:  global
        .offset:         24
        .size:           8
        .value_kind:     global_buffer
      - .actual_access:  write_only
        .address_space:  global
        .offset:         32
        .size:           8
        .value_kind:     global_buffer
      - .actual_access:  read_only
        .address_space:  global
        .offset:         40
        .size:           8
        .value_kind:     global_buffer
      - .actual_access:  read_only
        .address_space:  global
        .offset:         48
        .size:           8
        .value_kind:     global_buffer
      - .actual_access:  read_only
        .address_space:  global
        .offset:         56
        .size:           8
        .value_kind:     global_buffer
      - .actual_access:  read_only
        .address_space:  global
        .offset:         64
        .size:           8
        .value_kind:     global_buffer
      - .actual_access:  read_only
        .address_space:  global
        .offset:         72
        .size:           8
        .value_kind:     global_buffer
      - .offset:         80
        .size:           4
        .value_kind:     by_value
      - .offset:         84
        .size:           4
        .value_kind:     by_value
      - .offset:         88
        .size:           4
        .value_kind:     by_value
      - .offset:         92
        .size:           4
        .value_kind:     by_value
      - .offset:         96
        .size:           4
        .value_kind:     by_value
      - .offset:         100
        .size:           4
        .value_kind:     by_value
      - .offset:         104
        .size:           4
        .value_kind:     by_value
      - .offset:         108
        .size:           4
        .value_kind:     by_value
      - .offset:         112
        .size:           4
        .value_kind:     by_value
      - .offset:         116
        .size:           4
        .value_kind:     by_value
      - .offset:         120
        .size:           4
        .value_kind:     by_value
      - .offset:         124
        .size:           4
        .value_kind:     by_value
      - .offset:         128
        .size:           4
        .value_kind:     by_value
      - .offset:         132
        .size:           4
        .value_kind:     by_value
      - .offset:         136
        .size:           4
        .value_kind:     by_value
      - .offset:         144
        .size:           4
        .value_kind:     hidden_block_count_x
      - .offset:         148
        .size:           4
        .value_kind:     hidden_block_count_y
      - .offset:         152
        .size:           4
        .value_kind:     hidden_block_count_z
      - .offset:         156
        .size:           2
        .value_kind:     hidden_group_size_x
      - .offset:         158
        .size:           2
        .value_kind:     hidden_group_size_y
      - .offset:         160
        .size:           2
        .value_kind:     hidden_group_size_z
      - .offset:         162
        .size:           2
        .value_kind:     hidden_remainder_x
      - .offset:         164
        .size:           2
        .value_kind:     hidden_remainder_y
      - .offset:         166
        .size:           2
        .value_kind:     hidden_remainder_z
      - .offset:         184
        .size:           8
        .value_kind:     hidden_global_offset_x
      - .offset:         192
        .size:           8
        .value_kind:     hidden_global_offset_y
      - .offset:         200
        .size:           8
        .value_kind:     hidden_global_offset_z
      - .offset:         208
        .size:           2
        .value_kind:     hidden_grid_dims
    .group_segment_fixed_size: 16
    .kernarg_segment_align: 8
    .kernarg_segment_size: 400
    .language:       OpenCL C
    .language_version:
      - 2
      - 0
    .max_flat_workgroup_size: 1024
    .name:           _ZN5aiter35fused_qk_rmsnorm_group_quant_kernelItDB8_Li128ELi8ELi4ELb1ELb1ELb0ELb0ELb0ELb0EEEvPT0_PvPT_S6_S6_PKS5_S8_S8_S8_S8_ffiiiiiiiiiiiii
    .private_segment_fixed_size: 0
    .sgpr_count:     52
    .sgpr_spill_count: 0
    .symbol:         _ZN5aiter35fused_qk_rmsnorm_group_quant_kernelItDB8_Li128ELi8ELi4ELb1ELb1ELb0ELb0ELb0ELb0EEEvPT0_PvPT_S6_S6_PKS5_S8_S8_S8_S8_ffiiiiiiiiiiiii.kd
    .uniform_work_group_size: 1
    .uses_dynamic_stack: false
    .vgpr_count:     27
    .vgpr_spill_count: 0
    .wavefront_size: 64
  - .agpr_count:     0
    .args:
      - .actual_access:  write_only
        .address_space:  global
        .offset:         0
        .size:           8
        .value_kind:     global_buffer
      - .actual_access:  write_only
        .address_space:  global
        .offset:         8
        .size:           8
        .value_kind:     global_buffer
      - .actual_access:  write_only
        .address_space:  global
        .offset:         16
        .size:           8
        .value_kind:     global_buffer
      - .actual_access:  write_only
        .address_space:  global
        .offset:         24
        .size:           8
        .value_kind:     global_buffer
      - .actual_access:  write_only
        .address_space:  global
        .offset:         32
        .size:           8
        .value_kind:     global_buffer
      - .actual_access:  read_only
        .address_space:  global
        .offset:         40
        .size:           8
        .value_kind:     global_buffer
      - .actual_access:  read_only
        .address_space:  global
        .offset:         48
        .size:           8
        .value_kind:     global_buffer
      - .actual_access:  read_only
        .address_space:  global
        .offset:         56
        .size:           8
        .value_kind:     global_buffer
      - .actual_access:  read_only
        .address_space:  global
        .offset:         64
        .size:           8
        .value_kind:     global_buffer
      - .actual_access:  read_only
        .address_space:  global
        .offset:         72
        .size:           8
        .value_kind:     global_buffer
      - .offset:         80
        .size:           4
        .value_kind:     by_value
      - .offset:         84
        .size:           4
        .value_kind:     by_value
      - .offset:         88
        .size:           4
        .value_kind:     by_value
      - .offset:         92
        .size:           4
        .value_kind:     by_value
      - .offset:         96
        .size:           4
        .value_kind:     by_value
      - .offset:         100
        .size:           4
        .value_kind:     by_value
      - .offset:         104
        .size:           4
        .value_kind:     by_value
      - .offset:         108
        .size:           4
        .value_kind:     by_value
      - .offset:         112
        .size:           4
        .value_kind:     by_value
      - .offset:         116
        .size:           4
        .value_kind:     by_value
      - .offset:         120
        .size:           4
        .value_kind:     by_value
      - .offset:         124
        .size:           4
        .value_kind:     by_value
      - .offset:         128
        .size:           4
        .value_kind:     by_value
      - .offset:         132
        .size:           4
        .value_kind:     by_value
      - .offset:         136
        .size:           4
        .value_kind:     by_value
      - .offset:         144
        .size:           4
        .value_kind:     hidden_block_count_x
      - .offset:         148
        .size:           4
        .value_kind:     hidden_block_count_y
      - .offset:         152
        .size:           4
        .value_kind:     hidden_block_count_z
      - .offset:         156
        .size:           2
        .value_kind:     hidden_group_size_x
      - .offset:         158
        .size:           2
        .value_kind:     hidden_group_size_y
      - .offset:         160
        .size:           2
        .value_kind:     hidden_group_size_z
      - .offset:         162
        .size:           2
        .value_kind:     hidden_remainder_x
      - .offset:         164
        .size:           2
        .value_kind:     hidden_remainder_y
      - .offset:         166
        .size:           2
        .value_kind:     hidden_remainder_z
      - .offset:         184
        .size:           8
        .value_kind:     hidden_global_offset_x
      - .offset:         192
        .size:           8
        .value_kind:     hidden_global_offset_y
      - .offset:         200
        .size:           8
        .value_kind:     hidden_global_offset_z
      - .offset:         208
        .size:           2
        .value_kind:     hidden_grid_dims
    .group_segment_fixed_size: 16
    .kernarg_segment_align: 8
    .kernarg_segment_size: 400
    .language:       OpenCL C
    .language_version:
      - 2
      - 0
    .max_flat_workgroup_size: 1024
    .name:           _ZN5aiter35fused_qk_rmsnorm_group_quant_kernelIDF16_N4opus5fp4_tELi128ELi8ELi4ELb1ELb1ELb0ELb0ELb0ELb0EEEvPT0_PvPT_S7_S7_PKS6_S9_S9_S9_S9_ffiiiiiiiiiiiii
    .private_segment_fixed_size: 0
    .sgpr_count:     48
    .sgpr_spill_count: 0
    .symbol:         _ZN5aiter35fused_qk_rmsnorm_group_quant_kernelIDF16_N4opus5fp4_tELi128ELi8ELi4ELb1ELb1ELb0ELb0ELb0ELb0EEEvPT0_PvPT_S7_S7_PKS6_S9_S9_S9_S9_ffiiiiiiiiiiiii.kd
    .uniform_work_group_size: 1
    .uses_dynamic_stack: false
    .vgpr_count:     27
    .vgpr_spill_count: 0
    .wavefront_size: 64
  - .agpr_count:     0
    .args:
      - .actual_access:  write_only
        .address_space:  global
        .offset:         0
        .size:           8
        .value_kind:     global_buffer
      - .actual_access:  write_only
        .address_space:  global
        .offset:         8
        .size:           8
        .value_kind:     global_buffer
      - .actual_access:  write_only
        .address_space:  global
        .offset:         16
        .size:           8
        .value_kind:     global_buffer
      - .actual_access:  write_only
        .address_space:  global
        .offset:         24
        .size:           8
        .value_kind:     global_buffer
      - .actual_access:  write_only
        .address_space:  global
        .offset:         32
        .size:           8
        .value_kind:     global_buffer
      - .actual_access:  read_only
        .address_space:  global
        .offset:         40
        .size:           8
        .value_kind:     global_buffer
      - .actual_access:  read_only
        .address_space:  global
        .offset:         48
        .size:           8
        .value_kind:     global_buffer
      - .actual_access:  read_only
        .address_space:  global
        .offset:         56
        .size:           8
        .value_kind:     global_buffer
      - .actual_access:  read_only
        .address_space:  global
        .offset:         64
        .size:           8
        .value_kind:     global_buffer
      - .actual_access:  read_only
        .address_space:  global
        .offset:         72
        .size:           8
        .value_kind:     global_buffer
      - .offset:         80
        .size:           4
        .value_kind:     by_value
      - .offset:         84
        .size:           4
        .value_kind:     by_value
      - .offset:         88
        .size:           4
        .value_kind:     by_value
      - .offset:         92
        .size:           4
        .value_kind:     by_value
      - .offset:         96
        .size:           4
        .value_kind:     by_value
      - .offset:         100
        .size:           4
        .value_kind:     by_value
      - .offset:         104
        .size:           4
        .value_kind:     by_value
      - .offset:         108
        .size:           4
        .value_kind:     by_value
      - .offset:         112
        .size:           4
        .value_kind:     by_value
      - .offset:         116
        .size:           4
        .value_kind:     by_value
      - .offset:         120
        .size:           4
        .value_kind:     by_value
      - .offset:         124
        .size:           4
        .value_kind:     by_value
      - .offset:         128
        .size:           4
        .value_kind:     by_value
      - .offset:         132
        .size:           4
        .value_kind:     by_value
      - .offset:         136
        .size:           4
        .value_kind:     by_value
      - .offset:         144
        .size:           4
        .value_kind:     hidden_block_count_x
      - .offset:         148
        .size:           4
        .value_kind:     hidden_block_count_y
      - .offset:         152
        .size:           4
        .value_kind:     hidden_block_count_z
      - .offset:         156
        .size:           2
        .value_kind:     hidden_group_size_x
      - .offset:         158
        .size:           2
        .value_kind:     hidden_group_size_y
      - .offset:         160
        .size:           2
        .value_kind:     hidden_group_size_z
      - .offset:         162
        .size:           2
        .value_kind:     hidden_remainder_x
      - .offset:         164
        .size:           2
        .value_kind:     hidden_remainder_y
      - .offset:         166
        .size:           2
        .value_kind:     hidden_remainder_z
      - .offset:         184
        .size:           8
        .value_kind:     hidden_global_offset_x
      - .offset:         192
        .size:           8
        .value_kind:     hidden_global_offset_y
      - .offset:         200
        .size:           8
        .value_kind:     hidden_global_offset_z
      - .offset:         208
        .size:           2
        .value_kind:     hidden_grid_dims
    .group_segment_fixed_size: 16
    .kernarg_segment_align: 8
    .kernarg_segment_size: 400
    .language:       OpenCL C
    .language_version:
      - 2
      - 0
    .max_flat_workgroup_size: 1024
    .name:           _ZN5aiter35fused_qk_rmsnorm_group_quant_kernelItN4opus5fp4_tELi128ELi8ELi4ELb1ELb1ELb0ELb0ELb0ELb0EEEvPT0_PvPT_S7_S7_PKS6_S9_S9_S9_S9_ffiiiiiiiiiiiii
    .private_segment_fixed_size: 0
    .sgpr_count:     52
    .sgpr_spill_count: 0
    .symbol:         _ZN5aiter35fused_qk_rmsnorm_group_quant_kernelItN4opus5fp4_tELi128ELi8ELi4ELb1ELb1ELb0ELb0ELb0ELb0EEEvPT0_PvPT_S7_S7_PKS6_S9_S9_S9_S9_ffiiiiiiiiiiiii.kd
    .uniform_work_group_size: 1
    .uses_dynamic_stack: false
    .vgpr_count:     27
    .vgpr_spill_count: 0
    .wavefront_size: 64
  - .agpr_count:     0
    .args:
      - .actual_access:  write_only
        .address_space:  global
        .offset:         0
        .size:           8
        .value_kind:     global_buffer
      - .actual_access:  write_only
        .address_space:  global
        .offset:         8
        .size:           8
        .value_kind:     global_buffer
      - .actual_access:  read_only
        .address_space:  global
        .offset:         16
        .size:           8
        .value_kind:     global_buffer
      - .actual_access:  write_only
        .address_space:  global
        .offset:         24
        .size:           8
        .value_kind:     global_buffer
      - .actual_access:  write_only
        .address_space:  global
        .offset:         32
        .size:           8
        .value_kind:     global_buffer
      - .actual_access:  read_only
        .address_space:  global
        .offset:         40
        .size:           8
        .value_kind:     global_buffer
      - .actual_access:  read_only
        .address_space:  global
        .offset:         48
        .size:           8
        .value_kind:     global_buffer
      - .actual_access:  read_only
        .address_space:  global
        .offset:         56
        .size:           8
        .value_kind:     global_buffer
      - .actual_access:  read_only
        .address_space:  global
        .offset:         64
        .size:           8
        .value_kind:     global_buffer
      - .actual_access:  read_only
        .address_space:  global
        .offset:         72
        .size:           8
        .value_kind:     global_buffer
      - .offset:         80
        .size:           4
        .value_kind:     by_value
      - .offset:         84
        .size:           4
        .value_kind:     by_value
      - .offset:         88
        .size:           4
        .value_kind:     by_value
      - .offset:         92
        .size:           4
        .value_kind:     by_value
      - .offset:         96
        .size:           4
        .value_kind:     by_value
      - .offset:         100
        .size:           4
        .value_kind:     by_value
      - .offset:         104
        .size:           4
        .value_kind:     by_value
      - .offset:         108
        .size:           4
        .value_kind:     by_value
      - .offset:         112
        .size:           4
        .value_kind:     by_value
      - .offset:         116
        .size:           4
        .value_kind:     by_value
      - .offset:         120
        .size:           4
        .value_kind:     by_value
      - .offset:         124
        .size:           4
        .value_kind:     by_value
      - .offset:         128
        .size:           4
        .value_kind:     by_value
      - .offset:         132
        .size:           4
        .value_kind:     by_value
      - .offset:         136
        .size:           4
        .value_kind:     by_value
      - .offset:         144
        .size:           4
        .value_kind:     hidden_block_count_x
      - .offset:         148
        .size:           4
        .value_kind:     hidden_block_count_y
      - .offset:         152
        .size:           4
        .value_kind:     hidden_block_count_z
      - .offset:         156
        .size:           2
        .value_kind:     hidden_group_size_x
      - .offset:         158
        .size:           2
        .value_kind:     hidden_group_size_y
      - .offset:         160
        .size:           2
        .value_kind:     hidden_group_size_z
      - .offset:         162
        .size:           2
        .value_kind:     hidden_remainder_x
      - .offset:         164
        .size:           2
        .value_kind:     hidden_remainder_y
      - .offset:         166
        .size:           2
        .value_kind:     hidden_remainder_z
      - .offset:         184
        .size:           8
        .value_kind:     hidden_global_offset_x
      - .offset:         192
        .size:           8
        .value_kind:     hidden_global_offset_y
      - .offset:         200
        .size:           8
        .value_kind:     hidden_global_offset_z
      - .offset:         208
        .size:           2
        .value_kind:     hidden_grid_dims
    .group_segment_fixed_size: 16
    .kernarg_segment_align: 8
    .kernarg_segment_size: 400
    .language:       OpenCL C
    .language_version:
      - 2
      - 0
    .max_flat_workgroup_size: 1024
    .name:           _ZN5aiter35fused_qk_rmsnorm_group_quant_kernelIDF16_DB8_Li128ELi8ELi4ELb1ELb0ELb1ELb0ELb0ELb0EEEvPT0_PvPT_S6_S6_PKS5_S8_S8_S8_S8_ffiiiiiiiiiiiii
    .private_segment_fixed_size: 0
    .sgpr_count:     48
    .sgpr_spill_count: 0
    .symbol:         _ZN5aiter35fused_qk_rmsnorm_group_quant_kernelIDF16_DB8_Li128ELi8ELi4ELb1ELb0ELb1ELb0ELb0ELb0EEEvPT0_PvPT_S6_S6_PKS5_S8_S8_S8_S8_ffiiiiiiiiiiiii.kd
    .uniform_work_group_size: 1
    .uses_dynamic_stack: false
    .vgpr_count:     31
    .vgpr_spill_count: 0
    .wavefront_size: 64
  - .agpr_count:     0
    .args:
      - .actual_access:  write_only
        .address_space:  global
        .offset:         0
        .size:           8
        .value_kind:     global_buffer
      - .actual_access:  write_only
        .address_space:  global
        .offset:         8
        .size:           8
        .value_kind:     global_buffer
      - .actual_access:  read_only
        .address_space:  global
        .offset:         16
        .size:           8
        .value_kind:     global_buffer
      - .actual_access:  write_only
        .address_space:  global
        .offset:         24
        .size:           8
        .value_kind:     global_buffer
      - .actual_access:  write_only
        .address_space:  global
        .offset:         32
        .size:           8
        .value_kind:     global_buffer
      - .actual_access:  read_only
        .address_space:  global
        .offset:         40
        .size:           8
        .value_kind:     global_buffer
      - .actual_access:  read_only
        .address_space:  global
        .offset:         48
        .size:           8
        .value_kind:     global_buffer
      - .actual_access:  read_only
        .address_space:  global
        .offset:         56
        .size:           8
        .value_kind:     global_buffer
      - .actual_access:  read_only
        .address_space:  global
        .offset:         64
        .size:           8
        .value_kind:     global_buffer
      - .actual_access:  read_only
        .address_space:  global
        .offset:         72
        .size:           8
        .value_kind:     global_buffer
      - .offset:         80
        .size:           4
        .value_kind:     by_value
      - .offset:         84
        .size:           4
        .value_kind:     by_value
      - .offset:         88
        .size:           4
        .value_kind:     by_value
      - .offset:         92
        .size:           4
        .value_kind:     by_value
      - .offset:         96
        .size:           4
        .value_kind:     by_value
      - .offset:         100
        .size:           4
        .value_kind:     by_value
      - .offset:         104
        .size:           4
        .value_kind:     by_value
      - .offset:         108
        .size:           4
        .value_kind:     by_value
      - .offset:         112
        .size:           4
        .value_kind:     by_value
      - .offset:         116
        .size:           4
        .value_kind:     by_value
      - .offset:         120
        .size:           4
        .value_kind:     by_value
      - .offset:         124
        .size:           4
        .value_kind:     by_value
      - .offset:         128
        .size:           4
        .value_kind:     by_value
      - .offset:         132
        .size:           4
        .value_kind:     by_value
      - .offset:         136
        .size:           4
        .value_kind:     by_value
      - .offset:         144
        .size:           4
        .value_kind:     hidden_block_count_x
      - .offset:         148
        .size:           4
        .value_kind:     hidden_block_count_y
      - .offset:         152
        .size:           4
        .value_kind:     hidden_block_count_z
      - .offset:         156
        .size:           2
        .value_kind:     hidden_group_size_x
      - .offset:         158
        .size:           2
        .value_kind:     hidden_group_size_y
      - .offset:         160
        .size:           2
        .value_kind:     hidden_group_size_z
      - .offset:         162
        .size:           2
        .value_kind:     hidden_remainder_x
      - .offset:         164
        .size:           2
        .value_kind:     hidden_remainder_y
      - .offset:         166
        .size:           2
        .value_kind:     hidden_remainder_z
      - .offset:         184
        .size:           8
        .value_kind:     hidden_global_offset_x
      - .offset:         192
        .size:           8
        .value_kind:     hidden_global_offset_y
      - .offset:         200
        .size:           8
        .value_kind:     hidden_global_offset_z
      - .offset:         208
        .size:           2
        .value_kind:     hidden_grid_dims
    .group_segment_fixed_size: 16
    .kernarg_segment_align: 8
    .kernarg_segment_size: 400
    .language:       OpenCL C
    .language_version:
      - 2
      - 0
    .max_flat_workgroup_size: 1024
    .name:           _ZN5aiter35fused_qk_rmsnorm_group_quant_kernelItDB8_Li128ELi8ELi4ELb1ELb0ELb1ELb0ELb0ELb0EEEvPT0_PvPT_S6_S6_PKS5_S8_S8_S8_S8_ffiiiiiiiiiiiii
    .private_segment_fixed_size: 0
    .sgpr_count:     52
    .sgpr_spill_count: 0
    .symbol:         _ZN5aiter35fused_qk_rmsnorm_group_quant_kernelItDB8_Li128ELi8ELi4ELb1ELb0ELb1ELb0ELb0ELb0EEEvPT0_PvPT_S6_S6_PKS5_S8_S8_S8_S8_ffiiiiiiiiiiiii.kd
    .uniform_work_group_size: 1
    .uses_dynamic_stack: false
    .vgpr_count:     27
    .vgpr_spill_count: 0
    .wavefront_size: 64
  - .agpr_count:     0
    .args:
      - .actual_access:  write_only
        .address_space:  global
        .offset:         0
        .size:           8
        .value_kind:     global_buffer
      - .actual_access:  write_only
        .address_space:  global
        .offset:         8
        .size:           8
        .value_kind:     global_buffer
      - .actual_access:  read_only
        .address_space:  global
        .offset:         16
        .size:           8
        .value_kind:     global_buffer
      - .actual_access:  write_only
        .address_space:  global
        .offset:         24
        .size:           8
        .value_kind:     global_buffer
      - .actual_access:  write_only
        .address_space:  global
        .offset:         32
        .size:           8
        .value_kind:     global_buffer
      - .actual_access:  read_only
        .address_space:  global
        .offset:         40
        .size:           8
        .value_kind:     global_buffer
      - .actual_access:  read_only
        .address_space:  global
        .offset:         48
        .size:           8
        .value_kind:     global_buffer
      - .actual_access:  read_only
        .address_space:  global
        .offset:         56
        .size:           8
        .value_kind:     global_buffer
      - .actual_access:  read_only
        .address_space:  global
        .offset:         64
        .size:           8
        .value_kind:     global_buffer
      - .actual_access:  read_only
        .address_space:  global
        .offset:         72
        .size:           8
        .value_kind:     global_buffer
      - .offset:         80
        .size:           4
        .value_kind:     by_value
      - .offset:         84
        .size:           4
        .value_kind:     by_value
      - .offset:         88
        .size:           4
        .value_kind:     by_value
      - .offset:         92
        .size:           4
        .value_kind:     by_value
      - .offset:         96
        .size:           4
        .value_kind:     by_value
      - .offset:         100
        .size:           4
        .value_kind:     by_value
      - .offset:         104
        .size:           4
        .value_kind:     by_value
      - .offset:         108
        .size:           4
        .value_kind:     by_value
      - .offset:         112
        .size:           4
        .value_kind:     by_value
      - .offset:         116
        .size:           4
        .value_kind:     by_value
      - .offset:         120
        .size:           4
        .value_kind:     by_value
      - .offset:         124
        .size:           4
        .value_kind:     by_value
      - .offset:         128
        .size:           4
        .value_kind:     by_value
      - .offset:         132
        .size:           4
        .value_kind:     by_value
      - .offset:         136
        .size:           4
        .value_kind:     by_value
      - .offset:         144
        .size:           4
        .value_kind:     hidden_block_count_x
      - .offset:         148
        .size:           4
        .value_kind:     hidden_block_count_y
      - .offset:         152
        .size:           4
        .value_kind:     hidden_block_count_z
      - .offset:         156
        .size:           2
        .value_kind:     hidden_group_size_x
      - .offset:         158
        .size:           2
        .value_kind:     hidden_group_size_y
      - .offset:         160
        .size:           2
        .value_kind:     hidden_group_size_z
      - .offset:         162
        .size:           2
        .value_kind:     hidden_remainder_x
      - .offset:         164
        .size:           2
        .value_kind:     hidden_remainder_y
      - .offset:         166
        .size:           2
        .value_kind:     hidden_remainder_z
      - .offset:         184
        .size:           8
        .value_kind:     hidden_global_offset_x
      - .offset:         192
        .size:           8
        .value_kind:     hidden_global_offset_y
      - .offset:         200
        .size:           8
        .value_kind:     hidden_global_offset_z
      - .offset:         208
        .size:           2
        .value_kind:     hidden_grid_dims
    .group_segment_fixed_size: 16
    .kernarg_segment_align: 8
    .kernarg_segment_size: 400
    .language:       OpenCL C
    .language_version:
      - 2
      - 0
    .max_flat_workgroup_size: 1024
    .name:           _ZN5aiter35fused_qk_rmsnorm_group_quant_kernelIDF16_N4opus5fp4_tELi128ELi8ELi4ELb1ELb0ELb1ELb0ELb0ELb0EEEvPT0_PvPT_S7_S7_PKS6_S9_S9_S9_S9_ffiiiiiiiiiiiii
    .private_segment_fixed_size: 0
    .sgpr_count:     44
    .sgpr_spill_count: 0
    .symbol:         _ZN5aiter35fused_qk_rmsnorm_group_quant_kernelIDF16_N4opus5fp4_tELi128ELi8ELi4ELb1ELb0ELb1ELb0ELb0ELb0EEEvPT0_PvPT_S7_S7_PKS6_S9_S9_S9_S9_ffiiiiiiiiiiiii.kd
    .uniform_work_group_size: 1
    .uses_dynamic_stack: false
    .vgpr_count:     25
    .vgpr_spill_count: 0
    .wavefront_size: 64
  - .agpr_count:     0
    .args:
      - .actual_access:  write_only
        .address_space:  global
        .offset:         0
        .size:           8
        .value_kind:     global_buffer
      - .actual_access:  write_only
        .address_space:  global
        .offset:         8
        .size:           8
        .value_kind:     global_buffer
      - .actual_access:  read_only
        .address_space:  global
        .offset:         16
        .size:           8
        .value_kind:     global_buffer
      - .actual_access:  write_only
        .address_space:  global
        .offset:         24
        .size:           8
        .value_kind:     global_buffer
      - .actual_access:  write_only
        .address_space:  global
        .offset:         32
        .size:           8
        .value_kind:     global_buffer
      - .actual_access:  read_only
        .address_space:  global
        .offset:         40
        .size:           8
        .value_kind:     global_buffer
      - .actual_access:  read_only
        .address_space:  global
        .offset:         48
        .size:           8
        .value_kind:     global_buffer
      - .actual_access:  read_only
        .address_space:  global
        .offset:         56
        .size:           8
        .value_kind:     global_buffer
      - .actual_access:  read_only
        .address_space:  global
        .offset:         64
        .size:           8
        .value_kind:     global_buffer
      - .actual_access:  read_only
        .address_space:  global
        .offset:         72
        .size:           8
        .value_kind:     global_buffer
      - .offset:         80
        .size:           4
        .value_kind:     by_value
      - .offset:         84
        .size:           4
        .value_kind:     by_value
      - .offset:         88
        .size:           4
        .value_kind:     by_value
      - .offset:         92
        .size:           4
        .value_kind:     by_value
      - .offset:         96
        .size:           4
        .value_kind:     by_value
      - .offset:         100
        .size:           4
        .value_kind:     by_value
      - .offset:         104
        .size:           4
        .value_kind:     by_value
      - .offset:         108
        .size:           4
        .value_kind:     by_value
      - .offset:         112
        .size:           4
        .value_kind:     by_value
      - .offset:         116
        .size:           4
        .value_kind:     by_value
      - .offset:         120
        .size:           4
        .value_kind:     by_value
      - .offset:         124
        .size:           4
        .value_kind:     by_value
      - .offset:         128
        .size:           4
        .value_kind:     by_value
      - .offset:         132
        .size:           4
        .value_kind:     by_value
      - .offset:         136
        .size:           4
        .value_kind:     by_value
      - .offset:         144
        .size:           4
        .value_kind:     hidden_block_count_x
      - .offset:         148
        .size:           4
        .value_kind:     hidden_block_count_y
      - .offset:         152
        .size:           4
        .value_kind:     hidden_block_count_z
      - .offset:         156
        .size:           2
        .value_kind:     hidden_group_size_x
      - .offset:         158
        .size:           2
        .value_kind:     hidden_group_size_y
      - .offset:         160
        .size:           2
        .value_kind:     hidden_group_size_z
      - .offset:         162
        .size:           2
        .value_kind:     hidden_remainder_x
      - .offset:         164
        .size:           2
        .value_kind:     hidden_remainder_y
      - .offset:         166
        .size:           2
        .value_kind:     hidden_remainder_z
      - .offset:         184
        .size:           8
        .value_kind:     hidden_global_offset_x
      - .offset:         192
        .size:           8
        .value_kind:     hidden_global_offset_y
      - .offset:         200
        .size:           8
        .value_kind:     hidden_global_offset_z
      - .offset:         208
        .size:           2
        .value_kind:     hidden_grid_dims
    .group_segment_fixed_size: 16
    .kernarg_segment_align: 8
    .kernarg_segment_size: 400
    .language:       OpenCL C
    .language_version:
      - 2
      - 0
    .max_flat_workgroup_size: 1024
    .name:           _ZN5aiter35fused_qk_rmsnorm_group_quant_kernelItN4opus5fp4_tELi128ELi8ELi4ELb1ELb0ELb1ELb0ELb0ELb0EEEvPT0_PvPT_S7_S7_PKS6_S9_S9_S9_S9_ffiiiiiiiiiiiii
    .private_segment_fixed_size: 0
    .sgpr_count:     48
    .sgpr_spill_count: 0
    .symbol:         _ZN5aiter35fused_qk_rmsnorm_group_quant_kernelItN4opus5fp4_tELi128ELi8ELi4ELb1ELb0ELb1ELb0ELb0ELb0EEEvPT0_PvPT_S7_S7_PKS6_S9_S9_S9_S9_ffiiiiiiiiiiiii.kd
    .uniform_work_group_size: 1
    .uses_dynamic_stack: false
    .vgpr_count:     27
    .vgpr_spill_count: 0
    .wavefront_size: 64
  - .agpr_count:     0
    .args:
      - .actual_access:  write_only
        .address_space:  global
        .offset:         0
        .size:           8
        .value_kind:     global_buffer
      - .actual_access:  write_only
        .address_space:  global
        .offset:         8
        .size:           8
        .value_kind:     global_buffer
      - .actual_access:  read_only
        .address_space:  global
        .offset:         16
        .size:           8
        .value_kind:     global_buffer
      - .actual_access:  write_only
        .address_space:  global
        .offset:         24
        .size:           8
        .value_kind:     global_buffer
      - .actual_access:  write_only
        .address_space:  global
        .offset:         32
        .size:           8
        .value_kind:     global_buffer
      - .actual_access:  read_only
        .address_space:  global
        .offset:         40
        .size:           8
        .value_kind:     global_buffer
      - .actual_access:  read_only
        .address_space:  global
        .offset:         48
        .size:           8
        .value_kind:     global_buffer
      - .actual_access:  read_only
        .address_space:  global
        .offset:         56
        .size:           8
        .value_kind:     global_buffer
      - .actual_access:  read_only
        .address_space:  global
        .offset:         64
        .size:           8
        .value_kind:     global_buffer
      - .actual_access:  read_only
        .address_space:  global
        .offset:         72
        .size:           8
        .value_kind:     global_buffer
      - .offset:         80
        .size:           4
        .value_kind:     by_value
      - .offset:         84
        .size:           4
        .value_kind:     by_value
      - .offset:         88
        .size:           4
        .value_kind:     by_value
      - .offset:         92
        .size:           4
        .value_kind:     by_value
      - .offset:         96
        .size:           4
        .value_kind:     by_value
      - .offset:         100
        .size:           4
        .value_kind:     by_value
      - .offset:         104
        .size:           4
        .value_kind:     by_value
      - .offset:         108
        .size:           4
        .value_kind:     by_value
      - .offset:         112
        .size:           4
        .value_kind:     by_value
      - .offset:         116
        .size:           4
        .value_kind:     by_value
      - .offset:         120
        .size:           4
        .value_kind:     by_value
      - .offset:         124
        .size:           4
        .value_kind:     by_value
      - .offset:         128
        .size:           4
        .value_kind:     by_value
      - .offset:         132
        .size:           4
        .value_kind:     by_value
      - .offset:         136
        .size:           4
        .value_kind:     by_value
      - .offset:         144
        .size:           4
        .value_kind:     hidden_block_count_x
      - .offset:         148
        .size:           4
        .value_kind:     hidden_block_count_y
      - .offset:         152
        .size:           4
        .value_kind:     hidden_block_count_z
      - .offset:         156
        .size:           2
        .value_kind:     hidden_group_size_x
      - .offset:         158
        .size:           2
        .value_kind:     hidden_group_size_y
      - .offset:         160
        .size:           2
        .value_kind:     hidden_group_size_z
      - .offset:         162
        .size:           2
        .value_kind:     hidden_remainder_x
      - .offset:         164
        .size:           2
        .value_kind:     hidden_remainder_y
      - .offset:         166
        .size:           2
        .value_kind:     hidden_remainder_z
      - .offset:         184
        .size:           8
        .value_kind:     hidden_global_offset_x
      - .offset:         192
        .size:           8
        .value_kind:     hidden_global_offset_y
      - .offset:         200
        .size:           8
        .value_kind:     hidden_global_offset_z
      - .offset:         208
        .size:           2
        .value_kind:     hidden_grid_dims
    .group_segment_fixed_size: 16
    .kernarg_segment_align: 8
    .kernarg_segment_size: 400
    .language:       OpenCL C
    .language_version:
      - 2
      - 0
    .max_flat_workgroup_size: 1024
    .name:           _ZN5aiter35fused_qk_rmsnorm_group_quant_kernelIDF16_DB8_Li128ELi8ELi4ELb1ELb0ELb0ELb0ELb0ELb0EEEvPT0_PvPT_S6_S6_PKS5_S8_S8_S8_S8_ffiiiiiiiiiiiii
    .private_segment_fixed_size: 0
    .sgpr_count:     48
    .sgpr_spill_count: 0
    .symbol:         _ZN5aiter35fused_qk_rmsnorm_group_quant_kernelIDF16_DB8_Li128ELi8ELi4ELb1ELb0ELb0ELb0ELb0ELb0EEEvPT0_PvPT_S6_S6_PKS5_S8_S8_S8_S8_ffiiiiiiiiiiiii.kd
    .uniform_work_group_size: 1
    .uses_dynamic_stack: false
    .vgpr_count:     34
    .vgpr_spill_count: 0
    .wavefront_size: 64
  - .agpr_count:     0
    .args:
      - .actual_access:  write_only
        .address_space:  global
        .offset:         0
        .size:           8
        .value_kind:     global_buffer
      - .actual_access:  write_only
        .address_space:  global
        .offset:         8
        .size:           8
        .value_kind:     global_buffer
      - .actual_access:  read_only
        .address_space:  global
        .offset:         16
        .size:           8
        .value_kind:     global_buffer
      - .actual_access:  write_only
        .address_space:  global
        .offset:         24
        .size:           8
        .value_kind:     global_buffer
      - .actual_access:  write_only
        .address_space:  global
        .offset:         32
        .size:           8
        .value_kind:     global_buffer
      - .actual_access:  read_only
        .address_space:  global
        .offset:         40
        .size:           8
        .value_kind:     global_buffer
      - .actual_access:  read_only
        .address_space:  global
        .offset:         48
        .size:           8
        .value_kind:     global_buffer
      - .actual_access:  read_only
        .address_space:  global
        .offset:         56
        .size:           8
        .value_kind:     global_buffer
      - .actual_access:  read_only
        .address_space:  global
        .offset:         64
        .size:           8
        .value_kind:     global_buffer
      - .actual_access:  read_only
        .address_space:  global
        .offset:         72
        .size:           8
        .value_kind:     global_buffer
      - .offset:         80
        .size:           4
        .value_kind:     by_value
      - .offset:         84
        .size:           4
        .value_kind:     by_value
      - .offset:         88
        .size:           4
        .value_kind:     by_value
      - .offset:         92
        .size:           4
        .value_kind:     by_value
      - .offset:         96
        .size:           4
        .value_kind:     by_value
      - .offset:         100
        .size:           4
        .value_kind:     by_value
      - .offset:         104
        .size:           4
        .value_kind:     by_value
      - .offset:         108
        .size:           4
        .value_kind:     by_value
      - .offset:         112
        .size:           4
        .value_kind:     by_value
      - .offset:         116
        .size:           4
        .value_kind:     by_value
      - .offset:         120
        .size:           4
        .value_kind:     by_value
      - .offset:         124
        .size:           4
        .value_kind:     by_value
      - .offset:         128
        .size:           4
        .value_kind:     by_value
      - .offset:         132
        .size:           4
        .value_kind:     by_value
      - .offset:         136
        .size:           4
        .value_kind:     by_value
      - .offset:         144
        .size:           4
        .value_kind:     hidden_block_count_x
      - .offset:         148
        .size:           4
        .value_kind:     hidden_block_count_y
      - .offset:         152
        .size:           4
        .value_kind:     hidden_block_count_z
      - .offset:         156
        .size:           2
        .value_kind:     hidden_group_size_x
      - .offset:         158
        .size:           2
        .value_kind:     hidden_group_size_y
      - .offset:         160
        .size:           2
        .value_kind:     hidden_group_size_z
      - .offset:         162
        .size:           2
        .value_kind:     hidden_remainder_x
      - .offset:         164
        .size:           2
        .value_kind:     hidden_remainder_y
      - .offset:         166
        .size:           2
        .value_kind:     hidden_remainder_z
      - .offset:         184
        .size:           8
        .value_kind:     hidden_global_offset_x
      - .offset:         192
        .size:           8
        .value_kind:     hidden_global_offset_y
      - .offset:         200
        .size:           8
        .value_kind:     hidden_global_offset_z
      - .offset:         208
        .size:           2
        .value_kind:     hidden_grid_dims
    .group_segment_fixed_size: 16
    .kernarg_segment_align: 8
    .kernarg_segment_size: 400
    .language:       OpenCL C
    .language_version:
      - 2
      - 0
    .max_flat_workgroup_size: 1024
    .name:           _ZN5aiter35fused_qk_rmsnorm_group_quant_kernelItDB8_Li128ELi8ELi4ELb1ELb0ELb0ELb0ELb0ELb0EEEvPT0_PvPT_S6_S6_PKS5_S8_S8_S8_S8_ffiiiiiiiiiiiii
    .private_segment_fixed_size: 0
    .sgpr_count:     52
    .sgpr_spill_count: 0
    .symbol:         _ZN5aiter35fused_qk_rmsnorm_group_quant_kernelItDB8_Li128ELi8ELi4ELb1ELb0ELb0ELb0ELb0ELb0EEEvPT0_PvPT_S6_S6_PKS5_S8_S8_S8_S8_ffiiiiiiiiiiiii.kd
    .uniform_work_group_size: 1
    .uses_dynamic_stack: false
    .vgpr_count:     27
    .vgpr_spill_count: 0
    .wavefront_size: 64
  - .agpr_count:     0
    .args:
      - .actual_access:  write_only
        .address_space:  global
        .offset:         0
        .size:           8
        .value_kind:     global_buffer
      - .actual_access:  write_only
        .address_space:  global
        .offset:         8
        .size:           8
        .value_kind:     global_buffer
      - .actual_access:  read_only
        .address_space:  global
        .offset:         16
        .size:           8
        .value_kind:     global_buffer
      - .actual_access:  write_only
        .address_space:  global
        .offset:         24
        .size:           8
        .value_kind:     global_buffer
      - .actual_access:  write_only
        .address_space:  global
        .offset:         32
        .size:           8
        .value_kind:     global_buffer
      - .actual_access:  read_only
        .address_space:  global
        .offset:         40
        .size:           8
        .value_kind:     global_buffer
      - .actual_access:  read_only
        .address_space:  global
        .offset:         48
        .size:           8
        .value_kind:     global_buffer
      - .actual_access:  read_only
        .address_space:  global
        .offset:         56
        .size:           8
        .value_kind:     global_buffer
      - .actual_access:  read_only
        .address_space:  global
        .offset:         64
        .size:           8
        .value_kind:     global_buffer
      - .actual_access:  read_only
        .address_space:  global
        .offset:         72
        .size:           8
        .value_kind:     global_buffer
      - .offset:         80
        .size:           4
        .value_kind:     by_value
      - .offset:         84
        .size:           4
        .value_kind:     by_value
      - .offset:         88
        .size:           4
        .value_kind:     by_value
      - .offset:         92
        .size:           4
        .value_kind:     by_value
      - .offset:         96
        .size:           4
        .value_kind:     by_value
      - .offset:         100
        .size:           4
        .value_kind:     by_value
      - .offset:         104
        .size:           4
        .value_kind:     by_value
      - .offset:         108
        .size:           4
        .value_kind:     by_value
      - .offset:         112
        .size:           4
        .value_kind:     by_value
      - .offset:         116
        .size:           4
        .value_kind:     by_value
      - .offset:         120
        .size:           4
        .value_kind:     by_value
      - .offset:         124
        .size:           4
        .value_kind:     by_value
      - .offset:         128
        .size:           4
        .value_kind:     by_value
      - .offset:         132
        .size:           4
        .value_kind:     by_value
      - .offset:         136
        .size:           4
        .value_kind:     by_value
      - .offset:         144
        .size:           4
        .value_kind:     hidden_block_count_x
      - .offset:         148
        .size:           4
        .value_kind:     hidden_block_count_y
      - .offset:         152
        .size:           4
        .value_kind:     hidden_block_count_z
      - .offset:         156
        .size:           2
        .value_kind:     hidden_group_size_x
      - .offset:         158
        .size:           2
        .value_kind:     hidden_group_size_y
      - .offset:         160
        .size:           2
        .value_kind:     hidden_group_size_z
      - .offset:         162
        .size:           2
        .value_kind:     hidden_remainder_x
      - .offset:         164
        .size:           2
        .value_kind:     hidden_remainder_y
      - .offset:         166
        .size:           2
        .value_kind:     hidden_remainder_z
      - .offset:         184
        .size:           8
        .value_kind:     hidden_global_offset_x
      - .offset:         192
        .size:           8
        .value_kind:     hidden_global_offset_y
      - .offset:         200
        .size:           8
        .value_kind:     hidden_global_offset_z
      - .offset:         208
        .size:           2
        .value_kind:     hidden_grid_dims
    .group_segment_fixed_size: 16
    .kernarg_segment_align: 8
    .kernarg_segment_size: 400
    .language:       OpenCL C
    .language_version:
      - 2
      - 0
    .max_flat_workgroup_size: 1024
    .name:           _ZN5aiter35fused_qk_rmsnorm_group_quant_kernelIDF16_N4opus5fp4_tELi128ELi8ELi4ELb1ELb0ELb0ELb0ELb0ELb0EEEvPT0_PvPT_S7_S7_PKS6_S9_S9_S9_S9_ffiiiiiiiiiiiii
    .private_segment_fixed_size: 0
    .sgpr_count:     44
    .sgpr_spill_count: 0
    .symbol:         _ZN5aiter35fused_qk_rmsnorm_group_quant_kernelIDF16_N4opus5fp4_tELi128ELi8ELi4ELb1ELb0ELb0ELb0ELb0ELb0EEEvPT0_PvPT_S7_S7_PKS6_S9_S9_S9_S9_ffiiiiiiiiiiiii.kd
    .uniform_work_group_size: 1
    .uses_dynamic_stack: false
    .vgpr_count:     27
    .vgpr_spill_count: 0
    .wavefront_size: 64
  - .agpr_count:     0
    .args:
      - .actual_access:  write_only
        .address_space:  global
        .offset:         0
        .size:           8
        .value_kind:     global_buffer
      - .actual_access:  write_only
        .address_space:  global
        .offset:         8
        .size:           8
        .value_kind:     global_buffer
      - .actual_access:  read_only
        .address_space:  global
        .offset:         16
        .size:           8
        .value_kind:     global_buffer
      - .actual_access:  write_only
        .address_space:  global
        .offset:         24
        .size:           8
        .value_kind:     global_buffer
      - .actual_access:  write_only
        .address_space:  global
        .offset:         32
        .size:           8
        .value_kind:     global_buffer
      - .actual_access:  read_only
        .address_space:  global
        .offset:         40
        .size:           8
        .value_kind:     global_buffer
      - .actual_access:  read_only
        .address_space:  global
        .offset:         48
        .size:           8
        .value_kind:     global_buffer
      - .actual_access:  read_only
        .address_space:  global
        .offset:         56
        .size:           8
        .value_kind:     global_buffer
      - .actual_access:  read_only
        .address_space:  global
        .offset:         64
        .size:           8
        .value_kind:     global_buffer
      - .actual_access:  read_only
        .address_space:  global
        .offset:         72
        .size:           8
        .value_kind:     global_buffer
      - .offset:         80
        .size:           4
        .value_kind:     by_value
      - .offset:         84
        .size:           4
        .value_kind:     by_value
      - .offset:         88
        .size:           4
        .value_kind:     by_value
      - .offset:         92
        .size:           4
        .value_kind:     by_value
      - .offset:         96
        .size:           4
        .value_kind:     by_value
      - .offset:         100
        .size:           4
        .value_kind:     by_value
      - .offset:         104
        .size:           4
        .value_kind:     by_value
      - .offset:         108
        .size:           4
        .value_kind:     by_value
      - .offset:         112
        .size:           4
        .value_kind:     by_value
      - .offset:         116
        .size:           4
        .value_kind:     by_value
      - .offset:         120
        .size:           4
        .value_kind:     by_value
      - .offset:         124
        .size:           4
        .value_kind:     by_value
      - .offset:         128
        .size:           4
        .value_kind:     by_value
      - .offset:         132
        .size:           4
        .value_kind:     by_value
      - .offset:         136
        .size:           4
        .value_kind:     by_value
      - .offset:         144
        .size:           4
        .value_kind:     hidden_block_count_x
      - .offset:         148
        .size:           4
        .value_kind:     hidden_block_count_y
      - .offset:         152
        .size:           4
        .value_kind:     hidden_block_count_z
      - .offset:         156
        .size:           2
        .value_kind:     hidden_group_size_x
      - .offset:         158
        .size:           2
        .value_kind:     hidden_group_size_y
      - .offset:         160
        .size:           2
        .value_kind:     hidden_group_size_z
      - .offset:         162
        .size:           2
        .value_kind:     hidden_remainder_x
      - .offset:         164
        .size:           2
        .value_kind:     hidden_remainder_y
      - .offset:         166
        .size:           2
        .value_kind:     hidden_remainder_z
      - .offset:         184
        .size:           8
        .value_kind:     hidden_global_offset_x
      - .offset:         192
        .size:           8
        .value_kind:     hidden_global_offset_y
      - .offset:         200
        .size:           8
        .value_kind:     hidden_global_offset_z
      - .offset:         208
        .size:           2
        .value_kind:     hidden_grid_dims
    .group_segment_fixed_size: 16
    .kernarg_segment_align: 8
    .kernarg_segment_size: 400
    .language:       OpenCL C
    .language_version:
      - 2
      - 0
    .max_flat_workgroup_size: 1024
    .name:           _ZN5aiter35fused_qk_rmsnorm_group_quant_kernelItN4opus5fp4_tELi128ELi8ELi4ELb1ELb0ELb0ELb0ELb0ELb0EEEvPT0_PvPT_S7_S7_PKS6_S9_S9_S9_S9_ffiiiiiiiiiiiii
    .private_segment_fixed_size: 0
    .sgpr_count:     48
    .sgpr_spill_count: 0
    .symbol:         _ZN5aiter35fused_qk_rmsnorm_group_quant_kernelItN4opus5fp4_tELi128ELi8ELi4ELb1ELb0ELb0ELb0ELb0ELb0EEEvPT0_PvPT_S7_S7_PKS6_S9_S9_S9_S9_ffiiiiiiiiiiiii.kd
    .uniform_work_group_size: 1
    .uses_dynamic_stack: false
    .vgpr_count:     27
    .vgpr_spill_count: 0
    .wavefront_size: 64
  - .agpr_count:     0
    .args:
      - .actual_access:  write_only
        .address_space:  global
        .offset:         0
        .size:           8
        .value_kind:     global_buffer
      - .actual_access:  write_only
        .address_space:  global
        .offset:         8
        .size:           8
        .value_kind:     global_buffer
      - .actual_access:  write_only
        .address_space:  global
        .offset:         16
        .size:           8
        .value_kind:     global_buffer
      - .actual_access:  write_only
        .address_space:  global
        .offset:         24
        .size:           8
        .value_kind:     global_buffer
      - .actual_access:  read_only
        .address_space:  global
        .offset:         32
        .size:           8
        .value_kind:     global_buffer
      - .actual_access:  read_only
        .address_space:  global
        .offset:         40
        .size:           8
        .value_kind:     global_buffer
      - .actual_access:  read_only
        .address_space:  global
        .offset:         48
        .size:           8
        .value_kind:     global_buffer
      - .actual_access:  read_only
        .address_space:  global
        .offset:         56
        .size:           8
        .value_kind:     global_buffer
      - .actual_access:  read_only
        .address_space:  global
        .offset:         64
        .size:           8
        .value_kind:     global_buffer
      - .actual_access:  read_only
        .address_space:  global
        .offset:         72
        .size:           8
        .value_kind:     global_buffer
      - .offset:         80
        .size:           4
        .value_kind:     by_value
      - .offset:         84
        .size:           4
        .value_kind:     by_value
      - .offset:         88
        .size:           4
        .value_kind:     by_value
      - .offset:         92
        .size:           4
        .value_kind:     by_value
      - .offset:         96
        .size:           4
        .value_kind:     by_value
      - .offset:         100
        .size:           4
        .value_kind:     by_value
      - .offset:         104
        .size:           4
        .value_kind:     by_value
      - .offset:         108
        .size:           4
        .value_kind:     by_value
      - .offset:         112
        .size:           4
        .value_kind:     by_value
      - .offset:         116
        .size:           4
        .value_kind:     by_value
      - .offset:         120
        .size:           4
        .value_kind:     by_value
      - .offset:         124
        .size:           4
        .value_kind:     by_value
      - .offset:         128
        .size:           4
        .value_kind:     by_value
      - .offset:         132
        .size:           4
        .value_kind:     by_value
      - .offset:         136
        .size:           4
        .value_kind:     by_value
      - .offset:         144
        .size:           4
        .value_kind:     hidden_block_count_x
      - .offset:         148
        .size:           4
        .value_kind:     hidden_block_count_y
      - .offset:         152
        .size:           4
        .value_kind:     hidden_block_count_z
      - .offset:         156
        .size:           2
        .value_kind:     hidden_group_size_x
      - .offset:         158
        .size:           2
        .value_kind:     hidden_group_size_y
      - .offset:         160
        .size:           2
        .value_kind:     hidden_group_size_z
      - .offset:         162
        .size:           2
        .value_kind:     hidden_remainder_x
      - .offset:         164
        .size:           2
        .value_kind:     hidden_remainder_y
      - .offset:         166
        .size:           2
        .value_kind:     hidden_remainder_z
      - .offset:         184
        .size:           8
        .value_kind:     hidden_global_offset_x
      - .offset:         192
        .size:           8
        .value_kind:     hidden_global_offset_y
      - .offset:         200
        .size:           8
        .value_kind:     hidden_global_offset_z
      - .offset:         208
        .size:           2
        .value_kind:     hidden_grid_dims
    .group_segment_fixed_size: 16
    .kernarg_segment_align: 8
    .kernarg_segment_size: 400
    .language:       OpenCL C
    .language_version:
      - 2
      - 0
    .max_flat_workgroup_size: 1024
    .name:           _ZN5aiter35fused_qk_rmsnorm_group_quant_kernelIDF16_DB8_Li128ELi8ELi4ELb0ELb1ELb1ELb0ELb0ELb0EEEvPT0_PvPT_S6_S6_PKS5_S8_S8_S8_S8_ffiiiiiiiiiiiii
    .private_segment_fixed_size: 0
    .sgpr_count:     40
    .sgpr_spill_count: 0
    .symbol:         _ZN5aiter35fused_qk_rmsnorm_group_quant_kernelIDF16_DB8_Li128ELi8ELi4ELb0ELb1ELb1ELb0ELb0ELb0EEEvPT0_PvPT_S6_S6_PKS5_S8_S8_S8_S8_ffiiiiiiiiiiiii.kd
    .uniform_work_group_size: 1
    .uses_dynamic_stack: false
    .vgpr_count:     23
    .vgpr_spill_count: 0
    .wavefront_size: 64
  - .agpr_count:     0
    .args:
      - .actual_access:  write_only
        .address_space:  global
        .offset:         0
        .size:           8
        .value_kind:     global_buffer
      - .actual_access:  write_only
        .address_space:  global
        .offset:         8
        .size:           8
        .value_kind:     global_buffer
      - .actual_access:  write_only
        .address_space:  global
        .offset:         16
        .size:           8
        .value_kind:     global_buffer
      - .actual_access:  write_only
        .address_space:  global
        .offset:         24
        .size:           8
        .value_kind:     global_buffer
      - .actual_access:  read_only
        .address_space:  global
        .offset:         32
        .size:           8
        .value_kind:     global_buffer
      - .actual_access:  read_only
        .address_space:  global
        .offset:         40
        .size:           8
        .value_kind:     global_buffer
      - .actual_access:  read_only
        .address_space:  global
        .offset:         48
        .size:           8
        .value_kind:     global_buffer
      - .actual_access:  read_only
        .address_space:  global
        .offset:         56
        .size:           8
        .value_kind:     global_buffer
      - .actual_access:  read_only
        .address_space:  global
        .offset:         64
        .size:           8
        .value_kind:     global_buffer
      - .actual_access:  read_only
        .address_space:  global
        .offset:         72
        .size:           8
        .value_kind:     global_buffer
      - .offset:         80
        .size:           4
        .value_kind:     by_value
      - .offset:         84
        .size:           4
        .value_kind:     by_value
      - .offset:         88
        .size:           4
        .value_kind:     by_value
      - .offset:         92
        .size:           4
        .value_kind:     by_value
      - .offset:         96
        .size:           4
        .value_kind:     by_value
      - .offset:         100
        .size:           4
        .value_kind:     by_value
      - .offset:         104
        .size:           4
        .value_kind:     by_value
      - .offset:         108
        .size:           4
        .value_kind:     by_value
      - .offset:         112
        .size:           4
        .value_kind:     by_value
      - .offset:         116
        .size:           4
        .value_kind:     by_value
      - .offset:         120
        .size:           4
        .value_kind:     by_value
      - .offset:         124
        .size:           4
        .value_kind:     by_value
      - .offset:         128
        .size:           4
        .value_kind:     by_value
      - .offset:         132
        .size:           4
        .value_kind:     by_value
      - .offset:         136
        .size:           4
        .value_kind:     by_value
      - .offset:         144
        .size:           4
        .value_kind:     hidden_block_count_x
      - .offset:         148
        .size:           4
        .value_kind:     hidden_block_count_y
      - .offset:         152
        .size:           4
        .value_kind:     hidden_block_count_z
      - .offset:         156
        .size:           2
        .value_kind:     hidden_group_size_x
      - .offset:         158
        .size:           2
        .value_kind:     hidden_group_size_y
      - .offset:         160
        .size:           2
        .value_kind:     hidden_group_size_z
      - .offset:         162
        .size:           2
        .value_kind:     hidden_remainder_x
      - .offset:         164
        .size:           2
        .value_kind:     hidden_remainder_y
      - .offset:         166
        .size:           2
        .value_kind:     hidden_remainder_z
      - .offset:         184
        .size:           8
        .value_kind:     hidden_global_offset_x
      - .offset:         192
        .size:           8
        .value_kind:     hidden_global_offset_y
      - .offset:         200
        .size:           8
        .value_kind:     hidden_global_offset_z
      - .offset:         208
        .size:           2
        .value_kind:     hidden_grid_dims
    .group_segment_fixed_size: 16
    .kernarg_segment_align: 8
    .kernarg_segment_size: 400
    .language:       OpenCL C
    .language_version:
      - 2
      - 0
    .max_flat_workgroup_size: 1024
    .name:           _ZN5aiter35fused_qk_rmsnorm_group_quant_kernelItDB8_Li128ELi8ELi4ELb0ELb1ELb1ELb0ELb0ELb0EEEvPT0_PvPT_S6_S6_PKS5_S8_S8_S8_S8_ffiiiiiiiiiiiii
    .private_segment_fixed_size: 0
    .sgpr_count:     40
    .sgpr_spill_count: 0
    .symbol:         _ZN5aiter35fused_qk_rmsnorm_group_quant_kernelItDB8_Li128ELi8ELi4ELb0ELb1ELb1ELb0ELb0ELb0EEEvPT0_PvPT_S6_S6_PKS5_S8_S8_S8_S8_ffiiiiiiiiiiiii.kd
    .uniform_work_group_size: 1
    .uses_dynamic_stack: false
    .vgpr_count:     23
    .vgpr_spill_count: 0
    .wavefront_size: 64
  - .agpr_count:     0
    .args:
      - .actual_access:  write_only
        .address_space:  global
        .offset:         0
        .size:           8
        .value_kind:     global_buffer
      - .actual_access:  write_only
        .address_space:  global
        .offset:         8
        .size:           8
        .value_kind:     global_buffer
      - .actual_access:  write_only
        .address_space:  global
        .offset:         16
        .size:           8
        .value_kind:     global_buffer
      - .actual_access:  write_only
        .address_space:  global
        .offset:         24
        .size:           8
        .value_kind:     global_buffer
      - .actual_access:  read_only
        .address_space:  global
        .offset:         32
        .size:           8
        .value_kind:     global_buffer
      - .actual_access:  read_only
        .address_space:  global
        .offset:         40
        .size:           8
        .value_kind:     global_buffer
      - .actual_access:  read_only
        .address_space:  global
        .offset:         48
        .size:           8
        .value_kind:     global_buffer
      - .actual_access:  read_only
        .address_space:  global
        .offset:         56
        .size:           8
        .value_kind:     global_buffer
      - .actual_access:  read_only
        .address_space:  global
        .offset:         64
        .size:           8
        .value_kind:     global_buffer
      - .actual_access:  read_only
        .address_space:  global
        .offset:         72
        .size:           8
        .value_kind:     global_buffer
      - .offset:         80
        .size:           4
        .value_kind:     by_value
      - .offset:         84
        .size:           4
        .value_kind:     by_value
      - .offset:         88
        .size:           4
        .value_kind:     by_value
      - .offset:         92
        .size:           4
        .value_kind:     by_value
      - .offset:         96
        .size:           4
        .value_kind:     by_value
      - .offset:         100
        .size:           4
        .value_kind:     by_value
      - .offset:         104
        .size:           4
        .value_kind:     by_value
      - .offset:         108
        .size:           4
        .value_kind:     by_value
      - .offset:         112
        .size:           4
        .value_kind:     by_value
      - .offset:         116
        .size:           4
        .value_kind:     by_value
      - .offset:         120
        .size:           4
        .value_kind:     by_value
      - .offset:         124
        .size:           4
        .value_kind:     by_value
      - .offset:         128
        .size:           4
        .value_kind:     by_value
      - .offset:         132
        .size:           4
        .value_kind:     by_value
      - .offset:         136
        .size:           4
        .value_kind:     by_value
      - .offset:         144
        .size:           4
        .value_kind:     hidden_block_count_x
      - .offset:         148
        .size:           4
        .value_kind:     hidden_block_count_y
      - .offset:         152
        .size:           4
        .value_kind:     hidden_block_count_z
      - .offset:         156
        .size:           2
        .value_kind:     hidden_group_size_x
      - .offset:         158
        .size:           2
        .value_kind:     hidden_group_size_y
      - .offset:         160
        .size:           2
        .value_kind:     hidden_group_size_z
      - .offset:         162
        .size:           2
        .value_kind:     hidden_remainder_x
      - .offset:         164
        .size:           2
        .value_kind:     hidden_remainder_y
      - .offset:         166
        .size:           2
        .value_kind:     hidden_remainder_z
      - .offset:         184
        .size:           8
        .value_kind:     hidden_global_offset_x
      - .offset:         192
        .size:           8
        .value_kind:     hidden_global_offset_y
      - .offset:         200
        .size:           8
        .value_kind:     hidden_global_offset_z
      - .offset:         208
        .size:           2
        .value_kind:     hidden_grid_dims
    .group_segment_fixed_size: 16
    .kernarg_segment_align: 8
    .kernarg_segment_size: 400
    .language:       OpenCL C
    .language_version:
      - 2
      - 0
    .max_flat_workgroup_size: 1024
    .name:           _ZN5aiter35fused_qk_rmsnorm_group_quant_kernelIDF16_N4opus5fp4_tELi128ELi8ELi4ELb0ELb1ELb1ELb0ELb0ELb0EEEvPT0_PvPT_S7_S7_PKS6_S9_S9_S9_S9_ffiiiiiiiiiiiii
    .private_segment_fixed_size: 0
    .sgpr_count:     40
    .sgpr_spill_count: 0
    .symbol:         _ZN5aiter35fused_qk_rmsnorm_group_quant_kernelIDF16_N4opus5fp4_tELi128ELi8ELi4ELb0ELb1ELb1ELb0ELb0ELb0EEEvPT0_PvPT_S7_S7_PKS6_S9_S9_S9_S9_ffiiiiiiiiiiiii.kd
    .uniform_work_group_size: 1
    .uses_dynamic_stack: false
    .vgpr_count:     23
    .vgpr_spill_count: 0
    .wavefront_size: 64
  - .agpr_count:     0
    .args:
      - .actual_access:  write_only
        .address_space:  global
        .offset:         0
        .size:           8
        .value_kind:     global_buffer
      - .actual_access:  write_only
        .address_space:  global
        .offset:         8
        .size:           8
        .value_kind:     global_buffer
      - .actual_access:  write_only
        .address_space:  global
        .offset:         16
        .size:           8
        .value_kind:     global_buffer
      - .actual_access:  write_only
        .address_space:  global
        .offset:         24
        .size:           8
        .value_kind:     global_buffer
      - .actual_access:  read_only
        .address_space:  global
        .offset:         32
        .size:           8
        .value_kind:     global_buffer
      - .actual_access:  read_only
        .address_space:  global
        .offset:         40
        .size:           8
        .value_kind:     global_buffer
      - .actual_access:  read_only
        .address_space:  global
        .offset:         48
        .size:           8
        .value_kind:     global_buffer
      - .actual_access:  read_only
        .address_space:  global
        .offset:         56
        .size:           8
        .value_kind:     global_buffer
      - .actual_access:  read_only
        .address_space:  global
        .offset:         64
        .size:           8
        .value_kind:     global_buffer
      - .actual_access:  read_only
        .address_space:  global
        .offset:         72
        .size:           8
        .value_kind:     global_buffer
      - .offset:         80
        .size:           4
        .value_kind:     by_value
      - .offset:         84
        .size:           4
        .value_kind:     by_value
      - .offset:         88
        .size:           4
        .value_kind:     by_value
      - .offset:         92
        .size:           4
        .value_kind:     by_value
      - .offset:         96
        .size:           4
        .value_kind:     by_value
      - .offset:         100
        .size:           4
        .value_kind:     by_value
      - .offset:         104
        .size:           4
        .value_kind:     by_value
      - .offset:         108
        .size:           4
        .value_kind:     by_value
      - .offset:         112
        .size:           4
        .value_kind:     by_value
      - .offset:         116
        .size:           4
        .value_kind:     by_value
      - .offset:         120
        .size:           4
        .value_kind:     by_value
      - .offset:         124
        .size:           4
        .value_kind:     by_value
      - .offset:         128
        .size:           4
        .value_kind:     by_value
      - .offset:         132
        .size:           4
        .value_kind:     by_value
      - .offset:         136
        .size:           4
        .value_kind:     by_value
      - .offset:         144
        .size:           4
        .value_kind:     hidden_block_count_x
      - .offset:         148
        .size:           4
        .value_kind:     hidden_block_count_y
      - .offset:         152
        .size:           4
        .value_kind:     hidden_block_count_z
      - .offset:         156
        .size:           2
        .value_kind:     hidden_group_size_x
      - .offset:         158
        .size:           2
        .value_kind:     hidden_group_size_y
      - .offset:         160
        .size:           2
        .value_kind:     hidden_group_size_z
      - .offset:         162
        .size:           2
        .value_kind:     hidden_remainder_x
      - .offset:         164
        .size:           2
        .value_kind:     hidden_remainder_y
      - .offset:         166
        .size:           2
        .value_kind:     hidden_remainder_z
      - .offset:         184
        .size:           8
        .value_kind:     hidden_global_offset_x
      - .offset:         192
        .size:           8
        .value_kind:     hidden_global_offset_y
      - .offset:         200
        .size:           8
        .value_kind:     hidden_global_offset_z
      - .offset:         208
        .size:           2
        .value_kind:     hidden_grid_dims
    .group_segment_fixed_size: 16
    .kernarg_segment_align: 8
    .kernarg_segment_size: 400
    .language:       OpenCL C
    .language_version:
      - 2
      - 0
    .max_flat_workgroup_size: 1024
    .name:           _ZN5aiter35fused_qk_rmsnorm_group_quant_kernelItN4opus5fp4_tELi128ELi8ELi4ELb0ELb1ELb1ELb0ELb0ELb0EEEvPT0_PvPT_S7_S7_PKS6_S9_S9_S9_S9_ffiiiiiiiiiiiii
    .private_segment_fixed_size: 0
    .sgpr_count:     40
    .sgpr_spill_count: 0
    .symbol:         _ZN5aiter35fused_qk_rmsnorm_group_quant_kernelItN4opus5fp4_tELi128ELi8ELi4ELb0ELb1ELb1ELb0ELb0ELb0EEEvPT0_PvPT_S7_S7_PKS6_S9_S9_S9_S9_ffiiiiiiiiiiiii.kd
    .uniform_work_group_size: 1
    .uses_dynamic_stack: false
    .vgpr_count:     23
    .vgpr_spill_count: 0
    .wavefront_size: 64
  - .agpr_count:     0
    .args:
      - .actual_access:  write_only
        .address_space:  global
        .offset:         0
        .size:           8
        .value_kind:     global_buffer
      - .actual_access:  write_only
        .address_space:  global
        .offset:         8
        .size:           8
        .value_kind:     global_buffer
      - .actual_access:  write_only
        .address_space:  global
        .offset:         16
        .size:           8
        .value_kind:     global_buffer
      - .actual_access:  write_only
        .address_space:  global
        .offset:         24
        .size:           8
        .value_kind:     global_buffer
      - .actual_access:  read_only
        .address_space:  global
        .offset:         32
        .size:           8
        .value_kind:     global_buffer
      - .actual_access:  read_only
        .address_space:  global
        .offset:         40
        .size:           8
        .value_kind:     global_buffer
      - .actual_access:  read_only
        .address_space:  global
        .offset:         48
        .size:           8
        .value_kind:     global_buffer
      - .actual_access:  read_only
        .address_space:  global
        .offset:         56
        .size:           8
        .value_kind:     global_buffer
      - .actual_access:  read_only
        .address_space:  global
        .offset:         64
        .size:           8
        .value_kind:     global_buffer
      - .actual_access:  read_only
        .address_space:  global
        .offset:         72
        .size:           8
        .value_kind:     global_buffer
      - .offset:         80
        .size:           4
        .value_kind:     by_value
      - .offset:         84
        .size:           4
        .value_kind:     by_value
      - .offset:         88
        .size:           4
        .value_kind:     by_value
      - .offset:         92
        .size:           4
        .value_kind:     by_value
      - .offset:         96
        .size:           4
        .value_kind:     by_value
      - .offset:         100
        .size:           4
        .value_kind:     by_value
      - .offset:         104
        .size:           4
        .value_kind:     by_value
      - .offset:         108
        .size:           4
        .value_kind:     by_value
      - .offset:         112
        .size:           4
        .value_kind:     by_value
      - .offset:         116
        .size:           4
        .value_kind:     by_value
      - .offset:         120
        .size:           4
        .value_kind:     by_value
      - .offset:         124
        .size:           4
        .value_kind:     by_value
      - .offset:         128
        .size:           4
        .value_kind:     by_value
      - .offset:         132
        .size:           4
        .value_kind:     by_value
      - .offset:         136
        .size:           4
        .value_kind:     by_value
      - .offset:         144
        .size:           4
        .value_kind:     hidden_block_count_x
      - .offset:         148
        .size:           4
        .value_kind:     hidden_block_count_y
      - .offset:         152
        .size:           4
        .value_kind:     hidden_block_count_z
      - .offset:         156
        .size:           2
        .value_kind:     hidden_group_size_x
      - .offset:         158
        .size:           2
        .value_kind:     hidden_group_size_y
      - .offset:         160
        .size:           2
        .value_kind:     hidden_group_size_z
      - .offset:         162
        .size:           2
        .value_kind:     hidden_remainder_x
      - .offset:         164
        .size:           2
        .value_kind:     hidden_remainder_y
      - .offset:         166
        .size:           2
        .value_kind:     hidden_remainder_z
      - .offset:         184
        .size:           8
        .value_kind:     hidden_global_offset_x
      - .offset:         192
        .size:           8
        .value_kind:     hidden_global_offset_y
      - .offset:         200
        .size:           8
        .value_kind:     hidden_global_offset_z
      - .offset:         208
        .size:           2
        .value_kind:     hidden_grid_dims
    .group_segment_fixed_size: 16
    .kernarg_segment_align: 8
    .kernarg_segment_size: 400
    .language:       OpenCL C
    .language_version:
      - 2
      - 0
    .max_flat_workgroup_size: 1024
    .name:           _ZN5aiter35fused_qk_rmsnorm_group_quant_kernelIDF16_DB8_Li128ELi8ELi4ELb0ELb1ELb0ELb0ELb0ELb0EEEvPT0_PvPT_S6_S6_PKS5_S8_S8_S8_S8_ffiiiiiiiiiiiii
    .private_segment_fixed_size: 0
    .sgpr_count:     40
    .sgpr_spill_count: 0
    .symbol:         _ZN5aiter35fused_qk_rmsnorm_group_quant_kernelIDF16_DB8_Li128ELi8ELi4ELb0ELb1ELb0ELb0ELb0ELb0EEEvPT0_PvPT_S6_S6_PKS5_S8_S8_S8_S8_ffiiiiiiiiiiiii.kd
    .uniform_work_group_size: 1
    .uses_dynamic_stack: false
    .vgpr_count:     23
    .vgpr_spill_count: 0
    .wavefront_size: 64
  - .agpr_count:     0
    .args:
      - .actual_access:  write_only
        .address_space:  global
        .offset:         0
        .size:           8
        .value_kind:     global_buffer
      - .actual_access:  write_only
        .address_space:  global
        .offset:         8
        .size:           8
        .value_kind:     global_buffer
      - .actual_access:  write_only
        .address_space:  global
        .offset:         16
        .size:           8
        .value_kind:     global_buffer
      - .actual_access:  write_only
        .address_space:  global
        .offset:         24
        .size:           8
        .value_kind:     global_buffer
      - .actual_access:  read_only
        .address_space:  global
        .offset:         32
        .size:           8
        .value_kind:     global_buffer
      - .actual_access:  read_only
        .address_space:  global
        .offset:         40
        .size:           8
        .value_kind:     global_buffer
      - .actual_access:  read_only
        .address_space:  global
        .offset:         48
        .size:           8
        .value_kind:     global_buffer
      - .actual_access:  read_only
        .address_space:  global
        .offset:         56
        .size:           8
        .value_kind:     global_buffer
      - .actual_access:  read_only
        .address_space:  global
        .offset:         64
        .size:           8
        .value_kind:     global_buffer
      - .actual_access:  read_only
        .address_space:  global
        .offset:         72
        .size:           8
        .value_kind:     global_buffer
      - .offset:         80
        .size:           4
        .value_kind:     by_value
      - .offset:         84
        .size:           4
        .value_kind:     by_value
      - .offset:         88
        .size:           4
        .value_kind:     by_value
      - .offset:         92
        .size:           4
        .value_kind:     by_value
      - .offset:         96
        .size:           4
        .value_kind:     by_value
      - .offset:         100
        .size:           4
        .value_kind:     by_value
      - .offset:         104
        .size:           4
        .value_kind:     by_value
      - .offset:         108
        .size:           4
        .value_kind:     by_value
      - .offset:         112
        .size:           4
        .value_kind:     by_value
      - .offset:         116
        .size:           4
        .value_kind:     by_value
      - .offset:         120
        .size:           4
        .value_kind:     by_value
      - .offset:         124
        .size:           4
        .value_kind:     by_value
      - .offset:         128
        .size:           4
        .value_kind:     by_value
      - .offset:         132
        .size:           4
        .value_kind:     by_value
      - .offset:         136
        .size:           4
        .value_kind:     by_value
      - .offset:         144
        .size:           4
        .value_kind:     hidden_block_count_x
      - .offset:         148
        .size:           4
        .value_kind:     hidden_block_count_y
      - .offset:         152
        .size:           4
        .value_kind:     hidden_block_count_z
      - .offset:         156
        .size:           2
        .value_kind:     hidden_group_size_x
      - .offset:         158
        .size:           2
        .value_kind:     hidden_group_size_y
      - .offset:         160
        .size:           2
        .value_kind:     hidden_group_size_z
      - .offset:         162
        .size:           2
        .value_kind:     hidden_remainder_x
      - .offset:         164
        .size:           2
        .value_kind:     hidden_remainder_y
      - .offset:         166
        .size:           2
        .value_kind:     hidden_remainder_z
      - .offset:         184
        .size:           8
        .value_kind:     hidden_global_offset_x
      - .offset:         192
        .size:           8
        .value_kind:     hidden_global_offset_y
      - .offset:         200
        .size:           8
        .value_kind:     hidden_global_offset_z
      - .offset:         208
        .size:           2
        .value_kind:     hidden_grid_dims
    .group_segment_fixed_size: 16
    .kernarg_segment_align: 8
    .kernarg_segment_size: 400
    .language:       OpenCL C
    .language_version:
      - 2
      - 0
    .max_flat_workgroup_size: 1024
    .name:           _ZN5aiter35fused_qk_rmsnorm_group_quant_kernelItDB8_Li128ELi8ELi4ELb0ELb1ELb0ELb0ELb0ELb0EEEvPT0_PvPT_S6_S6_PKS5_S8_S8_S8_S8_ffiiiiiiiiiiiii
    .private_segment_fixed_size: 0
    .sgpr_count:     40
    .sgpr_spill_count: 0
    .symbol:         _ZN5aiter35fused_qk_rmsnorm_group_quant_kernelItDB8_Li128ELi8ELi4ELb0ELb1ELb0ELb0ELb0ELb0EEEvPT0_PvPT_S6_S6_PKS5_S8_S8_S8_S8_ffiiiiiiiiiiiii.kd
    .uniform_work_group_size: 1
    .uses_dynamic_stack: false
    .vgpr_count:     23
    .vgpr_spill_count: 0
    .wavefront_size: 64
  - .agpr_count:     0
    .args:
      - .actual_access:  write_only
        .address_space:  global
        .offset:         0
        .size:           8
        .value_kind:     global_buffer
      - .actual_access:  write_only
        .address_space:  global
        .offset:         8
        .size:           8
        .value_kind:     global_buffer
      - .actual_access:  write_only
        .address_space:  global
        .offset:         16
        .size:           8
        .value_kind:     global_buffer
      - .actual_access:  write_only
        .address_space:  global
        .offset:         24
        .size:           8
        .value_kind:     global_buffer
      - .actual_access:  read_only
        .address_space:  global
        .offset:         32
        .size:           8
        .value_kind:     global_buffer
      - .actual_access:  read_only
        .address_space:  global
        .offset:         40
        .size:           8
        .value_kind:     global_buffer
      - .actual_access:  read_only
        .address_space:  global
        .offset:         48
        .size:           8
        .value_kind:     global_buffer
      - .actual_access:  read_only
        .address_space:  global
        .offset:         56
        .size:           8
        .value_kind:     global_buffer
      - .actual_access:  read_only
        .address_space:  global
        .offset:         64
        .size:           8
        .value_kind:     global_buffer
      - .actual_access:  read_only
        .address_space:  global
        .offset:         72
        .size:           8
        .value_kind:     global_buffer
      - .offset:         80
        .size:           4
        .value_kind:     by_value
      - .offset:         84
        .size:           4
        .value_kind:     by_value
      - .offset:         88
        .size:           4
        .value_kind:     by_value
      - .offset:         92
        .size:           4
        .value_kind:     by_value
      - .offset:         96
        .size:           4
        .value_kind:     by_value
      - .offset:         100
        .size:           4
        .value_kind:     by_value
      - .offset:         104
        .size:           4
        .value_kind:     by_value
      - .offset:         108
        .size:           4
        .value_kind:     by_value
      - .offset:         112
        .size:           4
        .value_kind:     by_value
      - .offset:         116
        .size:           4
        .value_kind:     by_value
      - .offset:         120
        .size:           4
        .value_kind:     by_value
      - .offset:         124
        .size:           4
        .value_kind:     by_value
      - .offset:         128
        .size:           4
        .value_kind:     by_value
      - .offset:         132
        .size:           4
        .value_kind:     by_value
      - .offset:         136
        .size:           4
        .value_kind:     by_value
      - .offset:         144
        .size:           4
        .value_kind:     hidden_block_count_x
      - .offset:         148
        .size:           4
        .value_kind:     hidden_block_count_y
      - .offset:         152
        .size:           4
        .value_kind:     hidden_block_count_z
      - .offset:         156
        .size:           2
        .value_kind:     hidden_group_size_x
      - .offset:         158
        .size:           2
        .value_kind:     hidden_group_size_y
      - .offset:         160
        .size:           2
        .value_kind:     hidden_group_size_z
      - .offset:         162
        .size:           2
        .value_kind:     hidden_remainder_x
      - .offset:         164
        .size:           2
        .value_kind:     hidden_remainder_y
      - .offset:         166
        .size:           2
        .value_kind:     hidden_remainder_z
      - .offset:         184
        .size:           8
        .value_kind:     hidden_global_offset_x
      - .offset:         192
        .size:           8
        .value_kind:     hidden_global_offset_y
      - .offset:         200
        .size:           8
        .value_kind:     hidden_global_offset_z
      - .offset:         208
        .size:           2
        .value_kind:     hidden_grid_dims
    .group_segment_fixed_size: 16
    .kernarg_segment_align: 8
    .kernarg_segment_size: 400
    .language:       OpenCL C
    .language_version:
      - 2
      - 0
    .max_flat_workgroup_size: 1024
    .name:           _ZN5aiter35fused_qk_rmsnorm_group_quant_kernelIDF16_N4opus5fp4_tELi128ELi8ELi4ELb0ELb1ELb0ELb0ELb0ELb0EEEvPT0_PvPT_S7_S7_PKS6_S9_S9_S9_S9_ffiiiiiiiiiiiii
    .private_segment_fixed_size: 0
    .sgpr_count:     40
    .sgpr_spill_count: 0
    .symbol:         _ZN5aiter35fused_qk_rmsnorm_group_quant_kernelIDF16_N4opus5fp4_tELi128ELi8ELi4ELb0ELb1ELb0ELb0ELb0ELb0EEEvPT0_PvPT_S7_S7_PKS6_S9_S9_S9_S9_ffiiiiiiiiiiiii.kd
    .uniform_work_group_size: 1
    .uses_dynamic_stack: false
    .vgpr_count:     23
    .vgpr_spill_count: 0
    .wavefront_size: 64
  - .agpr_count:     0
    .args:
      - .actual_access:  write_only
        .address_space:  global
        .offset:         0
        .size:           8
        .value_kind:     global_buffer
      - .actual_access:  write_only
        .address_space:  global
        .offset:         8
        .size:           8
        .value_kind:     global_buffer
      - .actual_access:  write_only
        .address_space:  global
        .offset:         16
        .size:           8
        .value_kind:     global_buffer
      - .actual_access:  write_only
        .address_space:  global
        .offset:         24
        .size:           8
        .value_kind:     global_buffer
      - .actual_access:  read_only
        .address_space:  global
        .offset:         32
        .size:           8
        .value_kind:     global_buffer
      - .actual_access:  read_only
        .address_space:  global
        .offset:         40
        .size:           8
        .value_kind:     global_buffer
      - .actual_access:  read_only
        .address_space:  global
        .offset:         48
        .size:           8
        .value_kind:     global_buffer
      - .actual_access:  read_only
        .address_space:  global
        .offset:         56
        .size:           8
        .value_kind:     global_buffer
      - .actual_access:  read_only
        .address_space:  global
        .offset:         64
        .size:           8
        .value_kind:     global_buffer
      - .actual_access:  read_only
        .address_space:  global
        .offset:         72
        .size:           8
        .value_kind:     global_buffer
      - .offset:         80
        .size:           4
        .value_kind:     by_value
      - .offset:         84
        .size:           4
        .value_kind:     by_value
      - .offset:         88
        .size:           4
        .value_kind:     by_value
      - .offset:         92
        .size:           4
        .value_kind:     by_value
      - .offset:         96
        .size:           4
        .value_kind:     by_value
      - .offset:         100
        .size:           4
        .value_kind:     by_value
      - .offset:         104
        .size:           4
        .value_kind:     by_value
      - .offset:         108
        .size:           4
        .value_kind:     by_value
      - .offset:         112
        .size:           4
        .value_kind:     by_value
      - .offset:         116
        .size:           4
        .value_kind:     by_value
      - .offset:         120
        .size:           4
        .value_kind:     by_value
      - .offset:         124
        .size:           4
        .value_kind:     by_value
      - .offset:         128
        .size:           4
        .value_kind:     by_value
      - .offset:         132
        .size:           4
        .value_kind:     by_value
      - .offset:         136
        .size:           4
        .value_kind:     by_value
      - .offset:         144
        .size:           4
        .value_kind:     hidden_block_count_x
      - .offset:         148
        .size:           4
        .value_kind:     hidden_block_count_y
      - .offset:         152
        .size:           4
        .value_kind:     hidden_block_count_z
      - .offset:         156
        .size:           2
        .value_kind:     hidden_group_size_x
      - .offset:         158
        .size:           2
        .value_kind:     hidden_group_size_y
      - .offset:         160
        .size:           2
        .value_kind:     hidden_group_size_z
      - .offset:         162
        .size:           2
        .value_kind:     hidden_remainder_x
      - .offset:         164
        .size:           2
        .value_kind:     hidden_remainder_y
      - .offset:         166
        .size:           2
        .value_kind:     hidden_remainder_z
      - .offset:         184
        .size:           8
        .value_kind:     hidden_global_offset_x
      - .offset:         192
        .size:           8
        .value_kind:     hidden_global_offset_y
      - .offset:         200
        .size:           8
        .value_kind:     hidden_global_offset_z
      - .offset:         208
        .size:           2
        .value_kind:     hidden_grid_dims
    .group_segment_fixed_size: 16
    .kernarg_segment_align: 8
    .kernarg_segment_size: 400
    .language:       OpenCL C
    .language_version:
      - 2
      - 0
    .max_flat_workgroup_size: 1024
    .name:           _ZN5aiter35fused_qk_rmsnorm_group_quant_kernelItN4opus5fp4_tELi128ELi8ELi4ELb0ELb1ELb0ELb0ELb0ELb0EEEvPT0_PvPT_S7_S7_PKS6_S9_S9_S9_S9_ffiiiiiiiiiiiii
    .private_segment_fixed_size: 0
    .sgpr_count:     40
    .sgpr_spill_count: 0
    .symbol:         _ZN5aiter35fused_qk_rmsnorm_group_quant_kernelItN4opus5fp4_tELi128ELi8ELi4ELb0ELb1ELb0ELb0ELb0ELb0EEEvPT0_PvPT_S7_S7_PKS6_S9_S9_S9_S9_ffiiiiiiiiiiiii.kd
    .uniform_work_group_size: 1
    .uses_dynamic_stack: false
    .vgpr_count:     23
    .vgpr_spill_count: 0
    .wavefront_size: 64
  - .agpr_count:     0
    .args:
      - .actual_access:  write_only
        .address_space:  global
        .offset:         0
        .size:           8
        .value_kind:     global_buffer
      - .actual_access:  write_only
        .address_space:  global
        .offset:         8
        .size:           8
        .value_kind:     global_buffer
      - .actual_access:  read_only
        .address_space:  global
        .offset:         16
        .size:           8
        .value_kind:     global_buffer
      - .actual_access:  write_only
        .address_space:  global
        .offset:         24
        .size:           8
        .value_kind:     global_buffer
      - .actual_access:  read_only
        .address_space:  global
        .offset:         32
        .size:           8
        .value_kind:     global_buffer
      - .actual_access:  read_only
        .address_space:  global
        .offset:         40
        .size:           8
        .value_kind:     global_buffer
      - .actual_access:  read_only
        .address_space:  global
        .offset:         48
        .size:           8
        .value_kind:     global_buffer
      - .actual_access:  read_only
        .address_space:  global
        .offset:         56
        .size:           8
        .value_kind:     global_buffer
      - .actual_access:  read_only
        .address_space:  global
        .offset:         64
        .size:           8
        .value_kind:     global_buffer
      - .actual_access:  read_only
        .address_space:  global
        .offset:         72
        .size:           8
        .value_kind:     global_buffer
      - .offset:         80
        .size:           4
        .value_kind:     by_value
      - .offset:         84
        .size:           4
        .value_kind:     by_value
      - .offset:         88
        .size:           4
        .value_kind:     by_value
      - .offset:         92
        .size:           4
        .value_kind:     by_value
      - .offset:         96
        .size:           4
        .value_kind:     by_value
      - .offset:         100
        .size:           4
        .value_kind:     by_value
      - .offset:         104
        .size:           4
        .value_kind:     by_value
      - .offset:         108
        .size:           4
        .value_kind:     by_value
      - .offset:         112
        .size:           4
        .value_kind:     by_value
      - .offset:         116
        .size:           4
        .value_kind:     by_value
      - .offset:         120
        .size:           4
        .value_kind:     by_value
      - .offset:         124
        .size:           4
        .value_kind:     by_value
      - .offset:         128
        .size:           4
        .value_kind:     by_value
      - .offset:         132
        .size:           4
        .value_kind:     by_value
      - .offset:         136
        .size:           4
        .value_kind:     by_value
      - .offset:         144
        .size:           4
        .value_kind:     hidden_block_count_x
      - .offset:         148
        .size:           4
        .value_kind:     hidden_block_count_y
      - .offset:         152
        .size:           4
        .value_kind:     hidden_block_count_z
      - .offset:         156
        .size:           2
        .value_kind:     hidden_group_size_x
      - .offset:         158
        .size:           2
        .value_kind:     hidden_group_size_y
      - .offset:         160
        .size:           2
        .value_kind:     hidden_group_size_z
      - .offset:         162
        .size:           2
        .value_kind:     hidden_remainder_x
      - .offset:         164
        .size:           2
        .value_kind:     hidden_remainder_y
      - .offset:         166
        .size:           2
        .value_kind:     hidden_remainder_z
      - .offset:         184
        .size:           8
        .value_kind:     hidden_global_offset_x
      - .offset:         192
        .size:           8
        .value_kind:     hidden_global_offset_y
      - .offset:         200
        .size:           8
        .value_kind:     hidden_global_offset_z
      - .offset:         208
        .size:           2
        .value_kind:     hidden_grid_dims
    .group_segment_fixed_size: 16
    .kernarg_segment_align: 8
    .kernarg_segment_size: 400
    .language:       OpenCL C
    .language_version:
      - 2
      - 0
    .max_flat_workgroup_size: 1024
    .name:           _ZN5aiter35fused_qk_rmsnorm_group_quant_kernelIDF16_DB8_Li128ELi8ELi4ELb0ELb0ELb1ELb0ELb0ELb0EEEvPT0_PvPT_S6_S6_PKS5_S8_S8_S8_S8_ffiiiiiiiiiiiii
    .private_segment_fixed_size: 0
    .sgpr_count:     36
    .sgpr_spill_count: 0
    .symbol:         _ZN5aiter35fused_qk_rmsnorm_group_quant_kernelIDF16_DB8_Li128ELi8ELi4ELb0ELb0ELb1ELb0ELb0ELb0EEEvPT0_PvPT_S6_S6_PKS5_S8_S8_S8_S8_ffiiiiiiiiiiiii.kd
    .uniform_work_group_size: 1
    .uses_dynamic_stack: false
    .vgpr_count:     23
    .vgpr_spill_count: 0
    .wavefront_size: 64
  - .agpr_count:     0
    .args:
      - .actual_access:  write_only
        .address_space:  global
        .offset:         0
        .size:           8
        .value_kind:     global_buffer
      - .actual_access:  write_only
        .address_space:  global
        .offset:         8
        .size:           8
        .value_kind:     global_buffer
      - .actual_access:  read_only
        .address_space:  global
        .offset:         16
        .size:           8
        .value_kind:     global_buffer
      - .actual_access:  write_only
        .address_space:  global
        .offset:         24
        .size:           8
        .value_kind:     global_buffer
      - .actual_access:  read_only
        .address_space:  global
        .offset:         32
        .size:           8
        .value_kind:     global_buffer
      - .actual_access:  read_only
        .address_space:  global
        .offset:         40
        .size:           8
        .value_kind:     global_buffer
      - .actual_access:  read_only
        .address_space:  global
        .offset:         48
        .size:           8
        .value_kind:     global_buffer
      - .actual_access:  read_only
        .address_space:  global
        .offset:         56
        .size:           8
        .value_kind:     global_buffer
      - .actual_access:  read_only
        .address_space:  global
        .offset:         64
        .size:           8
        .value_kind:     global_buffer
      - .actual_access:  read_only
        .address_space:  global
        .offset:         72
        .size:           8
        .value_kind:     global_buffer
      - .offset:         80
        .size:           4
        .value_kind:     by_value
      - .offset:         84
        .size:           4
        .value_kind:     by_value
      - .offset:         88
        .size:           4
        .value_kind:     by_value
      - .offset:         92
        .size:           4
        .value_kind:     by_value
      - .offset:         96
        .size:           4
        .value_kind:     by_value
      - .offset:         100
        .size:           4
        .value_kind:     by_value
      - .offset:         104
        .size:           4
        .value_kind:     by_value
      - .offset:         108
        .size:           4
        .value_kind:     by_value
      - .offset:         112
        .size:           4
        .value_kind:     by_value
      - .offset:         116
        .size:           4
        .value_kind:     by_value
      - .offset:         120
        .size:           4
        .value_kind:     by_value
      - .offset:         124
        .size:           4
        .value_kind:     by_value
      - .offset:         128
        .size:           4
        .value_kind:     by_value
      - .offset:         132
        .size:           4
        .value_kind:     by_value
      - .offset:         136
        .size:           4
        .value_kind:     by_value
      - .offset:         144
        .size:           4
        .value_kind:     hidden_block_count_x
      - .offset:         148
        .size:           4
        .value_kind:     hidden_block_count_y
      - .offset:         152
        .size:           4
        .value_kind:     hidden_block_count_z
      - .offset:         156
        .size:           2
        .value_kind:     hidden_group_size_x
      - .offset:         158
        .size:           2
        .value_kind:     hidden_group_size_y
      - .offset:         160
        .size:           2
        .value_kind:     hidden_group_size_z
      - .offset:         162
        .size:           2
        .value_kind:     hidden_remainder_x
      - .offset:         164
        .size:           2
        .value_kind:     hidden_remainder_y
      - .offset:         166
        .size:           2
        .value_kind:     hidden_remainder_z
      - .offset:         184
        .size:           8
        .value_kind:     hidden_global_offset_x
      - .offset:         192
        .size:           8
        .value_kind:     hidden_global_offset_y
      - .offset:         200
        .size:           8
        .value_kind:     hidden_global_offset_z
      - .offset:         208
        .size:           2
        .value_kind:     hidden_grid_dims
    .group_segment_fixed_size: 16
    .kernarg_segment_align: 8
    .kernarg_segment_size: 400
    .language:       OpenCL C
    .language_version:
      - 2
      - 0
    .max_flat_workgroup_size: 1024
    .name:           _ZN5aiter35fused_qk_rmsnorm_group_quant_kernelItDB8_Li128ELi8ELi4ELb0ELb0ELb1ELb0ELb0ELb0EEEvPT0_PvPT_S6_S6_PKS5_S8_S8_S8_S8_ffiiiiiiiiiiiii
    .private_segment_fixed_size: 0
    .sgpr_count:     36
    .sgpr_spill_count: 0
    .symbol:         _ZN5aiter35fused_qk_rmsnorm_group_quant_kernelItDB8_Li128ELi8ELi4ELb0ELb0ELb1ELb0ELb0ELb0EEEvPT0_PvPT_S6_S6_PKS5_S8_S8_S8_S8_ffiiiiiiiiiiiii.kd
    .uniform_work_group_size: 1
    .uses_dynamic_stack: false
    .vgpr_count:     23
    .vgpr_spill_count: 0
    .wavefront_size: 64
  - .agpr_count:     0
    .args:
      - .actual_access:  write_only
        .address_space:  global
        .offset:         0
        .size:           8
        .value_kind:     global_buffer
      - .actual_access:  write_only
        .address_space:  global
        .offset:         8
        .size:           8
        .value_kind:     global_buffer
      - .actual_access:  read_only
        .address_space:  global
        .offset:         16
        .size:           8
        .value_kind:     global_buffer
      - .actual_access:  write_only
        .address_space:  global
        .offset:         24
        .size:           8
        .value_kind:     global_buffer
      - .actual_access:  read_only
        .address_space:  global
        .offset:         32
        .size:           8
        .value_kind:     global_buffer
      - .actual_access:  read_only
        .address_space:  global
        .offset:         40
        .size:           8
        .value_kind:     global_buffer
      - .actual_access:  read_only
        .address_space:  global
        .offset:         48
        .size:           8
        .value_kind:     global_buffer
      - .actual_access:  read_only
        .address_space:  global
        .offset:         56
        .size:           8
        .value_kind:     global_buffer
      - .actual_access:  read_only
        .address_space:  global
        .offset:         64
        .size:           8
        .value_kind:     global_buffer
      - .actual_access:  read_only
        .address_space:  global
        .offset:         72
        .size:           8
        .value_kind:     global_buffer
      - .offset:         80
        .size:           4
        .value_kind:     by_value
      - .offset:         84
        .size:           4
        .value_kind:     by_value
      - .offset:         88
        .size:           4
        .value_kind:     by_value
      - .offset:         92
        .size:           4
        .value_kind:     by_value
      - .offset:         96
        .size:           4
        .value_kind:     by_value
      - .offset:         100
        .size:           4
        .value_kind:     by_value
      - .offset:         104
        .size:           4
        .value_kind:     by_value
      - .offset:         108
        .size:           4
        .value_kind:     by_value
      - .offset:         112
        .size:           4
        .value_kind:     by_value
      - .offset:         116
        .size:           4
        .value_kind:     by_value
      - .offset:         120
        .size:           4
        .value_kind:     by_value
      - .offset:         124
        .size:           4
        .value_kind:     by_value
      - .offset:         128
        .size:           4
        .value_kind:     by_value
      - .offset:         132
        .size:           4
        .value_kind:     by_value
      - .offset:         136
        .size:           4
        .value_kind:     by_value
      - .offset:         144
        .size:           4
        .value_kind:     hidden_block_count_x
      - .offset:         148
        .size:           4
        .value_kind:     hidden_block_count_y
      - .offset:         152
        .size:           4
        .value_kind:     hidden_block_count_z
      - .offset:         156
        .size:           2
        .value_kind:     hidden_group_size_x
      - .offset:         158
        .size:           2
        .value_kind:     hidden_group_size_y
      - .offset:         160
        .size:           2
        .value_kind:     hidden_group_size_z
      - .offset:         162
        .size:           2
        .value_kind:     hidden_remainder_x
      - .offset:         164
        .size:           2
        .value_kind:     hidden_remainder_y
      - .offset:         166
        .size:           2
        .value_kind:     hidden_remainder_z
      - .offset:         184
        .size:           8
        .value_kind:     hidden_global_offset_x
      - .offset:         192
        .size:           8
        .value_kind:     hidden_global_offset_y
      - .offset:         200
        .size:           8
        .value_kind:     hidden_global_offset_z
      - .offset:         208
        .size:           2
        .value_kind:     hidden_grid_dims
    .group_segment_fixed_size: 16
    .kernarg_segment_align: 8
    .kernarg_segment_size: 400
    .language:       OpenCL C
    .language_version:
      - 2
      - 0
    .max_flat_workgroup_size: 1024
    .name:           _ZN5aiter35fused_qk_rmsnorm_group_quant_kernelIDF16_N4opus5fp4_tELi128ELi8ELi4ELb0ELb0ELb1ELb0ELb0ELb0EEEvPT0_PvPT_S7_S7_PKS6_S9_S9_S9_S9_ffiiiiiiiiiiiii
    .private_segment_fixed_size: 0
    .sgpr_count:     36
    .sgpr_spill_count: 0
    .symbol:         _ZN5aiter35fused_qk_rmsnorm_group_quant_kernelIDF16_N4opus5fp4_tELi128ELi8ELi4ELb0ELb0ELb1ELb0ELb0ELb0EEEvPT0_PvPT_S7_S7_PKS6_S9_S9_S9_S9_ffiiiiiiiiiiiii.kd
    .uniform_work_group_size: 1
    .uses_dynamic_stack: false
    .vgpr_count:     23
    .vgpr_spill_count: 0
    .wavefront_size: 64
  - .agpr_count:     0
    .args:
      - .actual_access:  write_only
        .address_space:  global
        .offset:         0
        .size:           8
        .value_kind:     global_buffer
      - .actual_access:  write_only
        .address_space:  global
        .offset:         8
        .size:           8
        .value_kind:     global_buffer
      - .actual_access:  read_only
        .address_space:  global
        .offset:         16
        .size:           8
        .value_kind:     global_buffer
      - .actual_access:  write_only
        .address_space:  global
        .offset:         24
        .size:           8
        .value_kind:     global_buffer
      - .actual_access:  read_only
        .address_space:  global
        .offset:         32
        .size:           8
        .value_kind:     global_buffer
      - .actual_access:  read_only
        .address_space:  global
        .offset:         40
        .size:           8
        .value_kind:     global_buffer
      - .actual_access:  read_only
        .address_space:  global
        .offset:         48
        .size:           8
        .value_kind:     global_buffer
      - .actual_access:  read_only
        .address_space:  global
        .offset:         56
        .size:           8
        .value_kind:     global_buffer
      - .actual_access:  read_only
        .address_space:  global
        .offset:         64
        .size:           8
        .value_kind:     global_buffer
      - .actual_access:  read_only
        .address_space:  global
        .offset:         72
        .size:           8
        .value_kind:     global_buffer
      - .offset:         80
        .size:           4
        .value_kind:     by_value
      - .offset:         84
        .size:           4
        .value_kind:     by_value
      - .offset:         88
        .size:           4
        .value_kind:     by_value
      - .offset:         92
        .size:           4
        .value_kind:     by_value
      - .offset:         96
        .size:           4
        .value_kind:     by_value
      - .offset:         100
        .size:           4
        .value_kind:     by_value
      - .offset:         104
        .size:           4
        .value_kind:     by_value
      - .offset:         108
        .size:           4
        .value_kind:     by_value
      - .offset:         112
        .size:           4
        .value_kind:     by_value
      - .offset:         116
        .size:           4
        .value_kind:     by_value
      - .offset:         120
        .size:           4
        .value_kind:     by_value
      - .offset:         124
        .size:           4
        .value_kind:     by_value
      - .offset:         128
        .size:           4
        .value_kind:     by_value
      - .offset:         132
        .size:           4
        .value_kind:     by_value
      - .offset:         136
        .size:           4
        .value_kind:     by_value
      - .offset:         144
        .size:           4
        .value_kind:     hidden_block_count_x
      - .offset:         148
        .size:           4
        .value_kind:     hidden_block_count_y
      - .offset:         152
        .size:           4
        .value_kind:     hidden_block_count_z
      - .offset:         156
        .size:           2
        .value_kind:     hidden_group_size_x
      - .offset:         158
        .size:           2
        .value_kind:     hidden_group_size_y
      - .offset:         160
        .size:           2
        .value_kind:     hidden_group_size_z
      - .offset:         162
        .size:           2
        .value_kind:     hidden_remainder_x
      - .offset:         164
        .size:           2
        .value_kind:     hidden_remainder_y
      - .offset:         166
        .size:           2
        .value_kind:     hidden_remainder_z
      - .offset:         184
        .size:           8
        .value_kind:     hidden_global_offset_x
      - .offset:         192
        .size:           8
        .value_kind:     hidden_global_offset_y
      - .offset:         200
        .size:           8
        .value_kind:     hidden_global_offset_z
      - .offset:         208
        .size:           2
        .value_kind:     hidden_grid_dims
    .group_segment_fixed_size: 16
    .kernarg_segment_align: 8
    .kernarg_segment_size: 400
    .language:       OpenCL C
    .language_version:
      - 2
      - 0
    .max_flat_workgroup_size: 1024
    .name:           _ZN5aiter35fused_qk_rmsnorm_group_quant_kernelItN4opus5fp4_tELi128ELi8ELi4ELb0ELb0ELb1ELb0ELb0ELb0EEEvPT0_PvPT_S7_S7_PKS6_S9_S9_S9_S9_ffiiiiiiiiiiiii
    .private_segment_fixed_size: 0
    .sgpr_count:     36
    .sgpr_spill_count: 0
    .symbol:         _ZN5aiter35fused_qk_rmsnorm_group_quant_kernelItN4opus5fp4_tELi128ELi8ELi4ELb0ELb0ELb1ELb0ELb0ELb0EEEvPT0_PvPT_S7_S7_PKS6_S9_S9_S9_S9_ffiiiiiiiiiiiii.kd
    .uniform_work_group_size: 1
    .uses_dynamic_stack: false
    .vgpr_count:     23
    .vgpr_spill_count: 0
    .wavefront_size: 64
  - .agpr_count:     0
    .args:
      - .actual_access:  write_only
        .address_space:  global
        .offset:         0
        .size:           8
        .value_kind:     global_buffer
      - .actual_access:  write_only
        .address_space:  global
        .offset:         8
        .size:           8
        .value_kind:     global_buffer
      - .actual_access:  read_only
        .address_space:  global
        .offset:         16
        .size:           8
        .value_kind:     global_buffer
      - .actual_access:  write_only
        .address_space:  global
        .offset:         24
        .size:           8
        .value_kind:     global_buffer
      - .actual_access:  read_only
        .address_space:  global
        .offset:         32
        .size:           8
        .value_kind:     global_buffer
      - .actual_access:  read_only
        .address_space:  global
        .offset:         40
        .size:           8
        .value_kind:     global_buffer
      - .actual_access:  read_only
        .address_space:  global
        .offset:         48
        .size:           8
        .value_kind:     global_buffer
      - .actual_access:  read_only
        .address_space:  global
        .offset:         56
        .size:           8
        .value_kind:     global_buffer
      - .actual_access:  read_only
        .address_space:  global
        .offset:         64
        .size:           8
        .value_kind:     global_buffer
      - .actual_access:  read_only
        .address_space:  global
        .offset:         72
        .size:           8
        .value_kind:     global_buffer
      - .offset:         80
        .size:           4
        .value_kind:     by_value
      - .offset:         84
        .size:           4
        .value_kind:     by_value
      - .offset:         88
        .size:           4
        .value_kind:     by_value
      - .offset:         92
        .size:           4
        .value_kind:     by_value
      - .offset:         96
        .size:           4
        .value_kind:     by_value
      - .offset:         100
        .size:           4
        .value_kind:     by_value
      - .offset:         104
        .size:           4
        .value_kind:     by_value
      - .offset:         108
        .size:           4
        .value_kind:     by_value
      - .offset:         112
        .size:           4
        .value_kind:     by_value
      - .offset:         116
        .size:           4
        .value_kind:     by_value
      - .offset:         120
        .size:           4
        .value_kind:     by_value
      - .offset:         124
        .size:           4
        .value_kind:     by_value
      - .offset:         128
        .size:           4
        .value_kind:     by_value
      - .offset:         132
        .size:           4
        .value_kind:     by_value
      - .offset:         136
        .size:           4
        .value_kind:     by_value
      - .offset:         144
        .size:           4
        .value_kind:     hidden_block_count_x
      - .offset:         148
        .size:           4
        .value_kind:     hidden_block_count_y
      - .offset:         152
        .size:           4
        .value_kind:     hidden_block_count_z
      - .offset:         156
        .size:           2
        .value_kind:     hidden_group_size_x
      - .offset:         158
        .size:           2
        .value_kind:     hidden_group_size_y
      - .offset:         160
        .size:           2
        .value_kind:     hidden_group_size_z
      - .offset:         162
        .size:           2
        .value_kind:     hidden_remainder_x
      - .offset:         164
        .size:           2
        .value_kind:     hidden_remainder_y
      - .offset:         166
        .size:           2
        .value_kind:     hidden_remainder_z
      - .offset:         184
        .size:           8
        .value_kind:     hidden_global_offset_x
      - .offset:         192
        .size:           8
        .value_kind:     hidden_global_offset_y
      - .offset:         200
        .size:           8
        .value_kind:     hidden_global_offset_z
      - .offset:         208
        .size:           2
        .value_kind:     hidden_grid_dims
    .group_segment_fixed_size: 16
    .kernarg_segment_align: 8
    .kernarg_segment_size: 400
    .language:       OpenCL C
    .language_version:
      - 2
      - 0
    .max_flat_workgroup_size: 1024
    .name:           _ZN5aiter35fused_qk_rmsnorm_group_quant_kernelIDF16_DB8_Li128ELi8ELi4ELb0ELb0ELb0ELb0ELb0ELb0EEEvPT0_PvPT_S6_S6_PKS5_S8_S8_S8_S8_ffiiiiiiiiiiiii
    .private_segment_fixed_size: 0
    .sgpr_count:     36
    .sgpr_spill_count: 0
    .symbol:         _ZN5aiter35fused_qk_rmsnorm_group_quant_kernelIDF16_DB8_Li128ELi8ELi4ELb0ELb0ELb0ELb0ELb0ELb0EEEvPT0_PvPT_S6_S6_PKS5_S8_S8_S8_S8_ffiiiiiiiiiiiii.kd
    .uniform_work_group_size: 1
    .uses_dynamic_stack: false
    .vgpr_count:     23
    .vgpr_spill_count: 0
    .wavefront_size: 64
  - .agpr_count:     0
    .args:
      - .actual_access:  write_only
        .address_space:  global
        .offset:         0
        .size:           8
        .value_kind:     global_buffer
      - .actual_access:  write_only
        .address_space:  global
        .offset:         8
        .size:           8
        .value_kind:     global_buffer
      - .actual_access:  read_only
        .address_space:  global
        .offset:         16
        .size:           8
        .value_kind:     global_buffer
      - .actual_access:  write_only
        .address_space:  global
        .offset:         24
        .size:           8
        .value_kind:     global_buffer
      - .actual_access:  read_only
        .address_space:  global
        .offset:         32
        .size:           8
        .value_kind:     global_buffer
      - .actual_access:  read_only
        .address_space:  global
        .offset:         40
        .size:           8
        .value_kind:     global_buffer
      - .actual_access:  read_only
        .address_space:  global
        .offset:         48
        .size:           8
        .value_kind:     global_buffer
      - .actual_access:  read_only
        .address_space:  global
        .offset:         56
        .size:           8
        .value_kind:     global_buffer
      - .actual_access:  read_only
        .address_space:  global
        .offset:         64
        .size:           8
        .value_kind:     global_buffer
      - .actual_access:  read_only
        .address_space:  global
        .offset:         72
        .size:           8
        .value_kind:     global_buffer
      - .offset:         80
        .size:           4
        .value_kind:     by_value
      - .offset:         84
        .size:           4
        .value_kind:     by_value
      - .offset:         88
        .size:           4
        .value_kind:     by_value
      - .offset:         92
        .size:           4
        .value_kind:     by_value
      - .offset:         96
        .size:           4
        .value_kind:     by_value
      - .offset:         100
        .size:           4
        .value_kind:     by_value
      - .offset:         104
        .size:           4
        .value_kind:     by_value
      - .offset:         108
        .size:           4
        .value_kind:     by_value
      - .offset:         112
        .size:           4
        .value_kind:     by_value
      - .offset:         116
        .size:           4
        .value_kind:     by_value
      - .offset:         120
        .size:           4
        .value_kind:     by_value
      - .offset:         124
        .size:           4
        .value_kind:     by_value
      - .offset:         128
        .size:           4
        .value_kind:     by_value
      - .offset:         132
        .size:           4
        .value_kind:     by_value
      - .offset:         136
        .size:           4
        .value_kind:     by_value
      - .offset:         144
        .size:           4
        .value_kind:     hidden_block_count_x
      - .offset:         148
        .size:           4
        .value_kind:     hidden_block_count_y
      - .offset:         152
        .size:           4
        .value_kind:     hidden_block_count_z
      - .offset:         156
        .size:           2
        .value_kind:     hidden_group_size_x
      - .offset:         158
        .size:           2
        .value_kind:     hidden_group_size_y
      - .offset:         160
        .size:           2
        .value_kind:     hidden_group_size_z
      - .offset:         162
        .size:           2
        .value_kind:     hidden_remainder_x
      - .offset:         164
        .size:           2
        .value_kind:     hidden_remainder_y
      - .offset:         166
        .size:           2
        .value_kind:     hidden_remainder_z
      - .offset:         184
        .size:           8
        .value_kind:     hidden_global_offset_x
      - .offset:         192
        .size:           8
        .value_kind:     hidden_global_offset_y
      - .offset:         200
        .size:           8
        .value_kind:     hidden_global_offset_z
      - .offset:         208
        .size:           2
        .value_kind:     hidden_grid_dims
    .group_segment_fixed_size: 16
    .kernarg_segment_align: 8
    .kernarg_segment_size: 400
    .language:       OpenCL C
    .language_version:
      - 2
      - 0
    .max_flat_workgroup_size: 1024
    .name:           _ZN5aiter35fused_qk_rmsnorm_group_quant_kernelItDB8_Li128ELi8ELi4ELb0ELb0ELb0ELb0ELb0ELb0EEEvPT0_PvPT_S6_S6_PKS5_S8_S8_S8_S8_ffiiiiiiiiiiiii
    .private_segment_fixed_size: 0
    .sgpr_count:     36
    .sgpr_spill_count: 0
    .symbol:         _ZN5aiter35fused_qk_rmsnorm_group_quant_kernelItDB8_Li128ELi8ELi4ELb0ELb0ELb0ELb0ELb0ELb0EEEvPT0_PvPT_S6_S6_PKS5_S8_S8_S8_S8_ffiiiiiiiiiiiii.kd
    .uniform_work_group_size: 1
    .uses_dynamic_stack: false
    .vgpr_count:     23
    .vgpr_spill_count: 0
    .wavefront_size: 64
  - .agpr_count:     0
    .args:
      - .actual_access:  write_only
        .address_space:  global
        .offset:         0
        .size:           8
        .value_kind:     global_buffer
      - .actual_access:  write_only
        .address_space:  global
        .offset:         8
        .size:           8
        .value_kind:     global_buffer
      - .actual_access:  read_only
        .address_space:  global
        .offset:         16
        .size:           8
        .value_kind:     global_buffer
      - .actual_access:  write_only
        .address_space:  global
        .offset:         24
        .size:           8
        .value_kind:     global_buffer
      - .actual_access:  read_only
        .address_space:  global
        .offset:         32
        .size:           8
        .value_kind:     global_buffer
      - .actual_access:  read_only
        .address_space:  global
        .offset:         40
        .size:           8
        .value_kind:     global_buffer
      - .actual_access:  read_only
        .address_space:  global
        .offset:         48
        .size:           8
        .value_kind:     global_buffer
      - .actual_access:  read_only
        .address_space:  global
        .offset:         56
        .size:           8
        .value_kind:     global_buffer
      - .actual_access:  read_only
        .address_space:  global
        .offset:         64
        .size:           8
        .value_kind:     global_buffer
      - .actual_access:  read_only
        .address_space:  global
        .offset:         72
        .size:           8
        .value_kind:     global_buffer
      - .offset:         80
        .size:           4
        .value_kind:     by_value
      - .offset:         84
        .size:           4
        .value_kind:     by_value
      - .offset:         88
        .size:           4
        .value_kind:     by_value
      - .offset:         92
        .size:           4
        .value_kind:     by_value
      - .offset:         96
        .size:           4
        .value_kind:     by_value
      - .offset:         100
        .size:           4
        .value_kind:     by_value
      - .offset:         104
        .size:           4
        .value_kind:     by_value
      - .offset:         108
        .size:           4
        .value_kind:     by_value
      - .offset:         112
        .size:           4
        .value_kind:     by_value
      - .offset:         116
        .size:           4
        .value_kind:     by_value
      - .offset:         120
        .size:           4
        .value_kind:     by_value
      - .offset:         124
        .size:           4
        .value_kind:     by_value
      - .offset:         128
        .size:           4
        .value_kind:     by_value
      - .offset:         132
        .size:           4
        .value_kind:     by_value
      - .offset:         136
        .size:           4
        .value_kind:     by_value
      - .offset:         144
        .size:           4
        .value_kind:     hidden_block_count_x
      - .offset:         148
        .size:           4
        .value_kind:     hidden_block_count_y
      - .offset:         152
        .size:           4
        .value_kind:     hidden_block_count_z
      - .offset:         156
        .size:           2
        .value_kind:     hidden_group_size_x
      - .offset:         158
        .size:           2
        .value_kind:     hidden_group_size_y
      - .offset:         160
        .size:           2
        .value_kind:     hidden_group_size_z
      - .offset:         162
        .size:           2
        .value_kind:     hidden_remainder_x
      - .offset:         164
        .size:           2
        .value_kind:     hidden_remainder_y
      - .offset:         166
        .size:           2
        .value_kind:     hidden_remainder_z
      - .offset:         184
        .size:           8
        .value_kind:     hidden_global_offset_x
      - .offset:         192
        .size:           8
        .value_kind:     hidden_global_offset_y
      - .offset:         200
        .size:           8
        .value_kind:     hidden_global_offset_z
      - .offset:         208
        .size:           2
        .value_kind:     hidden_grid_dims
    .group_segment_fixed_size: 16
    .kernarg_segment_align: 8
    .kernarg_segment_size: 400
    .language:       OpenCL C
    .language_version:
      - 2
      - 0
    .max_flat_workgroup_size: 1024
    .name:           _ZN5aiter35fused_qk_rmsnorm_group_quant_kernelIDF16_N4opus5fp4_tELi128ELi8ELi4ELb0ELb0ELb0ELb0ELb0ELb0EEEvPT0_PvPT_S7_S7_PKS6_S9_S9_S9_S9_ffiiiiiiiiiiiii
    .private_segment_fixed_size: 0
    .sgpr_count:     36
    .sgpr_spill_count: 0
    .symbol:         _ZN5aiter35fused_qk_rmsnorm_group_quant_kernelIDF16_N4opus5fp4_tELi128ELi8ELi4ELb0ELb0ELb0ELb0ELb0ELb0EEEvPT0_PvPT_S7_S7_PKS6_S9_S9_S9_S9_ffiiiiiiiiiiiii.kd
    .uniform_work_group_size: 1
    .uses_dynamic_stack: false
    .vgpr_count:     23
    .vgpr_spill_count: 0
    .wavefront_size: 64
  - .agpr_count:     0
    .args:
      - .actual_access:  write_only
        .address_space:  global
        .offset:         0
        .size:           8
        .value_kind:     global_buffer
      - .actual_access:  write_only
        .address_space:  global
        .offset:         8
        .size:           8
        .value_kind:     global_buffer
      - .actual_access:  read_only
        .address_space:  global
        .offset:         16
        .size:           8
        .value_kind:     global_buffer
      - .actual_access:  write_only
        .address_space:  global
        .offset:         24
        .size:           8
        .value_kind:     global_buffer
      - .actual_access:  read_only
        .address_space:  global
        .offset:         32
        .size:           8
        .value_kind:     global_buffer
      - .actual_access:  read_only
        .address_space:  global
        .offset:         40
        .size:           8
        .value_kind:     global_buffer
      - .actual_access:  read_only
        .address_space:  global
        .offset:         48
        .size:           8
        .value_kind:     global_buffer
      - .actual_access:  read_only
        .address_space:  global
        .offset:         56
        .size:           8
        .value_kind:     global_buffer
      - .actual_access:  read_only
        .address_space:  global
        .offset:         64
        .size:           8
        .value_kind:     global_buffer
      - .actual_access:  read_only
        .address_space:  global
        .offset:         72
        .size:           8
        .value_kind:     global_buffer
      - .offset:         80
        .size:           4
        .value_kind:     by_value
      - .offset:         84
        .size:           4
        .value_kind:     by_value
      - .offset:         88
        .size:           4
        .value_kind:     by_value
      - .offset:         92
        .size:           4
        .value_kind:     by_value
      - .offset:         96
        .size:           4
        .value_kind:     by_value
      - .offset:         100
        .size:           4
        .value_kind:     by_value
      - .offset:         104
        .size:           4
        .value_kind:     by_value
      - .offset:         108
        .size:           4
        .value_kind:     by_value
      - .offset:         112
        .size:           4
        .value_kind:     by_value
      - .offset:         116
        .size:           4
        .value_kind:     by_value
      - .offset:         120
        .size:           4
        .value_kind:     by_value
      - .offset:         124
        .size:           4
        .value_kind:     by_value
      - .offset:         128
        .size:           4
        .value_kind:     by_value
      - .offset:         132
        .size:           4
        .value_kind:     by_value
      - .offset:         136
        .size:           4
        .value_kind:     by_value
      - .offset:         144
        .size:           4
        .value_kind:     hidden_block_count_x
      - .offset:         148
        .size:           4
        .value_kind:     hidden_block_count_y
      - .offset:         152
        .size:           4
        .value_kind:     hidden_block_count_z
      - .offset:         156
        .size:           2
        .value_kind:     hidden_group_size_x
      - .offset:         158
        .size:           2
        .value_kind:     hidden_group_size_y
      - .offset:         160
        .size:           2
        .value_kind:     hidden_group_size_z
      - .offset:         162
        .size:           2
        .value_kind:     hidden_remainder_x
      - .offset:         164
        .size:           2
        .value_kind:     hidden_remainder_y
      - .offset:         166
        .size:           2
        .value_kind:     hidden_remainder_z
      - .offset:         184
        .size:           8
        .value_kind:     hidden_global_offset_x
      - .offset:         192
        .size:           8
        .value_kind:     hidden_global_offset_y
      - .offset:         200
        .size:           8
        .value_kind:     hidden_global_offset_z
      - .offset:         208
        .size:           2
        .value_kind:     hidden_grid_dims
    .group_segment_fixed_size: 16
    .kernarg_segment_align: 8
    .kernarg_segment_size: 400
    .language:       OpenCL C
    .language_version:
      - 2
      - 0
    .max_flat_workgroup_size: 1024
    .name:           _ZN5aiter35fused_qk_rmsnorm_group_quant_kernelItN4opus5fp4_tELi128ELi8ELi4ELb0ELb0ELb0ELb0ELb0ELb0EEEvPT0_PvPT_S7_S7_PKS6_S9_S9_S9_S9_ffiiiiiiiiiiiii
    .private_segment_fixed_size: 0
    .sgpr_count:     36
    .sgpr_spill_count: 0
    .symbol:         _ZN5aiter35fused_qk_rmsnorm_group_quant_kernelItN4opus5fp4_tELi128ELi8ELi4ELb0ELb0ELb0ELb0ELb0ELb0EEEvPT0_PvPT_S7_S7_PKS6_S9_S9_S9_S9_ffiiiiiiiiiiiii.kd
    .uniform_work_group_size: 1
    .uses_dynamic_stack: false
    .vgpr_count:     23
    .vgpr_spill_count: 0
    .wavefront_size: 64
  - .agpr_count:     0
    .args:
      - .actual_access:  read_only
        .address_space:  global
        .offset:         0
        .size:           8
        .value_kind:     global_buffer
      - .actual_access:  read_only
        .address_space:  global
        .offset:         8
        .size:           8
        .value_kind:     global_buffer
      - .actual_access:  write_only
        .address_space:  global
        .offset:         16
        .size:           8
        .value_kind:     global_buffer
      - .actual_access:  write_only
        .address_space:  global
        .offset:         24
        .size:           8
        .value_kind:     global_buffer
      - .actual_access:  write_only
        .address_space:  global
        .offset:         32
        .size:           8
        .value_kind:     global_buffer
      - .actual_access:  read_only
        .address_space:  global
        .offset:         40
        .size:           8
        .value_kind:     global_buffer
      - .actual_access:  read_only
        .address_space:  global
        .offset:         48
        .size:           8
        .value_kind:     global_buffer
      - .actual_access:  read_only
        .address_space:  global
        .offset:         56
        .size:           8
        .value_kind:     global_buffer
      - .actual_access:  read_only
        .address_space:  global
        .offset:         64
        .size:           8
        .value_kind:     global_buffer
      - .actual_access:  read_only
        .address_space:  global
        .offset:         72
        .size:           8
        .value_kind:     global_buffer
      - .offset:         80
        .size:           4
        .value_kind:     by_value
      - .offset:         84
        .size:           4
        .value_kind:     by_value
      - .offset:         88
        .size:           4
        .value_kind:     by_value
      - .offset:         92
        .size:           4
        .value_kind:     by_value
      - .offset:         96
        .size:           4
        .value_kind:     by_value
      - .offset:         100
        .size:           4
        .value_kind:     by_value
      - .offset:         104
        .size:           4
        .value_kind:     by_value
      - .offset:         108
        .size:           4
        .value_kind:     by_value
      - .offset:         112
        .size:           4
        .value_kind:     by_value
      - .offset:         116
        .size:           4
        .value_kind:     by_value
      - .offset:         120
        .size:           4
        .value_kind:     by_value
      - .offset:         124
        .size:           4
        .value_kind:     by_value
      - .offset:         128
        .size:           4
        .value_kind:     by_value
      - .offset:         132
        .size:           4
        .value_kind:     by_value
      - .offset:         136
        .size:           4
        .value_kind:     by_value
      - .offset:         144
        .size:           4
        .value_kind:     hidden_block_count_x
      - .offset:         148
        .size:           4
        .value_kind:     hidden_block_count_y
      - .offset:         152
        .size:           4
        .value_kind:     hidden_block_count_z
      - .offset:         156
        .size:           2
        .value_kind:     hidden_group_size_x
      - .offset:         158
        .size:           2
        .value_kind:     hidden_group_size_y
      - .offset:         160
        .size:           2
        .value_kind:     hidden_group_size_z
      - .offset:         162
        .size:           2
        .value_kind:     hidden_remainder_x
      - .offset:         164
        .size:           2
        .value_kind:     hidden_remainder_y
      - .offset:         166
        .size:           2
        .value_kind:     hidden_remainder_z
      - .offset:         184
        .size:           8
        .value_kind:     hidden_global_offset_x
      - .offset:         192
        .size:           8
        .value_kind:     hidden_global_offset_y
      - .offset:         200
        .size:           8
        .value_kind:     hidden_global_offset_z
      - .offset:         208
        .size:           2
        .value_kind:     hidden_grid_dims
    .group_segment_fixed_size: 32
    .kernarg_segment_align: 8
    .kernarg_segment_size: 400
    .language:       OpenCL C
    .language_version:
      - 2
      - 0
    .max_flat_workgroup_size: 1024
    .name:           _ZN5aiter35fused_qk_rmsnorm_group_quant_kernelIDF16_DB8_Li256ELi8ELi16ELb1ELb1ELb1ELb1ELb0ELb0EEEvPT0_PvPT_S6_S6_PKS5_S8_S8_S8_S8_ffiiiiiiiiiiiii
    .private_segment_fixed_size: 0
    .sgpr_count:     36
    .sgpr_spill_count: 0
    .symbol:         _ZN5aiter35fused_qk_rmsnorm_group_quant_kernelIDF16_DB8_Li256ELi8ELi16ELb1ELb1ELb1ELb1ELb0ELb0EEEvPT0_PvPT_S6_S6_PKS5_S8_S8_S8_S8_ffiiiiiiiiiiiii.kd
    .uniform_work_group_size: 1
    .uses_dynamic_stack: false
    .vgpr_count:     25
    .vgpr_spill_count: 0
    .wavefront_size: 64
  - .agpr_count:     0
    .args:
      - .actual_access:  read_only
        .address_space:  global
        .offset:         0
        .size:           8
        .value_kind:     global_buffer
      - .actual_access:  read_only
        .address_space:  global
        .offset:         8
        .size:           8
        .value_kind:     global_buffer
      - .actual_access:  write_only
        .address_space:  global
        .offset:         16
        .size:           8
        .value_kind:     global_buffer
      - .actual_access:  write_only
        .address_space:  global
        .offset:         24
        .size:           8
        .value_kind:     global_buffer
      - .actual_access:  write_only
        .address_space:  global
        .offset:         32
        .size:           8
        .value_kind:     global_buffer
      - .actual_access:  read_only
        .address_space:  global
        .offset:         40
        .size:           8
        .value_kind:     global_buffer
      - .actual_access:  read_only
        .address_space:  global
        .offset:         48
        .size:           8
        .value_kind:     global_buffer
      - .actual_access:  read_only
        .address_space:  global
        .offset:         56
        .size:           8
        .value_kind:     global_buffer
      - .actual_access:  read_only
        .address_space:  global
        .offset:         64
        .size:           8
        .value_kind:     global_buffer
      - .actual_access:  read_only
        .address_space:  global
        .offset:         72
        .size:           8
        .value_kind:     global_buffer
      - .offset:         80
        .size:           4
        .value_kind:     by_value
      - .offset:         84
        .size:           4
        .value_kind:     by_value
      - .offset:         88
        .size:           4
        .value_kind:     by_value
      - .offset:         92
        .size:           4
        .value_kind:     by_value
      - .offset:         96
        .size:           4
        .value_kind:     by_value
      - .offset:         100
        .size:           4
        .value_kind:     by_value
      - .offset:         104
        .size:           4
        .value_kind:     by_value
      - .offset:         108
        .size:           4
        .value_kind:     by_value
      - .offset:         112
        .size:           4
        .value_kind:     by_value
      - .offset:         116
        .size:           4
        .value_kind:     by_value
      - .offset:         120
        .size:           4
        .value_kind:     by_value
      - .offset:         124
        .size:           4
        .value_kind:     by_value
      - .offset:         128
        .size:           4
        .value_kind:     by_value
      - .offset:         132
        .size:           4
        .value_kind:     by_value
      - .offset:         136
        .size:           4
        .value_kind:     by_value
      - .offset:         144
        .size:           4
        .value_kind:     hidden_block_count_x
      - .offset:         148
        .size:           4
        .value_kind:     hidden_block_count_y
      - .offset:         152
        .size:           4
        .value_kind:     hidden_block_count_z
      - .offset:         156
        .size:           2
        .value_kind:     hidden_group_size_x
      - .offset:         158
        .size:           2
        .value_kind:     hidden_group_size_y
      - .offset:         160
        .size:           2
        .value_kind:     hidden_group_size_z
      - .offset:         162
        .size:           2
        .value_kind:     hidden_remainder_x
      - .offset:         164
        .size:           2
        .value_kind:     hidden_remainder_y
      - .offset:         166
        .size:           2
        .value_kind:     hidden_remainder_z
      - .offset:         184
        .size:           8
        .value_kind:     hidden_global_offset_x
      - .offset:         192
        .size:           8
        .value_kind:     hidden_global_offset_y
      - .offset:         200
        .size:           8
        .value_kind:     hidden_global_offset_z
      - .offset:         208
        .size:           2
        .value_kind:     hidden_grid_dims
    .group_segment_fixed_size: 32
    .kernarg_segment_align: 8
    .kernarg_segment_size: 400
    .language:       OpenCL C
    .language_version:
      - 2
      - 0
    .max_flat_workgroup_size: 1024
    .name:           _ZN5aiter35fused_qk_rmsnorm_group_quant_kernelItDB8_Li256ELi8ELi16ELb1ELb1ELb1ELb1ELb0ELb0EEEvPT0_PvPT_S6_S6_PKS5_S8_S8_S8_S8_ffiiiiiiiiiiiii
    .private_segment_fixed_size: 0
    .sgpr_count:     48
    .sgpr_spill_count: 0
    .symbol:         _ZN5aiter35fused_qk_rmsnorm_group_quant_kernelItDB8_Li256ELi8ELi16ELb1ELb1ELb1ELb1ELb0ELb0EEEvPT0_PvPT_S6_S6_PKS5_S8_S8_S8_S8_ffiiiiiiiiiiiii.kd
    .uniform_work_group_size: 1
    .uses_dynamic_stack: false
    .vgpr_count:     27
    .vgpr_spill_count: 0
    .wavefront_size: 64
  - .agpr_count:     0
    .args:
      - .actual_access:  read_only
        .address_space:  global
        .offset:         0
        .size:           8
        .value_kind:     global_buffer
      - .actual_access:  read_only
        .address_space:  global
        .offset:         8
        .size:           8
        .value_kind:     global_buffer
      - .actual_access:  write_only
        .address_space:  global
        .offset:         16
        .size:           8
        .value_kind:     global_buffer
      - .actual_access:  write_only
        .address_space:  global
        .offset:         24
        .size:           8
        .value_kind:     global_buffer
      - .actual_access:  write_only
        .address_space:  global
        .offset:         32
        .size:           8
        .value_kind:     global_buffer
      - .actual_access:  read_only
        .address_space:  global
        .offset:         40
        .size:           8
        .value_kind:     global_buffer
      - .actual_access:  read_only
        .address_space:  global
        .offset:         48
        .size:           8
        .value_kind:     global_buffer
      - .actual_access:  read_only
        .address_space:  global
        .offset:         56
        .size:           8
        .value_kind:     global_buffer
      - .actual_access:  read_only
        .address_space:  global
        .offset:         64
        .size:           8
        .value_kind:     global_buffer
      - .actual_access:  read_only
        .address_space:  global
        .offset:         72
        .size:           8
        .value_kind:     global_buffer
      - .offset:         80
        .size:           4
        .value_kind:     by_value
      - .offset:         84
        .size:           4
        .value_kind:     by_value
      - .offset:         88
        .size:           4
        .value_kind:     by_value
      - .offset:         92
        .size:           4
        .value_kind:     by_value
      - .offset:         96
        .size:           4
        .value_kind:     by_value
      - .offset:         100
        .size:           4
        .value_kind:     by_value
      - .offset:         104
        .size:           4
        .value_kind:     by_value
      - .offset:         108
        .size:           4
        .value_kind:     by_value
      - .offset:         112
        .size:           4
        .value_kind:     by_value
      - .offset:         116
        .size:           4
        .value_kind:     by_value
      - .offset:         120
        .size:           4
        .value_kind:     by_value
      - .offset:         124
        .size:           4
        .value_kind:     by_value
      - .offset:         128
        .size:           4
        .value_kind:     by_value
      - .offset:         132
        .size:           4
        .value_kind:     by_value
      - .offset:         136
        .size:           4
        .value_kind:     by_value
      - .offset:         144
        .size:           4
        .value_kind:     hidden_block_count_x
      - .offset:         148
        .size:           4
        .value_kind:     hidden_block_count_y
      - .offset:         152
        .size:           4
        .value_kind:     hidden_block_count_z
      - .offset:         156
        .size:           2
        .value_kind:     hidden_group_size_x
      - .offset:         158
        .size:           2
        .value_kind:     hidden_group_size_y
      - .offset:         160
        .size:           2
        .value_kind:     hidden_group_size_z
      - .offset:         162
        .size:           2
        .value_kind:     hidden_remainder_x
      - .offset:         164
        .size:           2
        .value_kind:     hidden_remainder_y
      - .offset:         166
        .size:           2
        .value_kind:     hidden_remainder_z
      - .offset:         184
        .size:           8
        .value_kind:     hidden_global_offset_x
      - .offset:         192
        .size:           8
        .value_kind:     hidden_global_offset_y
      - .offset:         200
        .size:           8
        .value_kind:     hidden_global_offset_z
      - .offset:         208
        .size:           2
        .value_kind:     hidden_grid_dims
    .group_segment_fixed_size: 32
    .kernarg_segment_align: 8
    .kernarg_segment_size: 400
    .language:       OpenCL C
    .language_version:
      - 2
      - 0
    .max_flat_workgroup_size: 1024
    .name:           _ZN5aiter35fused_qk_rmsnorm_group_quant_kernelIDF16_N4opus5fp4_tELi256ELi8ELi16ELb1ELb1ELb1ELb1ELb0ELb0EEEvPT0_PvPT_S7_S7_PKS6_S9_S9_S9_S9_ffiiiiiiiiiiiii
    .private_segment_fixed_size: 0
    .sgpr_count:     36
    .sgpr_spill_count: 0
    .symbol:         _ZN5aiter35fused_qk_rmsnorm_group_quant_kernelIDF16_N4opus5fp4_tELi256ELi8ELi16ELb1ELb1ELb1ELb1ELb0ELb0EEEvPT0_PvPT_S7_S7_PKS6_S9_S9_S9_S9_ffiiiiiiiiiiiii.kd
    .uniform_work_group_size: 1
    .uses_dynamic_stack: false
    .vgpr_count:     25
    .vgpr_spill_count: 0
    .wavefront_size: 64
  - .agpr_count:     0
    .args:
      - .actual_access:  read_only
        .address_space:  global
        .offset:         0
        .size:           8
        .value_kind:     global_buffer
      - .actual_access:  read_only
        .address_space:  global
        .offset:         8
        .size:           8
        .value_kind:     global_buffer
      - .actual_access:  write_only
        .address_space:  global
        .offset:         16
        .size:           8
        .value_kind:     global_buffer
      - .actual_access:  write_only
        .address_space:  global
        .offset:         24
        .size:           8
        .value_kind:     global_buffer
      - .actual_access:  write_only
        .address_space:  global
        .offset:         32
        .size:           8
        .value_kind:     global_buffer
      - .actual_access:  read_only
        .address_space:  global
        .offset:         40
        .size:           8
        .value_kind:     global_buffer
      - .actual_access:  read_only
        .address_space:  global
        .offset:         48
        .size:           8
        .value_kind:     global_buffer
      - .actual_access:  read_only
        .address_space:  global
        .offset:         56
        .size:           8
        .value_kind:     global_buffer
      - .actual_access:  read_only
        .address_space:  global
        .offset:         64
        .size:           8
        .value_kind:     global_buffer
      - .actual_access:  read_only
        .address_space:  global
        .offset:         72
        .size:           8
        .value_kind:     global_buffer
      - .offset:         80
        .size:           4
        .value_kind:     by_value
      - .offset:         84
        .size:           4
        .value_kind:     by_value
      - .offset:         88
        .size:           4
        .value_kind:     by_value
      - .offset:         92
        .size:           4
        .value_kind:     by_value
      - .offset:         96
        .size:           4
        .value_kind:     by_value
      - .offset:         100
        .size:           4
        .value_kind:     by_value
      - .offset:         104
        .size:           4
        .value_kind:     by_value
      - .offset:         108
        .size:           4
        .value_kind:     by_value
      - .offset:         112
        .size:           4
        .value_kind:     by_value
      - .offset:         116
        .size:           4
        .value_kind:     by_value
      - .offset:         120
        .size:           4
        .value_kind:     by_value
      - .offset:         124
        .size:           4
        .value_kind:     by_value
      - .offset:         128
        .size:           4
        .value_kind:     by_value
      - .offset:         132
        .size:           4
        .value_kind:     by_value
      - .offset:         136
        .size:           4
        .value_kind:     by_value
      - .offset:         144
        .size:           4
        .value_kind:     hidden_block_count_x
      - .offset:         148
        .size:           4
        .value_kind:     hidden_block_count_y
      - .offset:         152
        .size:           4
        .value_kind:     hidden_block_count_z
      - .offset:         156
        .size:           2
        .value_kind:     hidden_group_size_x
      - .offset:         158
        .size:           2
        .value_kind:     hidden_group_size_y
      - .offset:         160
        .size:           2
        .value_kind:     hidden_group_size_z
      - .offset:         162
        .size:           2
        .value_kind:     hidden_remainder_x
      - .offset:         164
        .size:           2
        .value_kind:     hidden_remainder_y
      - .offset:         166
        .size:           2
        .value_kind:     hidden_remainder_z
      - .offset:         184
        .size:           8
        .value_kind:     hidden_global_offset_x
      - .offset:         192
        .size:           8
        .value_kind:     hidden_global_offset_y
      - .offset:         200
        .size:           8
        .value_kind:     hidden_global_offset_z
      - .offset:         208
        .size:           2
        .value_kind:     hidden_grid_dims
    .group_segment_fixed_size: 32
    .kernarg_segment_align: 8
    .kernarg_segment_size: 400
    .language:       OpenCL C
    .language_version:
      - 2
      - 0
    .max_flat_workgroup_size: 1024
    .name:           _ZN5aiter35fused_qk_rmsnorm_group_quant_kernelItN4opus5fp4_tELi256ELi8ELi16ELb1ELb1ELb1ELb1ELb0ELb0EEEvPT0_PvPT_S7_S7_PKS6_S9_S9_S9_S9_ffiiiiiiiiiiiii
    .private_segment_fixed_size: 0
    .sgpr_count:     48
    .sgpr_spill_count: 0
    .symbol:         _ZN5aiter35fused_qk_rmsnorm_group_quant_kernelItN4opus5fp4_tELi256ELi8ELi16ELb1ELb1ELb1ELb1ELb0ELb0EEEvPT0_PvPT_S7_S7_PKS6_S9_S9_S9_S9_ffiiiiiiiiiiiii.kd
    .uniform_work_group_size: 1
    .uses_dynamic_stack: false
    .vgpr_count:     27
    .vgpr_spill_count: 0
    .wavefront_size: 64
  - .agpr_count:     0
    .args:
      - .actual_access:  read_only
        .address_space:  global
        .offset:         0
        .size:           8
        .value_kind:     global_buffer
      - .actual_access:  read_only
        .address_space:  global
        .offset:         8
        .size:           8
        .value_kind:     global_buffer
      - .actual_access:  write_only
        .address_space:  global
        .offset:         16
        .size:           8
        .value_kind:     global_buffer
      - .actual_access:  write_only
        .address_space:  global
        .offset:         24
        .size:           8
        .value_kind:     global_buffer
      - .actual_access:  write_only
        .address_space:  global
        .offset:         32
        .size:           8
        .value_kind:     global_buffer
      - .actual_access:  read_only
        .address_space:  global
        .offset:         40
        .size:           8
        .value_kind:     global_buffer
      - .actual_access:  read_only
        .address_space:  global
        .offset:         48
        .size:           8
        .value_kind:     global_buffer
      - .actual_access:  read_only
        .address_space:  global
        .offset:         56
        .size:           8
        .value_kind:     global_buffer
      - .actual_access:  read_only
        .address_space:  global
        .offset:         64
        .size:           8
        .value_kind:     global_buffer
      - .actual_access:  read_only
        .address_space:  global
        .offset:         72
        .size:           8
        .value_kind:     global_buffer
      - .offset:         80
        .size:           4
        .value_kind:     by_value
      - .offset:         84
        .size:           4
        .value_kind:     by_value
      - .offset:         88
        .size:           4
        .value_kind:     by_value
      - .offset:         92
        .size:           4
        .value_kind:     by_value
      - .offset:         96
        .size:           4
        .value_kind:     by_value
      - .offset:         100
        .size:           4
        .value_kind:     by_value
      - .offset:         104
        .size:           4
        .value_kind:     by_value
      - .offset:         108
        .size:           4
        .value_kind:     by_value
      - .offset:         112
        .size:           4
        .value_kind:     by_value
      - .offset:         116
        .size:           4
        .value_kind:     by_value
      - .offset:         120
        .size:           4
        .value_kind:     by_value
      - .offset:         124
        .size:           4
        .value_kind:     by_value
      - .offset:         128
        .size:           4
        .value_kind:     by_value
      - .offset:         132
        .size:           4
        .value_kind:     by_value
      - .offset:         136
        .size:           4
        .value_kind:     by_value
      - .offset:         144
        .size:           4
        .value_kind:     hidden_block_count_x
      - .offset:         148
        .size:           4
        .value_kind:     hidden_block_count_y
      - .offset:         152
        .size:           4
        .value_kind:     hidden_block_count_z
      - .offset:         156
        .size:           2
        .value_kind:     hidden_group_size_x
      - .offset:         158
        .size:           2
        .value_kind:     hidden_group_size_y
      - .offset:         160
        .size:           2
        .value_kind:     hidden_group_size_z
      - .offset:         162
        .size:           2
        .value_kind:     hidden_remainder_x
      - .offset:         164
        .size:           2
        .value_kind:     hidden_remainder_y
      - .offset:         166
        .size:           2
        .value_kind:     hidden_remainder_z
      - .offset:         184
        .size:           8
        .value_kind:     hidden_global_offset_x
      - .offset:         192
        .size:           8
        .value_kind:     hidden_global_offset_y
      - .offset:         200
        .size:           8
        .value_kind:     hidden_global_offset_z
      - .offset:         208
        .size:           2
        .value_kind:     hidden_grid_dims
    .group_segment_fixed_size: 32
    .kernarg_segment_align: 8
    .kernarg_segment_size: 400
    .language:       OpenCL C
    .language_version:
      - 2
      - 0
    .max_flat_workgroup_size: 1024
    .name:           _ZN5aiter35fused_qk_rmsnorm_group_quant_kernelIDF16_DB8_Li256ELi8ELi16ELb1ELb1ELb0ELb1ELb0ELb0EEEvPT0_PvPT_S6_S6_PKS5_S8_S8_S8_S8_ffiiiiiiiiiiiii
    .private_segment_fixed_size: 0
    .sgpr_count:     36
    .sgpr_spill_count: 0
    .symbol:         _ZN5aiter35fused_qk_rmsnorm_group_quant_kernelIDF16_DB8_Li256ELi8ELi16ELb1ELb1ELb0ELb1ELb0ELb0EEEvPT0_PvPT_S6_S6_PKS5_S8_S8_S8_S8_ffiiiiiiiiiiiii.kd
    .uniform_work_group_size: 1
    .uses_dynamic_stack: false
    .vgpr_count:     27
    .vgpr_spill_count: 0
    .wavefront_size: 64
  - .agpr_count:     0
    .args:
      - .actual_access:  read_only
        .address_space:  global
        .offset:         0
        .size:           8
        .value_kind:     global_buffer
      - .actual_access:  read_only
        .address_space:  global
        .offset:         8
        .size:           8
        .value_kind:     global_buffer
      - .actual_access:  write_only
        .address_space:  global
        .offset:         16
        .size:           8
        .value_kind:     global_buffer
      - .actual_access:  write_only
        .address_space:  global
        .offset:         24
        .size:           8
        .value_kind:     global_buffer
      - .actual_access:  write_only
        .address_space:  global
        .offset:         32
        .size:           8
        .value_kind:     global_buffer
      - .actual_access:  read_only
        .address_space:  global
        .offset:         40
        .size:           8
        .value_kind:     global_buffer
      - .actual_access:  read_only
        .address_space:  global
        .offset:         48
        .size:           8
        .value_kind:     global_buffer
      - .actual_access:  read_only
        .address_space:  global
        .offset:         56
        .size:           8
        .value_kind:     global_buffer
      - .actual_access:  read_only
        .address_space:  global
        .offset:         64
        .size:           8
        .value_kind:     global_buffer
      - .actual_access:  read_only
        .address_space:  global
        .offset:         72
        .size:           8
        .value_kind:     global_buffer
      - .offset:         80
        .size:           4
        .value_kind:     by_value
      - .offset:         84
        .size:           4
        .value_kind:     by_value
      - .offset:         88
        .size:           4
        .value_kind:     by_value
      - .offset:         92
        .size:           4
        .value_kind:     by_value
      - .offset:         96
        .size:           4
        .value_kind:     by_value
      - .offset:         100
        .size:           4
        .value_kind:     by_value
      - .offset:         104
        .size:           4
        .value_kind:     by_value
      - .offset:         108
        .size:           4
        .value_kind:     by_value
      - .offset:         112
        .size:           4
        .value_kind:     by_value
      - .offset:         116
        .size:           4
        .value_kind:     by_value
      - .offset:         120
        .size:           4
        .value_kind:     by_value
      - .offset:         124
        .size:           4
        .value_kind:     by_value
      - .offset:         128
        .size:           4
        .value_kind:     by_value
      - .offset:         132
        .size:           4
        .value_kind:     by_value
      - .offset:         136
        .size:           4
        .value_kind:     by_value
      - .offset:         144
        .size:           4
        .value_kind:     hidden_block_count_x
      - .offset:         148
        .size:           4
        .value_kind:     hidden_block_count_y
      - .offset:         152
        .size:           4
        .value_kind:     hidden_block_count_z
      - .offset:         156
        .size:           2
        .value_kind:     hidden_group_size_x
      - .offset:         158
        .size:           2
        .value_kind:     hidden_group_size_y
      - .offset:         160
        .size:           2
        .value_kind:     hidden_group_size_z
      - .offset:         162
        .size:           2
        .value_kind:     hidden_remainder_x
      - .offset:         164
        .size:           2
        .value_kind:     hidden_remainder_y
      - .offset:         166
        .size:           2
        .value_kind:     hidden_remainder_z
      - .offset:         184
        .size:           8
        .value_kind:     hidden_global_offset_x
      - .offset:         192
        .size:           8
        .value_kind:     hidden_global_offset_y
      - .offset:         200
        .size:           8
        .value_kind:     hidden_global_offset_z
      - .offset:         208
        .size:           2
        .value_kind:     hidden_grid_dims
    .group_segment_fixed_size: 32
    .kernarg_segment_align: 8
    .kernarg_segment_size: 400
    .language:       OpenCL C
    .language_version:
      - 2
      - 0
    .max_flat_workgroup_size: 1024
    .name:           _ZN5aiter35fused_qk_rmsnorm_group_quant_kernelItDB8_Li256ELi8ELi16ELb1ELb1ELb0ELb1ELb0ELb0EEEvPT0_PvPT_S6_S6_PKS5_S8_S8_S8_S8_ffiiiiiiiiiiiii
    .private_segment_fixed_size: 0
    .sgpr_count:     48
    .sgpr_spill_count: 0
    .symbol:         _ZN5aiter35fused_qk_rmsnorm_group_quant_kernelItDB8_Li256ELi8ELi16ELb1ELb1ELb0ELb1ELb0ELb0EEEvPT0_PvPT_S6_S6_PKS5_S8_S8_S8_S8_ffiiiiiiiiiiiii.kd
    .uniform_work_group_size: 1
    .uses_dynamic_stack: false
    .vgpr_count:     27
    .vgpr_spill_count: 0
    .wavefront_size: 64
  - .agpr_count:     0
    .args:
      - .actual_access:  read_only
        .address_space:  global
        .offset:         0
        .size:           8
        .value_kind:     global_buffer
      - .actual_access:  read_only
        .address_space:  global
        .offset:         8
        .size:           8
        .value_kind:     global_buffer
      - .actual_access:  write_only
        .address_space:  global
        .offset:         16
        .size:           8
        .value_kind:     global_buffer
      - .actual_access:  write_only
        .address_space:  global
        .offset:         24
        .size:           8
        .value_kind:     global_buffer
      - .actual_access:  write_only
        .address_space:  global
        .offset:         32
        .size:           8
        .value_kind:     global_buffer
      - .actual_access:  read_only
        .address_space:  global
        .offset:         40
        .size:           8
        .value_kind:     global_buffer
      - .actual_access:  read_only
        .address_space:  global
        .offset:         48
        .size:           8
        .value_kind:     global_buffer
      - .actual_access:  read_only
        .address_space:  global
        .offset:         56
        .size:           8
        .value_kind:     global_buffer
      - .actual_access:  read_only
        .address_space:  global
        .offset:         64
        .size:           8
        .value_kind:     global_buffer
      - .actual_access:  read_only
        .address_space:  global
        .offset:         72
        .size:           8
        .value_kind:     global_buffer
      - .offset:         80
        .size:           4
        .value_kind:     by_value
      - .offset:         84
        .size:           4
        .value_kind:     by_value
      - .offset:         88
        .size:           4
        .value_kind:     by_value
      - .offset:         92
        .size:           4
        .value_kind:     by_value
      - .offset:         96
        .size:           4
        .value_kind:     by_value
      - .offset:         100
        .size:           4
        .value_kind:     by_value
      - .offset:         104
        .size:           4
        .value_kind:     by_value
      - .offset:         108
        .size:           4
        .value_kind:     by_value
      - .offset:         112
        .size:           4
        .value_kind:     by_value
      - .offset:         116
        .size:           4
        .value_kind:     by_value
      - .offset:         120
        .size:           4
        .value_kind:     by_value
      - .offset:         124
        .size:           4
        .value_kind:     by_value
      - .offset:         128
        .size:           4
        .value_kind:     by_value
      - .offset:         132
        .size:           4
        .value_kind:     by_value
      - .offset:         136
        .size:           4
        .value_kind:     by_value
      - .offset:         144
        .size:           4
        .value_kind:     hidden_block_count_x
      - .offset:         148
        .size:           4
        .value_kind:     hidden_block_count_y
      - .offset:         152
        .size:           4
        .value_kind:     hidden_block_count_z
      - .offset:         156
        .size:           2
        .value_kind:     hidden_group_size_x
      - .offset:         158
        .size:           2
        .value_kind:     hidden_group_size_y
      - .offset:         160
        .size:           2
        .value_kind:     hidden_group_size_z
      - .offset:         162
        .size:           2
        .value_kind:     hidden_remainder_x
      - .offset:         164
        .size:           2
        .value_kind:     hidden_remainder_y
      - .offset:         166
        .size:           2
        .value_kind:     hidden_remainder_z
      - .offset:         184
        .size:           8
        .value_kind:     hidden_global_offset_x
      - .offset:         192
        .size:           8
        .value_kind:     hidden_global_offset_y
      - .offset:         200
        .size:           8
        .value_kind:     hidden_global_offset_z
      - .offset:         208
        .size:           2
        .value_kind:     hidden_grid_dims
    .group_segment_fixed_size: 32
    .kernarg_segment_align: 8
    .kernarg_segment_size: 400
    .language:       OpenCL C
    .language_version:
      - 2
      - 0
    .max_flat_workgroup_size: 1024
    .name:           _ZN5aiter35fused_qk_rmsnorm_group_quant_kernelIDF16_N4opus5fp4_tELi256ELi8ELi16ELb1ELb1ELb0ELb1ELb0ELb0EEEvPT0_PvPT_S7_S7_PKS6_S9_S9_S9_S9_ffiiiiiiiiiiiii
    .private_segment_fixed_size: 0
    .sgpr_count:     36
    .sgpr_spill_count: 0
    .symbol:         _ZN5aiter35fused_qk_rmsnorm_group_quant_kernelIDF16_N4opus5fp4_tELi256ELi8ELi16ELb1ELb1ELb0ELb1ELb0ELb0EEEvPT0_PvPT_S7_S7_PKS6_S9_S9_S9_S9_ffiiiiiiiiiiiii.kd
    .uniform_work_group_size: 1
    .uses_dynamic_stack: false
    .vgpr_count:     27
    .vgpr_spill_count: 0
    .wavefront_size: 64
  - .agpr_count:     0
    .args:
      - .actual_access:  read_only
        .address_space:  global
        .offset:         0
        .size:           8
        .value_kind:     global_buffer
      - .actual_access:  read_only
        .address_space:  global
        .offset:         8
        .size:           8
        .value_kind:     global_buffer
      - .actual_access:  write_only
        .address_space:  global
        .offset:         16
        .size:           8
        .value_kind:     global_buffer
      - .actual_access:  write_only
        .address_space:  global
        .offset:         24
        .size:           8
        .value_kind:     global_buffer
      - .actual_access:  write_only
        .address_space:  global
        .offset:         32
        .size:           8
        .value_kind:     global_buffer
      - .actual_access:  read_only
        .address_space:  global
        .offset:         40
        .size:           8
        .value_kind:     global_buffer
      - .actual_access:  read_only
        .address_space:  global
        .offset:         48
        .size:           8
        .value_kind:     global_buffer
      - .actual_access:  read_only
        .address_space:  global
        .offset:         56
        .size:           8
        .value_kind:     global_buffer
      - .actual_access:  read_only
        .address_space:  global
        .offset:         64
        .size:           8
        .value_kind:     global_buffer
      - .actual_access:  read_only
        .address_space:  global
        .offset:         72
        .size:           8
        .value_kind:     global_buffer
      - .offset:         80
        .size:           4
        .value_kind:     by_value
      - .offset:         84
        .size:           4
        .value_kind:     by_value
      - .offset:         88
        .size:           4
        .value_kind:     by_value
      - .offset:         92
        .size:           4
        .value_kind:     by_value
      - .offset:         96
        .size:           4
        .value_kind:     by_value
      - .offset:         100
        .size:           4
        .value_kind:     by_value
      - .offset:         104
        .size:           4
        .value_kind:     by_value
      - .offset:         108
        .size:           4
        .value_kind:     by_value
      - .offset:         112
        .size:           4
        .value_kind:     by_value
      - .offset:         116
        .size:           4
        .value_kind:     by_value
      - .offset:         120
        .size:           4
        .value_kind:     by_value
      - .offset:         124
        .size:           4
        .value_kind:     by_value
      - .offset:         128
        .size:           4
        .value_kind:     by_value
      - .offset:         132
        .size:           4
        .value_kind:     by_value
      - .offset:         136
        .size:           4
        .value_kind:     by_value
      - .offset:         144
        .size:           4
        .value_kind:     hidden_block_count_x
      - .offset:         148
        .size:           4
        .value_kind:     hidden_block_count_y
      - .offset:         152
        .size:           4
        .value_kind:     hidden_block_count_z
      - .offset:         156
        .size:           2
        .value_kind:     hidden_group_size_x
      - .offset:         158
        .size:           2
        .value_kind:     hidden_group_size_y
      - .offset:         160
        .size:           2
        .value_kind:     hidden_group_size_z
      - .offset:         162
        .size:           2
        .value_kind:     hidden_remainder_x
      - .offset:         164
        .size:           2
        .value_kind:     hidden_remainder_y
      - .offset:         166
        .size:           2
        .value_kind:     hidden_remainder_z
      - .offset:         184
        .size:           8
        .value_kind:     hidden_global_offset_x
      - .offset:         192
        .size:           8
        .value_kind:     hidden_global_offset_y
      - .offset:         200
        .size:           8
        .value_kind:     hidden_global_offset_z
      - .offset:         208
        .size:           2
        .value_kind:     hidden_grid_dims
    .group_segment_fixed_size: 32
    .kernarg_segment_align: 8
    .kernarg_segment_size: 400
    .language:       OpenCL C
    .language_version:
      - 2
      - 0
    .max_flat_workgroup_size: 1024
    .name:           _ZN5aiter35fused_qk_rmsnorm_group_quant_kernelItN4opus5fp4_tELi256ELi8ELi16ELb1ELb1ELb0ELb1ELb0ELb0EEEvPT0_PvPT_S7_S7_PKS6_S9_S9_S9_S9_ffiiiiiiiiiiiii
    .private_segment_fixed_size: 0
    .sgpr_count:     48
    .sgpr_spill_count: 0
    .symbol:         _ZN5aiter35fused_qk_rmsnorm_group_quant_kernelItN4opus5fp4_tELi256ELi8ELi16ELb1ELb1ELb0ELb1ELb0ELb0EEEvPT0_PvPT_S7_S7_PKS6_S9_S9_S9_S9_ffiiiiiiiiiiiii.kd
    .uniform_work_group_size: 1
    .uses_dynamic_stack: false
    .vgpr_count:     27
    .vgpr_spill_count: 0
    .wavefront_size: 64
  - .agpr_count:     0
    .args:
      - .actual_access:  read_only
        .address_space:  global
        .offset:         0
        .size:           8
        .value_kind:     global_buffer
      - .actual_access:  read_only
        .address_space:  global
        .offset:         8
        .size:           8
        .value_kind:     global_buffer
      - .actual_access:  write_only
        .address_space:  global
        .offset:         16
        .size:           8
        .value_kind:     global_buffer
      - .actual_access:  write_only
        .address_space:  global
        .offset:         24
        .size:           8
        .value_kind:     global_buffer
      - .actual_access:  read_only
        .address_space:  global
        .offset:         32
        .size:           8
        .value_kind:     global_buffer
      - .actual_access:  read_only
        .address_space:  global
        .offset:         40
        .size:           8
        .value_kind:     global_buffer
      - .actual_access:  read_only
        .address_space:  global
        .offset:         48
        .size:           8
        .value_kind:     global_buffer
      - .actual_access:  read_only
        .address_space:  global
        .offset:         56
        .size:           8
        .value_kind:     global_buffer
      - .actual_access:  read_only
        .address_space:  global
        .offset:         64
        .size:           8
        .value_kind:     global_buffer
      - .actual_access:  read_only
        .address_space:  global
        .offset:         72
        .size:           8
        .value_kind:     global_buffer
      - .offset:         80
        .size:           4
        .value_kind:     by_value
      - .offset:         84
        .size:           4
        .value_kind:     by_value
      - .offset:         88
        .size:           4
        .value_kind:     by_value
      - .offset:         92
        .size:           4
        .value_kind:     by_value
      - .offset:         96
        .size:           4
        .value_kind:     by_value
      - .offset:         100
        .size:           4
        .value_kind:     by_value
      - .offset:         104
        .size:           4
        .value_kind:     by_value
      - .offset:         108
        .size:           4
        .value_kind:     by_value
      - .offset:         112
        .size:           4
        .value_kind:     by_value
      - .offset:         116
        .size:           4
        .value_kind:     by_value
      - .offset:         120
        .size:           4
        .value_kind:     by_value
      - .offset:         124
        .size:           4
        .value_kind:     by_value
      - .offset:         128
        .size:           4
        .value_kind:     by_value
      - .offset:         132
        .size:           4
        .value_kind:     by_value
      - .offset:         136
        .size:           4
        .value_kind:     by_value
      - .offset:         144
        .size:           4
        .value_kind:     hidden_block_count_x
      - .offset:         148
        .size:           4
        .value_kind:     hidden_block_count_y
      - .offset:         152
        .size:           4
        .value_kind:     hidden_block_count_z
      - .offset:         156
        .size:           2
        .value_kind:     hidden_group_size_x
      - .offset:         158
        .size:           2
        .value_kind:     hidden_group_size_y
      - .offset:         160
        .size:           2
        .value_kind:     hidden_group_size_z
      - .offset:         162
        .size:           2
        .value_kind:     hidden_remainder_x
      - .offset:         164
        .size:           2
        .value_kind:     hidden_remainder_y
      - .offset:         166
        .size:           2
        .value_kind:     hidden_remainder_z
      - .offset:         184
        .size:           8
        .value_kind:     hidden_global_offset_x
      - .offset:         192
        .size:           8
        .value_kind:     hidden_global_offset_y
      - .offset:         200
        .size:           8
        .value_kind:     hidden_global_offset_z
      - .offset:         208
        .size:           2
        .value_kind:     hidden_grid_dims
    .group_segment_fixed_size: 32
    .kernarg_segment_align: 8
    .kernarg_segment_size: 400
    .language:       OpenCL C
    .language_version:
      - 2
      - 0
    .max_flat_workgroup_size: 1024
    .name:           _ZN5aiter35fused_qk_rmsnorm_group_quant_kernelIDF16_DB8_Li256ELi8ELi16ELb0ELb1ELb1ELb1ELb0ELb0EEEvPT0_PvPT_S6_S6_PKS5_S8_S8_S8_S8_ffiiiiiiiiiiiii
    .private_segment_fixed_size: 0
    .sgpr_count:     36
    .sgpr_spill_count: 0
    .symbol:         _ZN5aiter35fused_qk_rmsnorm_group_quant_kernelIDF16_DB8_Li256ELi8ELi16ELb0ELb1ELb1ELb1ELb0ELb0EEEvPT0_PvPT_S6_S6_PKS5_S8_S8_S8_S8_ffiiiiiiiiiiiii.kd
    .uniform_work_group_size: 1
    .uses_dynamic_stack: false
    .vgpr_count:     23
    .vgpr_spill_count: 0
    .wavefront_size: 64
  - .agpr_count:     0
    .args:
      - .actual_access:  read_only
        .address_space:  global
        .offset:         0
        .size:           8
        .value_kind:     global_buffer
      - .actual_access:  read_only
        .address_space:  global
        .offset:         8
        .size:           8
        .value_kind:     global_buffer
      - .actual_access:  write_only
        .address_space:  global
        .offset:         16
        .size:           8
        .value_kind:     global_buffer
      - .actual_access:  write_only
        .address_space:  global
        .offset:         24
        .size:           8
        .value_kind:     global_buffer
      - .actual_access:  read_only
        .address_space:  global
        .offset:         32
        .size:           8
        .value_kind:     global_buffer
      - .actual_access:  read_only
        .address_space:  global
        .offset:         40
        .size:           8
        .value_kind:     global_buffer
      - .actual_access:  read_only
        .address_space:  global
        .offset:         48
        .size:           8
        .value_kind:     global_buffer
      - .actual_access:  read_only
        .address_space:  global
        .offset:         56
        .size:           8
        .value_kind:     global_buffer
      - .actual_access:  read_only
        .address_space:  global
        .offset:         64
        .size:           8
        .value_kind:     global_buffer
      - .actual_access:  read_only
        .address_space:  global
        .offset:         72
        .size:           8
        .value_kind:     global_buffer
      - .offset:         80
        .size:           4
        .value_kind:     by_value
      - .offset:         84
        .size:           4
        .value_kind:     by_value
      - .offset:         88
        .size:           4
        .value_kind:     by_value
      - .offset:         92
        .size:           4
        .value_kind:     by_value
      - .offset:         96
        .size:           4
        .value_kind:     by_value
      - .offset:         100
        .size:           4
        .value_kind:     by_value
      - .offset:         104
        .size:           4
        .value_kind:     by_value
      - .offset:         108
        .size:           4
        .value_kind:     by_value
      - .offset:         112
        .size:           4
        .value_kind:     by_value
      - .offset:         116
        .size:           4
        .value_kind:     by_value
      - .offset:         120
        .size:           4
        .value_kind:     by_value
      - .offset:         124
        .size:           4
        .value_kind:     by_value
      - .offset:         128
        .size:           4
        .value_kind:     by_value
      - .offset:         132
        .size:           4
        .value_kind:     by_value
      - .offset:         136
        .size:           4
        .value_kind:     by_value
      - .offset:         144
        .size:           4
        .value_kind:     hidden_block_count_x
      - .offset:         148
        .size:           4
        .value_kind:     hidden_block_count_y
      - .offset:         152
        .size:           4
        .value_kind:     hidden_block_count_z
      - .offset:         156
        .size:           2
        .value_kind:     hidden_group_size_x
      - .offset:         158
        .size:           2
        .value_kind:     hidden_group_size_y
      - .offset:         160
        .size:           2
        .value_kind:     hidden_group_size_z
      - .offset:         162
        .size:           2
        .value_kind:     hidden_remainder_x
      - .offset:         164
        .size:           2
        .value_kind:     hidden_remainder_y
      - .offset:         166
        .size:           2
        .value_kind:     hidden_remainder_z
      - .offset:         184
        .size:           8
        .value_kind:     hidden_global_offset_x
      - .offset:         192
        .size:           8
        .value_kind:     hidden_global_offset_y
      - .offset:         200
        .size:           8
        .value_kind:     hidden_global_offset_z
      - .offset:         208
        .size:           2
        .value_kind:     hidden_grid_dims
    .group_segment_fixed_size: 32
    .kernarg_segment_align: 8
    .kernarg_segment_size: 400
    .language:       OpenCL C
    .language_version:
      - 2
      - 0
    .max_flat_workgroup_size: 1024
    .name:           _ZN5aiter35fused_qk_rmsnorm_group_quant_kernelItDB8_Li256ELi8ELi16ELb0ELb1ELb1ELb1ELb0ELb0EEEvPT0_PvPT_S6_S6_PKS5_S8_S8_S8_S8_ffiiiiiiiiiiiii
    .private_segment_fixed_size: 0
    .sgpr_count:     36
    .sgpr_spill_count: 0
    .symbol:         _ZN5aiter35fused_qk_rmsnorm_group_quant_kernelItDB8_Li256ELi8ELi16ELb0ELb1ELb1ELb1ELb0ELb0EEEvPT0_PvPT_S6_S6_PKS5_S8_S8_S8_S8_ffiiiiiiiiiiiii.kd
    .uniform_work_group_size: 1
    .uses_dynamic_stack: false
    .vgpr_count:     23
    .vgpr_spill_count: 0
    .wavefront_size: 64
  - .agpr_count:     0
    .args:
      - .actual_access:  read_only
        .address_space:  global
        .offset:         0
        .size:           8
        .value_kind:     global_buffer
      - .actual_access:  read_only
        .address_space:  global
        .offset:         8
        .size:           8
        .value_kind:     global_buffer
      - .actual_access:  write_only
        .address_space:  global
        .offset:         16
        .size:           8
        .value_kind:     global_buffer
      - .actual_access:  write_only
        .address_space:  global
        .offset:         24
        .size:           8
        .value_kind:     global_buffer
      - .actual_access:  read_only
        .address_space:  global
        .offset:         32
        .size:           8
        .value_kind:     global_buffer
      - .actual_access:  read_only
        .address_space:  global
        .offset:         40
        .size:           8
        .value_kind:     global_buffer
      - .actual_access:  read_only
        .address_space:  global
        .offset:         48
        .size:           8
        .value_kind:     global_buffer
      - .actual_access:  read_only
        .address_space:  global
        .offset:         56
        .size:           8
        .value_kind:     global_buffer
      - .actual_access:  read_only
        .address_space:  global
        .offset:         64
        .size:           8
        .value_kind:     global_buffer
      - .actual_access:  read_only
        .address_space:  global
        .offset:         72
        .size:           8
        .value_kind:     global_buffer
      - .offset:         80
        .size:           4
        .value_kind:     by_value
      - .offset:         84
        .size:           4
        .value_kind:     by_value
      - .offset:         88
        .size:           4
        .value_kind:     by_value
      - .offset:         92
        .size:           4
        .value_kind:     by_value
      - .offset:         96
        .size:           4
        .value_kind:     by_value
      - .offset:         100
        .size:           4
        .value_kind:     by_value
      - .offset:         104
        .size:           4
        .value_kind:     by_value
      - .offset:         108
        .size:           4
        .value_kind:     by_value
      - .offset:         112
        .size:           4
        .value_kind:     by_value
      - .offset:         116
        .size:           4
        .value_kind:     by_value
      - .offset:         120
        .size:           4
        .value_kind:     by_value
      - .offset:         124
        .size:           4
        .value_kind:     by_value
      - .offset:         128
        .size:           4
        .value_kind:     by_value
      - .offset:         132
        .size:           4
        .value_kind:     by_value
      - .offset:         136
        .size:           4
        .value_kind:     by_value
      - .offset:         144
        .size:           4
        .value_kind:     hidden_block_count_x
      - .offset:         148
        .size:           4
        .value_kind:     hidden_block_count_y
      - .offset:         152
        .size:           4
        .value_kind:     hidden_block_count_z
      - .offset:         156
        .size:           2
        .value_kind:     hidden_group_size_x
      - .offset:         158
        .size:           2
        .value_kind:     hidden_group_size_y
      - .offset:         160
        .size:           2
        .value_kind:     hidden_group_size_z
      - .offset:         162
        .size:           2
        .value_kind:     hidden_remainder_x
      - .offset:         164
        .size:           2
        .value_kind:     hidden_remainder_y
      - .offset:         166
        .size:           2
        .value_kind:     hidden_remainder_z
      - .offset:         184
        .size:           8
        .value_kind:     hidden_global_offset_x
      - .offset:         192
        .size:           8
        .value_kind:     hidden_global_offset_y
      - .offset:         200
        .size:           8
        .value_kind:     hidden_global_offset_z
      - .offset:         208
        .size:           2
        .value_kind:     hidden_grid_dims
    .group_segment_fixed_size: 32
    .kernarg_segment_align: 8
    .kernarg_segment_size: 400
    .language:       OpenCL C
    .language_version:
      - 2
      - 0
    .max_flat_workgroup_size: 1024
    .name:           _ZN5aiter35fused_qk_rmsnorm_group_quant_kernelIDF16_N4opus5fp4_tELi256ELi8ELi16ELb0ELb1ELb1ELb1ELb0ELb0EEEvPT0_PvPT_S7_S7_PKS6_S9_S9_S9_S9_ffiiiiiiiiiiiii
    .private_segment_fixed_size: 0
    .sgpr_count:     36
    .sgpr_spill_count: 0
    .symbol:         _ZN5aiter35fused_qk_rmsnorm_group_quant_kernelIDF16_N4opus5fp4_tELi256ELi8ELi16ELb0ELb1ELb1ELb1ELb0ELb0EEEvPT0_PvPT_S7_S7_PKS6_S9_S9_S9_S9_ffiiiiiiiiiiiii.kd
    .uniform_work_group_size: 1
    .uses_dynamic_stack: false
    .vgpr_count:     23
    .vgpr_spill_count: 0
    .wavefront_size: 64
  - .agpr_count:     0
    .args:
      - .actual_access:  read_only
        .address_space:  global
        .offset:         0
        .size:           8
        .value_kind:     global_buffer
      - .actual_access:  read_only
        .address_space:  global
        .offset:         8
        .size:           8
        .value_kind:     global_buffer
      - .actual_access:  write_only
        .address_space:  global
        .offset:         16
        .size:           8
        .value_kind:     global_buffer
      - .actual_access:  write_only
        .address_space:  global
        .offset:         24
        .size:           8
        .value_kind:     global_buffer
      - .actual_access:  read_only
        .address_space:  global
        .offset:         32
        .size:           8
        .value_kind:     global_buffer
      - .actual_access:  read_only
        .address_space:  global
        .offset:         40
        .size:           8
        .value_kind:     global_buffer
      - .actual_access:  read_only
        .address_space:  global
        .offset:         48
        .size:           8
        .value_kind:     global_buffer
      - .actual_access:  read_only
        .address_space:  global
        .offset:         56
        .size:           8
        .value_kind:     global_buffer
      - .actual_access:  read_only
        .address_space:  global
        .offset:         64
        .size:           8
        .value_kind:     global_buffer
      - .actual_access:  read_only
        .address_space:  global
        .offset:         72
        .size:           8
        .value_kind:     global_buffer
      - .offset:         80
        .size:           4
        .value_kind:     by_value
      - .offset:         84
        .size:           4
        .value_kind:     by_value
      - .offset:         88
        .size:           4
        .value_kind:     by_value
      - .offset:         92
        .size:           4
        .value_kind:     by_value
      - .offset:         96
        .size:           4
        .value_kind:     by_value
      - .offset:         100
        .size:           4
        .value_kind:     by_value
      - .offset:         104
        .size:           4
        .value_kind:     by_value
      - .offset:         108
        .size:           4
        .value_kind:     by_value
      - .offset:         112
        .size:           4
        .value_kind:     by_value
      - .offset:         116
        .size:           4
        .value_kind:     by_value
      - .offset:         120
        .size:           4
        .value_kind:     by_value
      - .offset:         124
        .size:           4
        .value_kind:     by_value
      - .offset:         128
        .size:           4
        .value_kind:     by_value
      - .offset:         132
        .size:           4
        .value_kind:     by_value
      - .offset:         136
        .size:           4
        .value_kind:     by_value
      - .offset:         144
        .size:           4
        .value_kind:     hidden_block_count_x
      - .offset:         148
        .size:           4
        .value_kind:     hidden_block_count_y
      - .offset:         152
        .size:           4
        .value_kind:     hidden_block_count_z
      - .offset:         156
        .size:           2
        .value_kind:     hidden_group_size_x
      - .offset:         158
        .size:           2
        .value_kind:     hidden_group_size_y
      - .offset:         160
        .size:           2
        .value_kind:     hidden_group_size_z
      - .offset:         162
        .size:           2
        .value_kind:     hidden_remainder_x
      - .offset:         164
        .size:           2
        .value_kind:     hidden_remainder_y
      - .offset:         166
        .size:           2
        .value_kind:     hidden_remainder_z
      - .offset:         184
        .size:           8
        .value_kind:     hidden_global_offset_x
      - .offset:         192
        .size:           8
        .value_kind:     hidden_global_offset_y
      - .offset:         200
        .size:           8
        .value_kind:     hidden_global_offset_z
      - .offset:         208
        .size:           2
        .value_kind:     hidden_grid_dims
    .group_segment_fixed_size: 32
    .kernarg_segment_align: 8
    .kernarg_segment_size: 400
    .language:       OpenCL C
    .language_version:
      - 2
      - 0
    .max_flat_workgroup_size: 1024
    .name:           _ZN5aiter35fused_qk_rmsnorm_group_quant_kernelItN4opus5fp4_tELi256ELi8ELi16ELb0ELb1ELb1ELb1ELb0ELb0EEEvPT0_PvPT_S7_S7_PKS6_S9_S9_S9_S9_ffiiiiiiiiiiiii
    .private_segment_fixed_size: 0
    .sgpr_count:     36
    .sgpr_spill_count: 0
    .symbol:         _ZN5aiter35fused_qk_rmsnorm_group_quant_kernelItN4opus5fp4_tELi256ELi8ELi16ELb0ELb1ELb1ELb1ELb0ELb0EEEvPT0_PvPT_S7_S7_PKS6_S9_S9_S9_S9_ffiiiiiiiiiiiii.kd
    .uniform_work_group_size: 1
    .uses_dynamic_stack: false
    .vgpr_count:     23
    .vgpr_spill_count: 0
    .wavefront_size: 64
  - .agpr_count:     0
    .args:
      - .actual_access:  read_only
        .address_space:  global
        .offset:         0
        .size:           8
        .value_kind:     global_buffer
      - .actual_access:  read_only
        .address_space:  global
        .offset:         8
        .size:           8
        .value_kind:     global_buffer
      - .actual_access:  write_only
        .address_space:  global
        .offset:         16
        .size:           8
        .value_kind:     global_buffer
      - .actual_access:  write_only
        .address_space:  global
        .offset:         24
        .size:           8
        .value_kind:     global_buffer
      - .actual_access:  read_only
        .address_space:  global
        .offset:         32
        .size:           8
        .value_kind:     global_buffer
      - .actual_access:  read_only
        .address_space:  global
        .offset:         40
        .size:           8
        .value_kind:     global_buffer
      - .actual_access:  read_only
        .address_space:  global
        .offset:         48
        .size:           8
        .value_kind:     global_buffer
      - .actual_access:  read_only
        .address_space:  global
        .offset:         56
        .size:           8
        .value_kind:     global_buffer
      - .actual_access:  read_only
        .address_space:  global
        .offset:         64
        .size:           8
        .value_kind:     global_buffer
      - .actual_access:  read_only
        .address_space:  global
        .offset:         72
        .size:           8
        .value_kind:     global_buffer
      - .offset:         80
        .size:           4
        .value_kind:     by_value
      - .offset:         84
        .size:           4
        .value_kind:     by_value
      - .offset:         88
        .size:           4
        .value_kind:     by_value
      - .offset:         92
        .size:           4
        .value_kind:     by_value
      - .offset:         96
        .size:           4
        .value_kind:     by_value
      - .offset:         100
        .size:           4
        .value_kind:     by_value
      - .offset:         104
        .size:           4
        .value_kind:     by_value
      - .offset:         108
        .size:           4
        .value_kind:     by_value
      - .offset:         112
        .size:           4
        .value_kind:     by_value
      - .offset:         116
        .size:           4
        .value_kind:     by_value
      - .offset:         120
        .size:           4
        .value_kind:     by_value
      - .offset:         124
        .size:           4
        .value_kind:     by_value
      - .offset:         128
        .size:           4
        .value_kind:     by_value
      - .offset:         132
        .size:           4
        .value_kind:     by_value
      - .offset:         136
        .size:           4
        .value_kind:     by_value
      - .offset:         144
        .size:           4
        .value_kind:     hidden_block_count_x
      - .offset:         148
        .size:           4
        .value_kind:     hidden_block_count_y
      - .offset:         152
        .size:           4
        .value_kind:     hidden_block_count_z
      - .offset:         156
        .size:           2
        .value_kind:     hidden_group_size_x
      - .offset:         158
        .size:           2
        .value_kind:     hidden_group_size_y
      - .offset:         160
        .size:           2
        .value_kind:     hidden_group_size_z
      - .offset:         162
        .size:           2
        .value_kind:     hidden_remainder_x
      - .offset:         164
        .size:           2
        .value_kind:     hidden_remainder_y
      - .offset:         166
        .size:           2
        .value_kind:     hidden_remainder_z
      - .offset:         184
        .size:           8
        .value_kind:     hidden_global_offset_x
      - .offset:         192
        .size:           8
        .value_kind:     hidden_global_offset_y
      - .offset:         200
        .size:           8
        .value_kind:     hidden_global_offset_z
      - .offset:         208
        .size:           2
        .value_kind:     hidden_grid_dims
    .group_segment_fixed_size: 32
    .kernarg_segment_align: 8
    .kernarg_segment_size: 400
    .language:       OpenCL C
    .language_version:
      - 2
      - 0
    .max_flat_workgroup_size: 1024
    .name:           _ZN5aiter35fused_qk_rmsnorm_group_quant_kernelIDF16_DB8_Li256ELi8ELi16ELb0ELb1ELb0ELb1ELb0ELb0EEEvPT0_PvPT_S6_S6_PKS5_S8_S8_S8_S8_ffiiiiiiiiiiiii
    .private_segment_fixed_size: 0
    .sgpr_count:     36
    .sgpr_spill_count: 0
    .symbol:         _ZN5aiter35fused_qk_rmsnorm_group_quant_kernelIDF16_DB8_Li256ELi8ELi16ELb0ELb1ELb0ELb1ELb0ELb0EEEvPT0_PvPT_S6_S6_PKS5_S8_S8_S8_S8_ffiiiiiiiiiiiii.kd
    .uniform_work_group_size: 1
    .uses_dynamic_stack: false
    .vgpr_count:     23
    .vgpr_spill_count: 0
    .wavefront_size: 64
  - .agpr_count:     0
    .args:
      - .actual_access:  read_only
        .address_space:  global
        .offset:         0
        .size:           8
        .value_kind:     global_buffer
      - .actual_access:  read_only
        .address_space:  global
        .offset:         8
        .size:           8
        .value_kind:     global_buffer
      - .actual_access:  write_only
        .address_space:  global
        .offset:         16
        .size:           8
        .value_kind:     global_buffer
      - .actual_access:  write_only
        .address_space:  global
        .offset:         24
        .size:           8
        .value_kind:     global_buffer
      - .actual_access:  read_only
        .address_space:  global
        .offset:         32
        .size:           8
        .value_kind:     global_buffer
      - .actual_access:  read_only
        .address_space:  global
        .offset:         40
        .size:           8
        .value_kind:     global_buffer
      - .actual_access:  read_only
        .address_space:  global
        .offset:         48
        .size:           8
        .value_kind:     global_buffer
      - .actual_access:  read_only
        .address_space:  global
        .offset:         56
        .size:           8
        .value_kind:     global_buffer
      - .actual_access:  read_only
        .address_space:  global
        .offset:         64
        .size:           8
        .value_kind:     global_buffer
      - .actual_access:  read_only
        .address_space:  global
        .offset:         72
        .size:           8
        .value_kind:     global_buffer
      - .offset:         80
        .size:           4
        .value_kind:     by_value
      - .offset:         84
        .size:           4
        .value_kind:     by_value
      - .offset:         88
        .size:           4
        .value_kind:     by_value
      - .offset:         92
        .size:           4
        .value_kind:     by_value
      - .offset:         96
        .size:           4
        .value_kind:     by_value
      - .offset:         100
        .size:           4
        .value_kind:     by_value
      - .offset:         104
        .size:           4
        .value_kind:     by_value
      - .offset:         108
        .size:           4
        .value_kind:     by_value
      - .offset:         112
        .size:           4
        .value_kind:     by_value
      - .offset:         116
        .size:           4
        .value_kind:     by_value
      - .offset:         120
        .size:           4
        .value_kind:     by_value
      - .offset:         124
        .size:           4
        .value_kind:     by_value
      - .offset:         128
        .size:           4
        .value_kind:     by_value
      - .offset:         132
        .size:           4
        .value_kind:     by_value
      - .offset:         136
        .size:           4
        .value_kind:     by_value
      - .offset:         144
        .size:           4
        .value_kind:     hidden_block_count_x
      - .offset:         148
        .size:           4
        .value_kind:     hidden_block_count_y
      - .offset:         152
        .size:           4
        .value_kind:     hidden_block_count_z
      - .offset:         156
        .size:           2
        .value_kind:     hidden_group_size_x
      - .offset:         158
        .size:           2
        .value_kind:     hidden_group_size_y
      - .offset:         160
        .size:           2
        .value_kind:     hidden_group_size_z
      - .offset:         162
        .size:           2
        .value_kind:     hidden_remainder_x
      - .offset:         164
        .size:           2
        .value_kind:     hidden_remainder_y
      - .offset:         166
        .size:           2
        .value_kind:     hidden_remainder_z
      - .offset:         184
        .size:           8
        .value_kind:     hidden_global_offset_x
      - .offset:         192
        .size:           8
        .value_kind:     hidden_global_offset_y
      - .offset:         200
        .size:           8
        .value_kind:     hidden_global_offset_z
      - .offset:         208
        .size:           2
        .value_kind:     hidden_grid_dims
    .group_segment_fixed_size: 32
    .kernarg_segment_align: 8
    .kernarg_segment_size: 400
    .language:       OpenCL C
    .language_version:
      - 2
      - 0
    .max_flat_workgroup_size: 1024
    .name:           _ZN5aiter35fused_qk_rmsnorm_group_quant_kernelItDB8_Li256ELi8ELi16ELb0ELb1ELb0ELb1ELb0ELb0EEEvPT0_PvPT_S6_S6_PKS5_S8_S8_S8_S8_ffiiiiiiiiiiiii
    .private_segment_fixed_size: 0
    .sgpr_count:     36
    .sgpr_spill_count: 0
    .symbol:         _ZN5aiter35fused_qk_rmsnorm_group_quant_kernelItDB8_Li256ELi8ELi16ELb0ELb1ELb0ELb1ELb0ELb0EEEvPT0_PvPT_S6_S6_PKS5_S8_S8_S8_S8_ffiiiiiiiiiiiii.kd
    .uniform_work_group_size: 1
    .uses_dynamic_stack: false
    .vgpr_count:     23
    .vgpr_spill_count: 0
    .wavefront_size: 64
  - .agpr_count:     0
    .args:
      - .actual_access:  read_only
        .address_space:  global
        .offset:         0
        .size:           8
        .value_kind:     global_buffer
      - .actual_access:  read_only
        .address_space:  global
        .offset:         8
        .size:           8
        .value_kind:     global_buffer
      - .actual_access:  write_only
        .address_space:  global
        .offset:         16
        .size:           8
        .value_kind:     global_buffer
      - .actual_access:  write_only
        .address_space:  global
        .offset:         24
        .size:           8
        .value_kind:     global_buffer
      - .actual_access:  read_only
        .address_space:  global
        .offset:         32
        .size:           8
        .value_kind:     global_buffer
      - .actual_access:  read_only
        .address_space:  global
        .offset:         40
        .size:           8
        .value_kind:     global_buffer
      - .actual_access:  read_only
        .address_space:  global
        .offset:         48
        .size:           8
        .value_kind:     global_buffer
      - .actual_access:  read_only
        .address_space:  global
        .offset:         56
        .size:           8
        .value_kind:     global_buffer
      - .actual_access:  read_only
        .address_space:  global
        .offset:         64
        .size:           8
        .value_kind:     global_buffer
      - .actual_access:  read_only
        .address_space:  global
        .offset:         72
        .size:           8
        .value_kind:     global_buffer
      - .offset:         80
        .size:           4
        .value_kind:     by_value
      - .offset:         84
        .size:           4
        .value_kind:     by_value
      - .offset:         88
        .size:           4
        .value_kind:     by_value
      - .offset:         92
        .size:           4
        .value_kind:     by_value
      - .offset:         96
        .size:           4
        .value_kind:     by_value
      - .offset:         100
        .size:           4
        .value_kind:     by_value
      - .offset:         104
        .size:           4
        .value_kind:     by_value
      - .offset:         108
        .size:           4
        .value_kind:     by_value
      - .offset:         112
        .size:           4
        .value_kind:     by_value
      - .offset:         116
        .size:           4
        .value_kind:     by_value
      - .offset:         120
        .size:           4
        .value_kind:     by_value
      - .offset:         124
        .size:           4
        .value_kind:     by_value
      - .offset:         128
        .size:           4
        .value_kind:     by_value
      - .offset:         132
        .size:           4
        .value_kind:     by_value
      - .offset:         136
        .size:           4
        .value_kind:     by_value
      - .offset:         144
        .size:           4
        .value_kind:     hidden_block_count_x
      - .offset:         148
        .size:           4
        .value_kind:     hidden_block_count_y
      - .offset:         152
        .size:           4
        .value_kind:     hidden_block_count_z
      - .offset:         156
        .size:           2
        .value_kind:     hidden_group_size_x
      - .offset:         158
        .size:           2
        .value_kind:     hidden_group_size_y
      - .offset:         160
        .size:           2
        .value_kind:     hidden_group_size_z
      - .offset:         162
        .size:           2
        .value_kind:     hidden_remainder_x
      - .offset:         164
        .size:           2
        .value_kind:     hidden_remainder_y
      - .offset:         166
        .size:           2
        .value_kind:     hidden_remainder_z
      - .offset:         184
        .size:           8
        .value_kind:     hidden_global_offset_x
      - .offset:         192
        .size:           8
        .value_kind:     hidden_global_offset_y
      - .offset:         200
        .size:           8
        .value_kind:     hidden_global_offset_z
      - .offset:         208
        .size:           2
        .value_kind:     hidden_grid_dims
    .group_segment_fixed_size: 32
    .kernarg_segment_align: 8
    .kernarg_segment_size: 400
    .language:       OpenCL C
    .language_version:
      - 2
      - 0
    .max_flat_workgroup_size: 1024
    .name:           _ZN5aiter35fused_qk_rmsnorm_group_quant_kernelIDF16_N4opus5fp4_tELi256ELi8ELi16ELb0ELb1ELb0ELb1ELb0ELb0EEEvPT0_PvPT_S7_S7_PKS6_S9_S9_S9_S9_ffiiiiiiiiiiiii
    .private_segment_fixed_size: 0
    .sgpr_count:     36
    .sgpr_spill_count: 0
    .symbol:         _ZN5aiter35fused_qk_rmsnorm_group_quant_kernelIDF16_N4opus5fp4_tELi256ELi8ELi16ELb0ELb1ELb0ELb1ELb0ELb0EEEvPT0_PvPT_S7_S7_PKS6_S9_S9_S9_S9_ffiiiiiiiiiiiii.kd
    .uniform_work_group_size: 1
    .uses_dynamic_stack: false
    .vgpr_count:     23
    .vgpr_spill_count: 0
    .wavefront_size: 64
  - .agpr_count:     0
    .args:
      - .actual_access:  read_only
        .address_space:  global
        .offset:         0
        .size:           8
        .value_kind:     global_buffer
      - .actual_access:  read_only
        .address_space:  global
        .offset:         8
        .size:           8
        .value_kind:     global_buffer
      - .actual_access:  write_only
        .address_space:  global
        .offset:         16
        .size:           8
        .value_kind:     global_buffer
      - .actual_access:  write_only
        .address_space:  global
        .offset:         24
        .size:           8
        .value_kind:     global_buffer
      - .actual_access:  read_only
        .address_space:  global
        .offset:         32
        .size:           8
        .value_kind:     global_buffer
      - .actual_access:  read_only
        .address_space:  global
        .offset:         40
        .size:           8
        .value_kind:     global_buffer
      - .actual_access:  read_only
        .address_space:  global
        .offset:         48
        .size:           8
        .value_kind:     global_buffer
      - .actual_access:  read_only
        .address_space:  global
        .offset:         56
        .size:           8
        .value_kind:     global_buffer
      - .actual_access:  read_only
        .address_space:  global
        .offset:         64
        .size:           8
        .value_kind:     global_buffer
      - .actual_access:  read_only
        .address_space:  global
        .offset:         72
        .size:           8
        .value_kind:     global_buffer
      - .offset:         80
        .size:           4
        .value_kind:     by_value
      - .offset:         84
        .size:           4
        .value_kind:     by_value
      - .offset:         88
        .size:           4
        .value_kind:     by_value
      - .offset:         92
        .size:           4
        .value_kind:     by_value
      - .offset:         96
        .size:           4
        .value_kind:     by_value
      - .offset:         100
        .size:           4
        .value_kind:     by_value
      - .offset:         104
        .size:           4
        .value_kind:     by_value
      - .offset:         108
        .size:           4
        .value_kind:     by_value
      - .offset:         112
        .size:           4
        .value_kind:     by_value
      - .offset:         116
        .size:           4
        .value_kind:     by_value
      - .offset:         120
        .size:           4
        .value_kind:     by_value
      - .offset:         124
        .size:           4
        .value_kind:     by_value
      - .offset:         128
        .size:           4
        .value_kind:     by_value
      - .offset:         132
        .size:           4
        .value_kind:     by_value
      - .offset:         136
        .size:           4
        .value_kind:     by_value
      - .offset:         144
        .size:           4
        .value_kind:     hidden_block_count_x
      - .offset:         148
        .size:           4
        .value_kind:     hidden_block_count_y
      - .offset:         152
        .size:           4
        .value_kind:     hidden_block_count_z
      - .offset:         156
        .size:           2
        .value_kind:     hidden_group_size_x
      - .offset:         158
        .size:           2
        .value_kind:     hidden_group_size_y
      - .offset:         160
        .size:           2
        .value_kind:     hidden_group_size_z
      - .offset:         162
        .size:           2
        .value_kind:     hidden_remainder_x
      - .offset:         164
        .size:           2
        .value_kind:     hidden_remainder_y
      - .offset:         166
        .size:           2
        .value_kind:     hidden_remainder_z
      - .offset:         184
        .size:           8
        .value_kind:     hidden_global_offset_x
      - .offset:         192
        .size:           8
        .value_kind:     hidden_global_offset_y
      - .offset:         200
        .size:           8
        .value_kind:     hidden_global_offset_z
      - .offset:         208
        .size:           2
        .value_kind:     hidden_grid_dims
    .group_segment_fixed_size: 32
    .kernarg_segment_align: 8
    .kernarg_segment_size: 400
    .language:       OpenCL C
    .language_version:
      - 2
      - 0
    .max_flat_workgroup_size: 1024
    .name:           _ZN5aiter35fused_qk_rmsnorm_group_quant_kernelItN4opus5fp4_tELi256ELi8ELi16ELb0ELb1ELb0ELb1ELb0ELb0EEEvPT0_PvPT_S7_S7_PKS6_S9_S9_S9_S9_ffiiiiiiiiiiiii
    .private_segment_fixed_size: 0
    .sgpr_count:     36
    .sgpr_spill_count: 0
    .symbol:         _ZN5aiter35fused_qk_rmsnorm_group_quant_kernelItN4opus5fp4_tELi256ELi8ELi16ELb0ELb1ELb0ELb1ELb0ELb0EEEvPT0_PvPT_S7_S7_PKS6_S9_S9_S9_S9_ffiiiiiiiiiiiii.kd
    .uniform_work_group_size: 1
    .uses_dynamic_stack: false
    .vgpr_count:     23
    .vgpr_spill_count: 0
    .wavefront_size: 64
  - .agpr_count:     0
    .args:
      - .actual_access:  write_only
        .address_space:  global
        .offset:         0
        .size:           8
        .value_kind:     global_buffer
      - .actual_access:  write_only
        .address_space:  global
        .offset:         8
        .size:           8
        .value_kind:     global_buffer
      - .actual_access:  write_only
        .address_space:  global
        .offset:         16
        .size:           8
        .value_kind:     global_buffer
      - .actual_access:  write_only
        .address_space:  global
        .offset:         24
        .size:           8
        .value_kind:     global_buffer
      - .actual_access:  write_only
        .address_space:  global
        .offset:         32
        .size:           8
        .value_kind:     global_buffer
      - .actual_access:  read_only
        .address_space:  global
        .offset:         40
        .size:           8
        .value_kind:     global_buffer
      - .actual_access:  read_only
        .address_space:  global
        .offset:         48
        .size:           8
        .value_kind:     global_buffer
      - .actual_access:  read_only
        .address_space:  global
        .offset:         56
        .size:           8
        .value_kind:     global_buffer
      - .actual_access:  read_only
        .address_space:  global
        .offset:         64
        .size:           8
        .value_kind:     global_buffer
      - .actual_access:  read_only
        .address_space:  global
        .offset:         72
        .size:           8
        .value_kind:     global_buffer
      - .offset:         80
        .size:           4
        .value_kind:     by_value
      - .offset:         84
        .size:           4
        .value_kind:     by_value
      - .offset:         88
        .size:           4
        .value_kind:     by_value
      - .offset:         92
        .size:           4
        .value_kind:     by_value
      - .offset:         96
        .size:           4
        .value_kind:     by_value
      - .offset:         100
        .size:           4
        .value_kind:     by_value
      - .offset:         104
        .size:           4
        .value_kind:     by_value
      - .offset:         108
        .size:           4
        .value_kind:     by_value
      - .offset:         112
        .size:           4
        .value_kind:     by_value
      - .offset:         116
        .size:           4
        .value_kind:     by_value
      - .offset:         120
        .size:           4
        .value_kind:     by_value
      - .offset:         124
        .size:           4
        .value_kind:     by_value
      - .offset:         128
        .size:           4
        .value_kind:     by_value
      - .offset:         132
        .size:           4
        .value_kind:     by_value
      - .offset:         136
        .size:           4
        .value_kind:     by_value
      - .offset:         144
        .size:           4
        .value_kind:     hidden_block_count_x
      - .offset:         148
        .size:           4
        .value_kind:     hidden_block_count_y
      - .offset:         152
        .size:           4
        .value_kind:     hidden_block_count_z
      - .offset:         156
        .size:           2
        .value_kind:     hidden_group_size_x
      - .offset:         158
        .size:           2
        .value_kind:     hidden_group_size_y
      - .offset:         160
        .size:           2
        .value_kind:     hidden_group_size_z
      - .offset:         162
        .size:           2
        .value_kind:     hidden_remainder_x
      - .offset:         164
        .size:           2
        .value_kind:     hidden_remainder_y
      - .offset:         166
        .size:           2
        .value_kind:     hidden_remainder_z
      - .offset:         184
        .size:           8
        .value_kind:     hidden_global_offset_x
      - .offset:         192
        .size:           8
        .value_kind:     hidden_global_offset_y
      - .offset:         200
        .size:           8
        .value_kind:     hidden_global_offset_z
      - .offset:         208
        .size:           2
        .value_kind:     hidden_grid_dims
    .group_segment_fixed_size: 32
    .kernarg_segment_align: 8
    .kernarg_segment_size: 400
    .language:       OpenCL C
    .language_version:
      - 2
      - 0
    .max_flat_workgroup_size: 1024
    .name:           _ZN5aiter35fused_qk_rmsnorm_group_quant_kernelIDF16_DB8_Li256ELi8ELi16ELb1ELb1ELb1ELb0ELb0ELb0EEEvPT0_PvPT_S6_S6_PKS5_S8_S8_S8_S8_ffiiiiiiiiiiiii
    .private_segment_fixed_size: 0
    .sgpr_count:     48
    .sgpr_spill_count: 0
    .symbol:         _ZN5aiter35fused_qk_rmsnorm_group_quant_kernelIDF16_DB8_Li256ELi8ELi16ELb1ELb1ELb1ELb0ELb0ELb0EEEvPT0_PvPT_S6_S6_PKS5_S8_S8_S8_S8_ffiiiiiiiiiiiii.kd
    .uniform_work_group_size: 1
    .uses_dynamic_stack: false
    .vgpr_count:     31
    .vgpr_spill_count: 0
    .wavefront_size: 64
  - .agpr_count:     0
    .args:
      - .actual_access:  write_only
        .address_space:  global
        .offset:         0
        .size:           8
        .value_kind:     global_buffer
      - .actual_access:  write_only
        .address_space:  global
        .offset:         8
        .size:           8
        .value_kind:     global_buffer
      - .actual_access:  write_only
        .address_space:  global
        .offset:         16
        .size:           8
        .value_kind:     global_buffer
      - .actual_access:  write_only
        .address_space:  global
        .offset:         24
        .size:           8
        .value_kind:     global_buffer
      - .actual_access:  write_only
        .address_space:  global
        .offset:         32
        .size:           8
        .value_kind:     global_buffer
      - .actual_access:  read_only
        .address_space:  global
        .offset:         40
        .size:           8
        .value_kind:     global_buffer
      - .actual_access:  read_only
        .address_space:  global
        .offset:         48
        .size:           8
        .value_kind:     global_buffer
      - .actual_access:  read_only
        .address_space:  global
        .offset:         56
        .size:           8
        .value_kind:     global_buffer
      - .actual_access:  read_only
        .address_space:  global
        .offset:         64
        .size:           8
        .value_kind:     global_buffer
      - .actual_access:  read_only
        .address_space:  global
        .offset:         72
        .size:           8
        .value_kind:     global_buffer
      - .offset:         80
        .size:           4
        .value_kind:     by_value
      - .offset:         84
        .size:           4
        .value_kind:     by_value
      - .offset:         88
        .size:           4
        .value_kind:     by_value
      - .offset:         92
        .size:           4
        .value_kind:     by_value
      - .offset:         96
        .size:           4
        .value_kind:     by_value
      - .offset:         100
        .size:           4
        .value_kind:     by_value
      - .offset:         104
        .size:           4
        .value_kind:     by_value
      - .offset:         108
        .size:           4
        .value_kind:     by_value
      - .offset:         112
        .size:           4
        .value_kind:     by_value
      - .offset:         116
        .size:           4
        .value_kind:     by_value
      - .offset:         120
        .size:           4
        .value_kind:     by_value
      - .offset:         124
        .size:           4
        .value_kind:     by_value
      - .offset:         128
        .size:           4
        .value_kind:     by_value
      - .offset:         132
        .size:           4
        .value_kind:     by_value
      - .offset:         136
        .size:           4
        .value_kind:     by_value
      - .offset:         144
        .size:           4
        .value_kind:     hidden_block_count_x
      - .offset:         148
        .size:           4
        .value_kind:     hidden_block_count_y
      - .offset:         152
        .size:           4
        .value_kind:     hidden_block_count_z
      - .offset:         156
        .size:           2
        .value_kind:     hidden_group_size_x
      - .offset:         158
        .size:           2
        .value_kind:     hidden_group_size_y
      - .offset:         160
        .size:           2
        .value_kind:     hidden_group_size_z
      - .offset:         162
        .size:           2
        .value_kind:     hidden_remainder_x
      - .offset:         164
        .size:           2
        .value_kind:     hidden_remainder_y
      - .offset:         166
        .size:           2
        .value_kind:     hidden_remainder_z
      - .offset:         184
        .size:           8
        .value_kind:     hidden_global_offset_x
      - .offset:         192
        .size:           8
        .value_kind:     hidden_global_offset_y
      - .offset:         200
        .size:           8
        .value_kind:     hidden_global_offset_z
      - .offset:         208
        .size:           2
        .value_kind:     hidden_grid_dims
    .group_segment_fixed_size: 32
    .kernarg_segment_align: 8
    .kernarg_segment_size: 400
    .language:       OpenCL C
    .language_version:
      - 2
      - 0
    .max_flat_workgroup_size: 1024
    .name:           _ZN5aiter35fused_qk_rmsnorm_group_quant_kernelItDB8_Li256ELi8ELi16ELb1ELb1ELb1ELb0ELb0ELb0EEEvPT0_PvPT_S6_S6_PKS5_S8_S8_S8_S8_ffiiiiiiiiiiiii
    .private_segment_fixed_size: 0
    .sgpr_count:     52
    .sgpr_spill_count: 0
    .symbol:         _ZN5aiter35fused_qk_rmsnorm_group_quant_kernelItDB8_Li256ELi8ELi16ELb1ELb1ELb1ELb0ELb0ELb0EEEvPT0_PvPT_S6_S6_PKS5_S8_S8_S8_S8_ffiiiiiiiiiiiii.kd
    .uniform_work_group_size: 1
    .uses_dynamic_stack: false
    .vgpr_count:     27
    .vgpr_spill_count: 0
    .wavefront_size: 64
  - .agpr_count:     0
    .args:
      - .actual_access:  write_only
        .address_space:  global
        .offset:         0
        .size:           8
        .value_kind:     global_buffer
      - .actual_access:  write_only
        .address_space:  global
        .offset:         8
        .size:           8
        .value_kind:     global_buffer
      - .actual_access:  write_only
        .address_space:  global
        .offset:         16
        .size:           8
        .value_kind:     global_buffer
      - .actual_access:  write_only
        .address_space:  global
        .offset:         24
        .size:           8
        .value_kind:     global_buffer
      - .actual_access:  write_only
        .address_space:  global
        .offset:         32
        .size:           8
        .value_kind:     global_buffer
      - .actual_access:  read_only
        .address_space:  global
        .offset:         40
        .size:           8
        .value_kind:     global_buffer
      - .actual_access:  read_only
        .address_space:  global
        .offset:         48
        .size:           8
        .value_kind:     global_buffer
      - .actual_access:  read_only
        .address_space:  global
        .offset:         56
        .size:           8
        .value_kind:     global_buffer
      - .actual_access:  read_only
        .address_space:  global
        .offset:         64
        .size:           8
        .value_kind:     global_buffer
      - .actual_access:  read_only
        .address_space:  global
        .offset:         72
        .size:           8
        .value_kind:     global_buffer
      - .offset:         80
        .size:           4
        .value_kind:     by_value
      - .offset:         84
        .size:           4
        .value_kind:     by_value
      - .offset:         88
        .size:           4
        .value_kind:     by_value
      - .offset:         92
        .size:           4
        .value_kind:     by_value
      - .offset:         96
        .size:           4
        .value_kind:     by_value
      - .offset:         100
        .size:           4
        .value_kind:     by_value
      - .offset:         104
        .size:           4
        .value_kind:     by_value
      - .offset:         108
        .size:           4
        .value_kind:     by_value
      - .offset:         112
        .size:           4
        .value_kind:     by_value
      - .offset:         116
        .size:           4
        .value_kind:     by_value
      - .offset:         120
        .size:           4
        .value_kind:     by_value
      - .offset:         124
        .size:           4
        .value_kind:     by_value
      - .offset:         128
        .size:           4
        .value_kind:     by_value
      - .offset:         132
        .size:           4
        .value_kind:     by_value
      - .offset:         136
        .size:           4
        .value_kind:     by_value
      - .offset:         144
        .size:           4
        .value_kind:     hidden_block_count_x
      - .offset:         148
        .size:           4
        .value_kind:     hidden_block_count_y
      - .offset:         152
        .size:           4
        .value_kind:     hidden_block_count_z
      - .offset:         156
        .size:           2
        .value_kind:     hidden_group_size_x
      - .offset:         158
        .size:           2
        .value_kind:     hidden_group_size_y
      - .offset:         160
        .size:           2
        .value_kind:     hidden_group_size_z
      - .offset:         162
        .size:           2
        .value_kind:     hidden_remainder_x
      - .offset:         164
        .size:           2
        .value_kind:     hidden_remainder_y
      - .offset:         166
        .size:           2
        .value_kind:     hidden_remainder_z
      - .offset:         184
        .size:           8
        .value_kind:     hidden_global_offset_x
      - .offset:         192
        .size:           8
        .value_kind:     hidden_global_offset_y
      - .offset:         200
        .size:           8
        .value_kind:     hidden_global_offset_z
      - .offset:         208
        .size:           2
        .value_kind:     hidden_grid_dims
    .group_segment_fixed_size: 32
    .kernarg_segment_align: 8
    .kernarg_segment_size: 400
    .language:       OpenCL C
    .language_version:
      - 2
      - 0
    .max_flat_workgroup_size: 1024
    .name:           _ZN5aiter35fused_qk_rmsnorm_group_quant_kernelIDF16_N4opus5fp4_tELi256ELi8ELi16ELb1ELb1ELb1ELb0ELb0ELb0EEEvPT0_PvPT_S7_S7_PKS6_S9_S9_S9_S9_ffiiiiiiiiiiiii
    .private_segment_fixed_size: 0
    .sgpr_count:     48
    .sgpr_spill_count: 0
    .symbol:         _ZN5aiter35fused_qk_rmsnorm_group_quant_kernelIDF16_N4opus5fp4_tELi256ELi8ELi16ELb1ELb1ELb1ELb0ELb0ELb0EEEvPT0_PvPT_S7_S7_PKS6_S9_S9_S9_S9_ffiiiiiiiiiiiii.kd
    .uniform_work_group_size: 1
    .uses_dynamic_stack: false
    .vgpr_count:     25
    .vgpr_spill_count: 0
    .wavefront_size: 64
  - .agpr_count:     0
    .args:
      - .actual_access:  write_only
        .address_space:  global
        .offset:         0
        .size:           8
        .value_kind:     global_buffer
      - .actual_access:  write_only
        .address_space:  global
        .offset:         8
        .size:           8
        .value_kind:     global_buffer
      - .actual_access:  write_only
        .address_space:  global
        .offset:         16
        .size:           8
        .value_kind:     global_buffer
      - .actual_access:  write_only
        .address_space:  global
        .offset:         24
        .size:           8
        .value_kind:     global_buffer
      - .actual_access:  write_only
        .address_space:  global
        .offset:         32
        .size:           8
        .value_kind:     global_buffer
      - .actual_access:  read_only
        .address_space:  global
        .offset:         40
        .size:           8
        .value_kind:     global_buffer
      - .actual_access:  read_only
        .address_space:  global
        .offset:         48
        .size:           8
        .value_kind:     global_buffer
      - .actual_access:  read_only
        .address_space:  global
        .offset:         56
        .size:           8
        .value_kind:     global_buffer
      - .actual_access:  read_only
        .address_space:  global
        .offset:         64
        .size:           8
        .value_kind:     global_buffer
      - .actual_access:  read_only
        .address_space:  global
        .offset:         72
        .size:           8
        .value_kind:     global_buffer
      - .offset:         80
        .size:           4
        .value_kind:     by_value
      - .offset:         84
        .size:           4
        .value_kind:     by_value
      - .offset:         88
        .size:           4
        .value_kind:     by_value
      - .offset:         92
        .size:           4
        .value_kind:     by_value
      - .offset:         96
        .size:           4
        .value_kind:     by_value
      - .offset:         100
        .size:           4
        .value_kind:     by_value
      - .offset:         104
        .size:           4
        .value_kind:     by_value
      - .offset:         108
        .size:           4
        .value_kind:     by_value
      - .offset:         112
        .size:           4
        .value_kind:     by_value
      - .offset:         116
        .size:           4
        .value_kind:     by_value
      - .offset:         120
        .size:           4
        .value_kind:     by_value
      - .offset:         124
        .size:           4
        .value_kind:     by_value
      - .offset:         128
        .size:           4
        .value_kind:     by_value
      - .offset:         132
        .size:           4
        .value_kind:     by_value
      - .offset:         136
        .size:           4
        .value_kind:     by_value
      - .offset:         144
        .size:           4
        .value_kind:     hidden_block_count_x
      - .offset:         148
        .size:           4
        .value_kind:     hidden_block_count_y
      - .offset:         152
        .size:           4
        .value_kind:     hidden_block_count_z
      - .offset:         156
        .size:           2
        .value_kind:     hidden_group_size_x
      - .offset:         158
        .size:           2
        .value_kind:     hidden_group_size_y
      - .offset:         160
        .size:           2
        .value_kind:     hidden_group_size_z
      - .offset:         162
        .size:           2
        .value_kind:     hidden_remainder_x
      - .offset:         164
        .size:           2
        .value_kind:     hidden_remainder_y
      - .offset:         166
        .size:           2
        .value_kind:     hidden_remainder_z
      - .offset:         184
        .size:           8
        .value_kind:     hidden_global_offset_x
      - .offset:         192
        .size:           8
        .value_kind:     hidden_global_offset_y
      - .offset:         200
        .size:           8
        .value_kind:     hidden_global_offset_z
      - .offset:         208
        .size:           2
        .value_kind:     hidden_grid_dims
    .group_segment_fixed_size: 32
    .kernarg_segment_align: 8
    .kernarg_segment_size: 400
    .language:       OpenCL C
    .language_version:
      - 2
      - 0
    .max_flat_workgroup_size: 1024
    .name:           _ZN5aiter35fused_qk_rmsnorm_group_quant_kernelItN4opus5fp4_tELi256ELi8ELi16ELb1ELb1ELb1ELb0ELb0ELb0EEEvPT0_PvPT_S7_S7_PKS6_S9_S9_S9_S9_ffiiiiiiiiiiiii
    .private_segment_fixed_size: 0
    .sgpr_count:     52
    .sgpr_spill_count: 0
    .symbol:         _ZN5aiter35fused_qk_rmsnorm_group_quant_kernelItN4opus5fp4_tELi256ELi8ELi16ELb1ELb1ELb1ELb0ELb0ELb0EEEvPT0_PvPT_S7_S7_PKS6_S9_S9_S9_S9_ffiiiiiiiiiiiii.kd
    .uniform_work_group_size: 1
    .uses_dynamic_stack: false
    .vgpr_count:     27
    .vgpr_spill_count: 0
    .wavefront_size: 64
  - .agpr_count:     0
    .args:
      - .actual_access:  write_only
        .address_space:  global
        .offset:         0
        .size:           8
        .value_kind:     global_buffer
      - .actual_access:  write_only
        .address_space:  global
        .offset:         8
        .size:           8
        .value_kind:     global_buffer
      - .actual_access:  write_only
        .address_space:  global
        .offset:         16
        .size:           8
        .value_kind:     global_buffer
      - .actual_access:  write_only
        .address_space:  global
        .offset:         24
        .size:           8
        .value_kind:     global_buffer
      - .actual_access:  write_only
        .address_space:  global
        .offset:         32
        .size:           8
        .value_kind:     global_buffer
      - .actual_access:  read_only
        .address_space:  global
        .offset:         40
        .size:           8
        .value_kind:     global_buffer
      - .actual_access:  read_only
        .address_space:  global
        .offset:         48
        .size:           8
        .value_kind:     global_buffer
      - .actual_access:  read_only
        .address_space:  global
        .offset:         56
        .size:           8
        .value_kind:     global_buffer
      - .actual_access:  read_only
        .address_space:  global
        .offset:         64
        .size:           8
        .value_kind:     global_buffer
      - .actual_access:  read_only
        .address_space:  global
        .offset:         72
        .size:           8
        .value_kind:     global_buffer
      - .offset:         80
        .size:           4
        .value_kind:     by_value
      - .offset:         84
        .size:           4
        .value_kind:     by_value
      - .offset:         88
        .size:           4
        .value_kind:     by_value
      - .offset:         92
        .size:           4
        .value_kind:     by_value
      - .offset:         96
        .size:           4
        .value_kind:     by_value
      - .offset:         100
        .size:           4
        .value_kind:     by_value
      - .offset:         104
        .size:           4
        .value_kind:     by_value
      - .offset:         108
        .size:           4
        .value_kind:     by_value
      - .offset:         112
        .size:           4
        .value_kind:     by_value
      - .offset:         116
        .size:           4
        .value_kind:     by_value
      - .offset:         120
        .size:           4
        .value_kind:     by_value
      - .offset:         124
        .size:           4
        .value_kind:     by_value
      - .offset:         128
        .size:           4
        .value_kind:     by_value
      - .offset:         132
        .size:           4
        .value_kind:     by_value
      - .offset:         136
        .size:           4
        .value_kind:     by_value
      - .offset:         144
        .size:           4
        .value_kind:     hidden_block_count_x
      - .offset:         148
        .size:           4
        .value_kind:     hidden_block_count_y
      - .offset:         152
        .size:           4
        .value_kind:     hidden_block_count_z
      - .offset:         156
        .size:           2
        .value_kind:     hidden_group_size_x
      - .offset:         158
        .size:           2
        .value_kind:     hidden_group_size_y
      - .offset:         160
        .size:           2
        .value_kind:     hidden_group_size_z
      - .offset:         162
        .size:           2
        .value_kind:     hidden_remainder_x
      - .offset:         164
        .size:           2
        .value_kind:     hidden_remainder_y
      - .offset:         166
        .size:           2
        .value_kind:     hidden_remainder_z
      - .offset:         184
        .size:           8
        .value_kind:     hidden_global_offset_x
      - .offset:         192
        .size:           8
        .value_kind:     hidden_global_offset_y
      - .offset:         200
        .size:           8
        .value_kind:     hidden_global_offset_z
      - .offset:         208
        .size:           2
        .value_kind:     hidden_grid_dims
    .group_segment_fixed_size: 32
    .kernarg_segment_align: 8
    .kernarg_segment_size: 400
    .language:       OpenCL C
    .language_version:
      - 2
      - 0
    .max_flat_workgroup_size: 1024
    .name:           _ZN5aiter35fused_qk_rmsnorm_group_quant_kernelIDF16_DB8_Li256ELi8ELi16ELb1ELb1ELb0ELb0ELb0ELb0EEEvPT0_PvPT_S6_S6_PKS5_S8_S8_S8_S8_ffiiiiiiiiiiiii
    .private_segment_fixed_size: 0
    .sgpr_count:     48
    .sgpr_spill_count: 0
    .symbol:         _ZN5aiter35fused_qk_rmsnorm_group_quant_kernelIDF16_DB8_Li256ELi8ELi16ELb1ELb1ELb0ELb0ELb0ELb0EEEvPT0_PvPT_S6_S6_PKS5_S8_S8_S8_S8_ffiiiiiiiiiiiii.kd
    .uniform_work_group_size: 1
    .uses_dynamic_stack: false
    .vgpr_count:     34
    .vgpr_spill_count: 0
    .wavefront_size: 64
  - .agpr_count:     0
    .args:
      - .actual_access:  write_only
        .address_space:  global
        .offset:         0
        .size:           8
        .value_kind:     global_buffer
      - .actual_access:  write_only
        .address_space:  global
        .offset:         8
        .size:           8
        .value_kind:     global_buffer
      - .actual_access:  write_only
        .address_space:  global
        .offset:         16
        .size:           8
        .value_kind:     global_buffer
      - .actual_access:  write_only
        .address_space:  global
        .offset:         24
        .size:           8
        .value_kind:     global_buffer
      - .actual_access:  write_only
        .address_space:  global
        .offset:         32
        .size:           8
        .value_kind:     global_buffer
      - .actual_access:  read_only
        .address_space:  global
        .offset:         40
        .size:           8
        .value_kind:     global_buffer
      - .actual_access:  read_only
        .address_space:  global
        .offset:         48
        .size:           8
        .value_kind:     global_buffer
      - .actual_access:  read_only
        .address_space:  global
        .offset:         56
        .size:           8
        .value_kind:     global_buffer
      - .actual_access:  read_only
        .address_space:  global
        .offset:         64
        .size:           8
        .value_kind:     global_buffer
      - .actual_access:  read_only
        .address_space:  global
        .offset:         72
        .size:           8
        .value_kind:     global_buffer
      - .offset:         80
        .size:           4
        .value_kind:     by_value
      - .offset:         84
        .size:           4
        .value_kind:     by_value
      - .offset:         88
        .size:           4
        .value_kind:     by_value
      - .offset:         92
        .size:           4
        .value_kind:     by_value
      - .offset:         96
        .size:           4
        .value_kind:     by_value
      - .offset:         100
        .size:           4
        .value_kind:     by_value
      - .offset:         104
        .size:           4
        .value_kind:     by_value
      - .offset:         108
        .size:           4
        .value_kind:     by_value
      - .offset:         112
        .size:           4
        .value_kind:     by_value
      - .offset:         116
        .size:           4
        .value_kind:     by_value
      - .offset:         120
        .size:           4
        .value_kind:     by_value
      - .offset:         124
        .size:           4
        .value_kind:     by_value
      - .offset:         128
        .size:           4
        .value_kind:     by_value
      - .offset:         132
        .size:           4
        .value_kind:     by_value
      - .offset:         136
        .size:           4
        .value_kind:     by_value
      - .offset:         144
        .size:           4
        .value_kind:     hidden_block_count_x
      - .offset:         148
        .size:           4
        .value_kind:     hidden_block_count_y
      - .offset:         152
        .size:           4
        .value_kind:     hidden_block_count_z
      - .offset:         156
        .size:           2
        .value_kind:     hidden_group_size_x
      - .offset:         158
        .size:           2
        .value_kind:     hidden_group_size_y
      - .offset:         160
        .size:           2
        .value_kind:     hidden_group_size_z
      - .offset:         162
        .size:           2
        .value_kind:     hidden_remainder_x
      - .offset:         164
        .size:           2
        .value_kind:     hidden_remainder_y
      - .offset:         166
        .size:           2
        .value_kind:     hidden_remainder_z
      - .offset:         184
        .size:           8
        .value_kind:     hidden_global_offset_x
      - .offset:         192
        .size:           8
        .value_kind:     hidden_global_offset_y
      - .offset:         200
        .size:           8
        .value_kind:     hidden_global_offset_z
      - .offset:         208
        .size:           2
        .value_kind:     hidden_grid_dims
    .group_segment_fixed_size: 32
    .kernarg_segment_align: 8
    .kernarg_segment_size: 400
    .language:       OpenCL C
    .language_version:
      - 2
      - 0
    .max_flat_workgroup_size: 1024
    .name:           _ZN5aiter35fused_qk_rmsnorm_group_quant_kernelItDB8_Li256ELi8ELi16ELb1ELb1ELb0ELb0ELb0ELb0EEEvPT0_PvPT_S6_S6_PKS5_S8_S8_S8_S8_ffiiiiiiiiiiiii
    .private_segment_fixed_size: 0
    .sgpr_count:     52
    .sgpr_spill_count: 0
    .symbol:         _ZN5aiter35fused_qk_rmsnorm_group_quant_kernelItDB8_Li256ELi8ELi16ELb1ELb1ELb0ELb0ELb0ELb0EEEvPT0_PvPT_S6_S6_PKS5_S8_S8_S8_S8_ffiiiiiiiiiiiii.kd
    .uniform_work_group_size: 1
    .uses_dynamic_stack: false
    .vgpr_count:     27
    .vgpr_spill_count: 0
    .wavefront_size: 64
  - .agpr_count:     0
    .args:
      - .actual_access:  write_only
        .address_space:  global
        .offset:         0
        .size:           8
        .value_kind:     global_buffer
      - .actual_access:  write_only
        .address_space:  global
        .offset:         8
        .size:           8
        .value_kind:     global_buffer
      - .actual_access:  write_only
        .address_space:  global
        .offset:         16
        .size:           8
        .value_kind:     global_buffer
      - .actual_access:  write_only
        .address_space:  global
        .offset:         24
        .size:           8
        .value_kind:     global_buffer
      - .actual_access:  write_only
        .address_space:  global
        .offset:         32
        .size:           8
        .value_kind:     global_buffer
      - .actual_access:  read_only
        .address_space:  global
        .offset:         40
        .size:           8
        .value_kind:     global_buffer
      - .actual_access:  read_only
        .address_space:  global
        .offset:         48
        .size:           8
        .value_kind:     global_buffer
      - .actual_access:  read_only
        .address_space:  global
        .offset:         56
        .size:           8
        .value_kind:     global_buffer
      - .actual_access:  read_only
        .address_space:  global
        .offset:         64
        .size:           8
        .value_kind:     global_buffer
      - .actual_access:  read_only
        .address_space:  global
        .offset:         72
        .size:           8
        .value_kind:     global_buffer
      - .offset:         80
        .size:           4
        .value_kind:     by_value
      - .offset:         84
        .size:           4
        .value_kind:     by_value
      - .offset:         88
        .size:           4
        .value_kind:     by_value
      - .offset:         92
        .size:           4
        .value_kind:     by_value
      - .offset:         96
        .size:           4
        .value_kind:     by_value
      - .offset:         100
        .size:           4
        .value_kind:     by_value
      - .offset:         104
        .size:           4
        .value_kind:     by_value
      - .offset:         108
        .size:           4
        .value_kind:     by_value
      - .offset:         112
        .size:           4
        .value_kind:     by_value
      - .offset:         116
        .size:           4
        .value_kind:     by_value
      - .offset:         120
        .size:           4
        .value_kind:     by_value
      - .offset:         124
        .size:           4
        .value_kind:     by_value
      - .offset:         128
        .size:           4
        .value_kind:     by_value
      - .offset:         132
        .size:           4
        .value_kind:     by_value
      - .offset:         136
        .size:           4
        .value_kind:     by_value
      - .offset:         144
        .size:           4
        .value_kind:     hidden_block_count_x
      - .offset:         148
        .size:           4
        .value_kind:     hidden_block_count_y
      - .offset:         152
        .size:           4
        .value_kind:     hidden_block_count_z
      - .offset:         156
        .size:           2
        .value_kind:     hidden_group_size_x
      - .offset:         158
        .size:           2
        .value_kind:     hidden_group_size_y
      - .offset:         160
        .size:           2
        .value_kind:     hidden_group_size_z
      - .offset:         162
        .size:           2
        .value_kind:     hidden_remainder_x
      - .offset:         164
        .size:           2
        .value_kind:     hidden_remainder_y
      - .offset:         166
        .size:           2
        .value_kind:     hidden_remainder_z
      - .offset:         184
        .size:           8
        .value_kind:     hidden_global_offset_x
      - .offset:         192
        .size:           8
        .value_kind:     hidden_global_offset_y
      - .offset:         200
        .size:           8
        .value_kind:     hidden_global_offset_z
      - .offset:         208
        .size:           2
        .value_kind:     hidden_grid_dims
    .group_segment_fixed_size: 32
    .kernarg_segment_align: 8
    .kernarg_segment_size: 400
    .language:       OpenCL C
    .language_version:
      - 2
      - 0
    .max_flat_workgroup_size: 1024
    .name:           _ZN5aiter35fused_qk_rmsnorm_group_quant_kernelIDF16_N4opus5fp4_tELi256ELi8ELi16ELb1ELb1ELb0ELb0ELb0ELb0EEEvPT0_PvPT_S7_S7_PKS6_S9_S9_S9_S9_ffiiiiiiiiiiiii
    .private_segment_fixed_size: 0
    .sgpr_count:     48
    .sgpr_spill_count: 0
    .symbol:         _ZN5aiter35fused_qk_rmsnorm_group_quant_kernelIDF16_N4opus5fp4_tELi256ELi8ELi16ELb1ELb1ELb0ELb0ELb0ELb0EEEvPT0_PvPT_S7_S7_PKS6_S9_S9_S9_S9_ffiiiiiiiiiiiii.kd
    .uniform_work_group_size: 1
    .uses_dynamic_stack: false
    .vgpr_count:     27
    .vgpr_spill_count: 0
    .wavefront_size: 64
  - .agpr_count:     0
    .args:
      - .actual_access:  write_only
        .address_space:  global
        .offset:         0
        .size:           8
        .value_kind:     global_buffer
      - .actual_access:  write_only
        .address_space:  global
        .offset:         8
        .size:           8
        .value_kind:     global_buffer
      - .actual_access:  write_only
        .address_space:  global
        .offset:         16
        .size:           8
        .value_kind:     global_buffer
      - .actual_access:  write_only
        .address_space:  global
        .offset:         24
        .size:           8
        .value_kind:     global_buffer
      - .actual_access:  write_only
        .address_space:  global
        .offset:         32
        .size:           8
        .value_kind:     global_buffer
      - .actual_access:  read_only
        .address_space:  global
        .offset:         40
        .size:           8
        .value_kind:     global_buffer
      - .actual_access:  read_only
        .address_space:  global
        .offset:         48
        .size:           8
        .value_kind:     global_buffer
      - .actual_access:  read_only
        .address_space:  global
        .offset:         56
        .size:           8
        .value_kind:     global_buffer
      - .actual_access:  read_only
        .address_space:  global
        .offset:         64
        .size:           8
        .value_kind:     global_buffer
      - .actual_access:  read_only
        .address_space:  global
        .offset:         72
        .size:           8
        .value_kind:     global_buffer
      - .offset:         80
        .size:           4
        .value_kind:     by_value
      - .offset:         84
        .size:           4
        .value_kind:     by_value
      - .offset:         88
        .size:           4
        .value_kind:     by_value
      - .offset:         92
        .size:           4
        .value_kind:     by_value
      - .offset:         96
        .size:           4
        .value_kind:     by_value
      - .offset:         100
        .size:           4
        .value_kind:     by_value
      - .offset:         104
        .size:           4
        .value_kind:     by_value
      - .offset:         108
        .size:           4
        .value_kind:     by_value
      - .offset:         112
        .size:           4
        .value_kind:     by_value
      - .offset:         116
        .size:           4
        .value_kind:     by_value
      - .offset:         120
        .size:           4
        .value_kind:     by_value
      - .offset:         124
        .size:           4
        .value_kind:     by_value
      - .offset:         128
        .size:           4
        .value_kind:     by_value
      - .offset:         132
        .size:           4
        .value_kind:     by_value
      - .offset:         136
        .size:           4
        .value_kind:     by_value
      - .offset:         144
        .size:           4
        .value_kind:     hidden_block_count_x
      - .offset:         148
        .size:           4
        .value_kind:     hidden_block_count_y
      - .offset:         152
        .size:           4
        .value_kind:     hidden_block_count_z
      - .offset:         156
        .size:           2
        .value_kind:     hidden_group_size_x
      - .offset:         158
        .size:           2
        .value_kind:     hidden_group_size_y
      - .offset:         160
        .size:           2
        .value_kind:     hidden_group_size_z
      - .offset:         162
        .size:           2
        .value_kind:     hidden_remainder_x
      - .offset:         164
        .size:           2
        .value_kind:     hidden_remainder_y
      - .offset:         166
        .size:           2
        .value_kind:     hidden_remainder_z
      - .offset:         184
        .size:           8
        .value_kind:     hidden_global_offset_x
      - .offset:         192
        .size:           8
        .value_kind:     hidden_global_offset_y
      - .offset:         200
        .size:           8
        .value_kind:     hidden_global_offset_z
      - .offset:         208
        .size:           2
        .value_kind:     hidden_grid_dims
    .group_segment_fixed_size: 32
    .kernarg_segment_align: 8
    .kernarg_segment_size: 400
    .language:       OpenCL C
    .language_version:
      - 2
      - 0
    .max_flat_workgroup_size: 1024
    .name:           _ZN5aiter35fused_qk_rmsnorm_group_quant_kernelItN4opus5fp4_tELi256ELi8ELi16ELb1ELb1ELb0ELb0ELb0ELb0EEEvPT0_PvPT_S7_S7_PKS6_S9_S9_S9_S9_ffiiiiiiiiiiiii
    .private_segment_fixed_size: 0
    .sgpr_count:     52
    .sgpr_spill_count: 0
    .symbol:         _ZN5aiter35fused_qk_rmsnorm_group_quant_kernelItN4opus5fp4_tELi256ELi8ELi16ELb1ELb1ELb0ELb0ELb0ELb0EEEvPT0_PvPT_S7_S7_PKS6_S9_S9_S9_S9_ffiiiiiiiiiiiii.kd
    .uniform_work_group_size: 1
    .uses_dynamic_stack: false
    .vgpr_count:     27
    .vgpr_spill_count: 0
    .wavefront_size: 64
  - .agpr_count:     0
    .args:
      - .actual_access:  write_only
        .address_space:  global
        .offset:         0
        .size:           8
        .value_kind:     global_buffer
      - .actual_access:  write_only
        .address_space:  global
        .offset:         8
        .size:           8
        .value_kind:     global_buffer
      - .actual_access:  read_only
        .address_space:  global
        .offset:         16
        .size:           8
        .value_kind:     global_buffer
      - .actual_access:  write_only
        .address_space:  global
        .offset:         24
        .size:           8
        .value_kind:     global_buffer
      - .actual_access:  write_only
        .address_space:  global
        .offset:         32
        .size:           8
        .value_kind:     global_buffer
      - .actual_access:  read_only
        .address_space:  global
        .offset:         40
        .size:           8
        .value_kind:     global_buffer
      - .actual_access:  read_only
        .address_space:  global
        .offset:         48
        .size:           8
        .value_kind:     global_buffer
      - .actual_access:  read_only
        .address_space:  global
        .offset:         56
        .size:           8
        .value_kind:     global_buffer
      - .actual_access:  read_only
        .address_space:  global
        .offset:         64
        .size:           8
        .value_kind:     global_buffer
      - .actual_access:  read_only
        .address_space:  global
        .offset:         72
        .size:           8
        .value_kind:     global_buffer
      - .offset:         80
        .size:           4
        .value_kind:     by_value
      - .offset:         84
        .size:           4
        .value_kind:     by_value
      - .offset:         88
        .size:           4
        .value_kind:     by_value
      - .offset:         92
        .size:           4
        .value_kind:     by_value
      - .offset:         96
        .size:           4
        .value_kind:     by_value
      - .offset:         100
        .size:           4
        .value_kind:     by_value
      - .offset:         104
        .size:           4
        .value_kind:     by_value
      - .offset:         108
        .size:           4
        .value_kind:     by_value
      - .offset:         112
        .size:           4
        .value_kind:     by_value
      - .offset:         116
        .size:           4
        .value_kind:     by_value
      - .offset:         120
        .size:           4
        .value_kind:     by_value
      - .offset:         124
        .size:           4
        .value_kind:     by_value
      - .offset:         128
        .size:           4
        .value_kind:     by_value
      - .offset:         132
        .size:           4
        .value_kind:     by_value
      - .offset:         136
        .size:           4
        .value_kind:     by_value
      - .offset:         144
        .size:           4
        .value_kind:     hidden_block_count_x
      - .offset:         148
        .size:           4
        .value_kind:     hidden_block_count_y
      - .offset:         152
        .size:           4
        .value_kind:     hidden_block_count_z
      - .offset:         156
        .size:           2
        .value_kind:     hidden_group_size_x
      - .offset:         158
        .size:           2
        .value_kind:     hidden_group_size_y
      - .offset:         160
        .size:           2
        .value_kind:     hidden_group_size_z
      - .offset:         162
        .size:           2
        .value_kind:     hidden_remainder_x
      - .offset:         164
        .size:           2
        .value_kind:     hidden_remainder_y
      - .offset:         166
        .size:           2
        .value_kind:     hidden_remainder_z
      - .offset:         184
        .size:           8
        .value_kind:     hidden_global_offset_x
      - .offset:         192
        .size:           8
        .value_kind:     hidden_global_offset_y
      - .offset:         200
        .size:           8
        .value_kind:     hidden_global_offset_z
      - .offset:         208
        .size:           2
        .value_kind:     hidden_grid_dims
    .group_segment_fixed_size: 32
    .kernarg_segment_align: 8
    .kernarg_segment_size: 400
    .language:       OpenCL C
    .language_version:
      - 2
      - 0
    .max_flat_workgroup_size: 1024
    .name:           _ZN5aiter35fused_qk_rmsnorm_group_quant_kernelIDF16_DB8_Li256ELi8ELi16ELb1ELb0ELb1ELb0ELb0ELb0EEEvPT0_PvPT_S6_S6_PKS5_S8_S8_S8_S8_ffiiiiiiiiiiiii
    .private_segment_fixed_size: 0
    .sgpr_count:     48
    .sgpr_spill_count: 0
    .symbol:         _ZN5aiter35fused_qk_rmsnorm_group_quant_kernelIDF16_DB8_Li256ELi8ELi16ELb1ELb0ELb1ELb0ELb0ELb0EEEvPT0_PvPT_S6_S6_PKS5_S8_S8_S8_S8_ffiiiiiiiiiiiii.kd
    .uniform_work_group_size: 1
    .uses_dynamic_stack: false
    .vgpr_count:     31
    .vgpr_spill_count: 0
    .wavefront_size: 64
  - .agpr_count:     0
    .args:
      - .actual_access:  write_only
        .address_space:  global
        .offset:         0
        .size:           8
        .value_kind:     global_buffer
      - .actual_access:  write_only
        .address_space:  global
        .offset:         8
        .size:           8
        .value_kind:     global_buffer
      - .actual_access:  read_only
        .address_space:  global
        .offset:         16
        .size:           8
        .value_kind:     global_buffer
      - .actual_access:  write_only
        .address_space:  global
        .offset:         24
        .size:           8
        .value_kind:     global_buffer
      - .actual_access:  write_only
        .address_space:  global
        .offset:         32
        .size:           8
        .value_kind:     global_buffer
      - .actual_access:  read_only
        .address_space:  global
        .offset:         40
        .size:           8
        .value_kind:     global_buffer
      - .actual_access:  read_only
        .address_space:  global
        .offset:         48
        .size:           8
        .value_kind:     global_buffer
      - .actual_access:  read_only
        .address_space:  global
        .offset:         56
        .size:           8
        .value_kind:     global_buffer
      - .actual_access:  read_only
        .address_space:  global
        .offset:         64
        .size:           8
        .value_kind:     global_buffer
      - .actual_access:  read_only
        .address_space:  global
        .offset:         72
        .size:           8
        .value_kind:     global_buffer
      - .offset:         80
        .size:           4
        .value_kind:     by_value
      - .offset:         84
        .size:           4
        .value_kind:     by_value
      - .offset:         88
        .size:           4
        .value_kind:     by_value
      - .offset:         92
        .size:           4
        .value_kind:     by_value
      - .offset:         96
        .size:           4
        .value_kind:     by_value
      - .offset:         100
        .size:           4
        .value_kind:     by_value
      - .offset:         104
        .size:           4
        .value_kind:     by_value
      - .offset:         108
        .size:           4
        .value_kind:     by_value
      - .offset:         112
        .size:           4
        .value_kind:     by_value
      - .offset:         116
        .size:           4
        .value_kind:     by_value
      - .offset:         120
        .size:           4
        .value_kind:     by_value
      - .offset:         124
        .size:           4
        .value_kind:     by_value
      - .offset:         128
        .size:           4
        .value_kind:     by_value
      - .offset:         132
        .size:           4
        .value_kind:     by_value
      - .offset:         136
        .size:           4
        .value_kind:     by_value
      - .offset:         144
        .size:           4
        .value_kind:     hidden_block_count_x
      - .offset:         148
        .size:           4
        .value_kind:     hidden_block_count_y
      - .offset:         152
        .size:           4
        .value_kind:     hidden_block_count_z
      - .offset:         156
        .size:           2
        .value_kind:     hidden_group_size_x
      - .offset:         158
        .size:           2
        .value_kind:     hidden_group_size_y
      - .offset:         160
        .size:           2
        .value_kind:     hidden_group_size_z
      - .offset:         162
        .size:           2
        .value_kind:     hidden_remainder_x
      - .offset:         164
        .size:           2
        .value_kind:     hidden_remainder_y
      - .offset:         166
        .size:           2
        .value_kind:     hidden_remainder_z
      - .offset:         184
        .size:           8
        .value_kind:     hidden_global_offset_x
      - .offset:         192
        .size:           8
        .value_kind:     hidden_global_offset_y
      - .offset:         200
        .size:           8
        .value_kind:     hidden_global_offset_z
      - .offset:         208
        .size:           2
        .value_kind:     hidden_grid_dims
    .group_segment_fixed_size: 32
    .kernarg_segment_align: 8
    .kernarg_segment_size: 400
    .language:       OpenCL C
    .language_version:
      - 2
      - 0
    .max_flat_workgroup_size: 1024
    .name:           _ZN5aiter35fused_qk_rmsnorm_group_quant_kernelItDB8_Li256ELi8ELi16ELb1ELb0ELb1ELb0ELb0ELb0EEEvPT0_PvPT_S6_S6_PKS5_S8_S8_S8_S8_ffiiiiiiiiiiiii
    .private_segment_fixed_size: 0
    .sgpr_count:     52
    .sgpr_spill_count: 0
    .symbol:         _ZN5aiter35fused_qk_rmsnorm_group_quant_kernelItDB8_Li256ELi8ELi16ELb1ELb0ELb1ELb0ELb0ELb0EEEvPT0_PvPT_S6_S6_PKS5_S8_S8_S8_S8_ffiiiiiiiiiiiii.kd
    .uniform_work_group_size: 1
    .uses_dynamic_stack: false
    .vgpr_count:     27
    .vgpr_spill_count: 0
    .wavefront_size: 64
  - .agpr_count:     0
    .args:
      - .actual_access:  write_only
        .address_space:  global
        .offset:         0
        .size:           8
        .value_kind:     global_buffer
      - .actual_access:  write_only
        .address_space:  global
        .offset:         8
        .size:           8
        .value_kind:     global_buffer
      - .actual_access:  read_only
        .address_space:  global
        .offset:         16
        .size:           8
        .value_kind:     global_buffer
      - .actual_access:  write_only
        .address_space:  global
        .offset:         24
        .size:           8
        .value_kind:     global_buffer
      - .actual_access:  write_only
        .address_space:  global
        .offset:         32
        .size:           8
        .value_kind:     global_buffer
      - .actual_access:  read_only
        .address_space:  global
        .offset:         40
        .size:           8
        .value_kind:     global_buffer
      - .actual_access:  read_only
        .address_space:  global
        .offset:         48
        .size:           8
        .value_kind:     global_buffer
      - .actual_access:  read_only
        .address_space:  global
        .offset:         56
        .size:           8
        .value_kind:     global_buffer
      - .actual_access:  read_only
        .address_space:  global
        .offset:         64
        .size:           8
        .value_kind:     global_buffer
      - .actual_access:  read_only
        .address_space:  global
        .offset:         72
        .size:           8
        .value_kind:     global_buffer
      - .offset:         80
        .size:           4
        .value_kind:     by_value
      - .offset:         84
        .size:           4
        .value_kind:     by_value
      - .offset:         88
        .size:           4
        .value_kind:     by_value
      - .offset:         92
        .size:           4
        .value_kind:     by_value
      - .offset:         96
        .size:           4
        .value_kind:     by_value
      - .offset:         100
        .size:           4
        .value_kind:     by_value
      - .offset:         104
        .size:           4
        .value_kind:     by_value
      - .offset:         108
        .size:           4
        .value_kind:     by_value
      - .offset:         112
        .size:           4
        .value_kind:     by_value
      - .offset:         116
        .size:           4
        .value_kind:     by_value
      - .offset:         120
        .size:           4
        .value_kind:     by_value
      - .offset:         124
        .size:           4
        .value_kind:     by_value
      - .offset:         128
        .size:           4
        .value_kind:     by_value
      - .offset:         132
        .size:           4
        .value_kind:     by_value
      - .offset:         136
        .size:           4
        .value_kind:     by_value
      - .offset:         144
        .size:           4
        .value_kind:     hidden_block_count_x
      - .offset:         148
        .size:           4
        .value_kind:     hidden_block_count_y
      - .offset:         152
        .size:           4
        .value_kind:     hidden_block_count_z
      - .offset:         156
        .size:           2
        .value_kind:     hidden_group_size_x
      - .offset:         158
        .size:           2
        .value_kind:     hidden_group_size_y
      - .offset:         160
        .size:           2
        .value_kind:     hidden_group_size_z
      - .offset:         162
        .size:           2
        .value_kind:     hidden_remainder_x
      - .offset:         164
        .size:           2
        .value_kind:     hidden_remainder_y
      - .offset:         166
        .size:           2
        .value_kind:     hidden_remainder_z
      - .offset:         184
        .size:           8
        .value_kind:     hidden_global_offset_x
      - .offset:         192
        .size:           8
        .value_kind:     hidden_global_offset_y
      - .offset:         200
        .size:           8
        .value_kind:     hidden_global_offset_z
      - .offset:         208
        .size:           2
        .value_kind:     hidden_grid_dims
    .group_segment_fixed_size: 32
    .kernarg_segment_align: 8
    .kernarg_segment_size: 400
    .language:       OpenCL C
    .language_version:
      - 2
      - 0
    .max_flat_workgroup_size: 1024
    .name:           _ZN5aiter35fused_qk_rmsnorm_group_quant_kernelIDF16_N4opus5fp4_tELi256ELi8ELi16ELb1ELb0ELb1ELb0ELb0ELb0EEEvPT0_PvPT_S7_S7_PKS6_S9_S9_S9_S9_ffiiiiiiiiiiiii
    .private_segment_fixed_size: 0
    .sgpr_count:     44
    .sgpr_spill_count: 0
    .symbol:         _ZN5aiter35fused_qk_rmsnorm_group_quant_kernelIDF16_N4opus5fp4_tELi256ELi8ELi16ELb1ELb0ELb1ELb0ELb0ELb0EEEvPT0_PvPT_S7_S7_PKS6_S9_S9_S9_S9_ffiiiiiiiiiiiii.kd
    .uniform_work_group_size: 1
    .uses_dynamic_stack: false
    .vgpr_count:     25
    .vgpr_spill_count: 0
    .wavefront_size: 64
  - .agpr_count:     0
    .args:
      - .actual_access:  write_only
        .address_space:  global
        .offset:         0
        .size:           8
        .value_kind:     global_buffer
      - .actual_access:  write_only
        .address_space:  global
        .offset:         8
        .size:           8
        .value_kind:     global_buffer
      - .actual_access:  read_only
        .address_space:  global
        .offset:         16
        .size:           8
        .value_kind:     global_buffer
      - .actual_access:  write_only
        .address_space:  global
        .offset:         24
        .size:           8
        .value_kind:     global_buffer
      - .actual_access:  write_only
        .address_space:  global
        .offset:         32
        .size:           8
        .value_kind:     global_buffer
      - .actual_access:  read_only
        .address_space:  global
        .offset:         40
        .size:           8
        .value_kind:     global_buffer
      - .actual_access:  read_only
        .address_space:  global
        .offset:         48
        .size:           8
        .value_kind:     global_buffer
      - .actual_access:  read_only
        .address_space:  global
        .offset:         56
        .size:           8
        .value_kind:     global_buffer
      - .actual_access:  read_only
        .address_space:  global
        .offset:         64
        .size:           8
        .value_kind:     global_buffer
      - .actual_access:  read_only
        .address_space:  global
        .offset:         72
        .size:           8
        .value_kind:     global_buffer
      - .offset:         80
        .size:           4
        .value_kind:     by_value
      - .offset:         84
        .size:           4
        .value_kind:     by_value
      - .offset:         88
        .size:           4
        .value_kind:     by_value
      - .offset:         92
        .size:           4
        .value_kind:     by_value
      - .offset:         96
        .size:           4
        .value_kind:     by_value
      - .offset:         100
        .size:           4
        .value_kind:     by_value
      - .offset:         104
        .size:           4
        .value_kind:     by_value
      - .offset:         108
        .size:           4
        .value_kind:     by_value
      - .offset:         112
        .size:           4
        .value_kind:     by_value
      - .offset:         116
        .size:           4
        .value_kind:     by_value
      - .offset:         120
        .size:           4
        .value_kind:     by_value
      - .offset:         124
        .size:           4
        .value_kind:     by_value
      - .offset:         128
        .size:           4
        .value_kind:     by_value
      - .offset:         132
        .size:           4
        .value_kind:     by_value
      - .offset:         136
        .size:           4
        .value_kind:     by_value
      - .offset:         144
        .size:           4
        .value_kind:     hidden_block_count_x
      - .offset:         148
        .size:           4
        .value_kind:     hidden_block_count_y
      - .offset:         152
        .size:           4
        .value_kind:     hidden_block_count_z
      - .offset:         156
        .size:           2
        .value_kind:     hidden_group_size_x
      - .offset:         158
        .size:           2
        .value_kind:     hidden_group_size_y
      - .offset:         160
        .size:           2
        .value_kind:     hidden_group_size_z
      - .offset:         162
        .size:           2
        .value_kind:     hidden_remainder_x
      - .offset:         164
        .size:           2
        .value_kind:     hidden_remainder_y
      - .offset:         166
        .size:           2
        .value_kind:     hidden_remainder_z
      - .offset:         184
        .size:           8
        .value_kind:     hidden_global_offset_x
      - .offset:         192
        .size:           8
        .value_kind:     hidden_global_offset_y
      - .offset:         200
        .size:           8
        .value_kind:     hidden_global_offset_z
      - .offset:         208
        .size:           2
        .value_kind:     hidden_grid_dims
    .group_segment_fixed_size: 32
    .kernarg_segment_align: 8
    .kernarg_segment_size: 400
    .language:       OpenCL C
    .language_version:
      - 2
      - 0
    .max_flat_workgroup_size: 1024
    .name:           _ZN5aiter35fused_qk_rmsnorm_group_quant_kernelItN4opus5fp4_tELi256ELi8ELi16ELb1ELb0ELb1ELb0ELb0ELb0EEEvPT0_PvPT_S7_S7_PKS6_S9_S9_S9_S9_ffiiiiiiiiiiiii
    .private_segment_fixed_size: 0
    .sgpr_count:     48
    .sgpr_spill_count: 0
    .symbol:         _ZN5aiter35fused_qk_rmsnorm_group_quant_kernelItN4opus5fp4_tELi256ELi8ELi16ELb1ELb0ELb1ELb0ELb0ELb0EEEvPT0_PvPT_S7_S7_PKS6_S9_S9_S9_S9_ffiiiiiiiiiiiii.kd
    .uniform_work_group_size: 1
    .uses_dynamic_stack: false
    .vgpr_count:     27
    .vgpr_spill_count: 0
    .wavefront_size: 64
  - .agpr_count:     0
    .args:
      - .actual_access:  write_only
        .address_space:  global
        .offset:         0
        .size:           8
        .value_kind:     global_buffer
      - .actual_access:  write_only
        .address_space:  global
        .offset:         8
        .size:           8
        .value_kind:     global_buffer
      - .actual_access:  read_only
        .address_space:  global
        .offset:         16
        .size:           8
        .value_kind:     global_buffer
      - .actual_access:  write_only
        .address_space:  global
        .offset:         24
        .size:           8
        .value_kind:     global_buffer
      - .actual_access:  write_only
        .address_space:  global
        .offset:         32
        .size:           8
        .value_kind:     global_buffer
      - .actual_access:  read_only
        .address_space:  global
        .offset:         40
        .size:           8
        .value_kind:     global_buffer
      - .actual_access:  read_only
        .address_space:  global
        .offset:         48
        .size:           8
        .value_kind:     global_buffer
      - .actual_access:  read_only
        .address_space:  global
        .offset:         56
        .size:           8
        .value_kind:     global_buffer
      - .actual_access:  read_only
        .address_space:  global
        .offset:         64
        .size:           8
        .value_kind:     global_buffer
      - .actual_access:  read_only
        .address_space:  global
        .offset:         72
        .size:           8
        .value_kind:     global_buffer
      - .offset:         80
        .size:           4
        .value_kind:     by_value
      - .offset:         84
        .size:           4
        .value_kind:     by_value
      - .offset:         88
        .size:           4
        .value_kind:     by_value
      - .offset:         92
        .size:           4
        .value_kind:     by_value
      - .offset:         96
        .size:           4
        .value_kind:     by_value
      - .offset:         100
        .size:           4
        .value_kind:     by_value
      - .offset:         104
        .size:           4
        .value_kind:     by_value
      - .offset:         108
        .size:           4
        .value_kind:     by_value
      - .offset:         112
        .size:           4
        .value_kind:     by_value
      - .offset:         116
        .size:           4
        .value_kind:     by_value
      - .offset:         120
        .size:           4
        .value_kind:     by_value
      - .offset:         124
        .size:           4
        .value_kind:     by_value
      - .offset:         128
        .size:           4
        .value_kind:     by_value
      - .offset:         132
        .size:           4
        .value_kind:     by_value
      - .offset:         136
        .size:           4
        .value_kind:     by_value
      - .offset:         144
        .size:           4
        .value_kind:     hidden_block_count_x
      - .offset:         148
        .size:           4
        .value_kind:     hidden_block_count_y
      - .offset:         152
        .size:           4
        .value_kind:     hidden_block_count_z
      - .offset:         156
        .size:           2
        .value_kind:     hidden_group_size_x
      - .offset:         158
        .size:           2
        .value_kind:     hidden_group_size_y
      - .offset:         160
        .size:           2
        .value_kind:     hidden_group_size_z
      - .offset:         162
        .size:           2
        .value_kind:     hidden_remainder_x
      - .offset:         164
        .size:           2
        .value_kind:     hidden_remainder_y
      - .offset:         166
        .size:           2
        .value_kind:     hidden_remainder_z
      - .offset:         184
        .size:           8
        .value_kind:     hidden_global_offset_x
      - .offset:         192
        .size:           8
        .value_kind:     hidden_global_offset_y
      - .offset:         200
        .size:           8
        .value_kind:     hidden_global_offset_z
      - .offset:         208
        .size:           2
        .value_kind:     hidden_grid_dims
    .group_segment_fixed_size: 32
    .kernarg_segment_align: 8
    .kernarg_segment_size: 400
    .language:       OpenCL C
    .language_version:
      - 2
      - 0
    .max_flat_workgroup_size: 1024
    .name:           _ZN5aiter35fused_qk_rmsnorm_group_quant_kernelIDF16_DB8_Li256ELi8ELi16ELb1ELb0ELb0ELb0ELb0ELb0EEEvPT0_PvPT_S6_S6_PKS5_S8_S8_S8_S8_ffiiiiiiiiiiiii
    .private_segment_fixed_size: 0
    .sgpr_count:     48
    .sgpr_spill_count: 0
    .symbol:         _ZN5aiter35fused_qk_rmsnorm_group_quant_kernelIDF16_DB8_Li256ELi8ELi16ELb1ELb0ELb0ELb0ELb0ELb0EEEvPT0_PvPT_S6_S6_PKS5_S8_S8_S8_S8_ffiiiiiiiiiiiii.kd
    .uniform_work_group_size: 1
    .uses_dynamic_stack: false
    .vgpr_count:     34
    .vgpr_spill_count: 0
    .wavefront_size: 64
  - .agpr_count:     0
    .args:
      - .actual_access:  write_only
        .address_space:  global
        .offset:         0
        .size:           8
        .value_kind:     global_buffer
      - .actual_access:  write_only
        .address_space:  global
        .offset:         8
        .size:           8
        .value_kind:     global_buffer
      - .actual_access:  read_only
        .address_space:  global
        .offset:         16
        .size:           8
        .value_kind:     global_buffer
      - .actual_access:  write_only
        .address_space:  global
        .offset:         24
        .size:           8
        .value_kind:     global_buffer
      - .actual_access:  write_only
        .address_space:  global
        .offset:         32
        .size:           8
        .value_kind:     global_buffer
      - .actual_access:  read_only
        .address_space:  global
        .offset:         40
        .size:           8
        .value_kind:     global_buffer
      - .actual_access:  read_only
        .address_space:  global
        .offset:         48
        .size:           8
        .value_kind:     global_buffer
      - .actual_access:  read_only
        .address_space:  global
        .offset:         56
        .size:           8
        .value_kind:     global_buffer
      - .actual_access:  read_only
        .address_space:  global
        .offset:         64
        .size:           8
        .value_kind:     global_buffer
      - .actual_access:  read_only
        .address_space:  global
        .offset:         72
        .size:           8
        .value_kind:     global_buffer
      - .offset:         80
        .size:           4
        .value_kind:     by_value
      - .offset:         84
        .size:           4
        .value_kind:     by_value
      - .offset:         88
        .size:           4
        .value_kind:     by_value
      - .offset:         92
        .size:           4
        .value_kind:     by_value
      - .offset:         96
        .size:           4
        .value_kind:     by_value
      - .offset:         100
        .size:           4
        .value_kind:     by_value
      - .offset:         104
        .size:           4
        .value_kind:     by_value
      - .offset:         108
        .size:           4
        .value_kind:     by_value
      - .offset:         112
        .size:           4
        .value_kind:     by_value
      - .offset:         116
        .size:           4
        .value_kind:     by_value
      - .offset:         120
        .size:           4
        .value_kind:     by_value
      - .offset:         124
        .size:           4
        .value_kind:     by_value
      - .offset:         128
        .size:           4
        .value_kind:     by_value
      - .offset:         132
        .size:           4
        .value_kind:     by_value
      - .offset:         136
        .size:           4
        .value_kind:     by_value
      - .offset:         144
        .size:           4
        .value_kind:     hidden_block_count_x
      - .offset:         148
        .size:           4
        .value_kind:     hidden_block_count_y
      - .offset:         152
        .size:           4
        .value_kind:     hidden_block_count_z
      - .offset:         156
        .size:           2
        .value_kind:     hidden_group_size_x
      - .offset:         158
        .size:           2
        .value_kind:     hidden_group_size_y
      - .offset:         160
        .size:           2
        .value_kind:     hidden_group_size_z
      - .offset:         162
        .size:           2
        .value_kind:     hidden_remainder_x
      - .offset:         164
        .size:           2
        .value_kind:     hidden_remainder_y
      - .offset:         166
        .size:           2
        .value_kind:     hidden_remainder_z
      - .offset:         184
        .size:           8
        .value_kind:     hidden_global_offset_x
      - .offset:         192
        .size:           8
        .value_kind:     hidden_global_offset_y
      - .offset:         200
        .size:           8
        .value_kind:     hidden_global_offset_z
      - .offset:         208
        .size:           2
        .value_kind:     hidden_grid_dims
    .group_segment_fixed_size: 32
    .kernarg_segment_align: 8
    .kernarg_segment_size: 400
    .language:       OpenCL C
    .language_version:
      - 2
      - 0
    .max_flat_workgroup_size: 1024
    .name:           _ZN5aiter35fused_qk_rmsnorm_group_quant_kernelItDB8_Li256ELi8ELi16ELb1ELb0ELb0ELb0ELb0ELb0EEEvPT0_PvPT_S6_S6_PKS5_S8_S8_S8_S8_ffiiiiiiiiiiiii
    .private_segment_fixed_size: 0
    .sgpr_count:     52
    .sgpr_spill_count: 0
    .symbol:         _ZN5aiter35fused_qk_rmsnorm_group_quant_kernelItDB8_Li256ELi8ELi16ELb1ELb0ELb0ELb0ELb0ELb0EEEvPT0_PvPT_S6_S6_PKS5_S8_S8_S8_S8_ffiiiiiiiiiiiii.kd
    .uniform_work_group_size: 1
    .uses_dynamic_stack: false
    .vgpr_count:     27
    .vgpr_spill_count: 0
    .wavefront_size: 64
  - .agpr_count:     0
    .args:
      - .actual_access:  write_only
        .address_space:  global
        .offset:         0
        .size:           8
        .value_kind:     global_buffer
      - .actual_access:  write_only
        .address_space:  global
        .offset:         8
        .size:           8
        .value_kind:     global_buffer
      - .actual_access:  read_only
        .address_space:  global
        .offset:         16
        .size:           8
        .value_kind:     global_buffer
      - .actual_access:  write_only
        .address_space:  global
        .offset:         24
        .size:           8
        .value_kind:     global_buffer
      - .actual_access:  write_only
        .address_space:  global
        .offset:         32
        .size:           8
        .value_kind:     global_buffer
      - .actual_access:  read_only
        .address_space:  global
        .offset:         40
        .size:           8
        .value_kind:     global_buffer
      - .actual_access:  read_only
        .address_space:  global
        .offset:         48
        .size:           8
        .value_kind:     global_buffer
      - .actual_access:  read_only
        .address_space:  global
        .offset:         56
        .size:           8
        .value_kind:     global_buffer
      - .actual_access:  read_only
        .address_space:  global
        .offset:         64
        .size:           8
        .value_kind:     global_buffer
      - .actual_access:  read_only
        .address_space:  global
        .offset:         72
        .size:           8
        .value_kind:     global_buffer
      - .offset:         80
        .size:           4
        .value_kind:     by_value
      - .offset:         84
        .size:           4
        .value_kind:     by_value
      - .offset:         88
        .size:           4
        .value_kind:     by_value
      - .offset:         92
        .size:           4
        .value_kind:     by_value
      - .offset:         96
        .size:           4
        .value_kind:     by_value
      - .offset:         100
        .size:           4
        .value_kind:     by_value
      - .offset:         104
        .size:           4
        .value_kind:     by_value
      - .offset:         108
        .size:           4
        .value_kind:     by_value
      - .offset:         112
        .size:           4
        .value_kind:     by_value
      - .offset:         116
        .size:           4
        .value_kind:     by_value
      - .offset:         120
        .size:           4
        .value_kind:     by_value
      - .offset:         124
        .size:           4
        .value_kind:     by_value
      - .offset:         128
        .size:           4
        .value_kind:     by_value
      - .offset:         132
        .size:           4
        .value_kind:     by_value
      - .offset:         136
        .size:           4
        .value_kind:     by_value
      - .offset:         144
        .size:           4
        .value_kind:     hidden_block_count_x
      - .offset:         148
        .size:           4
        .value_kind:     hidden_block_count_y
      - .offset:         152
        .size:           4
        .value_kind:     hidden_block_count_z
      - .offset:         156
        .size:           2
        .value_kind:     hidden_group_size_x
      - .offset:         158
        .size:           2
        .value_kind:     hidden_group_size_y
      - .offset:         160
        .size:           2
        .value_kind:     hidden_group_size_z
      - .offset:         162
        .size:           2
        .value_kind:     hidden_remainder_x
      - .offset:         164
        .size:           2
        .value_kind:     hidden_remainder_y
      - .offset:         166
        .size:           2
        .value_kind:     hidden_remainder_z
      - .offset:         184
        .size:           8
        .value_kind:     hidden_global_offset_x
      - .offset:         192
        .size:           8
        .value_kind:     hidden_global_offset_y
      - .offset:         200
        .size:           8
        .value_kind:     hidden_global_offset_z
      - .offset:         208
        .size:           2
        .value_kind:     hidden_grid_dims
    .group_segment_fixed_size: 32
    .kernarg_segment_align: 8
    .kernarg_segment_size: 400
    .language:       OpenCL C
    .language_version:
      - 2
      - 0
    .max_flat_workgroup_size: 1024
    .name:           _ZN5aiter35fused_qk_rmsnorm_group_quant_kernelIDF16_N4opus5fp4_tELi256ELi8ELi16ELb1ELb0ELb0ELb0ELb0ELb0EEEvPT0_PvPT_S7_S7_PKS6_S9_S9_S9_S9_ffiiiiiiiiiiiii
    .private_segment_fixed_size: 0
    .sgpr_count:     44
    .sgpr_spill_count: 0
    .symbol:         _ZN5aiter35fused_qk_rmsnorm_group_quant_kernelIDF16_N4opus5fp4_tELi256ELi8ELi16ELb1ELb0ELb0ELb0ELb0ELb0EEEvPT0_PvPT_S7_S7_PKS6_S9_S9_S9_S9_ffiiiiiiiiiiiii.kd
    .uniform_work_group_size: 1
    .uses_dynamic_stack: false
    .vgpr_count:     27
    .vgpr_spill_count: 0
    .wavefront_size: 64
  - .agpr_count:     0
    .args:
      - .actual_access:  write_only
        .address_space:  global
        .offset:         0
        .size:           8
        .value_kind:     global_buffer
      - .actual_access:  write_only
        .address_space:  global
        .offset:         8
        .size:           8
        .value_kind:     global_buffer
      - .actual_access:  read_only
        .address_space:  global
        .offset:         16
        .size:           8
        .value_kind:     global_buffer
      - .actual_access:  write_only
        .address_space:  global
        .offset:         24
        .size:           8
        .value_kind:     global_buffer
      - .actual_access:  write_only
        .address_space:  global
        .offset:         32
        .size:           8
        .value_kind:     global_buffer
      - .actual_access:  read_only
        .address_space:  global
        .offset:         40
        .size:           8
        .value_kind:     global_buffer
      - .actual_access:  read_only
        .address_space:  global
        .offset:         48
        .size:           8
        .value_kind:     global_buffer
      - .actual_access:  read_only
        .address_space:  global
        .offset:         56
        .size:           8
        .value_kind:     global_buffer
      - .actual_access:  read_only
        .address_space:  global
        .offset:         64
        .size:           8
        .value_kind:     global_buffer
      - .actual_access:  read_only
        .address_space:  global
        .offset:         72
        .size:           8
        .value_kind:     global_buffer
      - .offset:         80
        .size:           4
        .value_kind:     by_value
      - .offset:         84
        .size:           4
        .value_kind:     by_value
      - .offset:         88
        .size:           4
        .value_kind:     by_value
      - .offset:         92
        .size:           4
        .value_kind:     by_value
      - .offset:         96
        .size:           4
        .value_kind:     by_value
      - .offset:         100
        .size:           4
        .value_kind:     by_value
      - .offset:         104
        .size:           4
        .value_kind:     by_value
      - .offset:         108
        .size:           4
        .value_kind:     by_value
      - .offset:         112
        .size:           4
        .value_kind:     by_value
      - .offset:         116
        .size:           4
        .value_kind:     by_value
      - .offset:         120
        .size:           4
        .value_kind:     by_value
      - .offset:         124
        .size:           4
        .value_kind:     by_value
      - .offset:         128
        .size:           4
        .value_kind:     by_value
      - .offset:         132
        .size:           4
        .value_kind:     by_value
      - .offset:         136
        .size:           4
        .value_kind:     by_value
      - .offset:         144
        .size:           4
        .value_kind:     hidden_block_count_x
      - .offset:         148
        .size:           4
        .value_kind:     hidden_block_count_y
      - .offset:         152
        .size:           4
        .value_kind:     hidden_block_count_z
      - .offset:         156
        .size:           2
        .value_kind:     hidden_group_size_x
      - .offset:         158
        .size:           2
        .value_kind:     hidden_group_size_y
      - .offset:         160
        .size:           2
        .value_kind:     hidden_group_size_z
      - .offset:         162
        .size:           2
        .value_kind:     hidden_remainder_x
      - .offset:         164
        .size:           2
        .value_kind:     hidden_remainder_y
      - .offset:         166
        .size:           2
        .value_kind:     hidden_remainder_z
      - .offset:         184
        .size:           8
        .value_kind:     hidden_global_offset_x
      - .offset:         192
        .size:           8
        .value_kind:     hidden_global_offset_y
      - .offset:         200
        .size:           8
        .value_kind:     hidden_global_offset_z
      - .offset:         208
        .size:           2
        .value_kind:     hidden_grid_dims
    .group_segment_fixed_size: 32
    .kernarg_segment_align: 8
    .kernarg_segment_size: 400
    .language:       OpenCL C
    .language_version:
      - 2
      - 0
    .max_flat_workgroup_size: 1024
    .name:           _ZN5aiter35fused_qk_rmsnorm_group_quant_kernelItN4opus5fp4_tELi256ELi8ELi16ELb1ELb0ELb0ELb0ELb0ELb0EEEvPT0_PvPT_S7_S7_PKS6_S9_S9_S9_S9_ffiiiiiiiiiiiii
    .private_segment_fixed_size: 0
    .sgpr_count:     48
    .sgpr_spill_count: 0
    .symbol:         _ZN5aiter35fused_qk_rmsnorm_group_quant_kernelItN4opus5fp4_tELi256ELi8ELi16ELb1ELb0ELb0ELb0ELb0ELb0EEEvPT0_PvPT_S7_S7_PKS6_S9_S9_S9_S9_ffiiiiiiiiiiiii.kd
    .uniform_work_group_size: 1
    .uses_dynamic_stack: false
    .vgpr_count:     27
    .vgpr_spill_count: 0
    .wavefront_size: 64
  - .agpr_count:     0
    .args:
      - .actual_access:  write_only
        .address_space:  global
        .offset:         0
        .size:           8
        .value_kind:     global_buffer
      - .actual_access:  write_only
        .address_space:  global
        .offset:         8
        .size:           8
        .value_kind:     global_buffer
      - .actual_access:  write_only
        .address_space:  global
        .offset:         16
        .size:           8
        .value_kind:     global_buffer
      - .actual_access:  write_only
        .address_space:  global
        .offset:         24
        .size:           8
        .value_kind:     global_buffer
      - .actual_access:  read_only
        .address_space:  global
        .offset:         32
        .size:           8
        .value_kind:     global_buffer
      - .actual_access:  read_only
        .address_space:  global
        .offset:         40
        .size:           8
        .value_kind:     global_buffer
      - .actual_access:  read_only
        .address_space:  global
        .offset:         48
        .size:           8
        .value_kind:     global_buffer
      - .actual_access:  read_only
        .address_space:  global
        .offset:         56
        .size:           8
        .value_kind:     global_buffer
      - .actual_access:  read_only
        .address_space:  global
        .offset:         64
        .size:           8
        .value_kind:     global_buffer
      - .actual_access:  read_only
        .address_space:  global
        .offset:         72
        .size:           8
        .value_kind:     global_buffer
      - .offset:         80
        .size:           4
        .value_kind:     by_value
      - .offset:         84
        .size:           4
        .value_kind:     by_value
      - .offset:         88
        .size:           4
        .value_kind:     by_value
      - .offset:         92
        .size:           4
        .value_kind:     by_value
      - .offset:         96
        .size:           4
        .value_kind:     by_value
      - .offset:         100
        .size:           4
        .value_kind:     by_value
      - .offset:         104
        .size:           4
        .value_kind:     by_value
      - .offset:         108
        .size:           4
        .value_kind:     by_value
      - .offset:         112
        .size:           4
        .value_kind:     by_value
      - .offset:         116
        .size:           4
        .value_kind:     by_value
      - .offset:         120
        .size:           4
        .value_kind:     by_value
      - .offset:         124
        .size:           4
        .value_kind:     by_value
      - .offset:         128
        .size:           4
        .value_kind:     by_value
      - .offset:         132
        .size:           4
        .value_kind:     by_value
      - .offset:         136
        .size:           4
        .value_kind:     by_value
      - .offset:         144
        .size:           4
        .value_kind:     hidden_block_count_x
      - .offset:         148
        .size:           4
        .value_kind:     hidden_block_count_y
      - .offset:         152
        .size:           4
        .value_kind:     hidden_block_count_z
      - .offset:         156
        .size:           2
        .value_kind:     hidden_group_size_x
      - .offset:         158
        .size:           2
        .value_kind:     hidden_group_size_y
      - .offset:         160
        .size:           2
        .value_kind:     hidden_group_size_z
      - .offset:         162
        .size:           2
        .value_kind:     hidden_remainder_x
      - .offset:         164
        .size:           2
        .value_kind:     hidden_remainder_y
      - .offset:         166
        .size:           2
        .value_kind:     hidden_remainder_z
      - .offset:         184
        .size:           8
        .value_kind:     hidden_global_offset_x
      - .offset:         192
        .size:           8
        .value_kind:     hidden_global_offset_y
      - .offset:         200
        .size:           8
        .value_kind:     hidden_global_offset_z
      - .offset:         208
        .size:           2
        .value_kind:     hidden_grid_dims
    .group_segment_fixed_size: 32
    .kernarg_segment_align: 8
    .kernarg_segment_size: 400
    .language:       OpenCL C
    .language_version:
      - 2
      - 0
    .max_flat_workgroup_size: 1024
    .name:           _ZN5aiter35fused_qk_rmsnorm_group_quant_kernelIDF16_DB8_Li256ELi8ELi16ELb0ELb1ELb1ELb0ELb0ELb0EEEvPT0_PvPT_S6_S6_PKS5_S8_S8_S8_S8_ffiiiiiiiiiiiii
    .private_segment_fixed_size: 0
    .sgpr_count:     40
    .sgpr_spill_count: 0
    .symbol:         _ZN5aiter35fused_qk_rmsnorm_group_quant_kernelIDF16_DB8_Li256ELi8ELi16ELb0ELb1ELb1ELb0ELb0ELb0EEEvPT0_PvPT_S6_S6_PKS5_S8_S8_S8_S8_ffiiiiiiiiiiiii.kd
    .uniform_work_group_size: 1
    .uses_dynamic_stack: false
    .vgpr_count:     23
    .vgpr_spill_count: 0
    .wavefront_size: 64
  - .agpr_count:     0
    .args:
      - .actual_access:  write_only
        .address_space:  global
        .offset:         0
        .size:           8
        .value_kind:     global_buffer
      - .actual_access:  write_only
        .address_space:  global
        .offset:         8
        .size:           8
        .value_kind:     global_buffer
      - .actual_access:  write_only
        .address_space:  global
        .offset:         16
        .size:           8
        .value_kind:     global_buffer
      - .actual_access:  write_only
        .address_space:  global
        .offset:         24
        .size:           8
        .value_kind:     global_buffer
      - .actual_access:  read_only
        .address_space:  global
        .offset:         32
        .size:           8
        .value_kind:     global_buffer
      - .actual_access:  read_only
        .address_space:  global
        .offset:         40
        .size:           8
        .value_kind:     global_buffer
      - .actual_access:  read_only
        .address_space:  global
        .offset:         48
        .size:           8
        .value_kind:     global_buffer
      - .actual_access:  read_only
        .address_space:  global
        .offset:         56
        .size:           8
        .value_kind:     global_buffer
      - .actual_access:  read_only
        .address_space:  global
        .offset:         64
        .size:           8
        .value_kind:     global_buffer
      - .actual_access:  read_only
        .address_space:  global
        .offset:         72
        .size:           8
        .value_kind:     global_buffer
      - .offset:         80
        .size:           4
        .value_kind:     by_value
      - .offset:         84
        .size:           4
        .value_kind:     by_value
      - .offset:         88
        .size:           4
        .value_kind:     by_value
      - .offset:         92
        .size:           4
        .value_kind:     by_value
      - .offset:         96
        .size:           4
        .value_kind:     by_value
      - .offset:         100
        .size:           4
        .value_kind:     by_value
      - .offset:         104
        .size:           4
        .value_kind:     by_value
      - .offset:         108
        .size:           4
        .value_kind:     by_value
      - .offset:         112
        .size:           4
        .value_kind:     by_value
      - .offset:         116
        .size:           4
        .value_kind:     by_value
      - .offset:         120
        .size:           4
        .value_kind:     by_value
      - .offset:         124
        .size:           4
        .value_kind:     by_value
      - .offset:         128
        .size:           4
        .value_kind:     by_value
      - .offset:         132
        .size:           4
        .value_kind:     by_value
      - .offset:         136
        .size:           4
        .value_kind:     by_value
      - .offset:         144
        .size:           4
        .value_kind:     hidden_block_count_x
      - .offset:         148
        .size:           4
        .value_kind:     hidden_block_count_y
      - .offset:         152
        .size:           4
        .value_kind:     hidden_block_count_z
      - .offset:         156
        .size:           2
        .value_kind:     hidden_group_size_x
      - .offset:         158
        .size:           2
        .value_kind:     hidden_group_size_y
      - .offset:         160
        .size:           2
        .value_kind:     hidden_group_size_z
      - .offset:         162
        .size:           2
        .value_kind:     hidden_remainder_x
      - .offset:         164
        .size:           2
        .value_kind:     hidden_remainder_y
      - .offset:         166
        .size:           2
        .value_kind:     hidden_remainder_z
      - .offset:         184
        .size:           8
        .value_kind:     hidden_global_offset_x
      - .offset:         192
        .size:           8
        .value_kind:     hidden_global_offset_y
      - .offset:         200
        .size:           8
        .value_kind:     hidden_global_offset_z
      - .offset:         208
        .size:           2
        .value_kind:     hidden_grid_dims
    .group_segment_fixed_size: 32
    .kernarg_segment_align: 8
    .kernarg_segment_size: 400
    .language:       OpenCL C
    .language_version:
      - 2
      - 0
    .max_flat_workgroup_size: 1024
    .name:           _ZN5aiter35fused_qk_rmsnorm_group_quant_kernelItDB8_Li256ELi8ELi16ELb0ELb1ELb1ELb0ELb0ELb0EEEvPT0_PvPT_S6_S6_PKS5_S8_S8_S8_S8_ffiiiiiiiiiiiii
    .private_segment_fixed_size: 0
    .sgpr_count:     40
    .sgpr_spill_count: 0
    .symbol:         _ZN5aiter35fused_qk_rmsnorm_group_quant_kernelItDB8_Li256ELi8ELi16ELb0ELb1ELb1ELb0ELb0ELb0EEEvPT0_PvPT_S6_S6_PKS5_S8_S8_S8_S8_ffiiiiiiiiiiiii.kd
    .uniform_work_group_size: 1
    .uses_dynamic_stack: false
    .vgpr_count:     23
    .vgpr_spill_count: 0
    .wavefront_size: 64
  - .agpr_count:     0
    .args:
      - .actual_access:  write_only
        .address_space:  global
        .offset:         0
        .size:           8
        .value_kind:     global_buffer
      - .actual_access:  write_only
        .address_space:  global
        .offset:         8
        .size:           8
        .value_kind:     global_buffer
      - .actual_access:  write_only
        .address_space:  global
        .offset:         16
        .size:           8
        .value_kind:     global_buffer
      - .actual_access:  write_only
        .address_space:  global
        .offset:         24
        .size:           8
        .value_kind:     global_buffer
      - .actual_access:  read_only
        .address_space:  global
        .offset:         32
        .size:           8
        .value_kind:     global_buffer
      - .actual_access:  read_only
        .address_space:  global
        .offset:         40
        .size:           8
        .value_kind:     global_buffer
      - .actual_access:  read_only
        .address_space:  global
        .offset:         48
        .size:           8
        .value_kind:     global_buffer
      - .actual_access:  read_only
        .address_space:  global
        .offset:         56
        .size:           8
        .value_kind:     global_buffer
      - .actual_access:  read_only
        .address_space:  global
        .offset:         64
        .size:           8
        .value_kind:     global_buffer
      - .actual_access:  read_only
        .address_space:  global
        .offset:         72
        .size:           8
        .value_kind:     global_buffer
      - .offset:         80
        .size:           4
        .value_kind:     by_value
      - .offset:         84
        .size:           4
        .value_kind:     by_value
      - .offset:         88
        .size:           4
        .value_kind:     by_value
      - .offset:         92
        .size:           4
        .value_kind:     by_value
      - .offset:         96
        .size:           4
        .value_kind:     by_value
      - .offset:         100
        .size:           4
        .value_kind:     by_value
      - .offset:         104
        .size:           4
        .value_kind:     by_value
      - .offset:         108
        .size:           4
        .value_kind:     by_value
      - .offset:         112
        .size:           4
        .value_kind:     by_value
      - .offset:         116
        .size:           4
        .value_kind:     by_value
      - .offset:         120
        .size:           4
        .value_kind:     by_value
      - .offset:         124
        .size:           4
        .value_kind:     by_value
      - .offset:         128
        .size:           4
        .value_kind:     by_value
      - .offset:         132
        .size:           4
        .value_kind:     by_value
      - .offset:         136
        .size:           4
        .value_kind:     by_value
      - .offset:         144
        .size:           4
        .value_kind:     hidden_block_count_x
      - .offset:         148
        .size:           4
        .value_kind:     hidden_block_count_y
      - .offset:         152
        .size:           4
        .value_kind:     hidden_block_count_z
      - .offset:         156
        .size:           2
        .value_kind:     hidden_group_size_x
      - .offset:         158
        .size:           2
        .value_kind:     hidden_group_size_y
      - .offset:         160
        .size:           2
        .value_kind:     hidden_group_size_z
      - .offset:         162
        .size:           2
        .value_kind:     hidden_remainder_x
      - .offset:         164
        .size:           2
        .value_kind:     hidden_remainder_y
      - .offset:         166
        .size:           2
        .value_kind:     hidden_remainder_z
      - .offset:         184
        .size:           8
        .value_kind:     hidden_global_offset_x
      - .offset:         192
        .size:           8
        .value_kind:     hidden_global_offset_y
      - .offset:         200
        .size:           8
        .value_kind:     hidden_global_offset_z
      - .offset:         208
        .size:           2
        .value_kind:     hidden_grid_dims
    .group_segment_fixed_size: 32
    .kernarg_segment_align: 8
    .kernarg_segment_size: 400
    .language:       OpenCL C
    .language_version:
      - 2
      - 0
    .max_flat_workgroup_size: 1024
    .name:           _ZN5aiter35fused_qk_rmsnorm_group_quant_kernelIDF16_N4opus5fp4_tELi256ELi8ELi16ELb0ELb1ELb1ELb0ELb0ELb0EEEvPT0_PvPT_S7_S7_PKS6_S9_S9_S9_S9_ffiiiiiiiiiiiii
    .private_segment_fixed_size: 0
    .sgpr_count:     40
    .sgpr_spill_count: 0
    .symbol:         _ZN5aiter35fused_qk_rmsnorm_group_quant_kernelIDF16_N4opus5fp4_tELi256ELi8ELi16ELb0ELb1ELb1ELb0ELb0ELb0EEEvPT0_PvPT_S7_S7_PKS6_S9_S9_S9_S9_ffiiiiiiiiiiiii.kd
    .uniform_work_group_size: 1
    .uses_dynamic_stack: false
    .vgpr_count:     23
    .vgpr_spill_count: 0
    .wavefront_size: 64
  - .agpr_count:     0
    .args:
      - .actual_access:  write_only
        .address_space:  global
        .offset:         0
        .size:           8
        .value_kind:     global_buffer
      - .actual_access:  write_only
        .address_space:  global
        .offset:         8
        .size:           8
        .value_kind:     global_buffer
      - .actual_access:  write_only
        .address_space:  global
        .offset:         16
        .size:           8
        .value_kind:     global_buffer
      - .actual_access:  write_only
        .address_space:  global
        .offset:         24
        .size:           8
        .value_kind:     global_buffer
      - .actual_access:  read_only
        .address_space:  global
        .offset:         32
        .size:           8
        .value_kind:     global_buffer
      - .actual_access:  read_only
        .address_space:  global
        .offset:         40
        .size:           8
        .value_kind:     global_buffer
      - .actual_access:  read_only
        .address_space:  global
        .offset:         48
        .size:           8
        .value_kind:     global_buffer
      - .actual_access:  read_only
        .address_space:  global
        .offset:         56
        .size:           8
        .value_kind:     global_buffer
      - .actual_access:  read_only
        .address_space:  global
        .offset:         64
        .size:           8
        .value_kind:     global_buffer
      - .actual_access:  read_only
        .address_space:  global
        .offset:         72
        .size:           8
        .value_kind:     global_buffer
      - .offset:         80
        .size:           4
        .value_kind:     by_value
      - .offset:         84
        .size:           4
        .value_kind:     by_value
      - .offset:         88
        .size:           4
        .value_kind:     by_value
      - .offset:         92
        .size:           4
        .value_kind:     by_value
      - .offset:         96
        .size:           4
        .value_kind:     by_value
      - .offset:         100
        .size:           4
        .value_kind:     by_value
      - .offset:         104
        .size:           4
        .value_kind:     by_value
      - .offset:         108
        .size:           4
        .value_kind:     by_value
      - .offset:         112
        .size:           4
        .value_kind:     by_value
      - .offset:         116
        .size:           4
        .value_kind:     by_value
      - .offset:         120
        .size:           4
        .value_kind:     by_value
      - .offset:         124
        .size:           4
        .value_kind:     by_value
      - .offset:         128
        .size:           4
        .value_kind:     by_value
      - .offset:         132
        .size:           4
        .value_kind:     by_value
      - .offset:         136
        .size:           4
        .value_kind:     by_value
      - .offset:         144
        .size:           4
        .value_kind:     hidden_block_count_x
      - .offset:         148
        .size:           4
        .value_kind:     hidden_block_count_y
      - .offset:         152
        .size:           4
        .value_kind:     hidden_block_count_z
      - .offset:         156
        .size:           2
        .value_kind:     hidden_group_size_x
      - .offset:         158
        .size:           2
        .value_kind:     hidden_group_size_y
      - .offset:         160
        .size:           2
        .value_kind:     hidden_group_size_z
      - .offset:         162
        .size:           2
        .value_kind:     hidden_remainder_x
      - .offset:         164
        .size:           2
        .value_kind:     hidden_remainder_y
      - .offset:         166
        .size:           2
        .value_kind:     hidden_remainder_z
      - .offset:         184
        .size:           8
        .value_kind:     hidden_global_offset_x
      - .offset:         192
        .size:           8
        .value_kind:     hidden_global_offset_y
      - .offset:         200
        .size:           8
        .value_kind:     hidden_global_offset_z
      - .offset:         208
        .size:           2
        .value_kind:     hidden_grid_dims
    .group_segment_fixed_size: 32
    .kernarg_segment_align: 8
    .kernarg_segment_size: 400
    .language:       OpenCL C
    .language_version:
      - 2
      - 0
    .max_flat_workgroup_size: 1024
    .name:           _ZN5aiter35fused_qk_rmsnorm_group_quant_kernelItN4opus5fp4_tELi256ELi8ELi16ELb0ELb1ELb1ELb0ELb0ELb0EEEvPT0_PvPT_S7_S7_PKS6_S9_S9_S9_S9_ffiiiiiiiiiiiii
    .private_segment_fixed_size: 0
    .sgpr_count:     40
    .sgpr_spill_count: 0
    .symbol:         _ZN5aiter35fused_qk_rmsnorm_group_quant_kernelItN4opus5fp4_tELi256ELi8ELi16ELb0ELb1ELb1ELb0ELb0ELb0EEEvPT0_PvPT_S7_S7_PKS6_S9_S9_S9_S9_ffiiiiiiiiiiiii.kd
    .uniform_work_group_size: 1
    .uses_dynamic_stack: false
    .vgpr_count:     23
    .vgpr_spill_count: 0
    .wavefront_size: 64
  - .agpr_count:     0
    .args:
      - .actual_access:  write_only
        .address_space:  global
        .offset:         0
        .size:           8
        .value_kind:     global_buffer
      - .actual_access:  write_only
        .address_space:  global
        .offset:         8
        .size:           8
        .value_kind:     global_buffer
      - .actual_access:  write_only
        .address_space:  global
        .offset:         16
        .size:           8
        .value_kind:     global_buffer
      - .actual_access:  write_only
        .address_space:  global
        .offset:         24
        .size:           8
        .value_kind:     global_buffer
      - .actual_access:  read_only
        .address_space:  global
        .offset:         32
        .size:           8
        .value_kind:     global_buffer
      - .actual_access:  read_only
        .address_space:  global
        .offset:         40
        .size:           8
        .value_kind:     global_buffer
      - .actual_access:  read_only
        .address_space:  global
        .offset:         48
        .size:           8
        .value_kind:     global_buffer
      - .actual_access:  read_only
        .address_space:  global
        .offset:         56
        .size:           8
        .value_kind:     global_buffer
      - .actual_access:  read_only
        .address_space:  global
        .offset:         64
        .size:           8
        .value_kind:     global_buffer
      - .actual_access:  read_only
        .address_space:  global
        .offset:         72
        .size:           8
        .value_kind:     global_buffer
      - .offset:         80
        .size:           4
        .value_kind:     by_value
      - .offset:         84
        .size:           4
        .value_kind:     by_value
      - .offset:         88
        .size:           4
        .value_kind:     by_value
      - .offset:         92
        .size:           4
        .value_kind:     by_value
      - .offset:         96
        .size:           4
        .value_kind:     by_value
      - .offset:         100
        .size:           4
        .value_kind:     by_value
      - .offset:         104
        .size:           4
        .value_kind:     by_value
      - .offset:         108
        .size:           4
        .value_kind:     by_value
      - .offset:         112
        .size:           4
        .value_kind:     by_value
      - .offset:         116
        .size:           4
        .value_kind:     by_value
      - .offset:         120
        .size:           4
        .value_kind:     by_value
      - .offset:         124
        .size:           4
        .value_kind:     by_value
      - .offset:         128
        .size:           4
        .value_kind:     by_value
      - .offset:         132
        .size:           4
        .value_kind:     by_value
      - .offset:         136
        .size:           4
        .value_kind:     by_value
      - .offset:         144
        .size:           4
        .value_kind:     hidden_block_count_x
      - .offset:         148
        .size:           4
        .value_kind:     hidden_block_count_y
      - .offset:         152
        .size:           4
        .value_kind:     hidden_block_count_z
      - .offset:         156
        .size:           2
        .value_kind:     hidden_group_size_x
      - .offset:         158
        .size:           2
        .value_kind:     hidden_group_size_y
      - .offset:         160
        .size:           2
        .value_kind:     hidden_group_size_z
      - .offset:         162
        .size:           2
        .value_kind:     hidden_remainder_x
      - .offset:         164
        .size:           2
        .value_kind:     hidden_remainder_y
      - .offset:         166
        .size:           2
        .value_kind:     hidden_remainder_z
      - .offset:         184
        .size:           8
        .value_kind:     hidden_global_offset_x
      - .offset:         192
        .size:           8
        .value_kind:     hidden_global_offset_y
      - .offset:         200
        .size:           8
        .value_kind:     hidden_global_offset_z
      - .offset:         208
        .size:           2
        .value_kind:     hidden_grid_dims
    .group_segment_fixed_size: 32
    .kernarg_segment_align: 8
    .kernarg_segment_size: 400
    .language:       OpenCL C
    .language_version:
      - 2
      - 0
    .max_flat_workgroup_size: 1024
    .name:           _ZN5aiter35fused_qk_rmsnorm_group_quant_kernelIDF16_DB8_Li256ELi8ELi16ELb0ELb1ELb0ELb0ELb0ELb0EEEvPT0_PvPT_S6_S6_PKS5_S8_S8_S8_S8_ffiiiiiiiiiiiii
    .private_segment_fixed_size: 0
    .sgpr_count:     40
    .sgpr_spill_count: 0
    .symbol:         _ZN5aiter35fused_qk_rmsnorm_group_quant_kernelIDF16_DB8_Li256ELi8ELi16ELb0ELb1ELb0ELb0ELb0ELb0EEEvPT0_PvPT_S6_S6_PKS5_S8_S8_S8_S8_ffiiiiiiiiiiiii.kd
    .uniform_work_group_size: 1
    .uses_dynamic_stack: false
    .vgpr_count:     23
    .vgpr_spill_count: 0
    .wavefront_size: 64
  - .agpr_count:     0
    .args:
      - .actual_access:  write_only
        .address_space:  global
        .offset:         0
        .size:           8
        .value_kind:     global_buffer
      - .actual_access:  write_only
        .address_space:  global
        .offset:         8
        .size:           8
        .value_kind:     global_buffer
      - .actual_access:  write_only
        .address_space:  global
        .offset:         16
        .size:           8
        .value_kind:     global_buffer
      - .actual_access:  write_only
        .address_space:  global
        .offset:         24
        .size:           8
        .value_kind:     global_buffer
      - .actual_access:  read_only
        .address_space:  global
        .offset:         32
        .size:           8
        .value_kind:     global_buffer
      - .actual_access:  read_only
        .address_space:  global
        .offset:         40
        .size:           8
        .value_kind:     global_buffer
      - .actual_access:  read_only
        .address_space:  global
        .offset:         48
        .size:           8
        .value_kind:     global_buffer
      - .actual_access:  read_only
        .address_space:  global
        .offset:         56
        .size:           8
        .value_kind:     global_buffer
      - .actual_access:  read_only
        .address_space:  global
        .offset:         64
        .size:           8
        .value_kind:     global_buffer
      - .actual_access:  read_only
        .address_space:  global
        .offset:         72
        .size:           8
        .value_kind:     global_buffer
      - .offset:         80
        .size:           4
        .value_kind:     by_value
      - .offset:         84
        .size:           4
        .value_kind:     by_value
      - .offset:         88
        .size:           4
        .value_kind:     by_value
      - .offset:         92
        .size:           4
        .value_kind:     by_value
      - .offset:         96
        .size:           4
        .value_kind:     by_value
      - .offset:         100
        .size:           4
        .value_kind:     by_value
      - .offset:         104
        .size:           4
        .value_kind:     by_value
      - .offset:         108
        .size:           4
        .value_kind:     by_value
      - .offset:         112
        .size:           4
        .value_kind:     by_value
      - .offset:         116
        .size:           4
        .value_kind:     by_value
      - .offset:         120
        .size:           4
        .value_kind:     by_value
      - .offset:         124
        .size:           4
        .value_kind:     by_value
      - .offset:         128
        .size:           4
        .value_kind:     by_value
      - .offset:         132
        .size:           4
        .value_kind:     by_value
      - .offset:         136
        .size:           4
        .value_kind:     by_value
      - .offset:         144
        .size:           4
        .value_kind:     hidden_block_count_x
      - .offset:         148
        .size:           4
        .value_kind:     hidden_block_count_y
      - .offset:         152
        .size:           4
        .value_kind:     hidden_block_count_z
      - .offset:         156
        .size:           2
        .value_kind:     hidden_group_size_x
      - .offset:         158
        .size:           2
        .value_kind:     hidden_group_size_y
      - .offset:         160
        .size:           2
        .value_kind:     hidden_group_size_z
      - .offset:         162
        .size:           2
        .value_kind:     hidden_remainder_x
      - .offset:         164
        .size:           2
        .value_kind:     hidden_remainder_y
      - .offset:         166
        .size:           2
        .value_kind:     hidden_remainder_z
      - .offset:         184
        .size:           8
        .value_kind:     hidden_global_offset_x
      - .offset:         192
        .size:           8
        .value_kind:     hidden_global_offset_y
      - .offset:         200
        .size:           8
        .value_kind:     hidden_global_offset_z
      - .offset:         208
        .size:           2
        .value_kind:     hidden_grid_dims
    .group_segment_fixed_size: 32
    .kernarg_segment_align: 8
    .kernarg_segment_size: 400
    .language:       OpenCL C
    .language_version:
      - 2
      - 0
    .max_flat_workgroup_size: 1024
    .name:           _ZN5aiter35fused_qk_rmsnorm_group_quant_kernelItDB8_Li256ELi8ELi16ELb0ELb1ELb0ELb0ELb0ELb0EEEvPT0_PvPT_S6_S6_PKS5_S8_S8_S8_S8_ffiiiiiiiiiiiii
    .private_segment_fixed_size: 0
    .sgpr_count:     40
    .sgpr_spill_count: 0
    .symbol:         _ZN5aiter35fused_qk_rmsnorm_group_quant_kernelItDB8_Li256ELi8ELi16ELb0ELb1ELb0ELb0ELb0ELb0EEEvPT0_PvPT_S6_S6_PKS5_S8_S8_S8_S8_ffiiiiiiiiiiiii.kd
    .uniform_work_group_size: 1
    .uses_dynamic_stack: false
    .vgpr_count:     23
    .vgpr_spill_count: 0
    .wavefront_size: 64
  - .agpr_count:     0
    .args:
      - .actual_access:  write_only
        .address_space:  global
        .offset:         0
        .size:           8
        .value_kind:     global_buffer
      - .actual_access:  write_only
        .address_space:  global
        .offset:         8
        .size:           8
        .value_kind:     global_buffer
      - .actual_access:  write_only
        .address_space:  global
        .offset:         16
        .size:           8
        .value_kind:     global_buffer
      - .actual_access:  write_only
        .address_space:  global
        .offset:         24
        .size:           8
        .value_kind:     global_buffer
      - .actual_access:  read_only
        .address_space:  global
        .offset:         32
        .size:           8
        .value_kind:     global_buffer
      - .actual_access:  read_only
        .address_space:  global
        .offset:         40
        .size:           8
        .value_kind:     global_buffer
      - .actual_access:  read_only
        .address_space:  global
        .offset:         48
        .size:           8
        .value_kind:     global_buffer
      - .actual_access:  read_only
        .address_space:  global
        .offset:         56
        .size:           8
        .value_kind:     global_buffer
      - .actual_access:  read_only
        .address_space:  global
        .offset:         64
        .size:           8
        .value_kind:     global_buffer
      - .actual_access:  read_only
        .address_space:  global
        .offset:         72
        .size:           8
        .value_kind:     global_buffer
      - .offset:         80
        .size:           4
        .value_kind:     by_value
      - .offset:         84
        .size:           4
        .value_kind:     by_value
      - .offset:         88
        .size:           4
        .value_kind:     by_value
      - .offset:         92
        .size:           4
        .value_kind:     by_value
      - .offset:         96
        .size:           4
        .value_kind:     by_value
      - .offset:         100
        .size:           4
        .value_kind:     by_value
      - .offset:         104
        .size:           4
        .value_kind:     by_value
      - .offset:         108
        .size:           4
        .value_kind:     by_value
      - .offset:         112
        .size:           4
        .value_kind:     by_value
      - .offset:         116
        .size:           4
        .value_kind:     by_value
      - .offset:         120
        .size:           4
        .value_kind:     by_value
      - .offset:         124
        .size:           4
        .value_kind:     by_value
      - .offset:         128
        .size:           4
        .value_kind:     by_value
      - .offset:         132
        .size:           4
        .value_kind:     by_value
      - .offset:         136
        .size:           4
        .value_kind:     by_value
      - .offset:         144
        .size:           4
        .value_kind:     hidden_block_count_x
      - .offset:         148
        .size:           4
        .value_kind:     hidden_block_count_y
      - .offset:         152
        .size:           4
        .value_kind:     hidden_block_count_z
      - .offset:         156
        .size:           2
        .value_kind:     hidden_group_size_x
      - .offset:         158
        .size:           2
        .value_kind:     hidden_group_size_y
      - .offset:         160
        .size:           2
        .value_kind:     hidden_group_size_z
      - .offset:         162
        .size:           2
        .value_kind:     hidden_remainder_x
      - .offset:         164
        .size:           2
        .value_kind:     hidden_remainder_y
      - .offset:         166
        .size:           2
        .value_kind:     hidden_remainder_z
      - .offset:         184
        .size:           8
        .value_kind:     hidden_global_offset_x
      - .offset:         192
        .size:           8
        .value_kind:     hidden_global_offset_y
      - .offset:         200
        .size:           8
        .value_kind:     hidden_global_offset_z
      - .offset:         208
        .size:           2
        .value_kind:     hidden_grid_dims
    .group_segment_fixed_size: 32
    .kernarg_segment_align: 8
    .kernarg_segment_size: 400
    .language:       OpenCL C
    .language_version:
      - 2
      - 0
    .max_flat_workgroup_size: 1024
    .name:           _ZN5aiter35fused_qk_rmsnorm_group_quant_kernelIDF16_N4opus5fp4_tELi256ELi8ELi16ELb0ELb1ELb0ELb0ELb0ELb0EEEvPT0_PvPT_S7_S7_PKS6_S9_S9_S9_S9_ffiiiiiiiiiiiii
    .private_segment_fixed_size: 0
    .sgpr_count:     40
    .sgpr_spill_count: 0
    .symbol:         _ZN5aiter35fused_qk_rmsnorm_group_quant_kernelIDF16_N4opus5fp4_tELi256ELi8ELi16ELb0ELb1ELb0ELb0ELb0ELb0EEEvPT0_PvPT_S7_S7_PKS6_S9_S9_S9_S9_ffiiiiiiiiiiiii.kd
    .uniform_work_group_size: 1
    .uses_dynamic_stack: false
    .vgpr_count:     23
    .vgpr_spill_count: 0
    .wavefront_size: 64
  - .agpr_count:     0
    .args:
      - .actual_access:  write_only
        .address_space:  global
        .offset:         0
        .size:           8
        .value_kind:     global_buffer
      - .actual_access:  write_only
        .address_space:  global
        .offset:         8
        .size:           8
        .value_kind:     global_buffer
      - .actual_access:  write_only
        .address_space:  global
        .offset:         16
        .size:           8
        .value_kind:     global_buffer
      - .actual_access:  write_only
        .address_space:  global
        .offset:         24
        .size:           8
        .value_kind:     global_buffer
      - .actual_access:  read_only
        .address_space:  global
        .offset:         32
        .size:           8
        .value_kind:     global_buffer
      - .actual_access:  read_only
        .address_space:  global
        .offset:         40
        .size:           8
        .value_kind:     global_buffer
      - .actual_access:  read_only
        .address_space:  global
        .offset:         48
        .size:           8
        .value_kind:     global_buffer
      - .actual_access:  read_only
        .address_space:  global
        .offset:         56
        .size:           8
        .value_kind:     global_buffer
      - .actual_access:  read_only
        .address_space:  global
        .offset:         64
        .size:           8
        .value_kind:     global_buffer
      - .actual_access:  read_only
        .address_space:  global
        .offset:         72
        .size:           8
        .value_kind:     global_buffer
      - .offset:         80
        .size:           4
        .value_kind:     by_value
      - .offset:         84
        .size:           4
        .value_kind:     by_value
      - .offset:         88
        .size:           4
        .value_kind:     by_value
      - .offset:         92
        .size:           4
        .value_kind:     by_value
      - .offset:         96
        .size:           4
        .value_kind:     by_value
      - .offset:         100
        .size:           4
        .value_kind:     by_value
      - .offset:         104
        .size:           4
        .value_kind:     by_value
      - .offset:         108
        .size:           4
        .value_kind:     by_value
      - .offset:         112
        .size:           4
        .value_kind:     by_value
      - .offset:         116
        .size:           4
        .value_kind:     by_value
      - .offset:         120
        .size:           4
        .value_kind:     by_value
      - .offset:         124
        .size:           4
        .value_kind:     by_value
      - .offset:         128
        .size:           4
        .value_kind:     by_value
      - .offset:         132
        .size:           4
        .value_kind:     by_value
      - .offset:         136
        .size:           4
        .value_kind:     by_value
      - .offset:         144
        .size:           4
        .value_kind:     hidden_block_count_x
      - .offset:         148
        .size:           4
        .value_kind:     hidden_block_count_y
      - .offset:         152
        .size:           4
        .value_kind:     hidden_block_count_z
      - .offset:         156
        .size:           2
        .value_kind:     hidden_group_size_x
      - .offset:         158
        .size:           2
        .value_kind:     hidden_group_size_y
      - .offset:         160
        .size:           2
        .value_kind:     hidden_group_size_z
      - .offset:         162
        .size:           2
        .value_kind:     hidden_remainder_x
      - .offset:         164
        .size:           2
        .value_kind:     hidden_remainder_y
      - .offset:         166
        .size:           2
        .value_kind:     hidden_remainder_z
      - .offset:         184
        .size:           8
        .value_kind:     hidden_global_offset_x
      - .offset:         192
        .size:           8
        .value_kind:     hidden_global_offset_y
      - .offset:         200
        .size:           8
        .value_kind:     hidden_global_offset_z
      - .offset:         208
        .size:           2
        .value_kind:     hidden_grid_dims
    .group_segment_fixed_size: 32
    .kernarg_segment_align: 8
    .kernarg_segment_size: 400
    .language:       OpenCL C
    .language_version:
      - 2
      - 0
    .max_flat_workgroup_size: 1024
    .name:           _ZN5aiter35fused_qk_rmsnorm_group_quant_kernelItN4opus5fp4_tELi256ELi8ELi16ELb0ELb1ELb0ELb0ELb0ELb0EEEvPT0_PvPT_S7_S7_PKS6_S9_S9_S9_S9_ffiiiiiiiiiiiii
    .private_segment_fixed_size: 0
    .sgpr_count:     40
    .sgpr_spill_count: 0
    .symbol:         _ZN5aiter35fused_qk_rmsnorm_group_quant_kernelItN4opus5fp4_tELi256ELi8ELi16ELb0ELb1ELb0ELb0ELb0ELb0EEEvPT0_PvPT_S7_S7_PKS6_S9_S9_S9_S9_ffiiiiiiiiiiiii.kd
    .uniform_work_group_size: 1
    .uses_dynamic_stack: false
    .vgpr_count:     23
    .vgpr_spill_count: 0
    .wavefront_size: 64
  - .agpr_count:     0
    .args:
      - .actual_access:  write_only
        .address_space:  global
        .offset:         0
        .size:           8
        .value_kind:     global_buffer
      - .actual_access:  write_only
        .address_space:  global
        .offset:         8
        .size:           8
        .value_kind:     global_buffer
      - .actual_access:  read_only
        .address_space:  global
        .offset:         16
        .size:           8
        .value_kind:     global_buffer
      - .actual_access:  write_only
        .address_space:  global
        .offset:         24
        .size:           8
        .value_kind:     global_buffer
      - .actual_access:  read_only
        .address_space:  global
        .offset:         32
        .size:           8
        .value_kind:     global_buffer
      - .actual_access:  read_only
        .address_space:  global
        .offset:         40
        .size:           8
        .value_kind:     global_buffer
      - .actual_access:  read_only
        .address_space:  global
        .offset:         48
        .size:           8
        .value_kind:     global_buffer
      - .actual_access:  read_only
        .address_space:  global
        .offset:         56
        .size:           8
        .value_kind:     global_buffer
      - .actual_access:  read_only
        .address_space:  global
        .offset:         64
        .size:           8
        .value_kind:     global_buffer
      - .actual_access:  read_only
        .address_space:  global
        .offset:         72
        .size:           8
        .value_kind:     global_buffer
      - .offset:         80
        .size:           4
        .value_kind:     by_value
      - .offset:         84
        .size:           4
        .value_kind:     by_value
      - .offset:         88
        .size:           4
        .value_kind:     by_value
      - .offset:         92
        .size:           4
        .value_kind:     by_value
      - .offset:         96
        .size:           4
        .value_kind:     by_value
      - .offset:         100
        .size:           4
        .value_kind:     by_value
      - .offset:         104
        .size:           4
        .value_kind:     by_value
      - .offset:         108
        .size:           4
        .value_kind:     by_value
      - .offset:         112
        .size:           4
        .value_kind:     by_value
      - .offset:         116
        .size:           4
        .value_kind:     by_value
      - .offset:         120
        .size:           4
        .value_kind:     by_value
      - .offset:         124
        .size:           4
        .value_kind:     by_value
      - .offset:         128
        .size:           4
        .value_kind:     by_value
      - .offset:         132
        .size:           4
        .value_kind:     by_value
      - .offset:         136
        .size:           4
        .value_kind:     by_value
      - .offset:         144
        .size:           4
        .value_kind:     hidden_block_count_x
      - .offset:         148
        .size:           4
        .value_kind:     hidden_block_count_y
      - .offset:         152
        .size:           4
        .value_kind:     hidden_block_count_z
      - .offset:         156
        .size:           2
        .value_kind:     hidden_group_size_x
      - .offset:         158
        .size:           2
        .value_kind:     hidden_group_size_y
      - .offset:         160
        .size:           2
        .value_kind:     hidden_group_size_z
      - .offset:         162
        .size:           2
        .value_kind:     hidden_remainder_x
      - .offset:         164
        .size:           2
        .value_kind:     hidden_remainder_y
      - .offset:         166
        .size:           2
        .value_kind:     hidden_remainder_z
      - .offset:         184
        .size:           8
        .value_kind:     hidden_global_offset_x
      - .offset:         192
        .size:           8
        .value_kind:     hidden_global_offset_y
      - .offset:         200
        .size:           8
        .value_kind:     hidden_global_offset_z
      - .offset:         208
        .size:           2
        .value_kind:     hidden_grid_dims
    .group_segment_fixed_size: 32
    .kernarg_segment_align: 8
    .kernarg_segment_size: 400
    .language:       OpenCL C
    .language_version:
      - 2
      - 0
    .max_flat_workgroup_size: 1024
    .name:           _ZN5aiter35fused_qk_rmsnorm_group_quant_kernelIDF16_DB8_Li256ELi8ELi16ELb0ELb0ELb1ELb0ELb0ELb0EEEvPT0_PvPT_S6_S6_PKS5_S8_S8_S8_S8_ffiiiiiiiiiiiii
    .private_segment_fixed_size: 0
    .sgpr_count:     36
    .sgpr_spill_count: 0
    .symbol:         _ZN5aiter35fused_qk_rmsnorm_group_quant_kernelIDF16_DB8_Li256ELi8ELi16ELb0ELb0ELb1ELb0ELb0ELb0EEEvPT0_PvPT_S6_S6_PKS5_S8_S8_S8_S8_ffiiiiiiiiiiiii.kd
    .uniform_work_group_size: 1
    .uses_dynamic_stack: false
    .vgpr_count:     23
    .vgpr_spill_count: 0
    .wavefront_size: 64
  - .agpr_count:     0
    .args:
      - .actual_access:  write_only
        .address_space:  global
        .offset:         0
        .size:           8
        .value_kind:     global_buffer
      - .actual_access:  write_only
        .address_space:  global
        .offset:         8
        .size:           8
        .value_kind:     global_buffer
      - .actual_access:  read_only
        .address_space:  global
        .offset:         16
        .size:           8
        .value_kind:     global_buffer
      - .actual_access:  write_only
        .address_space:  global
        .offset:         24
        .size:           8
        .value_kind:     global_buffer
      - .actual_access:  read_only
        .address_space:  global
        .offset:         32
        .size:           8
        .value_kind:     global_buffer
      - .actual_access:  read_only
        .address_space:  global
        .offset:         40
        .size:           8
        .value_kind:     global_buffer
      - .actual_access:  read_only
        .address_space:  global
        .offset:         48
        .size:           8
        .value_kind:     global_buffer
      - .actual_access:  read_only
        .address_space:  global
        .offset:         56
        .size:           8
        .value_kind:     global_buffer
      - .actual_access:  read_only
        .address_space:  global
        .offset:         64
        .size:           8
        .value_kind:     global_buffer
      - .actual_access:  read_only
        .address_space:  global
        .offset:         72
        .size:           8
        .value_kind:     global_buffer
      - .offset:         80
        .size:           4
        .value_kind:     by_value
      - .offset:         84
        .size:           4
        .value_kind:     by_value
      - .offset:         88
        .size:           4
        .value_kind:     by_value
      - .offset:         92
        .size:           4
        .value_kind:     by_value
      - .offset:         96
        .size:           4
        .value_kind:     by_value
      - .offset:         100
        .size:           4
        .value_kind:     by_value
      - .offset:         104
        .size:           4
        .value_kind:     by_value
      - .offset:         108
        .size:           4
        .value_kind:     by_value
      - .offset:         112
        .size:           4
        .value_kind:     by_value
      - .offset:         116
        .size:           4
        .value_kind:     by_value
      - .offset:         120
        .size:           4
        .value_kind:     by_value
      - .offset:         124
        .size:           4
        .value_kind:     by_value
      - .offset:         128
        .size:           4
        .value_kind:     by_value
      - .offset:         132
        .size:           4
        .value_kind:     by_value
      - .offset:         136
        .size:           4
        .value_kind:     by_value
      - .offset:         144
        .size:           4
        .value_kind:     hidden_block_count_x
      - .offset:         148
        .size:           4
        .value_kind:     hidden_block_count_y
      - .offset:         152
        .size:           4
        .value_kind:     hidden_block_count_z
      - .offset:         156
        .size:           2
        .value_kind:     hidden_group_size_x
      - .offset:         158
        .size:           2
        .value_kind:     hidden_group_size_y
      - .offset:         160
        .size:           2
        .value_kind:     hidden_group_size_z
      - .offset:         162
        .size:           2
        .value_kind:     hidden_remainder_x
      - .offset:         164
        .size:           2
        .value_kind:     hidden_remainder_y
      - .offset:         166
        .size:           2
        .value_kind:     hidden_remainder_z
      - .offset:         184
        .size:           8
        .value_kind:     hidden_global_offset_x
      - .offset:         192
        .size:           8
        .value_kind:     hidden_global_offset_y
      - .offset:         200
        .size:           8
        .value_kind:     hidden_global_offset_z
      - .offset:         208
        .size:           2
        .value_kind:     hidden_grid_dims
    .group_segment_fixed_size: 32
    .kernarg_segment_align: 8
    .kernarg_segment_size: 400
    .language:       OpenCL C
    .language_version:
      - 2
      - 0
    .max_flat_workgroup_size: 1024
    .name:           _ZN5aiter35fused_qk_rmsnorm_group_quant_kernelItDB8_Li256ELi8ELi16ELb0ELb0ELb1ELb0ELb0ELb0EEEvPT0_PvPT_S6_S6_PKS5_S8_S8_S8_S8_ffiiiiiiiiiiiii
    .private_segment_fixed_size: 0
    .sgpr_count:     36
    .sgpr_spill_count: 0
    .symbol:         _ZN5aiter35fused_qk_rmsnorm_group_quant_kernelItDB8_Li256ELi8ELi16ELb0ELb0ELb1ELb0ELb0ELb0EEEvPT0_PvPT_S6_S6_PKS5_S8_S8_S8_S8_ffiiiiiiiiiiiii.kd
    .uniform_work_group_size: 1
    .uses_dynamic_stack: false
    .vgpr_count:     23
    .vgpr_spill_count: 0
    .wavefront_size: 64
  - .agpr_count:     0
    .args:
      - .actual_access:  write_only
        .address_space:  global
        .offset:         0
        .size:           8
        .value_kind:     global_buffer
      - .actual_access:  write_only
        .address_space:  global
        .offset:         8
        .size:           8
        .value_kind:     global_buffer
      - .actual_access:  read_only
        .address_space:  global
        .offset:         16
        .size:           8
        .value_kind:     global_buffer
      - .actual_access:  write_only
        .address_space:  global
        .offset:         24
        .size:           8
        .value_kind:     global_buffer
      - .actual_access:  read_only
        .address_space:  global
        .offset:         32
        .size:           8
        .value_kind:     global_buffer
      - .actual_access:  read_only
        .address_space:  global
        .offset:         40
        .size:           8
        .value_kind:     global_buffer
      - .actual_access:  read_only
        .address_space:  global
        .offset:         48
        .size:           8
        .value_kind:     global_buffer
      - .actual_access:  read_only
        .address_space:  global
        .offset:         56
        .size:           8
        .value_kind:     global_buffer
      - .actual_access:  read_only
        .address_space:  global
        .offset:         64
        .size:           8
        .value_kind:     global_buffer
      - .actual_access:  read_only
        .address_space:  global
        .offset:         72
        .size:           8
        .value_kind:     global_buffer
      - .offset:         80
        .size:           4
        .value_kind:     by_value
      - .offset:         84
        .size:           4
        .value_kind:     by_value
      - .offset:         88
        .size:           4
        .value_kind:     by_value
      - .offset:         92
        .size:           4
        .value_kind:     by_value
      - .offset:         96
        .size:           4
        .value_kind:     by_value
      - .offset:         100
        .size:           4
        .value_kind:     by_value
      - .offset:         104
        .size:           4
        .value_kind:     by_value
      - .offset:         108
        .size:           4
        .value_kind:     by_value
      - .offset:         112
        .size:           4
        .value_kind:     by_value
      - .offset:         116
        .size:           4
        .value_kind:     by_value
      - .offset:         120
        .size:           4
        .value_kind:     by_value
      - .offset:         124
        .size:           4
        .value_kind:     by_value
      - .offset:         128
        .size:           4
        .value_kind:     by_value
      - .offset:         132
        .size:           4
        .value_kind:     by_value
      - .offset:         136
        .size:           4
        .value_kind:     by_value
      - .offset:         144
        .size:           4
        .value_kind:     hidden_block_count_x
      - .offset:         148
        .size:           4
        .value_kind:     hidden_block_count_y
      - .offset:         152
        .size:           4
        .value_kind:     hidden_block_count_z
      - .offset:         156
        .size:           2
        .value_kind:     hidden_group_size_x
      - .offset:         158
        .size:           2
        .value_kind:     hidden_group_size_y
      - .offset:         160
        .size:           2
        .value_kind:     hidden_group_size_z
      - .offset:         162
        .size:           2
        .value_kind:     hidden_remainder_x
      - .offset:         164
        .size:           2
        .value_kind:     hidden_remainder_y
      - .offset:         166
        .size:           2
        .value_kind:     hidden_remainder_z
      - .offset:         184
        .size:           8
        .value_kind:     hidden_global_offset_x
      - .offset:         192
        .size:           8
        .value_kind:     hidden_global_offset_y
      - .offset:         200
        .size:           8
        .value_kind:     hidden_global_offset_z
      - .offset:         208
        .size:           2
        .value_kind:     hidden_grid_dims
    .group_segment_fixed_size: 32
    .kernarg_segment_align: 8
    .kernarg_segment_size: 400
    .language:       OpenCL C
    .language_version:
      - 2
      - 0
    .max_flat_workgroup_size: 1024
    .name:           _ZN5aiter35fused_qk_rmsnorm_group_quant_kernelIDF16_N4opus5fp4_tELi256ELi8ELi16ELb0ELb0ELb1ELb0ELb0ELb0EEEvPT0_PvPT_S7_S7_PKS6_S9_S9_S9_S9_ffiiiiiiiiiiiii
    .private_segment_fixed_size: 0
    .sgpr_count:     36
    .sgpr_spill_count: 0
    .symbol:         _ZN5aiter35fused_qk_rmsnorm_group_quant_kernelIDF16_N4opus5fp4_tELi256ELi8ELi16ELb0ELb0ELb1ELb0ELb0ELb0EEEvPT0_PvPT_S7_S7_PKS6_S9_S9_S9_S9_ffiiiiiiiiiiiii.kd
    .uniform_work_group_size: 1
    .uses_dynamic_stack: false
    .vgpr_count:     23
    .vgpr_spill_count: 0
    .wavefront_size: 64
  - .agpr_count:     0
    .args:
      - .actual_access:  write_only
        .address_space:  global
        .offset:         0
        .size:           8
        .value_kind:     global_buffer
      - .actual_access:  write_only
        .address_space:  global
        .offset:         8
        .size:           8
        .value_kind:     global_buffer
      - .actual_access:  read_only
        .address_space:  global
        .offset:         16
        .size:           8
        .value_kind:     global_buffer
      - .actual_access:  write_only
        .address_space:  global
        .offset:         24
        .size:           8
        .value_kind:     global_buffer
      - .actual_access:  read_only
        .address_space:  global
        .offset:         32
        .size:           8
        .value_kind:     global_buffer
      - .actual_access:  read_only
        .address_space:  global
        .offset:         40
        .size:           8
        .value_kind:     global_buffer
      - .actual_access:  read_only
        .address_space:  global
        .offset:         48
        .size:           8
        .value_kind:     global_buffer
      - .actual_access:  read_only
        .address_space:  global
        .offset:         56
        .size:           8
        .value_kind:     global_buffer
      - .actual_access:  read_only
        .address_space:  global
        .offset:         64
        .size:           8
        .value_kind:     global_buffer
      - .actual_access:  read_only
        .address_space:  global
        .offset:         72
        .size:           8
        .value_kind:     global_buffer
      - .offset:         80
        .size:           4
        .value_kind:     by_value
      - .offset:         84
        .size:           4
        .value_kind:     by_value
      - .offset:         88
        .size:           4
        .value_kind:     by_value
      - .offset:         92
        .size:           4
        .value_kind:     by_value
      - .offset:         96
        .size:           4
        .value_kind:     by_value
      - .offset:         100
        .size:           4
        .value_kind:     by_value
      - .offset:         104
        .size:           4
        .value_kind:     by_value
      - .offset:         108
        .size:           4
        .value_kind:     by_value
      - .offset:         112
        .size:           4
        .value_kind:     by_value
      - .offset:         116
        .size:           4
        .value_kind:     by_value
      - .offset:         120
        .size:           4
        .value_kind:     by_value
      - .offset:         124
        .size:           4
        .value_kind:     by_value
      - .offset:         128
        .size:           4
        .value_kind:     by_value
      - .offset:         132
        .size:           4
        .value_kind:     by_value
      - .offset:         136
        .size:           4
        .value_kind:     by_value
      - .offset:         144
        .size:           4
        .value_kind:     hidden_block_count_x
      - .offset:         148
        .size:           4
        .value_kind:     hidden_block_count_y
      - .offset:         152
        .size:           4
        .value_kind:     hidden_block_count_z
      - .offset:         156
        .size:           2
        .value_kind:     hidden_group_size_x
      - .offset:         158
        .size:           2
        .value_kind:     hidden_group_size_y
      - .offset:         160
        .size:           2
        .value_kind:     hidden_group_size_z
      - .offset:         162
        .size:           2
        .value_kind:     hidden_remainder_x
      - .offset:         164
        .size:           2
        .value_kind:     hidden_remainder_y
      - .offset:         166
        .size:           2
        .value_kind:     hidden_remainder_z
      - .offset:         184
        .size:           8
        .value_kind:     hidden_global_offset_x
      - .offset:         192
        .size:           8
        .value_kind:     hidden_global_offset_y
      - .offset:         200
        .size:           8
        .value_kind:     hidden_global_offset_z
      - .offset:         208
        .size:           2
        .value_kind:     hidden_grid_dims
    .group_segment_fixed_size: 32
    .kernarg_segment_align: 8
    .kernarg_segment_size: 400
    .language:       OpenCL C
    .language_version:
      - 2
      - 0
    .max_flat_workgroup_size: 1024
    .name:           _ZN5aiter35fused_qk_rmsnorm_group_quant_kernelItN4opus5fp4_tELi256ELi8ELi16ELb0ELb0ELb1ELb0ELb0ELb0EEEvPT0_PvPT_S7_S7_PKS6_S9_S9_S9_S9_ffiiiiiiiiiiiii
    .private_segment_fixed_size: 0
    .sgpr_count:     36
    .sgpr_spill_count: 0
    .symbol:         _ZN5aiter35fused_qk_rmsnorm_group_quant_kernelItN4opus5fp4_tELi256ELi8ELi16ELb0ELb0ELb1ELb0ELb0ELb0EEEvPT0_PvPT_S7_S7_PKS6_S9_S9_S9_S9_ffiiiiiiiiiiiii.kd
    .uniform_work_group_size: 1
    .uses_dynamic_stack: false
    .vgpr_count:     23
    .vgpr_spill_count: 0
    .wavefront_size: 64
  - .agpr_count:     0
    .args:
      - .actual_access:  write_only
        .address_space:  global
        .offset:         0
        .size:           8
        .value_kind:     global_buffer
      - .actual_access:  write_only
        .address_space:  global
        .offset:         8
        .size:           8
        .value_kind:     global_buffer
      - .actual_access:  read_only
        .address_space:  global
        .offset:         16
        .size:           8
        .value_kind:     global_buffer
      - .actual_access:  write_only
        .address_space:  global
        .offset:         24
        .size:           8
        .value_kind:     global_buffer
      - .actual_access:  read_only
        .address_space:  global
        .offset:         32
        .size:           8
        .value_kind:     global_buffer
      - .actual_access:  read_only
        .address_space:  global
        .offset:         40
        .size:           8
        .value_kind:     global_buffer
      - .actual_access:  read_only
        .address_space:  global
        .offset:         48
        .size:           8
        .value_kind:     global_buffer
      - .actual_access:  read_only
        .address_space:  global
        .offset:         56
        .size:           8
        .value_kind:     global_buffer
      - .actual_access:  read_only
        .address_space:  global
        .offset:         64
        .size:           8
        .value_kind:     global_buffer
      - .actual_access:  read_only
        .address_space:  global
        .offset:         72
        .size:           8
        .value_kind:     global_buffer
      - .offset:         80
        .size:           4
        .value_kind:     by_value
      - .offset:         84
        .size:           4
        .value_kind:     by_value
      - .offset:         88
        .size:           4
        .value_kind:     by_value
      - .offset:         92
        .size:           4
        .value_kind:     by_value
      - .offset:         96
        .size:           4
        .value_kind:     by_value
      - .offset:         100
        .size:           4
        .value_kind:     by_value
      - .offset:         104
        .size:           4
        .value_kind:     by_value
      - .offset:         108
        .size:           4
        .value_kind:     by_value
      - .offset:         112
        .size:           4
        .value_kind:     by_value
      - .offset:         116
        .size:           4
        .value_kind:     by_value
      - .offset:         120
        .size:           4
        .value_kind:     by_value
      - .offset:         124
        .size:           4
        .value_kind:     by_value
      - .offset:         128
        .size:           4
        .value_kind:     by_value
      - .offset:         132
        .size:           4
        .value_kind:     by_value
      - .offset:         136
        .size:           4
        .value_kind:     by_value
      - .offset:         144
        .size:           4
        .value_kind:     hidden_block_count_x
      - .offset:         148
        .size:           4
        .value_kind:     hidden_block_count_y
      - .offset:         152
        .size:           4
        .value_kind:     hidden_block_count_z
      - .offset:         156
        .size:           2
        .value_kind:     hidden_group_size_x
      - .offset:         158
        .size:           2
        .value_kind:     hidden_group_size_y
      - .offset:         160
        .size:           2
        .value_kind:     hidden_group_size_z
      - .offset:         162
        .size:           2
        .value_kind:     hidden_remainder_x
      - .offset:         164
        .size:           2
        .value_kind:     hidden_remainder_y
      - .offset:         166
        .size:           2
        .value_kind:     hidden_remainder_z
      - .offset:         184
        .size:           8
        .value_kind:     hidden_global_offset_x
      - .offset:         192
        .size:           8
        .value_kind:     hidden_global_offset_y
      - .offset:         200
        .size:           8
        .value_kind:     hidden_global_offset_z
      - .offset:         208
        .size:           2
        .value_kind:     hidden_grid_dims
    .group_segment_fixed_size: 32
    .kernarg_segment_align: 8
    .kernarg_segment_size: 400
    .language:       OpenCL C
    .language_version:
      - 2
      - 0
    .max_flat_workgroup_size: 1024
    .name:           _ZN5aiter35fused_qk_rmsnorm_group_quant_kernelIDF16_DB8_Li256ELi8ELi16ELb0ELb0ELb0ELb0ELb0ELb0EEEvPT0_PvPT_S6_S6_PKS5_S8_S8_S8_S8_ffiiiiiiiiiiiii
    .private_segment_fixed_size: 0
    .sgpr_count:     36
    .sgpr_spill_count: 0
    .symbol:         _ZN5aiter35fused_qk_rmsnorm_group_quant_kernelIDF16_DB8_Li256ELi8ELi16ELb0ELb0ELb0ELb0ELb0ELb0EEEvPT0_PvPT_S6_S6_PKS5_S8_S8_S8_S8_ffiiiiiiiiiiiii.kd
    .uniform_work_group_size: 1
    .uses_dynamic_stack: false
    .vgpr_count:     23
    .vgpr_spill_count: 0
    .wavefront_size: 64
  - .agpr_count:     0
    .args:
      - .actual_access:  write_only
        .address_space:  global
        .offset:         0
        .size:           8
        .value_kind:     global_buffer
      - .actual_access:  write_only
        .address_space:  global
        .offset:         8
        .size:           8
        .value_kind:     global_buffer
      - .actual_access:  read_only
        .address_space:  global
        .offset:         16
        .size:           8
        .value_kind:     global_buffer
      - .actual_access:  write_only
        .address_space:  global
        .offset:         24
        .size:           8
        .value_kind:     global_buffer
      - .actual_access:  read_only
        .address_space:  global
        .offset:         32
        .size:           8
        .value_kind:     global_buffer
      - .actual_access:  read_only
        .address_space:  global
        .offset:         40
        .size:           8
        .value_kind:     global_buffer
      - .actual_access:  read_only
        .address_space:  global
        .offset:         48
        .size:           8
        .value_kind:     global_buffer
      - .actual_access:  read_only
        .address_space:  global
        .offset:         56
        .size:           8
        .value_kind:     global_buffer
      - .actual_access:  read_only
        .address_space:  global
        .offset:         64
        .size:           8
        .value_kind:     global_buffer
      - .actual_access:  read_only
        .address_space:  global
        .offset:         72
        .size:           8
        .value_kind:     global_buffer
      - .offset:         80
        .size:           4
        .value_kind:     by_value
      - .offset:         84
        .size:           4
        .value_kind:     by_value
      - .offset:         88
        .size:           4
        .value_kind:     by_value
      - .offset:         92
        .size:           4
        .value_kind:     by_value
      - .offset:         96
        .size:           4
        .value_kind:     by_value
      - .offset:         100
        .size:           4
        .value_kind:     by_value
      - .offset:         104
        .size:           4
        .value_kind:     by_value
      - .offset:         108
        .size:           4
        .value_kind:     by_value
      - .offset:         112
        .size:           4
        .value_kind:     by_value
      - .offset:         116
        .size:           4
        .value_kind:     by_value
      - .offset:         120
        .size:           4
        .value_kind:     by_value
      - .offset:         124
        .size:           4
        .value_kind:     by_value
      - .offset:         128
        .size:           4
        .value_kind:     by_value
      - .offset:         132
        .size:           4
        .value_kind:     by_value
      - .offset:         136
        .size:           4
        .value_kind:     by_value
      - .offset:         144
        .size:           4
        .value_kind:     hidden_block_count_x
      - .offset:         148
        .size:           4
        .value_kind:     hidden_block_count_y
      - .offset:         152
        .size:           4
        .value_kind:     hidden_block_count_z
      - .offset:         156
        .size:           2
        .value_kind:     hidden_group_size_x
      - .offset:         158
        .size:           2
        .value_kind:     hidden_group_size_y
      - .offset:         160
        .size:           2
        .value_kind:     hidden_group_size_z
      - .offset:         162
        .size:           2
        .value_kind:     hidden_remainder_x
      - .offset:         164
        .size:           2
        .value_kind:     hidden_remainder_y
      - .offset:         166
        .size:           2
        .value_kind:     hidden_remainder_z
      - .offset:         184
        .size:           8
        .value_kind:     hidden_global_offset_x
      - .offset:         192
        .size:           8
        .value_kind:     hidden_global_offset_y
      - .offset:         200
        .size:           8
        .value_kind:     hidden_global_offset_z
      - .offset:         208
        .size:           2
        .value_kind:     hidden_grid_dims
    .group_segment_fixed_size: 32
    .kernarg_segment_align: 8
    .kernarg_segment_size: 400
    .language:       OpenCL C
    .language_version:
      - 2
      - 0
    .max_flat_workgroup_size: 1024
    .name:           _ZN5aiter35fused_qk_rmsnorm_group_quant_kernelItDB8_Li256ELi8ELi16ELb0ELb0ELb0ELb0ELb0ELb0EEEvPT0_PvPT_S6_S6_PKS5_S8_S8_S8_S8_ffiiiiiiiiiiiii
    .private_segment_fixed_size: 0
    .sgpr_count:     36
    .sgpr_spill_count: 0
    .symbol:         _ZN5aiter35fused_qk_rmsnorm_group_quant_kernelItDB8_Li256ELi8ELi16ELb0ELb0ELb0ELb0ELb0ELb0EEEvPT0_PvPT_S6_S6_PKS5_S8_S8_S8_S8_ffiiiiiiiiiiiii.kd
    .uniform_work_group_size: 1
    .uses_dynamic_stack: false
    .vgpr_count:     23
    .vgpr_spill_count: 0
    .wavefront_size: 64
  - .agpr_count:     0
    .args:
      - .actual_access:  write_only
        .address_space:  global
        .offset:         0
        .size:           8
        .value_kind:     global_buffer
      - .actual_access:  write_only
        .address_space:  global
        .offset:         8
        .size:           8
        .value_kind:     global_buffer
      - .actual_access:  read_only
        .address_space:  global
        .offset:         16
        .size:           8
        .value_kind:     global_buffer
      - .actual_access:  write_only
        .address_space:  global
        .offset:         24
        .size:           8
        .value_kind:     global_buffer
      - .actual_access:  read_only
        .address_space:  global
        .offset:         32
        .size:           8
        .value_kind:     global_buffer
      - .actual_access:  read_only
        .address_space:  global
        .offset:         40
        .size:           8
        .value_kind:     global_buffer
      - .actual_access:  read_only
        .address_space:  global
        .offset:         48
        .size:           8
        .value_kind:     global_buffer
      - .actual_access:  read_only
        .address_space:  global
        .offset:         56
        .size:           8
        .value_kind:     global_buffer
      - .actual_access:  read_only
        .address_space:  global
        .offset:         64
        .size:           8
        .value_kind:     global_buffer
      - .actual_access:  read_only
        .address_space:  global
        .offset:         72
        .size:           8
        .value_kind:     global_buffer
      - .offset:         80
        .size:           4
        .value_kind:     by_value
      - .offset:         84
        .size:           4
        .value_kind:     by_value
      - .offset:         88
        .size:           4
        .value_kind:     by_value
      - .offset:         92
        .size:           4
        .value_kind:     by_value
      - .offset:         96
        .size:           4
        .value_kind:     by_value
      - .offset:         100
        .size:           4
        .value_kind:     by_value
      - .offset:         104
        .size:           4
        .value_kind:     by_value
      - .offset:         108
        .size:           4
        .value_kind:     by_value
      - .offset:         112
        .size:           4
        .value_kind:     by_value
      - .offset:         116
        .size:           4
        .value_kind:     by_value
      - .offset:         120
        .size:           4
        .value_kind:     by_value
      - .offset:         124
        .size:           4
        .value_kind:     by_value
      - .offset:         128
        .size:           4
        .value_kind:     by_value
      - .offset:         132
        .size:           4
        .value_kind:     by_value
      - .offset:         136
        .size:           4
        .value_kind:     by_value
      - .offset:         144
        .size:           4
        .value_kind:     hidden_block_count_x
      - .offset:         148
        .size:           4
        .value_kind:     hidden_block_count_y
      - .offset:         152
        .size:           4
        .value_kind:     hidden_block_count_z
      - .offset:         156
        .size:           2
        .value_kind:     hidden_group_size_x
      - .offset:         158
        .size:           2
        .value_kind:     hidden_group_size_y
      - .offset:         160
        .size:           2
        .value_kind:     hidden_group_size_z
      - .offset:         162
        .size:           2
        .value_kind:     hidden_remainder_x
      - .offset:         164
        .size:           2
        .value_kind:     hidden_remainder_y
      - .offset:         166
        .size:           2
        .value_kind:     hidden_remainder_z
      - .offset:         184
        .size:           8
        .value_kind:     hidden_global_offset_x
      - .offset:         192
        .size:           8
        .value_kind:     hidden_global_offset_y
      - .offset:         200
        .size:           8
        .value_kind:     hidden_global_offset_z
      - .offset:         208
        .size:           2
        .value_kind:     hidden_grid_dims
    .group_segment_fixed_size: 32
    .kernarg_segment_align: 8
    .kernarg_segment_size: 400
    .language:       OpenCL C
    .language_version:
      - 2
      - 0
    .max_flat_workgroup_size: 1024
    .name:           _ZN5aiter35fused_qk_rmsnorm_group_quant_kernelIDF16_N4opus5fp4_tELi256ELi8ELi16ELb0ELb0ELb0ELb0ELb0ELb0EEEvPT0_PvPT_S7_S7_PKS6_S9_S9_S9_S9_ffiiiiiiiiiiiii
    .private_segment_fixed_size: 0
    .sgpr_count:     36
    .sgpr_spill_count: 0
    .symbol:         _ZN5aiter35fused_qk_rmsnorm_group_quant_kernelIDF16_N4opus5fp4_tELi256ELi8ELi16ELb0ELb0ELb0ELb0ELb0ELb0EEEvPT0_PvPT_S7_S7_PKS6_S9_S9_S9_S9_ffiiiiiiiiiiiii.kd
    .uniform_work_group_size: 1
    .uses_dynamic_stack: false
    .vgpr_count:     23
    .vgpr_spill_count: 0
    .wavefront_size: 64
  - .agpr_count:     0
    .args:
      - .actual_access:  write_only
        .address_space:  global
        .offset:         0
        .size:           8
        .value_kind:     global_buffer
      - .actual_access:  write_only
        .address_space:  global
        .offset:         8
        .size:           8
        .value_kind:     global_buffer
      - .actual_access:  read_only
        .address_space:  global
        .offset:         16
        .size:           8
        .value_kind:     global_buffer
      - .actual_access:  write_only
        .address_space:  global
        .offset:         24
        .size:           8
        .value_kind:     global_buffer
      - .actual_access:  read_only
        .address_space:  global
        .offset:         32
        .size:           8
        .value_kind:     global_buffer
      - .actual_access:  read_only
        .address_space:  global
        .offset:         40
        .size:           8
        .value_kind:     global_buffer
      - .actual_access:  read_only
        .address_space:  global
        .offset:         48
        .size:           8
        .value_kind:     global_buffer
      - .actual_access:  read_only
        .address_space:  global
        .offset:         56
        .size:           8
        .value_kind:     global_buffer
      - .actual_access:  read_only
        .address_space:  global
        .offset:         64
        .size:           8
        .value_kind:     global_buffer
      - .actual_access:  read_only
        .address_space:  global
        .offset:         72
        .size:           8
        .value_kind:     global_buffer
      - .offset:         80
        .size:           4
        .value_kind:     by_value
      - .offset:         84
        .size:           4
        .value_kind:     by_value
      - .offset:         88
        .size:           4
        .value_kind:     by_value
      - .offset:         92
        .size:           4
        .value_kind:     by_value
      - .offset:         96
        .size:           4
        .value_kind:     by_value
      - .offset:         100
        .size:           4
        .value_kind:     by_value
      - .offset:         104
        .size:           4
        .value_kind:     by_value
      - .offset:         108
        .size:           4
        .value_kind:     by_value
      - .offset:         112
        .size:           4
        .value_kind:     by_value
      - .offset:         116
        .size:           4
        .value_kind:     by_value
      - .offset:         120
        .size:           4
        .value_kind:     by_value
      - .offset:         124
        .size:           4
        .value_kind:     by_value
      - .offset:         128
        .size:           4
        .value_kind:     by_value
      - .offset:         132
        .size:           4
        .value_kind:     by_value
      - .offset:         136
        .size:           4
        .value_kind:     by_value
      - .offset:         144
        .size:           4
        .value_kind:     hidden_block_count_x
      - .offset:         148
        .size:           4
        .value_kind:     hidden_block_count_y
      - .offset:         152
        .size:           4
        .value_kind:     hidden_block_count_z
      - .offset:         156
        .size:           2
        .value_kind:     hidden_group_size_x
      - .offset:         158
        .size:           2
        .value_kind:     hidden_group_size_y
      - .offset:         160
        .size:           2
        .value_kind:     hidden_group_size_z
      - .offset:         162
        .size:           2
        .value_kind:     hidden_remainder_x
      - .offset:         164
        .size:           2
        .value_kind:     hidden_remainder_y
      - .offset:         166
        .size:           2
        .value_kind:     hidden_remainder_z
      - .offset:         184
        .size:           8
        .value_kind:     hidden_global_offset_x
      - .offset:         192
        .size:           8
        .value_kind:     hidden_global_offset_y
      - .offset:         200
        .size:           8
        .value_kind:     hidden_global_offset_z
      - .offset:         208
        .size:           2
        .value_kind:     hidden_grid_dims
    .group_segment_fixed_size: 32
    .kernarg_segment_align: 8
    .kernarg_segment_size: 400
    .language:       OpenCL C
    .language_version:
      - 2
      - 0
    .max_flat_workgroup_size: 1024
    .name:           _ZN5aiter35fused_qk_rmsnorm_group_quant_kernelItN4opus5fp4_tELi256ELi8ELi16ELb0ELb0ELb0ELb0ELb0ELb0EEEvPT0_PvPT_S7_S7_PKS6_S9_S9_S9_S9_ffiiiiiiiiiiiii
    .private_segment_fixed_size: 0
    .sgpr_count:     36
    .sgpr_spill_count: 0
    .symbol:         _ZN5aiter35fused_qk_rmsnorm_group_quant_kernelItN4opus5fp4_tELi256ELi8ELi16ELb0ELb0ELb0ELb0ELb0ELb0EEEvPT0_PvPT_S7_S7_PKS6_S9_S9_S9_S9_ffiiiiiiiiiiiii.kd
    .uniform_work_group_size: 1
    .uses_dynamic_stack: false
    .vgpr_count:     23
    .vgpr_spill_count: 0
    .wavefront_size: 64
  - .agpr_count:     0
    .args:
      - .actual_access:  read_only
        .address_space:  global
        .offset:         0
        .size:           8
        .value_kind:     global_buffer
      - .actual_access:  read_only
        .address_space:  global
        .offset:         8
        .size:           8
        .value_kind:     global_buffer
      - .actual_access:  write_only
        .address_space:  global
        .offset:         16
        .size:           8
        .value_kind:     global_buffer
      - .actual_access:  write_only
        .address_space:  global
        .offset:         24
        .size:           8
        .value_kind:     global_buffer
      - .actual_access:  write_only
        .address_space:  global
        .offset:         32
        .size:           8
        .value_kind:     global_buffer
      - .actual_access:  read_only
        .address_space:  global
        .offset:         40
        .size:           8
        .value_kind:     global_buffer
      - .actual_access:  read_only
        .address_space:  global
        .offset:         48
        .size:           8
        .value_kind:     global_buffer
      - .actual_access:  read_only
        .address_space:  global
        .offset:         56
        .size:           8
        .value_kind:     global_buffer
      - .actual_access:  read_only
        .address_space:  global
        .offset:         64
        .size:           8
        .value_kind:     global_buffer
      - .actual_access:  read_only
        .address_space:  global
        .offset:         72
        .size:           8
        .value_kind:     global_buffer
      - .offset:         80
        .size:           4
        .value_kind:     by_value
      - .offset:         84
        .size:           4
        .value_kind:     by_value
      - .offset:         88
        .size:           4
        .value_kind:     by_value
      - .offset:         92
        .size:           4
        .value_kind:     by_value
      - .offset:         96
        .size:           4
        .value_kind:     by_value
      - .offset:         100
        .size:           4
        .value_kind:     by_value
      - .offset:         104
        .size:           4
        .value_kind:     by_value
      - .offset:         108
        .size:           4
        .value_kind:     by_value
      - .offset:         112
        .size:           4
        .value_kind:     by_value
      - .offset:         116
        .size:           4
        .value_kind:     by_value
      - .offset:         120
        .size:           4
        .value_kind:     by_value
      - .offset:         124
        .size:           4
        .value_kind:     by_value
      - .offset:         128
        .size:           4
        .value_kind:     by_value
      - .offset:         132
        .size:           4
        .value_kind:     by_value
      - .offset:         136
        .size:           4
        .value_kind:     by_value
      - .offset:         144
        .size:           4
        .value_kind:     hidden_block_count_x
      - .offset:         148
        .size:           4
        .value_kind:     hidden_block_count_y
      - .offset:         152
        .size:           4
        .value_kind:     hidden_block_count_z
      - .offset:         156
        .size:           2
        .value_kind:     hidden_group_size_x
      - .offset:         158
        .size:           2
        .value_kind:     hidden_group_size_y
      - .offset:         160
        .size:           2
        .value_kind:     hidden_group_size_z
      - .offset:         162
        .size:           2
        .value_kind:     hidden_remainder_x
      - .offset:         164
        .size:           2
        .value_kind:     hidden_remainder_y
      - .offset:         166
        .size:           2
        .value_kind:     hidden_remainder_z
      - .offset:         184
        .size:           8
        .value_kind:     hidden_global_offset_x
      - .offset:         192
        .size:           8
        .value_kind:     hidden_global_offset_y
      - .offset:         200
        .size:           8
        .value_kind:     hidden_global_offset_z
      - .offset:         208
        .size:           2
        .value_kind:     hidden_grid_dims
    .group_segment_fixed_size: 32
    .kernarg_segment_align: 8
    .kernarg_segment_size: 400
    .language:       OpenCL C
    .language_version:
      - 2
      - 0
    .max_flat_workgroup_size: 1024
    .name:           _ZN5aiter35fused_qk_rmsnorm_group_quant_kernelIDF16_DB8_Li256ELi8ELi8ELb1ELb1ELb1ELb1ELb0ELb0EEEvPT0_PvPT_S6_S6_PKS5_S8_S8_S8_S8_ffiiiiiiiiiiiii
    .private_segment_fixed_size: 0
    .sgpr_count:     36
    .sgpr_spill_count: 0
    .symbol:         _ZN5aiter35fused_qk_rmsnorm_group_quant_kernelIDF16_DB8_Li256ELi8ELi8ELb1ELb1ELb1ELb1ELb0ELb0EEEvPT0_PvPT_S6_S6_PKS5_S8_S8_S8_S8_ffiiiiiiiiiiiii.kd
    .uniform_work_group_size: 1
    .uses_dynamic_stack: false
    .vgpr_count:     25
    .vgpr_spill_count: 0
    .wavefront_size: 64
  - .agpr_count:     0
    .args:
      - .actual_access:  read_only
        .address_space:  global
        .offset:         0
        .size:           8
        .value_kind:     global_buffer
      - .actual_access:  read_only
        .address_space:  global
        .offset:         8
        .size:           8
        .value_kind:     global_buffer
      - .actual_access:  write_only
        .address_space:  global
        .offset:         16
        .size:           8
        .value_kind:     global_buffer
      - .actual_access:  write_only
        .address_space:  global
        .offset:         24
        .size:           8
        .value_kind:     global_buffer
      - .actual_access:  write_only
        .address_space:  global
        .offset:         32
        .size:           8
        .value_kind:     global_buffer
      - .actual_access:  read_only
        .address_space:  global
        .offset:         40
        .size:           8
        .value_kind:     global_buffer
      - .actual_access:  read_only
        .address_space:  global
        .offset:         48
        .size:           8
        .value_kind:     global_buffer
      - .actual_access:  read_only
        .address_space:  global
        .offset:         56
        .size:           8
        .value_kind:     global_buffer
      - .actual_access:  read_only
        .address_space:  global
        .offset:         64
        .size:           8
        .value_kind:     global_buffer
      - .actual_access:  read_only
        .address_space:  global
        .offset:         72
        .size:           8
        .value_kind:     global_buffer
      - .offset:         80
        .size:           4
        .value_kind:     by_value
      - .offset:         84
        .size:           4
        .value_kind:     by_value
      - .offset:         88
        .size:           4
        .value_kind:     by_value
      - .offset:         92
        .size:           4
        .value_kind:     by_value
      - .offset:         96
        .size:           4
        .value_kind:     by_value
      - .offset:         100
        .size:           4
        .value_kind:     by_value
      - .offset:         104
        .size:           4
        .value_kind:     by_value
      - .offset:         108
        .size:           4
        .value_kind:     by_value
      - .offset:         112
        .size:           4
        .value_kind:     by_value
      - .offset:         116
        .size:           4
        .value_kind:     by_value
      - .offset:         120
        .size:           4
        .value_kind:     by_value
      - .offset:         124
        .size:           4
        .value_kind:     by_value
      - .offset:         128
        .size:           4
        .value_kind:     by_value
      - .offset:         132
        .size:           4
        .value_kind:     by_value
      - .offset:         136
        .size:           4
        .value_kind:     by_value
      - .offset:         144
        .size:           4
        .value_kind:     hidden_block_count_x
      - .offset:         148
        .size:           4
        .value_kind:     hidden_block_count_y
      - .offset:         152
        .size:           4
        .value_kind:     hidden_block_count_z
      - .offset:         156
        .size:           2
        .value_kind:     hidden_group_size_x
      - .offset:         158
        .size:           2
        .value_kind:     hidden_group_size_y
      - .offset:         160
        .size:           2
        .value_kind:     hidden_group_size_z
      - .offset:         162
        .size:           2
        .value_kind:     hidden_remainder_x
      - .offset:         164
        .size:           2
        .value_kind:     hidden_remainder_y
      - .offset:         166
        .size:           2
        .value_kind:     hidden_remainder_z
      - .offset:         184
        .size:           8
        .value_kind:     hidden_global_offset_x
      - .offset:         192
        .size:           8
        .value_kind:     hidden_global_offset_y
      - .offset:         200
        .size:           8
        .value_kind:     hidden_global_offset_z
      - .offset:         208
        .size:           2
        .value_kind:     hidden_grid_dims
    .group_segment_fixed_size: 32
    .kernarg_segment_align: 8
    .kernarg_segment_size: 400
    .language:       OpenCL C
    .language_version:
      - 2
      - 0
    .max_flat_workgroup_size: 1024
    .name:           _ZN5aiter35fused_qk_rmsnorm_group_quant_kernelItDB8_Li256ELi8ELi8ELb1ELb1ELb1ELb1ELb0ELb0EEEvPT0_PvPT_S6_S6_PKS5_S8_S8_S8_S8_ffiiiiiiiiiiiii
    .private_segment_fixed_size: 0
    .sgpr_count:     48
    .sgpr_spill_count: 0
    .symbol:         _ZN5aiter35fused_qk_rmsnorm_group_quant_kernelItDB8_Li256ELi8ELi8ELb1ELb1ELb1ELb1ELb0ELb0EEEvPT0_PvPT_S6_S6_PKS5_S8_S8_S8_S8_ffiiiiiiiiiiiii.kd
    .uniform_work_group_size: 1
    .uses_dynamic_stack: false
    .vgpr_count:     27
    .vgpr_spill_count: 0
    .wavefront_size: 64
  - .agpr_count:     0
    .args:
      - .actual_access:  read_only
        .address_space:  global
        .offset:         0
        .size:           8
        .value_kind:     global_buffer
      - .actual_access:  read_only
        .address_space:  global
        .offset:         8
        .size:           8
        .value_kind:     global_buffer
      - .actual_access:  write_only
        .address_space:  global
        .offset:         16
        .size:           8
        .value_kind:     global_buffer
      - .actual_access:  write_only
        .address_space:  global
        .offset:         24
        .size:           8
        .value_kind:     global_buffer
      - .actual_access:  write_only
        .address_space:  global
        .offset:         32
        .size:           8
        .value_kind:     global_buffer
      - .actual_access:  read_only
        .address_space:  global
        .offset:         40
        .size:           8
        .value_kind:     global_buffer
      - .actual_access:  read_only
        .address_space:  global
        .offset:         48
        .size:           8
        .value_kind:     global_buffer
      - .actual_access:  read_only
        .address_space:  global
        .offset:         56
        .size:           8
        .value_kind:     global_buffer
      - .actual_access:  read_only
        .address_space:  global
        .offset:         64
        .size:           8
        .value_kind:     global_buffer
      - .actual_access:  read_only
        .address_space:  global
        .offset:         72
        .size:           8
        .value_kind:     global_buffer
      - .offset:         80
        .size:           4
        .value_kind:     by_value
      - .offset:         84
        .size:           4
        .value_kind:     by_value
      - .offset:         88
        .size:           4
        .value_kind:     by_value
      - .offset:         92
        .size:           4
        .value_kind:     by_value
      - .offset:         96
        .size:           4
        .value_kind:     by_value
      - .offset:         100
        .size:           4
        .value_kind:     by_value
      - .offset:         104
        .size:           4
        .value_kind:     by_value
      - .offset:         108
        .size:           4
        .value_kind:     by_value
      - .offset:         112
        .size:           4
        .value_kind:     by_value
      - .offset:         116
        .size:           4
        .value_kind:     by_value
      - .offset:         120
        .size:           4
        .value_kind:     by_value
      - .offset:         124
        .size:           4
        .value_kind:     by_value
      - .offset:         128
        .size:           4
        .value_kind:     by_value
      - .offset:         132
        .size:           4
        .value_kind:     by_value
      - .offset:         136
        .size:           4
        .value_kind:     by_value
      - .offset:         144
        .size:           4
        .value_kind:     hidden_block_count_x
      - .offset:         148
        .size:           4
        .value_kind:     hidden_block_count_y
      - .offset:         152
        .size:           4
        .value_kind:     hidden_block_count_z
      - .offset:         156
        .size:           2
        .value_kind:     hidden_group_size_x
      - .offset:         158
        .size:           2
        .value_kind:     hidden_group_size_y
      - .offset:         160
        .size:           2
        .value_kind:     hidden_group_size_z
      - .offset:         162
        .size:           2
        .value_kind:     hidden_remainder_x
      - .offset:         164
        .size:           2
        .value_kind:     hidden_remainder_y
      - .offset:         166
        .size:           2
        .value_kind:     hidden_remainder_z
      - .offset:         184
        .size:           8
        .value_kind:     hidden_global_offset_x
      - .offset:         192
        .size:           8
        .value_kind:     hidden_global_offset_y
      - .offset:         200
        .size:           8
        .value_kind:     hidden_global_offset_z
      - .offset:         208
        .size:           2
        .value_kind:     hidden_grid_dims
    .group_segment_fixed_size: 32
    .kernarg_segment_align: 8
    .kernarg_segment_size: 400
    .language:       OpenCL C
    .language_version:
      - 2
      - 0
    .max_flat_workgroup_size: 1024
    .name:           _ZN5aiter35fused_qk_rmsnorm_group_quant_kernelIDF16_N4opus5fp4_tELi256ELi8ELi8ELb1ELb1ELb1ELb1ELb0ELb0EEEvPT0_PvPT_S7_S7_PKS6_S9_S9_S9_S9_ffiiiiiiiiiiiii
    .private_segment_fixed_size: 0
    .sgpr_count:     36
    .sgpr_spill_count: 0
    .symbol:         _ZN5aiter35fused_qk_rmsnorm_group_quant_kernelIDF16_N4opus5fp4_tELi256ELi8ELi8ELb1ELb1ELb1ELb1ELb0ELb0EEEvPT0_PvPT_S7_S7_PKS6_S9_S9_S9_S9_ffiiiiiiiiiiiii.kd
    .uniform_work_group_size: 1
    .uses_dynamic_stack: false
    .vgpr_count:     25
    .vgpr_spill_count: 0
    .wavefront_size: 64
  - .agpr_count:     0
    .args:
      - .actual_access:  read_only
        .address_space:  global
        .offset:         0
        .size:           8
        .value_kind:     global_buffer
      - .actual_access:  read_only
        .address_space:  global
        .offset:         8
        .size:           8
        .value_kind:     global_buffer
      - .actual_access:  write_only
        .address_space:  global
        .offset:         16
        .size:           8
        .value_kind:     global_buffer
      - .actual_access:  write_only
        .address_space:  global
        .offset:         24
        .size:           8
        .value_kind:     global_buffer
      - .actual_access:  write_only
        .address_space:  global
        .offset:         32
        .size:           8
        .value_kind:     global_buffer
      - .actual_access:  read_only
        .address_space:  global
        .offset:         40
        .size:           8
        .value_kind:     global_buffer
      - .actual_access:  read_only
        .address_space:  global
        .offset:         48
        .size:           8
        .value_kind:     global_buffer
      - .actual_access:  read_only
        .address_space:  global
        .offset:         56
        .size:           8
        .value_kind:     global_buffer
      - .actual_access:  read_only
        .address_space:  global
        .offset:         64
        .size:           8
        .value_kind:     global_buffer
      - .actual_access:  read_only
        .address_space:  global
        .offset:         72
        .size:           8
        .value_kind:     global_buffer
      - .offset:         80
        .size:           4
        .value_kind:     by_value
      - .offset:         84
        .size:           4
        .value_kind:     by_value
      - .offset:         88
        .size:           4
        .value_kind:     by_value
      - .offset:         92
        .size:           4
        .value_kind:     by_value
      - .offset:         96
        .size:           4
        .value_kind:     by_value
      - .offset:         100
        .size:           4
        .value_kind:     by_value
      - .offset:         104
        .size:           4
        .value_kind:     by_value
      - .offset:         108
        .size:           4
        .value_kind:     by_value
      - .offset:         112
        .size:           4
        .value_kind:     by_value
      - .offset:         116
        .size:           4
        .value_kind:     by_value
      - .offset:         120
        .size:           4
        .value_kind:     by_value
      - .offset:         124
        .size:           4
        .value_kind:     by_value
      - .offset:         128
        .size:           4
        .value_kind:     by_value
      - .offset:         132
        .size:           4
        .value_kind:     by_value
      - .offset:         136
        .size:           4
        .value_kind:     by_value
      - .offset:         144
        .size:           4
        .value_kind:     hidden_block_count_x
      - .offset:         148
        .size:           4
        .value_kind:     hidden_block_count_y
      - .offset:         152
        .size:           4
        .value_kind:     hidden_block_count_z
      - .offset:         156
        .size:           2
        .value_kind:     hidden_group_size_x
      - .offset:         158
        .size:           2
        .value_kind:     hidden_group_size_y
      - .offset:         160
        .size:           2
        .value_kind:     hidden_group_size_z
      - .offset:         162
        .size:           2
        .value_kind:     hidden_remainder_x
      - .offset:         164
        .size:           2
        .value_kind:     hidden_remainder_y
      - .offset:         166
        .size:           2
        .value_kind:     hidden_remainder_z
      - .offset:         184
        .size:           8
        .value_kind:     hidden_global_offset_x
      - .offset:         192
        .size:           8
        .value_kind:     hidden_global_offset_y
      - .offset:         200
        .size:           8
        .value_kind:     hidden_global_offset_z
      - .offset:         208
        .size:           2
        .value_kind:     hidden_grid_dims
    .group_segment_fixed_size: 32
    .kernarg_segment_align: 8
    .kernarg_segment_size: 400
    .language:       OpenCL C
    .language_version:
      - 2
      - 0
    .max_flat_workgroup_size: 1024
    .name:           _ZN5aiter35fused_qk_rmsnorm_group_quant_kernelItN4opus5fp4_tELi256ELi8ELi8ELb1ELb1ELb1ELb1ELb0ELb0EEEvPT0_PvPT_S7_S7_PKS6_S9_S9_S9_S9_ffiiiiiiiiiiiii
    .private_segment_fixed_size: 0
    .sgpr_count:     48
    .sgpr_spill_count: 0
    .symbol:         _ZN5aiter35fused_qk_rmsnorm_group_quant_kernelItN4opus5fp4_tELi256ELi8ELi8ELb1ELb1ELb1ELb1ELb0ELb0EEEvPT0_PvPT_S7_S7_PKS6_S9_S9_S9_S9_ffiiiiiiiiiiiii.kd
    .uniform_work_group_size: 1
    .uses_dynamic_stack: false
    .vgpr_count:     27
    .vgpr_spill_count: 0
    .wavefront_size: 64
  - .agpr_count:     0
    .args:
      - .actual_access:  read_only
        .address_space:  global
        .offset:         0
        .size:           8
        .value_kind:     global_buffer
      - .actual_access:  read_only
        .address_space:  global
        .offset:         8
        .size:           8
        .value_kind:     global_buffer
      - .actual_access:  write_only
        .address_space:  global
        .offset:         16
        .size:           8
        .value_kind:     global_buffer
      - .actual_access:  write_only
        .address_space:  global
        .offset:         24
        .size:           8
        .value_kind:     global_buffer
      - .actual_access:  write_only
        .address_space:  global
        .offset:         32
        .size:           8
        .value_kind:     global_buffer
      - .actual_access:  read_only
        .address_space:  global
        .offset:         40
        .size:           8
        .value_kind:     global_buffer
      - .actual_access:  read_only
        .address_space:  global
        .offset:         48
        .size:           8
        .value_kind:     global_buffer
      - .actual_access:  read_only
        .address_space:  global
        .offset:         56
        .size:           8
        .value_kind:     global_buffer
      - .actual_access:  read_only
        .address_space:  global
        .offset:         64
        .size:           8
        .value_kind:     global_buffer
      - .actual_access:  read_only
        .address_space:  global
        .offset:         72
        .size:           8
        .value_kind:     global_buffer
      - .offset:         80
        .size:           4
        .value_kind:     by_value
      - .offset:         84
        .size:           4
        .value_kind:     by_value
      - .offset:         88
        .size:           4
        .value_kind:     by_value
      - .offset:         92
        .size:           4
        .value_kind:     by_value
      - .offset:         96
        .size:           4
        .value_kind:     by_value
      - .offset:         100
        .size:           4
        .value_kind:     by_value
      - .offset:         104
        .size:           4
        .value_kind:     by_value
      - .offset:         108
        .size:           4
        .value_kind:     by_value
      - .offset:         112
        .size:           4
        .value_kind:     by_value
      - .offset:         116
        .size:           4
        .value_kind:     by_value
      - .offset:         120
        .size:           4
        .value_kind:     by_value
      - .offset:         124
        .size:           4
        .value_kind:     by_value
      - .offset:         128
        .size:           4
        .value_kind:     by_value
      - .offset:         132
        .size:           4
        .value_kind:     by_value
      - .offset:         136
        .size:           4
        .value_kind:     by_value
      - .offset:         144
        .size:           4
        .value_kind:     hidden_block_count_x
      - .offset:         148
        .size:           4
        .value_kind:     hidden_block_count_y
      - .offset:         152
        .size:           4
        .value_kind:     hidden_block_count_z
      - .offset:         156
        .size:           2
        .value_kind:     hidden_group_size_x
      - .offset:         158
        .size:           2
        .value_kind:     hidden_group_size_y
      - .offset:         160
        .size:           2
        .value_kind:     hidden_group_size_z
      - .offset:         162
        .size:           2
        .value_kind:     hidden_remainder_x
      - .offset:         164
        .size:           2
        .value_kind:     hidden_remainder_y
      - .offset:         166
        .size:           2
        .value_kind:     hidden_remainder_z
      - .offset:         184
        .size:           8
        .value_kind:     hidden_global_offset_x
      - .offset:         192
        .size:           8
        .value_kind:     hidden_global_offset_y
      - .offset:         200
        .size:           8
        .value_kind:     hidden_global_offset_z
      - .offset:         208
        .size:           2
        .value_kind:     hidden_grid_dims
    .group_segment_fixed_size: 32
    .kernarg_segment_align: 8
    .kernarg_segment_size: 400
    .language:       OpenCL C
    .language_version:
      - 2
      - 0
    .max_flat_workgroup_size: 1024
    .name:           _ZN5aiter35fused_qk_rmsnorm_group_quant_kernelIDF16_DB8_Li256ELi8ELi8ELb1ELb1ELb0ELb1ELb0ELb0EEEvPT0_PvPT_S6_S6_PKS5_S8_S8_S8_S8_ffiiiiiiiiiiiii
    .private_segment_fixed_size: 0
    .sgpr_count:     36
    .sgpr_spill_count: 0
    .symbol:         _ZN5aiter35fused_qk_rmsnorm_group_quant_kernelIDF16_DB8_Li256ELi8ELi8ELb1ELb1ELb0ELb1ELb0ELb0EEEvPT0_PvPT_S6_S6_PKS5_S8_S8_S8_S8_ffiiiiiiiiiiiii.kd
    .uniform_work_group_size: 1
    .uses_dynamic_stack: false
    .vgpr_count:     27
    .vgpr_spill_count: 0
    .wavefront_size: 64
  - .agpr_count:     0
    .args:
      - .actual_access:  read_only
        .address_space:  global
        .offset:         0
        .size:           8
        .value_kind:     global_buffer
      - .actual_access:  read_only
        .address_space:  global
        .offset:         8
        .size:           8
        .value_kind:     global_buffer
      - .actual_access:  write_only
        .address_space:  global
        .offset:         16
        .size:           8
        .value_kind:     global_buffer
      - .actual_access:  write_only
        .address_space:  global
        .offset:         24
        .size:           8
        .value_kind:     global_buffer
      - .actual_access:  write_only
        .address_space:  global
        .offset:         32
        .size:           8
        .value_kind:     global_buffer
      - .actual_access:  read_only
        .address_space:  global
        .offset:         40
        .size:           8
        .value_kind:     global_buffer
      - .actual_access:  read_only
        .address_space:  global
        .offset:         48
        .size:           8
        .value_kind:     global_buffer
      - .actual_access:  read_only
        .address_space:  global
        .offset:         56
        .size:           8
        .value_kind:     global_buffer
      - .actual_access:  read_only
        .address_space:  global
        .offset:         64
        .size:           8
        .value_kind:     global_buffer
      - .actual_access:  read_only
        .address_space:  global
        .offset:         72
        .size:           8
        .value_kind:     global_buffer
      - .offset:         80
        .size:           4
        .value_kind:     by_value
      - .offset:         84
        .size:           4
        .value_kind:     by_value
      - .offset:         88
        .size:           4
        .value_kind:     by_value
      - .offset:         92
        .size:           4
        .value_kind:     by_value
      - .offset:         96
        .size:           4
        .value_kind:     by_value
      - .offset:         100
        .size:           4
        .value_kind:     by_value
      - .offset:         104
        .size:           4
        .value_kind:     by_value
      - .offset:         108
        .size:           4
        .value_kind:     by_value
      - .offset:         112
        .size:           4
        .value_kind:     by_value
      - .offset:         116
        .size:           4
        .value_kind:     by_value
      - .offset:         120
        .size:           4
        .value_kind:     by_value
      - .offset:         124
        .size:           4
        .value_kind:     by_value
      - .offset:         128
        .size:           4
        .value_kind:     by_value
      - .offset:         132
        .size:           4
        .value_kind:     by_value
      - .offset:         136
        .size:           4
        .value_kind:     by_value
      - .offset:         144
        .size:           4
        .value_kind:     hidden_block_count_x
      - .offset:         148
        .size:           4
        .value_kind:     hidden_block_count_y
      - .offset:         152
        .size:           4
        .value_kind:     hidden_block_count_z
      - .offset:         156
        .size:           2
        .value_kind:     hidden_group_size_x
      - .offset:         158
        .size:           2
        .value_kind:     hidden_group_size_y
      - .offset:         160
        .size:           2
        .value_kind:     hidden_group_size_z
      - .offset:         162
        .size:           2
        .value_kind:     hidden_remainder_x
      - .offset:         164
        .size:           2
        .value_kind:     hidden_remainder_y
      - .offset:         166
        .size:           2
        .value_kind:     hidden_remainder_z
      - .offset:         184
        .size:           8
        .value_kind:     hidden_global_offset_x
      - .offset:         192
        .size:           8
        .value_kind:     hidden_global_offset_y
      - .offset:         200
        .size:           8
        .value_kind:     hidden_global_offset_z
      - .offset:         208
        .size:           2
        .value_kind:     hidden_grid_dims
    .group_segment_fixed_size: 32
    .kernarg_segment_align: 8
    .kernarg_segment_size: 400
    .language:       OpenCL C
    .language_version:
      - 2
      - 0
    .max_flat_workgroup_size: 1024
    .name:           _ZN5aiter35fused_qk_rmsnorm_group_quant_kernelItDB8_Li256ELi8ELi8ELb1ELb1ELb0ELb1ELb0ELb0EEEvPT0_PvPT_S6_S6_PKS5_S8_S8_S8_S8_ffiiiiiiiiiiiii
    .private_segment_fixed_size: 0
    .sgpr_count:     48
    .sgpr_spill_count: 0
    .symbol:         _ZN5aiter35fused_qk_rmsnorm_group_quant_kernelItDB8_Li256ELi8ELi8ELb1ELb1ELb0ELb1ELb0ELb0EEEvPT0_PvPT_S6_S6_PKS5_S8_S8_S8_S8_ffiiiiiiiiiiiii.kd
    .uniform_work_group_size: 1
    .uses_dynamic_stack: false
    .vgpr_count:     27
    .vgpr_spill_count: 0
    .wavefront_size: 64
  - .agpr_count:     0
    .args:
      - .actual_access:  read_only
        .address_space:  global
        .offset:         0
        .size:           8
        .value_kind:     global_buffer
      - .actual_access:  read_only
        .address_space:  global
        .offset:         8
        .size:           8
        .value_kind:     global_buffer
      - .actual_access:  write_only
        .address_space:  global
        .offset:         16
        .size:           8
        .value_kind:     global_buffer
      - .actual_access:  write_only
        .address_space:  global
        .offset:         24
        .size:           8
        .value_kind:     global_buffer
      - .actual_access:  write_only
        .address_space:  global
        .offset:         32
        .size:           8
        .value_kind:     global_buffer
      - .actual_access:  read_only
        .address_space:  global
        .offset:         40
        .size:           8
        .value_kind:     global_buffer
      - .actual_access:  read_only
        .address_space:  global
        .offset:         48
        .size:           8
        .value_kind:     global_buffer
      - .actual_access:  read_only
        .address_space:  global
        .offset:         56
        .size:           8
        .value_kind:     global_buffer
      - .actual_access:  read_only
        .address_space:  global
        .offset:         64
        .size:           8
        .value_kind:     global_buffer
      - .actual_access:  read_only
        .address_space:  global
        .offset:         72
        .size:           8
        .value_kind:     global_buffer
      - .offset:         80
        .size:           4
        .value_kind:     by_value
      - .offset:         84
        .size:           4
        .value_kind:     by_value
      - .offset:         88
        .size:           4
        .value_kind:     by_value
      - .offset:         92
        .size:           4
        .value_kind:     by_value
      - .offset:         96
        .size:           4
        .value_kind:     by_value
      - .offset:         100
        .size:           4
        .value_kind:     by_value
      - .offset:         104
        .size:           4
        .value_kind:     by_value
      - .offset:         108
        .size:           4
        .value_kind:     by_value
      - .offset:         112
        .size:           4
        .value_kind:     by_value
      - .offset:         116
        .size:           4
        .value_kind:     by_value
      - .offset:         120
        .size:           4
        .value_kind:     by_value
      - .offset:         124
        .size:           4
        .value_kind:     by_value
      - .offset:         128
        .size:           4
        .value_kind:     by_value
      - .offset:         132
        .size:           4
        .value_kind:     by_value
      - .offset:         136
        .size:           4
        .value_kind:     by_value
      - .offset:         144
        .size:           4
        .value_kind:     hidden_block_count_x
      - .offset:         148
        .size:           4
        .value_kind:     hidden_block_count_y
      - .offset:         152
        .size:           4
        .value_kind:     hidden_block_count_z
      - .offset:         156
        .size:           2
        .value_kind:     hidden_group_size_x
      - .offset:         158
        .size:           2
        .value_kind:     hidden_group_size_y
      - .offset:         160
        .size:           2
        .value_kind:     hidden_group_size_z
      - .offset:         162
        .size:           2
        .value_kind:     hidden_remainder_x
      - .offset:         164
        .size:           2
        .value_kind:     hidden_remainder_y
      - .offset:         166
        .size:           2
        .value_kind:     hidden_remainder_z
      - .offset:         184
        .size:           8
        .value_kind:     hidden_global_offset_x
      - .offset:         192
        .size:           8
        .value_kind:     hidden_global_offset_y
      - .offset:         200
        .size:           8
        .value_kind:     hidden_global_offset_z
      - .offset:         208
        .size:           2
        .value_kind:     hidden_grid_dims
    .group_segment_fixed_size: 32
    .kernarg_segment_align: 8
    .kernarg_segment_size: 400
    .language:       OpenCL C
    .language_version:
      - 2
      - 0
    .max_flat_workgroup_size: 1024
    .name:           _ZN5aiter35fused_qk_rmsnorm_group_quant_kernelIDF16_N4opus5fp4_tELi256ELi8ELi8ELb1ELb1ELb0ELb1ELb0ELb0EEEvPT0_PvPT_S7_S7_PKS6_S9_S9_S9_S9_ffiiiiiiiiiiiii
    .private_segment_fixed_size: 0
    .sgpr_count:     36
    .sgpr_spill_count: 0
    .symbol:         _ZN5aiter35fused_qk_rmsnorm_group_quant_kernelIDF16_N4opus5fp4_tELi256ELi8ELi8ELb1ELb1ELb0ELb1ELb0ELb0EEEvPT0_PvPT_S7_S7_PKS6_S9_S9_S9_S9_ffiiiiiiiiiiiii.kd
    .uniform_work_group_size: 1
    .uses_dynamic_stack: false
    .vgpr_count:     27
    .vgpr_spill_count: 0
    .wavefront_size: 64
  - .agpr_count:     0
    .args:
      - .actual_access:  read_only
        .address_space:  global
        .offset:         0
        .size:           8
        .value_kind:     global_buffer
      - .actual_access:  read_only
        .address_space:  global
        .offset:         8
        .size:           8
        .value_kind:     global_buffer
      - .actual_access:  write_only
        .address_space:  global
        .offset:         16
        .size:           8
        .value_kind:     global_buffer
      - .actual_access:  write_only
        .address_space:  global
        .offset:         24
        .size:           8
        .value_kind:     global_buffer
      - .actual_access:  write_only
        .address_space:  global
        .offset:         32
        .size:           8
        .value_kind:     global_buffer
      - .actual_access:  read_only
        .address_space:  global
        .offset:         40
        .size:           8
        .value_kind:     global_buffer
      - .actual_access:  read_only
        .address_space:  global
        .offset:         48
        .size:           8
        .value_kind:     global_buffer
      - .actual_access:  read_only
        .address_space:  global
        .offset:         56
        .size:           8
        .value_kind:     global_buffer
      - .actual_access:  read_only
        .address_space:  global
        .offset:         64
        .size:           8
        .value_kind:     global_buffer
      - .actual_access:  read_only
        .address_space:  global
        .offset:         72
        .size:           8
        .value_kind:     global_buffer
      - .offset:         80
        .size:           4
        .value_kind:     by_value
      - .offset:         84
        .size:           4
        .value_kind:     by_value
      - .offset:         88
        .size:           4
        .value_kind:     by_value
      - .offset:         92
        .size:           4
        .value_kind:     by_value
      - .offset:         96
        .size:           4
        .value_kind:     by_value
      - .offset:         100
        .size:           4
        .value_kind:     by_value
      - .offset:         104
        .size:           4
        .value_kind:     by_value
      - .offset:         108
        .size:           4
        .value_kind:     by_value
      - .offset:         112
        .size:           4
        .value_kind:     by_value
      - .offset:         116
        .size:           4
        .value_kind:     by_value
      - .offset:         120
        .size:           4
        .value_kind:     by_value
      - .offset:         124
        .size:           4
        .value_kind:     by_value
      - .offset:         128
        .size:           4
        .value_kind:     by_value
      - .offset:         132
        .size:           4
        .value_kind:     by_value
      - .offset:         136
        .size:           4
        .value_kind:     by_value
      - .offset:         144
        .size:           4
        .value_kind:     hidden_block_count_x
      - .offset:         148
        .size:           4
        .value_kind:     hidden_block_count_y
      - .offset:         152
        .size:           4
        .value_kind:     hidden_block_count_z
      - .offset:         156
        .size:           2
        .value_kind:     hidden_group_size_x
      - .offset:         158
        .size:           2
        .value_kind:     hidden_group_size_y
      - .offset:         160
        .size:           2
        .value_kind:     hidden_group_size_z
      - .offset:         162
        .size:           2
        .value_kind:     hidden_remainder_x
      - .offset:         164
        .size:           2
        .value_kind:     hidden_remainder_y
      - .offset:         166
        .size:           2
        .value_kind:     hidden_remainder_z
      - .offset:         184
        .size:           8
        .value_kind:     hidden_global_offset_x
      - .offset:         192
        .size:           8
        .value_kind:     hidden_global_offset_y
      - .offset:         200
        .size:           8
        .value_kind:     hidden_global_offset_z
      - .offset:         208
        .size:           2
        .value_kind:     hidden_grid_dims
    .group_segment_fixed_size: 32
    .kernarg_segment_align: 8
    .kernarg_segment_size: 400
    .language:       OpenCL C
    .language_version:
      - 2
      - 0
    .max_flat_workgroup_size: 1024
    .name:           _ZN5aiter35fused_qk_rmsnorm_group_quant_kernelItN4opus5fp4_tELi256ELi8ELi8ELb1ELb1ELb0ELb1ELb0ELb0EEEvPT0_PvPT_S7_S7_PKS6_S9_S9_S9_S9_ffiiiiiiiiiiiii
    .private_segment_fixed_size: 0
    .sgpr_count:     48
    .sgpr_spill_count: 0
    .symbol:         _ZN5aiter35fused_qk_rmsnorm_group_quant_kernelItN4opus5fp4_tELi256ELi8ELi8ELb1ELb1ELb0ELb1ELb0ELb0EEEvPT0_PvPT_S7_S7_PKS6_S9_S9_S9_S9_ffiiiiiiiiiiiii.kd
    .uniform_work_group_size: 1
    .uses_dynamic_stack: false
    .vgpr_count:     27
    .vgpr_spill_count: 0
    .wavefront_size: 64
  - .agpr_count:     0
    .args:
      - .actual_access:  read_only
        .address_space:  global
        .offset:         0
        .size:           8
        .value_kind:     global_buffer
      - .actual_access:  read_only
        .address_space:  global
        .offset:         8
        .size:           8
        .value_kind:     global_buffer
      - .actual_access:  write_only
        .address_space:  global
        .offset:         16
        .size:           8
        .value_kind:     global_buffer
      - .actual_access:  write_only
        .address_space:  global
        .offset:         24
        .size:           8
        .value_kind:     global_buffer
      - .actual_access:  read_only
        .address_space:  global
        .offset:         32
        .size:           8
        .value_kind:     global_buffer
      - .actual_access:  read_only
        .address_space:  global
        .offset:         40
        .size:           8
        .value_kind:     global_buffer
      - .actual_access:  read_only
        .address_space:  global
        .offset:         48
        .size:           8
        .value_kind:     global_buffer
      - .actual_access:  read_only
        .address_space:  global
        .offset:         56
        .size:           8
        .value_kind:     global_buffer
      - .actual_access:  read_only
        .address_space:  global
        .offset:         64
        .size:           8
        .value_kind:     global_buffer
      - .actual_access:  read_only
        .address_space:  global
        .offset:         72
        .size:           8
        .value_kind:     global_buffer
      - .offset:         80
        .size:           4
        .value_kind:     by_value
      - .offset:         84
        .size:           4
        .value_kind:     by_value
      - .offset:         88
        .size:           4
        .value_kind:     by_value
      - .offset:         92
        .size:           4
        .value_kind:     by_value
      - .offset:         96
        .size:           4
        .value_kind:     by_value
      - .offset:         100
        .size:           4
        .value_kind:     by_value
      - .offset:         104
        .size:           4
        .value_kind:     by_value
      - .offset:         108
        .size:           4
        .value_kind:     by_value
      - .offset:         112
        .size:           4
        .value_kind:     by_value
      - .offset:         116
        .size:           4
        .value_kind:     by_value
      - .offset:         120
        .size:           4
        .value_kind:     by_value
      - .offset:         124
        .size:           4
        .value_kind:     by_value
      - .offset:         128
        .size:           4
        .value_kind:     by_value
      - .offset:         132
        .size:           4
        .value_kind:     by_value
      - .offset:         136
        .size:           4
        .value_kind:     by_value
      - .offset:         144
        .size:           4
        .value_kind:     hidden_block_count_x
      - .offset:         148
        .size:           4
        .value_kind:     hidden_block_count_y
      - .offset:         152
        .size:           4
        .value_kind:     hidden_block_count_z
      - .offset:         156
        .size:           2
        .value_kind:     hidden_group_size_x
      - .offset:         158
        .size:           2
        .value_kind:     hidden_group_size_y
      - .offset:         160
        .size:           2
        .value_kind:     hidden_group_size_z
      - .offset:         162
        .size:           2
        .value_kind:     hidden_remainder_x
      - .offset:         164
        .size:           2
        .value_kind:     hidden_remainder_y
      - .offset:         166
        .size:           2
        .value_kind:     hidden_remainder_z
      - .offset:         184
        .size:           8
        .value_kind:     hidden_global_offset_x
      - .offset:         192
        .size:           8
        .value_kind:     hidden_global_offset_y
      - .offset:         200
        .size:           8
        .value_kind:     hidden_global_offset_z
      - .offset:         208
        .size:           2
        .value_kind:     hidden_grid_dims
    .group_segment_fixed_size: 32
    .kernarg_segment_align: 8
    .kernarg_segment_size: 400
    .language:       OpenCL C
    .language_version:
      - 2
      - 0
    .max_flat_workgroup_size: 1024
    .name:           _ZN5aiter35fused_qk_rmsnorm_group_quant_kernelIDF16_DB8_Li256ELi8ELi8ELb0ELb1ELb1ELb1ELb0ELb0EEEvPT0_PvPT_S6_S6_PKS5_S8_S8_S8_S8_ffiiiiiiiiiiiii
    .private_segment_fixed_size: 0
    .sgpr_count:     36
    .sgpr_spill_count: 0
    .symbol:         _ZN5aiter35fused_qk_rmsnorm_group_quant_kernelIDF16_DB8_Li256ELi8ELi8ELb0ELb1ELb1ELb1ELb0ELb0EEEvPT0_PvPT_S6_S6_PKS5_S8_S8_S8_S8_ffiiiiiiiiiiiii.kd
    .uniform_work_group_size: 1
    .uses_dynamic_stack: false
    .vgpr_count:     23
    .vgpr_spill_count: 0
    .wavefront_size: 64
  - .agpr_count:     0
    .args:
      - .actual_access:  read_only
        .address_space:  global
        .offset:         0
        .size:           8
        .value_kind:     global_buffer
      - .actual_access:  read_only
        .address_space:  global
        .offset:         8
        .size:           8
        .value_kind:     global_buffer
      - .actual_access:  write_only
        .address_space:  global
        .offset:         16
        .size:           8
        .value_kind:     global_buffer
      - .actual_access:  write_only
        .address_space:  global
        .offset:         24
        .size:           8
        .value_kind:     global_buffer
      - .actual_access:  read_only
        .address_space:  global
        .offset:         32
        .size:           8
        .value_kind:     global_buffer
      - .actual_access:  read_only
        .address_space:  global
        .offset:         40
        .size:           8
        .value_kind:     global_buffer
      - .actual_access:  read_only
        .address_space:  global
        .offset:         48
        .size:           8
        .value_kind:     global_buffer
      - .actual_access:  read_only
        .address_space:  global
        .offset:         56
        .size:           8
        .value_kind:     global_buffer
      - .actual_access:  read_only
        .address_space:  global
        .offset:         64
        .size:           8
        .value_kind:     global_buffer
      - .actual_access:  read_only
        .address_space:  global
        .offset:         72
        .size:           8
        .value_kind:     global_buffer
      - .offset:         80
        .size:           4
        .value_kind:     by_value
      - .offset:         84
        .size:           4
        .value_kind:     by_value
      - .offset:         88
        .size:           4
        .value_kind:     by_value
      - .offset:         92
        .size:           4
        .value_kind:     by_value
      - .offset:         96
        .size:           4
        .value_kind:     by_value
      - .offset:         100
        .size:           4
        .value_kind:     by_value
      - .offset:         104
        .size:           4
        .value_kind:     by_value
      - .offset:         108
        .size:           4
        .value_kind:     by_value
      - .offset:         112
        .size:           4
        .value_kind:     by_value
      - .offset:         116
        .size:           4
        .value_kind:     by_value
      - .offset:         120
        .size:           4
        .value_kind:     by_value
      - .offset:         124
        .size:           4
        .value_kind:     by_value
      - .offset:         128
        .size:           4
        .value_kind:     by_value
      - .offset:         132
        .size:           4
        .value_kind:     by_value
      - .offset:         136
        .size:           4
        .value_kind:     by_value
      - .offset:         144
        .size:           4
        .value_kind:     hidden_block_count_x
      - .offset:         148
        .size:           4
        .value_kind:     hidden_block_count_y
      - .offset:         152
        .size:           4
        .value_kind:     hidden_block_count_z
      - .offset:         156
        .size:           2
        .value_kind:     hidden_group_size_x
      - .offset:         158
        .size:           2
        .value_kind:     hidden_group_size_y
      - .offset:         160
        .size:           2
        .value_kind:     hidden_group_size_z
      - .offset:         162
        .size:           2
        .value_kind:     hidden_remainder_x
      - .offset:         164
        .size:           2
        .value_kind:     hidden_remainder_y
      - .offset:         166
        .size:           2
        .value_kind:     hidden_remainder_z
      - .offset:         184
        .size:           8
        .value_kind:     hidden_global_offset_x
      - .offset:         192
        .size:           8
        .value_kind:     hidden_global_offset_y
      - .offset:         200
        .size:           8
        .value_kind:     hidden_global_offset_z
      - .offset:         208
        .size:           2
        .value_kind:     hidden_grid_dims
    .group_segment_fixed_size: 32
    .kernarg_segment_align: 8
    .kernarg_segment_size: 400
    .language:       OpenCL C
    .language_version:
      - 2
      - 0
    .max_flat_workgroup_size: 1024
    .name:           _ZN5aiter35fused_qk_rmsnorm_group_quant_kernelItDB8_Li256ELi8ELi8ELb0ELb1ELb1ELb1ELb0ELb0EEEvPT0_PvPT_S6_S6_PKS5_S8_S8_S8_S8_ffiiiiiiiiiiiii
    .private_segment_fixed_size: 0
    .sgpr_count:     36
    .sgpr_spill_count: 0
    .symbol:         _ZN5aiter35fused_qk_rmsnorm_group_quant_kernelItDB8_Li256ELi8ELi8ELb0ELb1ELb1ELb1ELb0ELb0EEEvPT0_PvPT_S6_S6_PKS5_S8_S8_S8_S8_ffiiiiiiiiiiiii.kd
    .uniform_work_group_size: 1
    .uses_dynamic_stack: false
    .vgpr_count:     23
    .vgpr_spill_count: 0
    .wavefront_size: 64
  - .agpr_count:     0
    .args:
      - .actual_access:  read_only
        .address_space:  global
        .offset:         0
        .size:           8
        .value_kind:     global_buffer
      - .actual_access:  read_only
        .address_space:  global
        .offset:         8
        .size:           8
        .value_kind:     global_buffer
      - .actual_access:  write_only
        .address_space:  global
        .offset:         16
        .size:           8
        .value_kind:     global_buffer
      - .actual_access:  write_only
        .address_space:  global
        .offset:         24
        .size:           8
        .value_kind:     global_buffer
      - .actual_access:  read_only
        .address_space:  global
        .offset:         32
        .size:           8
        .value_kind:     global_buffer
      - .actual_access:  read_only
        .address_space:  global
        .offset:         40
        .size:           8
        .value_kind:     global_buffer
      - .actual_access:  read_only
        .address_space:  global
        .offset:         48
        .size:           8
        .value_kind:     global_buffer
      - .actual_access:  read_only
        .address_space:  global
        .offset:         56
        .size:           8
        .value_kind:     global_buffer
      - .actual_access:  read_only
        .address_space:  global
        .offset:         64
        .size:           8
        .value_kind:     global_buffer
      - .actual_access:  read_only
        .address_space:  global
        .offset:         72
        .size:           8
        .value_kind:     global_buffer
      - .offset:         80
        .size:           4
        .value_kind:     by_value
      - .offset:         84
        .size:           4
        .value_kind:     by_value
      - .offset:         88
        .size:           4
        .value_kind:     by_value
      - .offset:         92
        .size:           4
        .value_kind:     by_value
      - .offset:         96
        .size:           4
        .value_kind:     by_value
      - .offset:         100
        .size:           4
        .value_kind:     by_value
      - .offset:         104
        .size:           4
        .value_kind:     by_value
      - .offset:         108
        .size:           4
        .value_kind:     by_value
      - .offset:         112
        .size:           4
        .value_kind:     by_value
      - .offset:         116
        .size:           4
        .value_kind:     by_value
      - .offset:         120
        .size:           4
        .value_kind:     by_value
      - .offset:         124
        .size:           4
        .value_kind:     by_value
      - .offset:         128
        .size:           4
        .value_kind:     by_value
      - .offset:         132
        .size:           4
        .value_kind:     by_value
      - .offset:         136
        .size:           4
        .value_kind:     by_value
      - .offset:         144
        .size:           4
        .value_kind:     hidden_block_count_x
      - .offset:         148
        .size:           4
        .value_kind:     hidden_block_count_y
      - .offset:         152
        .size:           4
        .value_kind:     hidden_block_count_z
      - .offset:         156
        .size:           2
        .value_kind:     hidden_group_size_x
      - .offset:         158
        .size:           2
        .value_kind:     hidden_group_size_y
      - .offset:         160
        .size:           2
        .value_kind:     hidden_group_size_z
      - .offset:         162
        .size:           2
        .value_kind:     hidden_remainder_x
      - .offset:         164
        .size:           2
        .value_kind:     hidden_remainder_y
      - .offset:         166
        .size:           2
        .value_kind:     hidden_remainder_z
      - .offset:         184
        .size:           8
        .value_kind:     hidden_global_offset_x
      - .offset:         192
        .size:           8
        .value_kind:     hidden_global_offset_y
      - .offset:         200
        .size:           8
        .value_kind:     hidden_global_offset_z
      - .offset:         208
        .size:           2
        .value_kind:     hidden_grid_dims
    .group_segment_fixed_size: 32
    .kernarg_segment_align: 8
    .kernarg_segment_size: 400
    .language:       OpenCL C
    .language_version:
      - 2
      - 0
    .max_flat_workgroup_size: 1024
    .name:           _ZN5aiter35fused_qk_rmsnorm_group_quant_kernelIDF16_N4opus5fp4_tELi256ELi8ELi8ELb0ELb1ELb1ELb1ELb0ELb0EEEvPT0_PvPT_S7_S7_PKS6_S9_S9_S9_S9_ffiiiiiiiiiiiii
    .private_segment_fixed_size: 0
    .sgpr_count:     36
    .sgpr_spill_count: 0
    .symbol:         _ZN5aiter35fused_qk_rmsnorm_group_quant_kernelIDF16_N4opus5fp4_tELi256ELi8ELi8ELb0ELb1ELb1ELb1ELb0ELb0EEEvPT0_PvPT_S7_S7_PKS6_S9_S9_S9_S9_ffiiiiiiiiiiiii.kd
    .uniform_work_group_size: 1
    .uses_dynamic_stack: false
    .vgpr_count:     23
    .vgpr_spill_count: 0
    .wavefront_size: 64
  - .agpr_count:     0
    .args:
      - .actual_access:  read_only
        .address_space:  global
        .offset:         0
        .size:           8
        .value_kind:     global_buffer
      - .actual_access:  read_only
        .address_space:  global
        .offset:         8
        .size:           8
        .value_kind:     global_buffer
      - .actual_access:  write_only
        .address_space:  global
        .offset:         16
        .size:           8
        .value_kind:     global_buffer
      - .actual_access:  write_only
        .address_space:  global
        .offset:         24
        .size:           8
        .value_kind:     global_buffer
      - .actual_access:  read_only
        .address_space:  global
        .offset:         32
        .size:           8
        .value_kind:     global_buffer
      - .actual_access:  read_only
        .address_space:  global
        .offset:         40
        .size:           8
        .value_kind:     global_buffer
      - .actual_access:  read_only
        .address_space:  global
        .offset:         48
        .size:           8
        .value_kind:     global_buffer
      - .actual_access:  read_only
        .address_space:  global
        .offset:         56
        .size:           8
        .value_kind:     global_buffer
      - .actual_access:  read_only
        .address_space:  global
        .offset:         64
        .size:           8
        .value_kind:     global_buffer
      - .actual_access:  read_only
        .address_space:  global
        .offset:         72
        .size:           8
        .value_kind:     global_buffer
      - .offset:         80
        .size:           4
        .value_kind:     by_value
      - .offset:         84
        .size:           4
        .value_kind:     by_value
      - .offset:         88
        .size:           4
        .value_kind:     by_value
      - .offset:         92
        .size:           4
        .value_kind:     by_value
      - .offset:         96
        .size:           4
        .value_kind:     by_value
      - .offset:         100
        .size:           4
        .value_kind:     by_value
      - .offset:         104
        .size:           4
        .value_kind:     by_value
      - .offset:         108
        .size:           4
        .value_kind:     by_value
      - .offset:         112
        .size:           4
        .value_kind:     by_value
      - .offset:         116
        .size:           4
        .value_kind:     by_value
      - .offset:         120
        .size:           4
        .value_kind:     by_value
      - .offset:         124
        .size:           4
        .value_kind:     by_value
      - .offset:         128
        .size:           4
        .value_kind:     by_value
      - .offset:         132
        .size:           4
        .value_kind:     by_value
      - .offset:         136
        .size:           4
        .value_kind:     by_value
      - .offset:         144
        .size:           4
        .value_kind:     hidden_block_count_x
      - .offset:         148
        .size:           4
        .value_kind:     hidden_block_count_y
      - .offset:         152
        .size:           4
        .value_kind:     hidden_block_count_z
      - .offset:         156
        .size:           2
        .value_kind:     hidden_group_size_x
      - .offset:         158
        .size:           2
        .value_kind:     hidden_group_size_y
      - .offset:         160
        .size:           2
        .value_kind:     hidden_group_size_z
      - .offset:         162
        .size:           2
        .value_kind:     hidden_remainder_x
      - .offset:         164
        .size:           2
        .value_kind:     hidden_remainder_y
      - .offset:         166
        .size:           2
        .value_kind:     hidden_remainder_z
      - .offset:         184
        .size:           8
        .value_kind:     hidden_global_offset_x
      - .offset:         192
        .size:           8
        .value_kind:     hidden_global_offset_y
      - .offset:         200
        .size:           8
        .value_kind:     hidden_global_offset_z
      - .offset:         208
        .size:           2
        .value_kind:     hidden_grid_dims
    .group_segment_fixed_size: 32
    .kernarg_segment_align: 8
    .kernarg_segment_size: 400
    .language:       OpenCL C
    .language_version:
      - 2
      - 0
    .max_flat_workgroup_size: 1024
    .name:           _ZN5aiter35fused_qk_rmsnorm_group_quant_kernelItN4opus5fp4_tELi256ELi8ELi8ELb0ELb1ELb1ELb1ELb0ELb0EEEvPT0_PvPT_S7_S7_PKS6_S9_S9_S9_S9_ffiiiiiiiiiiiii
    .private_segment_fixed_size: 0
    .sgpr_count:     36
    .sgpr_spill_count: 0
    .symbol:         _ZN5aiter35fused_qk_rmsnorm_group_quant_kernelItN4opus5fp4_tELi256ELi8ELi8ELb0ELb1ELb1ELb1ELb0ELb0EEEvPT0_PvPT_S7_S7_PKS6_S9_S9_S9_S9_ffiiiiiiiiiiiii.kd
    .uniform_work_group_size: 1
    .uses_dynamic_stack: false
    .vgpr_count:     23
    .vgpr_spill_count: 0
    .wavefront_size: 64
  - .agpr_count:     0
    .args:
      - .actual_access:  read_only
        .address_space:  global
        .offset:         0
        .size:           8
        .value_kind:     global_buffer
      - .actual_access:  read_only
        .address_space:  global
        .offset:         8
        .size:           8
        .value_kind:     global_buffer
      - .actual_access:  write_only
        .address_space:  global
        .offset:         16
        .size:           8
        .value_kind:     global_buffer
      - .actual_access:  write_only
        .address_space:  global
        .offset:         24
        .size:           8
        .value_kind:     global_buffer
      - .actual_access:  read_only
        .address_space:  global
        .offset:         32
        .size:           8
        .value_kind:     global_buffer
      - .actual_access:  read_only
        .address_space:  global
        .offset:         40
        .size:           8
        .value_kind:     global_buffer
      - .actual_access:  read_only
        .address_space:  global
        .offset:         48
        .size:           8
        .value_kind:     global_buffer
      - .actual_access:  read_only
        .address_space:  global
        .offset:         56
        .size:           8
        .value_kind:     global_buffer
      - .actual_access:  read_only
        .address_space:  global
        .offset:         64
        .size:           8
        .value_kind:     global_buffer
      - .actual_access:  read_only
        .address_space:  global
        .offset:         72
        .size:           8
        .value_kind:     global_buffer
      - .offset:         80
        .size:           4
        .value_kind:     by_value
      - .offset:         84
        .size:           4
        .value_kind:     by_value
      - .offset:         88
        .size:           4
        .value_kind:     by_value
      - .offset:         92
        .size:           4
        .value_kind:     by_value
      - .offset:         96
        .size:           4
        .value_kind:     by_value
      - .offset:         100
        .size:           4
        .value_kind:     by_value
      - .offset:         104
        .size:           4
        .value_kind:     by_value
      - .offset:         108
        .size:           4
        .value_kind:     by_value
      - .offset:         112
        .size:           4
        .value_kind:     by_value
      - .offset:         116
        .size:           4
        .value_kind:     by_value
      - .offset:         120
        .size:           4
        .value_kind:     by_value
      - .offset:         124
        .size:           4
        .value_kind:     by_value
      - .offset:         128
        .size:           4
        .value_kind:     by_value
      - .offset:         132
        .size:           4
        .value_kind:     by_value
      - .offset:         136
        .size:           4
        .value_kind:     by_value
      - .offset:         144
        .size:           4
        .value_kind:     hidden_block_count_x
      - .offset:         148
        .size:           4
        .value_kind:     hidden_block_count_y
      - .offset:         152
        .size:           4
        .value_kind:     hidden_block_count_z
      - .offset:         156
        .size:           2
        .value_kind:     hidden_group_size_x
      - .offset:         158
        .size:           2
        .value_kind:     hidden_group_size_y
      - .offset:         160
        .size:           2
        .value_kind:     hidden_group_size_z
      - .offset:         162
        .size:           2
        .value_kind:     hidden_remainder_x
      - .offset:         164
        .size:           2
        .value_kind:     hidden_remainder_y
      - .offset:         166
        .size:           2
        .value_kind:     hidden_remainder_z
      - .offset:         184
        .size:           8
        .value_kind:     hidden_global_offset_x
      - .offset:         192
        .size:           8
        .value_kind:     hidden_global_offset_y
      - .offset:         200
        .size:           8
        .value_kind:     hidden_global_offset_z
      - .offset:         208
        .size:           2
        .value_kind:     hidden_grid_dims
    .group_segment_fixed_size: 32
    .kernarg_segment_align: 8
    .kernarg_segment_size: 400
    .language:       OpenCL C
    .language_version:
      - 2
      - 0
    .max_flat_workgroup_size: 1024
    .name:           _ZN5aiter35fused_qk_rmsnorm_group_quant_kernelIDF16_DB8_Li256ELi8ELi8ELb0ELb1ELb0ELb1ELb0ELb0EEEvPT0_PvPT_S6_S6_PKS5_S8_S8_S8_S8_ffiiiiiiiiiiiii
    .private_segment_fixed_size: 0
    .sgpr_count:     36
    .sgpr_spill_count: 0
    .symbol:         _ZN5aiter35fused_qk_rmsnorm_group_quant_kernelIDF16_DB8_Li256ELi8ELi8ELb0ELb1ELb0ELb1ELb0ELb0EEEvPT0_PvPT_S6_S6_PKS5_S8_S8_S8_S8_ffiiiiiiiiiiiii.kd
    .uniform_work_group_size: 1
    .uses_dynamic_stack: false
    .vgpr_count:     23
    .vgpr_spill_count: 0
    .wavefront_size: 64
  - .agpr_count:     0
    .args:
      - .actual_access:  read_only
        .address_space:  global
        .offset:         0
        .size:           8
        .value_kind:     global_buffer
      - .actual_access:  read_only
        .address_space:  global
        .offset:         8
        .size:           8
        .value_kind:     global_buffer
      - .actual_access:  write_only
        .address_space:  global
        .offset:         16
        .size:           8
        .value_kind:     global_buffer
      - .actual_access:  write_only
        .address_space:  global
        .offset:         24
        .size:           8
        .value_kind:     global_buffer
      - .actual_access:  read_only
        .address_space:  global
        .offset:         32
        .size:           8
        .value_kind:     global_buffer
      - .actual_access:  read_only
        .address_space:  global
        .offset:         40
        .size:           8
        .value_kind:     global_buffer
      - .actual_access:  read_only
        .address_space:  global
        .offset:         48
        .size:           8
        .value_kind:     global_buffer
      - .actual_access:  read_only
        .address_space:  global
        .offset:         56
        .size:           8
        .value_kind:     global_buffer
      - .actual_access:  read_only
        .address_space:  global
        .offset:         64
        .size:           8
        .value_kind:     global_buffer
      - .actual_access:  read_only
        .address_space:  global
        .offset:         72
        .size:           8
        .value_kind:     global_buffer
      - .offset:         80
        .size:           4
        .value_kind:     by_value
      - .offset:         84
        .size:           4
        .value_kind:     by_value
      - .offset:         88
        .size:           4
        .value_kind:     by_value
      - .offset:         92
        .size:           4
        .value_kind:     by_value
      - .offset:         96
        .size:           4
        .value_kind:     by_value
      - .offset:         100
        .size:           4
        .value_kind:     by_value
      - .offset:         104
        .size:           4
        .value_kind:     by_value
      - .offset:         108
        .size:           4
        .value_kind:     by_value
      - .offset:         112
        .size:           4
        .value_kind:     by_value
      - .offset:         116
        .size:           4
        .value_kind:     by_value
      - .offset:         120
        .size:           4
        .value_kind:     by_value
      - .offset:         124
        .size:           4
        .value_kind:     by_value
      - .offset:         128
        .size:           4
        .value_kind:     by_value
      - .offset:         132
        .size:           4
        .value_kind:     by_value
      - .offset:         136
        .size:           4
        .value_kind:     by_value
      - .offset:         144
        .size:           4
        .value_kind:     hidden_block_count_x
      - .offset:         148
        .size:           4
        .value_kind:     hidden_block_count_y
      - .offset:         152
        .size:           4
        .value_kind:     hidden_block_count_z
      - .offset:         156
        .size:           2
        .value_kind:     hidden_group_size_x
      - .offset:         158
        .size:           2
        .value_kind:     hidden_group_size_y
      - .offset:         160
        .size:           2
        .value_kind:     hidden_group_size_z
      - .offset:         162
        .size:           2
        .value_kind:     hidden_remainder_x
      - .offset:         164
        .size:           2
        .value_kind:     hidden_remainder_y
      - .offset:         166
        .size:           2
        .value_kind:     hidden_remainder_z
      - .offset:         184
        .size:           8
        .value_kind:     hidden_global_offset_x
      - .offset:         192
        .size:           8
        .value_kind:     hidden_global_offset_y
      - .offset:         200
        .size:           8
        .value_kind:     hidden_global_offset_z
      - .offset:         208
        .size:           2
        .value_kind:     hidden_grid_dims
    .group_segment_fixed_size: 32
    .kernarg_segment_align: 8
    .kernarg_segment_size: 400
    .language:       OpenCL C
    .language_version:
      - 2
      - 0
    .max_flat_workgroup_size: 1024
    .name:           _ZN5aiter35fused_qk_rmsnorm_group_quant_kernelItDB8_Li256ELi8ELi8ELb0ELb1ELb0ELb1ELb0ELb0EEEvPT0_PvPT_S6_S6_PKS5_S8_S8_S8_S8_ffiiiiiiiiiiiii
    .private_segment_fixed_size: 0
    .sgpr_count:     36
    .sgpr_spill_count: 0
    .symbol:         _ZN5aiter35fused_qk_rmsnorm_group_quant_kernelItDB8_Li256ELi8ELi8ELb0ELb1ELb0ELb1ELb0ELb0EEEvPT0_PvPT_S6_S6_PKS5_S8_S8_S8_S8_ffiiiiiiiiiiiii.kd
    .uniform_work_group_size: 1
    .uses_dynamic_stack: false
    .vgpr_count:     23
    .vgpr_spill_count: 0
    .wavefront_size: 64
  - .agpr_count:     0
    .args:
      - .actual_access:  read_only
        .address_space:  global
        .offset:         0
        .size:           8
        .value_kind:     global_buffer
      - .actual_access:  read_only
        .address_space:  global
        .offset:         8
        .size:           8
        .value_kind:     global_buffer
      - .actual_access:  write_only
        .address_space:  global
        .offset:         16
        .size:           8
        .value_kind:     global_buffer
      - .actual_access:  write_only
        .address_space:  global
        .offset:         24
        .size:           8
        .value_kind:     global_buffer
      - .actual_access:  read_only
        .address_space:  global
        .offset:         32
        .size:           8
        .value_kind:     global_buffer
      - .actual_access:  read_only
        .address_space:  global
        .offset:         40
        .size:           8
        .value_kind:     global_buffer
      - .actual_access:  read_only
        .address_space:  global
        .offset:         48
        .size:           8
        .value_kind:     global_buffer
      - .actual_access:  read_only
        .address_space:  global
        .offset:         56
        .size:           8
        .value_kind:     global_buffer
      - .actual_access:  read_only
        .address_space:  global
        .offset:         64
        .size:           8
        .value_kind:     global_buffer
      - .actual_access:  read_only
        .address_space:  global
        .offset:         72
        .size:           8
        .value_kind:     global_buffer
      - .offset:         80
        .size:           4
        .value_kind:     by_value
      - .offset:         84
        .size:           4
        .value_kind:     by_value
      - .offset:         88
        .size:           4
        .value_kind:     by_value
      - .offset:         92
        .size:           4
        .value_kind:     by_value
      - .offset:         96
        .size:           4
        .value_kind:     by_value
      - .offset:         100
        .size:           4
        .value_kind:     by_value
      - .offset:         104
        .size:           4
        .value_kind:     by_value
      - .offset:         108
        .size:           4
        .value_kind:     by_value
      - .offset:         112
        .size:           4
        .value_kind:     by_value
      - .offset:         116
        .size:           4
        .value_kind:     by_value
      - .offset:         120
        .size:           4
        .value_kind:     by_value
      - .offset:         124
        .size:           4
        .value_kind:     by_value
      - .offset:         128
        .size:           4
        .value_kind:     by_value
      - .offset:         132
        .size:           4
        .value_kind:     by_value
      - .offset:         136
        .size:           4
        .value_kind:     by_value
      - .offset:         144
        .size:           4
        .value_kind:     hidden_block_count_x
      - .offset:         148
        .size:           4
        .value_kind:     hidden_block_count_y
      - .offset:         152
        .size:           4
        .value_kind:     hidden_block_count_z
      - .offset:         156
        .size:           2
        .value_kind:     hidden_group_size_x
      - .offset:         158
        .size:           2
        .value_kind:     hidden_group_size_y
      - .offset:         160
        .size:           2
        .value_kind:     hidden_group_size_z
      - .offset:         162
        .size:           2
        .value_kind:     hidden_remainder_x
      - .offset:         164
        .size:           2
        .value_kind:     hidden_remainder_y
      - .offset:         166
        .size:           2
        .value_kind:     hidden_remainder_z
      - .offset:         184
        .size:           8
        .value_kind:     hidden_global_offset_x
      - .offset:         192
        .size:           8
        .value_kind:     hidden_global_offset_y
      - .offset:         200
        .size:           8
        .value_kind:     hidden_global_offset_z
      - .offset:         208
        .size:           2
        .value_kind:     hidden_grid_dims
    .group_segment_fixed_size: 32
    .kernarg_segment_align: 8
    .kernarg_segment_size: 400
    .language:       OpenCL C
    .language_version:
      - 2
      - 0
    .max_flat_workgroup_size: 1024
    .name:           _ZN5aiter35fused_qk_rmsnorm_group_quant_kernelIDF16_N4opus5fp4_tELi256ELi8ELi8ELb0ELb1ELb0ELb1ELb0ELb0EEEvPT0_PvPT_S7_S7_PKS6_S9_S9_S9_S9_ffiiiiiiiiiiiii
    .private_segment_fixed_size: 0
    .sgpr_count:     36
    .sgpr_spill_count: 0
    .symbol:         _ZN5aiter35fused_qk_rmsnorm_group_quant_kernelIDF16_N4opus5fp4_tELi256ELi8ELi8ELb0ELb1ELb0ELb1ELb0ELb0EEEvPT0_PvPT_S7_S7_PKS6_S9_S9_S9_S9_ffiiiiiiiiiiiii.kd
    .uniform_work_group_size: 1
    .uses_dynamic_stack: false
    .vgpr_count:     23
    .vgpr_spill_count: 0
    .wavefront_size: 64
  - .agpr_count:     0
    .args:
      - .actual_access:  read_only
        .address_space:  global
        .offset:         0
        .size:           8
        .value_kind:     global_buffer
      - .actual_access:  read_only
        .address_space:  global
        .offset:         8
        .size:           8
        .value_kind:     global_buffer
      - .actual_access:  write_only
        .address_space:  global
        .offset:         16
        .size:           8
        .value_kind:     global_buffer
      - .actual_access:  write_only
        .address_space:  global
        .offset:         24
        .size:           8
        .value_kind:     global_buffer
      - .actual_access:  read_only
        .address_space:  global
        .offset:         32
        .size:           8
        .value_kind:     global_buffer
      - .actual_access:  read_only
        .address_space:  global
        .offset:         40
        .size:           8
        .value_kind:     global_buffer
      - .actual_access:  read_only
        .address_space:  global
        .offset:         48
        .size:           8
        .value_kind:     global_buffer
      - .actual_access:  read_only
        .address_space:  global
        .offset:         56
        .size:           8
        .value_kind:     global_buffer
      - .actual_access:  read_only
        .address_space:  global
        .offset:         64
        .size:           8
        .value_kind:     global_buffer
      - .actual_access:  read_only
        .address_space:  global
        .offset:         72
        .size:           8
        .value_kind:     global_buffer
      - .offset:         80
        .size:           4
        .value_kind:     by_value
      - .offset:         84
        .size:           4
        .value_kind:     by_value
      - .offset:         88
        .size:           4
        .value_kind:     by_value
      - .offset:         92
        .size:           4
        .value_kind:     by_value
      - .offset:         96
        .size:           4
        .value_kind:     by_value
      - .offset:         100
        .size:           4
        .value_kind:     by_value
      - .offset:         104
        .size:           4
        .value_kind:     by_value
      - .offset:         108
        .size:           4
        .value_kind:     by_value
      - .offset:         112
        .size:           4
        .value_kind:     by_value
      - .offset:         116
        .size:           4
        .value_kind:     by_value
      - .offset:         120
        .size:           4
        .value_kind:     by_value
      - .offset:         124
        .size:           4
        .value_kind:     by_value
      - .offset:         128
        .size:           4
        .value_kind:     by_value
      - .offset:         132
        .size:           4
        .value_kind:     by_value
      - .offset:         136
        .size:           4
        .value_kind:     by_value
      - .offset:         144
        .size:           4
        .value_kind:     hidden_block_count_x
      - .offset:         148
        .size:           4
        .value_kind:     hidden_block_count_y
      - .offset:         152
        .size:           4
        .value_kind:     hidden_block_count_z
      - .offset:         156
        .size:           2
        .value_kind:     hidden_group_size_x
      - .offset:         158
        .size:           2
        .value_kind:     hidden_group_size_y
      - .offset:         160
        .size:           2
        .value_kind:     hidden_group_size_z
      - .offset:         162
        .size:           2
        .value_kind:     hidden_remainder_x
      - .offset:         164
        .size:           2
        .value_kind:     hidden_remainder_y
      - .offset:         166
        .size:           2
        .value_kind:     hidden_remainder_z
      - .offset:         184
        .size:           8
        .value_kind:     hidden_global_offset_x
      - .offset:         192
        .size:           8
        .value_kind:     hidden_global_offset_y
      - .offset:         200
        .size:           8
        .value_kind:     hidden_global_offset_z
      - .offset:         208
        .size:           2
        .value_kind:     hidden_grid_dims
    .group_segment_fixed_size: 32
    .kernarg_segment_align: 8
    .kernarg_segment_size: 400
    .language:       OpenCL C
    .language_version:
      - 2
      - 0
    .max_flat_workgroup_size: 1024
    .name:           _ZN5aiter35fused_qk_rmsnorm_group_quant_kernelItN4opus5fp4_tELi256ELi8ELi8ELb0ELb1ELb0ELb1ELb0ELb0EEEvPT0_PvPT_S7_S7_PKS6_S9_S9_S9_S9_ffiiiiiiiiiiiii
    .private_segment_fixed_size: 0
    .sgpr_count:     36
    .sgpr_spill_count: 0
    .symbol:         _ZN5aiter35fused_qk_rmsnorm_group_quant_kernelItN4opus5fp4_tELi256ELi8ELi8ELb0ELb1ELb0ELb1ELb0ELb0EEEvPT0_PvPT_S7_S7_PKS6_S9_S9_S9_S9_ffiiiiiiiiiiiii.kd
    .uniform_work_group_size: 1
    .uses_dynamic_stack: false
    .vgpr_count:     23
    .vgpr_spill_count: 0
    .wavefront_size: 64
  - .agpr_count:     0
    .args:
      - .actual_access:  write_only
        .address_space:  global
        .offset:         0
        .size:           8
        .value_kind:     global_buffer
      - .actual_access:  write_only
        .address_space:  global
        .offset:         8
        .size:           8
        .value_kind:     global_buffer
      - .actual_access:  write_only
        .address_space:  global
        .offset:         16
        .size:           8
        .value_kind:     global_buffer
      - .actual_access:  write_only
        .address_space:  global
        .offset:         24
        .size:           8
        .value_kind:     global_buffer
      - .actual_access:  write_only
        .address_space:  global
        .offset:         32
        .size:           8
        .value_kind:     global_buffer
      - .actual_access:  read_only
        .address_space:  global
        .offset:         40
        .size:           8
        .value_kind:     global_buffer
      - .actual_access:  read_only
        .address_space:  global
        .offset:         48
        .size:           8
        .value_kind:     global_buffer
      - .actual_access:  read_only
        .address_space:  global
        .offset:         56
        .size:           8
        .value_kind:     global_buffer
      - .actual_access:  read_only
        .address_space:  global
        .offset:         64
        .size:           8
        .value_kind:     global_buffer
      - .actual_access:  read_only
        .address_space:  global
        .offset:         72
        .size:           8
        .value_kind:     global_buffer
      - .offset:         80
        .size:           4
        .value_kind:     by_value
      - .offset:         84
        .size:           4
        .value_kind:     by_value
      - .offset:         88
        .size:           4
        .value_kind:     by_value
      - .offset:         92
        .size:           4
        .value_kind:     by_value
      - .offset:         96
        .size:           4
        .value_kind:     by_value
      - .offset:         100
        .size:           4
        .value_kind:     by_value
      - .offset:         104
        .size:           4
        .value_kind:     by_value
      - .offset:         108
        .size:           4
        .value_kind:     by_value
      - .offset:         112
        .size:           4
        .value_kind:     by_value
      - .offset:         116
        .size:           4
        .value_kind:     by_value
      - .offset:         120
        .size:           4
        .value_kind:     by_value
      - .offset:         124
        .size:           4
        .value_kind:     by_value
      - .offset:         128
        .size:           4
        .value_kind:     by_value
      - .offset:         132
        .size:           4
        .value_kind:     by_value
      - .offset:         136
        .size:           4
        .value_kind:     by_value
      - .offset:         144
        .size:           4
        .value_kind:     hidden_block_count_x
      - .offset:         148
        .size:           4
        .value_kind:     hidden_block_count_y
      - .offset:         152
        .size:           4
        .value_kind:     hidden_block_count_z
      - .offset:         156
        .size:           2
        .value_kind:     hidden_group_size_x
      - .offset:         158
        .size:           2
        .value_kind:     hidden_group_size_y
      - .offset:         160
        .size:           2
        .value_kind:     hidden_group_size_z
      - .offset:         162
        .size:           2
        .value_kind:     hidden_remainder_x
      - .offset:         164
        .size:           2
        .value_kind:     hidden_remainder_y
      - .offset:         166
        .size:           2
        .value_kind:     hidden_remainder_z
      - .offset:         184
        .size:           8
        .value_kind:     hidden_global_offset_x
      - .offset:         192
        .size:           8
        .value_kind:     hidden_global_offset_y
      - .offset:         200
        .size:           8
        .value_kind:     hidden_global_offset_z
      - .offset:         208
        .size:           2
        .value_kind:     hidden_grid_dims
    .group_segment_fixed_size: 32
    .kernarg_segment_align: 8
    .kernarg_segment_size: 400
    .language:       OpenCL C
    .language_version:
      - 2
      - 0
    .max_flat_workgroup_size: 1024
    .name:           _ZN5aiter35fused_qk_rmsnorm_group_quant_kernelIDF16_DB8_Li256ELi8ELi8ELb1ELb1ELb1ELb0ELb0ELb0EEEvPT0_PvPT_S6_S6_PKS5_S8_S8_S8_S8_ffiiiiiiiiiiiii
    .private_segment_fixed_size: 0
    .sgpr_count:     48
    .sgpr_spill_count: 0
    .symbol:         _ZN5aiter35fused_qk_rmsnorm_group_quant_kernelIDF16_DB8_Li256ELi8ELi8ELb1ELb1ELb1ELb0ELb0ELb0EEEvPT0_PvPT_S6_S6_PKS5_S8_S8_S8_S8_ffiiiiiiiiiiiii.kd
    .uniform_work_group_size: 1
    .uses_dynamic_stack: false
    .vgpr_count:     31
    .vgpr_spill_count: 0
    .wavefront_size: 64
  - .agpr_count:     0
    .args:
      - .actual_access:  write_only
        .address_space:  global
        .offset:         0
        .size:           8
        .value_kind:     global_buffer
      - .actual_access:  write_only
        .address_space:  global
        .offset:         8
        .size:           8
        .value_kind:     global_buffer
      - .actual_access:  write_only
        .address_space:  global
        .offset:         16
        .size:           8
        .value_kind:     global_buffer
      - .actual_access:  write_only
        .address_space:  global
        .offset:         24
        .size:           8
        .value_kind:     global_buffer
      - .actual_access:  write_only
        .address_space:  global
        .offset:         32
        .size:           8
        .value_kind:     global_buffer
      - .actual_access:  read_only
        .address_space:  global
        .offset:         40
        .size:           8
        .value_kind:     global_buffer
      - .actual_access:  read_only
        .address_space:  global
        .offset:         48
        .size:           8
        .value_kind:     global_buffer
      - .actual_access:  read_only
        .address_space:  global
        .offset:         56
        .size:           8
        .value_kind:     global_buffer
      - .actual_access:  read_only
        .address_space:  global
        .offset:         64
        .size:           8
        .value_kind:     global_buffer
      - .actual_access:  read_only
        .address_space:  global
        .offset:         72
        .size:           8
        .value_kind:     global_buffer
      - .offset:         80
        .size:           4
        .value_kind:     by_value
      - .offset:         84
        .size:           4
        .value_kind:     by_value
      - .offset:         88
        .size:           4
        .value_kind:     by_value
      - .offset:         92
        .size:           4
        .value_kind:     by_value
      - .offset:         96
        .size:           4
        .value_kind:     by_value
      - .offset:         100
        .size:           4
        .value_kind:     by_value
      - .offset:         104
        .size:           4
        .value_kind:     by_value
      - .offset:         108
        .size:           4
        .value_kind:     by_value
      - .offset:         112
        .size:           4
        .value_kind:     by_value
      - .offset:         116
        .size:           4
        .value_kind:     by_value
      - .offset:         120
        .size:           4
        .value_kind:     by_value
      - .offset:         124
        .size:           4
        .value_kind:     by_value
      - .offset:         128
        .size:           4
        .value_kind:     by_value
      - .offset:         132
        .size:           4
        .value_kind:     by_value
      - .offset:         136
        .size:           4
        .value_kind:     by_value
      - .offset:         144
        .size:           4
        .value_kind:     hidden_block_count_x
      - .offset:         148
        .size:           4
        .value_kind:     hidden_block_count_y
      - .offset:         152
        .size:           4
        .value_kind:     hidden_block_count_z
      - .offset:         156
        .size:           2
        .value_kind:     hidden_group_size_x
      - .offset:         158
        .size:           2
        .value_kind:     hidden_group_size_y
      - .offset:         160
        .size:           2
        .value_kind:     hidden_group_size_z
      - .offset:         162
        .size:           2
        .value_kind:     hidden_remainder_x
      - .offset:         164
        .size:           2
        .value_kind:     hidden_remainder_y
      - .offset:         166
        .size:           2
        .value_kind:     hidden_remainder_z
      - .offset:         184
        .size:           8
        .value_kind:     hidden_global_offset_x
      - .offset:         192
        .size:           8
        .value_kind:     hidden_global_offset_y
      - .offset:         200
        .size:           8
        .value_kind:     hidden_global_offset_z
      - .offset:         208
        .size:           2
        .value_kind:     hidden_grid_dims
    .group_segment_fixed_size: 32
    .kernarg_segment_align: 8
    .kernarg_segment_size: 400
    .language:       OpenCL C
    .language_version:
      - 2
      - 0
    .max_flat_workgroup_size: 1024
    .name:           _ZN5aiter35fused_qk_rmsnorm_group_quant_kernelItDB8_Li256ELi8ELi8ELb1ELb1ELb1ELb0ELb0ELb0EEEvPT0_PvPT_S6_S6_PKS5_S8_S8_S8_S8_ffiiiiiiiiiiiii
    .private_segment_fixed_size: 0
    .sgpr_count:     52
    .sgpr_spill_count: 0
    .symbol:         _ZN5aiter35fused_qk_rmsnorm_group_quant_kernelItDB8_Li256ELi8ELi8ELb1ELb1ELb1ELb0ELb0ELb0EEEvPT0_PvPT_S6_S6_PKS5_S8_S8_S8_S8_ffiiiiiiiiiiiii.kd
    .uniform_work_group_size: 1
    .uses_dynamic_stack: false
    .vgpr_count:     27
    .vgpr_spill_count: 0
    .wavefront_size: 64
  - .agpr_count:     0
    .args:
      - .actual_access:  write_only
        .address_space:  global
        .offset:         0
        .size:           8
        .value_kind:     global_buffer
      - .actual_access:  write_only
        .address_space:  global
        .offset:         8
        .size:           8
        .value_kind:     global_buffer
      - .actual_access:  write_only
        .address_space:  global
        .offset:         16
        .size:           8
        .value_kind:     global_buffer
      - .actual_access:  write_only
        .address_space:  global
        .offset:         24
        .size:           8
        .value_kind:     global_buffer
      - .actual_access:  write_only
        .address_space:  global
        .offset:         32
        .size:           8
        .value_kind:     global_buffer
      - .actual_access:  read_only
        .address_space:  global
        .offset:         40
        .size:           8
        .value_kind:     global_buffer
      - .actual_access:  read_only
        .address_space:  global
        .offset:         48
        .size:           8
        .value_kind:     global_buffer
      - .actual_access:  read_only
        .address_space:  global
        .offset:         56
        .size:           8
        .value_kind:     global_buffer
      - .actual_access:  read_only
        .address_space:  global
        .offset:         64
        .size:           8
        .value_kind:     global_buffer
      - .actual_access:  read_only
        .address_space:  global
        .offset:         72
        .size:           8
        .value_kind:     global_buffer
      - .offset:         80
        .size:           4
        .value_kind:     by_value
      - .offset:         84
        .size:           4
        .value_kind:     by_value
      - .offset:         88
        .size:           4
        .value_kind:     by_value
      - .offset:         92
        .size:           4
        .value_kind:     by_value
      - .offset:         96
        .size:           4
        .value_kind:     by_value
      - .offset:         100
        .size:           4
        .value_kind:     by_value
      - .offset:         104
        .size:           4
        .value_kind:     by_value
      - .offset:         108
        .size:           4
        .value_kind:     by_value
      - .offset:         112
        .size:           4
        .value_kind:     by_value
      - .offset:         116
        .size:           4
        .value_kind:     by_value
      - .offset:         120
        .size:           4
        .value_kind:     by_value
      - .offset:         124
        .size:           4
        .value_kind:     by_value
      - .offset:         128
        .size:           4
        .value_kind:     by_value
      - .offset:         132
        .size:           4
        .value_kind:     by_value
      - .offset:         136
        .size:           4
        .value_kind:     by_value
      - .offset:         144
        .size:           4
        .value_kind:     hidden_block_count_x
      - .offset:         148
        .size:           4
        .value_kind:     hidden_block_count_y
      - .offset:         152
        .size:           4
        .value_kind:     hidden_block_count_z
      - .offset:         156
        .size:           2
        .value_kind:     hidden_group_size_x
      - .offset:         158
        .size:           2
        .value_kind:     hidden_group_size_y
      - .offset:         160
        .size:           2
        .value_kind:     hidden_group_size_z
      - .offset:         162
        .size:           2
        .value_kind:     hidden_remainder_x
      - .offset:         164
        .size:           2
        .value_kind:     hidden_remainder_y
      - .offset:         166
        .size:           2
        .value_kind:     hidden_remainder_z
      - .offset:         184
        .size:           8
        .value_kind:     hidden_global_offset_x
      - .offset:         192
        .size:           8
        .value_kind:     hidden_global_offset_y
      - .offset:         200
        .size:           8
        .value_kind:     hidden_global_offset_z
      - .offset:         208
        .size:           2
        .value_kind:     hidden_grid_dims
    .group_segment_fixed_size: 32
    .kernarg_segment_align: 8
    .kernarg_segment_size: 400
    .language:       OpenCL C
    .language_version:
      - 2
      - 0
    .max_flat_workgroup_size: 1024
    .name:           _ZN5aiter35fused_qk_rmsnorm_group_quant_kernelIDF16_N4opus5fp4_tELi256ELi8ELi8ELb1ELb1ELb1ELb0ELb0ELb0EEEvPT0_PvPT_S7_S7_PKS6_S9_S9_S9_S9_ffiiiiiiiiiiiii
    .private_segment_fixed_size: 0
    .sgpr_count:     48
    .sgpr_spill_count: 0
    .symbol:         _ZN5aiter35fused_qk_rmsnorm_group_quant_kernelIDF16_N4opus5fp4_tELi256ELi8ELi8ELb1ELb1ELb1ELb0ELb0ELb0EEEvPT0_PvPT_S7_S7_PKS6_S9_S9_S9_S9_ffiiiiiiiiiiiii.kd
    .uniform_work_group_size: 1
    .uses_dynamic_stack: false
    .vgpr_count:     25
    .vgpr_spill_count: 0
    .wavefront_size: 64
  - .agpr_count:     0
    .args:
      - .actual_access:  write_only
        .address_space:  global
        .offset:         0
        .size:           8
        .value_kind:     global_buffer
      - .actual_access:  write_only
        .address_space:  global
        .offset:         8
        .size:           8
        .value_kind:     global_buffer
      - .actual_access:  write_only
        .address_space:  global
        .offset:         16
        .size:           8
        .value_kind:     global_buffer
      - .actual_access:  write_only
        .address_space:  global
        .offset:         24
        .size:           8
        .value_kind:     global_buffer
      - .actual_access:  write_only
        .address_space:  global
        .offset:         32
        .size:           8
        .value_kind:     global_buffer
      - .actual_access:  read_only
        .address_space:  global
        .offset:         40
        .size:           8
        .value_kind:     global_buffer
      - .actual_access:  read_only
        .address_space:  global
        .offset:         48
        .size:           8
        .value_kind:     global_buffer
      - .actual_access:  read_only
        .address_space:  global
        .offset:         56
        .size:           8
        .value_kind:     global_buffer
      - .actual_access:  read_only
        .address_space:  global
        .offset:         64
        .size:           8
        .value_kind:     global_buffer
      - .actual_access:  read_only
        .address_space:  global
        .offset:         72
        .size:           8
        .value_kind:     global_buffer
      - .offset:         80
        .size:           4
        .value_kind:     by_value
      - .offset:         84
        .size:           4
        .value_kind:     by_value
      - .offset:         88
        .size:           4
        .value_kind:     by_value
      - .offset:         92
        .size:           4
        .value_kind:     by_value
      - .offset:         96
        .size:           4
        .value_kind:     by_value
      - .offset:         100
        .size:           4
        .value_kind:     by_value
      - .offset:         104
        .size:           4
        .value_kind:     by_value
      - .offset:         108
        .size:           4
        .value_kind:     by_value
      - .offset:         112
        .size:           4
        .value_kind:     by_value
      - .offset:         116
        .size:           4
        .value_kind:     by_value
      - .offset:         120
        .size:           4
        .value_kind:     by_value
      - .offset:         124
        .size:           4
        .value_kind:     by_value
      - .offset:         128
        .size:           4
        .value_kind:     by_value
      - .offset:         132
        .size:           4
        .value_kind:     by_value
      - .offset:         136
        .size:           4
        .value_kind:     by_value
      - .offset:         144
        .size:           4
        .value_kind:     hidden_block_count_x
      - .offset:         148
        .size:           4
        .value_kind:     hidden_block_count_y
      - .offset:         152
        .size:           4
        .value_kind:     hidden_block_count_z
      - .offset:         156
        .size:           2
        .value_kind:     hidden_group_size_x
      - .offset:         158
        .size:           2
        .value_kind:     hidden_group_size_y
      - .offset:         160
        .size:           2
        .value_kind:     hidden_group_size_z
      - .offset:         162
        .size:           2
        .value_kind:     hidden_remainder_x
      - .offset:         164
        .size:           2
        .value_kind:     hidden_remainder_y
      - .offset:         166
        .size:           2
        .value_kind:     hidden_remainder_z
      - .offset:         184
        .size:           8
        .value_kind:     hidden_global_offset_x
      - .offset:         192
        .size:           8
        .value_kind:     hidden_global_offset_y
      - .offset:         200
        .size:           8
        .value_kind:     hidden_global_offset_z
      - .offset:         208
        .size:           2
        .value_kind:     hidden_grid_dims
    .group_segment_fixed_size: 32
    .kernarg_segment_align: 8
    .kernarg_segment_size: 400
    .language:       OpenCL C
    .language_version:
      - 2
      - 0
    .max_flat_workgroup_size: 1024
    .name:           _ZN5aiter35fused_qk_rmsnorm_group_quant_kernelItN4opus5fp4_tELi256ELi8ELi8ELb1ELb1ELb1ELb0ELb0ELb0EEEvPT0_PvPT_S7_S7_PKS6_S9_S9_S9_S9_ffiiiiiiiiiiiii
    .private_segment_fixed_size: 0
    .sgpr_count:     52
    .sgpr_spill_count: 0
    .symbol:         _ZN5aiter35fused_qk_rmsnorm_group_quant_kernelItN4opus5fp4_tELi256ELi8ELi8ELb1ELb1ELb1ELb0ELb0ELb0EEEvPT0_PvPT_S7_S7_PKS6_S9_S9_S9_S9_ffiiiiiiiiiiiii.kd
    .uniform_work_group_size: 1
    .uses_dynamic_stack: false
    .vgpr_count:     27
    .vgpr_spill_count: 0
    .wavefront_size: 64
  - .agpr_count:     0
    .args:
      - .actual_access:  write_only
        .address_space:  global
        .offset:         0
        .size:           8
        .value_kind:     global_buffer
      - .actual_access:  write_only
        .address_space:  global
        .offset:         8
        .size:           8
        .value_kind:     global_buffer
      - .actual_access:  write_only
        .address_space:  global
        .offset:         16
        .size:           8
        .value_kind:     global_buffer
      - .actual_access:  write_only
        .address_space:  global
        .offset:         24
        .size:           8
        .value_kind:     global_buffer
      - .actual_access:  write_only
        .address_space:  global
        .offset:         32
        .size:           8
        .value_kind:     global_buffer
      - .actual_access:  read_only
        .address_space:  global
        .offset:         40
        .size:           8
        .value_kind:     global_buffer
      - .actual_access:  read_only
        .address_space:  global
        .offset:         48
        .size:           8
        .value_kind:     global_buffer
      - .actual_access:  read_only
        .address_space:  global
        .offset:         56
        .size:           8
        .value_kind:     global_buffer
      - .actual_access:  read_only
        .address_space:  global
        .offset:         64
        .size:           8
        .value_kind:     global_buffer
      - .actual_access:  read_only
        .address_space:  global
        .offset:         72
        .size:           8
        .value_kind:     global_buffer
      - .offset:         80
        .size:           4
        .value_kind:     by_value
      - .offset:         84
        .size:           4
        .value_kind:     by_value
      - .offset:         88
        .size:           4
        .value_kind:     by_value
      - .offset:         92
        .size:           4
        .value_kind:     by_value
      - .offset:         96
        .size:           4
        .value_kind:     by_value
      - .offset:         100
        .size:           4
        .value_kind:     by_value
      - .offset:         104
        .size:           4
        .value_kind:     by_value
      - .offset:         108
        .size:           4
        .value_kind:     by_value
      - .offset:         112
        .size:           4
        .value_kind:     by_value
      - .offset:         116
        .size:           4
        .value_kind:     by_value
      - .offset:         120
        .size:           4
        .value_kind:     by_value
      - .offset:         124
        .size:           4
        .value_kind:     by_value
      - .offset:         128
        .size:           4
        .value_kind:     by_value
      - .offset:         132
        .size:           4
        .value_kind:     by_value
      - .offset:         136
        .size:           4
        .value_kind:     by_value
      - .offset:         144
        .size:           4
        .value_kind:     hidden_block_count_x
      - .offset:         148
        .size:           4
        .value_kind:     hidden_block_count_y
      - .offset:         152
        .size:           4
        .value_kind:     hidden_block_count_z
      - .offset:         156
        .size:           2
        .value_kind:     hidden_group_size_x
      - .offset:         158
        .size:           2
        .value_kind:     hidden_group_size_y
      - .offset:         160
        .size:           2
        .value_kind:     hidden_group_size_z
      - .offset:         162
        .size:           2
        .value_kind:     hidden_remainder_x
      - .offset:         164
        .size:           2
        .value_kind:     hidden_remainder_y
      - .offset:         166
        .size:           2
        .value_kind:     hidden_remainder_z
      - .offset:         184
        .size:           8
        .value_kind:     hidden_global_offset_x
      - .offset:         192
        .size:           8
        .value_kind:     hidden_global_offset_y
      - .offset:         200
        .size:           8
        .value_kind:     hidden_global_offset_z
      - .offset:         208
        .size:           2
        .value_kind:     hidden_grid_dims
    .group_segment_fixed_size: 32
    .kernarg_segment_align: 8
    .kernarg_segment_size: 400
    .language:       OpenCL C
    .language_version:
      - 2
      - 0
    .max_flat_workgroup_size: 1024
    .name:           _ZN5aiter35fused_qk_rmsnorm_group_quant_kernelIDF16_DB8_Li256ELi8ELi8ELb1ELb1ELb0ELb0ELb0ELb0EEEvPT0_PvPT_S6_S6_PKS5_S8_S8_S8_S8_ffiiiiiiiiiiiii
    .private_segment_fixed_size: 0
    .sgpr_count:     48
    .sgpr_spill_count: 0
    .symbol:         _ZN5aiter35fused_qk_rmsnorm_group_quant_kernelIDF16_DB8_Li256ELi8ELi8ELb1ELb1ELb0ELb0ELb0ELb0EEEvPT0_PvPT_S6_S6_PKS5_S8_S8_S8_S8_ffiiiiiiiiiiiii.kd
    .uniform_work_group_size: 1
    .uses_dynamic_stack: false
    .vgpr_count:     34
    .vgpr_spill_count: 0
    .wavefront_size: 64
  - .agpr_count:     0
    .args:
      - .actual_access:  write_only
        .address_space:  global
        .offset:         0
        .size:           8
        .value_kind:     global_buffer
      - .actual_access:  write_only
        .address_space:  global
        .offset:         8
        .size:           8
        .value_kind:     global_buffer
      - .actual_access:  write_only
        .address_space:  global
        .offset:         16
        .size:           8
        .value_kind:     global_buffer
      - .actual_access:  write_only
        .address_space:  global
        .offset:         24
        .size:           8
        .value_kind:     global_buffer
      - .actual_access:  write_only
        .address_space:  global
        .offset:         32
        .size:           8
        .value_kind:     global_buffer
      - .actual_access:  read_only
        .address_space:  global
        .offset:         40
        .size:           8
        .value_kind:     global_buffer
      - .actual_access:  read_only
        .address_space:  global
        .offset:         48
        .size:           8
        .value_kind:     global_buffer
      - .actual_access:  read_only
        .address_space:  global
        .offset:         56
        .size:           8
        .value_kind:     global_buffer
      - .actual_access:  read_only
        .address_space:  global
        .offset:         64
        .size:           8
        .value_kind:     global_buffer
      - .actual_access:  read_only
        .address_space:  global
        .offset:         72
        .size:           8
        .value_kind:     global_buffer
      - .offset:         80
        .size:           4
        .value_kind:     by_value
      - .offset:         84
        .size:           4
        .value_kind:     by_value
      - .offset:         88
        .size:           4
        .value_kind:     by_value
      - .offset:         92
        .size:           4
        .value_kind:     by_value
      - .offset:         96
        .size:           4
        .value_kind:     by_value
      - .offset:         100
        .size:           4
        .value_kind:     by_value
      - .offset:         104
        .size:           4
        .value_kind:     by_value
      - .offset:         108
        .size:           4
        .value_kind:     by_value
      - .offset:         112
        .size:           4
        .value_kind:     by_value
      - .offset:         116
        .size:           4
        .value_kind:     by_value
      - .offset:         120
        .size:           4
        .value_kind:     by_value
      - .offset:         124
        .size:           4
        .value_kind:     by_value
      - .offset:         128
        .size:           4
        .value_kind:     by_value
      - .offset:         132
        .size:           4
        .value_kind:     by_value
      - .offset:         136
        .size:           4
        .value_kind:     by_value
      - .offset:         144
        .size:           4
        .value_kind:     hidden_block_count_x
      - .offset:         148
        .size:           4
        .value_kind:     hidden_block_count_y
      - .offset:         152
        .size:           4
        .value_kind:     hidden_block_count_z
      - .offset:         156
        .size:           2
        .value_kind:     hidden_group_size_x
      - .offset:         158
        .size:           2
        .value_kind:     hidden_group_size_y
      - .offset:         160
        .size:           2
        .value_kind:     hidden_group_size_z
      - .offset:         162
        .size:           2
        .value_kind:     hidden_remainder_x
      - .offset:         164
        .size:           2
        .value_kind:     hidden_remainder_y
      - .offset:         166
        .size:           2
        .value_kind:     hidden_remainder_z
      - .offset:         184
        .size:           8
        .value_kind:     hidden_global_offset_x
      - .offset:         192
        .size:           8
        .value_kind:     hidden_global_offset_y
      - .offset:         200
        .size:           8
        .value_kind:     hidden_global_offset_z
      - .offset:         208
        .size:           2
        .value_kind:     hidden_grid_dims
    .group_segment_fixed_size: 32
    .kernarg_segment_align: 8
    .kernarg_segment_size: 400
    .language:       OpenCL C
    .language_version:
      - 2
      - 0
    .max_flat_workgroup_size: 1024
    .name:           _ZN5aiter35fused_qk_rmsnorm_group_quant_kernelItDB8_Li256ELi8ELi8ELb1ELb1ELb0ELb0ELb0ELb0EEEvPT0_PvPT_S6_S6_PKS5_S8_S8_S8_S8_ffiiiiiiiiiiiii
    .private_segment_fixed_size: 0
    .sgpr_count:     52
    .sgpr_spill_count: 0
    .symbol:         _ZN5aiter35fused_qk_rmsnorm_group_quant_kernelItDB8_Li256ELi8ELi8ELb1ELb1ELb0ELb0ELb0ELb0EEEvPT0_PvPT_S6_S6_PKS5_S8_S8_S8_S8_ffiiiiiiiiiiiii.kd
    .uniform_work_group_size: 1
    .uses_dynamic_stack: false
    .vgpr_count:     27
    .vgpr_spill_count: 0
    .wavefront_size: 64
  - .agpr_count:     0
    .args:
      - .actual_access:  write_only
        .address_space:  global
        .offset:         0
        .size:           8
        .value_kind:     global_buffer
      - .actual_access:  write_only
        .address_space:  global
        .offset:         8
        .size:           8
        .value_kind:     global_buffer
      - .actual_access:  write_only
        .address_space:  global
        .offset:         16
        .size:           8
        .value_kind:     global_buffer
      - .actual_access:  write_only
        .address_space:  global
        .offset:         24
        .size:           8
        .value_kind:     global_buffer
      - .actual_access:  write_only
        .address_space:  global
        .offset:         32
        .size:           8
        .value_kind:     global_buffer
      - .actual_access:  read_only
        .address_space:  global
        .offset:         40
        .size:           8
        .value_kind:     global_buffer
      - .actual_access:  read_only
        .address_space:  global
        .offset:         48
        .size:           8
        .value_kind:     global_buffer
      - .actual_access:  read_only
        .address_space:  global
        .offset:         56
        .size:           8
        .value_kind:     global_buffer
      - .actual_access:  read_only
        .address_space:  global
        .offset:         64
        .size:           8
        .value_kind:     global_buffer
      - .actual_access:  read_only
        .address_space:  global
        .offset:         72
        .size:           8
        .value_kind:     global_buffer
      - .offset:         80
        .size:           4
        .value_kind:     by_value
      - .offset:         84
        .size:           4
        .value_kind:     by_value
      - .offset:         88
        .size:           4
        .value_kind:     by_value
      - .offset:         92
        .size:           4
        .value_kind:     by_value
      - .offset:         96
        .size:           4
        .value_kind:     by_value
      - .offset:         100
        .size:           4
        .value_kind:     by_value
      - .offset:         104
        .size:           4
        .value_kind:     by_value
      - .offset:         108
        .size:           4
        .value_kind:     by_value
      - .offset:         112
        .size:           4
        .value_kind:     by_value
      - .offset:         116
        .size:           4
        .value_kind:     by_value
      - .offset:         120
        .size:           4
        .value_kind:     by_value
      - .offset:         124
        .size:           4
        .value_kind:     by_value
      - .offset:         128
        .size:           4
        .value_kind:     by_value
      - .offset:         132
        .size:           4
        .value_kind:     by_value
      - .offset:         136
        .size:           4
        .value_kind:     by_value
      - .offset:         144
        .size:           4
        .value_kind:     hidden_block_count_x
      - .offset:         148
        .size:           4
        .value_kind:     hidden_block_count_y
      - .offset:         152
        .size:           4
        .value_kind:     hidden_block_count_z
      - .offset:         156
        .size:           2
        .value_kind:     hidden_group_size_x
      - .offset:         158
        .size:           2
        .value_kind:     hidden_group_size_y
      - .offset:         160
        .size:           2
        .value_kind:     hidden_group_size_z
      - .offset:         162
        .size:           2
        .value_kind:     hidden_remainder_x
      - .offset:         164
        .size:           2
        .value_kind:     hidden_remainder_y
      - .offset:         166
        .size:           2
        .value_kind:     hidden_remainder_z
      - .offset:         184
        .size:           8
        .value_kind:     hidden_global_offset_x
      - .offset:         192
        .size:           8
        .value_kind:     hidden_global_offset_y
      - .offset:         200
        .size:           8
        .value_kind:     hidden_global_offset_z
      - .offset:         208
        .size:           2
        .value_kind:     hidden_grid_dims
    .group_segment_fixed_size: 32
    .kernarg_segment_align: 8
    .kernarg_segment_size: 400
    .language:       OpenCL C
    .language_version:
      - 2
      - 0
    .max_flat_workgroup_size: 1024
    .name:           _ZN5aiter35fused_qk_rmsnorm_group_quant_kernelIDF16_N4opus5fp4_tELi256ELi8ELi8ELb1ELb1ELb0ELb0ELb0ELb0EEEvPT0_PvPT_S7_S7_PKS6_S9_S9_S9_S9_ffiiiiiiiiiiiii
    .private_segment_fixed_size: 0
    .sgpr_count:     48
    .sgpr_spill_count: 0
    .symbol:         _ZN5aiter35fused_qk_rmsnorm_group_quant_kernelIDF16_N4opus5fp4_tELi256ELi8ELi8ELb1ELb1ELb0ELb0ELb0ELb0EEEvPT0_PvPT_S7_S7_PKS6_S9_S9_S9_S9_ffiiiiiiiiiiiii.kd
    .uniform_work_group_size: 1
    .uses_dynamic_stack: false
    .vgpr_count:     27
    .vgpr_spill_count: 0
    .wavefront_size: 64
  - .agpr_count:     0
    .args:
      - .actual_access:  write_only
        .address_space:  global
        .offset:         0
        .size:           8
        .value_kind:     global_buffer
      - .actual_access:  write_only
        .address_space:  global
        .offset:         8
        .size:           8
        .value_kind:     global_buffer
      - .actual_access:  write_only
        .address_space:  global
        .offset:         16
        .size:           8
        .value_kind:     global_buffer
      - .actual_access:  write_only
        .address_space:  global
        .offset:         24
        .size:           8
        .value_kind:     global_buffer
      - .actual_access:  write_only
        .address_space:  global
        .offset:         32
        .size:           8
        .value_kind:     global_buffer
      - .actual_access:  read_only
        .address_space:  global
        .offset:         40
        .size:           8
        .value_kind:     global_buffer
      - .actual_access:  read_only
        .address_space:  global
        .offset:         48
        .size:           8
        .value_kind:     global_buffer
      - .actual_access:  read_only
        .address_space:  global
        .offset:         56
        .size:           8
        .value_kind:     global_buffer
      - .actual_access:  read_only
        .address_space:  global
        .offset:         64
        .size:           8
        .value_kind:     global_buffer
      - .actual_access:  read_only
        .address_space:  global
        .offset:         72
        .size:           8
        .value_kind:     global_buffer
      - .offset:         80
        .size:           4
        .value_kind:     by_value
      - .offset:         84
        .size:           4
        .value_kind:     by_value
      - .offset:         88
        .size:           4
        .value_kind:     by_value
      - .offset:         92
        .size:           4
        .value_kind:     by_value
      - .offset:         96
        .size:           4
        .value_kind:     by_value
      - .offset:         100
        .size:           4
        .value_kind:     by_value
      - .offset:         104
        .size:           4
        .value_kind:     by_value
      - .offset:         108
        .size:           4
        .value_kind:     by_value
      - .offset:         112
        .size:           4
        .value_kind:     by_value
      - .offset:         116
        .size:           4
        .value_kind:     by_value
      - .offset:         120
        .size:           4
        .value_kind:     by_value
      - .offset:         124
        .size:           4
        .value_kind:     by_value
      - .offset:         128
        .size:           4
        .value_kind:     by_value
      - .offset:         132
        .size:           4
        .value_kind:     by_value
      - .offset:         136
        .size:           4
        .value_kind:     by_value
      - .offset:         144
        .size:           4
        .value_kind:     hidden_block_count_x
      - .offset:         148
        .size:           4
        .value_kind:     hidden_block_count_y
      - .offset:         152
        .size:           4
        .value_kind:     hidden_block_count_z
      - .offset:         156
        .size:           2
        .value_kind:     hidden_group_size_x
      - .offset:         158
        .size:           2
        .value_kind:     hidden_group_size_y
      - .offset:         160
        .size:           2
        .value_kind:     hidden_group_size_z
      - .offset:         162
        .size:           2
        .value_kind:     hidden_remainder_x
      - .offset:         164
        .size:           2
        .value_kind:     hidden_remainder_y
      - .offset:         166
        .size:           2
        .value_kind:     hidden_remainder_z
      - .offset:         184
        .size:           8
        .value_kind:     hidden_global_offset_x
      - .offset:         192
        .size:           8
        .value_kind:     hidden_global_offset_y
      - .offset:         200
        .size:           8
        .value_kind:     hidden_global_offset_z
      - .offset:         208
        .size:           2
        .value_kind:     hidden_grid_dims
    .group_segment_fixed_size: 32
    .kernarg_segment_align: 8
    .kernarg_segment_size: 400
    .language:       OpenCL C
    .language_version:
      - 2
      - 0
    .max_flat_workgroup_size: 1024
    .name:           _ZN5aiter35fused_qk_rmsnorm_group_quant_kernelItN4opus5fp4_tELi256ELi8ELi8ELb1ELb1ELb0ELb0ELb0ELb0EEEvPT0_PvPT_S7_S7_PKS6_S9_S9_S9_S9_ffiiiiiiiiiiiii
    .private_segment_fixed_size: 0
    .sgpr_count:     52
    .sgpr_spill_count: 0
    .symbol:         _ZN5aiter35fused_qk_rmsnorm_group_quant_kernelItN4opus5fp4_tELi256ELi8ELi8ELb1ELb1ELb0ELb0ELb0ELb0EEEvPT0_PvPT_S7_S7_PKS6_S9_S9_S9_S9_ffiiiiiiiiiiiii.kd
    .uniform_work_group_size: 1
    .uses_dynamic_stack: false
    .vgpr_count:     27
    .vgpr_spill_count: 0
    .wavefront_size: 64
  - .agpr_count:     0
    .args:
      - .actual_access:  write_only
        .address_space:  global
        .offset:         0
        .size:           8
        .value_kind:     global_buffer
      - .actual_access:  write_only
        .address_space:  global
        .offset:         8
        .size:           8
        .value_kind:     global_buffer
      - .actual_access:  read_only
        .address_space:  global
        .offset:         16
        .size:           8
        .value_kind:     global_buffer
      - .actual_access:  write_only
        .address_space:  global
        .offset:         24
        .size:           8
        .value_kind:     global_buffer
      - .actual_access:  write_only
        .address_space:  global
        .offset:         32
        .size:           8
        .value_kind:     global_buffer
      - .actual_access:  read_only
        .address_space:  global
        .offset:         40
        .size:           8
        .value_kind:     global_buffer
      - .actual_access:  read_only
        .address_space:  global
        .offset:         48
        .size:           8
        .value_kind:     global_buffer
      - .actual_access:  read_only
        .address_space:  global
        .offset:         56
        .size:           8
        .value_kind:     global_buffer
      - .actual_access:  read_only
        .address_space:  global
        .offset:         64
        .size:           8
        .value_kind:     global_buffer
      - .actual_access:  read_only
        .address_space:  global
        .offset:         72
        .size:           8
        .value_kind:     global_buffer
      - .offset:         80
        .size:           4
        .value_kind:     by_value
      - .offset:         84
        .size:           4
        .value_kind:     by_value
      - .offset:         88
        .size:           4
        .value_kind:     by_value
      - .offset:         92
        .size:           4
        .value_kind:     by_value
      - .offset:         96
        .size:           4
        .value_kind:     by_value
      - .offset:         100
        .size:           4
        .value_kind:     by_value
      - .offset:         104
        .size:           4
        .value_kind:     by_value
      - .offset:         108
        .size:           4
        .value_kind:     by_value
      - .offset:         112
        .size:           4
        .value_kind:     by_value
      - .offset:         116
        .size:           4
        .value_kind:     by_value
      - .offset:         120
        .size:           4
        .value_kind:     by_value
      - .offset:         124
        .size:           4
        .value_kind:     by_value
      - .offset:         128
        .size:           4
        .value_kind:     by_value
      - .offset:         132
        .size:           4
        .value_kind:     by_value
      - .offset:         136
        .size:           4
        .value_kind:     by_value
      - .offset:         144
        .size:           4
        .value_kind:     hidden_block_count_x
      - .offset:         148
        .size:           4
        .value_kind:     hidden_block_count_y
      - .offset:         152
        .size:           4
        .value_kind:     hidden_block_count_z
      - .offset:         156
        .size:           2
        .value_kind:     hidden_group_size_x
      - .offset:         158
        .size:           2
        .value_kind:     hidden_group_size_y
      - .offset:         160
        .size:           2
        .value_kind:     hidden_group_size_z
      - .offset:         162
        .size:           2
        .value_kind:     hidden_remainder_x
      - .offset:         164
        .size:           2
        .value_kind:     hidden_remainder_y
      - .offset:         166
        .size:           2
        .value_kind:     hidden_remainder_z
      - .offset:         184
        .size:           8
        .value_kind:     hidden_global_offset_x
      - .offset:         192
        .size:           8
        .value_kind:     hidden_global_offset_y
      - .offset:         200
        .size:           8
        .value_kind:     hidden_global_offset_z
      - .offset:         208
        .size:           2
        .value_kind:     hidden_grid_dims
    .group_segment_fixed_size: 32
    .kernarg_segment_align: 8
    .kernarg_segment_size: 400
    .language:       OpenCL C
    .language_version:
      - 2
      - 0
    .max_flat_workgroup_size: 1024
    .name:           _ZN5aiter35fused_qk_rmsnorm_group_quant_kernelIDF16_DB8_Li256ELi8ELi8ELb1ELb0ELb1ELb0ELb0ELb0EEEvPT0_PvPT_S6_S6_PKS5_S8_S8_S8_S8_ffiiiiiiiiiiiii
    .private_segment_fixed_size: 0
    .sgpr_count:     48
    .sgpr_spill_count: 0
    .symbol:         _ZN5aiter35fused_qk_rmsnorm_group_quant_kernelIDF16_DB8_Li256ELi8ELi8ELb1ELb0ELb1ELb0ELb0ELb0EEEvPT0_PvPT_S6_S6_PKS5_S8_S8_S8_S8_ffiiiiiiiiiiiii.kd
    .uniform_work_group_size: 1
    .uses_dynamic_stack: false
    .vgpr_count:     31
    .vgpr_spill_count: 0
    .wavefront_size: 64
  - .agpr_count:     0
    .args:
      - .actual_access:  write_only
        .address_space:  global
        .offset:         0
        .size:           8
        .value_kind:     global_buffer
      - .actual_access:  write_only
        .address_space:  global
        .offset:         8
        .size:           8
        .value_kind:     global_buffer
      - .actual_access:  read_only
        .address_space:  global
        .offset:         16
        .size:           8
        .value_kind:     global_buffer
      - .actual_access:  write_only
        .address_space:  global
        .offset:         24
        .size:           8
        .value_kind:     global_buffer
      - .actual_access:  write_only
        .address_space:  global
        .offset:         32
        .size:           8
        .value_kind:     global_buffer
      - .actual_access:  read_only
        .address_space:  global
        .offset:         40
        .size:           8
        .value_kind:     global_buffer
      - .actual_access:  read_only
        .address_space:  global
        .offset:         48
        .size:           8
        .value_kind:     global_buffer
      - .actual_access:  read_only
        .address_space:  global
        .offset:         56
        .size:           8
        .value_kind:     global_buffer
      - .actual_access:  read_only
        .address_space:  global
        .offset:         64
        .size:           8
        .value_kind:     global_buffer
      - .actual_access:  read_only
        .address_space:  global
        .offset:         72
        .size:           8
        .value_kind:     global_buffer
      - .offset:         80
        .size:           4
        .value_kind:     by_value
      - .offset:         84
        .size:           4
        .value_kind:     by_value
      - .offset:         88
        .size:           4
        .value_kind:     by_value
      - .offset:         92
        .size:           4
        .value_kind:     by_value
      - .offset:         96
        .size:           4
        .value_kind:     by_value
      - .offset:         100
        .size:           4
        .value_kind:     by_value
      - .offset:         104
        .size:           4
        .value_kind:     by_value
      - .offset:         108
        .size:           4
        .value_kind:     by_value
      - .offset:         112
        .size:           4
        .value_kind:     by_value
      - .offset:         116
        .size:           4
        .value_kind:     by_value
      - .offset:         120
        .size:           4
        .value_kind:     by_value
      - .offset:         124
        .size:           4
        .value_kind:     by_value
      - .offset:         128
        .size:           4
        .value_kind:     by_value
      - .offset:         132
        .size:           4
        .value_kind:     by_value
      - .offset:         136
        .size:           4
        .value_kind:     by_value
      - .offset:         144
        .size:           4
        .value_kind:     hidden_block_count_x
      - .offset:         148
        .size:           4
        .value_kind:     hidden_block_count_y
      - .offset:         152
        .size:           4
        .value_kind:     hidden_block_count_z
      - .offset:         156
        .size:           2
        .value_kind:     hidden_group_size_x
      - .offset:         158
        .size:           2
        .value_kind:     hidden_group_size_y
      - .offset:         160
        .size:           2
        .value_kind:     hidden_group_size_z
      - .offset:         162
        .size:           2
        .value_kind:     hidden_remainder_x
      - .offset:         164
        .size:           2
        .value_kind:     hidden_remainder_y
      - .offset:         166
        .size:           2
        .value_kind:     hidden_remainder_z
      - .offset:         184
        .size:           8
        .value_kind:     hidden_global_offset_x
      - .offset:         192
        .size:           8
        .value_kind:     hidden_global_offset_y
      - .offset:         200
        .size:           8
        .value_kind:     hidden_global_offset_z
      - .offset:         208
        .size:           2
        .value_kind:     hidden_grid_dims
    .group_segment_fixed_size: 32
    .kernarg_segment_align: 8
    .kernarg_segment_size: 400
    .language:       OpenCL C
    .language_version:
      - 2
      - 0
    .max_flat_workgroup_size: 1024
    .name:           _ZN5aiter35fused_qk_rmsnorm_group_quant_kernelItDB8_Li256ELi8ELi8ELb1ELb0ELb1ELb0ELb0ELb0EEEvPT0_PvPT_S6_S6_PKS5_S8_S8_S8_S8_ffiiiiiiiiiiiii
    .private_segment_fixed_size: 0
    .sgpr_count:     52
    .sgpr_spill_count: 0
    .symbol:         _ZN5aiter35fused_qk_rmsnorm_group_quant_kernelItDB8_Li256ELi8ELi8ELb1ELb0ELb1ELb0ELb0ELb0EEEvPT0_PvPT_S6_S6_PKS5_S8_S8_S8_S8_ffiiiiiiiiiiiii.kd
    .uniform_work_group_size: 1
    .uses_dynamic_stack: false
    .vgpr_count:     27
    .vgpr_spill_count: 0
    .wavefront_size: 64
  - .agpr_count:     0
    .args:
      - .actual_access:  write_only
        .address_space:  global
        .offset:         0
        .size:           8
        .value_kind:     global_buffer
      - .actual_access:  write_only
        .address_space:  global
        .offset:         8
        .size:           8
        .value_kind:     global_buffer
      - .actual_access:  read_only
        .address_space:  global
        .offset:         16
        .size:           8
        .value_kind:     global_buffer
      - .actual_access:  write_only
        .address_space:  global
        .offset:         24
        .size:           8
        .value_kind:     global_buffer
      - .actual_access:  write_only
        .address_space:  global
        .offset:         32
        .size:           8
        .value_kind:     global_buffer
      - .actual_access:  read_only
        .address_space:  global
        .offset:         40
        .size:           8
        .value_kind:     global_buffer
      - .actual_access:  read_only
        .address_space:  global
        .offset:         48
        .size:           8
        .value_kind:     global_buffer
      - .actual_access:  read_only
        .address_space:  global
        .offset:         56
        .size:           8
        .value_kind:     global_buffer
      - .actual_access:  read_only
        .address_space:  global
        .offset:         64
        .size:           8
        .value_kind:     global_buffer
      - .actual_access:  read_only
        .address_space:  global
        .offset:         72
        .size:           8
        .value_kind:     global_buffer
      - .offset:         80
        .size:           4
        .value_kind:     by_value
      - .offset:         84
        .size:           4
        .value_kind:     by_value
      - .offset:         88
        .size:           4
        .value_kind:     by_value
      - .offset:         92
        .size:           4
        .value_kind:     by_value
      - .offset:         96
        .size:           4
        .value_kind:     by_value
      - .offset:         100
        .size:           4
        .value_kind:     by_value
      - .offset:         104
        .size:           4
        .value_kind:     by_value
      - .offset:         108
        .size:           4
        .value_kind:     by_value
      - .offset:         112
        .size:           4
        .value_kind:     by_value
      - .offset:         116
        .size:           4
        .value_kind:     by_value
      - .offset:         120
        .size:           4
        .value_kind:     by_value
      - .offset:         124
        .size:           4
        .value_kind:     by_value
      - .offset:         128
        .size:           4
        .value_kind:     by_value
      - .offset:         132
        .size:           4
        .value_kind:     by_value
      - .offset:         136
        .size:           4
        .value_kind:     by_value
      - .offset:         144
        .size:           4
        .value_kind:     hidden_block_count_x
      - .offset:         148
        .size:           4
        .value_kind:     hidden_block_count_y
      - .offset:         152
        .size:           4
        .value_kind:     hidden_block_count_z
      - .offset:         156
        .size:           2
        .value_kind:     hidden_group_size_x
      - .offset:         158
        .size:           2
        .value_kind:     hidden_group_size_y
      - .offset:         160
        .size:           2
        .value_kind:     hidden_group_size_z
      - .offset:         162
        .size:           2
        .value_kind:     hidden_remainder_x
      - .offset:         164
        .size:           2
        .value_kind:     hidden_remainder_y
      - .offset:         166
        .size:           2
        .value_kind:     hidden_remainder_z
      - .offset:         184
        .size:           8
        .value_kind:     hidden_global_offset_x
      - .offset:         192
        .size:           8
        .value_kind:     hidden_global_offset_y
      - .offset:         200
        .size:           8
        .value_kind:     hidden_global_offset_z
      - .offset:         208
        .size:           2
        .value_kind:     hidden_grid_dims
    .group_segment_fixed_size: 32
    .kernarg_segment_align: 8
    .kernarg_segment_size: 400
    .language:       OpenCL C
    .language_version:
      - 2
      - 0
    .max_flat_workgroup_size: 1024
    .name:           _ZN5aiter35fused_qk_rmsnorm_group_quant_kernelIDF16_N4opus5fp4_tELi256ELi8ELi8ELb1ELb0ELb1ELb0ELb0ELb0EEEvPT0_PvPT_S7_S7_PKS6_S9_S9_S9_S9_ffiiiiiiiiiiiii
    .private_segment_fixed_size: 0
    .sgpr_count:     44
    .sgpr_spill_count: 0
    .symbol:         _ZN5aiter35fused_qk_rmsnorm_group_quant_kernelIDF16_N4opus5fp4_tELi256ELi8ELi8ELb1ELb0ELb1ELb0ELb0ELb0EEEvPT0_PvPT_S7_S7_PKS6_S9_S9_S9_S9_ffiiiiiiiiiiiii.kd
    .uniform_work_group_size: 1
    .uses_dynamic_stack: false
    .vgpr_count:     25
    .vgpr_spill_count: 0
    .wavefront_size: 64
  - .agpr_count:     0
    .args:
      - .actual_access:  write_only
        .address_space:  global
        .offset:         0
        .size:           8
        .value_kind:     global_buffer
      - .actual_access:  write_only
        .address_space:  global
        .offset:         8
        .size:           8
        .value_kind:     global_buffer
      - .actual_access:  read_only
        .address_space:  global
        .offset:         16
        .size:           8
        .value_kind:     global_buffer
      - .actual_access:  write_only
        .address_space:  global
        .offset:         24
        .size:           8
        .value_kind:     global_buffer
      - .actual_access:  write_only
        .address_space:  global
        .offset:         32
        .size:           8
        .value_kind:     global_buffer
      - .actual_access:  read_only
        .address_space:  global
        .offset:         40
        .size:           8
        .value_kind:     global_buffer
      - .actual_access:  read_only
        .address_space:  global
        .offset:         48
        .size:           8
        .value_kind:     global_buffer
      - .actual_access:  read_only
        .address_space:  global
        .offset:         56
        .size:           8
        .value_kind:     global_buffer
      - .actual_access:  read_only
        .address_space:  global
        .offset:         64
        .size:           8
        .value_kind:     global_buffer
      - .actual_access:  read_only
        .address_space:  global
        .offset:         72
        .size:           8
        .value_kind:     global_buffer
      - .offset:         80
        .size:           4
        .value_kind:     by_value
      - .offset:         84
        .size:           4
        .value_kind:     by_value
      - .offset:         88
        .size:           4
        .value_kind:     by_value
      - .offset:         92
        .size:           4
        .value_kind:     by_value
      - .offset:         96
        .size:           4
        .value_kind:     by_value
      - .offset:         100
        .size:           4
        .value_kind:     by_value
      - .offset:         104
        .size:           4
        .value_kind:     by_value
      - .offset:         108
        .size:           4
        .value_kind:     by_value
      - .offset:         112
        .size:           4
        .value_kind:     by_value
      - .offset:         116
        .size:           4
        .value_kind:     by_value
      - .offset:         120
        .size:           4
        .value_kind:     by_value
      - .offset:         124
        .size:           4
        .value_kind:     by_value
      - .offset:         128
        .size:           4
        .value_kind:     by_value
      - .offset:         132
        .size:           4
        .value_kind:     by_value
      - .offset:         136
        .size:           4
        .value_kind:     by_value
      - .offset:         144
        .size:           4
        .value_kind:     hidden_block_count_x
      - .offset:         148
        .size:           4
        .value_kind:     hidden_block_count_y
      - .offset:         152
        .size:           4
        .value_kind:     hidden_block_count_z
      - .offset:         156
        .size:           2
        .value_kind:     hidden_group_size_x
      - .offset:         158
        .size:           2
        .value_kind:     hidden_group_size_y
      - .offset:         160
        .size:           2
        .value_kind:     hidden_group_size_z
      - .offset:         162
        .size:           2
        .value_kind:     hidden_remainder_x
      - .offset:         164
        .size:           2
        .value_kind:     hidden_remainder_y
      - .offset:         166
        .size:           2
        .value_kind:     hidden_remainder_z
      - .offset:         184
        .size:           8
        .value_kind:     hidden_global_offset_x
      - .offset:         192
        .size:           8
        .value_kind:     hidden_global_offset_y
      - .offset:         200
        .size:           8
        .value_kind:     hidden_global_offset_z
      - .offset:         208
        .size:           2
        .value_kind:     hidden_grid_dims
    .group_segment_fixed_size: 32
    .kernarg_segment_align: 8
    .kernarg_segment_size: 400
    .language:       OpenCL C
    .language_version:
      - 2
      - 0
    .max_flat_workgroup_size: 1024
    .name:           _ZN5aiter35fused_qk_rmsnorm_group_quant_kernelItN4opus5fp4_tELi256ELi8ELi8ELb1ELb0ELb1ELb0ELb0ELb0EEEvPT0_PvPT_S7_S7_PKS6_S9_S9_S9_S9_ffiiiiiiiiiiiii
    .private_segment_fixed_size: 0
    .sgpr_count:     48
    .sgpr_spill_count: 0
    .symbol:         _ZN5aiter35fused_qk_rmsnorm_group_quant_kernelItN4opus5fp4_tELi256ELi8ELi8ELb1ELb0ELb1ELb0ELb0ELb0EEEvPT0_PvPT_S7_S7_PKS6_S9_S9_S9_S9_ffiiiiiiiiiiiii.kd
    .uniform_work_group_size: 1
    .uses_dynamic_stack: false
    .vgpr_count:     27
    .vgpr_spill_count: 0
    .wavefront_size: 64
  - .agpr_count:     0
    .args:
      - .actual_access:  write_only
        .address_space:  global
        .offset:         0
        .size:           8
        .value_kind:     global_buffer
      - .actual_access:  write_only
        .address_space:  global
        .offset:         8
        .size:           8
        .value_kind:     global_buffer
      - .actual_access:  read_only
        .address_space:  global
        .offset:         16
        .size:           8
        .value_kind:     global_buffer
      - .actual_access:  write_only
        .address_space:  global
        .offset:         24
        .size:           8
        .value_kind:     global_buffer
      - .actual_access:  write_only
        .address_space:  global
        .offset:         32
        .size:           8
        .value_kind:     global_buffer
      - .actual_access:  read_only
        .address_space:  global
        .offset:         40
        .size:           8
        .value_kind:     global_buffer
      - .actual_access:  read_only
        .address_space:  global
        .offset:         48
        .size:           8
        .value_kind:     global_buffer
      - .actual_access:  read_only
        .address_space:  global
        .offset:         56
        .size:           8
        .value_kind:     global_buffer
      - .actual_access:  read_only
        .address_space:  global
        .offset:         64
        .size:           8
        .value_kind:     global_buffer
      - .actual_access:  read_only
        .address_space:  global
        .offset:         72
        .size:           8
        .value_kind:     global_buffer
      - .offset:         80
        .size:           4
        .value_kind:     by_value
      - .offset:         84
        .size:           4
        .value_kind:     by_value
      - .offset:         88
        .size:           4
        .value_kind:     by_value
      - .offset:         92
        .size:           4
        .value_kind:     by_value
      - .offset:         96
        .size:           4
        .value_kind:     by_value
      - .offset:         100
        .size:           4
        .value_kind:     by_value
      - .offset:         104
        .size:           4
        .value_kind:     by_value
      - .offset:         108
        .size:           4
        .value_kind:     by_value
      - .offset:         112
        .size:           4
        .value_kind:     by_value
      - .offset:         116
        .size:           4
        .value_kind:     by_value
      - .offset:         120
        .size:           4
        .value_kind:     by_value
      - .offset:         124
        .size:           4
        .value_kind:     by_value
      - .offset:         128
        .size:           4
        .value_kind:     by_value
      - .offset:         132
        .size:           4
        .value_kind:     by_value
      - .offset:         136
        .size:           4
        .value_kind:     by_value
      - .offset:         144
        .size:           4
        .value_kind:     hidden_block_count_x
      - .offset:         148
        .size:           4
        .value_kind:     hidden_block_count_y
      - .offset:         152
        .size:           4
        .value_kind:     hidden_block_count_z
      - .offset:         156
        .size:           2
        .value_kind:     hidden_group_size_x
      - .offset:         158
        .size:           2
        .value_kind:     hidden_group_size_y
      - .offset:         160
        .size:           2
        .value_kind:     hidden_group_size_z
      - .offset:         162
        .size:           2
        .value_kind:     hidden_remainder_x
      - .offset:         164
        .size:           2
        .value_kind:     hidden_remainder_y
      - .offset:         166
        .size:           2
        .value_kind:     hidden_remainder_z
      - .offset:         184
        .size:           8
        .value_kind:     hidden_global_offset_x
      - .offset:         192
        .size:           8
        .value_kind:     hidden_global_offset_y
      - .offset:         200
        .size:           8
        .value_kind:     hidden_global_offset_z
      - .offset:         208
        .size:           2
        .value_kind:     hidden_grid_dims
    .group_segment_fixed_size: 32
    .kernarg_segment_align: 8
    .kernarg_segment_size: 400
    .language:       OpenCL C
    .language_version:
      - 2
      - 0
    .max_flat_workgroup_size: 1024
    .name:           _ZN5aiter35fused_qk_rmsnorm_group_quant_kernelIDF16_DB8_Li256ELi8ELi8ELb1ELb0ELb0ELb0ELb0ELb0EEEvPT0_PvPT_S6_S6_PKS5_S8_S8_S8_S8_ffiiiiiiiiiiiii
    .private_segment_fixed_size: 0
    .sgpr_count:     48
    .sgpr_spill_count: 0
    .symbol:         _ZN5aiter35fused_qk_rmsnorm_group_quant_kernelIDF16_DB8_Li256ELi8ELi8ELb1ELb0ELb0ELb0ELb0ELb0EEEvPT0_PvPT_S6_S6_PKS5_S8_S8_S8_S8_ffiiiiiiiiiiiii.kd
    .uniform_work_group_size: 1
    .uses_dynamic_stack: false
    .vgpr_count:     34
    .vgpr_spill_count: 0
    .wavefront_size: 64
  - .agpr_count:     0
    .args:
      - .actual_access:  write_only
        .address_space:  global
        .offset:         0
        .size:           8
        .value_kind:     global_buffer
      - .actual_access:  write_only
        .address_space:  global
        .offset:         8
        .size:           8
        .value_kind:     global_buffer
      - .actual_access:  read_only
        .address_space:  global
        .offset:         16
        .size:           8
        .value_kind:     global_buffer
      - .actual_access:  write_only
        .address_space:  global
        .offset:         24
        .size:           8
        .value_kind:     global_buffer
      - .actual_access:  write_only
        .address_space:  global
        .offset:         32
        .size:           8
        .value_kind:     global_buffer
      - .actual_access:  read_only
        .address_space:  global
        .offset:         40
        .size:           8
        .value_kind:     global_buffer
      - .actual_access:  read_only
        .address_space:  global
        .offset:         48
        .size:           8
        .value_kind:     global_buffer
      - .actual_access:  read_only
        .address_space:  global
        .offset:         56
        .size:           8
        .value_kind:     global_buffer
      - .actual_access:  read_only
        .address_space:  global
        .offset:         64
        .size:           8
        .value_kind:     global_buffer
      - .actual_access:  read_only
        .address_space:  global
        .offset:         72
        .size:           8
        .value_kind:     global_buffer
      - .offset:         80
        .size:           4
        .value_kind:     by_value
      - .offset:         84
        .size:           4
        .value_kind:     by_value
      - .offset:         88
        .size:           4
        .value_kind:     by_value
      - .offset:         92
        .size:           4
        .value_kind:     by_value
      - .offset:         96
        .size:           4
        .value_kind:     by_value
      - .offset:         100
        .size:           4
        .value_kind:     by_value
      - .offset:         104
        .size:           4
        .value_kind:     by_value
      - .offset:         108
        .size:           4
        .value_kind:     by_value
      - .offset:         112
        .size:           4
        .value_kind:     by_value
      - .offset:         116
        .size:           4
        .value_kind:     by_value
      - .offset:         120
        .size:           4
        .value_kind:     by_value
      - .offset:         124
        .size:           4
        .value_kind:     by_value
      - .offset:         128
        .size:           4
        .value_kind:     by_value
      - .offset:         132
        .size:           4
        .value_kind:     by_value
      - .offset:         136
        .size:           4
        .value_kind:     by_value
      - .offset:         144
        .size:           4
        .value_kind:     hidden_block_count_x
      - .offset:         148
        .size:           4
        .value_kind:     hidden_block_count_y
      - .offset:         152
        .size:           4
        .value_kind:     hidden_block_count_z
      - .offset:         156
        .size:           2
        .value_kind:     hidden_group_size_x
      - .offset:         158
        .size:           2
        .value_kind:     hidden_group_size_y
      - .offset:         160
        .size:           2
        .value_kind:     hidden_group_size_z
      - .offset:         162
        .size:           2
        .value_kind:     hidden_remainder_x
      - .offset:         164
        .size:           2
        .value_kind:     hidden_remainder_y
      - .offset:         166
        .size:           2
        .value_kind:     hidden_remainder_z
      - .offset:         184
        .size:           8
        .value_kind:     hidden_global_offset_x
      - .offset:         192
        .size:           8
        .value_kind:     hidden_global_offset_y
      - .offset:         200
        .size:           8
        .value_kind:     hidden_global_offset_z
      - .offset:         208
        .size:           2
        .value_kind:     hidden_grid_dims
    .group_segment_fixed_size: 32
    .kernarg_segment_align: 8
    .kernarg_segment_size: 400
    .language:       OpenCL C
    .language_version:
      - 2
      - 0
    .max_flat_workgroup_size: 1024
    .name:           _ZN5aiter35fused_qk_rmsnorm_group_quant_kernelItDB8_Li256ELi8ELi8ELb1ELb0ELb0ELb0ELb0ELb0EEEvPT0_PvPT_S6_S6_PKS5_S8_S8_S8_S8_ffiiiiiiiiiiiii
    .private_segment_fixed_size: 0
    .sgpr_count:     52
    .sgpr_spill_count: 0
    .symbol:         _ZN5aiter35fused_qk_rmsnorm_group_quant_kernelItDB8_Li256ELi8ELi8ELb1ELb0ELb0ELb0ELb0ELb0EEEvPT0_PvPT_S6_S6_PKS5_S8_S8_S8_S8_ffiiiiiiiiiiiii.kd
    .uniform_work_group_size: 1
    .uses_dynamic_stack: false
    .vgpr_count:     27
    .vgpr_spill_count: 0
    .wavefront_size: 64
  - .agpr_count:     0
    .args:
      - .actual_access:  write_only
        .address_space:  global
        .offset:         0
        .size:           8
        .value_kind:     global_buffer
      - .actual_access:  write_only
        .address_space:  global
        .offset:         8
        .size:           8
        .value_kind:     global_buffer
      - .actual_access:  read_only
        .address_space:  global
        .offset:         16
        .size:           8
        .value_kind:     global_buffer
      - .actual_access:  write_only
        .address_space:  global
        .offset:         24
        .size:           8
        .value_kind:     global_buffer
      - .actual_access:  write_only
        .address_space:  global
        .offset:         32
        .size:           8
        .value_kind:     global_buffer
      - .actual_access:  read_only
        .address_space:  global
        .offset:         40
        .size:           8
        .value_kind:     global_buffer
      - .actual_access:  read_only
        .address_space:  global
        .offset:         48
        .size:           8
        .value_kind:     global_buffer
      - .actual_access:  read_only
        .address_space:  global
        .offset:         56
        .size:           8
        .value_kind:     global_buffer
      - .actual_access:  read_only
        .address_space:  global
        .offset:         64
        .size:           8
        .value_kind:     global_buffer
      - .actual_access:  read_only
        .address_space:  global
        .offset:         72
        .size:           8
        .value_kind:     global_buffer
      - .offset:         80
        .size:           4
        .value_kind:     by_value
      - .offset:         84
        .size:           4
        .value_kind:     by_value
      - .offset:         88
        .size:           4
        .value_kind:     by_value
      - .offset:         92
        .size:           4
        .value_kind:     by_value
      - .offset:         96
        .size:           4
        .value_kind:     by_value
      - .offset:         100
        .size:           4
        .value_kind:     by_value
      - .offset:         104
        .size:           4
        .value_kind:     by_value
      - .offset:         108
        .size:           4
        .value_kind:     by_value
      - .offset:         112
        .size:           4
        .value_kind:     by_value
      - .offset:         116
        .size:           4
        .value_kind:     by_value
      - .offset:         120
        .size:           4
        .value_kind:     by_value
      - .offset:         124
        .size:           4
        .value_kind:     by_value
      - .offset:         128
        .size:           4
        .value_kind:     by_value
      - .offset:         132
        .size:           4
        .value_kind:     by_value
      - .offset:         136
        .size:           4
        .value_kind:     by_value
      - .offset:         144
        .size:           4
        .value_kind:     hidden_block_count_x
      - .offset:         148
        .size:           4
        .value_kind:     hidden_block_count_y
      - .offset:         152
        .size:           4
        .value_kind:     hidden_block_count_z
      - .offset:         156
        .size:           2
        .value_kind:     hidden_group_size_x
      - .offset:         158
        .size:           2
        .value_kind:     hidden_group_size_y
      - .offset:         160
        .size:           2
        .value_kind:     hidden_group_size_z
      - .offset:         162
        .size:           2
        .value_kind:     hidden_remainder_x
      - .offset:         164
        .size:           2
        .value_kind:     hidden_remainder_y
      - .offset:         166
        .size:           2
        .value_kind:     hidden_remainder_z
      - .offset:         184
        .size:           8
        .value_kind:     hidden_global_offset_x
      - .offset:         192
        .size:           8
        .value_kind:     hidden_global_offset_y
      - .offset:         200
        .size:           8
        .value_kind:     hidden_global_offset_z
      - .offset:         208
        .size:           2
        .value_kind:     hidden_grid_dims
    .group_segment_fixed_size: 32
    .kernarg_segment_align: 8
    .kernarg_segment_size: 400
    .language:       OpenCL C
    .language_version:
      - 2
      - 0
    .max_flat_workgroup_size: 1024
    .name:           _ZN5aiter35fused_qk_rmsnorm_group_quant_kernelIDF16_N4opus5fp4_tELi256ELi8ELi8ELb1ELb0ELb0ELb0ELb0ELb0EEEvPT0_PvPT_S7_S7_PKS6_S9_S9_S9_S9_ffiiiiiiiiiiiii
    .private_segment_fixed_size: 0
    .sgpr_count:     44
    .sgpr_spill_count: 0
    .symbol:         _ZN5aiter35fused_qk_rmsnorm_group_quant_kernelIDF16_N4opus5fp4_tELi256ELi8ELi8ELb1ELb0ELb0ELb0ELb0ELb0EEEvPT0_PvPT_S7_S7_PKS6_S9_S9_S9_S9_ffiiiiiiiiiiiii.kd
    .uniform_work_group_size: 1
    .uses_dynamic_stack: false
    .vgpr_count:     27
    .vgpr_spill_count: 0
    .wavefront_size: 64
  - .agpr_count:     0
    .args:
      - .actual_access:  write_only
        .address_space:  global
        .offset:         0
        .size:           8
        .value_kind:     global_buffer
      - .actual_access:  write_only
        .address_space:  global
        .offset:         8
        .size:           8
        .value_kind:     global_buffer
      - .actual_access:  read_only
        .address_space:  global
        .offset:         16
        .size:           8
        .value_kind:     global_buffer
      - .actual_access:  write_only
        .address_space:  global
        .offset:         24
        .size:           8
        .value_kind:     global_buffer
      - .actual_access:  write_only
        .address_space:  global
        .offset:         32
        .size:           8
        .value_kind:     global_buffer
      - .actual_access:  read_only
        .address_space:  global
        .offset:         40
        .size:           8
        .value_kind:     global_buffer
      - .actual_access:  read_only
        .address_space:  global
        .offset:         48
        .size:           8
        .value_kind:     global_buffer
      - .actual_access:  read_only
        .address_space:  global
        .offset:         56
        .size:           8
        .value_kind:     global_buffer
      - .actual_access:  read_only
        .address_space:  global
        .offset:         64
        .size:           8
        .value_kind:     global_buffer
      - .actual_access:  read_only
        .address_space:  global
        .offset:         72
        .size:           8
        .value_kind:     global_buffer
      - .offset:         80
        .size:           4
        .value_kind:     by_value
      - .offset:         84
        .size:           4
        .value_kind:     by_value
      - .offset:         88
        .size:           4
        .value_kind:     by_value
      - .offset:         92
        .size:           4
        .value_kind:     by_value
      - .offset:         96
        .size:           4
        .value_kind:     by_value
      - .offset:         100
        .size:           4
        .value_kind:     by_value
      - .offset:         104
        .size:           4
        .value_kind:     by_value
      - .offset:         108
        .size:           4
        .value_kind:     by_value
      - .offset:         112
        .size:           4
        .value_kind:     by_value
      - .offset:         116
        .size:           4
        .value_kind:     by_value
      - .offset:         120
        .size:           4
        .value_kind:     by_value
      - .offset:         124
        .size:           4
        .value_kind:     by_value
      - .offset:         128
        .size:           4
        .value_kind:     by_value
      - .offset:         132
        .size:           4
        .value_kind:     by_value
      - .offset:         136
        .size:           4
        .value_kind:     by_value
      - .offset:         144
        .size:           4
        .value_kind:     hidden_block_count_x
      - .offset:         148
        .size:           4
        .value_kind:     hidden_block_count_y
      - .offset:         152
        .size:           4
        .value_kind:     hidden_block_count_z
      - .offset:         156
        .size:           2
        .value_kind:     hidden_group_size_x
      - .offset:         158
        .size:           2
        .value_kind:     hidden_group_size_y
      - .offset:         160
        .size:           2
        .value_kind:     hidden_group_size_z
      - .offset:         162
        .size:           2
        .value_kind:     hidden_remainder_x
      - .offset:         164
        .size:           2
        .value_kind:     hidden_remainder_y
      - .offset:         166
        .size:           2
        .value_kind:     hidden_remainder_z
      - .offset:         184
        .size:           8
        .value_kind:     hidden_global_offset_x
      - .offset:         192
        .size:           8
        .value_kind:     hidden_global_offset_y
      - .offset:         200
        .size:           8
        .value_kind:     hidden_global_offset_z
      - .offset:         208
        .size:           2
        .value_kind:     hidden_grid_dims
    .group_segment_fixed_size: 32
    .kernarg_segment_align: 8
    .kernarg_segment_size: 400
    .language:       OpenCL C
    .language_version:
      - 2
      - 0
    .max_flat_workgroup_size: 1024
    .name:           _ZN5aiter35fused_qk_rmsnorm_group_quant_kernelItN4opus5fp4_tELi256ELi8ELi8ELb1ELb0ELb0ELb0ELb0ELb0EEEvPT0_PvPT_S7_S7_PKS6_S9_S9_S9_S9_ffiiiiiiiiiiiii
    .private_segment_fixed_size: 0
    .sgpr_count:     48
    .sgpr_spill_count: 0
    .symbol:         _ZN5aiter35fused_qk_rmsnorm_group_quant_kernelItN4opus5fp4_tELi256ELi8ELi8ELb1ELb0ELb0ELb0ELb0ELb0EEEvPT0_PvPT_S7_S7_PKS6_S9_S9_S9_S9_ffiiiiiiiiiiiii.kd
    .uniform_work_group_size: 1
    .uses_dynamic_stack: false
    .vgpr_count:     27
    .vgpr_spill_count: 0
    .wavefront_size: 64
  - .agpr_count:     0
    .args:
      - .actual_access:  write_only
        .address_space:  global
        .offset:         0
        .size:           8
        .value_kind:     global_buffer
      - .actual_access:  write_only
        .address_space:  global
        .offset:         8
        .size:           8
        .value_kind:     global_buffer
      - .actual_access:  write_only
        .address_space:  global
        .offset:         16
        .size:           8
        .value_kind:     global_buffer
      - .actual_access:  write_only
        .address_space:  global
        .offset:         24
        .size:           8
        .value_kind:     global_buffer
      - .actual_access:  read_only
        .address_space:  global
        .offset:         32
        .size:           8
        .value_kind:     global_buffer
      - .actual_access:  read_only
        .address_space:  global
        .offset:         40
        .size:           8
        .value_kind:     global_buffer
      - .actual_access:  read_only
        .address_space:  global
        .offset:         48
        .size:           8
        .value_kind:     global_buffer
      - .actual_access:  read_only
        .address_space:  global
        .offset:         56
        .size:           8
        .value_kind:     global_buffer
      - .actual_access:  read_only
        .address_space:  global
        .offset:         64
        .size:           8
        .value_kind:     global_buffer
      - .actual_access:  read_only
        .address_space:  global
        .offset:         72
        .size:           8
        .value_kind:     global_buffer
      - .offset:         80
        .size:           4
        .value_kind:     by_value
      - .offset:         84
        .size:           4
        .value_kind:     by_value
      - .offset:         88
        .size:           4
        .value_kind:     by_value
      - .offset:         92
        .size:           4
        .value_kind:     by_value
      - .offset:         96
        .size:           4
        .value_kind:     by_value
      - .offset:         100
        .size:           4
        .value_kind:     by_value
      - .offset:         104
        .size:           4
        .value_kind:     by_value
      - .offset:         108
        .size:           4
        .value_kind:     by_value
      - .offset:         112
        .size:           4
        .value_kind:     by_value
      - .offset:         116
        .size:           4
        .value_kind:     by_value
      - .offset:         120
        .size:           4
        .value_kind:     by_value
      - .offset:         124
        .size:           4
        .value_kind:     by_value
      - .offset:         128
        .size:           4
        .value_kind:     by_value
      - .offset:         132
        .size:           4
        .value_kind:     by_value
      - .offset:         136
        .size:           4
        .value_kind:     by_value
      - .offset:         144
        .size:           4
        .value_kind:     hidden_block_count_x
      - .offset:         148
        .size:           4
        .value_kind:     hidden_block_count_y
      - .offset:         152
        .size:           4
        .value_kind:     hidden_block_count_z
      - .offset:         156
        .size:           2
        .value_kind:     hidden_group_size_x
      - .offset:         158
        .size:           2
        .value_kind:     hidden_group_size_y
      - .offset:         160
        .size:           2
        .value_kind:     hidden_group_size_z
      - .offset:         162
        .size:           2
        .value_kind:     hidden_remainder_x
      - .offset:         164
        .size:           2
        .value_kind:     hidden_remainder_y
      - .offset:         166
        .size:           2
        .value_kind:     hidden_remainder_z
      - .offset:         184
        .size:           8
        .value_kind:     hidden_global_offset_x
      - .offset:         192
        .size:           8
        .value_kind:     hidden_global_offset_y
      - .offset:         200
        .size:           8
        .value_kind:     hidden_global_offset_z
      - .offset:         208
        .size:           2
        .value_kind:     hidden_grid_dims
    .group_segment_fixed_size: 32
    .kernarg_segment_align: 8
    .kernarg_segment_size: 400
    .language:       OpenCL C
    .language_version:
      - 2
      - 0
    .max_flat_workgroup_size: 1024
    .name:           _ZN5aiter35fused_qk_rmsnorm_group_quant_kernelIDF16_DB8_Li256ELi8ELi8ELb0ELb1ELb1ELb0ELb0ELb0EEEvPT0_PvPT_S6_S6_PKS5_S8_S8_S8_S8_ffiiiiiiiiiiiii
    .private_segment_fixed_size: 0
    .sgpr_count:     40
    .sgpr_spill_count: 0
    .symbol:         _ZN5aiter35fused_qk_rmsnorm_group_quant_kernelIDF16_DB8_Li256ELi8ELi8ELb0ELb1ELb1ELb0ELb0ELb0EEEvPT0_PvPT_S6_S6_PKS5_S8_S8_S8_S8_ffiiiiiiiiiiiii.kd
    .uniform_work_group_size: 1
    .uses_dynamic_stack: false
    .vgpr_count:     23
    .vgpr_spill_count: 0
    .wavefront_size: 64
  - .agpr_count:     0
    .args:
      - .actual_access:  write_only
        .address_space:  global
        .offset:         0
        .size:           8
        .value_kind:     global_buffer
      - .actual_access:  write_only
        .address_space:  global
        .offset:         8
        .size:           8
        .value_kind:     global_buffer
      - .actual_access:  write_only
        .address_space:  global
        .offset:         16
        .size:           8
        .value_kind:     global_buffer
      - .actual_access:  write_only
        .address_space:  global
        .offset:         24
        .size:           8
        .value_kind:     global_buffer
      - .actual_access:  read_only
        .address_space:  global
        .offset:         32
        .size:           8
        .value_kind:     global_buffer
      - .actual_access:  read_only
        .address_space:  global
        .offset:         40
        .size:           8
        .value_kind:     global_buffer
      - .actual_access:  read_only
        .address_space:  global
        .offset:         48
        .size:           8
        .value_kind:     global_buffer
      - .actual_access:  read_only
        .address_space:  global
        .offset:         56
        .size:           8
        .value_kind:     global_buffer
      - .actual_access:  read_only
        .address_space:  global
        .offset:         64
        .size:           8
        .value_kind:     global_buffer
      - .actual_access:  read_only
        .address_space:  global
        .offset:         72
        .size:           8
        .value_kind:     global_buffer
      - .offset:         80
        .size:           4
        .value_kind:     by_value
      - .offset:         84
        .size:           4
        .value_kind:     by_value
      - .offset:         88
        .size:           4
        .value_kind:     by_value
      - .offset:         92
        .size:           4
        .value_kind:     by_value
      - .offset:         96
        .size:           4
        .value_kind:     by_value
      - .offset:         100
        .size:           4
        .value_kind:     by_value
      - .offset:         104
        .size:           4
        .value_kind:     by_value
      - .offset:         108
        .size:           4
        .value_kind:     by_value
      - .offset:         112
        .size:           4
        .value_kind:     by_value
      - .offset:         116
        .size:           4
        .value_kind:     by_value
      - .offset:         120
        .size:           4
        .value_kind:     by_value
      - .offset:         124
        .size:           4
        .value_kind:     by_value
      - .offset:         128
        .size:           4
        .value_kind:     by_value
      - .offset:         132
        .size:           4
        .value_kind:     by_value
      - .offset:         136
        .size:           4
        .value_kind:     by_value
      - .offset:         144
        .size:           4
        .value_kind:     hidden_block_count_x
      - .offset:         148
        .size:           4
        .value_kind:     hidden_block_count_y
      - .offset:         152
        .size:           4
        .value_kind:     hidden_block_count_z
      - .offset:         156
        .size:           2
        .value_kind:     hidden_group_size_x
      - .offset:         158
        .size:           2
        .value_kind:     hidden_group_size_y
      - .offset:         160
        .size:           2
        .value_kind:     hidden_group_size_z
      - .offset:         162
        .size:           2
        .value_kind:     hidden_remainder_x
      - .offset:         164
        .size:           2
        .value_kind:     hidden_remainder_y
      - .offset:         166
        .size:           2
        .value_kind:     hidden_remainder_z
      - .offset:         184
        .size:           8
        .value_kind:     hidden_global_offset_x
      - .offset:         192
        .size:           8
        .value_kind:     hidden_global_offset_y
      - .offset:         200
        .size:           8
        .value_kind:     hidden_global_offset_z
      - .offset:         208
        .size:           2
        .value_kind:     hidden_grid_dims
    .group_segment_fixed_size: 32
    .kernarg_segment_align: 8
    .kernarg_segment_size: 400
    .language:       OpenCL C
    .language_version:
      - 2
      - 0
    .max_flat_workgroup_size: 1024
    .name:           _ZN5aiter35fused_qk_rmsnorm_group_quant_kernelItDB8_Li256ELi8ELi8ELb0ELb1ELb1ELb0ELb0ELb0EEEvPT0_PvPT_S6_S6_PKS5_S8_S8_S8_S8_ffiiiiiiiiiiiii
    .private_segment_fixed_size: 0
    .sgpr_count:     40
    .sgpr_spill_count: 0
    .symbol:         _ZN5aiter35fused_qk_rmsnorm_group_quant_kernelItDB8_Li256ELi8ELi8ELb0ELb1ELb1ELb0ELb0ELb0EEEvPT0_PvPT_S6_S6_PKS5_S8_S8_S8_S8_ffiiiiiiiiiiiii.kd
    .uniform_work_group_size: 1
    .uses_dynamic_stack: false
    .vgpr_count:     23
    .vgpr_spill_count: 0
    .wavefront_size: 64
  - .agpr_count:     0
    .args:
      - .actual_access:  write_only
        .address_space:  global
        .offset:         0
        .size:           8
        .value_kind:     global_buffer
      - .actual_access:  write_only
        .address_space:  global
        .offset:         8
        .size:           8
        .value_kind:     global_buffer
      - .actual_access:  write_only
        .address_space:  global
        .offset:         16
        .size:           8
        .value_kind:     global_buffer
      - .actual_access:  write_only
        .address_space:  global
        .offset:         24
        .size:           8
        .value_kind:     global_buffer
      - .actual_access:  read_only
        .address_space:  global
        .offset:         32
        .size:           8
        .value_kind:     global_buffer
      - .actual_access:  read_only
        .address_space:  global
        .offset:         40
        .size:           8
        .value_kind:     global_buffer
      - .actual_access:  read_only
        .address_space:  global
        .offset:         48
        .size:           8
        .value_kind:     global_buffer
      - .actual_access:  read_only
        .address_space:  global
        .offset:         56
        .size:           8
        .value_kind:     global_buffer
      - .actual_access:  read_only
        .address_space:  global
        .offset:         64
        .size:           8
        .value_kind:     global_buffer
      - .actual_access:  read_only
        .address_space:  global
        .offset:         72
        .size:           8
        .value_kind:     global_buffer
      - .offset:         80
        .size:           4
        .value_kind:     by_value
      - .offset:         84
        .size:           4
        .value_kind:     by_value
      - .offset:         88
        .size:           4
        .value_kind:     by_value
      - .offset:         92
        .size:           4
        .value_kind:     by_value
      - .offset:         96
        .size:           4
        .value_kind:     by_value
      - .offset:         100
        .size:           4
        .value_kind:     by_value
      - .offset:         104
        .size:           4
        .value_kind:     by_value
      - .offset:         108
        .size:           4
        .value_kind:     by_value
      - .offset:         112
        .size:           4
        .value_kind:     by_value
      - .offset:         116
        .size:           4
        .value_kind:     by_value
      - .offset:         120
        .size:           4
        .value_kind:     by_value
      - .offset:         124
        .size:           4
        .value_kind:     by_value
      - .offset:         128
        .size:           4
        .value_kind:     by_value
      - .offset:         132
        .size:           4
        .value_kind:     by_value
      - .offset:         136
        .size:           4
        .value_kind:     by_value
      - .offset:         144
        .size:           4
        .value_kind:     hidden_block_count_x
      - .offset:         148
        .size:           4
        .value_kind:     hidden_block_count_y
      - .offset:         152
        .size:           4
        .value_kind:     hidden_block_count_z
      - .offset:         156
        .size:           2
        .value_kind:     hidden_group_size_x
      - .offset:         158
        .size:           2
        .value_kind:     hidden_group_size_y
      - .offset:         160
        .size:           2
        .value_kind:     hidden_group_size_z
      - .offset:         162
        .size:           2
        .value_kind:     hidden_remainder_x
      - .offset:         164
        .size:           2
        .value_kind:     hidden_remainder_y
      - .offset:         166
        .size:           2
        .value_kind:     hidden_remainder_z
      - .offset:         184
        .size:           8
        .value_kind:     hidden_global_offset_x
      - .offset:         192
        .size:           8
        .value_kind:     hidden_global_offset_y
      - .offset:         200
        .size:           8
        .value_kind:     hidden_global_offset_z
      - .offset:         208
        .size:           2
        .value_kind:     hidden_grid_dims
    .group_segment_fixed_size: 32
    .kernarg_segment_align: 8
    .kernarg_segment_size: 400
    .language:       OpenCL C
    .language_version:
      - 2
      - 0
    .max_flat_workgroup_size: 1024
    .name:           _ZN5aiter35fused_qk_rmsnorm_group_quant_kernelIDF16_N4opus5fp4_tELi256ELi8ELi8ELb0ELb1ELb1ELb0ELb0ELb0EEEvPT0_PvPT_S7_S7_PKS6_S9_S9_S9_S9_ffiiiiiiiiiiiii
    .private_segment_fixed_size: 0
    .sgpr_count:     40
    .sgpr_spill_count: 0
    .symbol:         _ZN5aiter35fused_qk_rmsnorm_group_quant_kernelIDF16_N4opus5fp4_tELi256ELi8ELi8ELb0ELb1ELb1ELb0ELb0ELb0EEEvPT0_PvPT_S7_S7_PKS6_S9_S9_S9_S9_ffiiiiiiiiiiiii.kd
    .uniform_work_group_size: 1
    .uses_dynamic_stack: false
    .vgpr_count:     23
    .vgpr_spill_count: 0
    .wavefront_size: 64
  - .agpr_count:     0
    .args:
      - .actual_access:  write_only
        .address_space:  global
        .offset:         0
        .size:           8
        .value_kind:     global_buffer
      - .actual_access:  write_only
        .address_space:  global
        .offset:         8
        .size:           8
        .value_kind:     global_buffer
      - .actual_access:  write_only
        .address_space:  global
        .offset:         16
        .size:           8
        .value_kind:     global_buffer
      - .actual_access:  write_only
        .address_space:  global
        .offset:         24
        .size:           8
        .value_kind:     global_buffer
      - .actual_access:  read_only
        .address_space:  global
        .offset:         32
        .size:           8
        .value_kind:     global_buffer
      - .actual_access:  read_only
        .address_space:  global
        .offset:         40
        .size:           8
        .value_kind:     global_buffer
      - .actual_access:  read_only
        .address_space:  global
        .offset:         48
        .size:           8
        .value_kind:     global_buffer
      - .actual_access:  read_only
        .address_space:  global
        .offset:         56
        .size:           8
        .value_kind:     global_buffer
      - .actual_access:  read_only
        .address_space:  global
        .offset:         64
        .size:           8
        .value_kind:     global_buffer
      - .actual_access:  read_only
        .address_space:  global
        .offset:         72
        .size:           8
        .value_kind:     global_buffer
      - .offset:         80
        .size:           4
        .value_kind:     by_value
      - .offset:         84
        .size:           4
        .value_kind:     by_value
      - .offset:         88
        .size:           4
        .value_kind:     by_value
      - .offset:         92
        .size:           4
        .value_kind:     by_value
      - .offset:         96
        .size:           4
        .value_kind:     by_value
      - .offset:         100
        .size:           4
        .value_kind:     by_value
      - .offset:         104
        .size:           4
        .value_kind:     by_value
      - .offset:         108
        .size:           4
        .value_kind:     by_value
      - .offset:         112
        .size:           4
        .value_kind:     by_value
      - .offset:         116
        .size:           4
        .value_kind:     by_value
      - .offset:         120
        .size:           4
        .value_kind:     by_value
      - .offset:         124
        .size:           4
        .value_kind:     by_value
      - .offset:         128
        .size:           4
        .value_kind:     by_value
      - .offset:         132
        .size:           4
        .value_kind:     by_value
      - .offset:         136
        .size:           4
        .value_kind:     by_value
      - .offset:         144
        .size:           4
        .value_kind:     hidden_block_count_x
      - .offset:         148
        .size:           4
        .value_kind:     hidden_block_count_y
      - .offset:         152
        .size:           4
        .value_kind:     hidden_block_count_z
      - .offset:         156
        .size:           2
        .value_kind:     hidden_group_size_x
      - .offset:         158
        .size:           2
        .value_kind:     hidden_group_size_y
      - .offset:         160
        .size:           2
        .value_kind:     hidden_group_size_z
      - .offset:         162
        .size:           2
        .value_kind:     hidden_remainder_x
      - .offset:         164
        .size:           2
        .value_kind:     hidden_remainder_y
      - .offset:         166
        .size:           2
        .value_kind:     hidden_remainder_z
      - .offset:         184
        .size:           8
        .value_kind:     hidden_global_offset_x
      - .offset:         192
        .size:           8
        .value_kind:     hidden_global_offset_y
      - .offset:         200
        .size:           8
        .value_kind:     hidden_global_offset_z
      - .offset:         208
        .size:           2
        .value_kind:     hidden_grid_dims
    .group_segment_fixed_size: 32
    .kernarg_segment_align: 8
    .kernarg_segment_size: 400
    .language:       OpenCL C
    .language_version:
      - 2
      - 0
    .max_flat_workgroup_size: 1024
    .name:           _ZN5aiter35fused_qk_rmsnorm_group_quant_kernelItN4opus5fp4_tELi256ELi8ELi8ELb0ELb1ELb1ELb0ELb0ELb0EEEvPT0_PvPT_S7_S7_PKS6_S9_S9_S9_S9_ffiiiiiiiiiiiii
    .private_segment_fixed_size: 0
    .sgpr_count:     40
    .sgpr_spill_count: 0
    .symbol:         _ZN5aiter35fused_qk_rmsnorm_group_quant_kernelItN4opus5fp4_tELi256ELi8ELi8ELb0ELb1ELb1ELb0ELb0ELb0EEEvPT0_PvPT_S7_S7_PKS6_S9_S9_S9_S9_ffiiiiiiiiiiiii.kd
    .uniform_work_group_size: 1
    .uses_dynamic_stack: false
    .vgpr_count:     23
    .vgpr_spill_count: 0
    .wavefront_size: 64
  - .agpr_count:     0
    .args:
      - .actual_access:  write_only
        .address_space:  global
        .offset:         0
        .size:           8
        .value_kind:     global_buffer
      - .actual_access:  write_only
        .address_space:  global
        .offset:         8
        .size:           8
        .value_kind:     global_buffer
      - .actual_access:  write_only
        .address_space:  global
        .offset:         16
        .size:           8
        .value_kind:     global_buffer
      - .actual_access:  write_only
        .address_space:  global
        .offset:         24
        .size:           8
        .value_kind:     global_buffer
      - .actual_access:  read_only
        .address_space:  global
        .offset:         32
        .size:           8
        .value_kind:     global_buffer
      - .actual_access:  read_only
        .address_space:  global
        .offset:         40
        .size:           8
        .value_kind:     global_buffer
      - .actual_access:  read_only
        .address_space:  global
        .offset:         48
        .size:           8
        .value_kind:     global_buffer
      - .actual_access:  read_only
        .address_space:  global
        .offset:         56
        .size:           8
        .value_kind:     global_buffer
      - .actual_access:  read_only
        .address_space:  global
        .offset:         64
        .size:           8
        .value_kind:     global_buffer
      - .actual_access:  read_only
        .address_space:  global
        .offset:         72
        .size:           8
        .value_kind:     global_buffer
      - .offset:         80
        .size:           4
        .value_kind:     by_value
      - .offset:         84
        .size:           4
        .value_kind:     by_value
      - .offset:         88
        .size:           4
        .value_kind:     by_value
      - .offset:         92
        .size:           4
        .value_kind:     by_value
      - .offset:         96
        .size:           4
        .value_kind:     by_value
      - .offset:         100
        .size:           4
        .value_kind:     by_value
      - .offset:         104
        .size:           4
        .value_kind:     by_value
      - .offset:         108
        .size:           4
        .value_kind:     by_value
      - .offset:         112
        .size:           4
        .value_kind:     by_value
      - .offset:         116
        .size:           4
        .value_kind:     by_value
      - .offset:         120
        .size:           4
        .value_kind:     by_value
      - .offset:         124
        .size:           4
        .value_kind:     by_value
      - .offset:         128
        .size:           4
        .value_kind:     by_value
      - .offset:         132
        .size:           4
        .value_kind:     by_value
      - .offset:         136
        .size:           4
        .value_kind:     by_value
      - .offset:         144
        .size:           4
        .value_kind:     hidden_block_count_x
      - .offset:         148
        .size:           4
        .value_kind:     hidden_block_count_y
      - .offset:         152
        .size:           4
        .value_kind:     hidden_block_count_z
      - .offset:         156
        .size:           2
        .value_kind:     hidden_group_size_x
      - .offset:         158
        .size:           2
        .value_kind:     hidden_group_size_y
      - .offset:         160
        .size:           2
        .value_kind:     hidden_group_size_z
      - .offset:         162
        .size:           2
        .value_kind:     hidden_remainder_x
      - .offset:         164
        .size:           2
        .value_kind:     hidden_remainder_y
      - .offset:         166
        .size:           2
        .value_kind:     hidden_remainder_z
      - .offset:         184
        .size:           8
        .value_kind:     hidden_global_offset_x
      - .offset:         192
        .size:           8
        .value_kind:     hidden_global_offset_y
      - .offset:         200
        .size:           8
        .value_kind:     hidden_global_offset_z
      - .offset:         208
        .size:           2
        .value_kind:     hidden_grid_dims
    .group_segment_fixed_size: 32
    .kernarg_segment_align: 8
    .kernarg_segment_size: 400
    .language:       OpenCL C
    .language_version:
      - 2
      - 0
    .max_flat_workgroup_size: 1024
    .name:           _ZN5aiter35fused_qk_rmsnorm_group_quant_kernelIDF16_DB8_Li256ELi8ELi8ELb0ELb1ELb0ELb0ELb0ELb0EEEvPT0_PvPT_S6_S6_PKS5_S8_S8_S8_S8_ffiiiiiiiiiiiii
    .private_segment_fixed_size: 0
    .sgpr_count:     40
    .sgpr_spill_count: 0
    .symbol:         _ZN5aiter35fused_qk_rmsnorm_group_quant_kernelIDF16_DB8_Li256ELi8ELi8ELb0ELb1ELb0ELb0ELb0ELb0EEEvPT0_PvPT_S6_S6_PKS5_S8_S8_S8_S8_ffiiiiiiiiiiiii.kd
    .uniform_work_group_size: 1
    .uses_dynamic_stack: false
    .vgpr_count:     23
    .vgpr_spill_count: 0
    .wavefront_size: 64
  - .agpr_count:     0
    .args:
      - .actual_access:  write_only
        .address_space:  global
        .offset:         0
        .size:           8
        .value_kind:     global_buffer
      - .actual_access:  write_only
        .address_space:  global
        .offset:         8
        .size:           8
        .value_kind:     global_buffer
      - .actual_access:  write_only
        .address_space:  global
        .offset:         16
        .size:           8
        .value_kind:     global_buffer
      - .actual_access:  write_only
        .address_space:  global
        .offset:         24
        .size:           8
        .value_kind:     global_buffer
      - .actual_access:  read_only
        .address_space:  global
        .offset:         32
        .size:           8
        .value_kind:     global_buffer
      - .actual_access:  read_only
        .address_space:  global
        .offset:         40
        .size:           8
        .value_kind:     global_buffer
      - .actual_access:  read_only
        .address_space:  global
        .offset:         48
        .size:           8
        .value_kind:     global_buffer
      - .actual_access:  read_only
        .address_space:  global
        .offset:         56
        .size:           8
        .value_kind:     global_buffer
      - .actual_access:  read_only
        .address_space:  global
        .offset:         64
        .size:           8
        .value_kind:     global_buffer
      - .actual_access:  read_only
        .address_space:  global
        .offset:         72
        .size:           8
        .value_kind:     global_buffer
      - .offset:         80
        .size:           4
        .value_kind:     by_value
      - .offset:         84
        .size:           4
        .value_kind:     by_value
      - .offset:         88
        .size:           4
        .value_kind:     by_value
      - .offset:         92
        .size:           4
        .value_kind:     by_value
      - .offset:         96
        .size:           4
        .value_kind:     by_value
      - .offset:         100
        .size:           4
        .value_kind:     by_value
      - .offset:         104
        .size:           4
        .value_kind:     by_value
      - .offset:         108
        .size:           4
        .value_kind:     by_value
      - .offset:         112
        .size:           4
        .value_kind:     by_value
      - .offset:         116
        .size:           4
        .value_kind:     by_value
      - .offset:         120
        .size:           4
        .value_kind:     by_value
      - .offset:         124
        .size:           4
        .value_kind:     by_value
      - .offset:         128
        .size:           4
        .value_kind:     by_value
      - .offset:         132
        .size:           4
        .value_kind:     by_value
      - .offset:         136
        .size:           4
        .value_kind:     by_value
      - .offset:         144
        .size:           4
        .value_kind:     hidden_block_count_x
      - .offset:         148
        .size:           4
        .value_kind:     hidden_block_count_y
      - .offset:         152
        .size:           4
        .value_kind:     hidden_block_count_z
      - .offset:         156
        .size:           2
        .value_kind:     hidden_group_size_x
      - .offset:         158
        .size:           2
        .value_kind:     hidden_group_size_y
      - .offset:         160
        .size:           2
        .value_kind:     hidden_group_size_z
      - .offset:         162
        .size:           2
        .value_kind:     hidden_remainder_x
      - .offset:         164
        .size:           2
        .value_kind:     hidden_remainder_y
      - .offset:         166
        .size:           2
        .value_kind:     hidden_remainder_z
      - .offset:         184
        .size:           8
        .value_kind:     hidden_global_offset_x
      - .offset:         192
        .size:           8
        .value_kind:     hidden_global_offset_y
      - .offset:         200
        .size:           8
        .value_kind:     hidden_global_offset_z
      - .offset:         208
        .size:           2
        .value_kind:     hidden_grid_dims
    .group_segment_fixed_size: 32
    .kernarg_segment_align: 8
    .kernarg_segment_size: 400
    .language:       OpenCL C
    .language_version:
      - 2
      - 0
    .max_flat_workgroup_size: 1024
    .name:           _ZN5aiter35fused_qk_rmsnorm_group_quant_kernelItDB8_Li256ELi8ELi8ELb0ELb1ELb0ELb0ELb0ELb0EEEvPT0_PvPT_S6_S6_PKS5_S8_S8_S8_S8_ffiiiiiiiiiiiii
    .private_segment_fixed_size: 0
    .sgpr_count:     40
    .sgpr_spill_count: 0
    .symbol:         _ZN5aiter35fused_qk_rmsnorm_group_quant_kernelItDB8_Li256ELi8ELi8ELb0ELb1ELb0ELb0ELb0ELb0EEEvPT0_PvPT_S6_S6_PKS5_S8_S8_S8_S8_ffiiiiiiiiiiiii.kd
    .uniform_work_group_size: 1
    .uses_dynamic_stack: false
    .vgpr_count:     23
    .vgpr_spill_count: 0
    .wavefront_size: 64
  - .agpr_count:     0
    .args:
      - .actual_access:  write_only
        .address_space:  global
        .offset:         0
        .size:           8
        .value_kind:     global_buffer
      - .actual_access:  write_only
        .address_space:  global
        .offset:         8
        .size:           8
        .value_kind:     global_buffer
      - .actual_access:  write_only
        .address_space:  global
        .offset:         16
        .size:           8
        .value_kind:     global_buffer
      - .actual_access:  write_only
        .address_space:  global
        .offset:         24
        .size:           8
        .value_kind:     global_buffer
      - .actual_access:  read_only
        .address_space:  global
        .offset:         32
        .size:           8
        .value_kind:     global_buffer
      - .actual_access:  read_only
        .address_space:  global
        .offset:         40
        .size:           8
        .value_kind:     global_buffer
      - .actual_access:  read_only
        .address_space:  global
        .offset:         48
        .size:           8
        .value_kind:     global_buffer
      - .actual_access:  read_only
        .address_space:  global
        .offset:         56
        .size:           8
        .value_kind:     global_buffer
      - .actual_access:  read_only
        .address_space:  global
        .offset:         64
        .size:           8
        .value_kind:     global_buffer
      - .actual_access:  read_only
        .address_space:  global
        .offset:         72
        .size:           8
        .value_kind:     global_buffer
      - .offset:         80
        .size:           4
        .value_kind:     by_value
      - .offset:         84
        .size:           4
        .value_kind:     by_value
      - .offset:         88
        .size:           4
        .value_kind:     by_value
      - .offset:         92
        .size:           4
        .value_kind:     by_value
      - .offset:         96
        .size:           4
        .value_kind:     by_value
      - .offset:         100
        .size:           4
        .value_kind:     by_value
      - .offset:         104
        .size:           4
        .value_kind:     by_value
      - .offset:         108
        .size:           4
        .value_kind:     by_value
      - .offset:         112
        .size:           4
        .value_kind:     by_value
      - .offset:         116
        .size:           4
        .value_kind:     by_value
      - .offset:         120
        .size:           4
        .value_kind:     by_value
      - .offset:         124
        .size:           4
        .value_kind:     by_value
      - .offset:         128
        .size:           4
        .value_kind:     by_value
      - .offset:         132
        .size:           4
        .value_kind:     by_value
      - .offset:         136
        .size:           4
        .value_kind:     by_value
      - .offset:         144
        .size:           4
        .value_kind:     hidden_block_count_x
      - .offset:         148
        .size:           4
        .value_kind:     hidden_block_count_y
      - .offset:         152
        .size:           4
        .value_kind:     hidden_block_count_z
      - .offset:         156
        .size:           2
        .value_kind:     hidden_group_size_x
      - .offset:         158
        .size:           2
        .value_kind:     hidden_group_size_y
      - .offset:         160
        .size:           2
        .value_kind:     hidden_group_size_z
      - .offset:         162
        .size:           2
        .value_kind:     hidden_remainder_x
      - .offset:         164
        .size:           2
        .value_kind:     hidden_remainder_y
      - .offset:         166
        .size:           2
        .value_kind:     hidden_remainder_z
      - .offset:         184
        .size:           8
        .value_kind:     hidden_global_offset_x
      - .offset:         192
        .size:           8
        .value_kind:     hidden_global_offset_y
      - .offset:         200
        .size:           8
        .value_kind:     hidden_global_offset_z
      - .offset:         208
        .size:           2
        .value_kind:     hidden_grid_dims
    .group_segment_fixed_size: 32
    .kernarg_segment_align: 8
    .kernarg_segment_size: 400
    .language:       OpenCL C
    .language_version:
      - 2
      - 0
    .max_flat_workgroup_size: 1024
    .name:           _ZN5aiter35fused_qk_rmsnorm_group_quant_kernelIDF16_N4opus5fp4_tELi256ELi8ELi8ELb0ELb1ELb0ELb0ELb0ELb0EEEvPT0_PvPT_S7_S7_PKS6_S9_S9_S9_S9_ffiiiiiiiiiiiii
    .private_segment_fixed_size: 0
    .sgpr_count:     40
    .sgpr_spill_count: 0
    .symbol:         _ZN5aiter35fused_qk_rmsnorm_group_quant_kernelIDF16_N4opus5fp4_tELi256ELi8ELi8ELb0ELb1ELb0ELb0ELb0ELb0EEEvPT0_PvPT_S7_S7_PKS6_S9_S9_S9_S9_ffiiiiiiiiiiiii.kd
    .uniform_work_group_size: 1
    .uses_dynamic_stack: false
    .vgpr_count:     23
    .vgpr_spill_count: 0
    .wavefront_size: 64
  - .agpr_count:     0
    .args:
      - .actual_access:  write_only
        .address_space:  global
        .offset:         0
        .size:           8
        .value_kind:     global_buffer
      - .actual_access:  write_only
        .address_space:  global
        .offset:         8
        .size:           8
        .value_kind:     global_buffer
      - .actual_access:  write_only
        .address_space:  global
        .offset:         16
        .size:           8
        .value_kind:     global_buffer
      - .actual_access:  write_only
        .address_space:  global
        .offset:         24
        .size:           8
        .value_kind:     global_buffer
      - .actual_access:  read_only
        .address_space:  global
        .offset:         32
        .size:           8
        .value_kind:     global_buffer
      - .actual_access:  read_only
        .address_space:  global
        .offset:         40
        .size:           8
        .value_kind:     global_buffer
      - .actual_access:  read_only
        .address_space:  global
        .offset:         48
        .size:           8
        .value_kind:     global_buffer
      - .actual_access:  read_only
        .address_space:  global
        .offset:         56
        .size:           8
        .value_kind:     global_buffer
      - .actual_access:  read_only
        .address_space:  global
        .offset:         64
        .size:           8
        .value_kind:     global_buffer
      - .actual_access:  read_only
        .address_space:  global
        .offset:         72
        .size:           8
        .value_kind:     global_buffer
      - .offset:         80
        .size:           4
        .value_kind:     by_value
      - .offset:         84
        .size:           4
        .value_kind:     by_value
      - .offset:         88
        .size:           4
        .value_kind:     by_value
      - .offset:         92
        .size:           4
        .value_kind:     by_value
      - .offset:         96
        .size:           4
        .value_kind:     by_value
      - .offset:         100
        .size:           4
        .value_kind:     by_value
      - .offset:         104
        .size:           4
        .value_kind:     by_value
      - .offset:         108
        .size:           4
        .value_kind:     by_value
      - .offset:         112
        .size:           4
        .value_kind:     by_value
      - .offset:         116
        .size:           4
        .value_kind:     by_value
      - .offset:         120
        .size:           4
        .value_kind:     by_value
      - .offset:         124
        .size:           4
        .value_kind:     by_value
      - .offset:         128
        .size:           4
        .value_kind:     by_value
      - .offset:         132
        .size:           4
        .value_kind:     by_value
      - .offset:         136
        .size:           4
        .value_kind:     by_value
      - .offset:         144
        .size:           4
        .value_kind:     hidden_block_count_x
      - .offset:         148
        .size:           4
        .value_kind:     hidden_block_count_y
      - .offset:         152
        .size:           4
        .value_kind:     hidden_block_count_z
      - .offset:         156
        .size:           2
        .value_kind:     hidden_group_size_x
      - .offset:         158
        .size:           2
        .value_kind:     hidden_group_size_y
      - .offset:         160
        .size:           2
        .value_kind:     hidden_group_size_z
      - .offset:         162
        .size:           2
        .value_kind:     hidden_remainder_x
      - .offset:         164
        .size:           2
        .value_kind:     hidden_remainder_y
      - .offset:         166
        .size:           2
        .value_kind:     hidden_remainder_z
      - .offset:         184
        .size:           8
        .value_kind:     hidden_global_offset_x
      - .offset:         192
        .size:           8
        .value_kind:     hidden_global_offset_y
      - .offset:         200
        .size:           8
        .value_kind:     hidden_global_offset_z
      - .offset:         208
        .size:           2
        .value_kind:     hidden_grid_dims
    .group_segment_fixed_size: 32
    .kernarg_segment_align: 8
    .kernarg_segment_size: 400
    .language:       OpenCL C
    .language_version:
      - 2
      - 0
    .max_flat_workgroup_size: 1024
    .name:           _ZN5aiter35fused_qk_rmsnorm_group_quant_kernelItN4opus5fp4_tELi256ELi8ELi8ELb0ELb1ELb0ELb0ELb0ELb0EEEvPT0_PvPT_S7_S7_PKS6_S9_S9_S9_S9_ffiiiiiiiiiiiii
    .private_segment_fixed_size: 0
    .sgpr_count:     40
    .sgpr_spill_count: 0
    .symbol:         _ZN5aiter35fused_qk_rmsnorm_group_quant_kernelItN4opus5fp4_tELi256ELi8ELi8ELb0ELb1ELb0ELb0ELb0ELb0EEEvPT0_PvPT_S7_S7_PKS6_S9_S9_S9_S9_ffiiiiiiiiiiiii.kd
    .uniform_work_group_size: 1
    .uses_dynamic_stack: false
    .vgpr_count:     23
    .vgpr_spill_count: 0
    .wavefront_size: 64
  - .agpr_count:     0
    .args:
      - .actual_access:  write_only
        .address_space:  global
        .offset:         0
        .size:           8
        .value_kind:     global_buffer
      - .actual_access:  write_only
        .address_space:  global
        .offset:         8
        .size:           8
        .value_kind:     global_buffer
      - .actual_access:  read_only
        .address_space:  global
        .offset:         16
        .size:           8
        .value_kind:     global_buffer
      - .actual_access:  write_only
        .address_space:  global
        .offset:         24
        .size:           8
        .value_kind:     global_buffer
      - .actual_access:  read_only
        .address_space:  global
        .offset:         32
        .size:           8
        .value_kind:     global_buffer
      - .actual_access:  read_only
        .address_space:  global
        .offset:         40
        .size:           8
        .value_kind:     global_buffer
      - .actual_access:  read_only
        .address_space:  global
        .offset:         48
        .size:           8
        .value_kind:     global_buffer
      - .actual_access:  read_only
        .address_space:  global
        .offset:         56
        .size:           8
        .value_kind:     global_buffer
      - .actual_access:  read_only
        .address_space:  global
        .offset:         64
        .size:           8
        .value_kind:     global_buffer
      - .actual_access:  read_only
        .address_space:  global
        .offset:         72
        .size:           8
        .value_kind:     global_buffer
      - .offset:         80
        .size:           4
        .value_kind:     by_value
      - .offset:         84
        .size:           4
        .value_kind:     by_value
      - .offset:         88
        .size:           4
        .value_kind:     by_value
      - .offset:         92
        .size:           4
        .value_kind:     by_value
      - .offset:         96
        .size:           4
        .value_kind:     by_value
      - .offset:         100
        .size:           4
        .value_kind:     by_value
      - .offset:         104
        .size:           4
        .value_kind:     by_value
      - .offset:         108
        .size:           4
        .value_kind:     by_value
      - .offset:         112
        .size:           4
        .value_kind:     by_value
      - .offset:         116
        .size:           4
        .value_kind:     by_value
      - .offset:         120
        .size:           4
        .value_kind:     by_value
      - .offset:         124
        .size:           4
        .value_kind:     by_value
      - .offset:         128
        .size:           4
        .value_kind:     by_value
      - .offset:         132
        .size:           4
        .value_kind:     by_value
      - .offset:         136
        .size:           4
        .value_kind:     by_value
      - .offset:         144
        .size:           4
        .value_kind:     hidden_block_count_x
      - .offset:         148
        .size:           4
        .value_kind:     hidden_block_count_y
      - .offset:         152
        .size:           4
        .value_kind:     hidden_block_count_z
      - .offset:         156
        .size:           2
        .value_kind:     hidden_group_size_x
      - .offset:         158
        .size:           2
        .value_kind:     hidden_group_size_y
      - .offset:         160
        .size:           2
        .value_kind:     hidden_group_size_z
      - .offset:         162
        .size:           2
        .value_kind:     hidden_remainder_x
      - .offset:         164
        .size:           2
        .value_kind:     hidden_remainder_y
      - .offset:         166
        .size:           2
        .value_kind:     hidden_remainder_z
      - .offset:         184
        .size:           8
        .value_kind:     hidden_global_offset_x
      - .offset:         192
        .size:           8
        .value_kind:     hidden_global_offset_y
      - .offset:         200
        .size:           8
        .value_kind:     hidden_global_offset_z
      - .offset:         208
        .size:           2
        .value_kind:     hidden_grid_dims
    .group_segment_fixed_size: 32
    .kernarg_segment_align: 8
    .kernarg_segment_size: 400
    .language:       OpenCL C
    .language_version:
      - 2
      - 0
    .max_flat_workgroup_size: 1024
    .name:           _ZN5aiter35fused_qk_rmsnorm_group_quant_kernelIDF16_DB8_Li256ELi8ELi8ELb0ELb0ELb1ELb0ELb0ELb0EEEvPT0_PvPT_S6_S6_PKS5_S8_S8_S8_S8_ffiiiiiiiiiiiii
    .private_segment_fixed_size: 0
    .sgpr_count:     36
    .sgpr_spill_count: 0
    .symbol:         _ZN5aiter35fused_qk_rmsnorm_group_quant_kernelIDF16_DB8_Li256ELi8ELi8ELb0ELb0ELb1ELb0ELb0ELb0EEEvPT0_PvPT_S6_S6_PKS5_S8_S8_S8_S8_ffiiiiiiiiiiiii.kd
    .uniform_work_group_size: 1
    .uses_dynamic_stack: false
    .vgpr_count:     23
    .vgpr_spill_count: 0
    .wavefront_size: 64
  - .agpr_count:     0
    .args:
      - .actual_access:  write_only
        .address_space:  global
        .offset:         0
        .size:           8
        .value_kind:     global_buffer
      - .actual_access:  write_only
        .address_space:  global
        .offset:         8
        .size:           8
        .value_kind:     global_buffer
      - .actual_access:  read_only
        .address_space:  global
        .offset:         16
        .size:           8
        .value_kind:     global_buffer
      - .actual_access:  write_only
        .address_space:  global
        .offset:         24
        .size:           8
        .value_kind:     global_buffer
      - .actual_access:  read_only
        .address_space:  global
        .offset:         32
        .size:           8
        .value_kind:     global_buffer
      - .actual_access:  read_only
        .address_space:  global
        .offset:         40
        .size:           8
        .value_kind:     global_buffer
      - .actual_access:  read_only
        .address_space:  global
        .offset:         48
        .size:           8
        .value_kind:     global_buffer
      - .actual_access:  read_only
        .address_space:  global
        .offset:         56
        .size:           8
        .value_kind:     global_buffer
      - .actual_access:  read_only
        .address_space:  global
        .offset:         64
        .size:           8
        .value_kind:     global_buffer
      - .actual_access:  read_only
        .address_space:  global
        .offset:         72
        .size:           8
        .value_kind:     global_buffer
      - .offset:         80
        .size:           4
        .value_kind:     by_value
      - .offset:         84
        .size:           4
        .value_kind:     by_value
      - .offset:         88
        .size:           4
        .value_kind:     by_value
      - .offset:         92
        .size:           4
        .value_kind:     by_value
      - .offset:         96
        .size:           4
        .value_kind:     by_value
      - .offset:         100
        .size:           4
        .value_kind:     by_value
      - .offset:         104
        .size:           4
        .value_kind:     by_value
      - .offset:         108
        .size:           4
        .value_kind:     by_value
      - .offset:         112
        .size:           4
        .value_kind:     by_value
      - .offset:         116
        .size:           4
        .value_kind:     by_value
      - .offset:         120
        .size:           4
        .value_kind:     by_value
      - .offset:         124
        .size:           4
        .value_kind:     by_value
      - .offset:         128
        .size:           4
        .value_kind:     by_value
      - .offset:         132
        .size:           4
        .value_kind:     by_value
      - .offset:         136
        .size:           4
        .value_kind:     by_value
      - .offset:         144
        .size:           4
        .value_kind:     hidden_block_count_x
      - .offset:         148
        .size:           4
        .value_kind:     hidden_block_count_y
      - .offset:         152
        .size:           4
        .value_kind:     hidden_block_count_z
      - .offset:         156
        .size:           2
        .value_kind:     hidden_group_size_x
      - .offset:         158
        .size:           2
        .value_kind:     hidden_group_size_y
      - .offset:         160
        .size:           2
        .value_kind:     hidden_group_size_z
      - .offset:         162
        .size:           2
        .value_kind:     hidden_remainder_x
      - .offset:         164
        .size:           2
        .value_kind:     hidden_remainder_y
      - .offset:         166
        .size:           2
        .value_kind:     hidden_remainder_z
      - .offset:         184
        .size:           8
        .value_kind:     hidden_global_offset_x
      - .offset:         192
        .size:           8
        .value_kind:     hidden_global_offset_y
      - .offset:         200
        .size:           8
        .value_kind:     hidden_global_offset_z
      - .offset:         208
        .size:           2
        .value_kind:     hidden_grid_dims
    .group_segment_fixed_size: 32
    .kernarg_segment_align: 8
    .kernarg_segment_size: 400
    .language:       OpenCL C
    .language_version:
      - 2
      - 0
    .max_flat_workgroup_size: 1024
    .name:           _ZN5aiter35fused_qk_rmsnorm_group_quant_kernelItDB8_Li256ELi8ELi8ELb0ELb0ELb1ELb0ELb0ELb0EEEvPT0_PvPT_S6_S6_PKS5_S8_S8_S8_S8_ffiiiiiiiiiiiii
    .private_segment_fixed_size: 0
    .sgpr_count:     36
    .sgpr_spill_count: 0
    .symbol:         _ZN5aiter35fused_qk_rmsnorm_group_quant_kernelItDB8_Li256ELi8ELi8ELb0ELb0ELb1ELb0ELb0ELb0EEEvPT0_PvPT_S6_S6_PKS5_S8_S8_S8_S8_ffiiiiiiiiiiiii.kd
    .uniform_work_group_size: 1
    .uses_dynamic_stack: false
    .vgpr_count:     23
    .vgpr_spill_count: 0
    .wavefront_size: 64
  - .agpr_count:     0
    .args:
      - .actual_access:  write_only
        .address_space:  global
        .offset:         0
        .size:           8
        .value_kind:     global_buffer
      - .actual_access:  write_only
        .address_space:  global
        .offset:         8
        .size:           8
        .value_kind:     global_buffer
      - .actual_access:  read_only
        .address_space:  global
        .offset:         16
        .size:           8
        .value_kind:     global_buffer
      - .actual_access:  write_only
        .address_space:  global
        .offset:         24
        .size:           8
        .value_kind:     global_buffer
      - .actual_access:  read_only
        .address_space:  global
        .offset:         32
        .size:           8
        .value_kind:     global_buffer
      - .actual_access:  read_only
        .address_space:  global
        .offset:         40
        .size:           8
        .value_kind:     global_buffer
      - .actual_access:  read_only
        .address_space:  global
        .offset:         48
        .size:           8
        .value_kind:     global_buffer
      - .actual_access:  read_only
        .address_space:  global
        .offset:         56
        .size:           8
        .value_kind:     global_buffer
      - .actual_access:  read_only
        .address_space:  global
        .offset:         64
        .size:           8
        .value_kind:     global_buffer
      - .actual_access:  read_only
        .address_space:  global
        .offset:         72
        .size:           8
        .value_kind:     global_buffer
      - .offset:         80
        .size:           4
        .value_kind:     by_value
      - .offset:         84
        .size:           4
        .value_kind:     by_value
      - .offset:         88
        .size:           4
        .value_kind:     by_value
      - .offset:         92
        .size:           4
        .value_kind:     by_value
      - .offset:         96
        .size:           4
        .value_kind:     by_value
      - .offset:         100
        .size:           4
        .value_kind:     by_value
      - .offset:         104
        .size:           4
        .value_kind:     by_value
      - .offset:         108
        .size:           4
        .value_kind:     by_value
      - .offset:         112
        .size:           4
        .value_kind:     by_value
      - .offset:         116
        .size:           4
        .value_kind:     by_value
      - .offset:         120
        .size:           4
        .value_kind:     by_value
      - .offset:         124
        .size:           4
        .value_kind:     by_value
      - .offset:         128
        .size:           4
        .value_kind:     by_value
      - .offset:         132
        .size:           4
        .value_kind:     by_value
      - .offset:         136
        .size:           4
        .value_kind:     by_value
      - .offset:         144
        .size:           4
        .value_kind:     hidden_block_count_x
      - .offset:         148
        .size:           4
        .value_kind:     hidden_block_count_y
      - .offset:         152
        .size:           4
        .value_kind:     hidden_block_count_z
      - .offset:         156
        .size:           2
        .value_kind:     hidden_group_size_x
      - .offset:         158
        .size:           2
        .value_kind:     hidden_group_size_y
      - .offset:         160
        .size:           2
        .value_kind:     hidden_group_size_z
      - .offset:         162
        .size:           2
        .value_kind:     hidden_remainder_x
      - .offset:         164
        .size:           2
        .value_kind:     hidden_remainder_y
      - .offset:         166
        .size:           2
        .value_kind:     hidden_remainder_z
      - .offset:         184
        .size:           8
        .value_kind:     hidden_global_offset_x
      - .offset:         192
        .size:           8
        .value_kind:     hidden_global_offset_y
      - .offset:         200
        .size:           8
        .value_kind:     hidden_global_offset_z
      - .offset:         208
        .size:           2
        .value_kind:     hidden_grid_dims
    .group_segment_fixed_size: 32
    .kernarg_segment_align: 8
    .kernarg_segment_size: 400
    .language:       OpenCL C
    .language_version:
      - 2
      - 0
    .max_flat_workgroup_size: 1024
    .name:           _ZN5aiter35fused_qk_rmsnorm_group_quant_kernelIDF16_N4opus5fp4_tELi256ELi8ELi8ELb0ELb0ELb1ELb0ELb0ELb0EEEvPT0_PvPT_S7_S7_PKS6_S9_S9_S9_S9_ffiiiiiiiiiiiii
    .private_segment_fixed_size: 0
    .sgpr_count:     36
    .sgpr_spill_count: 0
    .symbol:         _ZN5aiter35fused_qk_rmsnorm_group_quant_kernelIDF16_N4opus5fp4_tELi256ELi8ELi8ELb0ELb0ELb1ELb0ELb0ELb0EEEvPT0_PvPT_S7_S7_PKS6_S9_S9_S9_S9_ffiiiiiiiiiiiii.kd
    .uniform_work_group_size: 1
    .uses_dynamic_stack: false
    .vgpr_count:     23
    .vgpr_spill_count: 0
    .wavefront_size: 64
  - .agpr_count:     0
    .args:
      - .actual_access:  write_only
        .address_space:  global
        .offset:         0
        .size:           8
        .value_kind:     global_buffer
      - .actual_access:  write_only
        .address_space:  global
        .offset:         8
        .size:           8
        .value_kind:     global_buffer
      - .actual_access:  read_only
        .address_space:  global
        .offset:         16
        .size:           8
        .value_kind:     global_buffer
      - .actual_access:  write_only
        .address_space:  global
        .offset:         24
        .size:           8
        .value_kind:     global_buffer
      - .actual_access:  read_only
        .address_space:  global
        .offset:         32
        .size:           8
        .value_kind:     global_buffer
      - .actual_access:  read_only
        .address_space:  global
        .offset:         40
        .size:           8
        .value_kind:     global_buffer
      - .actual_access:  read_only
        .address_space:  global
        .offset:         48
        .size:           8
        .value_kind:     global_buffer
      - .actual_access:  read_only
        .address_space:  global
        .offset:         56
        .size:           8
        .value_kind:     global_buffer
      - .actual_access:  read_only
        .address_space:  global
        .offset:         64
        .size:           8
        .value_kind:     global_buffer
      - .actual_access:  read_only
        .address_space:  global
        .offset:         72
        .size:           8
        .value_kind:     global_buffer
      - .offset:         80
        .size:           4
        .value_kind:     by_value
      - .offset:         84
        .size:           4
        .value_kind:     by_value
      - .offset:         88
        .size:           4
        .value_kind:     by_value
      - .offset:         92
        .size:           4
        .value_kind:     by_value
      - .offset:         96
        .size:           4
        .value_kind:     by_value
      - .offset:         100
        .size:           4
        .value_kind:     by_value
      - .offset:         104
        .size:           4
        .value_kind:     by_value
      - .offset:         108
        .size:           4
        .value_kind:     by_value
      - .offset:         112
        .size:           4
        .value_kind:     by_value
      - .offset:         116
        .size:           4
        .value_kind:     by_value
      - .offset:         120
        .size:           4
        .value_kind:     by_value
      - .offset:         124
        .size:           4
        .value_kind:     by_value
      - .offset:         128
        .size:           4
        .value_kind:     by_value
      - .offset:         132
        .size:           4
        .value_kind:     by_value
      - .offset:         136
        .size:           4
        .value_kind:     by_value
      - .offset:         144
        .size:           4
        .value_kind:     hidden_block_count_x
      - .offset:         148
        .size:           4
        .value_kind:     hidden_block_count_y
      - .offset:         152
        .size:           4
        .value_kind:     hidden_block_count_z
      - .offset:         156
        .size:           2
        .value_kind:     hidden_group_size_x
      - .offset:         158
        .size:           2
        .value_kind:     hidden_group_size_y
      - .offset:         160
        .size:           2
        .value_kind:     hidden_group_size_z
      - .offset:         162
        .size:           2
        .value_kind:     hidden_remainder_x
      - .offset:         164
        .size:           2
        .value_kind:     hidden_remainder_y
      - .offset:         166
        .size:           2
        .value_kind:     hidden_remainder_z
      - .offset:         184
        .size:           8
        .value_kind:     hidden_global_offset_x
      - .offset:         192
        .size:           8
        .value_kind:     hidden_global_offset_y
      - .offset:         200
        .size:           8
        .value_kind:     hidden_global_offset_z
      - .offset:         208
        .size:           2
        .value_kind:     hidden_grid_dims
    .group_segment_fixed_size: 32
    .kernarg_segment_align: 8
    .kernarg_segment_size: 400
    .language:       OpenCL C
    .language_version:
      - 2
      - 0
    .max_flat_workgroup_size: 1024
    .name:           _ZN5aiter35fused_qk_rmsnorm_group_quant_kernelItN4opus5fp4_tELi256ELi8ELi8ELb0ELb0ELb1ELb0ELb0ELb0EEEvPT0_PvPT_S7_S7_PKS6_S9_S9_S9_S9_ffiiiiiiiiiiiii
    .private_segment_fixed_size: 0
    .sgpr_count:     36
    .sgpr_spill_count: 0
    .symbol:         _ZN5aiter35fused_qk_rmsnorm_group_quant_kernelItN4opus5fp4_tELi256ELi8ELi8ELb0ELb0ELb1ELb0ELb0ELb0EEEvPT0_PvPT_S7_S7_PKS6_S9_S9_S9_S9_ffiiiiiiiiiiiii.kd
    .uniform_work_group_size: 1
    .uses_dynamic_stack: false
    .vgpr_count:     23
    .vgpr_spill_count: 0
    .wavefront_size: 64
  - .agpr_count:     0
    .args:
      - .actual_access:  write_only
        .address_space:  global
        .offset:         0
        .size:           8
        .value_kind:     global_buffer
      - .actual_access:  write_only
        .address_space:  global
        .offset:         8
        .size:           8
        .value_kind:     global_buffer
      - .actual_access:  read_only
        .address_space:  global
        .offset:         16
        .size:           8
        .value_kind:     global_buffer
      - .actual_access:  write_only
        .address_space:  global
        .offset:         24
        .size:           8
        .value_kind:     global_buffer
      - .actual_access:  read_only
        .address_space:  global
        .offset:         32
        .size:           8
        .value_kind:     global_buffer
      - .actual_access:  read_only
        .address_space:  global
        .offset:         40
        .size:           8
        .value_kind:     global_buffer
      - .actual_access:  read_only
        .address_space:  global
        .offset:         48
        .size:           8
        .value_kind:     global_buffer
      - .actual_access:  read_only
        .address_space:  global
        .offset:         56
        .size:           8
        .value_kind:     global_buffer
      - .actual_access:  read_only
        .address_space:  global
        .offset:         64
        .size:           8
        .value_kind:     global_buffer
      - .actual_access:  read_only
        .address_space:  global
        .offset:         72
        .size:           8
        .value_kind:     global_buffer
      - .offset:         80
        .size:           4
        .value_kind:     by_value
      - .offset:         84
        .size:           4
        .value_kind:     by_value
      - .offset:         88
        .size:           4
        .value_kind:     by_value
      - .offset:         92
        .size:           4
        .value_kind:     by_value
      - .offset:         96
        .size:           4
        .value_kind:     by_value
      - .offset:         100
        .size:           4
        .value_kind:     by_value
      - .offset:         104
        .size:           4
        .value_kind:     by_value
      - .offset:         108
        .size:           4
        .value_kind:     by_value
      - .offset:         112
        .size:           4
        .value_kind:     by_value
      - .offset:         116
        .size:           4
        .value_kind:     by_value
      - .offset:         120
        .size:           4
        .value_kind:     by_value
      - .offset:         124
        .size:           4
        .value_kind:     by_value
      - .offset:         128
        .size:           4
        .value_kind:     by_value
      - .offset:         132
        .size:           4
        .value_kind:     by_value
      - .offset:         136
        .size:           4
        .value_kind:     by_value
      - .offset:         144
        .size:           4
        .value_kind:     hidden_block_count_x
      - .offset:         148
        .size:           4
        .value_kind:     hidden_block_count_y
      - .offset:         152
        .size:           4
        .value_kind:     hidden_block_count_z
      - .offset:         156
        .size:           2
        .value_kind:     hidden_group_size_x
      - .offset:         158
        .size:           2
        .value_kind:     hidden_group_size_y
      - .offset:         160
        .size:           2
        .value_kind:     hidden_group_size_z
      - .offset:         162
        .size:           2
        .value_kind:     hidden_remainder_x
      - .offset:         164
        .size:           2
        .value_kind:     hidden_remainder_y
      - .offset:         166
        .size:           2
        .value_kind:     hidden_remainder_z
      - .offset:         184
        .size:           8
        .value_kind:     hidden_global_offset_x
      - .offset:         192
        .size:           8
        .value_kind:     hidden_global_offset_y
      - .offset:         200
        .size:           8
        .value_kind:     hidden_global_offset_z
      - .offset:         208
        .size:           2
        .value_kind:     hidden_grid_dims
    .group_segment_fixed_size: 32
    .kernarg_segment_align: 8
    .kernarg_segment_size: 400
    .language:       OpenCL C
    .language_version:
      - 2
      - 0
    .max_flat_workgroup_size: 1024
    .name:           _ZN5aiter35fused_qk_rmsnorm_group_quant_kernelIDF16_DB8_Li256ELi8ELi8ELb0ELb0ELb0ELb0ELb0ELb0EEEvPT0_PvPT_S6_S6_PKS5_S8_S8_S8_S8_ffiiiiiiiiiiiii
    .private_segment_fixed_size: 0
    .sgpr_count:     36
    .sgpr_spill_count: 0
    .symbol:         _ZN5aiter35fused_qk_rmsnorm_group_quant_kernelIDF16_DB8_Li256ELi8ELi8ELb0ELb0ELb0ELb0ELb0ELb0EEEvPT0_PvPT_S6_S6_PKS5_S8_S8_S8_S8_ffiiiiiiiiiiiii.kd
    .uniform_work_group_size: 1
    .uses_dynamic_stack: false
    .vgpr_count:     23
    .vgpr_spill_count: 0
    .wavefront_size: 64
  - .agpr_count:     0
    .args:
      - .actual_access:  write_only
        .address_space:  global
        .offset:         0
        .size:           8
        .value_kind:     global_buffer
      - .actual_access:  write_only
        .address_space:  global
        .offset:         8
        .size:           8
        .value_kind:     global_buffer
      - .actual_access:  read_only
        .address_space:  global
        .offset:         16
        .size:           8
        .value_kind:     global_buffer
      - .actual_access:  write_only
        .address_space:  global
        .offset:         24
        .size:           8
        .value_kind:     global_buffer
      - .actual_access:  read_only
        .address_space:  global
        .offset:         32
        .size:           8
        .value_kind:     global_buffer
      - .actual_access:  read_only
        .address_space:  global
        .offset:         40
        .size:           8
        .value_kind:     global_buffer
      - .actual_access:  read_only
        .address_space:  global
        .offset:         48
        .size:           8
        .value_kind:     global_buffer
      - .actual_access:  read_only
        .address_space:  global
        .offset:         56
        .size:           8
        .value_kind:     global_buffer
      - .actual_access:  read_only
        .address_space:  global
        .offset:         64
        .size:           8
        .value_kind:     global_buffer
      - .actual_access:  read_only
        .address_space:  global
        .offset:         72
        .size:           8
        .value_kind:     global_buffer
      - .offset:         80
        .size:           4
        .value_kind:     by_value
      - .offset:         84
        .size:           4
        .value_kind:     by_value
      - .offset:         88
        .size:           4
        .value_kind:     by_value
      - .offset:         92
        .size:           4
        .value_kind:     by_value
      - .offset:         96
        .size:           4
        .value_kind:     by_value
      - .offset:         100
        .size:           4
        .value_kind:     by_value
      - .offset:         104
        .size:           4
        .value_kind:     by_value
      - .offset:         108
        .size:           4
        .value_kind:     by_value
      - .offset:         112
        .size:           4
        .value_kind:     by_value
      - .offset:         116
        .size:           4
        .value_kind:     by_value
      - .offset:         120
        .size:           4
        .value_kind:     by_value
      - .offset:         124
        .size:           4
        .value_kind:     by_value
      - .offset:         128
        .size:           4
        .value_kind:     by_value
      - .offset:         132
        .size:           4
        .value_kind:     by_value
      - .offset:         136
        .size:           4
        .value_kind:     by_value
      - .offset:         144
        .size:           4
        .value_kind:     hidden_block_count_x
      - .offset:         148
        .size:           4
        .value_kind:     hidden_block_count_y
      - .offset:         152
        .size:           4
        .value_kind:     hidden_block_count_z
      - .offset:         156
        .size:           2
        .value_kind:     hidden_group_size_x
      - .offset:         158
        .size:           2
        .value_kind:     hidden_group_size_y
      - .offset:         160
        .size:           2
        .value_kind:     hidden_group_size_z
      - .offset:         162
        .size:           2
        .value_kind:     hidden_remainder_x
      - .offset:         164
        .size:           2
        .value_kind:     hidden_remainder_y
      - .offset:         166
        .size:           2
        .value_kind:     hidden_remainder_z
      - .offset:         184
        .size:           8
        .value_kind:     hidden_global_offset_x
      - .offset:         192
        .size:           8
        .value_kind:     hidden_global_offset_y
      - .offset:         200
        .size:           8
        .value_kind:     hidden_global_offset_z
      - .offset:         208
        .size:           2
        .value_kind:     hidden_grid_dims
    .group_segment_fixed_size: 32
    .kernarg_segment_align: 8
    .kernarg_segment_size: 400
    .language:       OpenCL C
    .language_version:
      - 2
      - 0
    .max_flat_workgroup_size: 1024
    .name:           _ZN5aiter35fused_qk_rmsnorm_group_quant_kernelItDB8_Li256ELi8ELi8ELb0ELb0ELb0ELb0ELb0ELb0EEEvPT0_PvPT_S6_S6_PKS5_S8_S8_S8_S8_ffiiiiiiiiiiiii
    .private_segment_fixed_size: 0
    .sgpr_count:     36
    .sgpr_spill_count: 0
    .symbol:         _ZN5aiter35fused_qk_rmsnorm_group_quant_kernelItDB8_Li256ELi8ELi8ELb0ELb0ELb0ELb0ELb0ELb0EEEvPT0_PvPT_S6_S6_PKS5_S8_S8_S8_S8_ffiiiiiiiiiiiii.kd
    .uniform_work_group_size: 1
    .uses_dynamic_stack: false
    .vgpr_count:     23
    .vgpr_spill_count: 0
    .wavefront_size: 64
  - .agpr_count:     0
    .args:
      - .actual_access:  write_only
        .address_space:  global
        .offset:         0
        .size:           8
        .value_kind:     global_buffer
      - .actual_access:  write_only
        .address_space:  global
        .offset:         8
        .size:           8
        .value_kind:     global_buffer
      - .actual_access:  read_only
        .address_space:  global
        .offset:         16
        .size:           8
        .value_kind:     global_buffer
      - .actual_access:  write_only
        .address_space:  global
        .offset:         24
        .size:           8
        .value_kind:     global_buffer
      - .actual_access:  read_only
        .address_space:  global
        .offset:         32
        .size:           8
        .value_kind:     global_buffer
      - .actual_access:  read_only
        .address_space:  global
        .offset:         40
        .size:           8
        .value_kind:     global_buffer
      - .actual_access:  read_only
        .address_space:  global
        .offset:         48
        .size:           8
        .value_kind:     global_buffer
      - .actual_access:  read_only
        .address_space:  global
        .offset:         56
        .size:           8
        .value_kind:     global_buffer
      - .actual_access:  read_only
        .address_space:  global
        .offset:         64
        .size:           8
        .value_kind:     global_buffer
      - .actual_access:  read_only
        .address_space:  global
        .offset:         72
        .size:           8
        .value_kind:     global_buffer
      - .offset:         80
        .size:           4
        .value_kind:     by_value
      - .offset:         84
        .size:           4
        .value_kind:     by_value
      - .offset:         88
        .size:           4
        .value_kind:     by_value
      - .offset:         92
        .size:           4
        .value_kind:     by_value
      - .offset:         96
        .size:           4
        .value_kind:     by_value
      - .offset:         100
        .size:           4
        .value_kind:     by_value
      - .offset:         104
        .size:           4
        .value_kind:     by_value
      - .offset:         108
        .size:           4
        .value_kind:     by_value
      - .offset:         112
        .size:           4
        .value_kind:     by_value
      - .offset:         116
        .size:           4
        .value_kind:     by_value
      - .offset:         120
        .size:           4
        .value_kind:     by_value
      - .offset:         124
        .size:           4
        .value_kind:     by_value
      - .offset:         128
        .size:           4
        .value_kind:     by_value
      - .offset:         132
        .size:           4
        .value_kind:     by_value
      - .offset:         136
        .size:           4
        .value_kind:     by_value
      - .offset:         144
        .size:           4
        .value_kind:     hidden_block_count_x
      - .offset:         148
        .size:           4
        .value_kind:     hidden_block_count_y
      - .offset:         152
        .size:           4
        .value_kind:     hidden_block_count_z
      - .offset:         156
        .size:           2
        .value_kind:     hidden_group_size_x
      - .offset:         158
        .size:           2
        .value_kind:     hidden_group_size_y
      - .offset:         160
        .size:           2
        .value_kind:     hidden_group_size_z
      - .offset:         162
        .size:           2
        .value_kind:     hidden_remainder_x
      - .offset:         164
        .size:           2
        .value_kind:     hidden_remainder_y
      - .offset:         166
        .size:           2
        .value_kind:     hidden_remainder_z
      - .offset:         184
        .size:           8
        .value_kind:     hidden_global_offset_x
      - .offset:         192
        .size:           8
        .value_kind:     hidden_global_offset_y
      - .offset:         200
        .size:           8
        .value_kind:     hidden_global_offset_z
      - .offset:         208
        .size:           2
        .value_kind:     hidden_grid_dims
    .group_segment_fixed_size: 32
    .kernarg_segment_align: 8
    .kernarg_segment_size: 400
    .language:       OpenCL C
    .language_version:
      - 2
      - 0
    .max_flat_workgroup_size: 1024
    .name:           _ZN5aiter35fused_qk_rmsnorm_group_quant_kernelIDF16_N4opus5fp4_tELi256ELi8ELi8ELb0ELb0ELb0ELb0ELb0ELb0EEEvPT0_PvPT_S7_S7_PKS6_S9_S9_S9_S9_ffiiiiiiiiiiiii
    .private_segment_fixed_size: 0
    .sgpr_count:     36
    .sgpr_spill_count: 0
    .symbol:         _ZN5aiter35fused_qk_rmsnorm_group_quant_kernelIDF16_N4opus5fp4_tELi256ELi8ELi8ELb0ELb0ELb0ELb0ELb0ELb0EEEvPT0_PvPT_S7_S7_PKS6_S9_S9_S9_S9_ffiiiiiiiiiiiii.kd
    .uniform_work_group_size: 1
    .uses_dynamic_stack: false
    .vgpr_count:     23
    .vgpr_spill_count: 0
    .wavefront_size: 64
  - .agpr_count:     0
    .args:
      - .actual_access:  write_only
        .address_space:  global
        .offset:         0
        .size:           8
        .value_kind:     global_buffer
      - .actual_access:  write_only
        .address_space:  global
        .offset:         8
        .size:           8
        .value_kind:     global_buffer
      - .actual_access:  read_only
        .address_space:  global
        .offset:         16
        .size:           8
        .value_kind:     global_buffer
      - .actual_access:  write_only
        .address_space:  global
        .offset:         24
        .size:           8
        .value_kind:     global_buffer
      - .actual_access:  read_only
        .address_space:  global
        .offset:         32
        .size:           8
        .value_kind:     global_buffer
      - .actual_access:  read_only
        .address_space:  global
        .offset:         40
        .size:           8
        .value_kind:     global_buffer
      - .actual_access:  read_only
        .address_space:  global
        .offset:         48
        .size:           8
        .value_kind:     global_buffer
      - .actual_access:  read_only
        .address_space:  global
        .offset:         56
        .size:           8
        .value_kind:     global_buffer
      - .actual_access:  read_only
        .address_space:  global
        .offset:         64
        .size:           8
        .value_kind:     global_buffer
      - .actual_access:  read_only
        .address_space:  global
        .offset:         72
        .size:           8
        .value_kind:     global_buffer
      - .offset:         80
        .size:           4
        .value_kind:     by_value
      - .offset:         84
        .size:           4
        .value_kind:     by_value
      - .offset:         88
        .size:           4
        .value_kind:     by_value
      - .offset:         92
        .size:           4
        .value_kind:     by_value
      - .offset:         96
        .size:           4
        .value_kind:     by_value
      - .offset:         100
        .size:           4
        .value_kind:     by_value
      - .offset:         104
        .size:           4
        .value_kind:     by_value
      - .offset:         108
        .size:           4
        .value_kind:     by_value
      - .offset:         112
        .size:           4
        .value_kind:     by_value
      - .offset:         116
        .size:           4
        .value_kind:     by_value
      - .offset:         120
        .size:           4
        .value_kind:     by_value
      - .offset:         124
        .size:           4
        .value_kind:     by_value
      - .offset:         128
        .size:           4
        .value_kind:     by_value
      - .offset:         132
        .size:           4
        .value_kind:     by_value
      - .offset:         136
        .size:           4
        .value_kind:     by_value
      - .offset:         144
        .size:           4
        .value_kind:     hidden_block_count_x
      - .offset:         148
        .size:           4
        .value_kind:     hidden_block_count_y
      - .offset:         152
        .size:           4
        .value_kind:     hidden_block_count_z
      - .offset:         156
        .size:           2
        .value_kind:     hidden_group_size_x
      - .offset:         158
        .size:           2
        .value_kind:     hidden_group_size_y
      - .offset:         160
        .size:           2
        .value_kind:     hidden_group_size_z
      - .offset:         162
        .size:           2
        .value_kind:     hidden_remainder_x
      - .offset:         164
        .size:           2
        .value_kind:     hidden_remainder_y
      - .offset:         166
        .size:           2
        .value_kind:     hidden_remainder_z
      - .offset:         184
        .size:           8
        .value_kind:     hidden_global_offset_x
      - .offset:         192
        .size:           8
        .value_kind:     hidden_global_offset_y
      - .offset:         200
        .size:           8
        .value_kind:     hidden_global_offset_z
      - .offset:         208
        .size:           2
        .value_kind:     hidden_grid_dims
    .group_segment_fixed_size: 32
    .kernarg_segment_align: 8
    .kernarg_segment_size: 400
    .language:       OpenCL C
    .language_version:
      - 2
      - 0
    .max_flat_workgroup_size: 1024
    .name:           _ZN5aiter35fused_qk_rmsnorm_group_quant_kernelItN4opus5fp4_tELi256ELi8ELi8ELb0ELb0ELb0ELb0ELb0ELb0EEEvPT0_PvPT_S7_S7_PKS6_S9_S9_S9_S9_ffiiiiiiiiiiiii
    .private_segment_fixed_size: 0
    .sgpr_count:     36
    .sgpr_spill_count: 0
    .symbol:         _ZN5aiter35fused_qk_rmsnorm_group_quant_kernelItN4opus5fp4_tELi256ELi8ELi8ELb0ELb0ELb0ELb0ELb0ELb0EEEvPT0_PvPT_S7_S7_PKS6_S9_S9_S9_S9_ffiiiiiiiiiiiii.kd
    .uniform_work_group_size: 1
    .uses_dynamic_stack: false
    .vgpr_count:     23
    .vgpr_spill_count: 0
    .wavefront_size: 64
  - .agpr_count:     0
    .args:
      - .actual_access:  read_only
        .address_space:  global
        .offset:         0
        .size:           8
        .value_kind:     global_buffer
      - .actual_access:  read_only
        .address_space:  global
        .offset:         8
        .size:           8
        .value_kind:     global_buffer
      - .actual_access:  write_only
        .address_space:  global
        .offset:         16
        .size:           8
        .value_kind:     global_buffer
      - .actual_access:  write_only
        .address_space:  global
        .offset:         24
        .size:           8
        .value_kind:     global_buffer
      - .actual_access:  write_only
        .address_space:  global
        .offset:         32
        .size:           8
        .value_kind:     global_buffer
      - .actual_access:  read_only
        .address_space:  global
        .offset:         40
        .size:           8
        .value_kind:     global_buffer
      - .actual_access:  read_only
        .address_space:  global
        .offset:         48
        .size:           8
        .value_kind:     global_buffer
      - .actual_access:  read_only
        .address_space:  global
        .offset:         56
        .size:           8
        .value_kind:     global_buffer
      - .actual_access:  read_only
        .address_space:  global
        .offset:         64
        .size:           8
        .value_kind:     global_buffer
      - .actual_access:  read_only
        .address_space:  global
        .offset:         72
        .size:           8
        .value_kind:     global_buffer
      - .offset:         80
        .size:           4
        .value_kind:     by_value
      - .offset:         84
        .size:           4
        .value_kind:     by_value
      - .offset:         88
        .size:           4
        .value_kind:     by_value
      - .offset:         92
        .size:           4
        .value_kind:     by_value
      - .offset:         96
        .size:           4
        .value_kind:     by_value
      - .offset:         100
        .size:           4
        .value_kind:     by_value
      - .offset:         104
        .size:           4
        .value_kind:     by_value
      - .offset:         108
        .size:           4
        .value_kind:     by_value
      - .offset:         112
        .size:           4
        .value_kind:     by_value
      - .offset:         116
        .size:           4
        .value_kind:     by_value
      - .offset:         120
        .size:           4
        .value_kind:     by_value
      - .offset:         124
        .size:           4
        .value_kind:     by_value
      - .offset:         128
        .size:           4
        .value_kind:     by_value
      - .offset:         132
        .size:           4
        .value_kind:     by_value
      - .offset:         136
        .size:           4
        .value_kind:     by_value
      - .offset:         144
        .size:           4
        .value_kind:     hidden_block_count_x
      - .offset:         148
        .size:           4
        .value_kind:     hidden_block_count_y
      - .offset:         152
        .size:           4
        .value_kind:     hidden_block_count_z
      - .offset:         156
        .size:           2
        .value_kind:     hidden_group_size_x
      - .offset:         158
        .size:           2
        .value_kind:     hidden_group_size_y
      - .offset:         160
        .size:           2
        .value_kind:     hidden_group_size_z
      - .offset:         162
        .size:           2
        .value_kind:     hidden_remainder_x
      - .offset:         164
        .size:           2
        .value_kind:     hidden_remainder_y
      - .offset:         166
        .size:           2
        .value_kind:     hidden_remainder_z
      - .offset:         184
        .size:           8
        .value_kind:     hidden_global_offset_x
      - .offset:         192
        .size:           8
        .value_kind:     hidden_global_offset_y
      - .offset:         200
        .size:           8
        .value_kind:     hidden_global_offset_z
      - .offset:         208
        .size:           2
        .value_kind:     hidden_grid_dims
    .group_segment_fixed_size: 32
    .kernarg_segment_align: 8
    .kernarg_segment_size: 400
    .language:       OpenCL C
    .language_version:
      - 2
      - 0
    .max_flat_workgroup_size: 1024
    .name:           _ZN5aiter35fused_qk_rmsnorm_group_quant_kernelIDF16_DB8_Li256ELi8ELi4ELb1ELb1ELb1ELb1ELb0ELb0EEEvPT0_PvPT_S6_S6_PKS5_S8_S8_S8_S8_ffiiiiiiiiiiiii
    .private_segment_fixed_size: 0
    .sgpr_count:     36
    .sgpr_spill_count: 0
    .symbol:         _ZN5aiter35fused_qk_rmsnorm_group_quant_kernelIDF16_DB8_Li256ELi8ELi4ELb1ELb1ELb1ELb1ELb0ELb0EEEvPT0_PvPT_S6_S6_PKS5_S8_S8_S8_S8_ffiiiiiiiiiiiii.kd
    .uniform_work_group_size: 1
    .uses_dynamic_stack: false
    .vgpr_count:     25
    .vgpr_spill_count: 0
    .wavefront_size: 64
  - .agpr_count:     0
    .args:
      - .actual_access:  read_only
        .address_space:  global
        .offset:         0
        .size:           8
        .value_kind:     global_buffer
      - .actual_access:  read_only
        .address_space:  global
        .offset:         8
        .size:           8
        .value_kind:     global_buffer
      - .actual_access:  write_only
        .address_space:  global
        .offset:         16
        .size:           8
        .value_kind:     global_buffer
      - .actual_access:  write_only
        .address_space:  global
        .offset:         24
        .size:           8
        .value_kind:     global_buffer
      - .actual_access:  write_only
        .address_space:  global
        .offset:         32
        .size:           8
        .value_kind:     global_buffer
      - .actual_access:  read_only
        .address_space:  global
        .offset:         40
        .size:           8
        .value_kind:     global_buffer
      - .actual_access:  read_only
        .address_space:  global
        .offset:         48
        .size:           8
        .value_kind:     global_buffer
      - .actual_access:  read_only
        .address_space:  global
        .offset:         56
        .size:           8
        .value_kind:     global_buffer
      - .actual_access:  read_only
        .address_space:  global
        .offset:         64
        .size:           8
        .value_kind:     global_buffer
      - .actual_access:  read_only
        .address_space:  global
        .offset:         72
        .size:           8
        .value_kind:     global_buffer
      - .offset:         80
        .size:           4
        .value_kind:     by_value
      - .offset:         84
        .size:           4
        .value_kind:     by_value
      - .offset:         88
        .size:           4
        .value_kind:     by_value
      - .offset:         92
        .size:           4
        .value_kind:     by_value
      - .offset:         96
        .size:           4
        .value_kind:     by_value
      - .offset:         100
        .size:           4
        .value_kind:     by_value
      - .offset:         104
        .size:           4
        .value_kind:     by_value
      - .offset:         108
        .size:           4
        .value_kind:     by_value
      - .offset:         112
        .size:           4
        .value_kind:     by_value
      - .offset:         116
        .size:           4
        .value_kind:     by_value
      - .offset:         120
        .size:           4
        .value_kind:     by_value
      - .offset:         124
        .size:           4
        .value_kind:     by_value
      - .offset:         128
        .size:           4
        .value_kind:     by_value
      - .offset:         132
        .size:           4
        .value_kind:     by_value
      - .offset:         136
        .size:           4
        .value_kind:     by_value
      - .offset:         144
        .size:           4
        .value_kind:     hidden_block_count_x
      - .offset:         148
        .size:           4
        .value_kind:     hidden_block_count_y
      - .offset:         152
        .size:           4
        .value_kind:     hidden_block_count_z
      - .offset:         156
        .size:           2
        .value_kind:     hidden_group_size_x
      - .offset:         158
        .size:           2
        .value_kind:     hidden_group_size_y
      - .offset:         160
        .size:           2
        .value_kind:     hidden_group_size_z
      - .offset:         162
        .size:           2
        .value_kind:     hidden_remainder_x
      - .offset:         164
        .size:           2
        .value_kind:     hidden_remainder_y
      - .offset:         166
        .size:           2
        .value_kind:     hidden_remainder_z
      - .offset:         184
        .size:           8
        .value_kind:     hidden_global_offset_x
      - .offset:         192
        .size:           8
        .value_kind:     hidden_global_offset_y
      - .offset:         200
        .size:           8
        .value_kind:     hidden_global_offset_z
      - .offset:         208
        .size:           2
        .value_kind:     hidden_grid_dims
    .group_segment_fixed_size: 32
    .kernarg_segment_align: 8
    .kernarg_segment_size: 400
    .language:       OpenCL C
    .language_version:
      - 2
      - 0
    .max_flat_workgroup_size: 1024
    .name:           _ZN5aiter35fused_qk_rmsnorm_group_quant_kernelItDB8_Li256ELi8ELi4ELb1ELb1ELb1ELb1ELb0ELb0EEEvPT0_PvPT_S6_S6_PKS5_S8_S8_S8_S8_ffiiiiiiiiiiiii
    .private_segment_fixed_size: 0
    .sgpr_count:     48
    .sgpr_spill_count: 0
    .symbol:         _ZN5aiter35fused_qk_rmsnorm_group_quant_kernelItDB8_Li256ELi8ELi4ELb1ELb1ELb1ELb1ELb0ELb0EEEvPT0_PvPT_S6_S6_PKS5_S8_S8_S8_S8_ffiiiiiiiiiiiii.kd
    .uniform_work_group_size: 1
    .uses_dynamic_stack: false
    .vgpr_count:     27
    .vgpr_spill_count: 0
    .wavefront_size: 64
  - .agpr_count:     0
    .args:
      - .actual_access:  read_only
        .address_space:  global
        .offset:         0
        .size:           8
        .value_kind:     global_buffer
      - .actual_access:  read_only
        .address_space:  global
        .offset:         8
        .size:           8
        .value_kind:     global_buffer
      - .actual_access:  write_only
        .address_space:  global
        .offset:         16
        .size:           8
        .value_kind:     global_buffer
      - .actual_access:  write_only
        .address_space:  global
        .offset:         24
        .size:           8
        .value_kind:     global_buffer
      - .actual_access:  write_only
        .address_space:  global
        .offset:         32
        .size:           8
        .value_kind:     global_buffer
      - .actual_access:  read_only
        .address_space:  global
        .offset:         40
        .size:           8
        .value_kind:     global_buffer
      - .actual_access:  read_only
        .address_space:  global
        .offset:         48
        .size:           8
        .value_kind:     global_buffer
      - .actual_access:  read_only
        .address_space:  global
        .offset:         56
        .size:           8
        .value_kind:     global_buffer
      - .actual_access:  read_only
        .address_space:  global
        .offset:         64
        .size:           8
        .value_kind:     global_buffer
      - .actual_access:  read_only
        .address_space:  global
        .offset:         72
        .size:           8
        .value_kind:     global_buffer
      - .offset:         80
        .size:           4
        .value_kind:     by_value
      - .offset:         84
        .size:           4
        .value_kind:     by_value
      - .offset:         88
        .size:           4
        .value_kind:     by_value
      - .offset:         92
        .size:           4
        .value_kind:     by_value
      - .offset:         96
        .size:           4
        .value_kind:     by_value
      - .offset:         100
        .size:           4
        .value_kind:     by_value
      - .offset:         104
        .size:           4
        .value_kind:     by_value
      - .offset:         108
        .size:           4
        .value_kind:     by_value
      - .offset:         112
        .size:           4
        .value_kind:     by_value
      - .offset:         116
        .size:           4
        .value_kind:     by_value
      - .offset:         120
        .size:           4
        .value_kind:     by_value
      - .offset:         124
        .size:           4
        .value_kind:     by_value
      - .offset:         128
        .size:           4
        .value_kind:     by_value
      - .offset:         132
        .size:           4
        .value_kind:     by_value
      - .offset:         136
        .size:           4
        .value_kind:     by_value
      - .offset:         144
        .size:           4
        .value_kind:     hidden_block_count_x
      - .offset:         148
        .size:           4
        .value_kind:     hidden_block_count_y
      - .offset:         152
        .size:           4
        .value_kind:     hidden_block_count_z
      - .offset:         156
        .size:           2
        .value_kind:     hidden_group_size_x
      - .offset:         158
        .size:           2
        .value_kind:     hidden_group_size_y
      - .offset:         160
        .size:           2
        .value_kind:     hidden_group_size_z
      - .offset:         162
        .size:           2
        .value_kind:     hidden_remainder_x
      - .offset:         164
        .size:           2
        .value_kind:     hidden_remainder_y
      - .offset:         166
        .size:           2
        .value_kind:     hidden_remainder_z
      - .offset:         184
        .size:           8
        .value_kind:     hidden_global_offset_x
      - .offset:         192
        .size:           8
        .value_kind:     hidden_global_offset_y
      - .offset:         200
        .size:           8
        .value_kind:     hidden_global_offset_z
      - .offset:         208
        .size:           2
        .value_kind:     hidden_grid_dims
    .group_segment_fixed_size: 32
    .kernarg_segment_align: 8
    .kernarg_segment_size: 400
    .language:       OpenCL C
    .language_version:
      - 2
      - 0
    .max_flat_workgroup_size: 1024
    .name:           _ZN5aiter35fused_qk_rmsnorm_group_quant_kernelIDF16_N4opus5fp4_tELi256ELi8ELi4ELb1ELb1ELb1ELb1ELb0ELb0EEEvPT0_PvPT_S7_S7_PKS6_S9_S9_S9_S9_ffiiiiiiiiiiiii
    .private_segment_fixed_size: 0
    .sgpr_count:     36
    .sgpr_spill_count: 0
    .symbol:         _ZN5aiter35fused_qk_rmsnorm_group_quant_kernelIDF16_N4opus5fp4_tELi256ELi8ELi4ELb1ELb1ELb1ELb1ELb0ELb0EEEvPT0_PvPT_S7_S7_PKS6_S9_S9_S9_S9_ffiiiiiiiiiiiii.kd
    .uniform_work_group_size: 1
    .uses_dynamic_stack: false
    .vgpr_count:     25
    .vgpr_spill_count: 0
    .wavefront_size: 64
  - .agpr_count:     0
    .args:
      - .actual_access:  read_only
        .address_space:  global
        .offset:         0
        .size:           8
        .value_kind:     global_buffer
      - .actual_access:  read_only
        .address_space:  global
        .offset:         8
        .size:           8
        .value_kind:     global_buffer
      - .actual_access:  write_only
        .address_space:  global
        .offset:         16
        .size:           8
        .value_kind:     global_buffer
      - .actual_access:  write_only
        .address_space:  global
        .offset:         24
        .size:           8
        .value_kind:     global_buffer
      - .actual_access:  write_only
        .address_space:  global
        .offset:         32
        .size:           8
        .value_kind:     global_buffer
      - .actual_access:  read_only
        .address_space:  global
        .offset:         40
        .size:           8
        .value_kind:     global_buffer
      - .actual_access:  read_only
        .address_space:  global
        .offset:         48
        .size:           8
        .value_kind:     global_buffer
      - .actual_access:  read_only
        .address_space:  global
        .offset:         56
        .size:           8
        .value_kind:     global_buffer
      - .actual_access:  read_only
        .address_space:  global
        .offset:         64
        .size:           8
        .value_kind:     global_buffer
      - .actual_access:  read_only
        .address_space:  global
        .offset:         72
        .size:           8
        .value_kind:     global_buffer
      - .offset:         80
        .size:           4
        .value_kind:     by_value
      - .offset:         84
        .size:           4
        .value_kind:     by_value
      - .offset:         88
        .size:           4
        .value_kind:     by_value
      - .offset:         92
        .size:           4
        .value_kind:     by_value
      - .offset:         96
        .size:           4
        .value_kind:     by_value
      - .offset:         100
        .size:           4
        .value_kind:     by_value
      - .offset:         104
        .size:           4
        .value_kind:     by_value
      - .offset:         108
        .size:           4
        .value_kind:     by_value
      - .offset:         112
        .size:           4
        .value_kind:     by_value
      - .offset:         116
        .size:           4
        .value_kind:     by_value
      - .offset:         120
        .size:           4
        .value_kind:     by_value
      - .offset:         124
        .size:           4
        .value_kind:     by_value
      - .offset:         128
        .size:           4
        .value_kind:     by_value
      - .offset:         132
        .size:           4
        .value_kind:     by_value
      - .offset:         136
        .size:           4
        .value_kind:     by_value
      - .offset:         144
        .size:           4
        .value_kind:     hidden_block_count_x
      - .offset:         148
        .size:           4
        .value_kind:     hidden_block_count_y
      - .offset:         152
        .size:           4
        .value_kind:     hidden_block_count_z
      - .offset:         156
        .size:           2
        .value_kind:     hidden_group_size_x
      - .offset:         158
        .size:           2
        .value_kind:     hidden_group_size_y
      - .offset:         160
        .size:           2
        .value_kind:     hidden_group_size_z
      - .offset:         162
        .size:           2
        .value_kind:     hidden_remainder_x
      - .offset:         164
        .size:           2
        .value_kind:     hidden_remainder_y
      - .offset:         166
        .size:           2
        .value_kind:     hidden_remainder_z
      - .offset:         184
        .size:           8
        .value_kind:     hidden_global_offset_x
      - .offset:         192
        .size:           8
        .value_kind:     hidden_global_offset_y
      - .offset:         200
        .size:           8
        .value_kind:     hidden_global_offset_z
      - .offset:         208
        .size:           2
        .value_kind:     hidden_grid_dims
    .group_segment_fixed_size: 32
    .kernarg_segment_align: 8
    .kernarg_segment_size: 400
    .language:       OpenCL C
    .language_version:
      - 2
      - 0
    .max_flat_workgroup_size: 1024
    .name:           _ZN5aiter35fused_qk_rmsnorm_group_quant_kernelItN4opus5fp4_tELi256ELi8ELi4ELb1ELb1ELb1ELb1ELb0ELb0EEEvPT0_PvPT_S7_S7_PKS6_S9_S9_S9_S9_ffiiiiiiiiiiiii
    .private_segment_fixed_size: 0
    .sgpr_count:     48
    .sgpr_spill_count: 0
    .symbol:         _ZN5aiter35fused_qk_rmsnorm_group_quant_kernelItN4opus5fp4_tELi256ELi8ELi4ELb1ELb1ELb1ELb1ELb0ELb0EEEvPT0_PvPT_S7_S7_PKS6_S9_S9_S9_S9_ffiiiiiiiiiiiii.kd
    .uniform_work_group_size: 1
    .uses_dynamic_stack: false
    .vgpr_count:     27
    .vgpr_spill_count: 0
    .wavefront_size: 64
  - .agpr_count:     0
    .args:
      - .actual_access:  read_only
        .address_space:  global
        .offset:         0
        .size:           8
        .value_kind:     global_buffer
      - .actual_access:  read_only
        .address_space:  global
        .offset:         8
        .size:           8
        .value_kind:     global_buffer
      - .actual_access:  write_only
        .address_space:  global
        .offset:         16
        .size:           8
        .value_kind:     global_buffer
      - .actual_access:  write_only
        .address_space:  global
        .offset:         24
        .size:           8
        .value_kind:     global_buffer
      - .actual_access:  write_only
        .address_space:  global
        .offset:         32
        .size:           8
        .value_kind:     global_buffer
      - .actual_access:  read_only
        .address_space:  global
        .offset:         40
        .size:           8
        .value_kind:     global_buffer
      - .actual_access:  read_only
        .address_space:  global
        .offset:         48
        .size:           8
        .value_kind:     global_buffer
      - .actual_access:  read_only
        .address_space:  global
        .offset:         56
        .size:           8
        .value_kind:     global_buffer
      - .actual_access:  read_only
        .address_space:  global
        .offset:         64
        .size:           8
        .value_kind:     global_buffer
      - .actual_access:  read_only
        .address_space:  global
        .offset:         72
        .size:           8
        .value_kind:     global_buffer
      - .offset:         80
        .size:           4
        .value_kind:     by_value
      - .offset:         84
        .size:           4
        .value_kind:     by_value
      - .offset:         88
        .size:           4
        .value_kind:     by_value
      - .offset:         92
        .size:           4
        .value_kind:     by_value
      - .offset:         96
        .size:           4
        .value_kind:     by_value
      - .offset:         100
        .size:           4
        .value_kind:     by_value
      - .offset:         104
        .size:           4
        .value_kind:     by_value
      - .offset:         108
        .size:           4
        .value_kind:     by_value
      - .offset:         112
        .size:           4
        .value_kind:     by_value
      - .offset:         116
        .size:           4
        .value_kind:     by_value
      - .offset:         120
        .size:           4
        .value_kind:     by_value
      - .offset:         124
        .size:           4
        .value_kind:     by_value
      - .offset:         128
        .size:           4
        .value_kind:     by_value
      - .offset:         132
        .size:           4
        .value_kind:     by_value
      - .offset:         136
        .size:           4
        .value_kind:     by_value
      - .offset:         144
        .size:           4
        .value_kind:     hidden_block_count_x
      - .offset:         148
        .size:           4
        .value_kind:     hidden_block_count_y
      - .offset:         152
        .size:           4
        .value_kind:     hidden_block_count_z
      - .offset:         156
        .size:           2
        .value_kind:     hidden_group_size_x
      - .offset:         158
        .size:           2
        .value_kind:     hidden_group_size_y
      - .offset:         160
        .size:           2
        .value_kind:     hidden_group_size_z
      - .offset:         162
        .size:           2
        .value_kind:     hidden_remainder_x
      - .offset:         164
        .size:           2
        .value_kind:     hidden_remainder_y
      - .offset:         166
        .size:           2
        .value_kind:     hidden_remainder_z
      - .offset:         184
        .size:           8
        .value_kind:     hidden_global_offset_x
      - .offset:         192
        .size:           8
        .value_kind:     hidden_global_offset_y
      - .offset:         200
        .size:           8
        .value_kind:     hidden_global_offset_z
      - .offset:         208
        .size:           2
        .value_kind:     hidden_grid_dims
    .group_segment_fixed_size: 32
    .kernarg_segment_align: 8
    .kernarg_segment_size: 400
    .language:       OpenCL C
    .language_version:
      - 2
      - 0
    .max_flat_workgroup_size: 1024
    .name:           _ZN5aiter35fused_qk_rmsnorm_group_quant_kernelIDF16_DB8_Li256ELi8ELi4ELb1ELb1ELb0ELb1ELb0ELb0EEEvPT0_PvPT_S6_S6_PKS5_S8_S8_S8_S8_ffiiiiiiiiiiiii
    .private_segment_fixed_size: 0
    .sgpr_count:     36
    .sgpr_spill_count: 0
    .symbol:         _ZN5aiter35fused_qk_rmsnorm_group_quant_kernelIDF16_DB8_Li256ELi8ELi4ELb1ELb1ELb0ELb1ELb0ELb0EEEvPT0_PvPT_S6_S6_PKS5_S8_S8_S8_S8_ffiiiiiiiiiiiii.kd
    .uniform_work_group_size: 1
    .uses_dynamic_stack: false
    .vgpr_count:     27
    .vgpr_spill_count: 0
    .wavefront_size: 64
  - .agpr_count:     0
    .args:
      - .actual_access:  read_only
        .address_space:  global
        .offset:         0
        .size:           8
        .value_kind:     global_buffer
      - .actual_access:  read_only
        .address_space:  global
        .offset:         8
        .size:           8
        .value_kind:     global_buffer
      - .actual_access:  write_only
        .address_space:  global
        .offset:         16
        .size:           8
        .value_kind:     global_buffer
      - .actual_access:  write_only
        .address_space:  global
        .offset:         24
        .size:           8
        .value_kind:     global_buffer
      - .actual_access:  write_only
        .address_space:  global
        .offset:         32
        .size:           8
        .value_kind:     global_buffer
      - .actual_access:  read_only
        .address_space:  global
        .offset:         40
        .size:           8
        .value_kind:     global_buffer
      - .actual_access:  read_only
        .address_space:  global
        .offset:         48
        .size:           8
        .value_kind:     global_buffer
      - .actual_access:  read_only
        .address_space:  global
        .offset:         56
        .size:           8
        .value_kind:     global_buffer
      - .actual_access:  read_only
        .address_space:  global
        .offset:         64
        .size:           8
        .value_kind:     global_buffer
      - .actual_access:  read_only
        .address_space:  global
        .offset:         72
        .size:           8
        .value_kind:     global_buffer
      - .offset:         80
        .size:           4
        .value_kind:     by_value
      - .offset:         84
        .size:           4
        .value_kind:     by_value
      - .offset:         88
        .size:           4
        .value_kind:     by_value
      - .offset:         92
        .size:           4
        .value_kind:     by_value
      - .offset:         96
        .size:           4
        .value_kind:     by_value
      - .offset:         100
        .size:           4
        .value_kind:     by_value
      - .offset:         104
        .size:           4
        .value_kind:     by_value
      - .offset:         108
        .size:           4
        .value_kind:     by_value
      - .offset:         112
        .size:           4
        .value_kind:     by_value
      - .offset:         116
        .size:           4
        .value_kind:     by_value
      - .offset:         120
        .size:           4
        .value_kind:     by_value
      - .offset:         124
        .size:           4
        .value_kind:     by_value
      - .offset:         128
        .size:           4
        .value_kind:     by_value
      - .offset:         132
        .size:           4
        .value_kind:     by_value
      - .offset:         136
        .size:           4
        .value_kind:     by_value
      - .offset:         144
        .size:           4
        .value_kind:     hidden_block_count_x
      - .offset:         148
        .size:           4
        .value_kind:     hidden_block_count_y
      - .offset:         152
        .size:           4
        .value_kind:     hidden_block_count_z
      - .offset:         156
        .size:           2
        .value_kind:     hidden_group_size_x
      - .offset:         158
        .size:           2
        .value_kind:     hidden_group_size_y
      - .offset:         160
        .size:           2
        .value_kind:     hidden_group_size_z
      - .offset:         162
        .size:           2
        .value_kind:     hidden_remainder_x
      - .offset:         164
        .size:           2
        .value_kind:     hidden_remainder_y
      - .offset:         166
        .size:           2
        .value_kind:     hidden_remainder_z
      - .offset:         184
        .size:           8
        .value_kind:     hidden_global_offset_x
      - .offset:         192
        .size:           8
        .value_kind:     hidden_global_offset_y
      - .offset:         200
        .size:           8
        .value_kind:     hidden_global_offset_z
      - .offset:         208
        .size:           2
        .value_kind:     hidden_grid_dims
    .group_segment_fixed_size: 32
    .kernarg_segment_align: 8
    .kernarg_segment_size: 400
    .language:       OpenCL C
    .language_version:
      - 2
      - 0
    .max_flat_workgroup_size: 1024
    .name:           _ZN5aiter35fused_qk_rmsnorm_group_quant_kernelItDB8_Li256ELi8ELi4ELb1ELb1ELb0ELb1ELb0ELb0EEEvPT0_PvPT_S6_S6_PKS5_S8_S8_S8_S8_ffiiiiiiiiiiiii
    .private_segment_fixed_size: 0
    .sgpr_count:     48
    .sgpr_spill_count: 0
    .symbol:         _ZN5aiter35fused_qk_rmsnorm_group_quant_kernelItDB8_Li256ELi8ELi4ELb1ELb1ELb0ELb1ELb0ELb0EEEvPT0_PvPT_S6_S6_PKS5_S8_S8_S8_S8_ffiiiiiiiiiiiii.kd
    .uniform_work_group_size: 1
    .uses_dynamic_stack: false
    .vgpr_count:     27
    .vgpr_spill_count: 0
    .wavefront_size: 64
  - .agpr_count:     0
    .args:
      - .actual_access:  read_only
        .address_space:  global
        .offset:         0
        .size:           8
        .value_kind:     global_buffer
      - .actual_access:  read_only
        .address_space:  global
        .offset:         8
        .size:           8
        .value_kind:     global_buffer
      - .actual_access:  write_only
        .address_space:  global
        .offset:         16
        .size:           8
        .value_kind:     global_buffer
      - .actual_access:  write_only
        .address_space:  global
        .offset:         24
        .size:           8
        .value_kind:     global_buffer
      - .actual_access:  write_only
        .address_space:  global
        .offset:         32
        .size:           8
        .value_kind:     global_buffer
      - .actual_access:  read_only
        .address_space:  global
        .offset:         40
        .size:           8
        .value_kind:     global_buffer
      - .actual_access:  read_only
        .address_space:  global
        .offset:         48
        .size:           8
        .value_kind:     global_buffer
      - .actual_access:  read_only
        .address_space:  global
        .offset:         56
        .size:           8
        .value_kind:     global_buffer
      - .actual_access:  read_only
        .address_space:  global
        .offset:         64
        .size:           8
        .value_kind:     global_buffer
      - .actual_access:  read_only
        .address_space:  global
        .offset:         72
        .size:           8
        .value_kind:     global_buffer
      - .offset:         80
        .size:           4
        .value_kind:     by_value
      - .offset:         84
        .size:           4
        .value_kind:     by_value
      - .offset:         88
        .size:           4
        .value_kind:     by_value
      - .offset:         92
        .size:           4
        .value_kind:     by_value
      - .offset:         96
        .size:           4
        .value_kind:     by_value
      - .offset:         100
        .size:           4
        .value_kind:     by_value
      - .offset:         104
        .size:           4
        .value_kind:     by_value
      - .offset:         108
        .size:           4
        .value_kind:     by_value
      - .offset:         112
        .size:           4
        .value_kind:     by_value
      - .offset:         116
        .size:           4
        .value_kind:     by_value
      - .offset:         120
        .size:           4
        .value_kind:     by_value
      - .offset:         124
        .size:           4
        .value_kind:     by_value
      - .offset:         128
        .size:           4
        .value_kind:     by_value
      - .offset:         132
        .size:           4
        .value_kind:     by_value
      - .offset:         136
        .size:           4
        .value_kind:     by_value
      - .offset:         144
        .size:           4
        .value_kind:     hidden_block_count_x
      - .offset:         148
        .size:           4
        .value_kind:     hidden_block_count_y
      - .offset:         152
        .size:           4
        .value_kind:     hidden_block_count_z
      - .offset:         156
        .size:           2
        .value_kind:     hidden_group_size_x
      - .offset:         158
        .size:           2
        .value_kind:     hidden_group_size_y
      - .offset:         160
        .size:           2
        .value_kind:     hidden_group_size_z
      - .offset:         162
        .size:           2
        .value_kind:     hidden_remainder_x
      - .offset:         164
        .size:           2
        .value_kind:     hidden_remainder_y
      - .offset:         166
        .size:           2
        .value_kind:     hidden_remainder_z
      - .offset:         184
        .size:           8
        .value_kind:     hidden_global_offset_x
      - .offset:         192
        .size:           8
        .value_kind:     hidden_global_offset_y
      - .offset:         200
        .size:           8
        .value_kind:     hidden_global_offset_z
      - .offset:         208
        .size:           2
        .value_kind:     hidden_grid_dims
    .group_segment_fixed_size: 32
    .kernarg_segment_align: 8
    .kernarg_segment_size: 400
    .language:       OpenCL C
    .language_version:
      - 2
      - 0
    .max_flat_workgroup_size: 1024
    .name:           _ZN5aiter35fused_qk_rmsnorm_group_quant_kernelIDF16_N4opus5fp4_tELi256ELi8ELi4ELb1ELb1ELb0ELb1ELb0ELb0EEEvPT0_PvPT_S7_S7_PKS6_S9_S9_S9_S9_ffiiiiiiiiiiiii
    .private_segment_fixed_size: 0
    .sgpr_count:     36
    .sgpr_spill_count: 0
    .symbol:         _ZN5aiter35fused_qk_rmsnorm_group_quant_kernelIDF16_N4opus5fp4_tELi256ELi8ELi4ELb1ELb1ELb0ELb1ELb0ELb0EEEvPT0_PvPT_S7_S7_PKS6_S9_S9_S9_S9_ffiiiiiiiiiiiii.kd
    .uniform_work_group_size: 1
    .uses_dynamic_stack: false
    .vgpr_count:     27
    .vgpr_spill_count: 0
    .wavefront_size: 64
  - .agpr_count:     0
    .args:
      - .actual_access:  read_only
        .address_space:  global
        .offset:         0
        .size:           8
        .value_kind:     global_buffer
      - .actual_access:  read_only
        .address_space:  global
        .offset:         8
        .size:           8
        .value_kind:     global_buffer
      - .actual_access:  write_only
        .address_space:  global
        .offset:         16
        .size:           8
        .value_kind:     global_buffer
      - .actual_access:  write_only
        .address_space:  global
        .offset:         24
        .size:           8
        .value_kind:     global_buffer
      - .actual_access:  write_only
        .address_space:  global
        .offset:         32
        .size:           8
        .value_kind:     global_buffer
      - .actual_access:  read_only
        .address_space:  global
        .offset:         40
        .size:           8
        .value_kind:     global_buffer
      - .actual_access:  read_only
        .address_space:  global
        .offset:         48
        .size:           8
        .value_kind:     global_buffer
      - .actual_access:  read_only
        .address_space:  global
        .offset:         56
        .size:           8
        .value_kind:     global_buffer
      - .actual_access:  read_only
        .address_space:  global
        .offset:         64
        .size:           8
        .value_kind:     global_buffer
      - .actual_access:  read_only
        .address_space:  global
        .offset:         72
        .size:           8
        .value_kind:     global_buffer
      - .offset:         80
        .size:           4
        .value_kind:     by_value
      - .offset:         84
        .size:           4
        .value_kind:     by_value
      - .offset:         88
        .size:           4
        .value_kind:     by_value
      - .offset:         92
        .size:           4
        .value_kind:     by_value
      - .offset:         96
        .size:           4
        .value_kind:     by_value
      - .offset:         100
        .size:           4
        .value_kind:     by_value
      - .offset:         104
        .size:           4
        .value_kind:     by_value
      - .offset:         108
        .size:           4
        .value_kind:     by_value
      - .offset:         112
        .size:           4
        .value_kind:     by_value
      - .offset:         116
        .size:           4
        .value_kind:     by_value
      - .offset:         120
        .size:           4
        .value_kind:     by_value
      - .offset:         124
        .size:           4
        .value_kind:     by_value
      - .offset:         128
        .size:           4
        .value_kind:     by_value
      - .offset:         132
        .size:           4
        .value_kind:     by_value
      - .offset:         136
        .size:           4
        .value_kind:     by_value
      - .offset:         144
        .size:           4
        .value_kind:     hidden_block_count_x
      - .offset:         148
        .size:           4
        .value_kind:     hidden_block_count_y
      - .offset:         152
        .size:           4
        .value_kind:     hidden_block_count_z
      - .offset:         156
        .size:           2
        .value_kind:     hidden_group_size_x
      - .offset:         158
        .size:           2
        .value_kind:     hidden_group_size_y
      - .offset:         160
        .size:           2
        .value_kind:     hidden_group_size_z
      - .offset:         162
        .size:           2
        .value_kind:     hidden_remainder_x
      - .offset:         164
        .size:           2
        .value_kind:     hidden_remainder_y
      - .offset:         166
        .size:           2
        .value_kind:     hidden_remainder_z
      - .offset:         184
        .size:           8
        .value_kind:     hidden_global_offset_x
      - .offset:         192
        .size:           8
        .value_kind:     hidden_global_offset_y
      - .offset:         200
        .size:           8
        .value_kind:     hidden_global_offset_z
      - .offset:         208
        .size:           2
        .value_kind:     hidden_grid_dims
    .group_segment_fixed_size: 32
    .kernarg_segment_align: 8
    .kernarg_segment_size: 400
    .language:       OpenCL C
    .language_version:
      - 2
      - 0
    .max_flat_workgroup_size: 1024
    .name:           _ZN5aiter35fused_qk_rmsnorm_group_quant_kernelItN4opus5fp4_tELi256ELi8ELi4ELb1ELb1ELb0ELb1ELb0ELb0EEEvPT0_PvPT_S7_S7_PKS6_S9_S9_S9_S9_ffiiiiiiiiiiiii
    .private_segment_fixed_size: 0
    .sgpr_count:     48
    .sgpr_spill_count: 0
    .symbol:         _ZN5aiter35fused_qk_rmsnorm_group_quant_kernelItN4opus5fp4_tELi256ELi8ELi4ELb1ELb1ELb0ELb1ELb0ELb0EEEvPT0_PvPT_S7_S7_PKS6_S9_S9_S9_S9_ffiiiiiiiiiiiii.kd
    .uniform_work_group_size: 1
    .uses_dynamic_stack: false
    .vgpr_count:     27
    .vgpr_spill_count: 0
    .wavefront_size: 64
  - .agpr_count:     0
    .args:
      - .actual_access:  read_only
        .address_space:  global
        .offset:         0
        .size:           8
        .value_kind:     global_buffer
      - .actual_access:  read_only
        .address_space:  global
        .offset:         8
        .size:           8
        .value_kind:     global_buffer
      - .actual_access:  write_only
        .address_space:  global
        .offset:         16
        .size:           8
        .value_kind:     global_buffer
      - .actual_access:  write_only
        .address_space:  global
        .offset:         24
        .size:           8
        .value_kind:     global_buffer
      - .actual_access:  read_only
        .address_space:  global
        .offset:         32
        .size:           8
        .value_kind:     global_buffer
      - .actual_access:  read_only
        .address_space:  global
        .offset:         40
        .size:           8
        .value_kind:     global_buffer
      - .actual_access:  read_only
        .address_space:  global
        .offset:         48
        .size:           8
        .value_kind:     global_buffer
      - .actual_access:  read_only
        .address_space:  global
        .offset:         56
        .size:           8
        .value_kind:     global_buffer
      - .actual_access:  read_only
        .address_space:  global
        .offset:         64
        .size:           8
        .value_kind:     global_buffer
      - .actual_access:  read_only
        .address_space:  global
        .offset:         72
        .size:           8
        .value_kind:     global_buffer
      - .offset:         80
        .size:           4
        .value_kind:     by_value
      - .offset:         84
        .size:           4
        .value_kind:     by_value
      - .offset:         88
        .size:           4
        .value_kind:     by_value
      - .offset:         92
        .size:           4
        .value_kind:     by_value
      - .offset:         96
        .size:           4
        .value_kind:     by_value
      - .offset:         100
        .size:           4
        .value_kind:     by_value
      - .offset:         104
        .size:           4
        .value_kind:     by_value
      - .offset:         108
        .size:           4
        .value_kind:     by_value
      - .offset:         112
        .size:           4
        .value_kind:     by_value
      - .offset:         116
        .size:           4
        .value_kind:     by_value
      - .offset:         120
        .size:           4
        .value_kind:     by_value
      - .offset:         124
        .size:           4
        .value_kind:     by_value
      - .offset:         128
        .size:           4
        .value_kind:     by_value
      - .offset:         132
        .size:           4
        .value_kind:     by_value
      - .offset:         136
        .size:           4
        .value_kind:     by_value
      - .offset:         144
        .size:           4
        .value_kind:     hidden_block_count_x
      - .offset:         148
        .size:           4
        .value_kind:     hidden_block_count_y
      - .offset:         152
        .size:           4
        .value_kind:     hidden_block_count_z
      - .offset:         156
        .size:           2
        .value_kind:     hidden_group_size_x
      - .offset:         158
        .size:           2
        .value_kind:     hidden_group_size_y
      - .offset:         160
        .size:           2
        .value_kind:     hidden_group_size_z
      - .offset:         162
        .size:           2
        .value_kind:     hidden_remainder_x
      - .offset:         164
        .size:           2
        .value_kind:     hidden_remainder_y
      - .offset:         166
        .size:           2
        .value_kind:     hidden_remainder_z
      - .offset:         184
        .size:           8
        .value_kind:     hidden_global_offset_x
      - .offset:         192
        .size:           8
        .value_kind:     hidden_global_offset_y
      - .offset:         200
        .size:           8
        .value_kind:     hidden_global_offset_z
      - .offset:         208
        .size:           2
        .value_kind:     hidden_grid_dims
    .group_segment_fixed_size: 32
    .kernarg_segment_align: 8
    .kernarg_segment_size: 400
    .language:       OpenCL C
    .language_version:
      - 2
      - 0
    .max_flat_workgroup_size: 1024
    .name:           _ZN5aiter35fused_qk_rmsnorm_group_quant_kernelIDF16_DB8_Li256ELi8ELi4ELb0ELb1ELb1ELb1ELb0ELb0EEEvPT0_PvPT_S6_S6_PKS5_S8_S8_S8_S8_ffiiiiiiiiiiiii
    .private_segment_fixed_size: 0
    .sgpr_count:     36
    .sgpr_spill_count: 0
    .symbol:         _ZN5aiter35fused_qk_rmsnorm_group_quant_kernelIDF16_DB8_Li256ELi8ELi4ELb0ELb1ELb1ELb1ELb0ELb0EEEvPT0_PvPT_S6_S6_PKS5_S8_S8_S8_S8_ffiiiiiiiiiiiii.kd
    .uniform_work_group_size: 1
    .uses_dynamic_stack: false
    .vgpr_count:     23
    .vgpr_spill_count: 0
    .wavefront_size: 64
  - .agpr_count:     0
    .args:
      - .actual_access:  read_only
        .address_space:  global
        .offset:         0
        .size:           8
        .value_kind:     global_buffer
      - .actual_access:  read_only
        .address_space:  global
        .offset:         8
        .size:           8
        .value_kind:     global_buffer
      - .actual_access:  write_only
        .address_space:  global
        .offset:         16
        .size:           8
        .value_kind:     global_buffer
      - .actual_access:  write_only
        .address_space:  global
        .offset:         24
        .size:           8
        .value_kind:     global_buffer
      - .actual_access:  read_only
        .address_space:  global
        .offset:         32
        .size:           8
        .value_kind:     global_buffer
      - .actual_access:  read_only
        .address_space:  global
        .offset:         40
        .size:           8
        .value_kind:     global_buffer
      - .actual_access:  read_only
        .address_space:  global
        .offset:         48
        .size:           8
        .value_kind:     global_buffer
      - .actual_access:  read_only
        .address_space:  global
        .offset:         56
        .size:           8
        .value_kind:     global_buffer
      - .actual_access:  read_only
        .address_space:  global
        .offset:         64
        .size:           8
        .value_kind:     global_buffer
      - .actual_access:  read_only
        .address_space:  global
        .offset:         72
        .size:           8
        .value_kind:     global_buffer
      - .offset:         80
        .size:           4
        .value_kind:     by_value
      - .offset:         84
        .size:           4
        .value_kind:     by_value
      - .offset:         88
        .size:           4
        .value_kind:     by_value
      - .offset:         92
        .size:           4
        .value_kind:     by_value
      - .offset:         96
        .size:           4
        .value_kind:     by_value
      - .offset:         100
        .size:           4
        .value_kind:     by_value
      - .offset:         104
        .size:           4
        .value_kind:     by_value
      - .offset:         108
        .size:           4
        .value_kind:     by_value
      - .offset:         112
        .size:           4
        .value_kind:     by_value
      - .offset:         116
        .size:           4
        .value_kind:     by_value
      - .offset:         120
        .size:           4
        .value_kind:     by_value
      - .offset:         124
        .size:           4
        .value_kind:     by_value
      - .offset:         128
        .size:           4
        .value_kind:     by_value
      - .offset:         132
        .size:           4
        .value_kind:     by_value
      - .offset:         136
        .size:           4
        .value_kind:     by_value
      - .offset:         144
        .size:           4
        .value_kind:     hidden_block_count_x
      - .offset:         148
        .size:           4
        .value_kind:     hidden_block_count_y
      - .offset:         152
        .size:           4
        .value_kind:     hidden_block_count_z
      - .offset:         156
        .size:           2
        .value_kind:     hidden_group_size_x
      - .offset:         158
        .size:           2
        .value_kind:     hidden_group_size_y
      - .offset:         160
        .size:           2
        .value_kind:     hidden_group_size_z
      - .offset:         162
        .size:           2
        .value_kind:     hidden_remainder_x
      - .offset:         164
        .size:           2
        .value_kind:     hidden_remainder_y
      - .offset:         166
        .size:           2
        .value_kind:     hidden_remainder_z
      - .offset:         184
        .size:           8
        .value_kind:     hidden_global_offset_x
      - .offset:         192
        .size:           8
        .value_kind:     hidden_global_offset_y
      - .offset:         200
        .size:           8
        .value_kind:     hidden_global_offset_z
      - .offset:         208
        .size:           2
        .value_kind:     hidden_grid_dims
    .group_segment_fixed_size: 32
    .kernarg_segment_align: 8
    .kernarg_segment_size: 400
    .language:       OpenCL C
    .language_version:
      - 2
      - 0
    .max_flat_workgroup_size: 1024
    .name:           _ZN5aiter35fused_qk_rmsnorm_group_quant_kernelItDB8_Li256ELi8ELi4ELb0ELb1ELb1ELb1ELb0ELb0EEEvPT0_PvPT_S6_S6_PKS5_S8_S8_S8_S8_ffiiiiiiiiiiiii
    .private_segment_fixed_size: 0
    .sgpr_count:     36
    .sgpr_spill_count: 0
    .symbol:         _ZN5aiter35fused_qk_rmsnorm_group_quant_kernelItDB8_Li256ELi8ELi4ELb0ELb1ELb1ELb1ELb0ELb0EEEvPT0_PvPT_S6_S6_PKS5_S8_S8_S8_S8_ffiiiiiiiiiiiii.kd
    .uniform_work_group_size: 1
    .uses_dynamic_stack: false
    .vgpr_count:     23
    .vgpr_spill_count: 0
    .wavefront_size: 64
  - .agpr_count:     0
    .args:
      - .actual_access:  read_only
        .address_space:  global
        .offset:         0
        .size:           8
        .value_kind:     global_buffer
      - .actual_access:  read_only
        .address_space:  global
        .offset:         8
        .size:           8
        .value_kind:     global_buffer
      - .actual_access:  write_only
        .address_space:  global
        .offset:         16
        .size:           8
        .value_kind:     global_buffer
      - .actual_access:  write_only
        .address_space:  global
        .offset:         24
        .size:           8
        .value_kind:     global_buffer
      - .actual_access:  read_only
        .address_space:  global
        .offset:         32
        .size:           8
        .value_kind:     global_buffer
      - .actual_access:  read_only
        .address_space:  global
        .offset:         40
        .size:           8
        .value_kind:     global_buffer
      - .actual_access:  read_only
        .address_space:  global
        .offset:         48
        .size:           8
        .value_kind:     global_buffer
      - .actual_access:  read_only
        .address_space:  global
        .offset:         56
        .size:           8
        .value_kind:     global_buffer
      - .actual_access:  read_only
        .address_space:  global
        .offset:         64
        .size:           8
        .value_kind:     global_buffer
      - .actual_access:  read_only
        .address_space:  global
        .offset:         72
        .size:           8
        .value_kind:     global_buffer
      - .offset:         80
        .size:           4
        .value_kind:     by_value
      - .offset:         84
        .size:           4
        .value_kind:     by_value
      - .offset:         88
        .size:           4
        .value_kind:     by_value
      - .offset:         92
        .size:           4
        .value_kind:     by_value
      - .offset:         96
        .size:           4
        .value_kind:     by_value
      - .offset:         100
        .size:           4
        .value_kind:     by_value
      - .offset:         104
        .size:           4
        .value_kind:     by_value
      - .offset:         108
        .size:           4
        .value_kind:     by_value
      - .offset:         112
        .size:           4
        .value_kind:     by_value
      - .offset:         116
        .size:           4
        .value_kind:     by_value
      - .offset:         120
        .size:           4
        .value_kind:     by_value
      - .offset:         124
        .size:           4
        .value_kind:     by_value
      - .offset:         128
        .size:           4
        .value_kind:     by_value
      - .offset:         132
        .size:           4
        .value_kind:     by_value
      - .offset:         136
        .size:           4
        .value_kind:     by_value
      - .offset:         144
        .size:           4
        .value_kind:     hidden_block_count_x
      - .offset:         148
        .size:           4
        .value_kind:     hidden_block_count_y
      - .offset:         152
        .size:           4
        .value_kind:     hidden_block_count_z
      - .offset:         156
        .size:           2
        .value_kind:     hidden_group_size_x
      - .offset:         158
        .size:           2
        .value_kind:     hidden_group_size_y
      - .offset:         160
        .size:           2
        .value_kind:     hidden_group_size_z
      - .offset:         162
        .size:           2
        .value_kind:     hidden_remainder_x
      - .offset:         164
        .size:           2
        .value_kind:     hidden_remainder_y
      - .offset:         166
        .size:           2
        .value_kind:     hidden_remainder_z
      - .offset:         184
        .size:           8
        .value_kind:     hidden_global_offset_x
      - .offset:         192
        .size:           8
        .value_kind:     hidden_global_offset_y
      - .offset:         200
        .size:           8
        .value_kind:     hidden_global_offset_z
      - .offset:         208
        .size:           2
        .value_kind:     hidden_grid_dims
    .group_segment_fixed_size: 32
    .kernarg_segment_align: 8
    .kernarg_segment_size: 400
    .language:       OpenCL C
    .language_version:
      - 2
      - 0
    .max_flat_workgroup_size: 1024
    .name:           _ZN5aiter35fused_qk_rmsnorm_group_quant_kernelIDF16_N4opus5fp4_tELi256ELi8ELi4ELb0ELb1ELb1ELb1ELb0ELb0EEEvPT0_PvPT_S7_S7_PKS6_S9_S9_S9_S9_ffiiiiiiiiiiiii
    .private_segment_fixed_size: 0
    .sgpr_count:     36
    .sgpr_spill_count: 0
    .symbol:         _ZN5aiter35fused_qk_rmsnorm_group_quant_kernelIDF16_N4opus5fp4_tELi256ELi8ELi4ELb0ELb1ELb1ELb1ELb0ELb0EEEvPT0_PvPT_S7_S7_PKS6_S9_S9_S9_S9_ffiiiiiiiiiiiii.kd
    .uniform_work_group_size: 1
    .uses_dynamic_stack: false
    .vgpr_count:     23
    .vgpr_spill_count: 0
    .wavefront_size: 64
  - .agpr_count:     0
    .args:
      - .actual_access:  read_only
        .address_space:  global
        .offset:         0
        .size:           8
        .value_kind:     global_buffer
      - .actual_access:  read_only
        .address_space:  global
        .offset:         8
        .size:           8
        .value_kind:     global_buffer
      - .actual_access:  write_only
        .address_space:  global
        .offset:         16
        .size:           8
        .value_kind:     global_buffer
      - .actual_access:  write_only
        .address_space:  global
        .offset:         24
        .size:           8
        .value_kind:     global_buffer
      - .actual_access:  read_only
        .address_space:  global
        .offset:         32
        .size:           8
        .value_kind:     global_buffer
      - .actual_access:  read_only
        .address_space:  global
        .offset:         40
        .size:           8
        .value_kind:     global_buffer
      - .actual_access:  read_only
        .address_space:  global
        .offset:         48
        .size:           8
        .value_kind:     global_buffer
      - .actual_access:  read_only
        .address_space:  global
        .offset:         56
        .size:           8
        .value_kind:     global_buffer
      - .actual_access:  read_only
        .address_space:  global
        .offset:         64
        .size:           8
        .value_kind:     global_buffer
      - .actual_access:  read_only
        .address_space:  global
        .offset:         72
        .size:           8
        .value_kind:     global_buffer
      - .offset:         80
        .size:           4
        .value_kind:     by_value
      - .offset:         84
        .size:           4
        .value_kind:     by_value
      - .offset:         88
        .size:           4
        .value_kind:     by_value
      - .offset:         92
        .size:           4
        .value_kind:     by_value
      - .offset:         96
        .size:           4
        .value_kind:     by_value
      - .offset:         100
        .size:           4
        .value_kind:     by_value
      - .offset:         104
        .size:           4
        .value_kind:     by_value
      - .offset:         108
        .size:           4
        .value_kind:     by_value
      - .offset:         112
        .size:           4
        .value_kind:     by_value
      - .offset:         116
        .size:           4
        .value_kind:     by_value
      - .offset:         120
        .size:           4
        .value_kind:     by_value
      - .offset:         124
        .size:           4
        .value_kind:     by_value
      - .offset:         128
        .size:           4
        .value_kind:     by_value
      - .offset:         132
        .size:           4
        .value_kind:     by_value
      - .offset:         136
        .size:           4
        .value_kind:     by_value
      - .offset:         144
        .size:           4
        .value_kind:     hidden_block_count_x
      - .offset:         148
        .size:           4
        .value_kind:     hidden_block_count_y
      - .offset:         152
        .size:           4
        .value_kind:     hidden_block_count_z
      - .offset:         156
        .size:           2
        .value_kind:     hidden_group_size_x
      - .offset:         158
        .size:           2
        .value_kind:     hidden_group_size_y
      - .offset:         160
        .size:           2
        .value_kind:     hidden_group_size_z
      - .offset:         162
        .size:           2
        .value_kind:     hidden_remainder_x
      - .offset:         164
        .size:           2
        .value_kind:     hidden_remainder_y
      - .offset:         166
        .size:           2
        .value_kind:     hidden_remainder_z
      - .offset:         184
        .size:           8
        .value_kind:     hidden_global_offset_x
      - .offset:         192
        .size:           8
        .value_kind:     hidden_global_offset_y
      - .offset:         200
        .size:           8
        .value_kind:     hidden_global_offset_z
      - .offset:         208
        .size:           2
        .value_kind:     hidden_grid_dims
    .group_segment_fixed_size: 32
    .kernarg_segment_align: 8
    .kernarg_segment_size: 400
    .language:       OpenCL C
    .language_version:
      - 2
      - 0
    .max_flat_workgroup_size: 1024
    .name:           _ZN5aiter35fused_qk_rmsnorm_group_quant_kernelItN4opus5fp4_tELi256ELi8ELi4ELb0ELb1ELb1ELb1ELb0ELb0EEEvPT0_PvPT_S7_S7_PKS6_S9_S9_S9_S9_ffiiiiiiiiiiiii
    .private_segment_fixed_size: 0
    .sgpr_count:     36
    .sgpr_spill_count: 0
    .symbol:         _ZN5aiter35fused_qk_rmsnorm_group_quant_kernelItN4opus5fp4_tELi256ELi8ELi4ELb0ELb1ELb1ELb1ELb0ELb0EEEvPT0_PvPT_S7_S7_PKS6_S9_S9_S9_S9_ffiiiiiiiiiiiii.kd
    .uniform_work_group_size: 1
    .uses_dynamic_stack: false
    .vgpr_count:     23
    .vgpr_spill_count: 0
    .wavefront_size: 64
  - .agpr_count:     0
    .args:
      - .actual_access:  read_only
        .address_space:  global
        .offset:         0
        .size:           8
        .value_kind:     global_buffer
      - .actual_access:  read_only
        .address_space:  global
        .offset:         8
        .size:           8
        .value_kind:     global_buffer
      - .actual_access:  write_only
        .address_space:  global
        .offset:         16
        .size:           8
        .value_kind:     global_buffer
      - .actual_access:  write_only
        .address_space:  global
        .offset:         24
        .size:           8
        .value_kind:     global_buffer
      - .actual_access:  read_only
        .address_space:  global
        .offset:         32
        .size:           8
        .value_kind:     global_buffer
      - .actual_access:  read_only
        .address_space:  global
        .offset:         40
        .size:           8
        .value_kind:     global_buffer
      - .actual_access:  read_only
        .address_space:  global
        .offset:         48
        .size:           8
        .value_kind:     global_buffer
      - .actual_access:  read_only
        .address_space:  global
        .offset:         56
        .size:           8
        .value_kind:     global_buffer
      - .actual_access:  read_only
        .address_space:  global
        .offset:         64
        .size:           8
        .value_kind:     global_buffer
      - .actual_access:  read_only
        .address_space:  global
        .offset:         72
        .size:           8
        .value_kind:     global_buffer
      - .offset:         80
        .size:           4
        .value_kind:     by_value
      - .offset:         84
        .size:           4
        .value_kind:     by_value
      - .offset:         88
        .size:           4
        .value_kind:     by_value
      - .offset:         92
        .size:           4
        .value_kind:     by_value
      - .offset:         96
        .size:           4
        .value_kind:     by_value
      - .offset:         100
        .size:           4
        .value_kind:     by_value
      - .offset:         104
        .size:           4
        .value_kind:     by_value
      - .offset:         108
        .size:           4
        .value_kind:     by_value
      - .offset:         112
        .size:           4
        .value_kind:     by_value
      - .offset:         116
        .size:           4
        .value_kind:     by_value
      - .offset:         120
        .size:           4
        .value_kind:     by_value
      - .offset:         124
        .size:           4
        .value_kind:     by_value
      - .offset:         128
        .size:           4
        .value_kind:     by_value
      - .offset:         132
        .size:           4
        .value_kind:     by_value
      - .offset:         136
        .size:           4
        .value_kind:     by_value
      - .offset:         144
        .size:           4
        .value_kind:     hidden_block_count_x
      - .offset:         148
        .size:           4
        .value_kind:     hidden_block_count_y
      - .offset:         152
        .size:           4
        .value_kind:     hidden_block_count_z
      - .offset:         156
        .size:           2
        .value_kind:     hidden_group_size_x
      - .offset:         158
        .size:           2
        .value_kind:     hidden_group_size_y
      - .offset:         160
        .size:           2
        .value_kind:     hidden_group_size_z
      - .offset:         162
        .size:           2
        .value_kind:     hidden_remainder_x
      - .offset:         164
        .size:           2
        .value_kind:     hidden_remainder_y
      - .offset:         166
        .size:           2
        .value_kind:     hidden_remainder_z
      - .offset:         184
        .size:           8
        .value_kind:     hidden_global_offset_x
      - .offset:         192
        .size:           8
        .value_kind:     hidden_global_offset_y
      - .offset:         200
        .size:           8
        .value_kind:     hidden_global_offset_z
      - .offset:         208
        .size:           2
        .value_kind:     hidden_grid_dims
    .group_segment_fixed_size: 32
    .kernarg_segment_align: 8
    .kernarg_segment_size: 400
    .language:       OpenCL C
    .language_version:
      - 2
      - 0
    .max_flat_workgroup_size: 1024
    .name:           _ZN5aiter35fused_qk_rmsnorm_group_quant_kernelIDF16_DB8_Li256ELi8ELi4ELb0ELb1ELb0ELb1ELb0ELb0EEEvPT0_PvPT_S6_S6_PKS5_S8_S8_S8_S8_ffiiiiiiiiiiiii
    .private_segment_fixed_size: 0
    .sgpr_count:     36
    .sgpr_spill_count: 0
    .symbol:         _ZN5aiter35fused_qk_rmsnorm_group_quant_kernelIDF16_DB8_Li256ELi8ELi4ELb0ELb1ELb0ELb1ELb0ELb0EEEvPT0_PvPT_S6_S6_PKS5_S8_S8_S8_S8_ffiiiiiiiiiiiii.kd
    .uniform_work_group_size: 1
    .uses_dynamic_stack: false
    .vgpr_count:     23
    .vgpr_spill_count: 0
    .wavefront_size: 64
  - .agpr_count:     0
    .args:
      - .actual_access:  read_only
        .address_space:  global
        .offset:         0
        .size:           8
        .value_kind:     global_buffer
      - .actual_access:  read_only
        .address_space:  global
        .offset:         8
        .size:           8
        .value_kind:     global_buffer
      - .actual_access:  write_only
        .address_space:  global
        .offset:         16
        .size:           8
        .value_kind:     global_buffer
      - .actual_access:  write_only
        .address_space:  global
        .offset:         24
        .size:           8
        .value_kind:     global_buffer
      - .actual_access:  read_only
        .address_space:  global
        .offset:         32
        .size:           8
        .value_kind:     global_buffer
      - .actual_access:  read_only
        .address_space:  global
        .offset:         40
        .size:           8
        .value_kind:     global_buffer
      - .actual_access:  read_only
        .address_space:  global
        .offset:         48
        .size:           8
        .value_kind:     global_buffer
      - .actual_access:  read_only
        .address_space:  global
        .offset:         56
        .size:           8
        .value_kind:     global_buffer
      - .actual_access:  read_only
        .address_space:  global
        .offset:         64
        .size:           8
        .value_kind:     global_buffer
      - .actual_access:  read_only
        .address_space:  global
        .offset:         72
        .size:           8
        .value_kind:     global_buffer
      - .offset:         80
        .size:           4
        .value_kind:     by_value
      - .offset:         84
        .size:           4
        .value_kind:     by_value
      - .offset:         88
        .size:           4
        .value_kind:     by_value
      - .offset:         92
        .size:           4
        .value_kind:     by_value
      - .offset:         96
        .size:           4
        .value_kind:     by_value
      - .offset:         100
        .size:           4
        .value_kind:     by_value
      - .offset:         104
        .size:           4
        .value_kind:     by_value
      - .offset:         108
        .size:           4
        .value_kind:     by_value
      - .offset:         112
        .size:           4
        .value_kind:     by_value
      - .offset:         116
        .size:           4
        .value_kind:     by_value
      - .offset:         120
        .size:           4
        .value_kind:     by_value
      - .offset:         124
        .size:           4
        .value_kind:     by_value
      - .offset:         128
        .size:           4
        .value_kind:     by_value
      - .offset:         132
        .size:           4
        .value_kind:     by_value
      - .offset:         136
        .size:           4
        .value_kind:     by_value
      - .offset:         144
        .size:           4
        .value_kind:     hidden_block_count_x
      - .offset:         148
        .size:           4
        .value_kind:     hidden_block_count_y
      - .offset:         152
        .size:           4
        .value_kind:     hidden_block_count_z
      - .offset:         156
        .size:           2
        .value_kind:     hidden_group_size_x
      - .offset:         158
        .size:           2
        .value_kind:     hidden_group_size_y
      - .offset:         160
        .size:           2
        .value_kind:     hidden_group_size_z
      - .offset:         162
        .size:           2
        .value_kind:     hidden_remainder_x
      - .offset:         164
        .size:           2
        .value_kind:     hidden_remainder_y
      - .offset:         166
        .size:           2
        .value_kind:     hidden_remainder_z
      - .offset:         184
        .size:           8
        .value_kind:     hidden_global_offset_x
      - .offset:         192
        .size:           8
        .value_kind:     hidden_global_offset_y
      - .offset:         200
        .size:           8
        .value_kind:     hidden_global_offset_z
      - .offset:         208
        .size:           2
        .value_kind:     hidden_grid_dims
    .group_segment_fixed_size: 32
    .kernarg_segment_align: 8
    .kernarg_segment_size: 400
    .language:       OpenCL C
    .language_version:
      - 2
      - 0
    .max_flat_workgroup_size: 1024
    .name:           _ZN5aiter35fused_qk_rmsnorm_group_quant_kernelItDB8_Li256ELi8ELi4ELb0ELb1ELb0ELb1ELb0ELb0EEEvPT0_PvPT_S6_S6_PKS5_S8_S8_S8_S8_ffiiiiiiiiiiiii
    .private_segment_fixed_size: 0
    .sgpr_count:     36
    .sgpr_spill_count: 0
    .symbol:         _ZN5aiter35fused_qk_rmsnorm_group_quant_kernelItDB8_Li256ELi8ELi4ELb0ELb1ELb0ELb1ELb0ELb0EEEvPT0_PvPT_S6_S6_PKS5_S8_S8_S8_S8_ffiiiiiiiiiiiii.kd
    .uniform_work_group_size: 1
    .uses_dynamic_stack: false
    .vgpr_count:     23
    .vgpr_spill_count: 0
    .wavefront_size: 64
  - .agpr_count:     0
    .args:
      - .actual_access:  read_only
        .address_space:  global
        .offset:         0
        .size:           8
        .value_kind:     global_buffer
      - .actual_access:  read_only
        .address_space:  global
        .offset:         8
        .size:           8
        .value_kind:     global_buffer
      - .actual_access:  write_only
        .address_space:  global
        .offset:         16
        .size:           8
        .value_kind:     global_buffer
      - .actual_access:  write_only
        .address_space:  global
        .offset:         24
        .size:           8
        .value_kind:     global_buffer
      - .actual_access:  read_only
        .address_space:  global
        .offset:         32
        .size:           8
        .value_kind:     global_buffer
      - .actual_access:  read_only
        .address_space:  global
        .offset:         40
        .size:           8
        .value_kind:     global_buffer
      - .actual_access:  read_only
        .address_space:  global
        .offset:         48
        .size:           8
        .value_kind:     global_buffer
      - .actual_access:  read_only
        .address_space:  global
        .offset:         56
        .size:           8
        .value_kind:     global_buffer
      - .actual_access:  read_only
        .address_space:  global
        .offset:         64
        .size:           8
        .value_kind:     global_buffer
      - .actual_access:  read_only
        .address_space:  global
        .offset:         72
        .size:           8
        .value_kind:     global_buffer
      - .offset:         80
        .size:           4
        .value_kind:     by_value
      - .offset:         84
        .size:           4
        .value_kind:     by_value
      - .offset:         88
        .size:           4
        .value_kind:     by_value
      - .offset:         92
        .size:           4
        .value_kind:     by_value
      - .offset:         96
        .size:           4
        .value_kind:     by_value
      - .offset:         100
        .size:           4
        .value_kind:     by_value
      - .offset:         104
        .size:           4
        .value_kind:     by_value
      - .offset:         108
        .size:           4
        .value_kind:     by_value
      - .offset:         112
        .size:           4
        .value_kind:     by_value
      - .offset:         116
        .size:           4
        .value_kind:     by_value
      - .offset:         120
        .size:           4
        .value_kind:     by_value
      - .offset:         124
        .size:           4
        .value_kind:     by_value
      - .offset:         128
        .size:           4
        .value_kind:     by_value
      - .offset:         132
        .size:           4
        .value_kind:     by_value
      - .offset:         136
        .size:           4
        .value_kind:     by_value
      - .offset:         144
        .size:           4
        .value_kind:     hidden_block_count_x
      - .offset:         148
        .size:           4
        .value_kind:     hidden_block_count_y
      - .offset:         152
        .size:           4
        .value_kind:     hidden_block_count_z
      - .offset:         156
        .size:           2
        .value_kind:     hidden_group_size_x
      - .offset:         158
        .size:           2
        .value_kind:     hidden_group_size_y
      - .offset:         160
        .size:           2
        .value_kind:     hidden_group_size_z
      - .offset:         162
        .size:           2
        .value_kind:     hidden_remainder_x
      - .offset:         164
        .size:           2
        .value_kind:     hidden_remainder_y
      - .offset:         166
        .size:           2
        .value_kind:     hidden_remainder_z
      - .offset:         184
        .size:           8
        .value_kind:     hidden_global_offset_x
      - .offset:         192
        .size:           8
        .value_kind:     hidden_global_offset_y
      - .offset:         200
        .size:           8
        .value_kind:     hidden_global_offset_z
      - .offset:         208
        .size:           2
        .value_kind:     hidden_grid_dims
    .group_segment_fixed_size: 32
    .kernarg_segment_align: 8
    .kernarg_segment_size: 400
    .language:       OpenCL C
    .language_version:
      - 2
      - 0
    .max_flat_workgroup_size: 1024
    .name:           _ZN5aiter35fused_qk_rmsnorm_group_quant_kernelIDF16_N4opus5fp4_tELi256ELi8ELi4ELb0ELb1ELb0ELb1ELb0ELb0EEEvPT0_PvPT_S7_S7_PKS6_S9_S9_S9_S9_ffiiiiiiiiiiiii
    .private_segment_fixed_size: 0
    .sgpr_count:     36
    .sgpr_spill_count: 0
    .symbol:         _ZN5aiter35fused_qk_rmsnorm_group_quant_kernelIDF16_N4opus5fp4_tELi256ELi8ELi4ELb0ELb1ELb0ELb1ELb0ELb0EEEvPT0_PvPT_S7_S7_PKS6_S9_S9_S9_S9_ffiiiiiiiiiiiii.kd
    .uniform_work_group_size: 1
    .uses_dynamic_stack: false
    .vgpr_count:     23
    .vgpr_spill_count: 0
    .wavefront_size: 64
  - .agpr_count:     0
    .args:
      - .actual_access:  read_only
        .address_space:  global
        .offset:         0
        .size:           8
        .value_kind:     global_buffer
      - .actual_access:  read_only
        .address_space:  global
        .offset:         8
        .size:           8
        .value_kind:     global_buffer
      - .actual_access:  write_only
        .address_space:  global
        .offset:         16
        .size:           8
        .value_kind:     global_buffer
      - .actual_access:  write_only
        .address_space:  global
        .offset:         24
        .size:           8
        .value_kind:     global_buffer
      - .actual_access:  read_only
        .address_space:  global
        .offset:         32
        .size:           8
        .value_kind:     global_buffer
      - .actual_access:  read_only
        .address_space:  global
        .offset:         40
        .size:           8
        .value_kind:     global_buffer
      - .actual_access:  read_only
        .address_space:  global
        .offset:         48
        .size:           8
        .value_kind:     global_buffer
      - .actual_access:  read_only
        .address_space:  global
        .offset:         56
        .size:           8
        .value_kind:     global_buffer
      - .actual_access:  read_only
        .address_space:  global
        .offset:         64
        .size:           8
        .value_kind:     global_buffer
      - .actual_access:  read_only
        .address_space:  global
        .offset:         72
        .size:           8
        .value_kind:     global_buffer
      - .offset:         80
        .size:           4
        .value_kind:     by_value
      - .offset:         84
        .size:           4
        .value_kind:     by_value
      - .offset:         88
        .size:           4
        .value_kind:     by_value
      - .offset:         92
        .size:           4
        .value_kind:     by_value
      - .offset:         96
        .size:           4
        .value_kind:     by_value
      - .offset:         100
        .size:           4
        .value_kind:     by_value
      - .offset:         104
        .size:           4
        .value_kind:     by_value
      - .offset:         108
        .size:           4
        .value_kind:     by_value
      - .offset:         112
        .size:           4
        .value_kind:     by_value
      - .offset:         116
        .size:           4
        .value_kind:     by_value
      - .offset:         120
        .size:           4
        .value_kind:     by_value
      - .offset:         124
        .size:           4
        .value_kind:     by_value
      - .offset:         128
        .size:           4
        .value_kind:     by_value
      - .offset:         132
        .size:           4
        .value_kind:     by_value
      - .offset:         136
        .size:           4
        .value_kind:     by_value
      - .offset:         144
        .size:           4
        .value_kind:     hidden_block_count_x
      - .offset:         148
        .size:           4
        .value_kind:     hidden_block_count_y
      - .offset:         152
        .size:           4
        .value_kind:     hidden_block_count_z
      - .offset:         156
        .size:           2
        .value_kind:     hidden_group_size_x
      - .offset:         158
        .size:           2
        .value_kind:     hidden_group_size_y
      - .offset:         160
        .size:           2
        .value_kind:     hidden_group_size_z
      - .offset:         162
        .size:           2
        .value_kind:     hidden_remainder_x
      - .offset:         164
        .size:           2
        .value_kind:     hidden_remainder_y
      - .offset:         166
        .size:           2
        .value_kind:     hidden_remainder_z
      - .offset:         184
        .size:           8
        .value_kind:     hidden_global_offset_x
      - .offset:         192
        .size:           8
        .value_kind:     hidden_global_offset_y
      - .offset:         200
        .size:           8
        .value_kind:     hidden_global_offset_z
      - .offset:         208
        .size:           2
        .value_kind:     hidden_grid_dims
    .group_segment_fixed_size: 32
    .kernarg_segment_align: 8
    .kernarg_segment_size: 400
    .language:       OpenCL C
    .language_version:
      - 2
      - 0
    .max_flat_workgroup_size: 1024
    .name:           _ZN5aiter35fused_qk_rmsnorm_group_quant_kernelItN4opus5fp4_tELi256ELi8ELi4ELb0ELb1ELb0ELb1ELb0ELb0EEEvPT0_PvPT_S7_S7_PKS6_S9_S9_S9_S9_ffiiiiiiiiiiiii
    .private_segment_fixed_size: 0
    .sgpr_count:     36
    .sgpr_spill_count: 0
    .symbol:         _ZN5aiter35fused_qk_rmsnorm_group_quant_kernelItN4opus5fp4_tELi256ELi8ELi4ELb0ELb1ELb0ELb1ELb0ELb0EEEvPT0_PvPT_S7_S7_PKS6_S9_S9_S9_S9_ffiiiiiiiiiiiii.kd
    .uniform_work_group_size: 1
    .uses_dynamic_stack: false
    .vgpr_count:     23
    .vgpr_spill_count: 0
    .wavefront_size: 64
  - .agpr_count:     0
    .args:
      - .actual_access:  write_only
        .address_space:  global
        .offset:         0
        .size:           8
        .value_kind:     global_buffer
      - .actual_access:  write_only
        .address_space:  global
        .offset:         8
        .size:           8
        .value_kind:     global_buffer
      - .actual_access:  write_only
        .address_space:  global
        .offset:         16
        .size:           8
        .value_kind:     global_buffer
      - .actual_access:  write_only
        .address_space:  global
        .offset:         24
        .size:           8
        .value_kind:     global_buffer
      - .actual_access:  write_only
        .address_space:  global
        .offset:         32
        .size:           8
        .value_kind:     global_buffer
      - .actual_access:  read_only
        .address_space:  global
        .offset:         40
        .size:           8
        .value_kind:     global_buffer
      - .actual_access:  read_only
        .address_space:  global
        .offset:         48
        .size:           8
        .value_kind:     global_buffer
      - .actual_access:  read_only
        .address_space:  global
        .offset:         56
        .size:           8
        .value_kind:     global_buffer
      - .actual_access:  read_only
        .address_space:  global
        .offset:         64
        .size:           8
        .value_kind:     global_buffer
      - .actual_access:  read_only
        .address_space:  global
        .offset:         72
        .size:           8
        .value_kind:     global_buffer
      - .offset:         80
        .size:           4
        .value_kind:     by_value
      - .offset:         84
        .size:           4
        .value_kind:     by_value
      - .offset:         88
        .size:           4
        .value_kind:     by_value
      - .offset:         92
        .size:           4
        .value_kind:     by_value
      - .offset:         96
        .size:           4
        .value_kind:     by_value
      - .offset:         100
        .size:           4
        .value_kind:     by_value
      - .offset:         104
        .size:           4
        .value_kind:     by_value
      - .offset:         108
        .size:           4
        .value_kind:     by_value
      - .offset:         112
        .size:           4
        .value_kind:     by_value
      - .offset:         116
        .size:           4
        .value_kind:     by_value
      - .offset:         120
        .size:           4
        .value_kind:     by_value
      - .offset:         124
        .size:           4
        .value_kind:     by_value
      - .offset:         128
        .size:           4
        .value_kind:     by_value
      - .offset:         132
        .size:           4
        .value_kind:     by_value
      - .offset:         136
        .size:           4
        .value_kind:     by_value
      - .offset:         144
        .size:           4
        .value_kind:     hidden_block_count_x
      - .offset:         148
        .size:           4
        .value_kind:     hidden_block_count_y
      - .offset:         152
        .size:           4
        .value_kind:     hidden_block_count_z
      - .offset:         156
        .size:           2
        .value_kind:     hidden_group_size_x
      - .offset:         158
        .size:           2
        .value_kind:     hidden_group_size_y
      - .offset:         160
        .size:           2
        .value_kind:     hidden_group_size_z
      - .offset:         162
        .size:           2
        .value_kind:     hidden_remainder_x
      - .offset:         164
        .size:           2
        .value_kind:     hidden_remainder_y
      - .offset:         166
        .size:           2
        .value_kind:     hidden_remainder_z
      - .offset:         184
        .size:           8
        .value_kind:     hidden_global_offset_x
      - .offset:         192
        .size:           8
        .value_kind:     hidden_global_offset_y
      - .offset:         200
        .size:           8
        .value_kind:     hidden_global_offset_z
      - .offset:         208
        .size:           2
        .value_kind:     hidden_grid_dims
    .group_segment_fixed_size: 32
    .kernarg_segment_align: 8
    .kernarg_segment_size: 400
    .language:       OpenCL C
    .language_version:
      - 2
      - 0
    .max_flat_workgroup_size: 1024
    .name:           _ZN5aiter35fused_qk_rmsnorm_group_quant_kernelIDF16_DB8_Li256ELi8ELi4ELb1ELb1ELb1ELb0ELb0ELb0EEEvPT0_PvPT_S6_S6_PKS5_S8_S8_S8_S8_ffiiiiiiiiiiiii
    .private_segment_fixed_size: 0
    .sgpr_count:     48
    .sgpr_spill_count: 0
    .symbol:         _ZN5aiter35fused_qk_rmsnorm_group_quant_kernelIDF16_DB8_Li256ELi8ELi4ELb1ELb1ELb1ELb0ELb0ELb0EEEvPT0_PvPT_S6_S6_PKS5_S8_S8_S8_S8_ffiiiiiiiiiiiii.kd
    .uniform_work_group_size: 1
    .uses_dynamic_stack: false
    .vgpr_count:     31
    .vgpr_spill_count: 0
    .wavefront_size: 64
  - .agpr_count:     0
    .args:
      - .actual_access:  write_only
        .address_space:  global
        .offset:         0
        .size:           8
        .value_kind:     global_buffer
      - .actual_access:  write_only
        .address_space:  global
        .offset:         8
        .size:           8
        .value_kind:     global_buffer
      - .actual_access:  write_only
        .address_space:  global
        .offset:         16
        .size:           8
        .value_kind:     global_buffer
      - .actual_access:  write_only
        .address_space:  global
        .offset:         24
        .size:           8
        .value_kind:     global_buffer
      - .actual_access:  write_only
        .address_space:  global
        .offset:         32
        .size:           8
        .value_kind:     global_buffer
      - .actual_access:  read_only
        .address_space:  global
        .offset:         40
        .size:           8
        .value_kind:     global_buffer
      - .actual_access:  read_only
        .address_space:  global
        .offset:         48
        .size:           8
        .value_kind:     global_buffer
      - .actual_access:  read_only
        .address_space:  global
        .offset:         56
        .size:           8
        .value_kind:     global_buffer
      - .actual_access:  read_only
        .address_space:  global
        .offset:         64
        .size:           8
        .value_kind:     global_buffer
      - .actual_access:  read_only
        .address_space:  global
        .offset:         72
        .size:           8
        .value_kind:     global_buffer
      - .offset:         80
        .size:           4
        .value_kind:     by_value
      - .offset:         84
        .size:           4
        .value_kind:     by_value
      - .offset:         88
        .size:           4
        .value_kind:     by_value
      - .offset:         92
        .size:           4
        .value_kind:     by_value
      - .offset:         96
        .size:           4
        .value_kind:     by_value
      - .offset:         100
        .size:           4
        .value_kind:     by_value
      - .offset:         104
        .size:           4
        .value_kind:     by_value
      - .offset:         108
        .size:           4
        .value_kind:     by_value
      - .offset:         112
        .size:           4
        .value_kind:     by_value
      - .offset:         116
        .size:           4
        .value_kind:     by_value
      - .offset:         120
        .size:           4
        .value_kind:     by_value
      - .offset:         124
        .size:           4
        .value_kind:     by_value
      - .offset:         128
        .size:           4
        .value_kind:     by_value
      - .offset:         132
        .size:           4
        .value_kind:     by_value
      - .offset:         136
        .size:           4
        .value_kind:     by_value
      - .offset:         144
        .size:           4
        .value_kind:     hidden_block_count_x
      - .offset:         148
        .size:           4
        .value_kind:     hidden_block_count_y
      - .offset:         152
        .size:           4
        .value_kind:     hidden_block_count_z
      - .offset:         156
        .size:           2
        .value_kind:     hidden_group_size_x
      - .offset:         158
        .size:           2
        .value_kind:     hidden_group_size_y
      - .offset:         160
        .size:           2
        .value_kind:     hidden_group_size_z
      - .offset:         162
        .size:           2
        .value_kind:     hidden_remainder_x
      - .offset:         164
        .size:           2
        .value_kind:     hidden_remainder_y
      - .offset:         166
        .size:           2
        .value_kind:     hidden_remainder_z
      - .offset:         184
        .size:           8
        .value_kind:     hidden_global_offset_x
      - .offset:         192
        .size:           8
        .value_kind:     hidden_global_offset_y
      - .offset:         200
        .size:           8
        .value_kind:     hidden_global_offset_z
      - .offset:         208
        .size:           2
        .value_kind:     hidden_grid_dims
    .group_segment_fixed_size: 32
    .kernarg_segment_align: 8
    .kernarg_segment_size: 400
    .language:       OpenCL C
    .language_version:
      - 2
      - 0
    .max_flat_workgroup_size: 1024
    .name:           _ZN5aiter35fused_qk_rmsnorm_group_quant_kernelItDB8_Li256ELi8ELi4ELb1ELb1ELb1ELb0ELb0ELb0EEEvPT0_PvPT_S6_S6_PKS5_S8_S8_S8_S8_ffiiiiiiiiiiiii
    .private_segment_fixed_size: 0
    .sgpr_count:     52
    .sgpr_spill_count: 0
    .symbol:         _ZN5aiter35fused_qk_rmsnorm_group_quant_kernelItDB8_Li256ELi8ELi4ELb1ELb1ELb1ELb0ELb0ELb0EEEvPT0_PvPT_S6_S6_PKS5_S8_S8_S8_S8_ffiiiiiiiiiiiii.kd
    .uniform_work_group_size: 1
    .uses_dynamic_stack: false
    .vgpr_count:     27
    .vgpr_spill_count: 0
    .wavefront_size: 64
  - .agpr_count:     0
    .args:
      - .actual_access:  write_only
        .address_space:  global
        .offset:         0
        .size:           8
        .value_kind:     global_buffer
      - .actual_access:  write_only
        .address_space:  global
        .offset:         8
        .size:           8
        .value_kind:     global_buffer
      - .actual_access:  write_only
        .address_space:  global
        .offset:         16
        .size:           8
        .value_kind:     global_buffer
      - .actual_access:  write_only
        .address_space:  global
        .offset:         24
        .size:           8
        .value_kind:     global_buffer
      - .actual_access:  write_only
        .address_space:  global
        .offset:         32
        .size:           8
        .value_kind:     global_buffer
      - .actual_access:  read_only
        .address_space:  global
        .offset:         40
        .size:           8
        .value_kind:     global_buffer
      - .actual_access:  read_only
        .address_space:  global
        .offset:         48
        .size:           8
        .value_kind:     global_buffer
      - .actual_access:  read_only
        .address_space:  global
        .offset:         56
        .size:           8
        .value_kind:     global_buffer
      - .actual_access:  read_only
        .address_space:  global
        .offset:         64
        .size:           8
        .value_kind:     global_buffer
      - .actual_access:  read_only
        .address_space:  global
        .offset:         72
        .size:           8
        .value_kind:     global_buffer
      - .offset:         80
        .size:           4
        .value_kind:     by_value
      - .offset:         84
        .size:           4
        .value_kind:     by_value
      - .offset:         88
        .size:           4
        .value_kind:     by_value
      - .offset:         92
        .size:           4
        .value_kind:     by_value
      - .offset:         96
        .size:           4
        .value_kind:     by_value
      - .offset:         100
        .size:           4
        .value_kind:     by_value
      - .offset:         104
        .size:           4
        .value_kind:     by_value
      - .offset:         108
        .size:           4
        .value_kind:     by_value
      - .offset:         112
        .size:           4
        .value_kind:     by_value
      - .offset:         116
        .size:           4
        .value_kind:     by_value
      - .offset:         120
        .size:           4
        .value_kind:     by_value
      - .offset:         124
        .size:           4
        .value_kind:     by_value
      - .offset:         128
        .size:           4
        .value_kind:     by_value
      - .offset:         132
        .size:           4
        .value_kind:     by_value
      - .offset:         136
        .size:           4
        .value_kind:     by_value
      - .offset:         144
        .size:           4
        .value_kind:     hidden_block_count_x
      - .offset:         148
        .size:           4
        .value_kind:     hidden_block_count_y
      - .offset:         152
        .size:           4
        .value_kind:     hidden_block_count_z
      - .offset:         156
        .size:           2
        .value_kind:     hidden_group_size_x
      - .offset:         158
        .size:           2
        .value_kind:     hidden_group_size_y
      - .offset:         160
        .size:           2
        .value_kind:     hidden_group_size_z
      - .offset:         162
        .size:           2
        .value_kind:     hidden_remainder_x
      - .offset:         164
        .size:           2
        .value_kind:     hidden_remainder_y
      - .offset:         166
        .size:           2
        .value_kind:     hidden_remainder_z
      - .offset:         184
        .size:           8
        .value_kind:     hidden_global_offset_x
      - .offset:         192
        .size:           8
        .value_kind:     hidden_global_offset_y
      - .offset:         200
        .size:           8
        .value_kind:     hidden_global_offset_z
      - .offset:         208
        .size:           2
        .value_kind:     hidden_grid_dims
    .group_segment_fixed_size: 32
    .kernarg_segment_align: 8
    .kernarg_segment_size: 400
    .language:       OpenCL C
    .language_version:
      - 2
      - 0
    .max_flat_workgroup_size: 1024
    .name:           _ZN5aiter35fused_qk_rmsnorm_group_quant_kernelIDF16_N4opus5fp4_tELi256ELi8ELi4ELb1ELb1ELb1ELb0ELb0ELb0EEEvPT0_PvPT_S7_S7_PKS6_S9_S9_S9_S9_ffiiiiiiiiiiiii
    .private_segment_fixed_size: 0
    .sgpr_count:     48
    .sgpr_spill_count: 0
    .symbol:         _ZN5aiter35fused_qk_rmsnorm_group_quant_kernelIDF16_N4opus5fp4_tELi256ELi8ELi4ELb1ELb1ELb1ELb0ELb0ELb0EEEvPT0_PvPT_S7_S7_PKS6_S9_S9_S9_S9_ffiiiiiiiiiiiii.kd
    .uniform_work_group_size: 1
    .uses_dynamic_stack: false
    .vgpr_count:     25
    .vgpr_spill_count: 0
    .wavefront_size: 64
  - .agpr_count:     0
    .args:
      - .actual_access:  write_only
        .address_space:  global
        .offset:         0
        .size:           8
        .value_kind:     global_buffer
      - .actual_access:  write_only
        .address_space:  global
        .offset:         8
        .size:           8
        .value_kind:     global_buffer
      - .actual_access:  write_only
        .address_space:  global
        .offset:         16
        .size:           8
        .value_kind:     global_buffer
      - .actual_access:  write_only
        .address_space:  global
        .offset:         24
        .size:           8
        .value_kind:     global_buffer
      - .actual_access:  write_only
        .address_space:  global
        .offset:         32
        .size:           8
        .value_kind:     global_buffer
      - .actual_access:  read_only
        .address_space:  global
        .offset:         40
        .size:           8
        .value_kind:     global_buffer
      - .actual_access:  read_only
        .address_space:  global
        .offset:         48
        .size:           8
        .value_kind:     global_buffer
      - .actual_access:  read_only
        .address_space:  global
        .offset:         56
        .size:           8
        .value_kind:     global_buffer
      - .actual_access:  read_only
        .address_space:  global
        .offset:         64
        .size:           8
        .value_kind:     global_buffer
      - .actual_access:  read_only
        .address_space:  global
        .offset:         72
        .size:           8
        .value_kind:     global_buffer
      - .offset:         80
        .size:           4
        .value_kind:     by_value
      - .offset:         84
        .size:           4
        .value_kind:     by_value
      - .offset:         88
        .size:           4
        .value_kind:     by_value
      - .offset:         92
        .size:           4
        .value_kind:     by_value
      - .offset:         96
        .size:           4
        .value_kind:     by_value
      - .offset:         100
        .size:           4
        .value_kind:     by_value
      - .offset:         104
        .size:           4
        .value_kind:     by_value
      - .offset:         108
        .size:           4
        .value_kind:     by_value
      - .offset:         112
        .size:           4
        .value_kind:     by_value
      - .offset:         116
        .size:           4
        .value_kind:     by_value
      - .offset:         120
        .size:           4
        .value_kind:     by_value
      - .offset:         124
        .size:           4
        .value_kind:     by_value
      - .offset:         128
        .size:           4
        .value_kind:     by_value
      - .offset:         132
        .size:           4
        .value_kind:     by_value
      - .offset:         136
        .size:           4
        .value_kind:     by_value
      - .offset:         144
        .size:           4
        .value_kind:     hidden_block_count_x
      - .offset:         148
        .size:           4
        .value_kind:     hidden_block_count_y
      - .offset:         152
        .size:           4
        .value_kind:     hidden_block_count_z
      - .offset:         156
        .size:           2
        .value_kind:     hidden_group_size_x
      - .offset:         158
        .size:           2
        .value_kind:     hidden_group_size_y
      - .offset:         160
        .size:           2
        .value_kind:     hidden_group_size_z
      - .offset:         162
        .size:           2
        .value_kind:     hidden_remainder_x
      - .offset:         164
        .size:           2
        .value_kind:     hidden_remainder_y
      - .offset:         166
        .size:           2
        .value_kind:     hidden_remainder_z
      - .offset:         184
        .size:           8
        .value_kind:     hidden_global_offset_x
      - .offset:         192
        .size:           8
        .value_kind:     hidden_global_offset_y
      - .offset:         200
        .size:           8
        .value_kind:     hidden_global_offset_z
      - .offset:         208
        .size:           2
        .value_kind:     hidden_grid_dims
    .group_segment_fixed_size: 32
    .kernarg_segment_align: 8
    .kernarg_segment_size: 400
    .language:       OpenCL C
    .language_version:
      - 2
      - 0
    .max_flat_workgroup_size: 1024
    .name:           _ZN5aiter35fused_qk_rmsnorm_group_quant_kernelItN4opus5fp4_tELi256ELi8ELi4ELb1ELb1ELb1ELb0ELb0ELb0EEEvPT0_PvPT_S7_S7_PKS6_S9_S9_S9_S9_ffiiiiiiiiiiiii
    .private_segment_fixed_size: 0
    .sgpr_count:     52
    .sgpr_spill_count: 0
    .symbol:         _ZN5aiter35fused_qk_rmsnorm_group_quant_kernelItN4opus5fp4_tELi256ELi8ELi4ELb1ELb1ELb1ELb0ELb0ELb0EEEvPT0_PvPT_S7_S7_PKS6_S9_S9_S9_S9_ffiiiiiiiiiiiii.kd
    .uniform_work_group_size: 1
    .uses_dynamic_stack: false
    .vgpr_count:     27
    .vgpr_spill_count: 0
    .wavefront_size: 64
  - .agpr_count:     0
    .args:
      - .actual_access:  write_only
        .address_space:  global
        .offset:         0
        .size:           8
        .value_kind:     global_buffer
      - .actual_access:  write_only
        .address_space:  global
        .offset:         8
        .size:           8
        .value_kind:     global_buffer
      - .actual_access:  write_only
        .address_space:  global
        .offset:         16
        .size:           8
        .value_kind:     global_buffer
      - .actual_access:  write_only
        .address_space:  global
        .offset:         24
        .size:           8
        .value_kind:     global_buffer
      - .actual_access:  write_only
        .address_space:  global
        .offset:         32
        .size:           8
        .value_kind:     global_buffer
      - .actual_access:  read_only
        .address_space:  global
        .offset:         40
        .size:           8
        .value_kind:     global_buffer
      - .actual_access:  read_only
        .address_space:  global
        .offset:         48
        .size:           8
        .value_kind:     global_buffer
      - .actual_access:  read_only
        .address_space:  global
        .offset:         56
        .size:           8
        .value_kind:     global_buffer
      - .actual_access:  read_only
        .address_space:  global
        .offset:         64
        .size:           8
        .value_kind:     global_buffer
      - .actual_access:  read_only
        .address_space:  global
        .offset:         72
        .size:           8
        .value_kind:     global_buffer
      - .offset:         80
        .size:           4
        .value_kind:     by_value
      - .offset:         84
        .size:           4
        .value_kind:     by_value
      - .offset:         88
        .size:           4
        .value_kind:     by_value
      - .offset:         92
        .size:           4
        .value_kind:     by_value
      - .offset:         96
        .size:           4
        .value_kind:     by_value
      - .offset:         100
        .size:           4
        .value_kind:     by_value
      - .offset:         104
        .size:           4
        .value_kind:     by_value
      - .offset:         108
        .size:           4
        .value_kind:     by_value
      - .offset:         112
        .size:           4
        .value_kind:     by_value
      - .offset:         116
        .size:           4
        .value_kind:     by_value
      - .offset:         120
        .size:           4
        .value_kind:     by_value
      - .offset:         124
        .size:           4
        .value_kind:     by_value
      - .offset:         128
        .size:           4
        .value_kind:     by_value
      - .offset:         132
        .size:           4
        .value_kind:     by_value
      - .offset:         136
        .size:           4
        .value_kind:     by_value
      - .offset:         144
        .size:           4
        .value_kind:     hidden_block_count_x
      - .offset:         148
        .size:           4
        .value_kind:     hidden_block_count_y
      - .offset:         152
        .size:           4
        .value_kind:     hidden_block_count_z
      - .offset:         156
        .size:           2
        .value_kind:     hidden_group_size_x
      - .offset:         158
        .size:           2
        .value_kind:     hidden_group_size_y
      - .offset:         160
        .size:           2
        .value_kind:     hidden_group_size_z
      - .offset:         162
        .size:           2
        .value_kind:     hidden_remainder_x
      - .offset:         164
        .size:           2
        .value_kind:     hidden_remainder_y
      - .offset:         166
        .size:           2
        .value_kind:     hidden_remainder_z
      - .offset:         184
        .size:           8
        .value_kind:     hidden_global_offset_x
      - .offset:         192
        .size:           8
        .value_kind:     hidden_global_offset_y
      - .offset:         200
        .size:           8
        .value_kind:     hidden_global_offset_z
      - .offset:         208
        .size:           2
        .value_kind:     hidden_grid_dims
    .group_segment_fixed_size: 32
    .kernarg_segment_align: 8
    .kernarg_segment_size: 400
    .language:       OpenCL C
    .language_version:
      - 2
      - 0
    .max_flat_workgroup_size: 1024
    .name:           _ZN5aiter35fused_qk_rmsnorm_group_quant_kernelIDF16_DB8_Li256ELi8ELi4ELb1ELb1ELb0ELb0ELb0ELb0EEEvPT0_PvPT_S6_S6_PKS5_S8_S8_S8_S8_ffiiiiiiiiiiiii
    .private_segment_fixed_size: 0
    .sgpr_count:     48
    .sgpr_spill_count: 0
    .symbol:         _ZN5aiter35fused_qk_rmsnorm_group_quant_kernelIDF16_DB8_Li256ELi8ELi4ELb1ELb1ELb0ELb0ELb0ELb0EEEvPT0_PvPT_S6_S6_PKS5_S8_S8_S8_S8_ffiiiiiiiiiiiii.kd
    .uniform_work_group_size: 1
    .uses_dynamic_stack: false
    .vgpr_count:     34
    .vgpr_spill_count: 0
    .wavefront_size: 64
  - .agpr_count:     0
    .args:
      - .actual_access:  write_only
        .address_space:  global
        .offset:         0
        .size:           8
        .value_kind:     global_buffer
      - .actual_access:  write_only
        .address_space:  global
        .offset:         8
        .size:           8
        .value_kind:     global_buffer
      - .actual_access:  write_only
        .address_space:  global
        .offset:         16
        .size:           8
        .value_kind:     global_buffer
      - .actual_access:  write_only
        .address_space:  global
        .offset:         24
        .size:           8
        .value_kind:     global_buffer
      - .actual_access:  write_only
        .address_space:  global
        .offset:         32
        .size:           8
        .value_kind:     global_buffer
      - .actual_access:  read_only
        .address_space:  global
        .offset:         40
        .size:           8
        .value_kind:     global_buffer
      - .actual_access:  read_only
        .address_space:  global
        .offset:         48
        .size:           8
        .value_kind:     global_buffer
      - .actual_access:  read_only
        .address_space:  global
        .offset:         56
        .size:           8
        .value_kind:     global_buffer
      - .actual_access:  read_only
        .address_space:  global
        .offset:         64
        .size:           8
        .value_kind:     global_buffer
      - .actual_access:  read_only
        .address_space:  global
        .offset:         72
        .size:           8
        .value_kind:     global_buffer
      - .offset:         80
        .size:           4
        .value_kind:     by_value
      - .offset:         84
        .size:           4
        .value_kind:     by_value
      - .offset:         88
        .size:           4
        .value_kind:     by_value
      - .offset:         92
        .size:           4
        .value_kind:     by_value
      - .offset:         96
        .size:           4
        .value_kind:     by_value
      - .offset:         100
        .size:           4
        .value_kind:     by_value
      - .offset:         104
        .size:           4
        .value_kind:     by_value
      - .offset:         108
        .size:           4
        .value_kind:     by_value
      - .offset:         112
        .size:           4
        .value_kind:     by_value
      - .offset:         116
        .size:           4
        .value_kind:     by_value
      - .offset:         120
        .size:           4
        .value_kind:     by_value
      - .offset:         124
        .size:           4
        .value_kind:     by_value
      - .offset:         128
        .size:           4
        .value_kind:     by_value
      - .offset:         132
        .size:           4
        .value_kind:     by_value
      - .offset:         136
        .size:           4
        .value_kind:     by_value
      - .offset:         144
        .size:           4
        .value_kind:     hidden_block_count_x
      - .offset:         148
        .size:           4
        .value_kind:     hidden_block_count_y
      - .offset:         152
        .size:           4
        .value_kind:     hidden_block_count_z
      - .offset:         156
        .size:           2
        .value_kind:     hidden_group_size_x
      - .offset:         158
        .size:           2
        .value_kind:     hidden_group_size_y
      - .offset:         160
        .size:           2
        .value_kind:     hidden_group_size_z
      - .offset:         162
        .size:           2
        .value_kind:     hidden_remainder_x
      - .offset:         164
        .size:           2
        .value_kind:     hidden_remainder_y
      - .offset:         166
        .size:           2
        .value_kind:     hidden_remainder_z
      - .offset:         184
        .size:           8
        .value_kind:     hidden_global_offset_x
      - .offset:         192
        .size:           8
        .value_kind:     hidden_global_offset_y
      - .offset:         200
        .size:           8
        .value_kind:     hidden_global_offset_z
      - .offset:         208
        .size:           2
        .value_kind:     hidden_grid_dims
    .group_segment_fixed_size: 32
    .kernarg_segment_align: 8
    .kernarg_segment_size: 400
    .language:       OpenCL C
    .language_version:
      - 2
      - 0
    .max_flat_workgroup_size: 1024
    .name:           _ZN5aiter35fused_qk_rmsnorm_group_quant_kernelItDB8_Li256ELi8ELi4ELb1ELb1ELb0ELb0ELb0ELb0EEEvPT0_PvPT_S6_S6_PKS5_S8_S8_S8_S8_ffiiiiiiiiiiiii
    .private_segment_fixed_size: 0
    .sgpr_count:     52
    .sgpr_spill_count: 0
    .symbol:         _ZN5aiter35fused_qk_rmsnorm_group_quant_kernelItDB8_Li256ELi8ELi4ELb1ELb1ELb0ELb0ELb0ELb0EEEvPT0_PvPT_S6_S6_PKS5_S8_S8_S8_S8_ffiiiiiiiiiiiii.kd
    .uniform_work_group_size: 1
    .uses_dynamic_stack: false
    .vgpr_count:     27
    .vgpr_spill_count: 0
    .wavefront_size: 64
  - .agpr_count:     0
    .args:
      - .actual_access:  write_only
        .address_space:  global
        .offset:         0
        .size:           8
        .value_kind:     global_buffer
      - .actual_access:  write_only
        .address_space:  global
        .offset:         8
        .size:           8
        .value_kind:     global_buffer
      - .actual_access:  write_only
        .address_space:  global
        .offset:         16
        .size:           8
        .value_kind:     global_buffer
      - .actual_access:  write_only
        .address_space:  global
        .offset:         24
        .size:           8
        .value_kind:     global_buffer
      - .actual_access:  write_only
        .address_space:  global
        .offset:         32
        .size:           8
        .value_kind:     global_buffer
      - .actual_access:  read_only
        .address_space:  global
        .offset:         40
        .size:           8
        .value_kind:     global_buffer
      - .actual_access:  read_only
        .address_space:  global
        .offset:         48
        .size:           8
        .value_kind:     global_buffer
      - .actual_access:  read_only
        .address_space:  global
        .offset:         56
        .size:           8
        .value_kind:     global_buffer
      - .actual_access:  read_only
        .address_space:  global
        .offset:         64
        .size:           8
        .value_kind:     global_buffer
      - .actual_access:  read_only
        .address_space:  global
        .offset:         72
        .size:           8
        .value_kind:     global_buffer
      - .offset:         80
        .size:           4
        .value_kind:     by_value
      - .offset:         84
        .size:           4
        .value_kind:     by_value
      - .offset:         88
        .size:           4
        .value_kind:     by_value
      - .offset:         92
        .size:           4
        .value_kind:     by_value
      - .offset:         96
        .size:           4
        .value_kind:     by_value
      - .offset:         100
        .size:           4
        .value_kind:     by_value
      - .offset:         104
        .size:           4
        .value_kind:     by_value
      - .offset:         108
        .size:           4
        .value_kind:     by_value
      - .offset:         112
        .size:           4
        .value_kind:     by_value
      - .offset:         116
        .size:           4
        .value_kind:     by_value
      - .offset:         120
        .size:           4
        .value_kind:     by_value
      - .offset:         124
        .size:           4
        .value_kind:     by_value
      - .offset:         128
        .size:           4
        .value_kind:     by_value
      - .offset:         132
        .size:           4
        .value_kind:     by_value
      - .offset:         136
        .size:           4
        .value_kind:     by_value
      - .offset:         144
        .size:           4
        .value_kind:     hidden_block_count_x
      - .offset:         148
        .size:           4
        .value_kind:     hidden_block_count_y
      - .offset:         152
        .size:           4
        .value_kind:     hidden_block_count_z
      - .offset:         156
        .size:           2
        .value_kind:     hidden_group_size_x
      - .offset:         158
        .size:           2
        .value_kind:     hidden_group_size_y
      - .offset:         160
        .size:           2
        .value_kind:     hidden_group_size_z
      - .offset:         162
        .size:           2
        .value_kind:     hidden_remainder_x
      - .offset:         164
        .size:           2
        .value_kind:     hidden_remainder_y
      - .offset:         166
        .size:           2
        .value_kind:     hidden_remainder_z
      - .offset:         184
        .size:           8
        .value_kind:     hidden_global_offset_x
      - .offset:         192
        .size:           8
        .value_kind:     hidden_global_offset_y
      - .offset:         200
        .size:           8
        .value_kind:     hidden_global_offset_z
      - .offset:         208
        .size:           2
        .value_kind:     hidden_grid_dims
    .group_segment_fixed_size: 32
    .kernarg_segment_align: 8
    .kernarg_segment_size: 400
    .language:       OpenCL C
    .language_version:
      - 2
      - 0
    .max_flat_workgroup_size: 1024
    .name:           _ZN5aiter35fused_qk_rmsnorm_group_quant_kernelIDF16_N4opus5fp4_tELi256ELi8ELi4ELb1ELb1ELb0ELb0ELb0ELb0EEEvPT0_PvPT_S7_S7_PKS6_S9_S9_S9_S9_ffiiiiiiiiiiiii
    .private_segment_fixed_size: 0
    .sgpr_count:     48
    .sgpr_spill_count: 0
    .symbol:         _ZN5aiter35fused_qk_rmsnorm_group_quant_kernelIDF16_N4opus5fp4_tELi256ELi8ELi4ELb1ELb1ELb0ELb0ELb0ELb0EEEvPT0_PvPT_S7_S7_PKS6_S9_S9_S9_S9_ffiiiiiiiiiiiii.kd
    .uniform_work_group_size: 1
    .uses_dynamic_stack: false
    .vgpr_count:     27
    .vgpr_spill_count: 0
    .wavefront_size: 64
  - .agpr_count:     0
    .args:
      - .actual_access:  write_only
        .address_space:  global
        .offset:         0
        .size:           8
        .value_kind:     global_buffer
      - .actual_access:  write_only
        .address_space:  global
        .offset:         8
        .size:           8
        .value_kind:     global_buffer
      - .actual_access:  write_only
        .address_space:  global
        .offset:         16
        .size:           8
        .value_kind:     global_buffer
      - .actual_access:  write_only
        .address_space:  global
        .offset:         24
        .size:           8
        .value_kind:     global_buffer
      - .actual_access:  write_only
        .address_space:  global
        .offset:         32
        .size:           8
        .value_kind:     global_buffer
      - .actual_access:  read_only
        .address_space:  global
        .offset:         40
        .size:           8
        .value_kind:     global_buffer
      - .actual_access:  read_only
        .address_space:  global
        .offset:         48
        .size:           8
        .value_kind:     global_buffer
      - .actual_access:  read_only
        .address_space:  global
        .offset:         56
        .size:           8
        .value_kind:     global_buffer
      - .actual_access:  read_only
        .address_space:  global
        .offset:         64
        .size:           8
        .value_kind:     global_buffer
      - .actual_access:  read_only
        .address_space:  global
        .offset:         72
        .size:           8
        .value_kind:     global_buffer
      - .offset:         80
        .size:           4
        .value_kind:     by_value
      - .offset:         84
        .size:           4
        .value_kind:     by_value
      - .offset:         88
        .size:           4
        .value_kind:     by_value
      - .offset:         92
        .size:           4
        .value_kind:     by_value
      - .offset:         96
        .size:           4
        .value_kind:     by_value
      - .offset:         100
        .size:           4
        .value_kind:     by_value
      - .offset:         104
        .size:           4
        .value_kind:     by_value
      - .offset:         108
        .size:           4
        .value_kind:     by_value
      - .offset:         112
        .size:           4
        .value_kind:     by_value
      - .offset:         116
        .size:           4
        .value_kind:     by_value
      - .offset:         120
        .size:           4
        .value_kind:     by_value
      - .offset:         124
        .size:           4
        .value_kind:     by_value
      - .offset:         128
        .size:           4
        .value_kind:     by_value
      - .offset:         132
        .size:           4
        .value_kind:     by_value
      - .offset:         136
        .size:           4
        .value_kind:     by_value
      - .offset:         144
        .size:           4
        .value_kind:     hidden_block_count_x
      - .offset:         148
        .size:           4
        .value_kind:     hidden_block_count_y
      - .offset:         152
        .size:           4
        .value_kind:     hidden_block_count_z
      - .offset:         156
        .size:           2
        .value_kind:     hidden_group_size_x
      - .offset:         158
        .size:           2
        .value_kind:     hidden_group_size_y
      - .offset:         160
        .size:           2
        .value_kind:     hidden_group_size_z
      - .offset:         162
        .size:           2
        .value_kind:     hidden_remainder_x
      - .offset:         164
        .size:           2
        .value_kind:     hidden_remainder_y
      - .offset:         166
        .size:           2
        .value_kind:     hidden_remainder_z
      - .offset:         184
        .size:           8
        .value_kind:     hidden_global_offset_x
      - .offset:         192
        .size:           8
        .value_kind:     hidden_global_offset_y
      - .offset:         200
        .size:           8
        .value_kind:     hidden_global_offset_z
      - .offset:         208
        .size:           2
        .value_kind:     hidden_grid_dims
    .group_segment_fixed_size: 32
    .kernarg_segment_align: 8
    .kernarg_segment_size: 400
    .language:       OpenCL C
    .language_version:
      - 2
      - 0
    .max_flat_workgroup_size: 1024
    .name:           _ZN5aiter35fused_qk_rmsnorm_group_quant_kernelItN4opus5fp4_tELi256ELi8ELi4ELb1ELb1ELb0ELb0ELb0ELb0EEEvPT0_PvPT_S7_S7_PKS6_S9_S9_S9_S9_ffiiiiiiiiiiiii
    .private_segment_fixed_size: 0
    .sgpr_count:     52
    .sgpr_spill_count: 0
    .symbol:         _ZN5aiter35fused_qk_rmsnorm_group_quant_kernelItN4opus5fp4_tELi256ELi8ELi4ELb1ELb1ELb0ELb0ELb0ELb0EEEvPT0_PvPT_S7_S7_PKS6_S9_S9_S9_S9_ffiiiiiiiiiiiii.kd
    .uniform_work_group_size: 1
    .uses_dynamic_stack: false
    .vgpr_count:     27
    .vgpr_spill_count: 0
    .wavefront_size: 64
  - .agpr_count:     0
    .args:
      - .actual_access:  write_only
        .address_space:  global
        .offset:         0
        .size:           8
        .value_kind:     global_buffer
      - .actual_access:  write_only
        .address_space:  global
        .offset:         8
        .size:           8
        .value_kind:     global_buffer
      - .actual_access:  read_only
        .address_space:  global
        .offset:         16
        .size:           8
        .value_kind:     global_buffer
      - .actual_access:  write_only
        .address_space:  global
        .offset:         24
        .size:           8
        .value_kind:     global_buffer
      - .actual_access:  write_only
        .address_space:  global
        .offset:         32
        .size:           8
        .value_kind:     global_buffer
      - .actual_access:  read_only
        .address_space:  global
        .offset:         40
        .size:           8
        .value_kind:     global_buffer
      - .actual_access:  read_only
        .address_space:  global
        .offset:         48
        .size:           8
        .value_kind:     global_buffer
      - .actual_access:  read_only
        .address_space:  global
        .offset:         56
        .size:           8
        .value_kind:     global_buffer
      - .actual_access:  read_only
        .address_space:  global
        .offset:         64
        .size:           8
        .value_kind:     global_buffer
      - .actual_access:  read_only
        .address_space:  global
        .offset:         72
        .size:           8
        .value_kind:     global_buffer
      - .offset:         80
        .size:           4
        .value_kind:     by_value
      - .offset:         84
        .size:           4
        .value_kind:     by_value
      - .offset:         88
        .size:           4
        .value_kind:     by_value
      - .offset:         92
        .size:           4
        .value_kind:     by_value
      - .offset:         96
        .size:           4
        .value_kind:     by_value
      - .offset:         100
        .size:           4
        .value_kind:     by_value
      - .offset:         104
        .size:           4
        .value_kind:     by_value
      - .offset:         108
        .size:           4
        .value_kind:     by_value
      - .offset:         112
        .size:           4
        .value_kind:     by_value
      - .offset:         116
        .size:           4
        .value_kind:     by_value
      - .offset:         120
        .size:           4
        .value_kind:     by_value
      - .offset:         124
        .size:           4
        .value_kind:     by_value
      - .offset:         128
        .size:           4
        .value_kind:     by_value
      - .offset:         132
        .size:           4
        .value_kind:     by_value
      - .offset:         136
        .size:           4
        .value_kind:     by_value
      - .offset:         144
        .size:           4
        .value_kind:     hidden_block_count_x
      - .offset:         148
        .size:           4
        .value_kind:     hidden_block_count_y
      - .offset:         152
        .size:           4
        .value_kind:     hidden_block_count_z
      - .offset:         156
        .size:           2
        .value_kind:     hidden_group_size_x
      - .offset:         158
        .size:           2
        .value_kind:     hidden_group_size_y
      - .offset:         160
        .size:           2
        .value_kind:     hidden_group_size_z
      - .offset:         162
        .size:           2
        .value_kind:     hidden_remainder_x
      - .offset:         164
        .size:           2
        .value_kind:     hidden_remainder_y
      - .offset:         166
        .size:           2
        .value_kind:     hidden_remainder_z
      - .offset:         184
        .size:           8
        .value_kind:     hidden_global_offset_x
      - .offset:         192
        .size:           8
        .value_kind:     hidden_global_offset_y
      - .offset:         200
        .size:           8
        .value_kind:     hidden_global_offset_z
      - .offset:         208
        .size:           2
        .value_kind:     hidden_grid_dims
    .group_segment_fixed_size: 32
    .kernarg_segment_align: 8
    .kernarg_segment_size: 400
    .language:       OpenCL C
    .language_version:
      - 2
      - 0
    .max_flat_workgroup_size: 1024
    .name:           _ZN5aiter35fused_qk_rmsnorm_group_quant_kernelIDF16_DB8_Li256ELi8ELi4ELb1ELb0ELb1ELb0ELb0ELb0EEEvPT0_PvPT_S6_S6_PKS5_S8_S8_S8_S8_ffiiiiiiiiiiiii
    .private_segment_fixed_size: 0
    .sgpr_count:     48
    .sgpr_spill_count: 0
    .symbol:         _ZN5aiter35fused_qk_rmsnorm_group_quant_kernelIDF16_DB8_Li256ELi8ELi4ELb1ELb0ELb1ELb0ELb0ELb0EEEvPT0_PvPT_S6_S6_PKS5_S8_S8_S8_S8_ffiiiiiiiiiiiii.kd
    .uniform_work_group_size: 1
    .uses_dynamic_stack: false
    .vgpr_count:     31
    .vgpr_spill_count: 0
    .wavefront_size: 64
  - .agpr_count:     0
    .args:
      - .actual_access:  write_only
        .address_space:  global
        .offset:         0
        .size:           8
        .value_kind:     global_buffer
      - .actual_access:  write_only
        .address_space:  global
        .offset:         8
        .size:           8
        .value_kind:     global_buffer
      - .actual_access:  read_only
        .address_space:  global
        .offset:         16
        .size:           8
        .value_kind:     global_buffer
      - .actual_access:  write_only
        .address_space:  global
        .offset:         24
        .size:           8
        .value_kind:     global_buffer
      - .actual_access:  write_only
        .address_space:  global
        .offset:         32
        .size:           8
        .value_kind:     global_buffer
      - .actual_access:  read_only
        .address_space:  global
        .offset:         40
        .size:           8
        .value_kind:     global_buffer
      - .actual_access:  read_only
        .address_space:  global
        .offset:         48
        .size:           8
        .value_kind:     global_buffer
      - .actual_access:  read_only
        .address_space:  global
        .offset:         56
        .size:           8
        .value_kind:     global_buffer
      - .actual_access:  read_only
        .address_space:  global
        .offset:         64
        .size:           8
        .value_kind:     global_buffer
      - .actual_access:  read_only
        .address_space:  global
        .offset:         72
        .size:           8
        .value_kind:     global_buffer
      - .offset:         80
        .size:           4
        .value_kind:     by_value
      - .offset:         84
        .size:           4
        .value_kind:     by_value
      - .offset:         88
        .size:           4
        .value_kind:     by_value
      - .offset:         92
        .size:           4
        .value_kind:     by_value
      - .offset:         96
        .size:           4
        .value_kind:     by_value
      - .offset:         100
        .size:           4
        .value_kind:     by_value
      - .offset:         104
        .size:           4
        .value_kind:     by_value
      - .offset:         108
        .size:           4
        .value_kind:     by_value
      - .offset:         112
        .size:           4
        .value_kind:     by_value
      - .offset:         116
        .size:           4
        .value_kind:     by_value
      - .offset:         120
        .size:           4
        .value_kind:     by_value
      - .offset:         124
        .size:           4
        .value_kind:     by_value
      - .offset:         128
        .size:           4
        .value_kind:     by_value
      - .offset:         132
        .size:           4
        .value_kind:     by_value
      - .offset:         136
        .size:           4
        .value_kind:     by_value
      - .offset:         144
        .size:           4
        .value_kind:     hidden_block_count_x
      - .offset:         148
        .size:           4
        .value_kind:     hidden_block_count_y
      - .offset:         152
        .size:           4
        .value_kind:     hidden_block_count_z
      - .offset:         156
        .size:           2
        .value_kind:     hidden_group_size_x
      - .offset:         158
        .size:           2
        .value_kind:     hidden_group_size_y
      - .offset:         160
        .size:           2
        .value_kind:     hidden_group_size_z
      - .offset:         162
        .size:           2
        .value_kind:     hidden_remainder_x
      - .offset:         164
        .size:           2
        .value_kind:     hidden_remainder_y
      - .offset:         166
        .size:           2
        .value_kind:     hidden_remainder_z
      - .offset:         184
        .size:           8
        .value_kind:     hidden_global_offset_x
      - .offset:         192
        .size:           8
        .value_kind:     hidden_global_offset_y
      - .offset:         200
        .size:           8
        .value_kind:     hidden_global_offset_z
      - .offset:         208
        .size:           2
        .value_kind:     hidden_grid_dims
    .group_segment_fixed_size: 32
    .kernarg_segment_align: 8
    .kernarg_segment_size: 400
    .language:       OpenCL C
    .language_version:
      - 2
      - 0
    .max_flat_workgroup_size: 1024
    .name:           _ZN5aiter35fused_qk_rmsnorm_group_quant_kernelItDB8_Li256ELi8ELi4ELb1ELb0ELb1ELb0ELb0ELb0EEEvPT0_PvPT_S6_S6_PKS5_S8_S8_S8_S8_ffiiiiiiiiiiiii
    .private_segment_fixed_size: 0
    .sgpr_count:     52
    .sgpr_spill_count: 0
    .symbol:         _ZN5aiter35fused_qk_rmsnorm_group_quant_kernelItDB8_Li256ELi8ELi4ELb1ELb0ELb1ELb0ELb0ELb0EEEvPT0_PvPT_S6_S6_PKS5_S8_S8_S8_S8_ffiiiiiiiiiiiii.kd
    .uniform_work_group_size: 1
    .uses_dynamic_stack: false
    .vgpr_count:     27
    .vgpr_spill_count: 0
    .wavefront_size: 64
  - .agpr_count:     0
    .args:
      - .actual_access:  write_only
        .address_space:  global
        .offset:         0
        .size:           8
        .value_kind:     global_buffer
      - .actual_access:  write_only
        .address_space:  global
        .offset:         8
        .size:           8
        .value_kind:     global_buffer
      - .actual_access:  read_only
        .address_space:  global
        .offset:         16
        .size:           8
        .value_kind:     global_buffer
      - .actual_access:  write_only
        .address_space:  global
        .offset:         24
        .size:           8
        .value_kind:     global_buffer
      - .actual_access:  write_only
        .address_space:  global
        .offset:         32
        .size:           8
        .value_kind:     global_buffer
      - .actual_access:  read_only
        .address_space:  global
        .offset:         40
        .size:           8
        .value_kind:     global_buffer
      - .actual_access:  read_only
        .address_space:  global
        .offset:         48
        .size:           8
        .value_kind:     global_buffer
      - .actual_access:  read_only
        .address_space:  global
        .offset:         56
        .size:           8
        .value_kind:     global_buffer
      - .actual_access:  read_only
        .address_space:  global
        .offset:         64
        .size:           8
        .value_kind:     global_buffer
      - .actual_access:  read_only
        .address_space:  global
        .offset:         72
        .size:           8
        .value_kind:     global_buffer
      - .offset:         80
        .size:           4
        .value_kind:     by_value
      - .offset:         84
        .size:           4
        .value_kind:     by_value
      - .offset:         88
        .size:           4
        .value_kind:     by_value
      - .offset:         92
        .size:           4
        .value_kind:     by_value
      - .offset:         96
        .size:           4
        .value_kind:     by_value
      - .offset:         100
        .size:           4
        .value_kind:     by_value
      - .offset:         104
        .size:           4
        .value_kind:     by_value
      - .offset:         108
        .size:           4
        .value_kind:     by_value
      - .offset:         112
        .size:           4
        .value_kind:     by_value
      - .offset:         116
        .size:           4
        .value_kind:     by_value
      - .offset:         120
        .size:           4
        .value_kind:     by_value
      - .offset:         124
        .size:           4
        .value_kind:     by_value
      - .offset:         128
        .size:           4
        .value_kind:     by_value
      - .offset:         132
        .size:           4
        .value_kind:     by_value
      - .offset:         136
        .size:           4
        .value_kind:     by_value
      - .offset:         144
        .size:           4
        .value_kind:     hidden_block_count_x
      - .offset:         148
        .size:           4
        .value_kind:     hidden_block_count_y
      - .offset:         152
        .size:           4
        .value_kind:     hidden_block_count_z
      - .offset:         156
        .size:           2
        .value_kind:     hidden_group_size_x
      - .offset:         158
        .size:           2
        .value_kind:     hidden_group_size_y
      - .offset:         160
        .size:           2
        .value_kind:     hidden_group_size_z
      - .offset:         162
        .size:           2
        .value_kind:     hidden_remainder_x
      - .offset:         164
        .size:           2
        .value_kind:     hidden_remainder_y
      - .offset:         166
        .size:           2
        .value_kind:     hidden_remainder_z
      - .offset:         184
        .size:           8
        .value_kind:     hidden_global_offset_x
      - .offset:         192
        .size:           8
        .value_kind:     hidden_global_offset_y
      - .offset:         200
        .size:           8
        .value_kind:     hidden_global_offset_z
      - .offset:         208
        .size:           2
        .value_kind:     hidden_grid_dims
    .group_segment_fixed_size: 32
    .kernarg_segment_align: 8
    .kernarg_segment_size: 400
    .language:       OpenCL C
    .language_version:
      - 2
      - 0
    .max_flat_workgroup_size: 1024
    .name:           _ZN5aiter35fused_qk_rmsnorm_group_quant_kernelIDF16_N4opus5fp4_tELi256ELi8ELi4ELb1ELb0ELb1ELb0ELb0ELb0EEEvPT0_PvPT_S7_S7_PKS6_S9_S9_S9_S9_ffiiiiiiiiiiiii
    .private_segment_fixed_size: 0
    .sgpr_count:     44
    .sgpr_spill_count: 0
    .symbol:         _ZN5aiter35fused_qk_rmsnorm_group_quant_kernelIDF16_N4opus5fp4_tELi256ELi8ELi4ELb1ELb0ELb1ELb0ELb0ELb0EEEvPT0_PvPT_S7_S7_PKS6_S9_S9_S9_S9_ffiiiiiiiiiiiii.kd
    .uniform_work_group_size: 1
    .uses_dynamic_stack: false
    .vgpr_count:     25
    .vgpr_spill_count: 0
    .wavefront_size: 64
  - .agpr_count:     0
    .args:
      - .actual_access:  write_only
        .address_space:  global
        .offset:         0
        .size:           8
        .value_kind:     global_buffer
      - .actual_access:  write_only
        .address_space:  global
        .offset:         8
        .size:           8
        .value_kind:     global_buffer
      - .actual_access:  read_only
        .address_space:  global
        .offset:         16
        .size:           8
        .value_kind:     global_buffer
      - .actual_access:  write_only
        .address_space:  global
        .offset:         24
        .size:           8
        .value_kind:     global_buffer
      - .actual_access:  write_only
        .address_space:  global
        .offset:         32
        .size:           8
        .value_kind:     global_buffer
      - .actual_access:  read_only
        .address_space:  global
        .offset:         40
        .size:           8
        .value_kind:     global_buffer
      - .actual_access:  read_only
        .address_space:  global
        .offset:         48
        .size:           8
        .value_kind:     global_buffer
      - .actual_access:  read_only
        .address_space:  global
        .offset:         56
        .size:           8
        .value_kind:     global_buffer
      - .actual_access:  read_only
        .address_space:  global
        .offset:         64
        .size:           8
        .value_kind:     global_buffer
      - .actual_access:  read_only
        .address_space:  global
        .offset:         72
        .size:           8
        .value_kind:     global_buffer
      - .offset:         80
        .size:           4
        .value_kind:     by_value
      - .offset:         84
        .size:           4
        .value_kind:     by_value
      - .offset:         88
        .size:           4
        .value_kind:     by_value
      - .offset:         92
        .size:           4
        .value_kind:     by_value
      - .offset:         96
        .size:           4
        .value_kind:     by_value
      - .offset:         100
        .size:           4
        .value_kind:     by_value
      - .offset:         104
        .size:           4
        .value_kind:     by_value
      - .offset:         108
        .size:           4
        .value_kind:     by_value
      - .offset:         112
        .size:           4
        .value_kind:     by_value
      - .offset:         116
        .size:           4
        .value_kind:     by_value
      - .offset:         120
        .size:           4
        .value_kind:     by_value
      - .offset:         124
        .size:           4
        .value_kind:     by_value
      - .offset:         128
        .size:           4
        .value_kind:     by_value
      - .offset:         132
        .size:           4
        .value_kind:     by_value
      - .offset:         136
        .size:           4
        .value_kind:     by_value
      - .offset:         144
        .size:           4
        .value_kind:     hidden_block_count_x
      - .offset:         148
        .size:           4
        .value_kind:     hidden_block_count_y
      - .offset:         152
        .size:           4
        .value_kind:     hidden_block_count_z
      - .offset:         156
        .size:           2
        .value_kind:     hidden_group_size_x
      - .offset:         158
        .size:           2
        .value_kind:     hidden_group_size_y
      - .offset:         160
        .size:           2
        .value_kind:     hidden_group_size_z
      - .offset:         162
        .size:           2
        .value_kind:     hidden_remainder_x
      - .offset:         164
        .size:           2
        .value_kind:     hidden_remainder_y
      - .offset:         166
        .size:           2
        .value_kind:     hidden_remainder_z
      - .offset:         184
        .size:           8
        .value_kind:     hidden_global_offset_x
      - .offset:         192
        .size:           8
        .value_kind:     hidden_global_offset_y
      - .offset:         200
        .size:           8
        .value_kind:     hidden_global_offset_z
      - .offset:         208
        .size:           2
        .value_kind:     hidden_grid_dims
    .group_segment_fixed_size: 32
    .kernarg_segment_align: 8
    .kernarg_segment_size: 400
    .language:       OpenCL C
    .language_version:
      - 2
      - 0
    .max_flat_workgroup_size: 1024
    .name:           _ZN5aiter35fused_qk_rmsnorm_group_quant_kernelItN4opus5fp4_tELi256ELi8ELi4ELb1ELb0ELb1ELb0ELb0ELb0EEEvPT0_PvPT_S7_S7_PKS6_S9_S9_S9_S9_ffiiiiiiiiiiiii
    .private_segment_fixed_size: 0
    .sgpr_count:     48
    .sgpr_spill_count: 0
    .symbol:         _ZN5aiter35fused_qk_rmsnorm_group_quant_kernelItN4opus5fp4_tELi256ELi8ELi4ELb1ELb0ELb1ELb0ELb0ELb0EEEvPT0_PvPT_S7_S7_PKS6_S9_S9_S9_S9_ffiiiiiiiiiiiii.kd
    .uniform_work_group_size: 1
    .uses_dynamic_stack: false
    .vgpr_count:     27
    .vgpr_spill_count: 0
    .wavefront_size: 64
  - .agpr_count:     0
    .args:
      - .actual_access:  write_only
        .address_space:  global
        .offset:         0
        .size:           8
        .value_kind:     global_buffer
      - .actual_access:  write_only
        .address_space:  global
        .offset:         8
        .size:           8
        .value_kind:     global_buffer
      - .actual_access:  read_only
        .address_space:  global
        .offset:         16
        .size:           8
        .value_kind:     global_buffer
      - .actual_access:  write_only
        .address_space:  global
        .offset:         24
        .size:           8
        .value_kind:     global_buffer
      - .actual_access:  write_only
        .address_space:  global
        .offset:         32
        .size:           8
        .value_kind:     global_buffer
      - .actual_access:  read_only
        .address_space:  global
        .offset:         40
        .size:           8
        .value_kind:     global_buffer
      - .actual_access:  read_only
        .address_space:  global
        .offset:         48
        .size:           8
        .value_kind:     global_buffer
      - .actual_access:  read_only
        .address_space:  global
        .offset:         56
        .size:           8
        .value_kind:     global_buffer
      - .actual_access:  read_only
        .address_space:  global
        .offset:         64
        .size:           8
        .value_kind:     global_buffer
      - .actual_access:  read_only
        .address_space:  global
        .offset:         72
        .size:           8
        .value_kind:     global_buffer
      - .offset:         80
        .size:           4
        .value_kind:     by_value
      - .offset:         84
        .size:           4
        .value_kind:     by_value
      - .offset:         88
        .size:           4
        .value_kind:     by_value
      - .offset:         92
        .size:           4
        .value_kind:     by_value
      - .offset:         96
        .size:           4
        .value_kind:     by_value
      - .offset:         100
        .size:           4
        .value_kind:     by_value
      - .offset:         104
        .size:           4
        .value_kind:     by_value
      - .offset:         108
        .size:           4
        .value_kind:     by_value
      - .offset:         112
        .size:           4
        .value_kind:     by_value
      - .offset:         116
        .size:           4
        .value_kind:     by_value
      - .offset:         120
        .size:           4
        .value_kind:     by_value
      - .offset:         124
        .size:           4
        .value_kind:     by_value
      - .offset:         128
        .size:           4
        .value_kind:     by_value
      - .offset:         132
        .size:           4
        .value_kind:     by_value
      - .offset:         136
        .size:           4
        .value_kind:     by_value
      - .offset:         144
        .size:           4
        .value_kind:     hidden_block_count_x
      - .offset:         148
        .size:           4
        .value_kind:     hidden_block_count_y
      - .offset:         152
        .size:           4
        .value_kind:     hidden_block_count_z
      - .offset:         156
        .size:           2
        .value_kind:     hidden_group_size_x
      - .offset:         158
        .size:           2
        .value_kind:     hidden_group_size_y
      - .offset:         160
        .size:           2
        .value_kind:     hidden_group_size_z
      - .offset:         162
        .size:           2
        .value_kind:     hidden_remainder_x
      - .offset:         164
        .size:           2
        .value_kind:     hidden_remainder_y
      - .offset:         166
        .size:           2
        .value_kind:     hidden_remainder_z
      - .offset:         184
        .size:           8
        .value_kind:     hidden_global_offset_x
      - .offset:         192
        .size:           8
        .value_kind:     hidden_global_offset_y
      - .offset:         200
        .size:           8
        .value_kind:     hidden_global_offset_z
      - .offset:         208
        .size:           2
        .value_kind:     hidden_grid_dims
    .group_segment_fixed_size: 32
    .kernarg_segment_align: 8
    .kernarg_segment_size: 400
    .language:       OpenCL C
    .language_version:
      - 2
      - 0
    .max_flat_workgroup_size: 1024
    .name:           _ZN5aiter35fused_qk_rmsnorm_group_quant_kernelIDF16_DB8_Li256ELi8ELi4ELb1ELb0ELb0ELb0ELb0ELb0EEEvPT0_PvPT_S6_S6_PKS5_S8_S8_S8_S8_ffiiiiiiiiiiiii
    .private_segment_fixed_size: 0
    .sgpr_count:     48
    .sgpr_spill_count: 0
    .symbol:         _ZN5aiter35fused_qk_rmsnorm_group_quant_kernelIDF16_DB8_Li256ELi8ELi4ELb1ELb0ELb0ELb0ELb0ELb0EEEvPT0_PvPT_S6_S6_PKS5_S8_S8_S8_S8_ffiiiiiiiiiiiii.kd
    .uniform_work_group_size: 1
    .uses_dynamic_stack: false
    .vgpr_count:     34
    .vgpr_spill_count: 0
    .wavefront_size: 64
  - .agpr_count:     0
    .args:
      - .actual_access:  write_only
        .address_space:  global
        .offset:         0
        .size:           8
        .value_kind:     global_buffer
      - .actual_access:  write_only
        .address_space:  global
        .offset:         8
        .size:           8
        .value_kind:     global_buffer
      - .actual_access:  read_only
        .address_space:  global
        .offset:         16
        .size:           8
        .value_kind:     global_buffer
      - .actual_access:  write_only
        .address_space:  global
        .offset:         24
        .size:           8
        .value_kind:     global_buffer
      - .actual_access:  write_only
        .address_space:  global
        .offset:         32
        .size:           8
        .value_kind:     global_buffer
      - .actual_access:  read_only
        .address_space:  global
        .offset:         40
        .size:           8
        .value_kind:     global_buffer
      - .actual_access:  read_only
        .address_space:  global
        .offset:         48
        .size:           8
        .value_kind:     global_buffer
      - .actual_access:  read_only
        .address_space:  global
        .offset:         56
        .size:           8
        .value_kind:     global_buffer
      - .actual_access:  read_only
        .address_space:  global
        .offset:         64
        .size:           8
        .value_kind:     global_buffer
      - .actual_access:  read_only
        .address_space:  global
        .offset:         72
        .size:           8
        .value_kind:     global_buffer
      - .offset:         80
        .size:           4
        .value_kind:     by_value
      - .offset:         84
        .size:           4
        .value_kind:     by_value
      - .offset:         88
        .size:           4
        .value_kind:     by_value
      - .offset:         92
        .size:           4
        .value_kind:     by_value
      - .offset:         96
        .size:           4
        .value_kind:     by_value
      - .offset:         100
        .size:           4
        .value_kind:     by_value
      - .offset:         104
        .size:           4
        .value_kind:     by_value
      - .offset:         108
        .size:           4
        .value_kind:     by_value
      - .offset:         112
        .size:           4
        .value_kind:     by_value
      - .offset:         116
        .size:           4
        .value_kind:     by_value
      - .offset:         120
        .size:           4
        .value_kind:     by_value
      - .offset:         124
        .size:           4
        .value_kind:     by_value
      - .offset:         128
        .size:           4
        .value_kind:     by_value
      - .offset:         132
        .size:           4
        .value_kind:     by_value
      - .offset:         136
        .size:           4
        .value_kind:     by_value
      - .offset:         144
        .size:           4
        .value_kind:     hidden_block_count_x
      - .offset:         148
        .size:           4
        .value_kind:     hidden_block_count_y
      - .offset:         152
        .size:           4
        .value_kind:     hidden_block_count_z
      - .offset:         156
        .size:           2
        .value_kind:     hidden_group_size_x
      - .offset:         158
        .size:           2
        .value_kind:     hidden_group_size_y
      - .offset:         160
        .size:           2
        .value_kind:     hidden_group_size_z
      - .offset:         162
        .size:           2
        .value_kind:     hidden_remainder_x
      - .offset:         164
        .size:           2
        .value_kind:     hidden_remainder_y
      - .offset:         166
        .size:           2
        .value_kind:     hidden_remainder_z
      - .offset:         184
        .size:           8
        .value_kind:     hidden_global_offset_x
      - .offset:         192
        .size:           8
        .value_kind:     hidden_global_offset_y
      - .offset:         200
        .size:           8
        .value_kind:     hidden_global_offset_z
      - .offset:         208
        .size:           2
        .value_kind:     hidden_grid_dims
    .group_segment_fixed_size: 32
    .kernarg_segment_align: 8
    .kernarg_segment_size: 400
    .language:       OpenCL C
    .language_version:
      - 2
      - 0
    .max_flat_workgroup_size: 1024
    .name:           _ZN5aiter35fused_qk_rmsnorm_group_quant_kernelItDB8_Li256ELi8ELi4ELb1ELb0ELb0ELb0ELb0ELb0EEEvPT0_PvPT_S6_S6_PKS5_S8_S8_S8_S8_ffiiiiiiiiiiiii
    .private_segment_fixed_size: 0
    .sgpr_count:     52
    .sgpr_spill_count: 0
    .symbol:         _ZN5aiter35fused_qk_rmsnorm_group_quant_kernelItDB8_Li256ELi8ELi4ELb1ELb0ELb0ELb0ELb0ELb0EEEvPT0_PvPT_S6_S6_PKS5_S8_S8_S8_S8_ffiiiiiiiiiiiii.kd
    .uniform_work_group_size: 1
    .uses_dynamic_stack: false
    .vgpr_count:     27
    .vgpr_spill_count: 0
    .wavefront_size: 64
  - .agpr_count:     0
    .args:
      - .actual_access:  write_only
        .address_space:  global
        .offset:         0
        .size:           8
        .value_kind:     global_buffer
      - .actual_access:  write_only
        .address_space:  global
        .offset:         8
        .size:           8
        .value_kind:     global_buffer
      - .actual_access:  read_only
        .address_space:  global
        .offset:         16
        .size:           8
        .value_kind:     global_buffer
      - .actual_access:  write_only
        .address_space:  global
        .offset:         24
        .size:           8
        .value_kind:     global_buffer
      - .actual_access:  write_only
        .address_space:  global
        .offset:         32
        .size:           8
        .value_kind:     global_buffer
      - .actual_access:  read_only
        .address_space:  global
        .offset:         40
        .size:           8
        .value_kind:     global_buffer
      - .actual_access:  read_only
        .address_space:  global
        .offset:         48
        .size:           8
        .value_kind:     global_buffer
      - .actual_access:  read_only
        .address_space:  global
        .offset:         56
        .size:           8
        .value_kind:     global_buffer
      - .actual_access:  read_only
        .address_space:  global
        .offset:         64
        .size:           8
        .value_kind:     global_buffer
      - .actual_access:  read_only
        .address_space:  global
        .offset:         72
        .size:           8
        .value_kind:     global_buffer
      - .offset:         80
        .size:           4
        .value_kind:     by_value
      - .offset:         84
        .size:           4
        .value_kind:     by_value
      - .offset:         88
        .size:           4
        .value_kind:     by_value
      - .offset:         92
        .size:           4
        .value_kind:     by_value
      - .offset:         96
        .size:           4
        .value_kind:     by_value
      - .offset:         100
        .size:           4
        .value_kind:     by_value
      - .offset:         104
        .size:           4
        .value_kind:     by_value
      - .offset:         108
        .size:           4
        .value_kind:     by_value
      - .offset:         112
        .size:           4
        .value_kind:     by_value
      - .offset:         116
        .size:           4
        .value_kind:     by_value
      - .offset:         120
        .size:           4
        .value_kind:     by_value
      - .offset:         124
        .size:           4
        .value_kind:     by_value
      - .offset:         128
        .size:           4
        .value_kind:     by_value
      - .offset:         132
        .size:           4
        .value_kind:     by_value
      - .offset:         136
        .size:           4
        .value_kind:     by_value
      - .offset:         144
        .size:           4
        .value_kind:     hidden_block_count_x
      - .offset:         148
        .size:           4
        .value_kind:     hidden_block_count_y
      - .offset:         152
        .size:           4
        .value_kind:     hidden_block_count_z
      - .offset:         156
        .size:           2
        .value_kind:     hidden_group_size_x
      - .offset:         158
        .size:           2
        .value_kind:     hidden_group_size_y
      - .offset:         160
        .size:           2
        .value_kind:     hidden_group_size_z
      - .offset:         162
        .size:           2
        .value_kind:     hidden_remainder_x
      - .offset:         164
        .size:           2
        .value_kind:     hidden_remainder_y
      - .offset:         166
        .size:           2
        .value_kind:     hidden_remainder_z
      - .offset:         184
        .size:           8
        .value_kind:     hidden_global_offset_x
      - .offset:         192
        .size:           8
        .value_kind:     hidden_global_offset_y
      - .offset:         200
        .size:           8
        .value_kind:     hidden_global_offset_z
      - .offset:         208
        .size:           2
        .value_kind:     hidden_grid_dims
    .group_segment_fixed_size: 32
    .kernarg_segment_align: 8
    .kernarg_segment_size: 400
    .language:       OpenCL C
    .language_version:
      - 2
      - 0
    .max_flat_workgroup_size: 1024
    .name:           _ZN5aiter35fused_qk_rmsnorm_group_quant_kernelIDF16_N4opus5fp4_tELi256ELi8ELi4ELb1ELb0ELb0ELb0ELb0ELb0EEEvPT0_PvPT_S7_S7_PKS6_S9_S9_S9_S9_ffiiiiiiiiiiiii
    .private_segment_fixed_size: 0
    .sgpr_count:     44
    .sgpr_spill_count: 0
    .symbol:         _ZN5aiter35fused_qk_rmsnorm_group_quant_kernelIDF16_N4opus5fp4_tELi256ELi8ELi4ELb1ELb0ELb0ELb0ELb0ELb0EEEvPT0_PvPT_S7_S7_PKS6_S9_S9_S9_S9_ffiiiiiiiiiiiii.kd
    .uniform_work_group_size: 1
    .uses_dynamic_stack: false
    .vgpr_count:     27
    .vgpr_spill_count: 0
    .wavefront_size: 64
  - .agpr_count:     0
    .args:
      - .actual_access:  write_only
        .address_space:  global
        .offset:         0
        .size:           8
        .value_kind:     global_buffer
      - .actual_access:  write_only
        .address_space:  global
        .offset:         8
        .size:           8
        .value_kind:     global_buffer
      - .actual_access:  read_only
        .address_space:  global
        .offset:         16
        .size:           8
        .value_kind:     global_buffer
      - .actual_access:  write_only
        .address_space:  global
        .offset:         24
        .size:           8
        .value_kind:     global_buffer
      - .actual_access:  write_only
        .address_space:  global
        .offset:         32
        .size:           8
        .value_kind:     global_buffer
      - .actual_access:  read_only
        .address_space:  global
        .offset:         40
        .size:           8
        .value_kind:     global_buffer
      - .actual_access:  read_only
        .address_space:  global
        .offset:         48
        .size:           8
        .value_kind:     global_buffer
      - .actual_access:  read_only
        .address_space:  global
        .offset:         56
        .size:           8
        .value_kind:     global_buffer
      - .actual_access:  read_only
        .address_space:  global
        .offset:         64
        .size:           8
        .value_kind:     global_buffer
      - .actual_access:  read_only
        .address_space:  global
        .offset:         72
        .size:           8
        .value_kind:     global_buffer
      - .offset:         80
        .size:           4
        .value_kind:     by_value
      - .offset:         84
        .size:           4
        .value_kind:     by_value
      - .offset:         88
        .size:           4
        .value_kind:     by_value
      - .offset:         92
        .size:           4
        .value_kind:     by_value
      - .offset:         96
        .size:           4
        .value_kind:     by_value
      - .offset:         100
        .size:           4
        .value_kind:     by_value
      - .offset:         104
        .size:           4
        .value_kind:     by_value
      - .offset:         108
        .size:           4
        .value_kind:     by_value
      - .offset:         112
        .size:           4
        .value_kind:     by_value
      - .offset:         116
        .size:           4
        .value_kind:     by_value
      - .offset:         120
        .size:           4
        .value_kind:     by_value
      - .offset:         124
        .size:           4
        .value_kind:     by_value
      - .offset:         128
        .size:           4
        .value_kind:     by_value
      - .offset:         132
        .size:           4
        .value_kind:     by_value
      - .offset:         136
        .size:           4
        .value_kind:     by_value
      - .offset:         144
        .size:           4
        .value_kind:     hidden_block_count_x
      - .offset:         148
        .size:           4
        .value_kind:     hidden_block_count_y
      - .offset:         152
        .size:           4
        .value_kind:     hidden_block_count_z
      - .offset:         156
        .size:           2
        .value_kind:     hidden_group_size_x
      - .offset:         158
        .size:           2
        .value_kind:     hidden_group_size_y
      - .offset:         160
        .size:           2
        .value_kind:     hidden_group_size_z
      - .offset:         162
        .size:           2
        .value_kind:     hidden_remainder_x
      - .offset:         164
        .size:           2
        .value_kind:     hidden_remainder_y
      - .offset:         166
        .size:           2
        .value_kind:     hidden_remainder_z
      - .offset:         184
        .size:           8
        .value_kind:     hidden_global_offset_x
      - .offset:         192
        .size:           8
        .value_kind:     hidden_global_offset_y
      - .offset:         200
        .size:           8
        .value_kind:     hidden_global_offset_z
      - .offset:         208
        .size:           2
        .value_kind:     hidden_grid_dims
    .group_segment_fixed_size: 32
    .kernarg_segment_align: 8
    .kernarg_segment_size: 400
    .language:       OpenCL C
    .language_version:
      - 2
      - 0
    .max_flat_workgroup_size: 1024
    .name:           _ZN5aiter35fused_qk_rmsnorm_group_quant_kernelItN4opus5fp4_tELi256ELi8ELi4ELb1ELb0ELb0ELb0ELb0ELb0EEEvPT0_PvPT_S7_S7_PKS6_S9_S9_S9_S9_ffiiiiiiiiiiiii
    .private_segment_fixed_size: 0
    .sgpr_count:     48
    .sgpr_spill_count: 0
    .symbol:         _ZN5aiter35fused_qk_rmsnorm_group_quant_kernelItN4opus5fp4_tELi256ELi8ELi4ELb1ELb0ELb0ELb0ELb0ELb0EEEvPT0_PvPT_S7_S7_PKS6_S9_S9_S9_S9_ffiiiiiiiiiiiii.kd
    .uniform_work_group_size: 1
    .uses_dynamic_stack: false
    .vgpr_count:     27
    .vgpr_spill_count: 0
    .wavefront_size: 64
  - .agpr_count:     0
    .args:
      - .actual_access:  write_only
        .address_space:  global
        .offset:         0
        .size:           8
        .value_kind:     global_buffer
      - .actual_access:  write_only
        .address_space:  global
        .offset:         8
        .size:           8
        .value_kind:     global_buffer
      - .actual_access:  write_only
        .address_space:  global
        .offset:         16
        .size:           8
        .value_kind:     global_buffer
      - .actual_access:  write_only
        .address_space:  global
        .offset:         24
        .size:           8
        .value_kind:     global_buffer
      - .actual_access:  read_only
        .address_space:  global
        .offset:         32
        .size:           8
        .value_kind:     global_buffer
      - .actual_access:  read_only
        .address_space:  global
        .offset:         40
        .size:           8
        .value_kind:     global_buffer
      - .actual_access:  read_only
        .address_space:  global
        .offset:         48
        .size:           8
        .value_kind:     global_buffer
      - .actual_access:  read_only
        .address_space:  global
        .offset:         56
        .size:           8
        .value_kind:     global_buffer
      - .actual_access:  read_only
        .address_space:  global
        .offset:         64
        .size:           8
        .value_kind:     global_buffer
      - .actual_access:  read_only
        .address_space:  global
        .offset:         72
        .size:           8
        .value_kind:     global_buffer
      - .offset:         80
        .size:           4
        .value_kind:     by_value
      - .offset:         84
        .size:           4
        .value_kind:     by_value
      - .offset:         88
        .size:           4
        .value_kind:     by_value
      - .offset:         92
        .size:           4
        .value_kind:     by_value
      - .offset:         96
        .size:           4
        .value_kind:     by_value
      - .offset:         100
        .size:           4
        .value_kind:     by_value
      - .offset:         104
        .size:           4
        .value_kind:     by_value
      - .offset:         108
        .size:           4
        .value_kind:     by_value
      - .offset:         112
        .size:           4
        .value_kind:     by_value
      - .offset:         116
        .size:           4
        .value_kind:     by_value
      - .offset:         120
        .size:           4
        .value_kind:     by_value
      - .offset:         124
        .size:           4
        .value_kind:     by_value
      - .offset:         128
        .size:           4
        .value_kind:     by_value
      - .offset:         132
        .size:           4
        .value_kind:     by_value
      - .offset:         136
        .size:           4
        .value_kind:     by_value
      - .offset:         144
        .size:           4
        .value_kind:     hidden_block_count_x
      - .offset:         148
        .size:           4
        .value_kind:     hidden_block_count_y
      - .offset:         152
        .size:           4
        .value_kind:     hidden_block_count_z
      - .offset:         156
        .size:           2
        .value_kind:     hidden_group_size_x
      - .offset:         158
        .size:           2
        .value_kind:     hidden_group_size_y
      - .offset:         160
        .size:           2
        .value_kind:     hidden_group_size_z
      - .offset:         162
        .size:           2
        .value_kind:     hidden_remainder_x
      - .offset:         164
        .size:           2
        .value_kind:     hidden_remainder_y
      - .offset:         166
        .size:           2
        .value_kind:     hidden_remainder_z
      - .offset:         184
        .size:           8
        .value_kind:     hidden_global_offset_x
      - .offset:         192
        .size:           8
        .value_kind:     hidden_global_offset_y
      - .offset:         200
        .size:           8
        .value_kind:     hidden_global_offset_z
      - .offset:         208
        .size:           2
        .value_kind:     hidden_grid_dims
    .group_segment_fixed_size: 32
    .kernarg_segment_align: 8
    .kernarg_segment_size: 400
    .language:       OpenCL C
    .language_version:
      - 2
      - 0
    .max_flat_workgroup_size: 1024
    .name:           _ZN5aiter35fused_qk_rmsnorm_group_quant_kernelIDF16_DB8_Li256ELi8ELi4ELb0ELb1ELb1ELb0ELb0ELb0EEEvPT0_PvPT_S6_S6_PKS5_S8_S8_S8_S8_ffiiiiiiiiiiiii
    .private_segment_fixed_size: 0
    .sgpr_count:     40
    .sgpr_spill_count: 0
    .symbol:         _ZN5aiter35fused_qk_rmsnorm_group_quant_kernelIDF16_DB8_Li256ELi8ELi4ELb0ELb1ELb1ELb0ELb0ELb0EEEvPT0_PvPT_S6_S6_PKS5_S8_S8_S8_S8_ffiiiiiiiiiiiii.kd
    .uniform_work_group_size: 1
    .uses_dynamic_stack: false
    .vgpr_count:     24
    .vgpr_spill_count: 0
    .wavefront_size: 64
  - .agpr_count:     0
    .args:
      - .actual_access:  write_only
        .address_space:  global
        .offset:         0
        .size:           8
        .value_kind:     global_buffer
      - .actual_access:  write_only
        .address_space:  global
        .offset:         8
        .size:           8
        .value_kind:     global_buffer
      - .actual_access:  write_only
        .address_space:  global
        .offset:         16
        .size:           8
        .value_kind:     global_buffer
      - .actual_access:  write_only
        .address_space:  global
        .offset:         24
        .size:           8
        .value_kind:     global_buffer
      - .actual_access:  read_only
        .address_space:  global
        .offset:         32
        .size:           8
        .value_kind:     global_buffer
      - .actual_access:  read_only
        .address_space:  global
        .offset:         40
        .size:           8
        .value_kind:     global_buffer
      - .actual_access:  read_only
        .address_space:  global
        .offset:         48
        .size:           8
        .value_kind:     global_buffer
      - .actual_access:  read_only
        .address_space:  global
        .offset:         56
        .size:           8
        .value_kind:     global_buffer
      - .actual_access:  read_only
        .address_space:  global
        .offset:         64
        .size:           8
        .value_kind:     global_buffer
      - .actual_access:  read_only
        .address_space:  global
        .offset:         72
        .size:           8
        .value_kind:     global_buffer
      - .offset:         80
        .size:           4
        .value_kind:     by_value
      - .offset:         84
        .size:           4
        .value_kind:     by_value
      - .offset:         88
        .size:           4
        .value_kind:     by_value
      - .offset:         92
        .size:           4
        .value_kind:     by_value
      - .offset:         96
        .size:           4
        .value_kind:     by_value
      - .offset:         100
        .size:           4
        .value_kind:     by_value
      - .offset:         104
        .size:           4
        .value_kind:     by_value
      - .offset:         108
        .size:           4
        .value_kind:     by_value
      - .offset:         112
        .size:           4
        .value_kind:     by_value
      - .offset:         116
        .size:           4
        .value_kind:     by_value
      - .offset:         120
        .size:           4
        .value_kind:     by_value
      - .offset:         124
        .size:           4
        .value_kind:     by_value
      - .offset:         128
        .size:           4
        .value_kind:     by_value
      - .offset:         132
        .size:           4
        .value_kind:     by_value
      - .offset:         136
        .size:           4
        .value_kind:     by_value
      - .offset:         144
        .size:           4
        .value_kind:     hidden_block_count_x
      - .offset:         148
        .size:           4
        .value_kind:     hidden_block_count_y
      - .offset:         152
        .size:           4
        .value_kind:     hidden_block_count_z
      - .offset:         156
        .size:           2
        .value_kind:     hidden_group_size_x
      - .offset:         158
        .size:           2
        .value_kind:     hidden_group_size_y
      - .offset:         160
        .size:           2
        .value_kind:     hidden_group_size_z
      - .offset:         162
        .size:           2
        .value_kind:     hidden_remainder_x
      - .offset:         164
        .size:           2
        .value_kind:     hidden_remainder_y
      - .offset:         166
        .size:           2
        .value_kind:     hidden_remainder_z
      - .offset:         184
        .size:           8
        .value_kind:     hidden_global_offset_x
      - .offset:         192
        .size:           8
        .value_kind:     hidden_global_offset_y
      - .offset:         200
        .size:           8
        .value_kind:     hidden_global_offset_z
      - .offset:         208
        .size:           2
        .value_kind:     hidden_grid_dims
    .group_segment_fixed_size: 32
    .kernarg_segment_align: 8
    .kernarg_segment_size: 400
    .language:       OpenCL C
    .language_version:
      - 2
      - 0
    .max_flat_workgroup_size: 1024
    .name:           _ZN5aiter35fused_qk_rmsnorm_group_quant_kernelItDB8_Li256ELi8ELi4ELb0ELb1ELb1ELb0ELb0ELb0EEEvPT0_PvPT_S6_S6_PKS5_S8_S8_S8_S8_ffiiiiiiiiiiiii
    .private_segment_fixed_size: 0
    .sgpr_count:     40
    .sgpr_spill_count: 0
    .symbol:         _ZN5aiter35fused_qk_rmsnorm_group_quant_kernelItDB8_Li256ELi8ELi4ELb0ELb1ELb1ELb0ELb0ELb0EEEvPT0_PvPT_S6_S6_PKS5_S8_S8_S8_S8_ffiiiiiiiiiiiii.kd
    .uniform_work_group_size: 1
    .uses_dynamic_stack: false
    .vgpr_count:     24
    .vgpr_spill_count: 0
    .wavefront_size: 64
  - .agpr_count:     0
    .args:
      - .actual_access:  write_only
        .address_space:  global
        .offset:         0
        .size:           8
        .value_kind:     global_buffer
      - .actual_access:  write_only
        .address_space:  global
        .offset:         8
        .size:           8
        .value_kind:     global_buffer
      - .actual_access:  write_only
        .address_space:  global
        .offset:         16
        .size:           8
        .value_kind:     global_buffer
      - .actual_access:  write_only
        .address_space:  global
        .offset:         24
        .size:           8
        .value_kind:     global_buffer
      - .actual_access:  read_only
        .address_space:  global
        .offset:         32
        .size:           8
        .value_kind:     global_buffer
      - .actual_access:  read_only
        .address_space:  global
        .offset:         40
        .size:           8
        .value_kind:     global_buffer
      - .actual_access:  read_only
        .address_space:  global
        .offset:         48
        .size:           8
        .value_kind:     global_buffer
      - .actual_access:  read_only
        .address_space:  global
        .offset:         56
        .size:           8
        .value_kind:     global_buffer
      - .actual_access:  read_only
        .address_space:  global
        .offset:         64
        .size:           8
        .value_kind:     global_buffer
      - .actual_access:  read_only
        .address_space:  global
        .offset:         72
        .size:           8
        .value_kind:     global_buffer
      - .offset:         80
        .size:           4
        .value_kind:     by_value
      - .offset:         84
        .size:           4
        .value_kind:     by_value
      - .offset:         88
        .size:           4
        .value_kind:     by_value
      - .offset:         92
        .size:           4
        .value_kind:     by_value
      - .offset:         96
        .size:           4
        .value_kind:     by_value
      - .offset:         100
        .size:           4
        .value_kind:     by_value
      - .offset:         104
        .size:           4
        .value_kind:     by_value
      - .offset:         108
        .size:           4
        .value_kind:     by_value
      - .offset:         112
        .size:           4
        .value_kind:     by_value
      - .offset:         116
        .size:           4
        .value_kind:     by_value
      - .offset:         120
        .size:           4
        .value_kind:     by_value
      - .offset:         124
        .size:           4
        .value_kind:     by_value
      - .offset:         128
        .size:           4
        .value_kind:     by_value
      - .offset:         132
        .size:           4
        .value_kind:     by_value
      - .offset:         136
        .size:           4
        .value_kind:     by_value
      - .offset:         144
        .size:           4
        .value_kind:     hidden_block_count_x
      - .offset:         148
        .size:           4
        .value_kind:     hidden_block_count_y
      - .offset:         152
        .size:           4
        .value_kind:     hidden_block_count_z
      - .offset:         156
        .size:           2
        .value_kind:     hidden_group_size_x
      - .offset:         158
        .size:           2
        .value_kind:     hidden_group_size_y
      - .offset:         160
        .size:           2
        .value_kind:     hidden_group_size_z
      - .offset:         162
        .size:           2
        .value_kind:     hidden_remainder_x
      - .offset:         164
        .size:           2
        .value_kind:     hidden_remainder_y
      - .offset:         166
        .size:           2
        .value_kind:     hidden_remainder_z
      - .offset:         184
        .size:           8
        .value_kind:     hidden_global_offset_x
      - .offset:         192
        .size:           8
        .value_kind:     hidden_global_offset_y
      - .offset:         200
        .size:           8
        .value_kind:     hidden_global_offset_z
      - .offset:         208
        .size:           2
        .value_kind:     hidden_grid_dims
    .group_segment_fixed_size: 32
    .kernarg_segment_align: 8
    .kernarg_segment_size: 400
    .language:       OpenCL C
    .language_version:
      - 2
      - 0
    .max_flat_workgroup_size: 1024
    .name:           _ZN5aiter35fused_qk_rmsnorm_group_quant_kernelIDF16_N4opus5fp4_tELi256ELi8ELi4ELb0ELb1ELb1ELb0ELb0ELb0EEEvPT0_PvPT_S7_S7_PKS6_S9_S9_S9_S9_ffiiiiiiiiiiiii
    .private_segment_fixed_size: 0
    .sgpr_count:     40
    .sgpr_spill_count: 0
    .symbol:         _ZN5aiter35fused_qk_rmsnorm_group_quant_kernelIDF16_N4opus5fp4_tELi256ELi8ELi4ELb0ELb1ELb1ELb0ELb0ELb0EEEvPT0_PvPT_S7_S7_PKS6_S9_S9_S9_S9_ffiiiiiiiiiiiii.kd
    .uniform_work_group_size: 1
    .uses_dynamic_stack: false
    .vgpr_count:     24
    .vgpr_spill_count: 0
    .wavefront_size: 64
  - .agpr_count:     0
    .args:
      - .actual_access:  write_only
        .address_space:  global
        .offset:         0
        .size:           8
        .value_kind:     global_buffer
      - .actual_access:  write_only
        .address_space:  global
        .offset:         8
        .size:           8
        .value_kind:     global_buffer
      - .actual_access:  write_only
        .address_space:  global
        .offset:         16
        .size:           8
        .value_kind:     global_buffer
      - .actual_access:  write_only
        .address_space:  global
        .offset:         24
        .size:           8
        .value_kind:     global_buffer
      - .actual_access:  read_only
        .address_space:  global
        .offset:         32
        .size:           8
        .value_kind:     global_buffer
      - .actual_access:  read_only
        .address_space:  global
        .offset:         40
        .size:           8
        .value_kind:     global_buffer
      - .actual_access:  read_only
        .address_space:  global
        .offset:         48
        .size:           8
        .value_kind:     global_buffer
      - .actual_access:  read_only
        .address_space:  global
        .offset:         56
        .size:           8
        .value_kind:     global_buffer
      - .actual_access:  read_only
        .address_space:  global
        .offset:         64
        .size:           8
        .value_kind:     global_buffer
      - .actual_access:  read_only
        .address_space:  global
        .offset:         72
        .size:           8
        .value_kind:     global_buffer
      - .offset:         80
        .size:           4
        .value_kind:     by_value
      - .offset:         84
        .size:           4
        .value_kind:     by_value
      - .offset:         88
        .size:           4
        .value_kind:     by_value
      - .offset:         92
        .size:           4
        .value_kind:     by_value
      - .offset:         96
        .size:           4
        .value_kind:     by_value
      - .offset:         100
        .size:           4
        .value_kind:     by_value
      - .offset:         104
        .size:           4
        .value_kind:     by_value
      - .offset:         108
        .size:           4
        .value_kind:     by_value
      - .offset:         112
        .size:           4
        .value_kind:     by_value
      - .offset:         116
        .size:           4
        .value_kind:     by_value
      - .offset:         120
        .size:           4
        .value_kind:     by_value
      - .offset:         124
        .size:           4
        .value_kind:     by_value
      - .offset:         128
        .size:           4
        .value_kind:     by_value
      - .offset:         132
        .size:           4
        .value_kind:     by_value
      - .offset:         136
        .size:           4
        .value_kind:     by_value
      - .offset:         144
        .size:           4
        .value_kind:     hidden_block_count_x
      - .offset:         148
        .size:           4
        .value_kind:     hidden_block_count_y
      - .offset:         152
        .size:           4
        .value_kind:     hidden_block_count_z
      - .offset:         156
        .size:           2
        .value_kind:     hidden_group_size_x
      - .offset:         158
        .size:           2
        .value_kind:     hidden_group_size_y
      - .offset:         160
        .size:           2
        .value_kind:     hidden_group_size_z
      - .offset:         162
        .size:           2
        .value_kind:     hidden_remainder_x
      - .offset:         164
        .size:           2
        .value_kind:     hidden_remainder_y
      - .offset:         166
        .size:           2
        .value_kind:     hidden_remainder_z
      - .offset:         184
        .size:           8
        .value_kind:     hidden_global_offset_x
      - .offset:         192
        .size:           8
        .value_kind:     hidden_global_offset_y
      - .offset:         200
        .size:           8
        .value_kind:     hidden_global_offset_z
      - .offset:         208
        .size:           2
        .value_kind:     hidden_grid_dims
    .group_segment_fixed_size: 32
    .kernarg_segment_align: 8
    .kernarg_segment_size: 400
    .language:       OpenCL C
    .language_version:
      - 2
      - 0
    .max_flat_workgroup_size: 1024
    .name:           _ZN5aiter35fused_qk_rmsnorm_group_quant_kernelItN4opus5fp4_tELi256ELi8ELi4ELb0ELb1ELb1ELb0ELb0ELb0EEEvPT0_PvPT_S7_S7_PKS6_S9_S9_S9_S9_ffiiiiiiiiiiiii
    .private_segment_fixed_size: 0
    .sgpr_count:     40
    .sgpr_spill_count: 0
    .symbol:         _ZN5aiter35fused_qk_rmsnorm_group_quant_kernelItN4opus5fp4_tELi256ELi8ELi4ELb0ELb1ELb1ELb0ELb0ELb0EEEvPT0_PvPT_S7_S7_PKS6_S9_S9_S9_S9_ffiiiiiiiiiiiii.kd
    .uniform_work_group_size: 1
    .uses_dynamic_stack: false
    .vgpr_count:     24
    .vgpr_spill_count: 0
    .wavefront_size: 64
  - .agpr_count:     0
    .args:
      - .actual_access:  write_only
        .address_space:  global
        .offset:         0
        .size:           8
        .value_kind:     global_buffer
      - .actual_access:  write_only
        .address_space:  global
        .offset:         8
        .size:           8
        .value_kind:     global_buffer
      - .actual_access:  write_only
        .address_space:  global
        .offset:         16
        .size:           8
        .value_kind:     global_buffer
      - .actual_access:  write_only
        .address_space:  global
        .offset:         24
        .size:           8
        .value_kind:     global_buffer
      - .actual_access:  read_only
        .address_space:  global
        .offset:         32
        .size:           8
        .value_kind:     global_buffer
      - .actual_access:  read_only
        .address_space:  global
        .offset:         40
        .size:           8
        .value_kind:     global_buffer
      - .actual_access:  read_only
        .address_space:  global
        .offset:         48
        .size:           8
        .value_kind:     global_buffer
      - .actual_access:  read_only
        .address_space:  global
        .offset:         56
        .size:           8
        .value_kind:     global_buffer
      - .actual_access:  read_only
        .address_space:  global
        .offset:         64
        .size:           8
        .value_kind:     global_buffer
      - .actual_access:  read_only
        .address_space:  global
        .offset:         72
        .size:           8
        .value_kind:     global_buffer
      - .offset:         80
        .size:           4
        .value_kind:     by_value
      - .offset:         84
        .size:           4
        .value_kind:     by_value
      - .offset:         88
        .size:           4
        .value_kind:     by_value
      - .offset:         92
        .size:           4
        .value_kind:     by_value
      - .offset:         96
        .size:           4
        .value_kind:     by_value
      - .offset:         100
        .size:           4
        .value_kind:     by_value
      - .offset:         104
        .size:           4
        .value_kind:     by_value
      - .offset:         108
        .size:           4
        .value_kind:     by_value
      - .offset:         112
        .size:           4
        .value_kind:     by_value
      - .offset:         116
        .size:           4
        .value_kind:     by_value
      - .offset:         120
        .size:           4
        .value_kind:     by_value
      - .offset:         124
        .size:           4
        .value_kind:     by_value
      - .offset:         128
        .size:           4
        .value_kind:     by_value
      - .offset:         132
        .size:           4
        .value_kind:     by_value
      - .offset:         136
        .size:           4
        .value_kind:     by_value
      - .offset:         144
        .size:           4
        .value_kind:     hidden_block_count_x
      - .offset:         148
        .size:           4
        .value_kind:     hidden_block_count_y
      - .offset:         152
        .size:           4
        .value_kind:     hidden_block_count_z
      - .offset:         156
        .size:           2
        .value_kind:     hidden_group_size_x
      - .offset:         158
        .size:           2
        .value_kind:     hidden_group_size_y
      - .offset:         160
        .size:           2
        .value_kind:     hidden_group_size_z
      - .offset:         162
        .size:           2
        .value_kind:     hidden_remainder_x
      - .offset:         164
        .size:           2
        .value_kind:     hidden_remainder_y
      - .offset:         166
        .size:           2
        .value_kind:     hidden_remainder_z
      - .offset:         184
        .size:           8
        .value_kind:     hidden_global_offset_x
      - .offset:         192
        .size:           8
        .value_kind:     hidden_global_offset_y
      - .offset:         200
        .size:           8
        .value_kind:     hidden_global_offset_z
      - .offset:         208
        .size:           2
        .value_kind:     hidden_grid_dims
    .group_segment_fixed_size: 32
    .kernarg_segment_align: 8
    .kernarg_segment_size: 400
    .language:       OpenCL C
    .language_version:
      - 2
      - 0
    .max_flat_workgroup_size: 1024
    .name:           _ZN5aiter35fused_qk_rmsnorm_group_quant_kernelIDF16_DB8_Li256ELi8ELi4ELb0ELb1ELb0ELb0ELb0ELb0EEEvPT0_PvPT_S6_S6_PKS5_S8_S8_S8_S8_ffiiiiiiiiiiiii
    .private_segment_fixed_size: 0
    .sgpr_count:     40
    .sgpr_spill_count: 0
    .symbol:         _ZN5aiter35fused_qk_rmsnorm_group_quant_kernelIDF16_DB8_Li256ELi8ELi4ELb0ELb1ELb0ELb0ELb0ELb0EEEvPT0_PvPT_S6_S6_PKS5_S8_S8_S8_S8_ffiiiiiiiiiiiii.kd
    .uniform_work_group_size: 1
    .uses_dynamic_stack: false
    .vgpr_count:     24
    .vgpr_spill_count: 0
    .wavefront_size: 64
  - .agpr_count:     0
    .args:
      - .actual_access:  write_only
        .address_space:  global
        .offset:         0
        .size:           8
        .value_kind:     global_buffer
      - .actual_access:  write_only
        .address_space:  global
        .offset:         8
        .size:           8
        .value_kind:     global_buffer
      - .actual_access:  write_only
        .address_space:  global
        .offset:         16
        .size:           8
        .value_kind:     global_buffer
      - .actual_access:  write_only
        .address_space:  global
        .offset:         24
        .size:           8
        .value_kind:     global_buffer
      - .actual_access:  read_only
        .address_space:  global
        .offset:         32
        .size:           8
        .value_kind:     global_buffer
      - .actual_access:  read_only
        .address_space:  global
        .offset:         40
        .size:           8
        .value_kind:     global_buffer
      - .actual_access:  read_only
        .address_space:  global
        .offset:         48
        .size:           8
        .value_kind:     global_buffer
      - .actual_access:  read_only
        .address_space:  global
        .offset:         56
        .size:           8
        .value_kind:     global_buffer
      - .actual_access:  read_only
        .address_space:  global
        .offset:         64
        .size:           8
        .value_kind:     global_buffer
      - .actual_access:  read_only
        .address_space:  global
        .offset:         72
        .size:           8
        .value_kind:     global_buffer
      - .offset:         80
        .size:           4
        .value_kind:     by_value
      - .offset:         84
        .size:           4
        .value_kind:     by_value
      - .offset:         88
        .size:           4
        .value_kind:     by_value
      - .offset:         92
        .size:           4
        .value_kind:     by_value
      - .offset:         96
        .size:           4
        .value_kind:     by_value
      - .offset:         100
        .size:           4
        .value_kind:     by_value
      - .offset:         104
        .size:           4
        .value_kind:     by_value
      - .offset:         108
        .size:           4
        .value_kind:     by_value
      - .offset:         112
        .size:           4
        .value_kind:     by_value
      - .offset:         116
        .size:           4
        .value_kind:     by_value
      - .offset:         120
        .size:           4
        .value_kind:     by_value
      - .offset:         124
        .size:           4
        .value_kind:     by_value
      - .offset:         128
        .size:           4
        .value_kind:     by_value
      - .offset:         132
        .size:           4
        .value_kind:     by_value
      - .offset:         136
        .size:           4
        .value_kind:     by_value
      - .offset:         144
        .size:           4
        .value_kind:     hidden_block_count_x
      - .offset:         148
        .size:           4
        .value_kind:     hidden_block_count_y
      - .offset:         152
        .size:           4
        .value_kind:     hidden_block_count_z
      - .offset:         156
        .size:           2
        .value_kind:     hidden_group_size_x
      - .offset:         158
        .size:           2
        .value_kind:     hidden_group_size_y
      - .offset:         160
        .size:           2
        .value_kind:     hidden_group_size_z
      - .offset:         162
        .size:           2
        .value_kind:     hidden_remainder_x
      - .offset:         164
        .size:           2
        .value_kind:     hidden_remainder_y
      - .offset:         166
        .size:           2
        .value_kind:     hidden_remainder_z
      - .offset:         184
        .size:           8
        .value_kind:     hidden_global_offset_x
      - .offset:         192
        .size:           8
        .value_kind:     hidden_global_offset_y
      - .offset:         200
        .size:           8
        .value_kind:     hidden_global_offset_z
      - .offset:         208
        .size:           2
        .value_kind:     hidden_grid_dims
    .group_segment_fixed_size: 32
    .kernarg_segment_align: 8
    .kernarg_segment_size: 400
    .language:       OpenCL C
    .language_version:
      - 2
      - 0
    .max_flat_workgroup_size: 1024
    .name:           _ZN5aiter35fused_qk_rmsnorm_group_quant_kernelItDB8_Li256ELi8ELi4ELb0ELb1ELb0ELb0ELb0ELb0EEEvPT0_PvPT_S6_S6_PKS5_S8_S8_S8_S8_ffiiiiiiiiiiiii
    .private_segment_fixed_size: 0
    .sgpr_count:     40
    .sgpr_spill_count: 0
    .symbol:         _ZN5aiter35fused_qk_rmsnorm_group_quant_kernelItDB8_Li256ELi8ELi4ELb0ELb1ELb0ELb0ELb0ELb0EEEvPT0_PvPT_S6_S6_PKS5_S8_S8_S8_S8_ffiiiiiiiiiiiii.kd
    .uniform_work_group_size: 1
    .uses_dynamic_stack: false
    .vgpr_count:     24
    .vgpr_spill_count: 0
    .wavefront_size: 64
  - .agpr_count:     0
    .args:
      - .actual_access:  write_only
        .address_space:  global
        .offset:         0
        .size:           8
        .value_kind:     global_buffer
      - .actual_access:  write_only
        .address_space:  global
        .offset:         8
        .size:           8
        .value_kind:     global_buffer
      - .actual_access:  write_only
        .address_space:  global
        .offset:         16
        .size:           8
        .value_kind:     global_buffer
      - .actual_access:  write_only
        .address_space:  global
        .offset:         24
        .size:           8
        .value_kind:     global_buffer
      - .actual_access:  read_only
        .address_space:  global
        .offset:         32
        .size:           8
        .value_kind:     global_buffer
      - .actual_access:  read_only
        .address_space:  global
        .offset:         40
        .size:           8
        .value_kind:     global_buffer
      - .actual_access:  read_only
        .address_space:  global
        .offset:         48
        .size:           8
        .value_kind:     global_buffer
      - .actual_access:  read_only
        .address_space:  global
        .offset:         56
        .size:           8
        .value_kind:     global_buffer
      - .actual_access:  read_only
        .address_space:  global
        .offset:         64
        .size:           8
        .value_kind:     global_buffer
      - .actual_access:  read_only
        .address_space:  global
        .offset:         72
        .size:           8
        .value_kind:     global_buffer
      - .offset:         80
        .size:           4
        .value_kind:     by_value
      - .offset:         84
        .size:           4
        .value_kind:     by_value
      - .offset:         88
        .size:           4
        .value_kind:     by_value
      - .offset:         92
        .size:           4
        .value_kind:     by_value
      - .offset:         96
        .size:           4
        .value_kind:     by_value
      - .offset:         100
        .size:           4
        .value_kind:     by_value
      - .offset:         104
        .size:           4
        .value_kind:     by_value
      - .offset:         108
        .size:           4
        .value_kind:     by_value
      - .offset:         112
        .size:           4
        .value_kind:     by_value
      - .offset:         116
        .size:           4
        .value_kind:     by_value
      - .offset:         120
        .size:           4
        .value_kind:     by_value
      - .offset:         124
        .size:           4
        .value_kind:     by_value
      - .offset:         128
        .size:           4
        .value_kind:     by_value
      - .offset:         132
        .size:           4
        .value_kind:     by_value
      - .offset:         136
        .size:           4
        .value_kind:     by_value
      - .offset:         144
        .size:           4
        .value_kind:     hidden_block_count_x
      - .offset:         148
        .size:           4
        .value_kind:     hidden_block_count_y
      - .offset:         152
        .size:           4
        .value_kind:     hidden_block_count_z
      - .offset:         156
        .size:           2
        .value_kind:     hidden_group_size_x
      - .offset:         158
        .size:           2
        .value_kind:     hidden_group_size_y
      - .offset:         160
        .size:           2
        .value_kind:     hidden_group_size_z
      - .offset:         162
        .size:           2
        .value_kind:     hidden_remainder_x
      - .offset:         164
        .size:           2
        .value_kind:     hidden_remainder_y
      - .offset:         166
        .size:           2
        .value_kind:     hidden_remainder_z
      - .offset:         184
        .size:           8
        .value_kind:     hidden_global_offset_x
      - .offset:         192
        .size:           8
        .value_kind:     hidden_global_offset_y
      - .offset:         200
        .size:           8
        .value_kind:     hidden_global_offset_z
      - .offset:         208
        .size:           2
        .value_kind:     hidden_grid_dims
    .group_segment_fixed_size: 32
    .kernarg_segment_align: 8
    .kernarg_segment_size: 400
    .language:       OpenCL C
    .language_version:
      - 2
      - 0
    .max_flat_workgroup_size: 1024
    .name:           _ZN5aiter35fused_qk_rmsnorm_group_quant_kernelIDF16_N4opus5fp4_tELi256ELi8ELi4ELb0ELb1ELb0ELb0ELb0ELb0EEEvPT0_PvPT_S7_S7_PKS6_S9_S9_S9_S9_ffiiiiiiiiiiiii
    .private_segment_fixed_size: 0
    .sgpr_count:     40
    .sgpr_spill_count: 0
    .symbol:         _ZN5aiter35fused_qk_rmsnorm_group_quant_kernelIDF16_N4opus5fp4_tELi256ELi8ELi4ELb0ELb1ELb0ELb0ELb0ELb0EEEvPT0_PvPT_S7_S7_PKS6_S9_S9_S9_S9_ffiiiiiiiiiiiii.kd
    .uniform_work_group_size: 1
    .uses_dynamic_stack: false
    .vgpr_count:     24
    .vgpr_spill_count: 0
    .wavefront_size: 64
  - .agpr_count:     0
    .args:
      - .actual_access:  write_only
        .address_space:  global
        .offset:         0
        .size:           8
        .value_kind:     global_buffer
      - .actual_access:  write_only
        .address_space:  global
        .offset:         8
        .size:           8
        .value_kind:     global_buffer
      - .actual_access:  write_only
        .address_space:  global
        .offset:         16
        .size:           8
        .value_kind:     global_buffer
      - .actual_access:  write_only
        .address_space:  global
        .offset:         24
        .size:           8
        .value_kind:     global_buffer
      - .actual_access:  read_only
        .address_space:  global
        .offset:         32
        .size:           8
        .value_kind:     global_buffer
      - .actual_access:  read_only
        .address_space:  global
        .offset:         40
        .size:           8
        .value_kind:     global_buffer
      - .actual_access:  read_only
        .address_space:  global
        .offset:         48
        .size:           8
        .value_kind:     global_buffer
      - .actual_access:  read_only
        .address_space:  global
        .offset:         56
        .size:           8
        .value_kind:     global_buffer
      - .actual_access:  read_only
        .address_space:  global
        .offset:         64
        .size:           8
        .value_kind:     global_buffer
      - .actual_access:  read_only
        .address_space:  global
        .offset:         72
        .size:           8
        .value_kind:     global_buffer
      - .offset:         80
        .size:           4
        .value_kind:     by_value
      - .offset:         84
        .size:           4
        .value_kind:     by_value
      - .offset:         88
        .size:           4
        .value_kind:     by_value
      - .offset:         92
        .size:           4
        .value_kind:     by_value
      - .offset:         96
        .size:           4
        .value_kind:     by_value
      - .offset:         100
        .size:           4
        .value_kind:     by_value
      - .offset:         104
        .size:           4
        .value_kind:     by_value
      - .offset:         108
        .size:           4
        .value_kind:     by_value
      - .offset:         112
        .size:           4
        .value_kind:     by_value
      - .offset:         116
        .size:           4
        .value_kind:     by_value
      - .offset:         120
        .size:           4
        .value_kind:     by_value
      - .offset:         124
        .size:           4
        .value_kind:     by_value
      - .offset:         128
        .size:           4
        .value_kind:     by_value
      - .offset:         132
        .size:           4
        .value_kind:     by_value
      - .offset:         136
        .size:           4
        .value_kind:     by_value
      - .offset:         144
        .size:           4
        .value_kind:     hidden_block_count_x
      - .offset:         148
        .size:           4
        .value_kind:     hidden_block_count_y
      - .offset:         152
        .size:           4
        .value_kind:     hidden_block_count_z
      - .offset:         156
        .size:           2
        .value_kind:     hidden_group_size_x
      - .offset:         158
        .size:           2
        .value_kind:     hidden_group_size_y
      - .offset:         160
        .size:           2
        .value_kind:     hidden_group_size_z
      - .offset:         162
        .size:           2
        .value_kind:     hidden_remainder_x
      - .offset:         164
        .size:           2
        .value_kind:     hidden_remainder_y
      - .offset:         166
        .size:           2
        .value_kind:     hidden_remainder_z
      - .offset:         184
        .size:           8
        .value_kind:     hidden_global_offset_x
      - .offset:         192
        .size:           8
        .value_kind:     hidden_global_offset_y
      - .offset:         200
        .size:           8
        .value_kind:     hidden_global_offset_z
      - .offset:         208
        .size:           2
        .value_kind:     hidden_grid_dims
    .group_segment_fixed_size: 32
    .kernarg_segment_align: 8
    .kernarg_segment_size: 400
    .language:       OpenCL C
    .language_version:
      - 2
      - 0
    .max_flat_workgroup_size: 1024
    .name:           _ZN5aiter35fused_qk_rmsnorm_group_quant_kernelItN4opus5fp4_tELi256ELi8ELi4ELb0ELb1ELb0ELb0ELb0ELb0EEEvPT0_PvPT_S7_S7_PKS6_S9_S9_S9_S9_ffiiiiiiiiiiiii
    .private_segment_fixed_size: 0
    .sgpr_count:     40
    .sgpr_spill_count: 0
    .symbol:         _ZN5aiter35fused_qk_rmsnorm_group_quant_kernelItN4opus5fp4_tELi256ELi8ELi4ELb0ELb1ELb0ELb0ELb0ELb0EEEvPT0_PvPT_S7_S7_PKS6_S9_S9_S9_S9_ffiiiiiiiiiiiii.kd
    .uniform_work_group_size: 1
    .uses_dynamic_stack: false
    .vgpr_count:     24
    .vgpr_spill_count: 0
    .wavefront_size: 64
  - .agpr_count:     0
    .args:
      - .actual_access:  write_only
        .address_space:  global
        .offset:         0
        .size:           8
        .value_kind:     global_buffer
      - .actual_access:  write_only
        .address_space:  global
        .offset:         8
        .size:           8
        .value_kind:     global_buffer
      - .actual_access:  read_only
        .address_space:  global
        .offset:         16
        .size:           8
        .value_kind:     global_buffer
      - .actual_access:  write_only
        .address_space:  global
        .offset:         24
        .size:           8
        .value_kind:     global_buffer
      - .actual_access:  read_only
        .address_space:  global
        .offset:         32
        .size:           8
        .value_kind:     global_buffer
      - .actual_access:  read_only
        .address_space:  global
        .offset:         40
        .size:           8
        .value_kind:     global_buffer
      - .actual_access:  read_only
        .address_space:  global
        .offset:         48
        .size:           8
        .value_kind:     global_buffer
      - .actual_access:  read_only
        .address_space:  global
        .offset:         56
        .size:           8
        .value_kind:     global_buffer
      - .actual_access:  read_only
        .address_space:  global
        .offset:         64
        .size:           8
        .value_kind:     global_buffer
      - .actual_access:  read_only
        .address_space:  global
        .offset:         72
        .size:           8
        .value_kind:     global_buffer
      - .offset:         80
        .size:           4
        .value_kind:     by_value
      - .offset:         84
        .size:           4
        .value_kind:     by_value
      - .offset:         88
        .size:           4
        .value_kind:     by_value
      - .offset:         92
        .size:           4
        .value_kind:     by_value
      - .offset:         96
        .size:           4
        .value_kind:     by_value
      - .offset:         100
        .size:           4
        .value_kind:     by_value
      - .offset:         104
        .size:           4
        .value_kind:     by_value
      - .offset:         108
        .size:           4
        .value_kind:     by_value
      - .offset:         112
        .size:           4
        .value_kind:     by_value
      - .offset:         116
        .size:           4
        .value_kind:     by_value
      - .offset:         120
        .size:           4
        .value_kind:     by_value
      - .offset:         124
        .size:           4
        .value_kind:     by_value
      - .offset:         128
        .size:           4
        .value_kind:     by_value
      - .offset:         132
        .size:           4
        .value_kind:     by_value
      - .offset:         136
        .size:           4
        .value_kind:     by_value
      - .offset:         144
        .size:           4
        .value_kind:     hidden_block_count_x
      - .offset:         148
        .size:           4
        .value_kind:     hidden_block_count_y
      - .offset:         152
        .size:           4
        .value_kind:     hidden_block_count_z
      - .offset:         156
        .size:           2
        .value_kind:     hidden_group_size_x
      - .offset:         158
        .size:           2
        .value_kind:     hidden_group_size_y
      - .offset:         160
        .size:           2
        .value_kind:     hidden_group_size_z
      - .offset:         162
        .size:           2
        .value_kind:     hidden_remainder_x
      - .offset:         164
        .size:           2
        .value_kind:     hidden_remainder_y
      - .offset:         166
        .size:           2
        .value_kind:     hidden_remainder_z
      - .offset:         184
        .size:           8
        .value_kind:     hidden_global_offset_x
      - .offset:         192
        .size:           8
        .value_kind:     hidden_global_offset_y
      - .offset:         200
        .size:           8
        .value_kind:     hidden_global_offset_z
      - .offset:         208
        .size:           2
        .value_kind:     hidden_grid_dims
    .group_segment_fixed_size: 32
    .kernarg_segment_align: 8
    .kernarg_segment_size: 400
    .language:       OpenCL C
    .language_version:
      - 2
      - 0
    .max_flat_workgroup_size: 1024
    .name:           _ZN5aiter35fused_qk_rmsnorm_group_quant_kernelIDF16_DB8_Li256ELi8ELi4ELb0ELb0ELb1ELb0ELb0ELb0EEEvPT0_PvPT_S6_S6_PKS5_S8_S8_S8_S8_ffiiiiiiiiiiiii
    .private_segment_fixed_size: 0
    .sgpr_count:     36
    .sgpr_spill_count: 0
    .symbol:         _ZN5aiter35fused_qk_rmsnorm_group_quant_kernelIDF16_DB8_Li256ELi8ELi4ELb0ELb0ELb1ELb0ELb0ELb0EEEvPT0_PvPT_S6_S6_PKS5_S8_S8_S8_S8_ffiiiiiiiiiiiii.kd
    .uniform_work_group_size: 1
    .uses_dynamic_stack: false
    .vgpr_count:     24
    .vgpr_spill_count: 0
    .wavefront_size: 64
  - .agpr_count:     0
    .args:
      - .actual_access:  write_only
        .address_space:  global
        .offset:         0
        .size:           8
        .value_kind:     global_buffer
      - .actual_access:  write_only
        .address_space:  global
        .offset:         8
        .size:           8
        .value_kind:     global_buffer
      - .actual_access:  read_only
        .address_space:  global
        .offset:         16
        .size:           8
        .value_kind:     global_buffer
      - .actual_access:  write_only
        .address_space:  global
        .offset:         24
        .size:           8
        .value_kind:     global_buffer
      - .actual_access:  read_only
        .address_space:  global
        .offset:         32
        .size:           8
        .value_kind:     global_buffer
      - .actual_access:  read_only
        .address_space:  global
        .offset:         40
        .size:           8
        .value_kind:     global_buffer
      - .actual_access:  read_only
        .address_space:  global
        .offset:         48
        .size:           8
        .value_kind:     global_buffer
      - .actual_access:  read_only
        .address_space:  global
        .offset:         56
        .size:           8
        .value_kind:     global_buffer
      - .actual_access:  read_only
        .address_space:  global
        .offset:         64
        .size:           8
        .value_kind:     global_buffer
      - .actual_access:  read_only
        .address_space:  global
        .offset:         72
        .size:           8
        .value_kind:     global_buffer
      - .offset:         80
        .size:           4
        .value_kind:     by_value
      - .offset:         84
        .size:           4
        .value_kind:     by_value
      - .offset:         88
        .size:           4
        .value_kind:     by_value
      - .offset:         92
        .size:           4
        .value_kind:     by_value
      - .offset:         96
        .size:           4
        .value_kind:     by_value
      - .offset:         100
        .size:           4
        .value_kind:     by_value
      - .offset:         104
        .size:           4
        .value_kind:     by_value
      - .offset:         108
        .size:           4
        .value_kind:     by_value
      - .offset:         112
        .size:           4
        .value_kind:     by_value
      - .offset:         116
        .size:           4
        .value_kind:     by_value
      - .offset:         120
        .size:           4
        .value_kind:     by_value
      - .offset:         124
        .size:           4
        .value_kind:     by_value
      - .offset:         128
        .size:           4
        .value_kind:     by_value
      - .offset:         132
        .size:           4
        .value_kind:     by_value
      - .offset:         136
        .size:           4
        .value_kind:     by_value
      - .offset:         144
        .size:           4
        .value_kind:     hidden_block_count_x
      - .offset:         148
        .size:           4
        .value_kind:     hidden_block_count_y
      - .offset:         152
        .size:           4
        .value_kind:     hidden_block_count_z
      - .offset:         156
        .size:           2
        .value_kind:     hidden_group_size_x
      - .offset:         158
        .size:           2
        .value_kind:     hidden_group_size_y
      - .offset:         160
        .size:           2
        .value_kind:     hidden_group_size_z
      - .offset:         162
        .size:           2
        .value_kind:     hidden_remainder_x
      - .offset:         164
        .size:           2
        .value_kind:     hidden_remainder_y
      - .offset:         166
        .size:           2
        .value_kind:     hidden_remainder_z
      - .offset:         184
        .size:           8
        .value_kind:     hidden_global_offset_x
      - .offset:         192
        .size:           8
        .value_kind:     hidden_global_offset_y
      - .offset:         200
        .size:           8
        .value_kind:     hidden_global_offset_z
      - .offset:         208
        .size:           2
        .value_kind:     hidden_grid_dims
    .group_segment_fixed_size: 32
    .kernarg_segment_align: 8
    .kernarg_segment_size: 400
    .language:       OpenCL C
    .language_version:
      - 2
      - 0
    .max_flat_workgroup_size: 1024
    .name:           _ZN5aiter35fused_qk_rmsnorm_group_quant_kernelItDB8_Li256ELi8ELi4ELb0ELb0ELb1ELb0ELb0ELb0EEEvPT0_PvPT_S6_S6_PKS5_S8_S8_S8_S8_ffiiiiiiiiiiiii
    .private_segment_fixed_size: 0
    .sgpr_count:     36
    .sgpr_spill_count: 0
    .symbol:         _ZN5aiter35fused_qk_rmsnorm_group_quant_kernelItDB8_Li256ELi8ELi4ELb0ELb0ELb1ELb0ELb0ELb0EEEvPT0_PvPT_S6_S6_PKS5_S8_S8_S8_S8_ffiiiiiiiiiiiii.kd
    .uniform_work_group_size: 1
    .uses_dynamic_stack: false
    .vgpr_count:     24
    .vgpr_spill_count: 0
    .wavefront_size: 64
  - .agpr_count:     0
    .args:
      - .actual_access:  write_only
        .address_space:  global
        .offset:         0
        .size:           8
        .value_kind:     global_buffer
      - .actual_access:  write_only
        .address_space:  global
        .offset:         8
        .size:           8
        .value_kind:     global_buffer
      - .actual_access:  read_only
        .address_space:  global
        .offset:         16
        .size:           8
        .value_kind:     global_buffer
      - .actual_access:  write_only
        .address_space:  global
        .offset:         24
        .size:           8
        .value_kind:     global_buffer
      - .actual_access:  read_only
        .address_space:  global
        .offset:         32
        .size:           8
        .value_kind:     global_buffer
      - .actual_access:  read_only
        .address_space:  global
        .offset:         40
        .size:           8
        .value_kind:     global_buffer
      - .actual_access:  read_only
        .address_space:  global
        .offset:         48
        .size:           8
        .value_kind:     global_buffer
      - .actual_access:  read_only
        .address_space:  global
        .offset:         56
        .size:           8
        .value_kind:     global_buffer
      - .actual_access:  read_only
        .address_space:  global
        .offset:         64
        .size:           8
        .value_kind:     global_buffer
      - .actual_access:  read_only
        .address_space:  global
        .offset:         72
        .size:           8
        .value_kind:     global_buffer
      - .offset:         80
        .size:           4
        .value_kind:     by_value
      - .offset:         84
        .size:           4
        .value_kind:     by_value
      - .offset:         88
        .size:           4
        .value_kind:     by_value
      - .offset:         92
        .size:           4
        .value_kind:     by_value
      - .offset:         96
        .size:           4
        .value_kind:     by_value
      - .offset:         100
        .size:           4
        .value_kind:     by_value
      - .offset:         104
        .size:           4
        .value_kind:     by_value
      - .offset:         108
        .size:           4
        .value_kind:     by_value
      - .offset:         112
        .size:           4
        .value_kind:     by_value
      - .offset:         116
        .size:           4
        .value_kind:     by_value
      - .offset:         120
        .size:           4
        .value_kind:     by_value
      - .offset:         124
        .size:           4
        .value_kind:     by_value
      - .offset:         128
        .size:           4
        .value_kind:     by_value
      - .offset:         132
        .size:           4
        .value_kind:     by_value
      - .offset:         136
        .size:           4
        .value_kind:     by_value
      - .offset:         144
        .size:           4
        .value_kind:     hidden_block_count_x
      - .offset:         148
        .size:           4
        .value_kind:     hidden_block_count_y
      - .offset:         152
        .size:           4
        .value_kind:     hidden_block_count_z
      - .offset:         156
        .size:           2
        .value_kind:     hidden_group_size_x
      - .offset:         158
        .size:           2
        .value_kind:     hidden_group_size_y
      - .offset:         160
        .size:           2
        .value_kind:     hidden_group_size_z
      - .offset:         162
        .size:           2
        .value_kind:     hidden_remainder_x
      - .offset:         164
        .size:           2
        .value_kind:     hidden_remainder_y
      - .offset:         166
        .size:           2
        .value_kind:     hidden_remainder_z
      - .offset:         184
        .size:           8
        .value_kind:     hidden_global_offset_x
      - .offset:         192
        .size:           8
        .value_kind:     hidden_global_offset_y
      - .offset:         200
        .size:           8
        .value_kind:     hidden_global_offset_z
      - .offset:         208
        .size:           2
        .value_kind:     hidden_grid_dims
    .group_segment_fixed_size: 32
    .kernarg_segment_align: 8
    .kernarg_segment_size: 400
    .language:       OpenCL C
    .language_version:
      - 2
      - 0
    .max_flat_workgroup_size: 1024
    .name:           _ZN5aiter35fused_qk_rmsnorm_group_quant_kernelIDF16_N4opus5fp4_tELi256ELi8ELi4ELb0ELb0ELb1ELb0ELb0ELb0EEEvPT0_PvPT_S7_S7_PKS6_S9_S9_S9_S9_ffiiiiiiiiiiiii
    .private_segment_fixed_size: 0
    .sgpr_count:     36
    .sgpr_spill_count: 0
    .symbol:         _ZN5aiter35fused_qk_rmsnorm_group_quant_kernelIDF16_N4opus5fp4_tELi256ELi8ELi4ELb0ELb0ELb1ELb0ELb0ELb0EEEvPT0_PvPT_S7_S7_PKS6_S9_S9_S9_S9_ffiiiiiiiiiiiii.kd
    .uniform_work_group_size: 1
    .uses_dynamic_stack: false
    .vgpr_count:     24
    .vgpr_spill_count: 0
    .wavefront_size: 64
  - .agpr_count:     0
    .args:
      - .actual_access:  write_only
        .address_space:  global
        .offset:         0
        .size:           8
        .value_kind:     global_buffer
      - .actual_access:  write_only
        .address_space:  global
        .offset:         8
        .size:           8
        .value_kind:     global_buffer
      - .actual_access:  read_only
        .address_space:  global
        .offset:         16
        .size:           8
        .value_kind:     global_buffer
      - .actual_access:  write_only
        .address_space:  global
        .offset:         24
        .size:           8
        .value_kind:     global_buffer
      - .actual_access:  read_only
        .address_space:  global
        .offset:         32
        .size:           8
        .value_kind:     global_buffer
      - .actual_access:  read_only
        .address_space:  global
        .offset:         40
        .size:           8
        .value_kind:     global_buffer
      - .actual_access:  read_only
        .address_space:  global
        .offset:         48
        .size:           8
        .value_kind:     global_buffer
      - .actual_access:  read_only
        .address_space:  global
        .offset:         56
        .size:           8
        .value_kind:     global_buffer
      - .actual_access:  read_only
        .address_space:  global
        .offset:         64
        .size:           8
        .value_kind:     global_buffer
      - .actual_access:  read_only
        .address_space:  global
        .offset:         72
        .size:           8
        .value_kind:     global_buffer
      - .offset:         80
        .size:           4
        .value_kind:     by_value
      - .offset:         84
        .size:           4
        .value_kind:     by_value
      - .offset:         88
        .size:           4
        .value_kind:     by_value
      - .offset:         92
        .size:           4
        .value_kind:     by_value
      - .offset:         96
        .size:           4
        .value_kind:     by_value
      - .offset:         100
        .size:           4
        .value_kind:     by_value
      - .offset:         104
        .size:           4
        .value_kind:     by_value
      - .offset:         108
        .size:           4
        .value_kind:     by_value
      - .offset:         112
        .size:           4
        .value_kind:     by_value
      - .offset:         116
        .size:           4
        .value_kind:     by_value
      - .offset:         120
        .size:           4
        .value_kind:     by_value
      - .offset:         124
        .size:           4
        .value_kind:     by_value
      - .offset:         128
        .size:           4
        .value_kind:     by_value
      - .offset:         132
        .size:           4
        .value_kind:     by_value
      - .offset:         136
        .size:           4
        .value_kind:     by_value
      - .offset:         144
        .size:           4
        .value_kind:     hidden_block_count_x
      - .offset:         148
        .size:           4
        .value_kind:     hidden_block_count_y
      - .offset:         152
        .size:           4
        .value_kind:     hidden_block_count_z
      - .offset:         156
        .size:           2
        .value_kind:     hidden_group_size_x
      - .offset:         158
        .size:           2
        .value_kind:     hidden_group_size_y
      - .offset:         160
        .size:           2
        .value_kind:     hidden_group_size_z
      - .offset:         162
        .size:           2
        .value_kind:     hidden_remainder_x
      - .offset:         164
        .size:           2
        .value_kind:     hidden_remainder_y
      - .offset:         166
        .size:           2
        .value_kind:     hidden_remainder_z
      - .offset:         184
        .size:           8
        .value_kind:     hidden_global_offset_x
      - .offset:         192
        .size:           8
        .value_kind:     hidden_global_offset_y
      - .offset:         200
        .size:           8
        .value_kind:     hidden_global_offset_z
      - .offset:         208
        .size:           2
        .value_kind:     hidden_grid_dims
    .group_segment_fixed_size: 32
    .kernarg_segment_align: 8
    .kernarg_segment_size: 400
    .language:       OpenCL C
    .language_version:
      - 2
      - 0
    .max_flat_workgroup_size: 1024
    .name:           _ZN5aiter35fused_qk_rmsnorm_group_quant_kernelItN4opus5fp4_tELi256ELi8ELi4ELb0ELb0ELb1ELb0ELb0ELb0EEEvPT0_PvPT_S7_S7_PKS6_S9_S9_S9_S9_ffiiiiiiiiiiiii
    .private_segment_fixed_size: 0
    .sgpr_count:     36
    .sgpr_spill_count: 0
    .symbol:         _ZN5aiter35fused_qk_rmsnorm_group_quant_kernelItN4opus5fp4_tELi256ELi8ELi4ELb0ELb0ELb1ELb0ELb0ELb0EEEvPT0_PvPT_S7_S7_PKS6_S9_S9_S9_S9_ffiiiiiiiiiiiii.kd
    .uniform_work_group_size: 1
    .uses_dynamic_stack: false
    .vgpr_count:     24
    .vgpr_spill_count: 0
    .wavefront_size: 64
  - .agpr_count:     0
    .args:
      - .actual_access:  write_only
        .address_space:  global
        .offset:         0
        .size:           8
        .value_kind:     global_buffer
      - .actual_access:  write_only
        .address_space:  global
        .offset:         8
        .size:           8
        .value_kind:     global_buffer
      - .actual_access:  read_only
        .address_space:  global
        .offset:         16
        .size:           8
        .value_kind:     global_buffer
      - .actual_access:  write_only
        .address_space:  global
        .offset:         24
        .size:           8
        .value_kind:     global_buffer
      - .actual_access:  read_only
        .address_space:  global
        .offset:         32
        .size:           8
        .value_kind:     global_buffer
      - .actual_access:  read_only
        .address_space:  global
        .offset:         40
        .size:           8
        .value_kind:     global_buffer
      - .actual_access:  read_only
        .address_space:  global
        .offset:         48
        .size:           8
        .value_kind:     global_buffer
      - .actual_access:  read_only
        .address_space:  global
        .offset:         56
        .size:           8
        .value_kind:     global_buffer
      - .actual_access:  read_only
        .address_space:  global
        .offset:         64
        .size:           8
        .value_kind:     global_buffer
      - .actual_access:  read_only
        .address_space:  global
        .offset:         72
        .size:           8
        .value_kind:     global_buffer
      - .offset:         80
        .size:           4
        .value_kind:     by_value
      - .offset:         84
        .size:           4
        .value_kind:     by_value
      - .offset:         88
        .size:           4
        .value_kind:     by_value
      - .offset:         92
        .size:           4
        .value_kind:     by_value
      - .offset:         96
        .size:           4
        .value_kind:     by_value
      - .offset:         100
        .size:           4
        .value_kind:     by_value
      - .offset:         104
        .size:           4
        .value_kind:     by_value
      - .offset:         108
        .size:           4
        .value_kind:     by_value
      - .offset:         112
        .size:           4
        .value_kind:     by_value
      - .offset:         116
        .size:           4
        .value_kind:     by_value
      - .offset:         120
        .size:           4
        .value_kind:     by_value
      - .offset:         124
        .size:           4
        .value_kind:     by_value
      - .offset:         128
        .size:           4
        .value_kind:     by_value
      - .offset:         132
        .size:           4
        .value_kind:     by_value
      - .offset:         136
        .size:           4
        .value_kind:     by_value
      - .offset:         144
        .size:           4
        .value_kind:     hidden_block_count_x
      - .offset:         148
        .size:           4
        .value_kind:     hidden_block_count_y
      - .offset:         152
        .size:           4
        .value_kind:     hidden_block_count_z
      - .offset:         156
        .size:           2
        .value_kind:     hidden_group_size_x
      - .offset:         158
        .size:           2
        .value_kind:     hidden_group_size_y
      - .offset:         160
        .size:           2
        .value_kind:     hidden_group_size_z
      - .offset:         162
        .size:           2
        .value_kind:     hidden_remainder_x
      - .offset:         164
        .size:           2
        .value_kind:     hidden_remainder_y
      - .offset:         166
        .size:           2
        .value_kind:     hidden_remainder_z
      - .offset:         184
        .size:           8
        .value_kind:     hidden_global_offset_x
      - .offset:         192
        .size:           8
        .value_kind:     hidden_global_offset_y
      - .offset:         200
        .size:           8
        .value_kind:     hidden_global_offset_z
      - .offset:         208
        .size:           2
        .value_kind:     hidden_grid_dims
    .group_segment_fixed_size: 32
    .kernarg_segment_align: 8
    .kernarg_segment_size: 400
    .language:       OpenCL C
    .language_version:
      - 2
      - 0
    .max_flat_workgroup_size: 1024
    .name:           _ZN5aiter35fused_qk_rmsnorm_group_quant_kernelIDF16_DB8_Li256ELi8ELi4ELb0ELb0ELb0ELb0ELb0ELb0EEEvPT0_PvPT_S6_S6_PKS5_S8_S8_S8_S8_ffiiiiiiiiiiiii
    .private_segment_fixed_size: 0
    .sgpr_count:     36
    .sgpr_spill_count: 0
    .symbol:         _ZN5aiter35fused_qk_rmsnorm_group_quant_kernelIDF16_DB8_Li256ELi8ELi4ELb0ELb0ELb0ELb0ELb0ELb0EEEvPT0_PvPT_S6_S6_PKS5_S8_S8_S8_S8_ffiiiiiiiiiiiii.kd
    .uniform_work_group_size: 1
    .uses_dynamic_stack: false
    .vgpr_count:     24
    .vgpr_spill_count: 0
    .wavefront_size: 64
  - .agpr_count:     0
    .args:
      - .actual_access:  write_only
        .address_space:  global
        .offset:         0
        .size:           8
        .value_kind:     global_buffer
      - .actual_access:  write_only
        .address_space:  global
        .offset:         8
        .size:           8
        .value_kind:     global_buffer
      - .actual_access:  read_only
        .address_space:  global
        .offset:         16
        .size:           8
        .value_kind:     global_buffer
      - .actual_access:  write_only
        .address_space:  global
        .offset:         24
        .size:           8
        .value_kind:     global_buffer
      - .actual_access:  read_only
        .address_space:  global
        .offset:         32
        .size:           8
        .value_kind:     global_buffer
      - .actual_access:  read_only
        .address_space:  global
        .offset:         40
        .size:           8
        .value_kind:     global_buffer
      - .actual_access:  read_only
        .address_space:  global
        .offset:         48
        .size:           8
        .value_kind:     global_buffer
      - .actual_access:  read_only
        .address_space:  global
        .offset:         56
        .size:           8
        .value_kind:     global_buffer
      - .actual_access:  read_only
        .address_space:  global
        .offset:         64
        .size:           8
        .value_kind:     global_buffer
      - .actual_access:  read_only
        .address_space:  global
        .offset:         72
        .size:           8
        .value_kind:     global_buffer
      - .offset:         80
        .size:           4
        .value_kind:     by_value
      - .offset:         84
        .size:           4
        .value_kind:     by_value
      - .offset:         88
        .size:           4
        .value_kind:     by_value
      - .offset:         92
        .size:           4
        .value_kind:     by_value
      - .offset:         96
        .size:           4
        .value_kind:     by_value
      - .offset:         100
        .size:           4
        .value_kind:     by_value
      - .offset:         104
        .size:           4
        .value_kind:     by_value
      - .offset:         108
        .size:           4
        .value_kind:     by_value
      - .offset:         112
        .size:           4
        .value_kind:     by_value
      - .offset:         116
        .size:           4
        .value_kind:     by_value
      - .offset:         120
        .size:           4
        .value_kind:     by_value
      - .offset:         124
        .size:           4
        .value_kind:     by_value
      - .offset:         128
        .size:           4
        .value_kind:     by_value
      - .offset:         132
        .size:           4
        .value_kind:     by_value
      - .offset:         136
        .size:           4
        .value_kind:     by_value
      - .offset:         144
        .size:           4
        .value_kind:     hidden_block_count_x
      - .offset:         148
        .size:           4
        .value_kind:     hidden_block_count_y
      - .offset:         152
        .size:           4
        .value_kind:     hidden_block_count_z
      - .offset:         156
        .size:           2
        .value_kind:     hidden_group_size_x
      - .offset:         158
        .size:           2
        .value_kind:     hidden_group_size_y
      - .offset:         160
        .size:           2
        .value_kind:     hidden_group_size_z
      - .offset:         162
        .size:           2
        .value_kind:     hidden_remainder_x
      - .offset:         164
        .size:           2
        .value_kind:     hidden_remainder_y
      - .offset:         166
        .size:           2
        .value_kind:     hidden_remainder_z
      - .offset:         184
        .size:           8
        .value_kind:     hidden_global_offset_x
      - .offset:         192
        .size:           8
        .value_kind:     hidden_global_offset_y
      - .offset:         200
        .size:           8
        .value_kind:     hidden_global_offset_z
      - .offset:         208
        .size:           2
        .value_kind:     hidden_grid_dims
    .group_segment_fixed_size: 32
    .kernarg_segment_align: 8
    .kernarg_segment_size: 400
    .language:       OpenCL C
    .language_version:
      - 2
      - 0
    .max_flat_workgroup_size: 1024
    .name:           _ZN5aiter35fused_qk_rmsnorm_group_quant_kernelItDB8_Li256ELi8ELi4ELb0ELb0ELb0ELb0ELb0ELb0EEEvPT0_PvPT_S6_S6_PKS5_S8_S8_S8_S8_ffiiiiiiiiiiiii
    .private_segment_fixed_size: 0
    .sgpr_count:     36
    .sgpr_spill_count: 0
    .symbol:         _ZN5aiter35fused_qk_rmsnorm_group_quant_kernelItDB8_Li256ELi8ELi4ELb0ELb0ELb0ELb0ELb0ELb0EEEvPT0_PvPT_S6_S6_PKS5_S8_S8_S8_S8_ffiiiiiiiiiiiii.kd
    .uniform_work_group_size: 1
    .uses_dynamic_stack: false
    .vgpr_count:     24
    .vgpr_spill_count: 0
    .wavefront_size: 64
  - .agpr_count:     0
    .args:
      - .actual_access:  write_only
        .address_space:  global
        .offset:         0
        .size:           8
        .value_kind:     global_buffer
      - .actual_access:  write_only
        .address_space:  global
        .offset:         8
        .size:           8
        .value_kind:     global_buffer
      - .actual_access:  read_only
        .address_space:  global
        .offset:         16
        .size:           8
        .value_kind:     global_buffer
      - .actual_access:  write_only
        .address_space:  global
        .offset:         24
        .size:           8
        .value_kind:     global_buffer
      - .actual_access:  read_only
        .address_space:  global
        .offset:         32
        .size:           8
        .value_kind:     global_buffer
      - .actual_access:  read_only
        .address_space:  global
        .offset:         40
        .size:           8
        .value_kind:     global_buffer
      - .actual_access:  read_only
        .address_space:  global
        .offset:         48
        .size:           8
        .value_kind:     global_buffer
      - .actual_access:  read_only
        .address_space:  global
        .offset:         56
        .size:           8
        .value_kind:     global_buffer
      - .actual_access:  read_only
        .address_space:  global
        .offset:         64
        .size:           8
        .value_kind:     global_buffer
      - .actual_access:  read_only
        .address_space:  global
        .offset:         72
        .size:           8
        .value_kind:     global_buffer
      - .offset:         80
        .size:           4
        .value_kind:     by_value
      - .offset:         84
        .size:           4
        .value_kind:     by_value
      - .offset:         88
        .size:           4
        .value_kind:     by_value
      - .offset:         92
        .size:           4
        .value_kind:     by_value
      - .offset:         96
        .size:           4
        .value_kind:     by_value
      - .offset:         100
        .size:           4
        .value_kind:     by_value
      - .offset:         104
        .size:           4
        .value_kind:     by_value
      - .offset:         108
        .size:           4
        .value_kind:     by_value
      - .offset:         112
        .size:           4
        .value_kind:     by_value
      - .offset:         116
        .size:           4
        .value_kind:     by_value
      - .offset:         120
        .size:           4
        .value_kind:     by_value
      - .offset:         124
        .size:           4
        .value_kind:     by_value
      - .offset:         128
        .size:           4
        .value_kind:     by_value
      - .offset:         132
        .size:           4
        .value_kind:     by_value
      - .offset:         136
        .size:           4
        .value_kind:     by_value
      - .offset:         144
        .size:           4
        .value_kind:     hidden_block_count_x
      - .offset:         148
        .size:           4
        .value_kind:     hidden_block_count_y
      - .offset:         152
        .size:           4
        .value_kind:     hidden_block_count_z
      - .offset:         156
        .size:           2
        .value_kind:     hidden_group_size_x
      - .offset:         158
        .size:           2
        .value_kind:     hidden_group_size_y
      - .offset:         160
        .size:           2
        .value_kind:     hidden_group_size_z
      - .offset:         162
        .size:           2
        .value_kind:     hidden_remainder_x
      - .offset:         164
        .size:           2
        .value_kind:     hidden_remainder_y
      - .offset:         166
        .size:           2
        .value_kind:     hidden_remainder_z
      - .offset:         184
        .size:           8
        .value_kind:     hidden_global_offset_x
      - .offset:         192
        .size:           8
        .value_kind:     hidden_global_offset_y
      - .offset:         200
        .size:           8
        .value_kind:     hidden_global_offset_z
      - .offset:         208
        .size:           2
        .value_kind:     hidden_grid_dims
    .group_segment_fixed_size: 32
    .kernarg_segment_align: 8
    .kernarg_segment_size: 400
    .language:       OpenCL C
    .language_version:
      - 2
      - 0
    .max_flat_workgroup_size: 1024
    .name:           _ZN5aiter35fused_qk_rmsnorm_group_quant_kernelIDF16_N4opus5fp4_tELi256ELi8ELi4ELb0ELb0ELb0ELb0ELb0ELb0EEEvPT0_PvPT_S7_S7_PKS6_S9_S9_S9_S9_ffiiiiiiiiiiiii
    .private_segment_fixed_size: 0
    .sgpr_count:     36
    .sgpr_spill_count: 0
    .symbol:         _ZN5aiter35fused_qk_rmsnorm_group_quant_kernelIDF16_N4opus5fp4_tELi256ELi8ELi4ELb0ELb0ELb0ELb0ELb0ELb0EEEvPT0_PvPT_S7_S7_PKS6_S9_S9_S9_S9_ffiiiiiiiiiiiii.kd
    .uniform_work_group_size: 1
    .uses_dynamic_stack: false
    .vgpr_count:     24
    .vgpr_spill_count: 0
    .wavefront_size: 64
  - .agpr_count:     0
    .args:
      - .actual_access:  write_only
        .address_space:  global
        .offset:         0
        .size:           8
        .value_kind:     global_buffer
      - .actual_access:  write_only
        .address_space:  global
        .offset:         8
        .size:           8
        .value_kind:     global_buffer
      - .actual_access:  read_only
        .address_space:  global
        .offset:         16
        .size:           8
        .value_kind:     global_buffer
      - .actual_access:  write_only
        .address_space:  global
        .offset:         24
        .size:           8
        .value_kind:     global_buffer
      - .actual_access:  read_only
        .address_space:  global
        .offset:         32
        .size:           8
        .value_kind:     global_buffer
      - .actual_access:  read_only
        .address_space:  global
        .offset:         40
        .size:           8
        .value_kind:     global_buffer
      - .actual_access:  read_only
        .address_space:  global
        .offset:         48
        .size:           8
        .value_kind:     global_buffer
      - .actual_access:  read_only
        .address_space:  global
        .offset:         56
        .size:           8
        .value_kind:     global_buffer
      - .actual_access:  read_only
        .address_space:  global
        .offset:         64
        .size:           8
        .value_kind:     global_buffer
      - .actual_access:  read_only
        .address_space:  global
        .offset:         72
        .size:           8
        .value_kind:     global_buffer
      - .offset:         80
        .size:           4
        .value_kind:     by_value
      - .offset:         84
        .size:           4
        .value_kind:     by_value
      - .offset:         88
        .size:           4
        .value_kind:     by_value
      - .offset:         92
        .size:           4
        .value_kind:     by_value
      - .offset:         96
        .size:           4
        .value_kind:     by_value
      - .offset:         100
        .size:           4
        .value_kind:     by_value
      - .offset:         104
        .size:           4
        .value_kind:     by_value
      - .offset:         108
        .size:           4
        .value_kind:     by_value
      - .offset:         112
        .size:           4
        .value_kind:     by_value
      - .offset:         116
        .size:           4
        .value_kind:     by_value
      - .offset:         120
        .size:           4
        .value_kind:     by_value
      - .offset:         124
        .size:           4
        .value_kind:     by_value
      - .offset:         128
        .size:           4
        .value_kind:     by_value
      - .offset:         132
        .size:           4
        .value_kind:     by_value
      - .offset:         136
        .size:           4
        .value_kind:     by_value
      - .offset:         144
        .size:           4
        .value_kind:     hidden_block_count_x
      - .offset:         148
        .size:           4
        .value_kind:     hidden_block_count_y
      - .offset:         152
        .size:           4
        .value_kind:     hidden_block_count_z
      - .offset:         156
        .size:           2
        .value_kind:     hidden_group_size_x
      - .offset:         158
        .size:           2
        .value_kind:     hidden_group_size_y
      - .offset:         160
        .size:           2
        .value_kind:     hidden_group_size_z
      - .offset:         162
        .size:           2
        .value_kind:     hidden_remainder_x
      - .offset:         164
        .size:           2
        .value_kind:     hidden_remainder_y
      - .offset:         166
        .size:           2
        .value_kind:     hidden_remainder_z
      - .offset:         184
        .size:           8
        .value_kind:     hidden_global_offset_x
      - .offset:         192
        .size:           8
        .value_kind:     hidden_global_offset_y
      - .offset:         200
        .size:           8
        .value_kind:     hidden_global_offset_z
      - .offset:         208
        .size:           2
        .value_kind:     hidden_grid_dims
    .group_segment_fixed_size: 32
    .kernarg_segment_align: 8
    .kernarg_segment_size: 400
    .language:       OpenCL C
    .language_version:
      - 2
      - 0
    .max_flat_workgroup_size: 1024
    .name:           _ZN5aiter35fused_qk_rmsnorm_group_quant_kernelItN4opus5fp4_tELi256ELi8ELi4ELb0ELb0ELb0ELb0ELb0ELb0EEEvPT0_PvPT_S7_S7_PKS6_S9_S9_S9_S9_ffiiiiiiiiiiiii
    .private_segment_fixed_size: 0
    .sgpr_count:     36
    .sgpr_spill_count: 0
    .symbol:         _ZN5aiter35fused_qk_rmsnorm_group_quant_kernelItN4opus5fp4_tELi256ELi8ELi4ELb0ELb0ELb0ELb0ELb0ELb0EEEvPT0_PvPT_S7_S7_PKS6_S9_S9_S9_S9_ffiiiiiiiiiiiii.kd
    .uniform_work_group_size: 1
    .uses_dynamic_stack: false
    .vgpr_count:     24
    .vgpr_spill_count: 0
    .wavefront_size: 64
  - .agpr_count:     0
    .args:
      - .actual_access:  read_only
        .address_space:  global
        .offset:         0
        .size:           8
        .value_kind:     global_buffer
      - .actual_access:  read_only
        .address_space:  global
        .offset:         8
        .size:           8
        .value_kind:     global_buffer
      - .actual_access:  write_only
        .address_space:  global
        .offset:         16
        .size:           8
        .value_kind:     global_buffer
      - .actual_access:  write_only
        .address_space:  global
        .offset:         24
        .size:           8
        .value_kind:     global_buffer
      - .actual_access:  write_only
        .address_space:  global
        .offset:         32
        .size:           8
        .value_kind:     global_buffer
      - .actual_access:  read_only
        .address_space:  global
        .offset:         40
        .size:           8
        .value_kind:     global_buffer
      - .actual_access:  read_only
        .address_space:  global
        .offset:         48
        .size:           8
        .value_kind:     global_buffer
      - .actual_access:  read_only
        .address_space:  global
        .offset:         56
        .size:           8
        .value_kind:     global_buffer
      - .actual_access:  read_only
        .address_space:  global
        .offset:         64
        .size:           8
        .value_kind:     global_buffer
      - .actual_access:  read_only
        .address_space:  global
        .offset:         72
        .size:           8
        .value_kind:     global_buffer
      - .offset:         80
        .size:           4
        .value_kind:     by_value
      - .offset:         84
        .size:           4
        .value_kind:     by_value
      - .offset:         88
        .size:           4
        .value_kind:     by_value
      - .offset:         92
        .size:           4
        .value_kind:     by_value
      - .offset:         96
        .size:           4
        .value_kind:     by_value
      - .offset:         100
        .size:           4
        .value_kind:     by_value
      - .offset:         104
        .size:           4
        .value_kind:     by_value
      - .offset:         108
        .size:           4
        .value_kind:     by_value
      - .offset:         112
        .size:           4
        .value_kind:     by_value
      - .offset:         116
        .size:           4
        .value_kind:     by_value
      - .offset:         120
        .size:           4
        .value_kind:     by_value
      - .offset:         124
        .size:           4
        .value_kind:     by_value
      - .offset:         128
        .size:           4
        .value_kind:     by_value
      - .offset:         132
        .size:           4
        .value_kind:     by_value
      - .offset:         136
        .size:           4
        .value_kind:     by_value
      - .offset:         144
        .size:           4
        .value_kind:     hidden_block_count_x
      - .offset:         148
        .size:           4
        .value_kind:     hidden_block_count_y
      - .offset:         152
        .size:           4
        .value_kind:     hidden_block_count_z
      - .offset:         156
        .size:           2
        .value_kind:     hidden_group_size_x
      - .offset:         158
        .size:           2
        .value_kind:     hidden_group_size_y
      - .offset:         160
        .size:           2
        .value_kind:     hidden_group_size_z
      - .offset:         162
        .size:           2
        .value_kind:     hidden_remainder_x
      - .offset:         164
        .size:           2
        .value_kind:     hidden_remainder_y
      - .offset:         166
        .size:           2
        .value_kind:     hidden_remainder_z
      - .offset:         184
        .size:           8
        .value_kind:     hidden_global_offset_x
      - .offset:         192
        .size:           8
        .value_kind:     hidden_global_offset_y
      - .offset:         200
        .size:           8
        .value_kind:     hidden_global_offset_z
      - .offset:         208
        .size:           2
        .value_kind:     hidden_grid_dims
    .group_segment_fixed_size: 16
    .kernarg_segment_align: 8
    .kernarg_segment_size: 400
    .language:       OpenCL C
    .language_version:
      - 2
      - 0
    .max_flat_workgroup_size: 1024
    .name:           _ZN5aiter35fused_qk_rmsnorm_group_quant_kernelIDF16_DB8_Li128ELi16ELi8ELb1ELb1ELb1ELb1ELb0ELb0EEEvPT0_PvPT_S6_S6_PKS5_S8_S8_S8_S8_ffiiiiiiiiiiiii
    .private_segment_fixed_size: 0
    .sgpr_count:     36
    .sgpr_spill_count: 0
    .symbol:         _ZN5aiter35fused_qk_rmsnorm_group_quant_kernelIDF16_DB8_Li128ELi16ELi8ELb1ELb1ELb1ELb1ELb0ELb0EEEvPT0_PvPT_S6_S6_PKS5_S8_S8_S8_S8_ffiiiiiiiiiiiii.kd
    .uniform_work_group_size: 1
    .uses_dynamic_stack: false
    .vgpr_count:     49
    .vgpr_spill_count: 0
    .wavefront_size: 64
  - .agpr_count:     0
    .args:
      - .actual_access:  read_only
        .address_space:  global
        .offset:         0
        .size:           8
        .value_kind:     global_buffer
      - .actual_access:  read_only
        .address_space:  global
        .offset:         8
        .size:           8
        .value_kind:     global_buffer
      - .actual_access:  write_only
        .address_space:  global
        .offset:         16
        .size:           8
        .value_kind:     global_buffer
      - .actual_access:  write_only
        .address_space:  global
        .offset:         24
        .size:           8
        .value_kind:     global_buffer
      - .actual_access:  write_only
        .address_space:  global
        .offset:         32
        .size:           8
        .value_kind:     global_buffer
      - .actual_access:  read_only
        .address_space:  global
        .offset:         40
        .size:           8
        .value_kind:     global_buffer
      - .actual_access:  read_only
        .address_space:  global
        .offset:         48
        .size:           8
        .value_kind:     global_buffer
      - .actual_access:  read_only
        .address_space:  global
        .offset:         56
        .size:           8
        .value_kind:     global_buffer
      - .actual_access:  read_only
        .address_space:  global
        .offset:         64
        .size:           8
        .value_kind:     global_buffer
      - .actual_access:  read_only
        .address_space:  global
        .offset:         72
        .size:           8
        .value_kind:     global_buffer
      - .offset:         80
        .size:           4
        .value_kind:     by_value
      - .offset:         84
        .size:           4
        .value_kind:     by_value
      - .offset:         88
        .size:           4
        .value_kind:     by_value
      - .offset:         92
        .size:           4
        .value_kind:     by_value
      - .offset:         96
        .size:           4
        .value_kind:     by_value
      - .offset:         100
        .size:           4
        .value_kind:     by_value
      - .offset:         104
        .size:           4
        .value_kind:     by_value
      - .offset:         108
        .size:           4
        .value_kind:     by_value
      - .offset:         112
        .size:           4
        .value_kind:     by_value
      - .offset:         116
        .size:           4
        .value_kind:     by_value
      - .offset:         120
        .size:           4
        .value_kind:     by_value
      - .offset:         124
        .size:           4
        .value_kind:     by_value
      - .offset:         128
        .size:           4
        .value_kind:     by_value
      - .offset:         132
        .size:           4
        .value_kind:     by_value
      - .offset:         136
        .size:           4
        .value_kind:     by_value
      - .offset:         144
        .size:           4
        .value_kind:     hidden_block_count_x
      - .offset:         148
        .size:           4
        .value_kind:     hidden_block_count_y
      - .offset:         152
        .size:           4
        .value_kind:     hidden_block_count_z
      - .offset:         156
        .size:           2
        .value_kind:     hidden_group_size_x
      - .offset:         158
        .size:           2
        .value_kind:     hidden_group_size_y
      - .offset:         160
        .size:           2
        .value_kind:     hidden_group_size_z
      - .offset:         162
        .size:           2
        .value_kind:     hidden_remainder_x
      - .offset:         164
        .size:           2
        .value_kind:     hidden_remainder_y
      - .offset:         166
        .size:           2
        .value_kind:     hidden_remainder_z
      - .offset:         184
        .size:           8
        .value_kind:     hidden_global_offset_x
      - .offset:         192
        .size:           8
        .value_kind:     hidden_global_offset_y
      - .offset:         200
        .size:           8
        .value_kind:     hidden_global_offset_z
      - .offset:         208
        .size:           2
        .value_kind:     hidden_grid_dims
    .group_segment_fixed_size: 16
    .kernarg_segment_align: 8
    .kernarg_segment_size: 400
    .language:       OpenCL C
    .language_version:
      - 2
      - 0
    .max_flat_workgroup_size: 1024
    .name:           _ZN5aiter35fused_qk_rmsnorm_group_quant_kernelItDB8_Li128ELi16ELi8ELb1ELb1ELb1ELb1ELb0ELb0EEEvPT0_PvPT_S6_S6_PKS5_S8_S8_S8_S8_ffiiiiiiiiiiiii
    .private_segment_fixed_size: 0
    .sgpr_count:     36
    .sgpr_spill_count: 0
    .symbol:         _ZN5aiter35fused_qk_rmsnorm_group_quant_kernelItDB8_Li128ELi16ELi8ELb1ELb1ELb1ELb1ELb0ELb0EEEvPT0_PvPT_S6_S6_PKS5_S8_S8_S8_S8_ffiiiiiiiiiiiii.kd
    .uniform_work_group_size: 1
    .uses_dynamic_stack: false
    .vgpr_count:     76
    .vgpr_spill_count: 0
    .wavefront_size: 64
  - .agpr_count:     0
    .args:
      - .actual_access:  read_only
        .address_space:  global
        .offset:         0
        .size:           8
        .value_kind:     global_buffer
      - .actual_access:  read_only
        .address_space:  global
        .offset:         8
        .size:           8
        .value_kind:     global_buffer
      - .actual_access:  write_only
        .address_space:  global
        .offset:         16
        .size:           8
        .value_kind:     global_buffer
      - .actual_access:  write_only
        .address_space:  global
        .offset:         24
        .size:           8
        .value_kind:     global_buffer
      - .actual_access:  write_only
        .address_space:  global
        .offset:         32
        .size:           8
        .value_kind:     global_buffer
      - .actual_access:  read_only
        .address_space:  global
        .offset:         40
        .size:           8
        .value_kind:     global_buffer
      - .actual_access:  read_only
        .address_space:  global
        .offset:         48
        .size:           8
        .value_kind:     global_buffer
      - .actual_access:  read_only
        .address_space:  global
        .offset:         56
        .size:           8
        .value_kind:     global_buffer
      - .actual_access:  read_only
        .address_space:  global
        .offset:         64
        .size:           8
        .value_kind:     global_buffer
      - .actual_access:  read_only
        .address_space:  global
        .offset:         72
        .size:           8
        .value_kind:     global_buffer
      - .offset:         80
        .size:           4
        .value_kind:     by_value
      - .offset:         84
        .size:           4
        .value_kind:     by_value
      - .offset:         88
        .size:           4
        .value_kind:     by_value
      - .offset:         92
        .size:           4
        .value_kind:     by_value
      - .offset:         96
        .size:           4
        .value_kind:     by_value
      - .offset:         100
        .size:           4
        .value_kind:     by_value
      - .offset:         104
        .size:           4
        .value_kind:     by_value
      - .offset:         108
        .size:           4
        .value_kind:     by_value
      - .offset:         112
        .size:           4
        .value_kind:     by_value
      - .offset:         116
        .size:           4
        .value_kind:     by_value
      - .offset:         120
        .size:           4
        .value_kind:     by_value
      - .offset:         124
        .size:           4
        .value_kind:     by_value
      - .offset:         128
        .size:           4
        .value_kind:     by_value
      - .offset:         132
        .size:           4
        .value_kind:     by_value
      - .offset:         136
        .size:           4
        .value_kind:     by_value
      - .offset:         144
        .size:           4
        .value_kind:     hidden_block_count_x
      - .offset:         148
        .size:           4
        .value_kind:     hidden_block_count_y
      - .offset:         152
        .size:           4
        .value_kind:     hidden_block_count_z
      - .offset:         156
        .size:           2
        .value_kind:     hidden_group_size_x
      - .offset:         158
        .size:           2
        .value_kind:     hidden_group_size_y
      - .offset:         160
        .size:           2
        .value_kind:     hidden_group_size_z
      - .offset:         162
        .size:           2
        .value_kind:     hidden_remainder_x
      - .offset:         164
        .size:           2
        .value_kind:     hidden_remainder_y
      - .offset:         166
        .size:           2
        .value_kind:     hidden_remainder_z
      - .offset:         184
        .size:           8
        .value_kind:     hidden_global_offset_x
      - .offset:         192
        .size:           8
        .value_kind:     hidden_global_offset_y
      - .offset:         200
        .size:           8
        .value_kind:     hidden_global_offset_z
      - .offset:         208
        .size:           2
        .value_kind:     hidden_grid_dims
    .group_segment_fixed_size: 16
    .kernarg_segment_align: 8
    .kernarg_segment_size: 400
    .language:       OpenCL C
    .language_version:
      - 2
      - 0
    .max_flat_workgroup_size: 1024
    .name:           _ZN5aiter35fused_qk_rmsnorm_group_quant_kernelIDF16_N4opus5fp4_tELi128ELi16ELi8ELb1ELb1ELb1ELb1ELb0ELb0EEEvPT0_PvPT_S7_S7_PKS6_S9_S9_S9_S9_ffiiiiiiiiiiiii
    .private_segment_fixed_size: 0
    .sgpr_count:     36
    .sgpr_spill_count: 0
    .symbol:         _ZN5aiter35fused_qk_rmsnorm_group_quant_kernelIDF16_N4opus5fp4_tELi128ELi16ELi8ELb1ELb1ELb1ELb1ELb0ELb0EEEvPT0_PvPT_S7_S7_PKS6_S9_S9_S9_S9_ffiiiiiiiiiiiii.kd
    .uniform_work_group_size: 1
    .uses_dynamic_stack: false
    .vgpr_count:     49
    .vgpr_spill_count: 0
    .wavefront_size: 64
  - .agpr_count:     0
    .args:
      - .actual_access:  read_only
        .address_space:  global
        .offset:         0
        .size:           8
        .value_kind:     global_buffer
      - .actual_access:  read_only
        .address_space:  global
        .offset:         8
        .size:           8
        .value_kind:     global_buffer
      - .actual_access:  write_only
        .address_space:  global
        .offset:         16
        .size:           8
        .value_kind:     global_buffer
      - .actual_access:  write_only
        .address_space:  global
        .offset:         24
        .size:           8
        .value_kind:     global_buffer
      - .actual_access:  write_only
        .address_space:  global
        .offset:         32
        .size:           8
        .value_kind:     global_buffer
      - .actual_access:  read_only
        .address_space:  global
        .offset:         40
        .size:           8
        .value_kind:     global_buffer
      - .actual_access:  read_only
        .address_space:  global
        .offset:         48
        .size:           8
        .value_kind:     global_buffer
      - .actual_access:  read_only
        .address_space:  global
        .offset:         56
        .size:           8
        .value_kind:     global_buffer
      - .actual_access:  read_only
        .address_space:  global
        .offset:         64
        .size:           8
        .value_kind:     global_buffer
      - .actual_access:  read_only
        .address_space:  global
        .offset:         72
        .size:           8
        .value_kind:     global_buffer
      - .offset:         80
        .size:           4
        .value_kind:     by_value
      - .offset:         84
        .size:           4
        .value_kind:     by_value
      - .offset:         88
        .size:           4
        .value_kind:     by_value
      - .offset:         92
        .size:           4
        .value_kind:     by_value
      - .offset:         96
        .size:           4
        .value_kind:     by_value
      - .offset:         100
        .size:           4
        .value_kind:     by_value
      - .offset:         104
        .size:           4
        .value_kind:     by_value
      - .offset:         108
        .size:           4
        .value_kind:     by_value
      - .offset:         112
        .size:           4
        .value_kind:     by_value
      - .offset:         116
        .size:           4
        .value_kind:     by_value
      - .offset:         120
        .size:           4
        .value_kind:     by_value
      - .offset:         124
        .size:           4
        .value_kind:     by_value
      - .offset:         128
        .size:           4
        .value_kind:     by_value
      - .offset:         132
        .size:           4
        .value_kind:     by_value
      - .offset:         136
        .size:           4
        .value_kind:     by_value
      - .offset:         144
        .size:           4
        .value_kind:     hidden_block_count_x
      - .offset:         148
        .size:           4
        .value_kind:     hidden_block_count_y
      - .offset:         152
        .size:           4
        .value_kind:     hidden_block_count_z
      - .offset:         156
        .size:           2
        .value_kind:     hidden_group_size_x
      - .offset:         158
        .size:           2
        .value_kind:     hidden_group_size_y
      - .offset:         160
        .size:           2
        .value_kind:     hidden_group_size_z
      - .offset:         162
        .size:           2
        .value_kind:     hidden_remainder_x
      - .offset:         164
        .size:           2
        .value_kind:     hidden_remainder_y
      - .offset:         166
        .size:           2
        .value_kind:     hidden_remainder_z
      - .offset:         184
        .size:           8
        .value_kind:     hidden_global_offset_x
      - .offset:         192
        .size:           8
        .value_kind:     hidden_global_offset_y
      - .offset:         200
        .size:           8
        .value_kind:     hidden_global_offset_z
      - .offset:         208
        .size:           2
        .value_kind:     hidden_grid_dims
    .group_segment_fixed_size: 16
    .kernarg_segment_align: 8
    .kernarg_segment_size: 400
    .language:       OpenCL C
    .language_version:
      - 2
      - 0
    .max_flat_workgroup_size: 1024
    .name:           _ZN5aiter35fused_qk_rmsnorm_group_quant_kernelItN4opus5fp4_tELi128ELi16ELi8ELb1ELb1ELb1ELb1ELb0ELb0EEEvPT0_PvPT_S7_S7_PKS6_S9_S9_S9_S9_ffiiiiiiiiiiiii
    .private_segment_fixed_size: 0
    .sgpr_count:     36
    .sgpr_spill_count: 0
    .symbol:         _ZN5aiter35fused_qk_rmsnorm_group_quant_kernelItN4opus5fp4_tELi128ELi16ELi8ELb1ELb1ELb1ELb1ELb0ELb0EEEvPT0_PvPT_S7_S7_PKS6_S9_S9_S9_S9_ffiiiiiiiiiiiii.kd
    .uniform_work_group_size: 1
    .uses_dynamic_stack: false
    .vgpr_count:     76
    .vgpr_spill_count: 0
    .wavefront_size: 64
  - .agpr_count:     0
    .args:
      - .actual_access:  read_only
        .address_space:  global
        .offset:         0
        .size:           8
        .value_kind:     global_buffer
      - .actual_access:  read_only
        .address_space:  global
        .offset:         8
        .size:           8
        .value_kind:     global_buffer
      - .actual_access:  write_only
        .address_space:  global
        .offset:         16
        .size:           8
        .value_kind:     global_buffer
      - .actual_access:  write_only
        .address_space:  global
        .offset:         24
        .size:           8
        .value_kind:     global_buffer
      - .actual_access:  write_only
        .address_space:  global
        .offset:         32
        .size:           8
        .value_kind:     global_buffer
      - .actual_access:  read_only
        .address_space:  global
        .offset:         40
        .size:           8
        .value_kind:     global_buffer
      - .actual_access:  read_only
        .address_space:  global
        .offset:         48
        .size:           8
        .value_kind:     global_buffer
      - .actual_access:  read_only
        .address_space:  global
        .offset:         56
        .size:           8
        .value_kind:     global_buffer
      - .actual_access:  read_only
        .address_space:  global
        .offset:         64
        .size:           8
        .value_kind:     global_buffer
      - .actual_access:  read_only
        .address_space:  global
        .offset:         72
        .size:           8
        .value_kind:     global_buffer
      - .offset:         80
        .size:           4
        .value_kind:     by_value
      - .offset:         84
        .size:           4
        .value_kind:     by_value
      - .offset:         88
        .size:           4
        .value_kind:     by_value
      - .offset:         92
        .size:           4
        .value_kind:     by_value
      - .offset:         96
        .size:           4
        .value_kind:     by_value
      - .offset:         100
        .size:           4
        .value_kind:     by_value
      - .offset:         104
        .size:           4
        .value_kind:     by_value
      - .offset:         108
        .size:           4
        .value_kind:     by_value
      - .offset:         112
        .size:           4
        .value_kind:     by_value
      - .offset:         116
        .size:           4
        .value_kind:     by_value
      - .offset:         120
        .size:           4
        .value_kind:     by_value
      - .offset:         124
        .size:           4
        .value_kind:     by_value
      - .offset:         128
        .size:           4
        .value_kind:     by_value
      - .offset:         132
        .size:           4
        .value_kind:     by_value
      - .offset:         136
        .size:           4
        .value_kind:     by_value
      - .offset:         144
        .size:           4
        .value_kind:     hidden_block_count_x
      - .offset:         148
        .size:           4
        .value_kind:     hidden_block_count_y
      - .offset:         152
        .size:           4
        .value_kind:     hidden_block_count_z
      - .offset:         156
        .size:           2
        .value_kind:     hidden_group_size_x
      - .offset:         158
        .size:           2
        .value_kind:     hidden_group_size_y
      - .offset:         160
        .size:           2
        .value_kind:     hidden_group_size_z
      - .offset:         162
        .size:           2
        .value_kind:     hidden_remainder_x
      - .offset:         164
        .size:           2
        .value_kind:     hidden_remainder_y
      - .offset:         166
        .size:           2
        .value_kind:     hidden_remainder_z
      - .offset:         184
        .size:           8
        .value_kind:     hidden_global_offset_x
      - .offset:         192
        .size:           8
        .value_kind:     hidden_global_offset_y
      - .offset:         200
        .size:           8
        .value_kind:     hidden_global_offset_z
      - .offset:         208
        .size:           2
        .value_kind:     hidden_grid_dims
    .group_segment_fixed_size: 16
    .kernarg_segment_align: 8
    .kernarg_segment_size: 400
    .language:       OpenCL C
    .language_version:
      - 2
      - 0
    .max_flat_workgroup_size: 1024
    .name:           _ZN5aiter35fused_qk_rmsnorm_group_quant_kernelIDF16_DB8_Li128ELi16ELi8ELb1ELb1ELb0ELb1ELb0ELb0EEEvPT0_PvPT_S6_S6_PKS5_S8_S8_S8_S8_ffiiiiiiiiiiiii
    .private_segment_fixed_size: 0
    .sgpr_count:     36
    .sgpr_spill_count: 0
    .symbol:         _ZN5aiter35fused_qk_rmsnorm_group_quant_kernelIDF16_DB8_Li128ELi16ELi8ELb1ELb1ELb0ELb1ELb0ELb0EEEvPT0_PvPT_S6_S6_PKS5_S8_S8_S8_S8_ffiiiiiiiiiiiii.kd
    .uniform_work_group_size: 1
    .uses_dynamic_stack: false
    .vgpr_count:     49
    .vgpr_spill_count: 0
    .wavefront_size: 64
  - .agpr_count:     0
    .args:
      - .actual_access:  read_only
        .address_space:  global
        .offset:         0
        .size:           8
        .value_kind:     global_buffer
      - .actual_access:  read_only
        .address_space:  global
        .offset:         8
        .size:           8
        .value_kind:     global_buffer
      - .actual_access:  write_only
        .address_space:  global
        .offset:         16
        .size:           8
        .value_kind:     global_buffer
      - .actual_access:  write_only
        .address_space:  global
        .offset:         24
        .size:           8
        .value_kind:     global_buffer
      - .actual_access:  write_only
        .address_space:  global
        .offset:         32
        .size:           8
        .value_kind:     global_buffer
      - .actual_access:  read_only
        .address_space:  global
        .offset:         40
        .size:           8
        .value_kind:     global_buffer
      - .actual_access:  read_only
        .address_space:  global
        .offset:         48
        .size:           8
        .value_kind:     global_buffer
      - .actual_access:  read_only
        .address_space:  global
        .offset:         56
        .size:           8
        .value_kind:     global_buffer
      - .actual_access:  read_only
        .address_space:  global
        .offset:         64
        .size:           8
        .value_kind:     global_buffer
      - .actual_access:  read_only
        .address_space:  global
        .offset:         72
        .size:           8
        .value_kind:     global_buffer
      - .offset:         80
        .size:           4
        .value_kind:     by_value
      - .offset:         84
        .size:           4
        .value_kind:     by_value
      - .offset:         88
        .size:           4
        .value_kind:     by_value
      - .offset:         92
        .size:           4
        .value_kind:     by_value
      - .offset:         96
        .size:           4
        .value_kind:     by_value
      - .offset:         100
        .size:           4
        .value_kind:     by_value
      - .offset:         104
        .size:           4
        .value_kind:     by_value
      - .offset:         108
        .size:           4
        .value_kind:     by_value
      - .offset:         112
        .size:           4
        .value_kind:     by_value
      - .offset:         116
        .size:           4
        .value_kind:     by_value
      - .offset:         120
        .size:           4
        .value_kind:     by_value
      - .offset:         124
        .size:           4
        .value_kind:     by_value
      - .offset:         128
        .size:           4
        .value_kind:     by_value
      - .offset:         132
        .size:           4
        .value_kind:     by_value
      - .offset:         136
        .size:           4
        .value_kind:     by_value
      - .offset:         144
        .size:           4
        .value_kind:     hidden_block_count_x
      - .offset:         148
        .size:           4
        .value_kind:     hidden_block_count_y
      - .offset:         152
        .size:           4
        .value_kind:     hidden_block_count_z
      - .offset:         156
        .size:           2
        .value_kind:     hidden_group_size_x
      - .offset:         158
        .size:           2
        .value_kind:     hidden_group_size_y
      - .offset:         160
        .size:           2
        .value_kind:     hidden_group_size_z
      - .offset:         162
        .size:           2
        .value_kind:     hidden_remainder_x
      - .offset:         164
        .size:           2
        .value_kind:     hidden_remainder_y
      - .offset:         166
        .size:           2
        .value_kind:     hidden_remainder_z
      - .offset:         184
        .size:           8
        .value_kind:     hidden_global_offset_x
      - .offset:         192
        .size:           8
        .value_kind:     hidden_global_offset_y
      - .offset:         200
        .size:           8
        .value_kind:     hidden_global_offset_z
      - .offset:         208
        .size:           2
        .value_kind:     hidden_grid_dims
    .group_segment_fixed_size: 16
    .kernarg_segment_align: 8
    .kernarg_segment_size: 400
    .language:       OpenCL C
    .language_version:
      - 2
      - 0
    .max_flat_workgroup_size: 1024
    .name:           _ZN5aiter35fused_qk_rmsnorm_group_quant_kernelItDB8_Li128ELi16ELi8ELb1ELb1ELb0ELb1ELb0ELb0EEEvPT0_PvPT_S6_S6_PKS5_S8_S8_S8_S8_ffiiiiiiiiiiiii
    .private_segment_fixed_size: 0
    .sgpr_count:     36
    .sgpr_spill_count: 0
    .symbol:         _ZN5aiter35fused_qk_rmsnorm_group_quant_kernelItDB8_Li128ELi16ELi8ELb1ELb1ELb0ELb1ELb0ELb0EEEvPT0_PvPT_S6_S6_PKS5_S8_S8_S8_S8_ffiiiiiiiiiiiii.kd
    .uniform_work_group_size: 1
    .uses_dynamic_stack: false
    .vgpr_count:     90
    .vgpr_spill_count: 0
    .wavefront_size: 64
  - .agpr_count:     0
    .args:
      - .actual_access:  read_only
        .address_space:  global
        .offset:         0
        .size:           8
        .value_kind:     global_buffer
      - .actual_access:  read_only
        .address_space:  global
        .offset:         8
        .size:           8
        .value_kind:     global_buffer
      - .actual_access:  write_only
        .address_space:  global
        .offset:         16
        .size:           8
        .value_kind:     global_buffer
      - .actual_access:  write_only
        .address_space:  global
        .offset:         24
        .size:           8
        .value_kind:     global_buffer
      - .actual_access:  write_only
        .address_space:  global
        .offset:         32
        .size:           8
        .value_kind:     global_buffer
      - .actual_access:  read_only
        .address_space:  global
        .offset:         40
        .size:           8
        .value_kind:     global_buffer
      - .actual_access:  read_only
        .address_space:  global
        .offset:         48
        .size:           8
        .value_kind:     global_buffer
      - .actual_access:  read_only
        .address_space:  global
        .offset:         56
        .size:           8
        .value_kind:     global_buffer
      - .actual_access:  read_only
        .address_space:  global
        .offset:         64
        .size:           8
        .value_kind:     global_buffer
      - .actual_access:  read_only
        .address_space:  global
        .offset:         72
        .size:           8
        .value_kind:     global_buffer
      - .offset:         80
        .size:           4
        .value_kind:     by_value
      - .offset:         84
        .size:           4
        .value_kind:     by_value
      - .offset:         88
        .size:           4
        .value_kind:     by_value
      - .offset:         92
        .size:           4
        .value_kind:     by_value
      - .offset:         96
        .size:           4
        .value_kind:     by_value
      - .offset:         100
        .size:           4
        .value_kind:     by_value
      - .offset:         104
        .size:           4
        .value_kind:     by_value
      - .offset:         108
        .size:           4
        .value_kind:     by_value
      - .offset:         112
        .size:           4
        .value_kind:     by_value
      - .offset:         116
        .size:           4
        .value_kind:     by_value
      - .offset:         120
        .size:           4
        .value_kind:     by_value
      - .offset:         124
        .size:           4
        .value_kind:     by_value
      - .offset:         128
        .size:           4
        .value_kind:     by_value
      - .offset:         132
        .size:           4
        .value_kind:     by_value
      - .offset:         136
        .size:           4
        .value_kind:     by_value
      - .offset:         144
        .size:           4
        .value_kind:     hidden_block_count_x
      - .offset:         148
        .size:           4
        .value_kind:     hidden_block_count_y
      - .offset:         152
        .size:           4
        .value_kind:     hidden_block_count_z
      - .offset:         156
        .size:           2
        .value_kind:     hidden_group_size_x
      - .offset:         158
        .size:           2
        .value_kind:     hidden_group_size_y
      - .offset:         160
        .size:           2
        .value_kind:     hidden_group_size_z
      - .offset:         162
        .size:           2
        .value_kind:     hidden_remainder_x
      - .offset:         164
        .size:           2
        .value_kind:     hidden_remainder_y
      - .offset:         166
        .size:           2
        .value_kind:     hidden_remainder_z
      - .offset:         184
        .size:           8
        .value_kind:     hidden_global_offset_x
      - .offset:         192
        .size:           8
        .value_kind:     hidden_global_offset_y
      - .offset:         200
        .size:           8
        .value_kind:     hidden_global_offset_z
      - .offset:         208
        .size:           2
        .value_kind:     hidden_grid_dims
    .group_segment_fixed_size: 16
    .kernarg_segment_align: 8
    .kernarg_segment_size: 400
    .language:       OpenCL C
    .language_version:
      - 2
      - 0
    .max_flat_workgroup_size: 1024
    .name:           _ZN5aiter35fused_qk_rmsnorm_group_quant_kernelIDF16_N4opus5fp4_tELi128ELi16ELi8ELb1ELb1ELb0ELb1ELb0ELb0EEEvPT0_PvPT_S7_S7_PKS6_S9_S9_S9_S9_ffiiiiiiiiiiiii
    .private_segment_fixed_size: 0
    .sgpr_count:     36
    .sgpr_spill_count: 0
    .symbol:         _ZN5aiter35fused_qk_rmsnorm_group_quant_kernelIDF16_N4opus5fp4_tELi128ELi16ELi8ELb1ELb1ELb0ELb1ELb0ELb0EEEvPT0_PvPT_S7_S7_PKS6_S9_S9_S9_S9_ffiiiiiiiiiiiii.kd
    .uniform_work_group_size: 1
    .uses_dynamic_stack: false
    .vgpr_count:     49
    .vgpr_spill_count: 0
    .wavefront_size: 64
  - .agpr_count:     0
    .args:
      - .actual_access:  read_only
        .address_space:  global
        .offset:         0
        .size:           8
        .value_kind:     global_buffer
      - .actual_access:  read_only
        .address_space:  global
        .offset:         8
        .size:           8
        .value_kind:     global_buffer
      - .actual_access:  write_only
        .address_space:  global
        .offset:         16
        .size:           8
        .value_kind:     global_buffer
      - .actual_access:  write_only
        .address_space:  global
        .offset:         24
        .size:           8
        .value_kind:     global_buffer
      - .actual_access:  write_only
        .address_space:  global
        .offset:         32
        .size:           8
        .value_kind:     global_buffer
      - .actual_access:  read_only
        .address_space:  global
        .offset:         40
        .size:           8
        .value_kind:     global_buffer
      - .actual_access:  read_only
        .address_space:  global
        .offset:         48
        .size:           8
        .value_kind:     global_buffer
      - .actual_access:  read_only
        .address_space:  global
        .offset:         56
        .size:           8
        .value_kind:     global_buffer
      - .actual_access:  read_only
        .address_space:  global
        .offset:         64
        .size:           8
        .value_kind:     global_buffer
      - .actual_access:  read_only
        .address_space:  global
        .offset:         72
        .size:           8
        .value_kind:     global_buffer
      - .offset:         80
        .size:           4
        .value_kind:     by_value
      - .offset:         84
        .size:           4
        .value_kind:     by_value
      - .offset:         88
        .size:           4
        .value_kind:     by_value
      - .offset:         92
        .size:           4
        .value_kind:     by_value
      - .offset:         96
        .size:           4
        .value_kind:     by_value
      - .offset:         100
        .size:           4
        .value_kind:     by_value
      - .offset:         104
        .size:           4
        .value_kind:     by_value
      - .offset:         108
        .size:           4
        .value_kind:     by_value
      - .offset:         112
        .size:           4
        .value_kind:     by_value
      - .offset:         116
        .size:           4
        .value_kind:     by_value
      - .offset:         120
        .size:           4
        .value_kind:     by_value
      - .offset:         124
        .size:           4
        .value_kind:     by_value
      - .offset:         128
        .size:           4
        .value_kind:     by_value
      - .offset:         132
        .size:           4
        .value_kind:     by_value
      - .offset:         136
        .size:           4
        .value_kind:     by_value
      - .offset:         144
        .size:           4
        .value_kind:     hidden_block_count_x
      - .offset:         148
        .size:           4
        .value_kind:     hidden_block_count_y
      - .offset:         152
        .size:           4
        .value_kind:     hidden_block_count_z
      - .offset:         156
        .size:           2
        .value_kind:     hidden_group_size_x
      - .offset:         158
        .size:           2
        .value_kind:     hidden_group_size_y
      - .offset:         160
        .size:           2
        .value_kind:     hidden_group_size_z
      - .offset:         162
        .size:           2
        .value_kind:     hidden_remainder_x
      - .offset:         164
        .size:           2
        .value_kind:     hidden_remainder_y
      - .offset:         166
        .size:           2
        .value_kind:     hidden_remainder_z
      - .offset:         184
        .size:           8
        .value_kind:     hidden_global_offset_x
      - .offset:         192
        .size:           8
        .value_kind:     hidden_global_offset_y
      - .offset:         200
        .size:           8
        .value_kind:     hidden_global_offset_z
      - .offset:         208
        .size:           2
        .value_kind:     hidden_grid_dims
    .group_segment_fixed_size: 16
    .kernarg_segment_align: 8
    .kernarg_segment_size: 400
    .language:       OpenCL C
    .language_version:
      - 2
      - 0
    .max_flat_workgroup_size: 1024
    .name:           _ZN5aiter35fused_qk_rmsnorm_group_quant_kernelItN4opus5fp4_tELi128ELi16ELi8ELb1ELb1ELb0ELb1ELb0ELb0EEEvPT0_PvPT_S7_S7_PKS6_S9_S9_S9_S9_ffiiiiiiiiiiiii
    .private_segment_fixed_size: 0
    .sgpr_count:     36
    .sgpr_spill_count: 0
    .symbol:         _ZN5aiter35fused_qk_rmsnorm_group_quant_kernelItN4opus5fp4_tELi128ELi16ELi8ELb1ELb1ELb0ELb1ELb0ELb0EEEvPT0_PvPT_S7_S7_PKS6_S9_S9_S9_S9_ffiiiiiiiiiiiii.kd
    .uniform_work_group_size: 1
    .uses_dynamic_stack: false
    .vgpr_count:     90
    .vgpr_spill_count: 0
    .wavefront_size: 64
  - .agpr_count:     0
    .args:
      - .actual_access:  read_only
        .address_space:  global
        .offset:         0
        .size:           8
        .value_kind:     global_buffer
      - .actual_access:  read_only
        .address_space:  global
        .offset:         8
        .size:           8
        .value_kind:     global_buffer
      - .actual_access:  write_only
        .address_space:  global
        .offset:         16
        .size:           8
        .value_kind:     global_buffer
      - .actual_access:  write_only
        .address_space:  global
        .offset:         24
        .size:           8
        .value_kind:     global_buffer
      - .actual_access:  read_only
        .address_space:  global
        .offset:         32
        .size:           8
        .value_kind:     global_buffer
      - .actual_access:  read_only
        .address_space:  global
        .offset:         40
        .size:           8
        .value_kind:     global_buffer
      - .actual_access:  read_only
        .address_space:  global
        .offset:         48
        .size:           8
        .value_kind:     global_buffer
      - .actual_access:  read_only
        .address_space:  global
        .offset:         56
        .size:           8
        .value_kind:     global_buffer
      - .actual_access:  read_only
        .address_space:  global
        .offset:         64
        .size:           8
        .value_kind:     global_buffer
      - .actual_access:  read_only
        .address_space:  global
        .offset:         72
        .size:           8
        .value_kind:     global_buffer
      - .offset:         80
        .size:           4
        .value_kind:     by_value
      - .offset:         84
        .size:           4
        .value_kind:     by_value
      - .offset:         88
        .size:           4
        .value_kind:     by_value
      - .offset:         92
        .size:           4
        .value_kind:     by_value
      - .offset:         96
        .size:           4
        .value_kind:     by_value
      - .offset:         100
        .size:           4
        .value_kind:     by_value
      - .offset:         104
        .size:           4
        .value_kind:     by_value
      - .offset:         108
        .size:           4
        .value_kind:     by_value
      - .offset:         112
        .size:           4
        .value_kind:     by_value
      - .offset:         116
        .size:           4
        .value_kind:     by_value
      - .offset:         120
        .size:           4
        .value_kind:     by_value
      - .offset:         124
        .size:           4
        .value_kind:     by_value
      - .offset:         128
        .size:           4
        .value_kind:     by_value
      - .offset:         132
        .size:           4
        .value_kind:     by_value
      - .offset:         136
        .size:           4
        .value_kind:     by_value
      - .offset:         144
        .size:           4
        .value_kind:     hidden_block_count_x
      - .offset:         148
        .size:           4
        .value_kind:     hidden_block_count_y
      - .offset:         152
        .size:           4
        .value_kind:     hidden_block_count_z
      - .offset:         156
        .size:           2
        .value_kind:     hidden_group_size_x
      - .offset:         158
        .size:           2
        .value_kind:     hidden_group_size_y
      - .offset:         160
        .size:           2
        .value_kind:     hidden_group_size_z
      - .offset:         162
        .size:           2
        .value_kind:     hidden_remainder_x
      - .offset:         164
        .size:           2
        .value_kind:     hidden_remainder_y
      - .offset:         166
        .size:           2
        .value_kind:     hidden_remainder_z
      - .offset:         184
        .size:           8
        .value_kind:     hidden_global_offset_x
      - .offset:         192
        .size:           8
        .value_kind:     hidden_global_offset_y
      - .offset:         200
        .size:           8
        .value_kind:     hidden_global_offset_z
      - .offset:         208
        .size:           2
        .value_kind:     hidden_grid_dims
    .group_segment_fixed_size: 16
    .kernarg_segment_align: 8
    .kernarg_segment_size: 400
    .language:       OpenCL C
    .language_version:
      - 2
      - 0
    .max_flat_workgroup_size: 1024
    .name:           _ZN5aiter35fused_qk_rmsnorm_group_quant_kernelIDF16_DB8_Li128ELi16ELi8ELb0ELb1ELb1ELb1ELb0ELb0EEEvPT0_PvPT_S6_S6_PKS5_S8_S8_S8_S8_ffiiiiiiiiiiiii
    .private_segment_fixed_size: 0
    .sgpr_count:     36
    .sgpr_spill_count: 0
    .symbol:         _ZN5aiter35fused_qk_rmsnorm_group_quant_kernelIDF16_DB8_Li128ELi16ELi8ELb0ELb1ELb1ELb1ELb0ELb0EEEvPT0_PvPT_S6_S6_PKS5_S8_S8_S8_S8_ffiiiiiiiiiiiii.kd
    .uniform_work_group_size: 1
    .uses_dynamic_stack: false
    .vgpr_count:     35
    .vgpr_spill_count: 0
    .wavefront_size: 64
  - .agpr_count:     0
    .args:
      - .actual_access:  read_only
        .address_space:  global
        .offset:         0
        .size:           8
        .value_kind:     global_buffer
      - .actual_access:  read_only
        .address_space:  global
        .offset:         8
        .size:           8
        .value_kind:     global_buffer
      - .actual_access:  write_only
        .address_space:  global
        .offset:         16
        .size:           8
        .value_kind:     global_buffer
      - .actual_access:  write_only
        .address_space:  global
        .offset:         24
        .size:           8
        .value_kind:     global_buffer
      - .actual_access:  read_only
        .address_space:  global
        .offset:         32
        .size:           8
        .value_kind:     global_buffer
      - .actual_access:  read_only
        .address_space:  global
        .offset:         40
        .size:           8
        .value_kind:     global_buffer
      - .actual_access:  read_only
        .address_space:  global
        .offset:         48
        .size:           8
        .value_kind:     global_buffer
      - .actual_access:  read_only
        .address_space:  global
        .offset:         56
        .size:           8
        .value_kind:     global_buffer
      - .actual_access:  read_only
        .address_space:  global
        .offset:         64
        .size:           8
        .value_kind:     global_buffer
      - .actual_access:  read_only
        .address_space:  global
        .offset:         72
        .size:           8
        .value_kind:     global_buffer
      - .offset:         80
        .size:           4
        .value_kind:     by_value
      - .offset:         84
        .size:           4
        .value_kind:     by_value
      - .offset:         88
        .size:           4
        .value_kind:     by_value
      - .offset:         92
        .size:           4
        .value_kind:     by_value
      - .offset:         96
        .size:           4
        .value_kind:     by_value
      - .offset:         100
        .size:           4
        .value_kind:     by_value
      - .offset:         104
        .size:           4
        .value_kind:     by_value
      - .offset:         108
        .size:           4
        .value_kind:     by_value
      - .offset:         112
        .size:           4
        .value_kind:     by_value
      - .offset:         116
        .size:           4
        .value_kind:     by_value
      - .offset:         120
        .size:           4
        .value_kind:     by_value
      - .offset:         124
        .size:           4
        .value_kind:     by_value
      - .offset:         128
        .size:           4
        .value_kind:     by_value
      - .offset:         132
        .size:           4
        .value_kind:     by_value
      - .offset:         136
        .size:           4
        .value_kind:     by_value
      - .offset:         144
        .size:           4
        .value_kind:     hidden_block_count_x
      - .offset:         148
        .size:           4
        .value_kind:     hidden_block_count_y
      - .offset:         152
        .size:           4
        .value_kind:     hidden_block_count_z
      - .offset:         156
        .size:           2
        .value_kind:     hidden_group_size_x
      - .offset:         158
        .size:           2
        .value_kind:     hidden_group_size_y
      - .offset:         160
        .size:           2
        .value_kind:     hidden_group_size_z
      - .offset:         162
        .size:           2
        .value_kind:     hidden_remainder_x
      - .offset:         164
        .size:           2
        .value_kind:     hidden_remainder_y
      - .offset:         166
        .size:           2
        .value_kind:     hidden_remainder_z
      - .offset:         184
        .size:           8
        .value_kind:     hidden_global_offset_x
      - .offset:         192
        .size:           8
        .value_kind:     hidden_global_offset_y
      - .offset:         200
        .size:           8
        .value_kind:     hidden_global_offset_z
      - .offset:         208
        .size:           2
        .value_kind:     hidden_grid_dims
    .group_segment_fixed_size: 16
    .kernarg_segment_align: 8
    .kernarg_segment_size: 400
    .language:       OpenCL C
    .language_version:
      - 2
      - 0
    .max_flat_workgroup_size: 1024
    .name:           _ZN5aiter35fused_qk_rmsnorm_group_quant_kernelItDB8_Li128ELi16ELi8ELb0ELb1ELb1ELb1ELb0ELb0EEEvPT0_PvPT_S6_S6_PKS5_S8_S8_S8_S8_ffiiiiiiiiiiiii
    .private_segment_fixed_size: 0
    .sgpr_count:     36
    .sgpr_spill_count: 0
    .symbol:         _ZN5aiter35fused_qk_rmsnorm_group_quant_kernelItDB8_Li128ELi16ELi8ELb0ELb1ELb1ELb1ELb0ELb0EEEvPT0_PvPT_S6_S6_PKS5_S8_S8_S8_S8_ffiiiiiiiiiiiii.kd
    .uniform_work_group_size: 1
    .uses_dynamic_stack: false
    .vgpr_count:     35
    .vgpr_spill_count: 0
    .wavefront_size: 64
  - .agpr_count:     0
    .args:
      - .actual_access:  read_only
        .address_space:  global
        .offset:         0
        .size:           8
        .value_kind:     global_buffer
      - .actual_access:  read_only
        .address_space:  global
        .offset:         8
        .size:           8
        .value_kind:     global_buffer
      - .actual_access:  write_only
        .address_space:  global
        .offset:         16
        .size:           8
        .value_kind:     global_buffer
      - .actual_access:  write_only
        .address_space:  global
        .offset:         24
        .size:           8
        .value_kind:     global_buffer
      - .actual_access:  read_only
        .address_space:  global
        .offset:         32
        .size:           8
        .value_kind:     global_buffer
      - .actual_access:  read_only
        .address_space:  global
        .offset:         40
        .size:           8
        .value_kind:     global_buffer
      - .actual_access:  read_only
        .address_space:  global
        .offset:         48
        .size:           8
        .value_kind:     global_buffer
      - .actual_access:  read_only
        .address_space:  global
        .offset:         56
        .size:           8
        .value_kind:     global_buffer
      - .actual_access:  read_only
        .address_space:  global
        .offset:         64
        .size:           8
        .value_kind:     global_buffer
      - .actual_access:  read_only
        .address_space:  global
        .offset:         72
        .size:           8
        .value_kind:     global_buffer
      - .offset:         80
        .size:           4
        .value_kind:     by_value
      - .offset:         84
        .size:           4
        .value_kind:     by_value
      - .offset:         88
        .size:           4
        .value_kind:     by_value
      - .offset:         92
        .size:           4
        .value_kind:     by_value
      - .offset:         96
        .size:           4
        .value_kind:     by_value
      - .offset:         100
        .size:           4
        .value_kind:     by_value
      - .offset:         104
        .size:           4
        .value_kind:     by_value
      - .offset:         108
        .size:           4
        .value_kind:     by_value
      - .offset:         112
        .size:           4
        .value_kind:     by_value
      - .offset:         116
        .size:           4
        .value_kind:     by_value
      - .offset:         120
        .size:           4
        .value_kind:     by_value
      - .offset:         124
        .size:           4
        .value_kind:     by_value
      - .offset:         128
        .size:           4
        .value_kind:     by_value
      - .offset:         132
        .size:           4
        .value_kind:     by_value
      - .offset:         136
        .size:           4
        .value_kind:     by_value
      - .offset:         144
        .size:           4
        .value_kind:     hidden_block_count_x
      - .offset:         148
        .size:           4
        .value_kind:     hidden_block_count_y
      - .offset:         152
        .size:           4
        .value_kind:     hidden_block_count_z
      - .offset:         156
        .size:           2
        .value_kind:     hidden_group_size_x
      - .offset:         158
        .size:           2
        .value_kind:     hidden_group_size_y
      - .offset:         160
        .size:           2
        .value_kind:     hidden_group_size_z
      - .offset:         162
        .size:           2
        .value_kind:     hidden_remainder_x
      - .offset:         164
        .size:           2
        .value_kind:     hidden_remainder_y
      - .offset:         166
        .size:           2
        .value_kind:     hidden_remainder_z
      - .offset:         184
        .size:           8
        .value_kind:     hidden_global_offset_x
      - .offset:         192
        .size:           8
        .value_kind:     hidden_global_offset_y
      - .offset:         200
        .size:           8
        .value_kind:     hidden_global_offset_z
      - .offset:         208
        .size:           2
        .value_kind:     hidden_grid_dims
    .group_segment_fixed_size: 16
    .kernarg_segment_align: 8
    .kernarg_segment_size: 400
    .language:       OpenCL C
    .language_version:
      - 2
      - 0
    .max_flat_workgroup_size: 1024
    .name:           _ZN5aiter35fused_qk_rmsnorm_group_quant_kernelIDF16_N4opus5fp4_tELi128ELi16ELi8ELb0ELb1ELb1ELb1ELb0ELb0EEEvPT0_PvPT_S7_S7_PKS6_S9_S9_S9_S9_ffiiiiiiiiiiiii
    .private_segment_fixed_size: 0
    .sgpr_count:     36
    .sgpr_spill_count: 0
    .symbol:         _ZN5aiter35fused_qk_rmsnorm_group_quant_kernelIDF16_N4opus5fp4_tELi128ELi16ELi8ELb0ELb1ELb1ELb1ELb0ELb0EEEvPT0_PvPT_S7_S7_PKS6_S9_S9_S9_S9_ffiiiiiiiiiiiii.kd
    .uniform_work_group_size: 1
    .uses_dynamic_stack: false
    .vgpr_count:     35
    .vgpr_spill_count: 0
    .wavefront_size: 64
  - .agpr_count:     0
    .args:
      - .actual_access:  read_only
        .address_space:  global
        .offset:         0
        .size:           8
        .value_kind:     global_buffer
      - .actual_access:  read_only
        .address_space:  global
        .offset:         8
        .size:           8
        .value_kind:     global_buffer
      - .actual_access:  write_only
        .address_space:  global
        .offset:         16
        .size:           8
        .value_kind:     global_buffer
      - .actual_access:  write_only
        .address_space:  global
        .offset:         24
        .size:           8
        .value_kind:     global_buffer
      - .actual_access:  read_only
        .address_space:  global
        .offset:         32
        .size:           8
        .value_kind:     global_buffer
      - .actual_access:  read_only
        .address_space:  global
        .offset:         40
        .size:           8
        .value_kind:     global_buffer
      - .actual_access:  read_only
        .address_space:  global
        .offset:         48
        .size:           8
        .value_kind:     global_buffer
      - .actual_access:  read_only
        .address_space:  global
        .offset:         56
        .size:           8
        .value_kind:     global_buffer
      - .actual_access:  read_only
        .address_space:  global
        .offset:         64
        .size:           8
        .value_kind:     global_buffer
      - .actual_access:  read_only
        .address_space:  global
        .offset:         72
        .size:           8
        .value_kind:     global_buffer
      - .offset:         80
        .size:           4
        .value_kind:     by_value
      - .offset:         84
        .size:           4
        .value_kind:     by_value
      - .offset:         88
        .size:           4
        .value_kind:     by_value
      - .offset:         92
        .size:           4
        .value_kind:     by_value
      - .offset:         96
        .size:           4
        .value_kind:     by_value
      - .offset:         100
        .size:           4
        .value_kind:     by_value
      - .offset:         104
        .size:           4
        .value_kind:     by_value
      - .offset:         108
        .size:           4
        .value_kind:     by_value
      - .offset:         112
        .size:           4
        .value_kind:     by_value
      - .offset:         116
        .size:           4
        .value_kind:     by_value
      - .offset:         120
        .size:           4
        .value_kind:     by_value
      - .offset:         124
        .size:           4
        .value_kind:     by_value
      - .offset:         128
        .size:           4
        .value_kind:     by_value
      - .offset:         132
        .size:           4
        .value_kind:     by_value
      - .offset:         136
        .size:           4
        .value_kind:     by_value
      - .offset:         144
        .size:           4
        .value_kind:     hidden_block_count_x
      - .offset:         148
        .size:           4
        .value_kind:     hidden_block_count_y
      - .offset:         152
        .size:           4
        .value_kind:     hidden_block_count_z
      - .offset:         156
        .size:           2
        .value_kind:     hidden_group_size_x
      - .offset:         158
        .size:           2
        .value_kind:     hidden_group_size_y
      - .offset:         160
        .size:           2
        .value_kind:     hidden_group_size_z
      - .offset:         162
        .size:           2
        .value_kind:     hidden_remainder_x
      - .offset:         164
        .size:           2
        .value_kind:     hidden_remainder_y
      - .offset:         166
        .size:           2
        .value_kind:     hidden_remainder_z
      - .offset:         184
        .size:           8
        .value_kind:     hidden_global_offset_x
      - .offset:         192
        .size:           8
        .value_kind:     hidden_global_offset_y
      - .offset:         200
        .size:           8
        .value_kind:     hidden_global_offset_z
      - .offset:         208
        .size:           2
        .value_kind:     hidden_grid_dims
    .group_segment_fixed_size: 16
    .kernarg_segment_align: 8
    .kernarg_segment_size: 400
    .language:       OpenCL C
    .language_version:
      - 2
      - 0
    .max_flat_workgroup_size: 1024
    .name:           _ZN5aiter35fused_qk_rmsnorm_group_quant_kernelItN4opus5fp4_tELi128ELi16ELi8ELb0ELb1ELb1ELb1ELb0ELb0EEEvPT0_PvPT_S7_S7_PKS6_S9_S9_S9_S9_ffiiiiiiiiiiiii
    .private_segment_fixed_size: 0
    .sgpr_count:     36
    .sgpr_spill_count: 0
    .symbol:         _ZN5aiter35fused_qk_rmsnorm_group_quant_kernelItN4opus5fp4_tELi128ELi16ELi8ELb0ELb1ELb1ELb1ELb0ELb0EEEvPT0_PvPT_S7_S7_PKS6_S9_S9_S9_S9_ffiiiiiiiiiiiii.kd
    .uniform_work_group_size: 1
    .uses_dynamic_stack: false
    .vgpr_count:     35
    .vgpr_spill_count: 0
    .wavefront_size: 64
  - .agpr_count:     0
    .args:
      - .actual_access:  read_only
        .address_space:  global
        .offset:         0
        .size:           8
        .value_kind:     global_buffer
      - .actual_access:  read_only
        .address_space:  global
        .offset:         8
        .size:           8
        .value_kind:     global_buffer
      - .actual_access:  write_only
        .address_space:  global
        .offset:         16
        .size:           8
        .value_kind:     global_buffer
      - .actual_access:  write_only
        .address_space:  global
        .offset:         24
        .size:           8
        .value_kind:     global_buffer
      - .actual_access:  read_only
        .address_space:  global
        .offset:         32
        .size:           8
        .value_kind:     global_buffer
      - .actual_access:  read_only
        .address_space:  global
        .offset:         40
        .size:           8
        .value_kind:     global_buffer
      - .actual_access:  read_only
        .address_space:  global
        .offset:         48
        .size:           8
        .value_kind:     global_buffer
      - .actual_access:  read_only
        .address_space:  global
        .offset:         56
        .size:           8
        .value_kind:     global_buffer
      - .actual_access:  read_only
        .address_space:  global
        .offset:         64
        .size:           8
        .value_kind:     global_buffer
      - .actual_access:  read_only
        .address_space:  global
        .offset:         72
        .size:           8
        .value_kind:     global_buffer
      - .offset:         80
        .size:           4
        .value_kind:     by_value
      - .offset:         84
        .size:           4
        .value_kind:     by_value
      - .offset:         88
        .size:           4
        .value_kind:     by_value
      - .offset:         92
        .size:           4
        .value_kind:     by_value
      - .offset:         96
        .size:           4
        .value_kind:     by_value
      - .offset:         100
        .size:           4
        .value_kind:     by_value
      - .offset:         104
        .size:           4
        .value_kind:     by_value
      - .offset:         108
        .size:           4
        .value_kind:     by_value
      - .offset:         112
        .size:           4
        .value_kind:     by_value
      - .offset:         116
        .size:           4
        .value_kind:     by_value
      - .offset:         120
        .size:           4
        .value_kind:     by_value
      - .offset:         124
        .size:           4
        .value_kind:     by_value
      - .offset:         128
        .size:           4
        .value_kind:     by_value
      - .offset:         132
        .size:           4
        .value_kind:     by_value
      - .offset:         136
        .size:           4
        .value_kind:     by_value
      - .offset:         144
        .size:           4
        .value_kind:     hidden_block_count_x
      - .offset:         148
        .size:           4
        .value_kind:     hidden_block_count_y
      - .offset:         152
        .size:           4
        .value_kind:     hidden_block_count_z
      - .offset:         156
        .size:           2
        .value_kind:     hidden_group_size_x
      - .offset:         158
        .size:           2
        .value_kind:     hidden_group_size_y
      - .offset:         160
        .size:           2
        .value_kind:     hidden_group_size_z
      - .offset:         162
        .size:           2
        .value_kind:     hidden_remainder_x
      - .offset:         164
        .size:           2
        .value_kind:     hidden_remainder_y
      - .offset:         166
        .size:           2
        .value_kind:     hidden_remainder_z
      - .offset:         184
        .size:           8
        .value_kind:     hidden_global_offset_x
      - .offset:         192
        .size:           8
        .value_kind:     hidden_global_offset_y
      - .offset:         200
        .size:           8
        .value_kind:     hidden_global_offset_z
      - .offset:         208
        .size:           2
        .value_kind:     hidden_grid_dims
    .group_segment_fixed_size: 16
    .kernarg_segment_align: 8
    .kernarg_segment_size: 400
    .language:       OpenCL C
    .language_version:
      - 2
      - 0
    .max_flat_workgroup_size: 1024
    .name:           _ZN5aiter35fused_qk_rmsnorm_group_quant_kernelIDF16_DB8_Li128ELi16ELi8ELb0ELb1ELb0ELb1ELb0ELb0EEEvPT0_PvPT_S6_S6_PKS5_S8_S8_S8_S8_ffiiiiiiiiiiiii
    .private_segment_fixed_size: 0
    .sgpr_count:     36
    .sgpr_spill_count: 0
    .symbol:         _ZN5aiter35fused_qk_rmsnorm_group_quant_kernelIDF16_DB8_Li128ELi16ELi8ELb0ELb1ELb0ELb1ELb0ELb0EEEvPT0_PvPT_S6_S6_PKS5_S8_S8_S8_S8_ffiiiiiiiiiiiii.kd
    .uniform_work_group_size: 1
    .uses_dynamic_stack: false
    .vgpr_count:     35
    .vgpr_spill_count: 0
    .wavefront_size: 64
  - .agpr_count:     0
    .args:
      - .actual_access:  read_only
        .address_space:  global
        .offset:         0
        .size:           8
        .value_kind:     global_buffer
      - .actual_access:  read_only
        .address_space:  global
        .offset:         8
        .size:           8
        .value_kind:     global_buffer
      - .actual_access:  write_only
        .address_space:  global
        .offset:         16
        .size:           8
        .value_kind:     global_buffer
      - .actual_access:  write_only
        .address_space:  global
        .offset:         24
        .size:           8
        .value_kind:     global_buffer
      - .actual_access:  read_only
        .address_space:  global
        .offset:         32
        .size:           8
        .value_kind:     global_buffer
      - .actual_access:  read_only
        .address_space:  global
        .offset:         40
        .size:           8
        .value_kind:     global_buffer
      - .actual_access:  read_only
        .address_space:  global
        .offset:         48
        .size:           8
        .value_kind:     global_buffer
      - .actual_access:  read_only
        .address_space:  global
        .offset:         56
        .size:           8
        .value_kind:     global_buffer
      - .actual_access:  read_only
        .address_space:  global
        .offset:         64
        .size:           8
        .value_kind:     global_buffer
      - .actual_access:  read_only
        .address_space:  global
        .offset:         72
        .size:           8
        .value_kind:     global_buffer
      - .offset:         80
        .size:           4
        .value_kind:     by_value
      - .offset:         84
        .size:           4
        .value_kind:     by_value
      - .offset:         88
        .size:           4
        .value_kind:     by_value
      - .offset:         92
        .size:           4
        .value_kind:     by_value
      - .offset:         96
        .size:           4
        .value_kind:     by_value
      - .offset:         100
        .size:           4
        .value_kind:     by_value
      - .offset:         104
        .size:           4
        .value_kind:     by_value
      - .offset:         108
        .size:           4
        .value_kind:     by_value
      - .offset:         112
        .size:           4
        .value_kind:     by_value
      - .offset:         116
        .size:           4
        .value_kind:     by_value
      - .offset:         120
        .size:           4
        .value_kind:     by_value
      - .offset:         124
        .size:           4
        .value_kind:     by_value
      - .offset:         128
        .size:           4
        .value_kind:     by_value
      - .offset:         132
        .size:           4
        .value_kind:     by_value
      - .offset:         136
        .size:           4
        .value_kind:     by_value
      - .offset:         144
        .size:           4
        .value_kind:     hidden_block_count_x
      - .offset:         148
        .size:           4
        .value_kind:     hidden_block_count_y
      - .offset:         152
        .size:           4
        .value_kind:     hidden_block_count_z
      - .offset:         156
        .size:           2
        .value_kind:     hidden_group_size_x
      - .offset:         158
        .size:           2
        .value_kind:     hidden_group_size_y
      - .offset:         160
        .size:           2
        .value_kind:     hidden_group_size_z
      - .offset:         162
        .size:           2
        .value_kind:     hidden_remainder_x
      - .offset:         164
        .size:           2
        .value_kind:     hidden_remainder_y
      - .offset:         166
        .size:           2
        .value_kind:     hidden_remainder_z
      - .offset:         184
        .size:           8
        .value_kind:     hidden_global_offset_x
      - .offset:         192
        .size:           8
        .value_kind:     hidden_global_offset_y
      - .offset:         200
        .size:           8
        .value_kind:     hidden_global_offset_z
      - .offset:         208
        .size:           2
        .value_kind:     hidden_grid_dims
    .group_segment_fixed_size: 16
    .kernarg_segment_align: 8
    .kernarg_segment_size: 400
    .language:       OpenCL C
    .language_version:
      - 2
      - 0
    .max_flat_workgroup_size: 1024
    .name:           _ZN5aiter35fused_qk_rmsnorm_group_quant_kernelItDB8_Li128ELi16ELi8ELb0ELb1ELb0ELb1ELb0ELb0EEEvPT0_PvPT_S6_S6_PKS5_S8_S8_S8_S8_ffiiiiiiiiiiiii
    .private_segment_fixed_size: 0
    .sgpr_count:     36
    .sgpr_spill_count: 0
    .symbol:         _ZN5aiter35fused_qk_rmsnorm_group_quant_kernelItDB8_Li128ELi16ELi8ELb0ELb1ELb0ELb1ELb0ELb0EEEvPT0_PvPT_S6_S6_PKS5_S8_S8_S8_S8_ffiiiiiiiiiiiii.kd
    .uniform_work_group_size: 1
    .uses_dynamic_stack: false
    .vgpr_count:     35
    .vgpr_spill_count: 0
    .wavefront_size: 64
  - .agpr_count:     0
    .args:
      - .actual_access:  read_only
        .address_space:  global
        .offset:         0
        .size:           8
        .value_kind:     global_buffer
      - .actual_access:  read_only
        .address_space:  global
        .offset:         8
        .size:           8
        .value_kind:     global_buffer
      - .actual_access:  write_only
        .address_space:  global
        .offset:         16
        .size:           8
        .value_kind:     global_buffer
      - .actual_access:  write_only
        .address_space:  global
        .offset:         24
        .size:           8
        .value_kind:     global_buffer
      - .actual_access:  read_only
        .address_space:  global
        .offset:         32
        .size:           8
        .value_kind:     global_buffer
      - .actual_access:  read_only
        .address_space:  global
        .offset:         40
        .size:           8
        .value_kind:     global_buffer
      - .actual_access:  read_only
        .address_space:  global
        .offset:         48
        .size:           8
        .value_kind:     global_buffer
      - .actual_access:  read_only
        .address_space:  global
        .offset:         56
        .size:           8
        .value_kind:     global_buffer
      - .actual_access:  read_only
        .address_space:  global
        .offset:         64
        .size:           8
        .value_kind:     global_buffer
      - .actual_access:  read_only
        .address_space:  global
        .offset:         72
        .size:           8
        .value_kind:     global_buffer
      - .offset:         80
        .size:           4
        .value_kind:     by_value
      - .offset:         84
        .size:           4
        .value_kind:     by_value
      - .offset:         88
        .size:           4
        .value_kind:     by_value
      - .offset:         92
        .size:           4
        .value_kind:     by_value
      - .offset:         96
        .size:           4
        .value_kind:     by_value
      - .offset:         100
        .size:           4
        .value_kind:     by_value
      - .offset:         104
        .size:           4
        .value_kind:     by_value
      - .offset:         108
        .size:           4
        .value_kind:     by_value
      - .offset:         112
        .size:           4
        .value_kind:     by_value
      - .offset:         116
        .size:           4
        .value_kind:     by_value
      - .offset:         120
        .size:           4
        .value_kind:     by_value
      - .offset:         124
        .size:           4
        .value_kind:     by_value
      - .offset:         128
        .size:           4
        .value_kind:     by_value
      - .offset:         132
        .size:           4
        .value_kind:     by_value
      - .offset:         136
        .size:           4
        .value_kind:     by_value
      - .offset:         144
        .size:           4
        .value_kind:     hidden_block_count_x
      - .offset:         148
        .size:           4
        .value_kind:     hidden_block_count_y
      - .offset:         152
        .size:           4
        .value_kind:     hidden_block_count_z
      - .offset:         156
        .size:           2
        .value_kind:     hidden_group_size_x
      - .offset:         158
        .size:           2
        .value_kind:     hidden_group_size_y
      - .offset:         160
        .size:           2
        .value_kind:     hidden_group_size_z
      - .offset:         162
        .size:           2
        .value_kind:     hidden_remainder_x
      - .offset:         164
        .size:           2
        .value_kind:     hidden_remainder_y
      - .offset:         166
        .size:           2
        .value_kind:     hidden_remainder_z
      - .offset:         184
        .size:           8
        .value_kind:     hidden_global_offset_x
      - .offset:         192
        .size:           8
        .value_kind:     hidden_global_offset_y
      - .offset:         200
        .size:           8
        .value_kind:     hidden_global_offset_z
      - .offset:         208
        .size:           2
        .value_kind:     hidden_grid_dims
    .group_segment_fixed_size: 16
    .kernarg_segment_align: 8
    .kernarg_segment_size: 400
    .language:       OpenCL C
    .language_version:
      - 2
      - 0
    .max_flat_workgroup_size: 1024
    .name:           _ZN5aiter35fused_qk_rmsnorm_group_quant_kernelIDF16_N4opus5fp4_tELi128ELi16ELi8ELb0ELb1ELb0ELb1ELb0ELb0EEEvPT0_PvPT_S7_S7_PKS6_S9_S9_S9_S9_ffiiiiiiiiiiiii
    .private_segment_fixed_size: 0
    .sgpr_count:     36
    .sgpr_spill_count: 0
    .symbol:         _ZN5aiter35fused_qk_rmsnorm_group_quant_kernelIDF16_N4opus5fp4_tELi128ELi16ELi8ELb0ELb1ELb0ELb1ELb0ELb0EEEvPT0_PvPT_S7_S7_PKS6_S9_S9_S9_S9_ffiiiiiiiiiiiii.kd
    .uniform_work_group_size: 1
    .uses_dynamic_stack: false
    .vgpr_count:     35
    .vgpr_spill_count: 0
    .wavefront_size: 64
  - .agpr_count:     0
    .args:
      - .actual_access:  read_only
        .address_space:  global
        .offset:         0
        .size:           8
        .value_kind:     global_buffer
      - .actual_access:  read_only
        .address_space:  global
        .offset:         8
        .size:           8
        .value_kind:     global_buffer
      - .actual_access:  write_only
        .address_space:  global
        .offset:         16
        .size:           8
        .value_kind:     global_buffer
      - .actual_access:  write_only
        .address_space:  global
        .offset:         24
        .size:           8
        .value_kind:     global_buffer
      - .actual_access:  read_only
        .address_space:  global
        .offset:         32
        .size:           8
        .value_kind:     global_buffer
      - .actual_access:  read_only
        .address_space:  global
        .offset:         40
        .size:           8
        .value_kind:     global_buffer
      - .actual_access:  read_only
        .address_space:  global
        .offset:         48
        .size:           8
        .value_kind:     global_buffer
      - .actual_access:  read_only
        .address_space:  global
        .offset:         56
        .size:           8
        .value_kind:     global_buffer
      - .actual_access:  read_only
        .address_space:  global
        .offset:         64
        .size:           8
        .value_kind:     global_buffer
      - .actual_access:  read_only
        .address_space:  global
        .offset:         72
        .size:           8
        .value_kind:     global_buffer
      - .offset:         80
        .size:           4
        .value_kind:     by_value
      - .offset:         84
        .size:           4
        .value_kind:     by_value
      - .offset:         88
        .size:           4
        .value_kind:     by_value
      - .offset:         92
        .size:           4
        .value_kind:     by_value
      - .offset:         96
        .size:           4
        .value_kind:     by_value
      - .offset:         100
        .size:           4
        .value_kind:     by_value
      - .offset:         104
        .size:           4
        .value_kind:     by_value
      - .offset:         108
        .size:           4
        .value_kind:     by_value
      - .offset:         112
        .size:           4
        .value_kind:     by_value
      - .offset:         116
        .size:           4
        .value_kind:     by_value
      - .offset:         120
        .size:           4
        .value_kind:     by_value
      - .offset:         124
        .size:           4
        .value_kind:     by_value
      - .offset:         128
        .size:           4
        .value_kind:     by_value
      - .offset:         132
        .size:           4
        .value_kind:     by_value
      - .offset:         136
        .size:           4
        .value_kind:     by_value
      - .offset:         144
        .size:           4
        .value_kind:     hidden_block_count_x
      - .offset:         148
        .size:           4
        .value_kind:     hidden_block_count_y
      - .offset:         152
        .size:           4
        .value_kind:     hidden_block_count_z
      - .offset:         156
        .size:           2
        .value_kind:     hidden_group_size_x
      - .offset:         158
        .size:           2
        .value_kind:     hidden_group_size_y
      - .offset:         160
        .size:           2
        .value_kind:     hidden_group_size_z
      - .offset:         162
        .size:           2
        .value_kind:     hidden_remainder_x
      - .offset:         164
        .size:           2
        .value_kind:     hidden_remainder_y
      - .offset:         166
        .size:           2
        .value_kind:     hidden_remainder_z
      - .offset:         184
        .size:           8
        .value_kind:     hidden_global_offset_x
      - .offset:         192
        .size:           8
        .value_kind:     hidden_global_offset_y
      - .offset:         200
        .size:           8
        .value_kind:     hidden_global_offset_z
      - .offset:         208
        .size:           2
        .value_kind:     hidden_grid_dims
    .group_segment_fixed_size: 16
    .kernarg_segment_align: 8
    .kernarg_segment_size: 400
    .language:       OpenCL C
    .language_version:
      - 2
      - 0
    .max_flat_workgroup_size: 1024
    .name:           _ZN5aiter35fused_qk_rmsnorm_group_quant_kernelItN4opus5fp4_tELi128ELi16ELi8ELb0ELb1ELb0ELb1ELb0ELb0EEEvPT0_PvPT_S7_S7_PKS6_S9_S9_S9_S9_ffiiiiiiiiiiiii
    .private_segment_fixed_size: 0
    .sgpr_count:     36
    .sgpr_spill_count: 0
    .symbol:         _ZN5aiter35fused_qk_rmsnorm_group_quant_kernelItN4opus5fp4_tELi128ELi16ELi8ELb0ELb1ELb0ELb1ELb0ELb0EEEvPT0_PvPT_S7_S7_PKS6_S9_S9_S9_S9_ffiiiiiiiiiiiii.kd
    .uniform_work_group_size: 1
    .uses_dynamic_stack: false
    .vgpr_count:     35
    .vgpr_spill_count: 0
    .wavefront_size: 64
  - .agpr_count:     0
    .args:
      - .actual_access:  write_only
        .address_space:  global
        .offset:         0
        .size:           8
        .value_kind:     global_buffer
      - .actual_access:  write_only
        .address_space:  global
        .offset:         8
        .size:           8
        .value_kind:     global_buffer
      - .actual_access:  write_only
        .address_space:  global
        .offset:         16
        .size:           8
        .value_kind:     global_buffer
      - .actual_access:  write_only
        .address_space:  global
        .offset:         24
        .size:           8
        .value_kind:     global_buffer
      - .actual_access:  write_only
        .address_space:  global
        .offset:         32
        .size:           8
        .value_kind:     global_buffer
      - .actual_access:  read_only
        .address_space:  global
        .offset:         40
        .size:           8
        .value_kind:     global_buffer
      - .actual_access:  read_only
        .address_space:  global
        .offset:         48
        .size:           8
        .value_kind:     global_buffer
      - .actual_access:  read_only
        .address_space:  global
        .offset:         56
        .size:           8
        .value_kind:     global_buffer
      - .actual_access:  read_only
        .address_space:  global
        .offset:         64
        .size:           8
        .value_kind:     global_buffer
      - .actual_access:  read_only
        .address_space:  global
        .offset:         72
        .size:           8
        .value_kind:     global_buffer
      - .offset:         80
        .size:           4
        .value_kind:     by_value
      - .offset:         84
        .size:           4
        .value_kind:     by_value
      - .offset:         88
        .size:           4
        .value_kind:     by_value
      - .offset:         92
        .size:           4
        .value_kind:     by_value
      - .offset:         96
        .size:           4
        .value_kind:     by_value
      - .offset:         100
        .size:           4
        .value_kind:     by_value
      - .offset:         104
        .size:           4
        .value_kind:     by_value
      - .offset:         108
        .size:           4
        .value_kind:     by_value
      - .offset:         112
        .size:           4
        .value_kind:     by_value
      - .offset:         116
        .size:           4
        .value_kind:     by_value
      - .offset:         120
        .size:           4
        .value_kind:     by_value
      - .offset:         124
        .size:           4
        .value_kind:     by_value
      - .offset:         128
        .size:           4
        .value_kind:     by_value
      - .offset:         132
        .size:           4
        .value_kind:     by_value
      - .offset:         136
        .size:           4
        .value_kind:     by_value
      - .offset:         144
        .size:           4
        .value_kind:     hidden_block_count_x
      - .offset:         148
        .size:           4
        .value_kind:     hidden_block_count_y
      - .offset:         152
        .size:           4
        .value_kind:     hidden_block_count_z
      - .offset:         156
        .size:           2
        .value_kind:     hidden_group_size_x
      - .offset:         158
        .size:           2
        .value_kind:     hidden_group_size_y
      - .offset:         160
        .size:           2
        .value_kind:     hidden_group_size_z
      - .offset:         162
        .size:           2
        .value_kind:     hidden_remainder_x
      - .offset:         164
        .size:           2
        .value_kind:     hidden_remainder_y
      - .offset:         166
        .size:           2
        .value_kind:     hidden_remainder_z
      - .offset:         184
        .size:           8
        .value_kind:     hidden_global_offset_x
      - .offset:         192
        .size:           8
        .value_kind:     hidden_global_offset_y
      - .offset:         200
        .size:           8
        .value_kind:     hidden_global_offset_z
      - .offset:         208
        .size:           2
        .value_kind:     hidden_grid_dims
    .group_segment_fixed_size: 16
    .kernarg_segment_align: 8
    .kernarg_segment_size: 400
    .language:       OpenCL C
    .language_version:
      - 2
      - 0
    .max_flat_workgroup_size: 1024
    .name:           _ZN5aiter35fused_qk_rmsnorm_group_quant_kernelIDF16_DB8_Li128ELi16ELi8ELb1ELb1ELb1ELb0ELb0ELb0EEEvPT0_PvPT_S6_S6_PKS5_S8_S8_S8_S8_ffiiiiiiiiiiiii
    .private_segment_fixed_size: 0
    .sgpr_count:     48
    .sgpr_spill_count: 0
    .symbol:         _ZN5aiter35fused_qk_rmsnorm_group_quant_kernelIDF16_DB8_Li128ELi16ELi8ELb1ELb1ELb1ELb0ELb0ELb0EEEvPT0_PvPT_S6_S6_PKS5_S8_S8_S8_S8_ffiiiiiiiiiiiii.kd
    .uniform_work_group_size: 1
    .uses_dynamic_stack: false
    .vgpr_count:     90
    .vgpr_spill_count: 0
    .wavefront_size: 64
  - .agpr_count:     0
    .args:
      - .actual_access:  write_only
        .address_space:  global
        .offset:         0
        .size:           8
        .value_kind:     global_buffer
      - .actual_access:  write_only
        .address_space:  global
        .offset:         8
        .size:           8
        .value_kind:     global_buffer
      - .actual_access:  write_only
        .address_space:  global
        .offset:         16
        .size:           8
        .value_kind:     global_buffer
      - .actual_access:  write_only
        .address_space:  global
        .offset:         24
        .size:           8
        .value_kind:     global_buffer
      - .actual_access:  write_only
        .address_space:  global
        .offset:         32
        .size:           8
        .value_kind:     global_buffer
      - .actual_access:  read_only
        .address_space:  global
        .offset:         40
        .size:           8
        .value_kind:     global_buffer
      - .actual_access:  read_only
        .address_space:  global
        .offset:         48
        .size:           8
        .value_kind:     global_buffer
      - .actual_access:  read_only
        .address_space:  global
        .offset:         56
        .size:           8
        .value_kind:     global_buffer
      - .actual_access:  read_only
        .address_space:  global
        .offset:         64
        .size:           8
        .value_kind:     global_buffer
      - .actual_access:  read_only
        .address_space:  global
        .offset:         72
        .size:           8
        .value_kind:     global_buffer
      - .offset:         80
        .size:           4
        .value_kind:     by_value
      - .offset:         84
        .size:           4
        .value_kind:     by_value
      - .offset:         88
        .size:           4
        .value_kind:     by_value
      - .offset:         92
        .size:           4
        .value_kind:     by_value
      - .offset:         96
        .size:           4
        .value_kind:     by_value
      - .offset:         100
        .size:           4
        .value_kind:     by_value
      - .offset:         104
        .size:           4
        .value_kind:     by_value
      - .offset:         108
        .size:           4
        .value_kind:     by_value
      - .offset:         112
        .size:           4
        .value_kind:     by_value
      - .offset:         116
        .size:           4
        .value_kind:     by_value
      - .offset:         120
        .size:           4
        .value_kind:     by_value
      - .offset:         124
        .size:           4
        .value_kind:     by_value
      - .offset:         128
        .size:           4
        .value_kind:     by_value
      - .offset:         132
        .size:           4
        .value_kind:     by_value
      - .offset:         136
        .size:           4
        .value_kind:     by_value
      - .offset:         144
        .size:           4
        .value_kind:     hidden_block_count_x
      - .offset:         148
        .size:           4
        .value_kind:     hidden_block_count_y
      - .offset:         152
        .size:           4
        .value_kind:     hidden_block_count_z
      - .offset:         156
        .size:           2
        .value_kind:     hidden_group_size_x
      - .offset:         158
        .size:           2
        .value_kind:     hidden_group_size_y
      - .offset:         160
        .size:           2
        .value_kind:     hidden_group_size_z
      - .offset:         162
        .size:           2
        .value_kind:     hidden_remainder_x
      - .offset:         164
        .size:           2
        .value_kind:     hidden_remainder_y
      - .offset:         166
        .size:           2
        .value_kind:     hidden_remainder_z
      - .offset:         184
        .size:           8
        .value_kind:     hidden_global_offset_x
      - .offset:         192
        .size:           8
        .value_kind:     hidden_global_offset_y
      - .offset:         200
        .size:           8
        .value_kind:     hidden_global_offset_z
      - .offset:         208
        .size:           2
        .value_kind:     hidden_grid_dims
    .group_segment_fixed_size: 16
    .kernarg_segment_align: 8
    .kernarg_segment_size: 400
    .language:       OpenCL C
    .language_version:
      - 2
      - 0
    .max_flat_workgroup_size: 1024
    .name:           _ZN5aiter35fused_qk_rmsnorm_group_quant_kernelItDB8_Li128ELi16ELi8ELb1ELb1ELb1ELb0ELb0ELb0EEEvPT0_PvPT_S6_S6_PKS5_S8_S8_S8_S8_ffiiiiiiiiiiiii
    .private_segment_fixed_size: 0
    .sgpr_count:     48
    .sgpr_spill_count: 0
    .symbol:         _ZN5aiter35fused_qk_rmsnorm_group_quant_kernelItDB8_Li128ELi16ELi8ELb1ELb1ELb1ELb0ELb0ELb0EEEvPT0_PvPT_S6_S6_PKS5_S8_S8_S8_S8_ffiiiiiiiiiiiii.kd
    .uniform_work_group_size: 1
    .uses_dynamic_stack: false
    .vgpr_count:     88
    .vgpr_spill_count: 0
    .wavefront_size: 64
  - .agpr_count:     0
    .args:
      - .actual_access:  write_only
        .address_space:  global
        .offset:         0
        .size:           8
        .value_kind:     global_buffer
      - .actual_access:  write_only
        .address_space:  global
        .offset:         8
        .size:           8
        .value_kind:     global_buffer
      - .actual_access:  write_only
        .address_space:  global
        .offset:         16
        .size:           8
        .value_kind:     global_buffer
      - .actual_access:  write_only
        .address_space:  global
        .offset:         24
        .size:           8
        .value_kind:     global_buffer
      - .actual_access:  write_only
        .address_space:  global
        .offset:         32
        .size:           8
        .value_kind:     global_buffer
      - .actual_access:  read_only
        .address_space:  global
        .offset:         40
        .size:           8
        .value_kind:     global_buffer
      - .actual_access:  read_only
        .address_space:  global
        .offset:         48
        .size:           8
        .value_kind:     global_buffer
      - .actual_access:  read_only
        .address_space:  global
        .offset:         56
        .size:           8
        .value_kind:     global_buffer
      - .actual_access:  read_only
        .address_space:  global
        .offset:         64
        .size:           8
        .value_kind:     global_buffer
      - .actual_access:  read_only
        .address_space:  global
        .offset:         72
        .size:           8
        .value_kind:     global_buffer
      - .offset:         80
        .size:           4
        .value_kind:     by_value
      - .offset:         84
        .size:           4
        .value_kind:     by_value
      - .offset:         88
        .size:           4
        .value_kind:     by_value
      - .offset:         92
        .size:           4
        .value_kind:     by_value
      - .offset:         96
        .size:           4
        .value_kind:     by_value
      - .offset:         100
        .size:           4
        .value_kind:     by_value
      - .offset:         104
        .size:           4
        .value_kind:     by_value
      - .offset:         108
        .size:           4
        .value_kind:     by_value
      - .offset:         112
        .size:           4
        .value_kind:     by_value
      - .offset:         116
        .size:           4
        .value_kind:     by_value
      - .offset:         120
        .size:           4
        .value_kind:     by_value
      - .offset:         124
        .size:           4
        .value_kind:     by_value
      - .offset:         128
        .size:           4
        .value_kind:     by_value
      - .offset:         132
        .size:           4
        .value_kind:     by_value
      - .offset:         136
        .size:           4
        .value_kind:     by_value
      - .offset:         144
        .size:           4
        .value_kind:     hidden_block_count_x
      - .offset:         148
        .size:           4
        .value_kind:     hidden_block_count_y
      - .offset:         152
        .size:           4
        .value_kind:     hidden_block_count_z
      - .offset:         156
        .size:           2
        .value_kind:     hidden_group_size_x
      - .offset:         158
        .size:           2
        .value_kind:     hidden_group_size_y
      - .offset:         160
        .size:           2
        .value_kind:     hidden_group_size_z
      - .offset:         162
        .size:           2
        .value_kind:     hidden_remainder_x
      - .offset:         164
        .size:           2
        .value_kind:     hidden_remainder_y
      - .offset:         166
        .size:           2
        .value_kind:     hidden_remainder_z
      - .offset:         184
        .size:           8
        .value_kind:     hidden_global_offset_x
      - .offset:         192
        .size:           8
        .value_kind:     hidden_global_offset_y
      - .offset:         200
        .size:           8
        .value_kind:     hidden_global_offset_z
      - .offset:         208
        .size:           2
        .value_kind:     hidden_grid_dims
    .group_segment_fixed_size: 16
    .kernarg_segment_align: 8
    .kernarg_segment_size: 400
    .language:       OpenCL C
    .language_version:
      - 2
      - 0
    .max_flat_workgroup_size: 1024
    .name:           _ZN5aiter35fused_qk_rmsnorm_group_quant_kernelIDF16_N4opus5fp4_tELi128ELi16ELi8ELb1ELb1ELb1ELb0ELb0ELb0EEEvPT0_PvPT_S7_S7_PKS6_S9_S9_S9_S9_ffiiiiiiiiiiiii
    .private_segment_fixed_size: 0
    .sgpr_count:     48
    .sgpr_spill_count: 0
    .symbol:         _ZN5aiter35fused_qk_rmsnorm_group_quant_kernelIDF16_N4opus5fp4_tELi128ELi16ELi8ELb1ELb1ELb1ELb0ELb0ELb0EEEvPT0_PvPT_S7_S7_PKS6_S9_S9_S9_S9_ffiiiiiiiiiiiii.kd
    .uniform_work_group_size: 1
    .uses_dynamic_stack: false
    .vgpr_count:     49
    .vgpr_spill_count: 0
    .wavefront_size: 64
  - .agpr_count:     0
    .args:
      - .actual_access:  write_only
        .address_space:  global
        .offset:         0
        .size:           8
        .value_kind:     global_buffer
      - .actual_access:  write_only
        .address_space:  global
        .offset:         8
        .size:           8
        .value_kind:     global_buffer
      - .actual_access:  write_only
        .address_space:  global
        .offset:         16
        .size:           8
        .value_kind:     global_buffer
      - .actual_access:  write_only
        .address_space:  global
        .offset:         24
        .size:           8
        .value_kind:     global_buffer
      - .actual_access:  write_only
        .address_space:  global
        .offset:         32
        .size:           8
        .value_kind:     global_buffer
      - .actual_access:  read_only
        .address_space:  global
        .offset:         40
        .size:           8
        .value_kind:     global_buffer
      - .actual_access:  read_only
        .address_space:  global
        .offset:         48
        .size:           8
        .value_kind:     global_buffer
      - .actual_access:  read_only
        .address_space:  global
        .offset:         56
        .size:           8
        .value_kind:     global_buffer
      - .actual_access:  read_only
        .address_space:  global
        .offset:         64
        .size:           8
        .value_kind:     global_buffer
      - .actual_access:  read_only
        .address_space:  global
        .offset:         72
        .size:           8
        .value_kind:     global_buffer
      - .offset:         80
        .size:           4
        .value_kind:     by_value
      - .offset:         84
        .size:           4
        .value_kind:     by_value
      - .offset:         88
        .size:           4
        .value_kind:     by_value
      - .offset:         92
        .size:           4
        .value_kind:     by_value
      - .offset:         96
        .size:           4
        .value_kind:     by_value
      - .offset:         100
        .size:           4
        .value_kind:     by_value
      - .offset:         104
        .size:           4
        .value_kind:     by_value
      - .offset:         108
        .size:           4
        .value_kind:     by_value
      - .offset:         112
        .size:           4
        .value_kind:     by_value
      - .offset:         116
        .size:           4
        .value_kind:     by_value
      - .offset:         120
        .size:           4
        .value_kind:     by_value
      - .offset:         124
        .size:           4
        .value_kind:     by_value
      - .offset:         128
        .size:           4
        .value_kind:     by_value
      - .offset:         132
        .size:           4
        .value_kind:     by_value
      - .offset:         136
        .size:           4
        .value_kind:     by_value
      - .offset:         144
        .size:           4
        .value_kind:     hidden_block_count_x
      - .offset:         148
        .size:           4
        .value_kind:     hidden_block_count_y
      - .offset:         152
        .size:           4
        .value_kind:     hidden_block_count_z
      - .offset:         156
        .size:           2
        .value_kind:     hidden_group_size_x
      - .offset:         158
        .size:           2
        .value_kind:     hidden_group_size_y
      - .offset:         160
        .size:           2
        .value_kind:     hidden_group_size_z
      - .offset:         162
        .size:           2
        .value_kind:     hidden_remainder_x
      - .offset:         164
        .size:           2
        .value_kind:     hidden_remainder_y
      - .offset:         166
        .size:           2
        .value_kind:     hidden_remainder_z
      - .offset:         184
        .size:           8
        .value_kind:     hidden_global_offset_x
      - .offset:         192
        .size:           8
        .value_kind:     hidden_global_offset_y
      - .offset:         200
        .size:           8
        .value_kind:     hidden_global_offset_z
      - .offset:         208
        .size:           2
        .value_kind:     hidden_grid_dims
    .group_segment_fixed_size: 16
    .kernarg_segment_align: 8
    .kernarg_segment_size: 400
    .language:       OpenCL C
    .language_version:
      - 2
      - 0
    .max_flat_workgroup_size: 1024
    .name:           _ZN5aiter35fused_qk_rmsnorm_group_quant_kernelItN4opus5fp4_tELi128ELi16ELi8ELb1ELb1ELb1ELb0ELb0ELb0EEEvPT0_PvPT_S7_S7_PKS6_S9_S9_S9_S9_ffiiiiiiiiiiiii
    .private_segment_fixed_size: 0
    .sgpr_count:     48
    .sgpr_spill_count: 0
    .symbol:         _ZN5aiter35fused_qk_rmsnorm_group_quant_kernelItN4opus5fp4_tELi128ELi16ELi8ELb1ELb1ELb1ELb0ELb0ELb0EEEvPT0_PvPT_S7_S7_PKS6_S9_S9_S9_S9_ffiiiiiiiiiiiii.kd
    .uniform_work_group_size: 1
    .uses_dynamic_stack: false
    .vgpr_count:     76
    .vgpr_spill_count: 0
    .wavefront_size: 64
  - .agpr_count:     0
    .args:
      - .actual_access:  write_only
        .address_space:  global
        .offset:         0
        .size:           8
        .value_kind:     global_buffer
      - .actual_access:  write_only
        .address_space:  global
        .offset:         8
        .size:           8
        .value_kind:     global_buffer
      - .actual_access:  write_only
        .address_space:  global
        .offset:         16
        .size:           8
        .value_kind:     global_buffer
      - .actual_access:  write_only
        .address_space:  global
        .offset:         24
        .size:           8
        .value_kind:     global_buffer
      - .actual_access:  write_only
        .address_space:  global
        .offset:         32
        .size:           8
        .value_kind:     global_buffer
      - .actual_access:  read_only
        .address_space:  global
        .offset:         40
        .size:           8
        .value_kind:     global_buffer
      - .actual_access:  read_only
        .address_space:  global
        .offset:         48
        .size:           8
        .value_kind:     global_buffer
      - .actual_access:  read_only
        .address_space:  global
        .offset:         56
        .size:           8
        .value_kind:     global_buffer
      - .actual_access:  read_only
        .address_space:  global
        .offset:         64
        .size:           8
        .value_kind:     global_buffer
      - .actual_access:  read_only
        .address_space:  global
        .offset:         72
        .size:           8
        .value_kind:     global_buffer
      - .offset:         80
        .size:           4
        .value_kind:     by_value
      - .offset:         84
        .size:           4
        .value_kind:     by_value
      - .offset:         88
        .size:           4
        .value_kind:     by_value
      - .offset:         92
        .size:           4
        .value_kind:     by_value
      - .offset:         96
        .size:           4
        .value_kind:     by_value
      - .offset:         100
        .size:           4
        .value_kind:     by_value
      - .offset:         104
        .size:           4
        .value_kind:     by_value
      - .offset:         108
        .size:           4
        .value_kind:     by_value
      - .offset:         112
        .size:           4
        .value_kind:     by_value
      - .offset:         116
        .size:           4
        .value_kind:     by_value
      - .offset:         120
        .size:           4
        .value_kind:     by_value
      - .offset:         124
        .size:           4
        .value_kind:     by_value
      - .offset:         128
        .size:           4
        .value_kind:     by_value
      - .offset:         132
        .size:           4
        .value_kind:     by_value
      - .offset:         136
        .size:           4
        .value_kind:     by_value
      - .offset:         144
        .size:           4
        .value_kind:     hidden_block_count_x
      - .offset:         148
        .size:           4
        .value_kind:     hidden_block_count_y
      - .offset:         152
        .size:           4
        .value_kind:     hidden_block_count_z
      - .offset:         156
        .size:           2
        .value_kind:     hidden_group_size_x
      - .offset:         158
        .size:           2
        .value_kind:     hidden_group_size_y
      - .offset:         160
        .size:           2
        .value_kind:     hidden_group_size_z
      - .offset:         162
        .size:           2
        .value_kind:     hidden_remainder_x
      - .offset:         164
        .size:           2
        .value_kind:     hidden_remainder_y
      - .offset:         166
        .size:           2
        .value_kind:     hidden_remainder_z
      - .offset:         184
        .size:           8
        .value_kind:     hidden_global_offset_x
      - .offset:         192
        .size:           8
        .value_kind:     hidden_global_offset_y
      - .offset:         200
        .size:           8
        .value_kind:     hidden_global_offset_z
      - .offset:         208
        .size:           2
        .value_kind:     hidden_grid_dims
    .group_segment_fixed_size: 16
    .kernarg_segment_align: 8
    .kernarg_segment_size: 400
    .language:       OpenCL C
    .language_version:
      - 2
      - 0
    .max_flat_workgroup_size: 1024
    .name:           _ZN5aiter35fused_qk_rmsnorm_group_quant_kernelIDF16_DB8_Li128ELi16ELi8ELb1ELb1ELb0ELb0ELb0ELb0EEEvPT0_PvPT_S6_S6_PKS5_S8_S8_S8_S8_ffiiiiiiiiiiiii
    .private_segment_fixed_size: 0
    .sgpr_count:     48
    .sgpr_spill_count: 0
    .symbol:         _ZN5aiter35fused_qk_rmsnorm_group_quant_kernelIDF16_DB8_Li128ELi16ELi8ELb1ELb1ELb0ELb0ELb0ELb0EEEvPT0_PvPT_S6_S6_PKS5_S8_S8_S8_S8_ffiiiiiiiiiiiii.kd
    .uniform_work_group_size: 1
    .uses_dynamic_stack: false
    .vgpr_count:     94
    .vgpr_spill_count: 0
    .wavefront_size: 64
  - .agpr_count:     0
    .args:
      - .actual_access:  write_only
        .address_space:  global
        .offset:         0
        .size:           8
        .value_kind:     global_buffer
      - .actual_access:  write_only
        .address_space:  global
        .offset:         8
        .size:           8
        .value_kind:     global_buffer
      - .actual_access:  write_only
        .address_space:  global
        .offset:         16
        .size:           8
        .value_kind:     global_buffer
      - .actual_access:  write_only
        .address_space:  global
        .offset:         24
        .size:           8
        .value_kind:     global_buffer
      - .actual_access:  write_only
        .address_space:  global
        .offset:         32
        .size:           8
        .value_kind:     global_buffer
      - .actual_access:  read_only
        .address_space:  global
        .offset:         40
        .size:           8
        .value_kind:     global_buffer
      - .actual_access:  read_only
        .address_space:  global
        .offset:         48
        .size:           8
        .value_kind:     global_buffer
      - .actual_access:  read_only
        .address_space:  global
        .offset:         56
        .size:           8
        .value_kind:     global_buffer
      - .actual_access:  read_only
        .address_space:  global
        .offset:         64
        .size:           8
        .value_kind:     global_buffer
      - .actual_access:  read_only
        .address_space:  global
        .offset:         72
        .size:           8
        .value_kind:     global_buffer
      - .offset:         80
        .size:           4
        .value_kind:     by_value
      - .offset:         84
        .size:           4
        .value_kind:     by_value
      - .offset:         88
        .size:           4
        .value_kind:     by_value
      - .offset:         92
        .size:           4
        .value_kind:     by_value
      - .offset:         96
        .size:           4
        .value_kind:     by_value
      - .offset:         100
        .size:           4
        .value_kind:     by_value
      - .offset:         104
        .size:           4
        .value_kind:     by_value
      - .offset:         108
        .size:           4
        .value_kind:     by_value
      - .offset:         112
        .size:           4
        .value_kind:     by_value
      - .offset:         116
        .size:           4
        .value_kind:     by_value
      - .offset:         120
        .size:           4
        .value_kind:     by_value
      - .offset:         124
        .size:           4
        .value_kind:     by_value
      - .offset:         128
        .size:           4
        .value_kind:     by_value
      - .offset:         132
        .size:           4
        .value_kind:     by_value
      - .offset:         136
        .size:           4
        .value_kind:     by_value
      - .offset:         144
        .size:           4
        .value_kind:     hidden_block_count_x
      - .offset:         148
        .size:           4
        .value_kind:     hidden_block_count_y
      - .offset:         152
        .size:           4
        .value_kind:     hidden_block_count_z
      - .offset:         156
        .size:           2
        .value_kind:     hidden_group_size_x
      - .offset:         158
        .size:           2
        .value_kind:     hidden_group_size_y
      - .offset:         160
        .size:           2
        .value_kind:     hidden_group_size_z
      - .offset:         162
        .size:           2
        .value_kind:     hidden_remainder_x
      - .offset:         164
        .size:           2
        .value_kind:     hidden_remainder_y
      - .offset:         166
        .size:           2
        .value_kind:     hidden_remainder_z
      - .offset:         184
        .size:           8
        .value_kind:     hidden_global_offset_x
      - .offset:         192
        .size:           8
        .value_kind:     hidden_global_offset_y
      - .offset:         200
        .size:           8
        .value_kind:     hidden_global_offset_z
      - .offset:         208
        .size:           2
        .value_kind:     hidden_grid_dims
    .group_segment_fixed_size: 16
    .kernarg_segment_align: 8
    .kernarg_segment_size: 400
    .language:       OpenCL C
    .language_version:
      - 2
      - 0
    .max_flat_workgroup_size: 1024
    .name:           _ZN5aiter35fused_qk_rmsnorm_group_quant_kernelItDB8_Li128ELi16ELi8ELb1ELb1ELb0ELb0ELb0ELb0EEEvPT0_PvPT_S6_S6_PKS5_S8_S8_S8_S8_ffiiiiiiiiiiiii
    .private_segment_fixed_size: 0
    .sgpr_count:     48
    .sgpr_spill_count: 0
    .symbol:         _ZN5aiter35fused_qk_rmsnorm_group_quant_kernelItDB8_Li128ELi16ELi8ELb1ELb1ELb0ELb0ELb0ELb0EEEvPT0_PvPT_S6_S6_PKS5_S8_S8_S8_S8_ffiiiiiiiiiiiii.kd
    .uniform_work_group_size: 1
    .uses_dynamic_stack: false
    .vgpr_count:     96
    .vgpr_spill_count: 0
    .wavefront_size: 64
  - .agpr_count:     0
    .args:
      - .actual_access:  write_only
        .address_space:  global
        .offset:         0
        .size:           8
        .value_kind:     global_buffer
      - .actual_access:  write_only
        .address_space:  global
        .offset:         8
        .size:           8
        .value_kind:     global_buffer
      - .actual_access:  write_only
        .address_space:  global
        .offset:         16
        .size:           8
        .value_kind:     global_buffer
      - .actual_access:  write_only
        .address_space:  global
        .offset:         24
        .size:           8
        .value_kind:     global_buffer
      - .actual_access:  write_only
        .address_space:  global
        .offset:         32
        .size:           8
        .value_kind:     global_buffer
      - .actual_access:  read_only
        .address_space:  global
        .offset:         40
        .size:           8
        .value_kind:     global_buffer
      - .actual_access:  read_only
        .address_space:  global
        .offset:         48
        .size:           8
        .value_kind:     global_buffer
      - .actual_access:  read_only
        .address_space:  global
        .offset:         56
        .size:           8
        .value_kind:     global_buffer
      - .actual_access:  read_only
        .address_space:  global
        .offset:         64
        .size:           8
        .value_kind:     global_buffer
      - .actual_access:  read_only
        .address_space:  global
        .offset:         72
        .size:           8
        .value_kind:     global_buffer
      - .offset:         80
        .size:           4
        .value_kind:     by_value
      - .offset:         84
        .size:           4
        .value_kind:     by_value
      - .offset:         88
        .size:           4
        .value_kind:     by_value
      - .offset:         92
        .size:           4
        .value_kind:     by_value
      - .offset:         96
        .size:           4
        .value_kind:     by_value
      - .offset:         100
        .size:           4
        .value_kind:     by_value
      - .offset:         104
        .size:           4
        .value_kind:     by_value
      - .offset:         108
        .size:           4
        .value_kind:     by_value
      - .offset:         112
        .size:           4
        .value_kind:     by_value
      - .offset:         116
        .size:           4
        .value_kind:     by_value
      - .offset:         120
        .size:           4
        .value_kind:     by_value
      - .offset:         124
        .size:           4
        .value_kind:     by_value
      - .offset:         128
        .size:           4
        .value_kind:     by_value
      - .offset:         132
        .size:           4
        .value_kind:     by_value
      - .offset:         136
        .size:           4
        .value_kind:     by_value
      - .offset:         144
        .size:           4
        .value_kind:     hidden_block_count_x
      - .offset:         148
        .size:           4
        .value_kind:     hidden_block_count_y
      - .offset:         152
        .size:           4
        .value_kind:     hidden_block_count_z
      - .offset:         156
        .size:           2
        .value_kind:     hidden_group_size_x
      - .offset:         158
        .size:           2
        .value_kind:     hidden_group_size_y
      - .offset:         160
        .size:           2
        .value_kind:     hidden_group_size_z
      - .offset:         162
        .size:           2
        .value_kind:     hidden_remainder_x
      - .offset:         164
        .size:           2
        .value_kind:     hidden_remainder_y
      - .offset:         166
        .size:           2
        .value_kind:     hidden_remainder_z
      - .offset:         184
        .size:           8
        .value_kind:     hidden_global_offset_x
      - .offset:         192
        .size:           8
        .value_kind:     hidden_global_offset_y
      - .offset:         200
        .size:           8
        .value_kind:     hidden_global_offset_z
      - .offset:         208
        .size:           2
        .value_kind:     hidden_grid_dims
    .group_segment_fixed_size: 16
    .kernarg_segment_align: 8
    .kernarg_segment_size: 400
    .language:       OpenCL C
    .language_version:
      - 2
      - 0
    .max_flat_workgroup_size: 1024
    .name:           _ZN5aiter35fused_qk_rmsnorm_group_quant_kernelIDF16_N4opus5fp4_tELi128ELi16ELi8ELb1ELb1ELb0ELb0ELb0ELb0EEEvPT0_PvPT_S7_S7_PKS6_S9_S9_S9_S9_ffiiiiiiiiiiiii
    .private_segment_fixed_size: 0
    .sgpr_count:     48
    .sgpr_spill_count: 0
    .symbol:         _ZN5aiter35fused_qk_rmsnorm_group_quant_kernelIDF16_N4opus5fp4_tELi128ELi16ELi8ELb1ELb1ELb0ELb0ELb0ELb0EEEvPT0_PvPT_S7_S7_PKS6_S9_S9_S9_S9_ffiiiiiiiiiiiii.kd
    .uniform_work_group_size: 1
    .uses_dynamic_stack: false
    .vgpr_count:     47
    .vgpr_spill_count: 0
    .wavefront_size: 64
  - .agpr_count:     0
    .args:
      - .actual_access:  write_only
        .address_space:  global
        .offset:         0
        .size:           8
        .value_kind:     global_buffer
      - .actual_access:  write_only
        .address_space:  global
        .offset:         8
        .size:           8
        .value_kind:     global_buffer
      - .actual_access:  write_only
        .address_space:  global
        .offset:         16
        .size:           8
        .value_kind:     global_buffer
      - .actual_access:  write_only
        .address_space:  global
        .offset:         24
        .size:           8
        .value_kind:     global_buffer
      - .actual_access:  write_only
        .address_space:  global
        .offset:         32
        .size:           8
        .value_kind:     global_buffer
      - .actual_access:  read_only
        .address_space:  global
        .offset:         40
        .size:           8
        .value_kind:     global_buffer
      - .actual_access:  read_only
        .address_space:  global
        .offset:         48
        .size:           8
        .value_kind:     global_buffer
      - .actual_access:  read_only
        .address_space:  global
        .offset:         56
        .size:           8
        .value_kind:     global_buffer
      - .actual_access:  read_only
        .address_space:  global
        .offset:         64
        .size:           8
        .value_kind:     global_buffer
      - .actual_access:  read_only
        .address_space:  global
        .offset:         72
        .size:           8
        .value_kind:     global_buffer
      - .offset:         80
        .size:           4
        .value_kind:     by_value
      - .offset:         84
        .size:           4
        .value_kind:     by_value
      - .offset:         88
        .size:           4
        .value_kind:     by_value
      - .offset:         92
        .size:           4
        .value_kind:     by_value
      - .offset:         96
        .size:           4
        .value_kind:     by_value
      - .offset:         100
        .size:           4
        .value_kind:     by_value
      - .offset:         104
        .size:           4
        .value_kind:     by_value
      - .offset:         108
        .size:           4
        .value_kind:     by_value
      - .offset:         112
        .size:           4
        .value_kind:     by_value
      - .offset:         116
        .size:           4
        .value_kind:     by_value
      - .offset:         120
        .size:           4
        .value_kind:     by_value
      - .offset:         124
        .size:           4
        .value_kind:     by_value
      - .offset:         128
        .size:           4
        .value_kind:     by_value
      - .offset:         132
        .size:           4
        .value_kind:     by_value
      - .offset:         136
        .size:           4
        .value_kind:     by_value
      - .offset:         144
        .size:           4
        .value_kind:     hidden_block_count_x
      - .offset:         148
        .size:           4
        .value_kind:     hidden_block_count_y
      - .offset:         152
        .size:           4
        .value_kind:     hidden_block_count_z
      - .offset:         156
        .size:           2
        .value_kind:     hidden_group_size_x
      - .offset:         158
        .size:           2
        .value_kind:     hidden_group_size_y
      - .offset:         160
        .size:           2
        .value_kind:     hidden_group_size_z
      - .offset:         162
        .size:           2
        .value_kind:     hidden_remainder_x
      - .offset:         164
        .size:           2
        .value_kind:     hidden_remainder_y
      - .offset:         166
        .size:           2
        .value_kind:     hidden_remainder_z
      - .offset:         184
        .size:           8
        .value_kind:     hidden_global_offset_x
      - .offset:         192
        .size:           8
        .value_kind:     hidden_global_offset_y
      - .offset:         200
        .size:           8
        .value_kind:     hidden_global_offset_z
      - .offset:         208
        .size:           2
        .value_kind:     hidden_grid_dims
    .group_segment_fixed_size: 16
    .kernarg_segment_align: 8
    .kernarg_segment_size: 400
    .language:       OpenCL C
    .language_version:
      - 2
      - 0
    .max_flat_workgroup_size: 1024
    .name:           _ZN5aiter35fused_qk_rmsnorm_group_quant_kernelItN4opus5fp4_tELi128ELi16ELi8ELb1ELb1ELb0ELb0ELb0ELb0EEEvPT0_PvPT_S7_S7_PKS6_S9_S9_S9_S9_ffiiiiiiiiiiiii
    .private_segment_fixed_size: 0
    .sgpr_count:     48
    .sgpr_spill_count: 0
    .symbol:         _ZN5aiter35fused_qk_rmsnorm_group_quant_kernelItN4opus5fp4_tELi128ELi16ELi8ELb1ELb1ELb0ELb0ELb0ELb0EEEvPT0_PvPT_S7_S7_PKS6_S9_S9_S9_S9_ffiiiiiiiiiiiii.kd
    .uniform_work_group_size: 1
    .uses_dynamic_stack: false
    .vgpr_count:     94
    .vgpr_spill_count: 0
    .wavefront_size: 64
  - .agpr_count:     0
    .args:
      - .actual_access:  write_only
        .address_space:  global
        .offset:         0
        .size:           8
        .value_kind:     global_buffer
      - .actual_access:  write_only
        .address_space:  global
        .offset:         8
        .size:           8
        .value_kind:     global_buffer
      - .actual_access:  read_only
        .address_space:  global
        .offset:         16
        .size:           8
        .value_kind:     global_buffer
      - .actual_access:  write_only
        .address_space:  global
        .offset:         24
        .size:           8
        .value_kind:     global_buffer
      - .actual_access:  write_only
        .address_space:  global
        .offset:         32
        .size:           8
        .value_kind:     global_buffer
      - .actual_access:  read_only
        .address_space:  global
        .offset:         40
        .size:           8
        .value_kind:     global_buffer
      - .actual_access:  read_only
        .address_space:  global
        .offset:         48
        .size:           8
        .value_kind:     global_buffer
      - .actual_access:  read_only
        .address_space:  global
        .offset:         56
        .size:           8
        .value_kind:     global_buffer
      - .actual_access:  read_only
        .address_space:  global
        .offset:         64
        .size:           8
        .value_kind:     global_buffer
      - .actual_access:  read_only
        .address_space:  global
        .offset:         72
        .size:           8
        .value_kind:     global_buffer
      - .offset:         80
        .size:           4
        .value_kind:     by_value
      - .offset:         84
        .size:           4
        .value_kind:     by_value
      - .offset:         88
        .size:           4
        .value_kind:     by_value
      - .offset:         92
        .size:           4
        .value_kind:     by_value
      - .offset:         96
        .size:           4
        .value_kind:     by_value
      - .offset:         100
        .size:           4
        .value_kind:     by_value
      - .offset:         104
        .size:           4
        .value_kind:     by_value
      - .offset:         108
        .size:           4
        .value_kind:     by_value
      - .offset:         112
        .size:           4
        .value_kind:     by_value
      - .offset:         116
        .size:           4
        .value_kind:     by_value
      - .offset:         120
        .size:           4
        .value_kind:     by_value
      - .offset:         124
        .size:           4
        .value_kind:     by_value
      - .offset:         128
        .size:           4
        .value_kind:     by_value
      - .offset:         132
        .size:           4
        .value_kind:     by_value
      - .offset:         136
        .size:           4
        .value_kind:     by_value
      - .offset:         144
        .size:           4
        .value_kind:     hidden_block_count_x
      - .offset:         148
        .size:           4
        .value_kind:     hidden_block_count_y
      - .offset:         152
        .size:           4
        .value_kind:     hidden_block_count_z
      - .offset:         156
        .size:           2
        .value_kind:     hidden_group_size_x
      - .offset:         158
        .size:           2
        .value_kind:     hidden_group_size_y
      - .offset:         160
        .size:           2
        .value_kind:     hidden_group_size_z
      - .offset:         162
        .size:           2
        .value_kind:     hidden_remainder_x
      - .offset:         164
        .size:           2
        .value_kind:     hidden_remainder_y
      - .offset:         166
        .size:           2
        .value_kind:     hidden_remainder_z
      - .offset:         184
        .size:           8
        .value_kind:     hidden_global_offset_x
      - .offset:         192
        .size:           8
        .value_kind:     hidden_global_offset_y
      - .offset:         200
        .size:           8
        .value_kind:     hidden_global_offset_z
      - .offset:         208
        .size:           2
        .value_kind:     hidden_grid_dims
    .group_segment_fixed_size: 16
    .kernarg_segment_align: 8
    .kernarg_segment_size: 400
    .language:       OpenCL C
    .language_version:
      - 2
      - 0
    .max_flat_workgroup_size: 1024
    .name:           _ZN5aiter35fused_qk_rmsnorm_group_quant_kernelIDF16_DB8_Li128ELi16ELi8ELb1ELb0ELb1ELb0ELb0ELb0EEEvPT0_PvPT_S6_S6_PKS5_S8_S8_S8_S8_ffiiiiiiiiiiiii
    .private_segment_fixed_size: 0
    .sgpr_count:     48
    .sgpr_spill_count: 0
    .symbol:         _ZN5aiter35fused_qk_rmsnorm_group_quant_kernelIDF16_DB8_Li128ELi16ELi8ELb1ELb0ELb1ELb0ELb0ELb0EEEvPT0_PvPT_S6_S6_PKS5_S8_S8_S8_S8_ffiiiiiiiiiiiii.kd
    .uniform_work_group_size: 1
    .uses_dynamic_stack: false
    .vgpr_count:     90
    .vgpr_spill_count: 0
    .wavefront_size: 64
  - .agpr_count:     0
    .args:
      - .actual_access:  write_only
        .address_space:  global
        .offset:         0
        .size:           8
        .value_kind:     global_buffer
      - .actual_access:  write_only
        .address_space:  global
        .offset:         8
        .size:           8
        .value_kind:     global_buffer
      - .actual_access:  read_only
        .address_space:  global
        .offset:         16
        .size:           8
        .value_kind:     global_buffer
      - .actual_access:  write_only
        .address_space:  global
        .offset:         24
        .size:           8
        .value_kind:     global_buffer
      - .actual_access:  write_only
        .address_space:  global
        .offset:         32
        .size:           8
        .value_kind:     global_buffer
      - .actual_access:  read_only
        .address_space:  global
        .offset:         40
        .size:           8
        .value_kind:     global_buffer
      - .actual_access:  read_only
        .address_space:  global
        .offset:         48
        .size:           8
        .value_kind:     global_buffer
      - .actual_access:  read_only
        .address_space:  global
        .offset:         56
        .size:           8
        .value_kind:     global_buffer
      - .actual_access:  read_only
        .address_space:  global
        .offset:         64
        .size:           8
        .value_kind:     global_buffer
      - .actual_access:  read_only
        .address_space:  global
        .offset:         72
        .size:           8
        .value_kind:     global_buffer
      - .offset:         80
        .size:           4
        .value_kind:     by_value
      - .offset:         84
        .size:           4
        .value_kind:     by_value
      - .offset:         88
        .size:           4
        .value_kind:     by_value
      - .offset:         92
        .size:           4
        .value_kind:     by_value
      - .offset:         96
        .size:           4
        .value_kind:     by_value
      - .offset:         100
        .size:           4
        .value_kind:     by_value
      - .offset:         104
        .size:           4
        .value_kind:     by_value
      - .offset:         108
        .size:           4
        .value_kind:     by_value
      - .offset:         112
        .size:           4
        .value_kind:     by_value
      - .offset:         116
        .size:           4
        .value_kind:     by_value
      - .offset:         120
        .size:           4
        .value_kind:     by_value
      - .offset:         124
        .size:           4
        .value_kind:     by_value
      - .offset:         128
        .size:           4
        .value_kind:     by_value
      - .offset:         132
        .size:           4
        .value_kind:     by_value
      - .offset:         136
        .size:           4
        .value_kind:     by_value
      - .offset:         144
        .size:           4
        .value_kind:     hidden_block_count_x
      - .offset:         148
        .size:           4
        .value_kind:     hidden_block_count_y
      - .offset:         152
        .size:           4
        .value_kind:     hidden_block_count_z
      - .offset:         156
        .size:           2
        .value_kind:     hidden_group_size_x
      - .offset:         158
        .size:           2
        .value_kind:     hidden_group_size_y
      - .offset:         160
        .size:           2
        .value_kind:     hidden_group_size_z
      - .offset:         162
        .size:           2
        .value_kind:     hidden_remainder_x
      - .offset:         164
        .size:           2
        .value_kind:     hidden_remainder_y
      - .offset:         166
        .size:           2
        .value_kind:     hidden_remainder_z
      - .offset:         184
        .size:           8
        .value_kind:     hidden_global_offset_x
      - .offset:         192
        .size:           8
        .value_kind:     hidden_global_offset_y
      - .offset:         200
        .size:           8
        .value_kind:     hidden_global_offset_z
      - .offset:         208
        .size:           2
        .value_kind:     hidden_grid_dims
    .group_segment_fixed_size: 16
    .kernarg_segment_align: 8
    .kernarg_segment_size: 400
    .language:       OpenCL C
    .language_version:
      - 2
      - 0
    .max_flat_workgroup_size: 1024
    .name:           _ZN5aiter35fused_qk_rmsnorm_group_quant_kernelItDB8_Li128ELi16ELi8ELb1ELb0ELb1ELb0ELb0ELb0EEEvPT0_PvPT_S6_S6_PKS5_S8_S8_S8_S8_ffiiiiiiiiiiiii
    .private_segment_fixed_size: 0
    .sgpr_count:     48
    .sgpr_spill_count: 0
    .symbol:         _ZN5aiter35fused_qk_rmsnorm_group_quant_kernelItDB8_Li128ELi16ELi8ELb1ELb0ELb1ELb0ELb0ELb0EEEvPT0_PvPT_S6_S6_PKS5_S8_S8_S8_S8_ffiiiiiiiiiiiii.kd
    .uniform_work_group_size: 1
    .uses_dynamic_stack: false
    .vgpr_count:     88
    .vgpr_spill_count: 0
    .wavefront_size: 64
  - .agpr_count:     0
    .args:
      - .actual_access:  write_only
        .address_space:  global
        .offset:         0
        .size:           8
        .value_kind:     global_buffer
      - .actual_access:  write_only
        .address_space:  global
        .offset:         8
        .size:           8
        .value_kind:     global_buffer
      - .actual_access:  read_only
        .address_space:  global
        .offset:         16
        .size:           8
        .value_kind:     global_buffer
      - .actual_access:  write_only
        .address_space:  global
        .offset:         24
        .size:           8
        .value_kind:     global_buffer
      - .actual_access:  write_only
        .address_space:  global
        .offset:         32
        .size:           8
        .value_kind:     global_buffer
      - .actual_access:  read_only
        .address_space:  global
        .offset:         40
        .size:           8
        .value_kind:     global_buffer
      - .actual_access:  read_only
        .address_space:  global
        .offset:         48
        .size:           8
        .value_kind:     global_buffer
      - .actual_access:  read_only
        .address_space:  global
        .offset:         56
        .size:           8
        .value_kind:     global_buffer
      - .actual_access:  read_only
        .address_space:  global
        .offset:         64
        .size:           8
        .value_kind:     global_buffer
      - .actual_access:  read_only
        .address_space:  global
        .offset:         72
        .size:           8
        .value_kind:     global_buffer
      - .offset:         80
        .size:           4
        .value_kind:     by_value
      - .offset:         84
        .size:           4
        .value_kind:     by_value
      - .offset:         88
        .size:           4
        .value_kind:     by_value
      - .offset:         92
        .size:           4
        .value_kind:     by_value
      - .offset:         96
        .size:           4
        .value_kind:     by_value
      - .offset:         100
        .size:           4
        .value_kind:     by_value
      - .offset:         104
        .size:           4
        .value_kind:     by_value
      - .offset:         108
        .size:           4
        .value_kind:     by_value
      - .offset:         112
        .size:           4
        .value_kind:     by_value
      - .offset:         116
        .size:           4
        .value_kind:     by_value
      - .offset:         120
        .size:           4
        .value_kind:     by_value
      - .offset:         124
        .size:           4
        .value_kind:     by_value
      - .offset:         128
        .size:           4
        .value_kind:     by_value
      - .offset:         132
        .size:           4
        .value_kind:     by_value
      - .offset:         136
        .size:           4
        .value_kind:     by_value
      - .offset:         144
        .size:           4
        .value_kind:     hidden_block_count_x
      - .offset:         148
        .size:           4
        .value_kind:     hidden_block_count_y
      - .offset:         152
        .size:           4
        .value_kind:     hidden_block_count_z
      - .offset:         156
        .size:           2
        .value_kind:     hidden_group_size_x
      - .offset:         158
        .size:           2
        .value_kind:     hidden_group_size_y
      - .offset:         160
        .size:           2
        .value_kind:     hidden_group_size_z
      - .offset:         162
        .size:           2
        .value_kind:     hidden_remainder_x
      - .offset:         164
        .size:           2
        .value_kind:     hidden_remainder_y
      - .offset:         166
        .size:           2
        .value_kind:     hidden_remainder_z
      - .offset:         184
        .size:           8
        .value_kind:     hidden_global_offset_x
      - .offset:         192
        .size:           8
        .value_kind:     hidden_global_offset_y
      - .offset:         200
        .size:           8
        .value_kind:     hidden_global_offset_z
      - .offset:         208
        .size:           2
        .value_kind:     hidden_grid_dims
    .group_segment_fixed_size: 16
    .kernarg_segment_align: 8
    .kernarg_segment_size: 400
    .language:       OpenCL C
    .language_version:
      - 2
      - 0
    .max_flat_workgroup_size: 1024
    .name:           _ZN5aiter35fused_qk_rmsnorm_group_quant_kernelIDF16_N4opus5fp4_tELi128ELi16ELi8ELb1ELb0ELb1ELb0ELb0ELb0EEEvPT0_PvPT_S7_S7_PKS6_S9_S9_S9_S9_ffiiiiiiiiiiiii
    .private_segment_fixed_size: 0
    .sgpr_count:     44
    .sgpr_spill_count: 0
    .symbol:         _ZN5aiter35fused_qk_rmsnorm_group_quant_kernelIDF16_N4opus5fp4_tELi128ELi16ELi8ELb1ELb0ELb1ELb0ELb0ELb0EEEvPT0_PvPT_S7_S7_PKS6_S9_S9_S9_S9_ffiiiiiiiiiiiii.kd
    .uniform_work_group_size: 1
    .uses_dynamic_stack: false
    .vgpr_count:     49
    .vgpr_spill_count: 0
    .wavefront_size: 64
  - .agpr_count:     0
    .args:
      - .actual_access:  write_only
        .address_space:  global
        .offset:         0
        .size:           8
        .value_kind:     global_buffer
      - .actual_access:  write_only
        .address_space:  global
        .offset:         8
        .size:           8
        .value_kind:     global_buffer
      - .actual_access:  read_only
        .address_space:  global
        .offset:         16
        .size:           8
        .value_kind:     global_buffer
      - .actual_access:  write_only
        .address_space:  global
        .offset:         24
        .size:           8
        .value_kind:     global_buffer
      - .actual_access:  write_only
        .address_space:  global
        .offset:         32
        .size:           8
        .value_kind:     global_buffer
      - .actual_access:  read_only
        .address_space:  global
        .offset:         40
        .size:           8
        .value_kind:     global_buffer
      - .actual_access:  read_only
        .address_space:  global
        .offset:         48
        .size:           8
        .value_kind:     global_buffer
      - .actual_access:  read_only
        .address_space:  global
        .offset:         56
        .size:           8
        .value_kind:     global_buffer
      - .actual_access:  read_only
        .address_space:  global
        .offset:         64
        .size:           8
        .value_kind:     global_buffer
      - .actual_access:  read_only
        .address_space:  global
        .offset:         72
        .size:           8
        .value_kind:     global_buffer
      - .offset:         80
        .size:           4
        .value_kind:     by_value
      - .offset:         84
        .size:           4
        .value_kind:     by_value
      - .offset:         88
        .size:           4
        .value_kind:     by_value
      - .offset:         92
        .size:           4
        .value_kind:     by_value
      - .offset:         96
        .size:           4
        .value_kind:     by_value
      - .offset:         100
        .size:           4
        .value_kind:     by_value
      - .offset:         104
        .size:           4
        .value_kind:     by_value
      - .offset:         108
        .size:           4
        .value_kind:     by_value
      - .offset:         112
        .size:           4
        .value_kind:     by_value
      - .offset:         116
        .size:           4
        .value_kind:     by_value
      - .offset:         120
        .size:           4
        .value_kind:     by_value
      - .offset:         124
        .size:           4
        .value_kind:     by_value
      - .offset:         128
        .size:           4
        .value_kind:     by_value
      - .offset:         132
        .size:           4
        .value_kind:     by_value
      - .offset:         136
        .size:           4
        .value_kind:     by_value
      - .offset:         144
        .size:           4
        .value_kind:     hidden_block_count_x
      - .offset:         148
        .size:           4
        .value_kind:     hidden_block_count_y
      - .offset:         152
        .size:           4
        .value_kind:     hidden_block_count_z
      - .offset:         156
        .size:           2
        .value_kind:     hidden_group_size_x
      - .offset:         158
        .size:           2
        .value_kind:     hidden_group_size_y
      - .offset:         160
        .size:           2
        .value_kind:     hidden_group_size_z
      - .offset:         162
        .size:           2
        .value_kind:     hidden_remainder_x
      - .offset:         164
        .size:           2
        .value_kind:     hidden_remainder_y
      - .offset:         166
        .size:           2
        .value_kind:     hidden_remainder_z
      - .offset:         184
        .size:           8
        .value_kind:     hidden_global_offset_x
      - .offset:         192
        .size:           8
        .value_kind:     hidden_global_offset_y
      - .offset:         200
        .size:           8
        .value_kind:     hidden_global_offset_z
      - .offset:         208
        .size:           2
        .value_kind:     hidden_grid_dims
    .group_segment_fixed_size: 16
    .kernarg_segment_align: 8
    .kernarg_segment_size: 400
    .language:       OpenCL C
    .language_version:
      - 2
      - 0
    .max_flat_workgroup_size: 1024
    .name:           _ZN5aiter35fused_qk_rmsnorm_group_quant_kernelItN4opus5fp4_tELi128ELi16ELi8ELb1ELb0ELb1ELb0ELb0ELb0EEEvPT0_PvPT_S7_S7_PKS6_S9_S9_S9_S9_ffiiiiiiiiiiiii
    .private_segment_fixed_size: 0
    .sgpr_count:     44
    .sgpr_spill_count: 0
    .symbol:         _ZN5aiter35fused_qk_rmsnorm_group_quant_kernelItN4opus5fp4_tELi128ELi16ELi8ELb1ELb0ELb1ELb0ELb0ELb0EEEvPT0_PvPT_S7_S7_PKS6_S9_S9_S9_S9_ffiiiiiiiiiiiii.kd
    .uniform_work_group_size: 1
    .uses_dynamic_stack: false
    .vgpr_count:     76
    .vgpr_spill_count: 0
    .wavefront_size: 64
  - .agpr_count:     0
    .args:
      - .actual_access:  write_only
        .address_space:  global
        .offset:         0
        .size:           8
        .value_kind:     global_buffer
      - .actual_access:  write_only
        .address_space:  global
        .offset:         8
        .size:           8
        .value_kind:     global_buffer
      - .actual_access:  read_only
        .address_space:  global
        .offset:         16
        .size:           8
        .value_kind:     global_buffer
      - .actual_access:  write_only
        .address_space:  global
        .offset:         24
        .size:           8
        .value_kind:     global_buffer
      - .actual_access:  write_only
        .address_space:  global
        .offset:         32
        .size:           8
        .value_kind:     global_buffer
      - .actual_access:  read_only
        .address_space:  global
        .offset:         40
        .size:           8
        .value_kind:     global_buffer
      - .actual_access:  read_only
        .address_space:  global
        .offset:         48
        .size:           8
        .value_kind:     global_buffer
      - .actual_access:  read_only
        .address_space:  global
        .offset:         56
        .size:           8
        .value_kind:     global_buffer
      - .actual_access:  read_only
        .address_space:  global
        .offset:         64
        .size:           8
        .value_kind:     global_buffer
      - .actual_access:  read_only
        .address_space:  global
        .offset:         72
        .size:           8
        .value_kind:     global_buffer
      - .offset:         80
        .size:           4
        .value_kind:     by_value
      - .offset:         84
        .size:           4
        .value_kind:     by_value
      - .offset:         88
        .size:           4
        .value_kind:     by_value
      - .offset:         92
        .size:           4
        .value_kind:     by_value
      - .offset:         96
        .size:           4
        .value_kind:     by_value
      - .offset:         100
        .size:           4
        .value_kind:     by_value
      - .offset:         104
        .size:           4
        .value_kind:     by_value
      - .offset:         108
        .size:           4
        .value_kind:     by_value
      - .offset:         112
        .size:           4
        .value_kind:     by_value
      - .offset:         116
        .size:           4
        .value_kind:     by_value
      - .offset:         120
        .size:           4
        .value_kind:     by_value
      - .offset:         124
        .size:           4
        .value_kind:     by_value
      - .offset:         128
        .size:           4
        .value_kind:     by_value
      - .offset:         132
        .size:           4
        .value_kind:     by_value
      - .offset:         136
        .size:           4
        .value_kind:     by_value
      - .offset:         144
        .size:           4
        .value_kind:     hidden_block_count_x
      - .offset:         148
        .size:           4
        .value_kind:     hidden_block_count_y
      - .offset:         152
        .size:           4
        .value_kind:     hidden_block_count_z
      - .offset:         156
        .size:           2
        .value_kind:     hidden_group_size_x
      - .offset:         158
        .size:           2
        .value_kind:     hidden_group_size_y
      - .offset:         160
        .size:           2
        .value_kind:     hidden_group_size_z
      - .offset:         162
        .size:           2
        .value_kind:     hidden_remainder_x
      - .offset:         164
        .size:           2
        .value_kind:     hidden_remainder_y
      - .offset:         166
        .size:           2
        .value_kind:     hidden_remainder_z
      - .offset:         184
        .size:           8
        .value_kind:     hidden_global_offset_x
      - .offset:         192
        .size:           8
        .value_kind:     hidden_global_offset_y
      - .offset:         200
        .size:           8
        .value_kind:     hidden_global_offset_z
      - .offset:         208
        .size:           2
        .value_kind:     hidden_grid_dims
    .group_segment_fixed_size: 16
    .kernarg_segment_align: 8
    .kernarg_segment_size: 400
    .language:       OpenCL C
    .language_version:
      - 2
      - 0
    .max_flat_workgroup_size: 1024
    .name:           _ZN5aiter35fused_qk_rmsnorm_group_quant_kernelIDF16_DB8_Li128ELi16ELi8ELb1ELb0ELb0ELb0ELb0ELb0EEEvPT0_PvPT_S6_S6_PKS5_S8_S8_S8_S8_ffiiiiiiiiiiiii
    .private_segment_fixed_size: 0
    .sgpr_count:     48
    .sgpr_spill_count: 0
    .symbol:         _ZN5aiter35fused_qk_rmsnorm_group_quant_kernelIDF16_DB8_Li128ELi16ELi8ELb1ELb0ELb0ELb0ELb0ELb0EEEvPT0_PvPT_S6_S6_PKS5_S8_S8_S8_S8_ffiiiiiiiiiiiii.kd
    .uniform_work_group_size: 1
    .uses_dynamic_stack: false
    .vgpr_count:     94
    .vgpr_spill_count: 0
    .wavefront_size: 64
  - .agpr_count:     0
    .args:
      - .actual_access:  write_only
        .address_space:  global
        .offset:         0
        .size:           8
        .value_kind:     global_buffer
      - .actual_access:  write_only
        .address_space:  global
        .offset:         8
        .size:           8
        .value_kind:     global_buffer
      - .actual_access:  read_only
        .address_space:  global
        .offset:         16
        .size:           8
        .value_kind:     global_buffer
      - .actual_access:  write_only
        .address_space:  global
        .offset:         24
        .size:           8
        .value_kind:     global_buffer
      - .actual_access:  write_only
        .address_space:  global
        .offset:         32
        .size:           8
        .value_kind:     global_buffer
      - .actual_access:  read_only
        .address_space:  global
        .offset:         40
        .size:           8
        .value_kind:     global_buffer
      - .actual_access:  read_only
        .address_space:  global
        .offset:         48
        .size:           8
        .value_kind:     global_buffer
      - .actual_access:  read_only
        .address_space:  global
        .offset:         56
        .size:           8
        .value_kind:     global_buffer
      - .actual_access:  read_only
        .address_space:  global
        .offset:         64
        .size:           8
        .value_kind:     global_buffer
      - .actual_access:  read_only
        .address_space:  global
        .offset:         72
        .size:           8
        .value_kind:     global_buffer
      - .offset:         80
        .size:           4
        .value_kind:     by_value
      - .offset:         84
        .size:           4
        .value_kind:     by_value
      - .offset:         88
        .size:           4
        .value_kind:     by_value
      - .offset:         92
        .size:           4
        .value_kind:     by_value
      - .offset:         96
        .size:           4
        .value_kind:     by_value
      - .offset:         100
        .size:           4
        .value_kind:     by_value
      - .offset:         104
        .size:           4
        .value_kind:     by_value
      - .offset:         108
        .size:           4
        .value_kind:     by_value
      - .offset:         112
        .size:           4
        .value_kind:     by_value
      - .offset:         116
        .size:           4
        .value_kind:     by_value
      - .offset:         120
        .size:           4
        .value_kind:     by_value
      - .offset:         124
        .size:           4
        .value_kind:     by_value
      - .offset:         128
        .size:           4
        .value_kind:     by_value
      - .offset:         132
        .size:           4
        .value_kind:     by_value
      - .offset:         136
        .size:           4
        .value_kind:     by_value
      - .offset:         144
        .size:           4
        .value_kind:     hidden_block_count_x
      - .offset:         148
        .size:           4
        .value_kind:     hidden_block_count_y
      - .offset:         152
        .size:           4
        .value_kind:     hidden_block_count_z
      - .offset:         156
        .size:           2
        .value_kind:     hidden_group_size_x
      - .offset:         158
        .size:           2
        .value_kind:     hidden_group_size_y
      - .offset:         160
        .size:           2
        .value_kind:     hidden_group_size_z
      - .offset:         162
        .size:           2
        .value_kind:     hidden_remainder_x
      - .offset:         164
        .size:           2
        .value_kind:     hidden_remainder_y
      - .offset:         166
        .size:           2
        .value_kind:     hidden_remainder_z
      - .offset:         184
        .size:           8
        .value_kind:     hidden_global_offset_x
      - .offset:         192
        .size:           8
        .value_kind:     hidden_global_offset_y
      - .offset:         200
        .size:           8
        .value_kind:     hidden_global_offset_z
      - .offset:         208
        .size:           2
        .value_kind:     hidden_grid_dims
    .group_segment_fixed_size: 16
    .kernarg_segment_align: 8
    .kernarg_segment_size: 400
    .language:       OpenCL C
    .language_version:
      - 2
      - 0
    .max_flat_workgroup_size: 1024
    .name:           _ZN5aiter35fused_qk_rmsnorm_group_quant_kernelItDB8_Li128ELi16ELi8ELb1ELb0ELb0ELb0ELb0ELb0EEEvPT0_PvPT_S6_S6_PKS5_S8_S8_S8_S8_ffiiiiiiiiiiiii
    .private_segment_fixed_size: 0
    .sgpr_count:     48
    .sgpr_spill_count: 0
    .symbol:         _ZN5aiter35fused_qk_rmsnorm_group_quant_kernelItDB8_Li128ELi16ELi8ELb1ELb0ELb0ELb0ELb0ELb0EEEvPT0_PvPT_S6_S6_PKS5_S8_S8_S8_S8_ffiiiiiiiiiiiii.kd
    .uniform_work_group_size: 1
    .uses_dynamic_stack: false
    .vgpr_count:     96
    .vgpr_spill_count: 0
    .wavefront_size: 64
  - .agpr_count:     0
    .args:
      - .actual_access:  write_only
        .address_space:  global
        .offset:         0
        .size:           8
        .value_kind:     global_buffer
      - .actual_access:  write_only
        .address_space:  global
        .offset:         8
        .size:           8
        .value_kind:     global_buffer
      - .actual_access:  read_only
        .address_space:  global
        .offset:         16
        .size:           8
        .value_kind:     global_buffer
      - .actual_access:  write_only
        .address_space:  global
        .offset:         24
        .size:           8
        .value_kind:     global_buffer
      - .actual_access:  write_only
        .address_space:  global
        .offset:         32
        .size:           8
        .value_kind:     global_buffer
      - .actual_access:  read_only
        .address_space:  global
        .offset:         40
        .size:           8
        .value_kind:     global_buffer
      - .actual_access:  read_only
        .address_space:  global
        .offset:         48
        .size:           8
        .value_kind:     global_buffer
      - .actual_access:  read_only
        .address_space:  global
        .offset:         56
        .size:           8
        .value_kind:     global_buffer
      - .actual_access:  read_only
        .address_space:  global
        .offset:         64
        .size:           8
        .value_kind:     global_buffer
      - .actual_access:  read_only
        .address_space:  global
        .offset:         72
        .size:           8
        .value_kind:     global_buffer
      - .offset:         80
        .size:           4
        .value_kind:     by_value
      - .offset:         84
        .size:           4
        .value_kind:     by_value
      - .offset:         88
        .size:           4
        .value_kind:     by_value
      - .offset:         92
        .size:           4
        .value_kind:     by_value
      - .offset:         96
        .size:           4
        .value_kind:     by_value
      - .offset:         100
        .size:           4
        .value_kind:     by_value
      - .offset:         104
        .size:           4
        .value_kind:     by_value
      - .offset:         108
        .size:           4
        .value_kind:     by_value
      - .offset:         112
        .size:           4
        .value_kind:     by_value
      - .offset:         116
        .size:           4
        .value_kind:     by_value
      - .offset:         120
        .size:           4
        .value_kind:     by_value
      - .offset:         124
        .size:           4
        .value_kind:     by_value
      - .offset:         128
        .size:           4
        .value_kind:     by_value
      - .offset:         132
        .size:           4
        .value_kind:     by_value
      - .offset:         136
        .size:           4
        .value_kind:     by_value
      - .offset:         144
        .size:           4
        .value_kind:     hidden_block_count_x
      - .offset:         148
        .size:           4
        .value_kind:     hidden_block_count_y
      - .offset:         152
        .size:           4
        .value_kind:     hidden_block_count_z
      - .offset:         156
        .size:           2
        .value_kind:     hidden_group_size_x
      - .offset:         158
        .size:           2
        .value_kind:     hidden_group_size_y
      - .offset:         160
        .size:           2
        .value_kind:     hidden_group_size_z
      - .offset:         162
        .size:           2
        .value_kind:     hidden_remainder_x
      - .offset:         164
        .size:           2
        .value_kind:     hidden_remainder_y
      - .offset:         166
        .size:           2
        .value_kind:     hidden_remainder_z
      - .offset:         184
        .size:           8
        .value_kind:     hidden_global_offset_x
      - .offset:         192
        .size:           8
        .value_kind:     hidden_global_offset_y
      - .offset:         200
        .size:           8
        .value_kind:     hidden_global_offset_z
      - .offset:         208
        .size:           2
        .value_kind:     hidden_grid_dims
    .group_segment_fixed_size: 16
    .kernarg_segment_align: 8
    .kernarg_segment_size: 400
    .language:       OpenCL C
    .language_version:
      - 2
      - 0
    .max_flat_workgroup_size: 1024
    .name:           _ZN5aiter35fused_qk_rmsnorm_group_quant_kernelIDF16_N4opus5fp4_tELi128ELi16ELi8ELb1ELb0ELb0ELb0ELb0ELb0EEEvPT0_PvPT_S7_S7_PKS6_S9_S9_S9_S9_ffiiiiiiiiiiiii
    .private_segment_fixed_size: 0
    .sgpr_count:     44
    .sgpr_spill_count: 0
    .symbol:         _ZN5aiter35fused_qk_rmsnorm_group_quant_kernelIDF16_N4opus5fp4_tELi128ELi16ELi8ELb1ELb0ELb0ELb0ELb0ELb0EEEvPT0_PvPT_S7_S7_PKS6_S9_S9_S9_S9_ffiiiiiiiiiiiii.kd
    .uniform_work_group_size: 1
    .uses_dynamic_stack: false
    .vgpr_count:     47
    .vgpr_spill_count: 0
    .wavefront_size: 64
  - .agpr_count:     0
    .args:
      - .actual_access:  write_only
        .address_space:  global
        .offset:         0
        .size:           8
        .value_kind:     global_buffer
      - .actual_access:  write_only
        .address_space:  global
        .offset:         8
        .size:           8
        .value_kind:     global_buffer
      - .actual_access:  read_only
        .address_space:  global
        .offset:         16
        .size:           8
        .value_kind:     global_buffer
      - .actual_access:  write_only
        .address_space:  global
        .offset:         24
        .size:           8
        .value_kind:     global_buffer
      - .actual_access:  write_only
        .address_space:  global
        .offset:         32
        .size:           8
        .value_kind:     global_buffer
      - .actual_access:  read_only
        .address_space:  global
        .offset:         40
        .size:           8
        .value_kind:     global_buffer
      - .actual_access:  read_only
        .address_space:  global
        .offset:         48
        .size:           8
        .value_kind:     global_buffer
      - .actual_access:  read_only
        .address_space:  global
        .offset:         56
        .size:           8
        .value_kind:     global_buffer
      - .actual_access:  read_only
        .address_space:  global
        .offset:         64
        .size:           8
        .value_kind:     global_buffer
      - .actual_access:  read_only
        .address_space:  global
        .offset:         72
        .size:           8
        .value_kind:     global_buffer
      - .offset:         80
        .size:           4
        .value_kind:     by_value
      - .offset:         84
        .size:           4
        .value_kind:     by_value
      - .offset:         88
        .size:           4
        .value_kind:     by_value
      - .offset:         92
        .size:           4
        .value_kind:     by_value
      - .offset:         96
        .size:           4
        .value_kind:     by_value
      - .offset:         100
        .size:           4
        .value_kind:     by_value
      - .offset:         104
        .size:           4
        .value_kind:     by_value
      - .offset:         108
        .size:           4
        .value_kind:     by_value
      - .offset:         112
        .size:           4
        .value_kind:     by_value
      - .offset:         116
        .size:           4
        .value_kind:     by_value
      - .offset:         120
        .size:           4
        .value_kind:     by_value
      - .offset:         124
        .size:           4
        .value_kind:     by_value
      - .offset:         128
        .size:           4
        .value_kind:     by_value
      - .offset:         132
        .size:           4
        .value_kind:     by_value
      - .offset:         136
        .size:           4
        .value_kind:     by_value
      - .offset:         144
        .size:           4
        .value_kind:     hidden_block_count_x
      - .offset:         148
        .size:           4
        .value_kind:     hidden_block_count_y
      - .offset:         152
        .size:           4
        .value_kind:     hidden_block_count_z
      - .offset:         156
        .size:           2
        .value_kind:     hidden_group_size_x
      - .offset:         158
        .size:           2
        .value_kind:     hidden_group_size_y
      - .offset:         160
        .size:           2
        .value_kind:     hidden_group_size_z
      - .offset:         162
        .size:           2
        .value_kind:     hidden_remainder_x
      - .offset:         164
        .size:           2
        .value_kind:     hidden_remainder_y
      - .offset:         166
        .size:           2
        .value_kind:     hidden_remainder_z
      - .offset:         184
        .size:           8
        .value_kind:     hidden_global_offset_x
      - .offset:         192
        .size:           8
        .value_kind:     hidden_global_offset_y
      - .offset:         200
        .size:           8
        .value_kind:     hidden_global_offset_z
      - .offset:         208
        .size:           2
        .value_kind:     hidden_grid_dims
    .group_segment_fixed_size: 16
    .kernarg_segment_align: 8
    .kernarg_segment_size: 400
    .language:       OpenCL C
    .language_version:
      - 2
      - 0
    .max_flat_workgroup_size: 1024
    .name:           _ZN5aiter35fused_qk_rmsnorm_group_quant_kernelItN4opus5fp4_tELi128ELi16ELi8ELb1ELb0ELb0ELb0ELb0ELb0EEEvPT0_PvPT_S7_S7_PKS6_S9_S9_S9_S9_ffiiiiiiiiiiiii
    .private_segment_fixed_size: 0
    .sgpr_count:     44
    .sgpr_spill_count: 0
    .symbol:         _ZN5aiter35fused_qk_rmsnorm_group_quant_kernelItN4opus5fp4_tELi128ELi16ELi8ELb1ELb0ELb0ELb0ELb0ELb0EEEvPT0_PvPT_S7_S7_PKS6_S9_S9_S9_S9_ffiiiiiiiiiiiii.kd
    .uniform_work_group_size: 1
    .uses_dynamic_stack: false
    .vgpr_count:     94
    .vgpr_spill_count: 0
    .wavefront_size: 64
  - .agpr_count:     0
    .args:
      - .actual_access:  write_only
        .address_space:  global
        .offset:         0
        .size:           8
        .value_kind:     global_buffer
      - .actual_access:  write_only
        .address_space:  global
        .offset:         8
        .size:           8
        .value_kind:     global_buffer
      - .actual_access:  write_only
        .address_space:  global
        .offset:         16
        .size:           8
        .value_kind:     global_buffer
      - .actual_access:  write_only
        .address_space:  global
        .offset:         24
        .size:           8
        .value_kind:     global_buffer
      - .actual_access:  read_only
        .address_space:  global
        .offset:         32
        .size:           8
        .value_kind:     global_buffer
      - .actual_access:  read_only
        .address_space:  global
        .offset:         40
        .size:           8
        .value_kind:     global_buffer
      - .actual_access:  read_only
        .address_space:  global
        .offset:         48
        .size:           8
        .value_kind:     global_buffer
      - .actual_access:  read_only
        .address_space:  global
        .offset:         56
        .size:           8
        .value_kind:     global_buffer
      - .actual_access:  read_only
        .address_space:  global
        .offset:         64
        .size:           8
        .value_kind:     global_buffer
      - .actual_access:  read_only
        .address_space:  global
        .offset:         72
        .size:           8
        .value_kind:     global_buffer
      - .offset:         80
        .size:           4
        .value_kind:     by_value
      - .offset:         84
        .size:           4
        .value_kind:     by_value
      - .offset:         88
        .size:           4
        .value_kind:     by_value
      - .offset:         92
        .size:           4
        .value_kind:     by_value
      - .offset:         96
        .size:           4
        .value_kind:     by_value
      - .offset:         100
        .size:           4
        .value_kind:     by_value
      - .offset:         104
        .size:           4
        .value_kind:     by_value
      - .offset:         108
        .size:           4
        .value_kind:     by_value
      - .offset:         112
        .size:           4
        .value_kind:     by_value
      - .offset:         116
        .size:           4
        .value_kind:     by_value
      - .offset:         120
        .size:           4
        .value_kind:     by_value
      - .offset:         124
        .size:           4
        .value_kind:     by_value
      - .offset:         128
        .size:           4
        .value_kind:     by_value
      - .offset:         132
        .size:           4
        .value_kind:     by_value
      - .offset:         136
        .size:           4
        .value_kind:     by_value
      - .offset:         144
        .size:           4
        .value_kind:     hidden_block_count_x
      - .offset:         148
        .size:           4
        .value_kind:     hidden_block_count_y
      - .offset:         152
        .size:           4
        .value_kind:     hidden_block_count_z
      - .offset:         156
        .size:           2
        .value_kind:     hidden_group_size_x
      - .offset:         158
        .size:           2
        .value_kind:     hidden_group_size_y
      - .offset:         160
        .size:           2
        .value_kind:     hidden_group_size_z
      - .offset:         162
        .size:           2
        .value_kind:     hidden_remainder_x
      - .offset:         164
        .size:           2
        .value_kind:     hidden_remainder_y
      - .offset:         166
        .size:           2
        .value_kind:     hidden_remainder_z
      - .offset:         184
        .size:           8
        .value_kind:     hidden_global_offset_x
      - .offset:         192
        .size:           8
        .value_kind:     hidden_global_offset_y
      - .offset:         200
        .size:           8
        .value_kind:     hidden_global_offset_z
      - .offset:         208
        .size:           2
        .value_kind:     hidden_grid_dims
    .group_segment_fixed_size: 16
    .kernarg_segment_align: 8
    .kernarg_segment_size: 400
    .language:       OpenCL C
    .language_version:
      - 2
      - 0
    .max_flat_workgroup_size: 1024
    .name:           _ZN5aiter35fused_qk_rmsnorm_group_quant_kernelIDF16_DB8_Li128ELi16ELi8ELb0ELb1ELb1ELb0ELb0ELb0EEEvPT0_PvPT_S6_S6_PKS5_S8_S8_S8_S8_ffiiiiiiiiiiiii
    .private_segment_fixed_size: 0
    .sgpr_count:     40
    .sgpr_spill_count: 0
    .symbol:         _ZN5aiter35fused_qk_rmsnorm_group_quant_kernelIDF16_DB8_Li128ELi16ELi8ELb0ELb1ELb1ELb0ELb0ELb0EEEvPT0_PvPT_S6_S6_PKS5_S8_S8_S8_S8_ffiiiiiiiiiiiii.kd
    .uniform_work_group_size: 1
    .uses_dynamic_stack: false
    .vgpr_count:     35
    .vgpr_spill_count: 0
    .wavefront_size: 64
  - .agpr_count:     0
    .args:
      - .actual_access:  write_only
        .address_space:  global
        .offset:         0
        .size:           8
        .value_kind:     global_buffer
      - .actual_access:  write_only
        .address_space:  global
        .offset:         8
        .size:           8
        .value_kind:     global_buffer
      - .actual_access:  write_only
        .address_space:  global
        .offset:         16
        .size:           8
        .value_kind:     global_buffer
      - .actual_access:  write_only
        .address_space:  global
        .offset:         24
        .size:           8
        .value_kind:     global_buffer
      - .actual_access:  read_only
        .address_space:  global
        .offset:         32
        .size:           8
        .value_kind:     global_buffer
      - .actual_access:  read_only
        .address_space:  global
        .offset:         40
        .size:           8
        .value_kind:     global_buffer
      - .actual_access:  read_only
        .address_space:  global
        .offset:         48
        .size:           8
        .value_kind:     global_buffer
      - .actual_access:  read_only
        .address_space:  global
        .offset:         56
        .size:           8
        .value_kind:     global_buffer
      - .actual_access:  read_only
        .address_space:  global
        .offset:         64
        .size:           8
        .value_kind:     global_buffer
      - .actual_access:  read_only
        .address_space:  global
        .offset:         72
        .size:           8
        .value_kind:     global_buffer
      - .offset:         80
        .size:           4
        .value_kind:     by_value
      - .offset:         84
        .size:           4
        .value_kind:     by_value
      - .offset:         88
        .size:           4
        .value_kind:     by_value
      - .offset:         92
        .size:           4
        .value_kind:     by_value
      - .offset:         96
        .size:           4
        .value_kind:     by_value
      - .offset:         100
        .size:           4
        .value_kind:     by_value
      - .offset:         104
        .size:           4
        .value_kind:     by_value
      - .offset:         108
        .size:           4
        .value_kind:     by_value
      - .offset:         112
        .size:           4
        .value_kind:     by_value
      - .offset:         116
        .size:           4
        .value_kind:     by_value
      - .offset:         120
        .size:           4
        .value_kind:     by_value
      - .offset:         124
        .size:           4
        .value_kind:     by_value
      - .offset:         128
        .size:           4
        .value_kind:     by_value
      - .offset:         132
        .size:           4
        .value_kind:     by_value
      - .offset:         136
        .size:           4
        .value_kind:     by_value
      - .offset:         144
        .size:           4
        .value_kind:     hidden_block_count_x
      - .offset:         148
        .size:           4
        .value_kind:     hidden_block_count_y
      - .offset:         152
        .size:           4
        .value_kind:     hidden_block_count_z
      - .offset:         156
        .size:           2
        .value_kind:     hidden_group_size_x
      - .offset:         158
        .size:           2
        .value_kind:     hidden_group_size_y
      - .offset:         160
        .size:           2
        .value_kind:     hidden_group_size_z
      - .offset:         162
        .size:           2
        .value_kind:     hidden_remainder_x
      - .offset:         164
        .size:           2
        .value_kind:     hidden_remainder_y
      - .offset:         166
        .size:           2
        .value_kind:     hidden_remainder_z
      - .offset:         184
        .size:           8
        .value_kind:     hidden_global_offset_x
      - .offset:         192
        .size:           8
        .value_kind:     hidden_global_offset_y
      - .offset:         200
        .size:           8
        .value_kind:     hidden_global_offset_z
      - .offset:         208
        .size:           2
        .value_kind:     hidden_grid_dims
    .group_segment_fixed_size: 16
    .kernarg_segment_align: 8
    .kernarg_segment_size: 400
    .language:       OpenCL C
    .language_version:
      - 2
      - 0
    .max_flat_workgroup_size: 1024
    .name:           _ZN5aiter35fused_qk_rmsnorm_group_quant_kernelItDB8_Li128ELi16ELi8ELb0ELb1ELb1ELb0ELb0ELb0EEEvPT0_PvPT_S6_S6_PKS5_S8_S8_S8_S8_ffiiiiiiiiiiiii
    .private_segment_fixed_size: 0
    .sgpr_count:     40
    .sgpr_spill_count: 0
    .symbol:         _ZN5aiter35fused_qk_rmsnorm_group_quant_kernelItDB8_Li128ELi16ELi8ELb0ELb1ELb1ELb0ELb0ELb0EEEvPT0_PvPT_S6_S6_PKS5_S8_S8_S8_S8_ffiiiiiiiiiiiii.kd
    .uniform_work_group_size: 1
    .uses_dynamic_stack: false
    .vgpr_count:     35
    .vgpr_spill_count: 0
    .wavefront_size: 64
  - .agpr_count:     0
    .args:
      - .actual_access:  write_only
        .address_space:  global
        .offset:         0
        .size:           8
        .value_kind:     global_buffer
      - .actual_access:  write_only
        .address_space:  global
        .offset:         8
        .size:           8
        .value_kind:     global_buffer
      - .actual_access:  write_only
        .address_space:  global
        .offset:         16
        .size:           8
        .value_kind:     global_buffer
      - .actual_access:  write_only
        .address_space:  global
        .offset:         24
        .size:           8
        .value_kind:     global_buffer
      - .actual_access:  read_only
        .address_space:  global
        .offset:         32
        .size:           8
        .value_kind:     global_buffer
      - .actual_access:  read_only
        .address_space:  global
        .offset:         40
        .size:           8
        .value_kind:     global_buffer
      - .actual_access:  read_only
        .address_space:  global
        .offset:         48
        .size:           8
        .value_kind:     global_buffer
      - .actual_access:  read_only
        .address_space:  global
        .offset:         56
        .size:           8
        .value_kind:     global_buffer
      - .actual_access:  read_only
        .address_space:  global
        .offset:         64
        .size:           8
        .value_kind:     global_buffer
      - .actual_access:  read_only
        .address_space:  global
        .offset:         72
        .size:           8
        .value_kind:     global_buffer
      - .offset:         80
        .size:           4
        .value_kind:     by_value
      - .offset:         84
        .size:           4
        .value_kind:     by_value
      - .offset:         88
        .size:           4
        .value_kind:     by_value
      - .offset:         92
        .size:           4
        .value_kind:     by_value
      - .offset:         96
        .size:           4
        .value_kind:     by_value
      - .offset:         100
        .size:           4
        .value_kind:     by_value
      - .offset:         104
        .size:           4
        .value_kind:     by_value
      - .offset:         108
        .size:           4
        .value_kind:     by_value
      - .offset:         112
        .size:           4
        .value_kind:     by_value
      - .offset:         116
        .size:           4
        .value_kind:     by_value
      - .offset:         120
        .size:           4
        .value_kind:     by_value
      - .offset:         124
        .size:           4
        .value_kind:     by_value
      - .offset:         128
        .size:           4
        .value_kind:     by_value
      - .offset:         132
        .size:           4
        .value_kind:     by_value
      - .offset:         136
        .size:           4
        .value_kind:     by_value
      - .offset:         144
        .size:           4
        .value_kind:     hidden_block_count_x
      - .offset:         148
        .size:           4
        .value_kind:     hidden_block_count_y
      - .offset:         152
        .size:           4
        .value_kind:     hidden_block_count_z
      - .offset:         156
        .size:           2
        .value_kind:     hidden_group_size_x
      - .offset:         158
        .size:           2
        .value_kind:     hidden_group_size_y
      - .offset:         160
        .size:           2
        .value_kind:     hidden_group_size_z
      - .offset:         162
        .size:           2
        .value_kind:     hidden_remainder_x
      - .offset:         164
        .size:           2
        .value_kind:     hidden_remainder_y
      - .offset:         166
        .size:           2
        .value_kind:     hidden_remainder_z
      - .offset:         184
        .size:           8
        .value_kind:     hidden_global_offset_x
      - .offset:         192
        .size:           8
        .value_kind:     hidden_global_offset_y
      - .offset:         200
        .size:           8
        .value_kind:     hidden_global_offset_z
      - .offset:         208
        .size:           2
        .value_kind:     hidden_grid_dims
    .group_segment_fixed_size: 16
    .kernarg_segment_align: 8
    .kernarg_segment_size: 400
    .language:       OpenCL C
    .language_version:
      - 2
      - 0
    .max_flat_workgroup_size: 1024
    .name:           _ZN5aiter35fused_qk_rmsnorm_group_quant_kernelIDF16_N4opus5fp4_tELi128ELi16ELi8ELb0ELb1ELb1ELb0ELb0ELb0EEEvPT0_PvPT_S7_S7_PKS6_S9_S9_S9_S9_ffiiiiiiiiiiiii
    .private_segment_fixed_size: 0
    .sgpr_count:     40
    .sgpr_spill_count: 0
    .symbol:         _ZN5aiter35fused_qk_rmsnorm_group_quant_kernelIDF16_N4opus5fp4_tELi128ELi16ELi8ELb0ELb1ELb1ELb0ELb0ELb0EEEvPT0_PvPT_S7_S7_PKS6_S9_S9_S9_S9_ffiiiiiiiiiiiii.kd
    .uniform_work_group_size: 1
    .uses_dynamic_stack: false
    .vgpr_count:     35
    .vgpr_spill_count: 0
    .wavefront_size: 64
  - .agpr_count:     0
    .args:
      - .actual_access:  write_only
        .address_space:  global
        .offset:         0
        .size:           8
        .value_kind:     global_buffer
      - .actual_access:  write_only
        .address_space:  global
        .offset:         8
        .size:           8
        .value_kind:     global_buffer
      - .actual_access:  write_only
        .address_space:  global
        .offset:         16
        .size:           8
        .value_kind:     global_buffer
      - .actual_access:  write_only
        .address_space:  global
        .offset:         24
        .size:           8
        .value_kind:     global_buffer
      - .actual_access:  read_only
        .address_space:  global
        .offset:         32
        .size:           8
        .value_kind:     global_buffer
      - .actual_access:  read_only
        .address_space:  global
        .offset:         40
        .size:           8
        .value_kind:     global_buffer
      - .actual_access:  read_only
        .address_space:  global
        .offset:         48
        .size:           8
        .value_kind:     global_buffer
      - .actual_access:  read_only
        .address_space:  global
        .offset:         56
        .size:           8
        .value_kind:     global_buffer
      - .actual_access:  read_only
        .address_space:  global
        .offset:         64
        .size:           8
        .value_kind:     global_buffer
      - .actual_access:  read_only
        .address_space:  global
        .offset:         72
        .size:           8
        .value_kind:     global_buffer
      - .offset:         80
        .size:           4
        .value_kind:     by_value
      - .offset:         84
        .size:           4
        .value_kind:     by_value
      - .offset:         88
        .size:           4
        .value_kind:     by_value
      - .offset:         92
        .size:           4
        .value_kind:     by_value
      - .offset:         96
        .size:           4
        .value_kind:     by_value
      - .offset:         100
        .size:           4
        .value_kind:     by_value
      - .offset:         104
        .size:           4
        .value_kind:     by_value
      - .offset:         108
        .size:           4
        .value_kind:     by_value
      - .offset:         112
        .size:           4
        .value_kind:     by_value
      - .offset:         116
        .size:           4
        .value_kind:     by_value
      - .offset:         120
        .size:           4
        .value_kind:     by_value
      - .offset:         124
        .size:           4
        .value_kind:     by_value
      - .offset:         128
        .size:           4
        .value_kind:     by_value
      - .offset:         132
        .size:           4
        .value_kind:     by_value
      - .offset:         136
        .size:           4
        .value_kind:     by_value
      - .offset:         144
        .size:           4
        .value_kind:     hidden_block_count_x
      - .offset:         148
        .size:           4
        .value_kind:     hidden_block_count_y
      - .offset:         152
        .size:           4
        .value_kind:     hidden_block_count_z
      - .offset:         156
        .size:           2
        .value_kind:     hidden_group_size_x
      - .offset:         158
        .size:           2
        .value_kind:     hidden_group_size_y
      - .offset:         160
        .size:           2
        .value_kind:     hidden_group_size_z
      - .offset:         162
        .size:           2
        .value_kind:     hidden_remainder_x
      - .offset:         164
        .size:           2
        .value_kind:     hidden_remainder_y
      - .offset:         166
        .size:           2
        .value_kind:     hidden_remainder_z
      - .offset:         184
        .size:           8
        .value_kind:     hidden_global_offset_x
      - .offset:         192
        .size:           8
        .value_kind:     hidden_global_offset_y
      - .offset:         200
        .size:           8
        .value_kind:     hidden_global_offset_z
      - .offset:         208
        .size:           2
        .value_kind:     hidden_grid_dims
    .group_segment_fixed_size: 16
    .kernarg_segment_align: 8
    .kernarg_segment_size: 400
    .language:       OpenCL C
    .language_version:
      - 2
      - 0
    .max_flat_workgroup_size: 1024
    .name:           _ZN5aiter35fused_qk_rmsnorm_group_quant_kernelItN4opus5fp4_tELi128ELi16ELi8ELb0ELb1ELb1ELb0ELb0ELb0EEEvPT0_PvPT_S7_S7_PKS6_S9_S9_S9_S9_ffiiiiiiiiiiiii
    .private_segment_fixed_size: 0
    .sgpr_count:     40
    .sgpr_spill_count: 0
    .symbol:         _ZN5aiter35fused_qk_rmsnorm_group_quant_kernelItN4opus5fp4_tELi128ELi16ELi8ELb0ELb1ELb1ELb0ELb0ELb0EEEvPT0_PvPT_S7_S7_PKS6_S9_S9_S9_S9_ffiiiiiiiiiiiii.kd
    .uniform_work_group_size: 1
    .uses_dynamic_stack: false
    .vgpr_count:     35
    .vgpr_spill_count: 0
    .wavefront_size: 64
  - .agpr_count:     0
    .args:
      - .actual_access:  write_only
        .address_space:  global
        .offset:         0
        .size:           8
        .value_kind:     global_buffer
      - .actual_access:  write_only
        .address_space:  global
        .offset:         8
        .size:           8
        .value_kind:     global_buffer
      - .actual_access:  write_only
        .address_space:  global
        .offset:         16
        .size:           8
        .value_kind:     global_buffer
      - .actual_access:  write_only
        .address_space:  global
        .offset:         24
        .size:           8
        .value_kind:     global_buffer
      - .actual_access:  read_only
        .address_space:  global
        .offset:         32
        .size:           8
        .value_kind:     global_buffer
      - .actual_access:  read_only
        .address_space:  global
        .offset:         40
        .size:           8
        .value_kind:     global_buffer
      - .actual_access:  read_only
        .address_space:  global
        .offset:         48
        .size:           8
        .value_kind:     global_buffer
      - .actual_access:  read_only
        .address_space:  global
        .offset:         56
        .size:           8
        .value_kind:     global_buffer
      - .actual_access:  read_only
        .address_space:  global
        .offset:         64
        .size:           8
        .value_kind:     global_buffer
      - .actual_access:  read_only
        .address_space:  global
        .offset:         72
        .size:           8
        .value_kind:     global_buffer
      - .offset:         80
        .size:           4
        .value_kind:     by_value
      - .offset:         84
        .size:           4
        .value_kind:     by_value
      - .offset:         88
        .size:           4
        .value_kind:     by_value
      - .offset:         92
        .size:           4
        .value_kind:     by_value
      - .offset:         96
        .size:           4
        .value_kind:     by_value
      - .offset:         100
        .size:           4
        .value_kind:     by_value
      - .offset:         104
        .size:           4
        .value_kind:     by_value
      - .offset:         108
        .size:           4
        .value_kind:     by_value
      - .offset:         112
        .size:           4
        .value_kind:     by_value
      - .offset:         116
        .size:           4
        .value_kind:     by_value
      - .offset:         120
        .size:           4
        .value_kind:     by_value
      - .offset:         124
        .size:           4
        .value_kind:     by_value
      - .offset:         128
        .size:           4
        .value_kind:     by_value
      - .offset:         132
        .size:           4
        .value_kind:     by_value
      - .offset:         136
        .size:           4
        .value_kind:     by_value
      - .offset:         144
        .size:           4
        .value_kind:     hidden_block_count_x
      - .offset:         148
        .size:           4
        .value_kind:     hidden_block_count_y
      - .offset:         152
        .size:           4
        .value_kind:     hidden_block_count_z
      - .offset:         156
        .size:           2
        .value_kind:     hidden_group_size_x
      - .offset:         158
        .size:           2
        .value_kind:     hidden_group_size_y
      - .offset:         160
        .size:           2
        .value_kind:     hidden_group_size_z
      - .offset:         162
        .size:           2
        .value_kind:     hidden_remainder_x
      - .offset:         164
        .size:           2
        .value_kind:     hidden_remainder_y
      - .offset:         166
        .size:           2
        .value_kind:     hidden_remainder_z
      - .offset:         184
        .size:           8
        .value_kind:     hidden_global_offset_x
      - .offset:         192
        .size:           8
        .value_kind:     hidden_global_offset_y
      - .offset:         200
        .size:           8
        .value_kind:     hidden_global_offset_z
      - .offset:         208
        .size:           2
        .value_kind:     hidden_grid_dims
    .group_segment_fixed_size: 16
    .kernarg_segment_align: 8
    .kernarg_segment_size: 400
    .language:       OpenCL C
    .language_version:
      - 2
      - 0
    .max_flat_workgroup_size: 1024
    .name:           _ZN5aiter35fused_qk_rmsnorm_group_quant_kernelIDF16_DB8_Li128ELi16ELi8ELb0ELb1ELb0ELb0ELb0ELb0EEEvPT0_PvPT_S6_S6_PKS5_S8_S8_S8_S8_ffiiiiiiiiiiiii
    .private_segment_fixed_size: 0
    .sgpr_count:     40
    .sgpr_spill_count: 0
    .symbol:         _ZN5aiter35fused_qk_rmsnorm_group_quant_kernelIDF16_DB8_Li128ELi16ELi8ELb0ELb1ELb0ELb0ELb0ELb0EEEvPT0_PvPT_S6_S6_PKS5_S8_S8_S8_S8_ffiiiiiiiiiiiii.kd
    .uniform_work_group_size: 1
    .uses_dynamic_stack: false
    .vgpr_count:     38
    .vgpr_spill_count: 0
    .wavefront_size: 64
  - .agpr_count:     0
    .args:
      - .actual_access:  write_only
        .address_space:  global
        .offset:         0
        .size:           8
        .value_kind:     global_buffer
      - .actual_access:  write_only
        .address_space:  global
        .offset:         8
        .size:           8
        .value_kind:     global_buffer
      - .actual_access:  write_only
        .address_space:  global
        .offset:         16
        .size:           8
        .value_kind:     global_buffer
      - .actual_access:  write_only
        .address_space:  global
        .offset:         24
        .size:           8
        .value_kind:     global_buffer
      - .actual_access:  read_only
        .address_space:  global
        .offset:         32
        .size:           8
        .value_kind:     global_buffer
      - .actual_access:  read_only
        .address_space:  global
        .offset:         40
        .size:           8
        .value_kind:     global_buffer
      - .actual_access:  read_only
        .address_space:  global
        .offset:         48
        .size:           8
        .value_kind:     global_buffer
      - .actual_access:  read_only
        .address_space:  global
        .offset:         56
        .size:           8
        .value_kind:     global_buffer
      - .actual_access:  read_only
        .address_space:  global
        .offset:         64
        .size:           8
        .value_kind:     global_buffer
      - .actual_access:  read_only
        .address_space:  global
        .offset:         72
        .size:           8
        .value_kind:     global_buffer
      - .offset:         80
        .size:           4
        .value_kind:     by_value
      - .offset:         84
        .size:           4
        .value_kind:     by_value
      - .offset:         88
        .size:           4
        .value_kind:     by_value
      - .offset:         92
        .size:           4
        .value_kind:     by_value
      - .offset:         96
        .size:           4
        .value_kind:     by_value
      - .offset:         100
        .size:           4
        .value_kind:     by_value
      - .offset:         104
        .size:           4
        .value_kind:     by_value
      - .offset:         108
        .size:           4
        .value_kind:     by_value
      - .offset:         112
        .size:           4
        .value_kind:     by_value
      - .offset:         116
        .size:           4
        .value_kind:     by_value
      - .offset:         120
        .size:           4
        .value_kind:     by_value
      - .offset:         124
        .size:           4
        .value_kind:     by_value
      - .offset:         128
        .size:           4
        .value_kind:     by_value
      - .offset:         132
        .size:           4
        .value_kind:     by_value
      - .offset:         136
        .size:           4
        .value_kind:     by_value
      - .offset:         144
        .size:           4
        .value_kind:     hidden_block_count_x
      - .offset:         148
        .size:           4
        .value_kind:     hidden_block_count_y
      - .offset:         152
        .size:           4
        .value_kind:     hidden_block_count_z
      - .offset:         156
        .size:           2
        .value_kind:     hidden_group_size_x
      - .offset:         158
        .size:           2
        .value_kind:     hidden_group_size_y
      - .offset:         160
        .size:           2
        .value_kind:     hidden_group_size_z
      - .offset:         162
        .size:           2
        .value_kind:     hidden_remainder_x
      - .offset:         164
        .size:           2
        .value_kind:     hidden_remainder_y
      - .offset:         166
        .size:           2
        .value_kind:     hidden_remainder_z
      - .offset:         184
        .size:           8
        .value_kind:     hidden_global_offset_x
      - .offset:         192
        .size:           8
        .value_kind:     hidden_global_offset_y
      - .offset:         200
        .size:           8
        .value_kind:     hidden_global_offset_z
      - .offset:         208
        .size:           2
        .value_kind:     hidden_grid_dims
    .group_segment_fixed_size: 16
    .kernarg_segment_align: 8
    .kernarg_segment_size: 400
    .language:       OpenCL C
    .language_version:
      - 2
      - 0
    .max_flat_workgroup_size: 1024
    .name:           _ZN5aiter35fused_qk_rmsnorm_group_quant_kernelItDB8_Li128ELi16ELi8ELb0ELb1ELb0ELb0ELb0ELb0EEEvPT0_PvPT_S6_S6_PKS5_S8_S8_S8_S8_ffiiiiiiiiiiiii
    .private_segment_fixed_size: 0
    .sgpr_count:     40
    .sgpr_spill_count: 0
    .symbol:         _ZN5aiter35fused_qk_rmsnorm_group_quant_kernelItDB8_Li128ELi16ELi8ELb0ELb1ELb0ELb0ELb0ELb0EEEvPT0_PvPT_S6_S6_PKS5_S8_S8_S8_S8_ffiiiiiiiiiiiii.kd
    .uniform_work_group_size: 1
    .uses_dynamic_stack: false
    .vgpr_count:     38
    .vgpr_spill_count: 0
    .wavefront_size: 64
  - .agpr_count:     0
    .args:
      - .actual_access:  write_only
        .address_space:  global
        .offset:         0
        .size:           8
        .value_kind:     global_buffer
      - .actual_access:  write_only
        .address_space:  global
        .offset:         8
        .size:           8
        .value_kind:     global_buffer
      - .actual_access:  write_only
        .address_space:  global
        .offset:         16
        .size:           8
        .value_kind:     global_buffer
      - .actual_access:  write_only
        .address_space:  global
        .offset:         24
        .size:           8
        .value_kind:     global_buffer
      - .actual_access:  read_only
        .address_space:  global
        .offset:         32
        .size:           8
        .value_kind:     global_buffer
      - .actual_access:  read_only
        .address_space:  global
        .offset:         40
        .size:           8
        .value_kind:     global_buffer
      - .actual_access:  read_only
        .address_space:  global
        .offset:         48
        .size:           8
        .value_kind:     global_buffer
      - .actual_access:  read_only
        .address_space:  global
        .offset:         56
        .size:           8
        .value_kind:     global_buffer
      - .actual_access:  read_only
        .address_space:  global
        .offset:         64
        .size:           8
        .value_kind:     global_buffer
      - .actual_access:  read_only
        .address_space:  global
        .offset:         72
        .size:           8
        .value_kind:     global_buffer
      - .offset:         80
        .size:           4
        .value_kind:     by_value
      - .offset:         84
        .size:           4
        .value_kind:     by_value
      - .offset:         88
        .size:           4
        .value_kind:     by_value
      - .offset:         92
        .size:           4
        .value_kind:     by_value
      - .offset:         96
        .size:           4
        .value_kind:     by_value
      - .offset:         100
        .size:           4
        .value_kind:     by_value
      - .offset:         104
        .size:           4
        .value_kind:     by_value
      - .offset:         108
        .size:           4
        .value_kind:     by_value
      - .offset:         112
        .size:           4
        .value_kind:     by_value
      - .offset:         116
        .size:           4
        .value_kind:     by_value
      - .offset:         120
        .size:           4
        .value_kind:     by_value
      - .offset:         124
        .size:           4
        .value_kind:     by_value
      - .offset:         128
        .size:           4
        .value_kind:     by_value
      - .offset:         132
        .size:           4
        .value_kind:     by_value
      - .offset:         136
        .size:           4
        .value_kind:     by_value
      - .offset:         144
        .size:           4
        .value_kind:     hidden_block_count_x
      - .offset:         148
        .size:           4
        .value_kind:     hidden_block_count_y
      - .offset:         152
        .size:           4
        .value_kind:     hidden_block_count_z
      - .offset:         156
        .size:           2
        .value_kind:     hidden_group_size_x
      - .offset:         158
        .size:           2
        .value_kind:     hidden_group_size_y
      - .offset:         160
        .size:           2
        .value_kind:     hidden_group_size_z
      - .offset:         162
        .size:           2
        .value_kind:     hidden_remainder_x
      - .offset:         164
        .size:           2
        .value_kind:     hidden_remainder_y
      - .offset:         166
        .size:           2
        .value_kind:     hidden_remainder_z
      - .offset:         184
        .size:           8
        .value_kind:     hidden_global_offset_x
      - .offset:         192
        .size:           8
        .value_kind:     hidden_global_offset_y
      - .offset:         200
        .size:           8
        .value_kind:     hidden_global_offset_z
      - .offset:         208
        .size:           2
        .value_kind:     hidden_grid_dims
    .group_segment_fixed_size: 16
    .kernarg_segment_align: 8
    .kernarg_segment_size: 400
    .language:       OpenCL C
    .language_version:
      - 2
      - 0
    .max_flat_workgroup_size: 1024
    .name:           _ZN5aiter35fused_qk_rmsnorm_group_quant_kernelIDF16_N4opus5fp4_tELi128ELi16ELi8ELb0ELb1ELb0ELb0ELb0ELb0EEEvPT0_PvPT_S7_S7_PKS6_S9_S9_S9_S9_ffiiiiiiiiiiiii
    .private_segment_fixed_size: 0
    .sgpr_count:     40
    .sgpr_spill_count: 0
    .symbol:         _ZN5aiter35fused_qk_rmsnorm_group_quant_kernelIDF16_N4opus5fp4_tELi128ELi16ELi8ELb0ELb1ELb0ELb0ELb0ELb0EEEvPT0_PvPT_S7_S7_PKS6_S9_S9_S9_S9_ffiiiiiiiiiiiii.kd
    .uniform_work_group_size: 1
    .uses_dynamic_stack: false
    .vgpr_count:     35
    .vgpr_spill_count: 0
    .wavefront_size: 64
  - .agpr_count:     0
    .args:
      - .actual_access:  write_only
        .address_space:  global
        .offset:         0
        .size:           8
        .value_kind:     global_buffer
      - .actual_access:  write_only
        .address_space:  global
        .offset:         8
        .size:           8
        .value_kind:     global_buffer
      - .actual_access:  write_only
        .address_space:  global
        .offset:         16
        .size:           8
        .value_kind:     global_buffer
      - .actual_access:  write_only
        .address_space:  global
        .offset:         24
        .size:           8
        .value_kind:     global_buffer
      - .actual_access:  read_only
        .address_space:  global
        .offset:         32
        .size:           8
        .value_kind:     global_buffer
      - .actual_access:  read_only
        .address_space:  global
        .offset:         40
        .size:           8
        .value_kind:     global_buffer
      - .actual_access:  read_only
        .address_space:  global
        .offset:         48
        .size:           8
        .value_kind:     global_buffer
      - .actual_access:  read_only
        .address_space:  global
        .offset:         56
        .size:           8
        .value_kind:     global_buffer
      - .actual_access:  read_only
        .address_space:  global
        .offset:         64
        .size:           8
        .value_kind:     global_buffer
      - .actual_access:  read_only
        .address_space:  global
        .offset:         72
        .size:           8
        .value_kind:     global_buffer
      - .offset:         80
        .size:           4
        .value_kind:     by_value
      - .offset:         84
        .size:           4
        .value_kind:     by_value
      - .offset:         88
        .size:           4
        .value_kind:     by_value
      - .offset:         92
        .size:           4
        .value_kind:     by_value
      - .offset:         96
        .size:           4
        .value_kind:     by_value
      - .offset:         100
        .size:           4
        .value_kind:     by_value
      - .offset:         104
        .size:           4
        .value_kind:     by_value
      - .offset:         108
        .size:           4
        .value_kind:     by_value
      - .offset:         112
        .size:           4
        .value_kind:     by_value
      - .offset:         116
        .size:           4
        .value_kind:     by_value
      - .offset:         120
        .size:           4
        .value_kind:     by_value
      - .offset:         124
        .size:           4
        .value_kind:     by_value
      - .offset:         128
        .size:           4
        .value_kind:     by_value
      - .offset:         132
        .size:           4
        .value_kind:     by_value
      - .offset:         136
        .size:           4
        .value_kind:     by_value
      - .offset:         144
        .size:           4
        .value_kind:     hidden_block_count_x
      - .offset:         148
        .size:           4
        .value_kind:     hidden_block_count_y
      - .offset:         152
        .size:           4
        .value_kind:     hidden_block_count_z
      - .offset:         156
        .size:           2
        .value_kind:     hidden_group_size_x
      - .offset:         158
        .size:           2
        .value_kind:     hidden_group_size_y
      - .offset:         160
        .size:           2
        .value_kind:     hidden_group_size_z
      - .offset:         162
        .size:           2
        .value_kind:     hidden_remainder_x
      - .offset:         164
        .size:           2
        .value_kind:     hidden_remainder_y
      - .offset:         166
        .size:           2
        .value_kind:     hidden_remainder_z
      - .offset:         184
        .size:           8
        .value_kind:     hidden_global_offset_x
      - .offset:         192
        .size:           8
        .value_kind:     hidden_global_offset_y
      - .offset:         200
        .size:           8
        .value_kind:     hidden_global_offset_z
      - .offset:         208
        .size:           2
        .value_kind:     hidden_grid_dims
    .group_segment_fixed_size: 16
    .kernarg_segment_align: 8
    .kernarg_segment_size: 400
    .language:       OpenCL C
    .language_version:
      - 2
      - 0
    .max_flat_workgroup_size: 1024
    .name:           _ZN5aiter35fused_qk_rmsnorm_group_quant_kernelItN4opus5fp4_tELi128ELi16ELi8ELb0ELb1ELb0ELb0ELb0ELb0EEEvPT0_PvPT_S7_S7_PKS6_S9_S9_S9_S9_ffiiiiiiiiiiiii
    .private_segment_fixed_size: 0
    .sgpr_count:     40
    .sgpr_spill_count: 0
    .symbol:         _ZN5aiter35fused_qk_rmsnorm_group_quant_kernelItN4opus5fp4_tELi128ELi16ELi8ELb0ELb1ELb0ELb0ELb0ELb0EEEvPT0_PvPT_S7_S7_PKS6_S9_S9_S9_S9_ffiiiiiiiiiiiii.kd
    .uniform_work_group_size: 1
    .uses_dynamic_stack: false
    .vgpr_count:     35
    .vgpr_spill_count: 0
    .wavefront_size: 64
  - .agpr_count:     0
    .args:
      - .actual_access:  write_only
        .address_space:  global
        .offset:         0
        .size:           8
        .value_kind:     global_buffer
      - .actual_access:  write_only
        .address_space:  global
        .offset:         8
        .size:           8
        .value_kind:     global_buffer
      - .actual_access:  read_only
        .address_space:  global
        .offset:         16
        .size:           8
        .value_kind:     global_buffer
      - .actual_access:  write_only
        .address_space:  global
        .offset:         24
        .size:           8
        .value_kind:     global_buffer
      - .actual_access:  read_only
        .address_space:  global
        .offset:         32
        .size:           8
        .value_kind:     global_buffer
      - .actual_access:  read_only
        .address_space:  global
        .offset:         40
        .size:           8
        .value_kind:     global_buffer
      - .actual_access:  read_only
        .address_space:  global
        .offset:         48
        .size:           8
        .value_kind:     global_buffer
      - .actual_access:  read_only
        .address_space:  global
        .offset:         56
        .size:           8
        .value_kind:     global_buffer
      - .actual_access:  read_only
        .address_space:  global
        .offset:         64
        .size:           8
        .value_kind:     global_buffer
      - .actual_access:  read_only
        .address_space:  global
        .offset:         72
        .size:           8
        .value_kind:     global_buffer
      - .offset:         80
        .size:           4
        .value_kind:     by_value
      - .offset:         84
        .size:           4
        .value_kind:     by_value
      - .offset:         88
        .size:           4
        .value_kind:     by_value
      - .offset:         92
        .size:           4
        .value_kind:     by_value
      - .offset:         96
        .size:           4
        .value_kind:     by_value
      - .offset:         100
        .size:           4
        .value_kind:     by_value
      - .offset:         104
        .size:           4
        .value_kind:     by_value
      - .offset:         108
        .size:           4
        .value_kind:     by_value
      - .offset:         112
        .size:           4
        .value_kind:     by_value
      - .offset:         116
        .size:           4
        .value_kind:     by_value
      - .offset:         120
        .size:           4
        .value_kind:     by_value
      - .offset:         124
        .size:           4
        .value_kind:     by_value
      - .offset:         128
        .size:           4
        .value_kind:     by_value
      - .offset:         132
        .size:           4
        .value_kind:     by_value
      - .offset:         136
        .size:           4
        .value_kind:     by_value
      - .offset:         144
        .size:           4
        .value_kind:     hidden_block_count_x
      - .offset:         148
        .size:           4
        .value_kind:     hidden_block_count_y
      - .offset:         152
        .size:           4
        .value_kind:     hidden_block_count_z
      - .offset:         156
        .size:           2
        .value_kind:     hidden_group_size_x
      - .offset:         158
        .size:           2
        .value_kind:     hidden_group_size_y
      - .offset:         160
        .size:           2
        .value_kind:     hidden_group_size_z
      - .offset:         162
        .size:           2
        .value_kind:     hidden_remainder_x
      - .offset:         164
        .size:           2
        .value_kind:     hidden_remainder_y
      - .offset:         166
        .size:           2
        .value_kind:     hidden_remainder_z
      - .offset:         184
        .size:           8
        .value_kind:     hidden_global_offset_x
      - .offset:         192
        .size:           8
        .value_kind:     hidden_global_offset_y
      - .offset:         200
        .size:           8
        .value_kind:     hidden_global_offset_z
      - .offset:         208
        .size:           2
        .value_kind:     hidden_grid_dims
    .group_segment_fixed_size: 16
    .kernarg_segment_align: 8
    .kernarg_segment_size: 400
    .language:       OpenCL C
    .language_version:
      - 2
      - 0
    .max_flat_workgroup_size: 1024
    .name:           _ZN5aiter35fused_qk_rmsnorm_group_quant_kernelIDF16_DB8_Li128ELi16ELi8ELb0ELb0ELb1ELb0ELb0ELb0EEEvPT0_PvPT_S6_S6_PKS5_S8_S8_S8_S8_ffiiiiiiiiiiiii
    .private_segment_fixed_size: 0
    .sgpr_count:     36
    .sgpr_spill_count: 0
    .symbol:         _ZN5aiter35fused_qk_rmsnorm_group_quant_kernelIDF16_DB8_Li128ELi16ELi8ELb0ELb0ELb1ELb0ELb0ELb0EEEvPT0_PvPT_S6_S6_PKS5_S8_S8_S8_S8_ffiiiiiiiiiiiii.kd
    .uniform_work_group_size: 1
    .uses_dynamic_stack: false
    .vgpr_count:     35
    .vgpr_spill_count: 0
    .wavefront_size: 64
  - .agpr_count:     0
    .args:
      - .actual_access:  write_only
        .address_space:  global
        .offset:         0
        .size:           8
        .value_kind:     global_buffer
      - .actual_access:  write_only
        .address_space:  global
        .offset:         8
        .size:           8
        .value_kind:     global_buffer
      - .actual_access:  read_only
        .address_space:  global
        .offset:         16
        .size:           8
        .value_kind:     global_buffer
      - .actual_access:  write_only
        .address_space:  global
        .offset:         24
        .size:           8
        .value_kind:     global_buffer
      - .actual_access:  read_only
        .address_space:  global
        .offset:         32
        .size:           8
        .value_kind:     global_buffer
      - .actual_access:  read_only
        .address_space:  global
        .offset:         40
        .size:           8
        .value_kind:     global_buffer
      - .actual_access:  read_only
        .address_space:  global
        .offset:         48
        .size:           8
        .value_kind:     global_buffer
      - .actual_access:  read_only
        .address_space:  global
        .offset:         56
        .size:           8
        .value_kind:     global_buffer
      - .actual_access:  read_only
        .address_space:  global
        .offset:         64
        .size:           8
        .value_kind:     global_buffer
      - .actual_access:  read_only
        .address_space:  global
        .offset:         72
        .size:           8
        .value_kind:     global_buffer
      - .offset:         80
        .size:           4
        .value_kind:     by_value
      - .offset:         84
        .size:           4
        .value_kind:     by_value
      - .offset:         88
        .size:           4
        .value_kind:     by_value
      - .offset:         92
        .size:           4
        .value_kind:     by_value
      - .offset:         96
        .size:           4
        .value_kind:     by_value
      - .offset:         100
        .size:           4
        .value_kind:     by_value
      - .offset:         104
        .size:           4
        .value_kind:     by_value
      - .offset:         108
        .size:           4
        .value_kind:     by_value
      - .offset:         112
        .size:           4
        .value_kind:     by_value
      - .offset:         116
        .size:           4
        .value_kind:     by_value
      - .offset:         120
        .size:           4
        .value_kind:     by_value
      - .offset:         124
        .size:           4
        .value_kind:     by_value
      - .offset:         128
        .size:           4
        .value_kind:     by_value
      - .offset:         132
        .size:           4
        .value_kind:     by_value
      - .offset:         136
        .size:           4
        .value_kind:     by_value
      - .offset:         144
        .size:           4
        .value_kind:     hidden_block_count_x
      - .offset:         148
        .size:           4
        .value_kind:     hidden_block_count_y
      - .offset:         152
        .size:           4
        .value_kind:     hidden_block_count_z
      - .offset:         156
        .size:           2
        .value_kind:     hidden_group_size_x
      - .offset:         158
        .size:           2
        .value_kind:     hidden_group_size_y
      - .offset:         160
        .size:           2
        .value_kind:     hidden_group_size_z
      - .offset:         162
        .size:           2
        .value_kind:     hidden_remainder_x
      - .offset:         164
        .size:           2
        .value_kind:     hidden_remainder_y
      - .offset:         166
        .size:           2
        .value_kind:     hidden_remainder_z
      - .offset:         184
        .size:           8
        .value_kind:     hidden_global_offset_x
      - .offset:         192
        .size:           8
        .value_kind:     hidden_global_offset_y
      - .offset:         200
        .size:           8
        .value_kind:     hidden_global_offset_z
      - .offset:         208
        .size:           2
        .value_kind:     hidden_grid_dims
    .group_segment_fixed_size: 16
    .kernarg_segment_align: 8
    .kernarg_segment_size: 400
    .language:       OpenCL C
    .language_version:
      - 2
      - 0
    .max_flat_workgroup_size: 1024
    .name:           _ZN5aiter35fused_qk_rmsnorm_group_quant_kernelItDB8_Li128ELi16ELi8ELb0ELb0ELb1ELb0ELb0ELb0EEEvPT0_PvPT_S6_S6_PKS5_S8_S8_S8_S8_ffiiiiiiiiiiiii
    .private_segment_fixed_size: 0
    .sgpr_count:     36
    .sgpr_spill_count: 0
    .symbol:         _ZN5aiter35fused_qk_rmsnorm_group_quant_kernelItDB8_Li128ELi16ELi8ELb0ELb0ELb1ELb0ELb0ELb0EEEvPT0_PvPT_S6_S6_PKS5_S8_S8_S8_S8_ffiiiiiiiiiiiii.kd
    .uniform_work_group_size: 1
    .uses_dynamic_stack: false
    .vgpr_count:     35
    .vgpr_spill_count: 0
    .wavefront_size: 64
  - .agpr_count:     0
    .args:
      - .actual_access:  write_only
        .address_space:  global
        .offset:         0
        .size:           8
        .value_kind:     global_buffer
      - .actual_access:  write_only
        .address_space:  global
        .offset:         8
        .size:           8
        .value_kind:     global_buffer
      - .actual_access:  read_only
        .address_space:  global
        .offset:         16
        .size:           8
        .value_kind:     global_buffer
      - .actual_access:  write_only
        .address_space:  global
        .offset:         24
        .size:           8
        .value_kind:     global_buffer
      - .actual_access:  read_only
        .address_space:  global
        .offset:         32
        .size:           8
        .value_kind:     global_buffer
      - .actual_access:  read_only
        .address_space:  global
        .offset:         40
        .size:           8
        .value_kind:     global_buffer
      - .actual_access:  read_only
        .address_space:  global
        .offset:         48
        .size:           8
        .value_kind:     global_buffer
      - .actual_access:  read_only
        .address_space:  global
        .offset:         56
        .size:           8
        .value_kind:     global_buffer
      - .actual_access:  read_only
        .address_space:  global
        .offset:         64
        .size:           8
        .value_kind:     global_buffer
      - .actual_access:  read_only
        .address_space:  global
        .offset:         72
        .size:           8
        .value_kind:     global_buffer
      - .offset:         80
        .size:           4
        .value_kind:     by_value
      - .offset:         84
        .size:           4
        .value_kind:     by_value
      - .offset:         88
        .size:           4
        .value_kind:     by_value
      - .offset:         92
        .size:           4
        .value_kind:     by_value
      - .offset:         96
        .size:           4
        .value_kind:     by_value
      - .offset:         100
        .size:           4
        .value_kind:     by_value
      - .offset:         104
        .size:           4
        .value_kind:     by_value
      - .offset:         108
        .size:           4
        .value_kind:     by_value
      - .offset:         112
        .size:           4
        .value_kind:     by_value
      - .offset:         116
        .size:           4
        .value_kind:     by_value
      - .offset:         120
        .size:           4
        .value_kind:     by_value
      - .offset:         124
        .size:           4
        .value_kind:     by_value
      - .offset:         128
        .size:           4
        .value_kind:     by_value
      - .offset:         132
        .size:           4
        .value_kind:     by_value
      - .offset:         136
        .size:           4
        .value_kind:     by_value
      - .offset:         144
        .size:           4
        .value_kind:     hidden_block_count_x
      - .offset:         148
        .size:           4
        .value_kind:     hidden_block_count_y
      - .offset:         152
        .size:           4
        .value_kind:     hidden_block_count_z
      - .offset:         156
        .size:           2
        .value_kind:     hidden_group_size_x
      - .offset:         158
        .size:           2
        .value_kind:     hidden_group_size_y
      - .offset:         160
        .size:           2
        .value_kind:     hidden_group_size_z
      - .offset:         162
        .size:           2
        .value_kind:     hidden_remainder_x
      - .offset:         164
        .size:           2
        .value_kind:     hidden_remainder_y
      - .offset:         166
        .size:           2
        .value_kind:     hidden_remainder_z
      - .offset:         184
        .size:           8
        .value_kind:     hidden_global_offset_x
      - .offset:         192
        .size:           8
        .value_kind:     hidden_global_offset_y
      - .offset:         200
        .size:           8
        .value_kind:     hidden_global_offset_z
      - .offset:         208
        .size:           2
        .value_kind:     hidden_grid_dims
    .group_segment_fixed_size: 16
    .kernarg_segment_align: 8
    .kernarg_segment_size: 400
    .language:       OpenCL C
    .language_version:
      - 2
      - 0
    .max_flat_workgroup_size: 1024
    .name:           _ZN5aiter35fused_qk_rmsnorm_group_quant_kernelIDF16_N4opus5fp4_tELi128ELi16ELi8ELb0ELb0ELb1ELb0ELb0ELb0EEEvPT0_PvPT_S7_S7_PKS6_S9_S9_S9_S9_ffiiiiiiiiiiiii
    .private_segment_fixed_size: 0
    .sgpr_count:     36
    .sgpr_spill_count: 0
    .symbol:         _ZN5aiter35fused_qk_rmsnorm_group_quant_kernelIDF16_N4opus5fp4_tELi128ELi16ELi8ELb0ELb0ELb1ELb0ELb0ELb0EEEvPT0_PvPT_S7_S7_PKS6_S9_S9_S9_S9_ffiiiiiiiiiiiii.kd
    .uniform_work_group_size: 1
    .uses_dynamic_stack: false
    .vgpr_count:     35
    .vgpr_spill_count: 0
    .wavefront_size: 64
  - .agpr_count:     0
    .args:
      - .actual_access:  write_only
        .address_space:  global
        .offset:         0
        .size:           8
        .value_kind:     global_buffer
      - .actual_access:  write_only
        .address_space:  global
        .offset:         8
        .size:           8
        .value_kind:     global_buffer
      - .actual_access:  read_only
        .address_space:  global
        .offset:         16
        .size:           8
        .value_kind:     global_buffer
      - .actual_access:  write_only
        .address_space:  global
        .offset:         24
        .size:           8
        .value_kind:     global_buffer
      - .actual_access:  read_only
        .address_space:  global
        .offset:         32
        .size:           8
        .value_kind:     global_buffer
      - .actual_access:  read_only
        .address_space:  global
        .offset:         40
        .size:           8
        .value_kind:     global_buffer
      - .actual_access:  read_only
        .address_space:  global
        .offset:         48
        .size:           8
        .value_kind:     global_buffer
      - .actual_access:  read_only
        .address_space:  global
        .offset:         56
        .size:           8
        .value_kind:     global_buffer
      - .actual_access:  read_only
        .address_space:  global
        .offset:         64
        .size:           8
        .value_kind:     global_buffer
      - .actual_access:  read_only
        .address_space:  global
        .offset:         72
        .size:           8
        .value_kind:     global_buffer
      - .offset:         80
        .size:           4
        .value_kind:     by_value
      - .offset:         84
        .size:           4
        .value_kind:     by_value
      - .offset:         88
        .size:           4
        .value_kind:     by_value
      - .offset:         92
        .size:           4
        .value_kind:     by_value
      - .offset:         96
        .size:           4
        .value_kind:     by_value
      - .offset:         100
        .size:           4
        .value_kind:     by_value
      - .offset:         104
        .size:           4
        .value_kind:     by_value
      - .offset:         108
        .size:           4
        .value_kind:     by_value
      - .offset:         112
        .size:           4
        .value_kind:     by_value
      - .offset:         116
        .size:           4
        .value_kind:     by_value
      - .offset:         120
        .size:           4
        .value_kind:     by_value
      - .offset:         124
        .size:           4
        .value_kind:     by_value
      - .offset:         128
        .size:           4
        .value_kind:     by_value
      - .offset:         132
        .size:           4
        .value_kind:     by_value
      - .offset:         136
        .size:           4
        .value_kind:     by_value
      - .offset:         144
        .size:           4
        .value_kind:     hidden_block_count_x
      - .offset:         148
        .size:           4
        .value_kind:     hidden_block_count_y
      - .offset:         152
        .size:           4
        .value_kind:     hidden_block_count_z
      - .offset:         156
        .size:           2
        .value_kind:     hidden_group_size_x
      - .offset:         158
        .size:           2
        .value_kind:     hidden_group_size_y
      - .offset:         160
        .size:           2
        .value_kind:     hidden_group_size_z
      - .offset:         162
        .size:           2
        .value_kind:     hidden_remainder_x
      - .offset:         164
        .size:           2
        .value_kind:     hidden_remainder_y
      - .offset:         166
        .size:           2
        .value_kind:     hidden_remainder_z
      - .offset:         184
        .size:           8
        .value_kind:     hidden_global_offset_x
      - .offset:         192
        .size:           8
        .value_kind:     hidden_global_offset_y
      - .offset:         200
        .size:           8
        .value_kind:     hidden_global_offset_z
      - .offset:         208
        .size:           2
        .value_kind:     hidden_grid_dims
    .group_segment_fixed_size: 16
    .kernarg_segment_align: 8
    .kernarg_segment_size: 400
    .language:       OpenCL C
    .language_version:
      - 2
      - 0
    .max_flat_workgroup_size: 1024
    .name:           _ZN5aiter35fused_qk_rmsnorm_group_quant_kernelItN4opus5fp4_tELi128ELi16ELi8ELb0ELb0ELb1ELb0ELb0ELb0EEEvPT0_PvPT_S7_S7_PKS6_S9_S9_S9_S9_ffiiiiiiiiiiiii
    .private_segment_fixed_size: 0
    .sgpr_count:     36
    .sgpr_spill_count: 0
    .symbol:         _ZN5aiter35fused_qk_rmsnorm_group_quant_kernelItN4opus5fp4_tELi128ELi16ELi8ELb0ELb0ELb1ELb0ELb0ELb0EEEvPT0_PvPT_S7_S7_PKS6_S9_S9_S9_S9_ffiiiiiiiiiiiii.kd
    .uniform_work_group_size: 1
    .uses_dynamic_stack: false
    .vgpr_count:     35
    .vgpr_spill_count: 0
    .wavefront_size: 64
  - .agpr_count:     0
    .args:
      - .actual_access:  write_only
        .address_space:  global
        .offset:         0
        .size:           8
        .value_kind:     global_buffer
      - .actual_access:  write_only
        .address_space:  global
        .offset:         8
        .size:           8
        .value_kind:     global_buffer
      - .actual_access:  read_only
        .address_space:  global
        .offset:         16
        .size:           8
        .value_kind:     global_buffer
      - .actual_access:  write_only
        .address_space:  global
        .offset:         24
        .size:           8
        .value_kind:     global_buffer
      - .actual_access:  read_only
        .address_space:  global
        .offset:         32
        .size:           8
        .value_kind:     global_buffer
      - .actual_access:  read_only
        .address_space:  global
        .offset:         40
        .size:           8
        .value_kind:     global_buffer
      - .actual_access:  read_only
        .address_space:  global
        .offset:         48
        .size:           8
        .value_kind:     global_buffer
      - .actual_access:  read_only
        .address_space:  global
        .offset:         56
        .size:           8
        .value_kind:     global_buffer
      - .actual_access:  read_only
        .address_space:  global
        .offset:         64
        .size:           8
        .value_kind:     global_buffer
      - .actual_access:  read_only
        .address_space:  global
        .offset:         72
        .size:           8
        .value_kind:     global_buffer
      - .offset:         80
        .size:           4
        .value_kind:     by_value
      - .offset:         84
        .size:           4
        .value_kind:     by_value
      - .offset:         88
        .size:           4
        .value_kind:     by_value
      - .offset:         92
        .size:           4
        .value_kind:     by_value
      - .offset:         96
        .size:           4
        .value_kind:     by_value
      - .offset:         100
        .size:           4
        .value_kind:     by_value
      - .offset:         104
        .size:           4
        .value_kind:     by_value
      - .offset:         108
        .size:           4
        .value_kind:     by_value
      - .offset:         112
        .size:           4
        .value_kind:     by_value
      - .offset:         116
        .size:           4
        .value_kind:     by_value
      - .offset:         120
        .size:           4
        .value_kind:     by_value
      - .offset:         124
        .size:           4
        .value_kind:     by_value
      - .offset:         128
        .size:           4
        .value_kind:     by_value
      - .offset:         132
        .size:           4
        .value_kind:     by_value
      - .offset:         136
        .size:           4
        .value_kind:     by_value
      - .offset:         144
        .size:           4
        .value_kind:     hidden_block_count_x
      - .offset:         148
        .size:           4
        .value_kind:     hidden_block_count_y
      - .offset:         152
        .size:           4
        .value_kind:     hidden_block_count_z
      - .offset:         156
        .size:           2
        .value_kind:     hidden_group_size_x
      - .offset:         158
        .size:           2
        .value_kind:     hidden_group_size_y
      - .offset:         160
        .size:           2
        .value_kind:     hidden_group_size_z
      - .offset:         162
        .size:           2
        .value_kind:     hidden_remainder_x
      - .offset:         164
        .size:           2
        .value_kind:     hidden_remainder_y
      - .offset:         166
        .size:           2
        .value_kind:     hidden_remainder_z
      - .offset:         184
        .size:           8
        .value_kind:     hidden_global_offset_x
      - .offset:         192
        .size:           8
        .value_kind:     hidden_global_offset_y
      - .offset:         200
        .size:           8
        .value_kind:     hidden_global_offset_z
      - .offset:         208
        .size:           2
        .value_kind:     hidden_grid_dims
    .group_segment_fixed_size: 16
    .kernarg_segment_align: 8
    .kernarg_segment_size: 400
    .language:       OpenCL C
    .language_version:
      - 2
      - 0
    .max_flat_workgroup_size: 1024
    .name:           _ZN5aiter35fused_qk_rmsnorm_group_quant_kernelIDF16_DB8_Li128ELi16ELi8ELb0ELb0ELb0ELb0ELb0ELb0EEEvPT0_PvPT_S6_S6_PKS5_S8_S8_S8_S8_ffiiiiiiiiiiiii
    .private_segment_fixed_size: 0
    .sgpr_count:     36
    .sgpr_spill_count: 0
    .symbol:         _ZN5aiter35fused_qk_rmsnorm_group_quant_kernelIDF16_DB8_Li128ELi16ELi8ELb0ELb0ELb0ELb0ELb0ELb0EEEvPT0_PvPT_S6_S6_PKS5_S8_S8_S8_S8_ffiiiiiiiiiiiii.kd
    .uniform_work_group_size: 1
    .uses_dynamic_stack: false
    .vgpr_count:     38
    .vgpr_spill_count: 0
    .wavefront_size: 64
  - .agpr_count:     0
    .args:
      - .actual_access:  write_only
        .address_space:  global
        .offset:         0
        .size:           8
        .value_kind:     global_buffer
      - .actual_access:  write_only
        .address_space:  global
        .offset:         8
        .size:           8
        .value_kind:     global_buffer
      - .actual_access:  read_only
        .address_space:  global
        .offset:         16
        .size:           8
        .value_kind:     global_buffer
      - .actual_access:  write_only
        .address_space:  global
        .offset:         24
        .size:           8
        .value_kind:     global_buffer
      - .actual_access:  read_only
        .address_space:  global
        .offset:         32
        .size:           8
        .value_kind:     global_buffer
      - .actual_access:  read_only
        .address_space:  global
        .offset:         40
        .size:           8
        .value_kind:     global_buffer
      - .actual_access:  read_only
        .address_space:  global
        .offset:         48
        .size:           8
        .value_kind:     global_buffer
      - .actual_access:  read_only
        .address_space:  global
        .offset:         56
        .size:           8
        .value_kind:     global_buffer
      - .actual_access:  read_only
        .address_space:  global
        .offset:         64
        .size:           8
        .value_kind:     global_buffer
      - .actual_access:  read_only
        .address_space:  global
        .offset:         72
        .size:           8
        .value_kind:     global_buffer
      - .offset:         80
        .size:           4
        .value_kind:     by_value
      - .offset:         84
        .size:           4
        .value_kind:     by_value
      - .offset:         88
        .size:           4
        .value_kind:     by_value
      - .offset:         92
        .size:           4
        .value_kind:     by_value
      - .offset:         96
        .size:           4
        .value_kind:     by_value
      - .offset:         100
        .size:           4
        .value_kind:     by_value
      - .offset:         104
        .size:           4
        .value_kind:     by_value
      - .offset:         108
        .size:           4
        .value_kind:     by_value
      - .offset:         112
        .size:           4
        .value_kind:     by_value
      - .offset:         116
        .size:           4
        .value_kind:     by_value
      - .offset:         120
        .size:           4
        .value_kind:     by_value
      - .offset:         124
        .size:           4
        .value_kind:     by_value
      - .offset:         128
        .size:           4
        .value_kind:     by_value
      - .offset:         132
        .size:           4
        .value_kind:     by_value
      - .offset:         136
        .size:           4
        .value_kind:     by_value
      - .offset:         144
        .size:           4
        .value_kind:     hidden_block_count_x
      - .offset:         148
        .size:           4
        .value_kind:     hidden_block_count_y
      - .offset:         152
        .size:           4
        .value_kind:     hidden_block_count_z
      - .offset:         156
        .size:           2
        .value_kind:     hidden_group_size_x
      - .offset:         158
        .size:           2
        .value_kind:     hidden_group_size_y
      - .offset:         160
        .size:           2
        .value_kind:     hidden_group_size_z
      - .offset:         162
        .size:           2
        .value_kind:     hidden_remainder_x
      - .offset:         164
        .size:           2
        .value_kind:     hidden_remainder_y
      - .offset:         166
        .size:           2
        .value_kind:     hidden_remainder_z
      - .offset:         184
        .size:           8
        .value_kind:     hidden_global_offset_x
      - .offset:         192
        .size:           8
        .value_kind:     hidden_global_offset_y
      - .offset:         200
        .size:           8
        .value_kind:     hidden_global_offset_z
      - .offset:         208
        .size:           2
        .value_kind:     hidden_grid_dims
    .group_segment_fixed_size: 16
    .kernarg_segment_align: 8
    .kernarg_segment_size: 400
    .language:       OpenCL C
    .language_version:
      - 2
      - 0
    .max_flat_workgroup_size: 1024
    .name:           _ZN5aiter35fused_qk_rmsnorm_group_quant_kernelItDB8_Li128ELi16ELi8ELb0ELb0ELb0ELb0ELb0ELb0EEEvPT0_PvPT_S6_S6_PKS5_S8_S8_S8_S8_ffiiiiiiiiiiiii
    .private_segment_fixed_size: 0
    .sgpr_count:     36
    .sgpr_spill_count: 0
    .symbol:         _ZN5aiter35fused_qk_rmsnorm_group_quant_kernelItDB8_Li128ELi16ELi8ELb0ELb0ELb0ELb0ELb0ELb0EEEvPT0_PvPT_S6_S6_PKS5_S8_S8_S8_S8_ffiiiiiiiiiiiii.kd
    .uniform_work_group_size: 1
    .uses_dynamic_stack: false
    .vgpr_count:     38
    .vgpr_spill_count: 0
    .wavefront_size: 64
  - .agpr_count:     0
    .args:
      - .actual_access:  write_only
        .address_space:  global
        .offset:         0
        .size:           8
        .value_kind:     global_buffer
      - .actual_access:  write_only
        .address_space:  global
        .offset:         8
        .size:           8
        .value_kind:     global_buffer
      - .actual_access:  read_only
        .address_space:  global
        .offset:         16
        .size:           8
        .value_kind:     global_buffer
      - .actual_access:  write_only
        .address_space:  global
        .offset:         24
        .size:           8
        .value_kind:     global_buffer
      - .actual_access:  read_only
        .address_space:  global
        .offset:         32
        .size:           8
        .value_kind:     global_buffer
      - .actual_access:  read_only
        .address_space:  global
        .offset:         40
        .size:           8
        .value_kind:     global_buffer
      - .actual_access:  read_only
        .address_space:  global
        .offset:         48
        .size:           8
        .value_kind:     global_buffer
      - .actual_access:  read_only
        .address_space:  global
        .offset:         56
        .size:           8
        .value_kind:     global_buffer
      - .actual_access:  read_only
        .address_space:  global
        .offset:         64
        .size:           8
        .value_kind:     global_buffer
      - .actual_access:  read_only
        .address_space:  global
        .offset:         72
        .size:           8
        .value_kind:     global_buffer
      - .offset:         80
        .size:           4
        .value_kind:     by_value
      - .offset:         84
        .size:           4
        .value_kind:     by_value
      - .offset:         88
        .size:           4
        .value_kind:     by_value
      - .offset:         92
        .size:           4
        .value_kind:     by_value
      - .offset:         96
        .size:           4
        .value_kind:     by_value
      - .offset:         100
        .size:           4
        .value_kind:     by_value
      - .offset:         104
        .size:           4
        .value_kind:     by_value
      - .offset:         108
        .size:           4
        .value_kind:     by_value
      - .offset:         112
        .size:           4
        .value_kind:     by_value
      - .offset:         116
        .size:           4
        .value_kind:     by_value
      - .offset:         120
        .size:           4
        .value_kind:     by_value
      - .offset:         124
        .size:           4
        .value_kind:     by_value
      - .offset:         128
        .size:           4
        .value_kind:     by_value
      - .offset:         132
        .size:           4
        .value_kind:     by_value
      - .offset:         136
        .size:           4
        .value_kind:     by_value
      - .offset:         144
        .size:           4
        .value_kind:     hidden_block_count_x
      - .offset:         148
        .size:           4
        .value_kind:     hidden_block_count_y
      - .offset:         152
        .size:           4
        .value_kind:     hidden_block_count_z
      - .offset:         156
        .size:           2
        .value_kind:     hidden_group_size_x
      - .offset:         158
        .size:           2
        .value_kind:     hidden_group_size_y
      - .offset:         160
        .size:           2
        .value_kind:     hidden_group_size_z
      - .offset:         162
        .size:           2
        .value_kind:     hidden_remainder_x
      - .offset:         164
        .size:           2
        .value_kind:     hidden_remainder_y
      - .offset:         166
        .size:           2
        .value_kind:     hidden_remainder_z
      - .offset:         184
        .size:           8
        .value_kind:     hidden_global_offset_x
      - .offset:         192
        .size:           8
        .value_kind:     hidden_global_offset_y
      - .offset:         200
        .size:           8
        .value_kind:     hidden_global_offset_z
      - .offset:         208
        .size:           2
        .value_kind:     hidden_grid_dims
    .group_segment_fixed_size: 16
    .kernarg_segment_align: 8
    .kernarg_segment_size: 400
    .language:       OpenCL C
    .language_version:
      - 2
      - 0
    .max_flat_workgroup_size: 1024
    .name:           _ZN5aiter35fused_qk_rmsnorm_group_quant_kernelIDF16_N4opus5fp4_tELi128ELi16ELi8ELb0ELb0ELb0ELb0ELb0ELb0EEEvPT0_PvPT_S7_S7_PKS6_S9_S9_S9_S9_ffiiiiiiiiiiiii
    .private_segment_fixed_size: 0
    .sgpr_count:     36
    .sgpr_spill_count: 0
    .symbol:         _ZN5aiter35fused_qk_rmsnorm_group_quant_kernelIDF16_N4opus5fp4_tELi128ELi16ELi8ELb0ELb0ELb0ELb0ELb0ELb0EEEvPT0_PvPT_S7_S7_PKS6_S9_S9_S9_S9_ffiiiiiiiiiiiii.kd
    .uniform_work_group_size: 1
    .uses_dynamic_stack: false
    .vgpr_count:     35
    .vgpr_spill_count: 0
    .wavefront_size: 64
  - .agpr_count:     0
    .args:
      - .actual_access:  write_only
        .address_space:  global
        .offset:         0
        .size:           8
        .value_kind:     global_buffer
      - .actual_access:  write_only
        .address_space:  global
        .offset:         8
        .size:           8
        .value_kind:     global_buffer
      - .actual_access:  read_only
        .address_space:  global
        .offset:         16
        .size:           8
        .value_kind:     global_buffer
      - .actual_access:  write_only
        .address_space:  global
        .offset:         24
        .size:           8
        .value_kind:     global_buffer
      - .actual_access:  read_only
        .address_space:  global
        .offset:         32
        .size:           8
        .value_kind:     global_buffer
      - .actual_access:  read_only
        .address_space:  global
        .offset:         40
        .size:           8
        .value_kind:     global_buffer
      - .actual_access:  read_only
        .address_space:  global
        .offset:         48
        .size:           8
        .value_kind:     global_buffer
      - .actual_access:  read_only
        .address_space:  global
        .offset:         56
        .size:           8
        .value_kind:     global_buffer
      - .actual_access:  read_only
        .address_space:  global
        .offset:         64
        .size:           8
        .value_kind:     global_buffer
      - .actual_access:  read_only
        .address_space:  global
        .offset:         72
        .size:           8
        .value_kind:     global_buffer
      - .offset:         80
        .size:           4
        .value_kind:     by_value
      - .offset:         84
        .size:           4
        .value_kind:     by_value
      - .offset:         88
        .size:           4
        .value_kind:     by_value
      - .offset:         92
        .size:           4
        .value_kind:     by_value
      - .offset:         96
        .size:           4
        .value_kind:     by_value
      - .offset:         100
        .size:           4
        .value_kind:     by_value
      - .offset:         104
        .size:           4
        .value_kind:     by_value
      - .offset:         108
        .size:           4
        .value_kind:     by_value
      - .offset:         112
        .size:           4
        .value_kind:     by_value
      - .offset:         116
        .size:           4
        .value_kind:     by_value
      - .offset:         120
        .size:           4
        .value_kind:     by_value
      - .offset:         124
        .size:           4
        .value_kind:     by_value
      - .offset:         128
        .size:           4
        .value_kind:     by_value
      - .offset:         132
        .size:           4
        .value_kind:     by_value
      - .offset:         136
        .size:           4
        .value_kind:     by_value
      - .offset:         144
        .size:           4
        .value_kind:     hidden_block_count_x
      - .offset:         148
        .size:           4
        .value_kind:     hidden_block_count_y
      - .offset:         152
        .size:           4
        .value_kind:     hidden_block_count_z
      - .offset:         156
        .size:           2
        .value_kind:     hidden_group_size_x
      - .offset:         158
        .size:           2
        .value_kind:     hidden_group_size_y
      - .offset:         160
        .size:           2
        .value_kind:     hidden_group_size_z
      - .offset:         162
        .size:           2
        .value_kind:     hidden_remainder_x
      - .offset:         164
        .size:           2
        .value_kind:     hidden_remainder_y
      - .offset:         166
        .size:           2
        .value_kind:     hidden_remainder_z
      - .offset:         184
        .size:           8
        .value_kind:     hidden_global_offset_x
      - .offset:         192
        .size:           8
        .value_kind:     hidden_global_offset_y
      - .offset:         200
        .size:           8
        .value_kind:     hidden_global_offset_z
      - .offset:         208
        .size:           2
        .value_kind:     hidden_grid_dims
    .group_segment_fixed_size: 16
    .kernarg_segment_align: 8
    .kernarg_segment_size: 400
    .language:       OpenCL C
    .language_version:
      - 2
      - 0
    .max_flat_workgroup_size: 1024
    .name:           _ZN5aiter35fused_qk_rmsnorm_group_quant_kernelItN4opus5fp4_tELi128ELi16ELi8ELb0ELb0ELb0ELb0ELb0ELb0EEEvPT0_PvPT_S7_S7_PKS6_S9_S9_S9_S9_ffiiiiiiiiiiiii
    .private_segment_fixed_size: 0
    .sgpr_count:     36
    .sgpr_spill_count: 0
    .symbol:         _ZN5aiter35fused_qk_rmsnorm_group_quant_kernelItN4opus5fp4_tELi128ELi16ELi8ELb0ELb0ELb0ELb0ELb0ELb0EEEvPT0_PvPT_S7_S7_PKS6_S9_S9_S9_S9_ffiiiiiiiiiiiii.kd
    .uniform_work_group_size: 1
    .uses_dynamic_stack: false
    .vgpr_count:     35
    .vgpr_spill_count: 0
    .wavefront_size: 64
  - .agpr_count:     0
    .args:
      - .actual_access:  read_only
        .address_space:  global
        .offset:         0
        .size:           8
        .value_kind:     global_buffer
      - .actual_access:  read_only
        .address_space:  global
        .offset:         8
        .size:           8
        .value_kind:     global_buffer
      - .actual_access:  write_only
        .address_space:  global
        .offset:         16
        .size:           8
        .value_kind:     global_buffer
      - .actual_access:  write_only
        .address_space:  global
        .offset:         24
        .size:           8
        .value_kind:     global_buffer
      - .actual_access:  write_only
        .address_space:  global
        .offset:         32
        .size:           8
        .value_kind:     global_buffer
      - .actual_access:  read_only
        .address_space:  global
        .offset:         40
        .size:           8
        .value_kind:     global_buffer
      - .actual_access:  read_only
        .address_space:  global
        .offset:         48
        .size:           8
        .value_kind:     global_buffer
      - .actual_access:  read_only
        .address_space:  global
        .offset:         56
        .size:           8
        .value_kind:     global_buffer
      - .actual_access:  read_only
        .address_space:  global
        .offset:         64
        .size:           8
        .value_kind:     global_buffer
      - .actual_access:  read_only
        .address_space:  global
        .offset:         72
        .size:           8
        .value_kind:     global_buffer
      - .offset:         80
        .size:           4
        .value_kind:     by_value
      - .offset:         84
        .size:           4
        .value_kind:     by_value
      - .offset:         88
        .size:           4
        .value_kind:     by_value
      - .offset:         92
        .size:           4
        .value_kind:     by_value
      - .offset:         96
        .size:           4
        .value_kind:     by_value
      - .offset:         100
        .size:           4
        .value_kind:     by_value
      - .offset:         104
        .size:           4
        .value_kind:     by_value
      - .offset:         108
        .size:           4
        .value_kind:     by_value
      - .offset:         112
        .size:           4
        .value_kind:     by_value
      - .offset:         116
        .size:           4
        .value_kind:     by_value
      - .offset:         120
        .size:           4
        .value_kind:     by_value
      - .offset:         124
        .size:           4
        .value_kind:     by_value
      - .offset:         128
        .size:           4
        .value_kind:     by_value
      - .offset:         132
        .size:           4
        .value_kind:     by_value
      - .offset:         136
        .size:           4
        .value_kind:     by_value
      - .offset:         144
        .size:           4
        .value_kind:     hidden_block_count_x
      - .offset:         148
        .size:           4
        .value_kind:     hidden_block_count_y
      - .offset:         152
        .size:           4
        .value_kind:     hidden_block_count_z
      - .offset:         156
        .size:           2
        .value_kind:     hidden_group_size_x
      - .offset:         158
        .size:           2
        .value_kind:     hidden_group_size_y
      - .offset:         160
        .size:           2
        .value_kind:     hidden_group_size_z
      - .offset:         162
        .size:           2
        .value_kind:     hidden_remainder_x
      - .offset:         164
        .size:           2
        .value_kind:     hidden_remainder_y
      - .offset:         166
        .size:           2
        .value_kind:     hidden_remainder_z
      - .offset:         184
        .size:           8
        .value_kind:     hidden_global_offset_x
      - .offset:         192
        .size:           8
        .value_kind:     hidden_global_offset_y
      - .offset:         200
        .size:           8
        .value_kind:     hidden_global_offset_z
      - .offset:         208
        .size:           2
        .value_kind:     hidden_grid_dims
    .group_segment_fixed_size: 16
    .kernarg_segment_align: 8
    .kernarg_segment_size: 400
    .language:       OpenCL C
    .language_version:
      - 2
      - 0
    .max_flat_workgroup_size: 1024
    .name:           _ZN5aiter35fused_qk_rmsnorm_group_quant_kernelIDF16_DB8_Li128ELi16ELi4ELb1ELb1ELb1ELb1ELb0ELb0EEEvPT0_PvPT_S6_S6_PKS5_S8_S8_S8_S8_ffiiiiiiiiiiiii
    .private_segment_fixed_size: 0
    .sgpr_count:     36
    .sgpr_spill_count: 0
    .symbol:         _ZN5aiter35fused_qk_rmsnorm_group_quant_kernelIDF16_DB8_Li128ELi16ELi4ELb1ELb1ELb1ELb1ELb0ELb0EEEvPT0_PvPT_S6_S6_PKS5_S8_S8_S8_S8_ffiiiiiiiiiiiii.kd
    .uniform_work_group_size: 1
    .uses_dynamic_stack: false
    .vgpr_count:     49
    .vgpr_spill_count: 0
    .wavefront_size: 64
  - .agpr_count:     0
    .args:
      - .actual_access:  read_only
        .address_space:  global
        .offset:         0
        .size:           8
        .value_kind:     global_buffer
      - .actual_access:  read_only
        .address_space:  global
        .offset:         8
        .size:           8
        .value_kind:     global_buffer
      - .actual_access:  write_only
        .address_space:  global
        .offset:         16
        .size:           8
        .value_kind:     global_buffer
      - .actual_access:  write_only
        .address_space:  global
        .offset:         24
        .size:           8
        .value_kind:     global_buffer
      - .actual_access:  write_only
        .address_space:  global
        .offset:         32
        .size:           8
        .value_kind:     global_buffer
      - .actual_access:  read_only
        .address_space:  global
        .offset:         40
        .size:           8
        .value_kind:     global_buffer
      - .actual_access:  read_only
        .address_space:  global
        .offset:         48
        .size:           8
        .value_kind:     global_buffer
      - .actual_access:  read_only
        .address_space:  global
        .offset:         56
        .size:           8
        .value_kind:     global_buffer
      - .actual_access:  read_only
        .address_space:  global
        .offset:         64
        .size:           8
        .value_kind:     global_buffer
      - .actual_access:  read_only
        .address_space:  global
        .offset:         72
        .size:           8
        .value_kind:     global_buffer
      - .offset:         80
        .size:           4
        .value_kind:     by_value
      - .offset:         84
        .size:           4
        .value_kind:     by_value
      - .offset:         88
        .size:           4
        .value_kind:     by_value
      - .offset:         92
        .size:           4
        .value_kind:     by_value
      - .offset:         96
        .size:           4
        .value_kind:     by_value
      - .offset:         100
        .size:           4
        .value_kind:     by_value
      - .offset:         104
        .size:           4
        .value_kind:     by_value
      - .offset:         108
        .size:           4
        .value_kind:     by_value
      - .offset:         112
        .size:           4
        .value_kind:     by_value
      - .offset:         116
        .size:           4
        .value_kind:     by_value
      - .offset:         120
        .size:           4
        .value_kind:     by_value
      - .offset:         124
        .size:           4
        .value_kind:     by_value
      - .offset:         128
        .size:           4
        .value_kind:     by_value
      - .offset:         132
        .size:           4
        .value_kind:     by_value
      - .offset:         136
        .size:           4
        .value_kind:     by_value
      - .offset:         144
        .size:           4
        .value_kind:     hidden_block_count_x
      - .offset:         148
        .size:           4
        .value_kind:     hidden_block_count_y
      - .offset:         152
        .size:           4
        .value_kind:     hidden_block_count_z
      - .offset:         156
        .size:           2
        .value_kind:     hidden_group_size_x
      - .offset:         158
        .size:           2
        .value_kind:     hidden_group_size_y
      - .offset:         160
        .size:           2
        .value_kind:     hidden_group_size_z
      - .offset:         162
        .size:           2
        .value_kind:     hidden_remainder_x
      - .offset:         164
        .size:           2
        .value_kind:     hidden_remainder_y
      - .offset:         166
        .size:           2
        .value_kind:     hidden_remainder_z
      - .offset:         184
        .size:           8
        .value_kind:     hidden_global_offset_x
      - .offset:         192
        .size:           8
        .value_kind:     hidden_global_offset_y
      - .offset:         200
        .size:           8
        .value_kind:     hidden_global_offset_z
      - .offset:         208
        .size:           2
        .value_kind:     hidden_grid_dims
    .group_segment_fixed_size: 16
    .kernarg_segment_align: 8
    .kernarg_segment_size: 400
    .language:       OpenCL C
    .language_version:
      - 2
      - 0
    .max_flat_workgroup_size: 1024
    .name:           _ZN5aiter35fused_qk_rmsnorm_group_quant_kernelItDB8_Li128ELi16ELi4ELb1ELb1ELb1ELb1ELb0ELb0EEEvPT0_PvPT_S6_S6_PKS5_S8_S8_S8_S8_ffiiiiiiiiiiiii
    .private_segment_fixed_size: 0
    .sgpr_count:     36
    .sgpr_spill_count: 0
    .symbol:         _ZN5aiter35fused_qk_rmsnorm_group_quant_kernelItDB8_Li128ELi16ELi4ELb1ELb1ELb1ELb1ELb0ELb0EEEvPT0_PvPT_S6_S6_PKS5_S8_S8_S8_S8_ffiiiiiiiiiiiii.kd
    .uniform_work_group_size: 1
    .uses_dynamic_stack: false
    .vgpr_count:     76
    .vgpr_spill_count: 0
    .wavefront_size: 64
  - .agpr_count:     0
    .args:
      - .actual_access:  read_only
        .address_space:  global
        .offset:         0
        .size:           8
        .value_kind:     global_buffer
      - .actual_access:  read_only
        .address_space:  global
        .offset:         8
        .size:           8
        .value_kind:     global_buffer
      - .actual_access:  write_only
        .address_space:  global
        .offset:         16
        .size:           8
        .value_kind:     global_buffer
      - .actual_access:  write_only
        .address_space:  global
        .offset:         24
        .size:           8
        .value_kind:     global_buffer
      - .actual_access:  write_only
        .address_space:  global
        .offset:         32
        .size:           8
        .value_kind:     global_buffer
      - .actual_access:  read_only
        .address_space:  global
        .offset:         40
        .size:           8
        .value_kind:     global_buffer
      - .actual_access:  read_only
        .address_space:  global
        .offset:         48
        .size:           8
        .value_kind:     global_buffer
      - .actual_access:  read_only
        .address_space:  global
        .offset:         56
        .size:           8
        .value_kind:     global_buffer
      - .actual_access:  read_only
        .address_space:  global
        .offset:         64
        .size:           8
        .value_kind:     global_buffer
      - .actual_access:  read_only
        .address_space:  global
        .offset:         72
        .size:           8
        .value_kind:     global_buffer
      - .offset:         80
        .size:           4
        .value_kind:     by_value
      - .offset:         84
        .size:           4
        .value_kind:     by_value
      - .offset:         88
        .size:           4
        .value_kind:     by_value
      - .offset:         92
        .size:           4
        .value_kind:     by_value
      - .offset:         96
        .size:           4
        .value_kind:     by_value
      - .offset:         100
        .size:           4
        .value_kind:     by_value
      - .offset:         104
        .size:           4
        .value_kind:     by_value
      - .offset:         108
        .size:           4
        .value_kind:     by_value
      - .offset:         112
        .size:           4
        .value_kind:     by_value
      - .offset:         116
        .size:           4
        .value_kind:     by_value
      - .offset:         120
        .size:           4
        .value_kind:     by_value
      - .offset:         124
        .size:           4
        .value_kind:     by_value
      - .offset:         128
        .size:           4
        .value_kind:     by_value
      - .offset:         132
        .size:           4
        .value_kind:     by_value
      - .offset:         136
        .size:           4
        .value_kind:     by_value
      - .offset:         144
        .size:           4
        .value_kind:     hidden_block_count_x
      - .offset:         148
        .size:           4
        .value_kind:     hidden_block_count_y
      - .offset:         152
        .size:           4
        .value_kind:     hidden_block_count_z
      - .offset:         156
        .size:           2
        .value_kind:     hidden_group_size_x
      - .offset:         158
        .size:           2
        .value_kind:     hidden_group_size_y
      - .offset:         160
        .size:           2
        .value_kind:     hidden_group_size_z
      - .offset:         162
        .size:           2
        .value_kind:     hidden_remainder_x
      - .offset:         164
        .size:           2
        .value_kind:     hidden_remainder_y
      - .offset:         166
        .size:           2
        .value_kind:     hidden_remainder_z
      - .offset:         184
        .size:           8
        .value_kind:     hidden_global_offset_x
      - .offset:         192
        .size:           8
        .value_kind:     hidden_global_offset_y
      - .offset:         200
        .size:           8
        .value_kind:     hidden_global_offset_z
      - .offset:         208
        .size:           2
        .value_kind:     hidden_grid_dims
    .group_segment_fixed_size: 16
    .kernarg_segment_align: 8
    .kernarg_segment_size: 400
    .language:       OpenCL C
    .language_version:
      - 2
      - 0
    .max_flat_workgroup_size: 1024
    .name:           _ZN5aiter35fused_qk_rmsnorm_group_quant_kernelIDF16_N4opus5fp4_tELi128ELi16ELi4ELb1ELb1ELb1ELb1ELb0ELb0EEEvPT0_PvPT_S7_S7_PKS6_S9_S9_S9_S9_ffiiiiiiiiiiiii
    .private_segment_fixed_size: 0
    .sgpr_count:     36
    .sgpr_spill_count: 0
    .symbol:         _ZN5aiter35fused_qk_rmsnorm_group_quant_kernelIDF16_N4opus5fp4_tELi128ELi16ELi4ELb1ELb1ELb1ELb1ELb0ELb0EEEvPT0_PvPT_S7_S7_PKS6_S9_S9_S9_S9_ffiiiiiiiiiiiii.kd
    .uniform_work_group_size: 1
    .uses_dynamic_stack: false
    .vgpr_count:     49
    .vgpr_spill_count: 0
    .wavefront_size: 64
  - .agpr_count:     0
    .args:
      - .actual_access:  read_only
        .address_space:  global
        .offset:         0
        .size:           8
        .value_kind:     global_buffer
      - .actual_access:  read_only
        .address_space:  global
        .offset:         8
        .size:           8
        .value_kind:     global_buffer
      - .actual_access:  write_only
        .address_space:  global
        .offset:         16
        .size:           8
        .value_kind:     global_buffer
      - .actual_access:  write_only
        .address_space:  global
        .offset:         24
        .size:           8
        .value_kind:     global_buffer
      - .actual_access:  write_only
        .address_space:  global
        .offset:         32
        .size:           8
        .value_kind:     global_buffer
      - .actual_access:  read_only
        .address_space:  global
        .offset:         40
        .size:           8
        .value_kind:     global_buffer
      - .actual_access:  read_only
        .address_space:  global
        .offset:         48
        .size:           8
        .value_kind:     global_buffer
      - .actual_access:  read_only
        .address_space:  global
        .offset:         56
        .size:           8
        .value_kind:     global_buffer
      - .actual_access:  read_only
        .address_space:  global
        .offset:         64
        .size:           8
        .value_kind:     global_buffer
      - .actual_access:  read_only
        .address_space:  global
        .offset:         72
        .size:           8
        .value_kind:     global_buffer
      - .offset:         80
        .size:           4
        .value_kind:     by_value
      - .offset:         84
        .size:           4
        .value_kind:     by_value
      - .offset:         88
        .size:           4
        .value_kind:     by_value
      - .offset:         92
        .size:           4
        .value_kind:     by_value
      - .offset:         96
        .size:           4
        .value_kind:     by_value
      - .offset:         100
        .size:           4
        .value_kind:     by_value
      - .offset:         104
        .size:           4
        .value_kind:     by_value
      - .offset:         108
        .size:           4
        .value_kind:     by_value
      - .offset:         112
        .size:           4
        .value_kind:     by_value
      - .offset:         116
        .size:           4
        .value_kind:     by_value
      - .offset:         120
        .size:           4
        .value_kind:     by_value
      - .offset:         124
        .size:           4
        .value_kind:     by_value
      - .offset:         128
        .size:           4
        .value_kind:     by_value
      - .offset:         132
        .size:           4
        .value_kind:     by_value
      - .offset:         136
        .size:           4
        .value_kind:     by_value
      - .offset:         144
        .size:           4
        .value_kind:     hidden_block_count_x
      - .offset:         148
        .size:           4
        .value_kind:     hidden_block_count_y
      - .offset:         152
        .size:           4
        .value_kind:     hidden_block_count_z
      - .offset:         156
        .size:           2
        .value_kind:     hidden_group_size_x
      - .offset:         158
        .size:           2
        .value_kind:     hidden_group_size_y
      - .offset:         160
        .size:           2
        .value_kind:     hidden_group_size_z
      - .offset:         162
        .size:           2
        .value_kind:     hidden_remainder_x
      - .offset:         164
        .size:           2
        .value_kind:     hidden_remainder_y
      - .offset:         166
        .size:           2
        .value_kind:     hidden_remainder_z
      - .offset:         184
        .size:           8
        .value_kind:     hidden_global_offset_x
      - .offset:         192
        .size:           8
        .value_kind:     hidden_global_offset_y
      - .offset:         200
        .size:           8
        .value_kind:     hidden_global_offset_z
      - .offset:         208
        .size:           2
        .value_kind:     hidden_grid_dims
    .group_segment_fixed_size: 16
    .kernarg_segment_align: 8
    .kernarg_segment_size: 400
    .language:       OpenCL C
    .language_version:
      - 2
      - 0
    .max_flat_workgroup_size: 1024
    .name:           _ZN5aiter35fused_qk_rmsnorm_group_quant_kernelItN4opus5fp4_tELi128ELi16ELi4ELb1ELb1ELb1ELb1ELb0ELb0EEEvPT0_PvPT_S7_S7_PKS6_S9_S9_S9_S9_ffiiiiiiiiiiiii
    .private_segment_fixed_size: 0
    .sgpr_count:     36
    .sgpr_spill_count: 0
    .symbol:         _ZN5aiter35fused_qk_rmsnorm_group_quant_kernelItN4opus5fp4_tELi128ELi16ELi4ELb1ELb1ELb1ELb1ELb0ELb0EEEvPT0_PvPT_S7_S7_PKS6_S9_S9_S9_S9_ffiiiiiiiiiiiii.kd
    .uniform_work_group_size: 1
    .uses_dynamic_stack: false
    .vgpr_count:     76
    .vgpr_spill_count: 0
    .wavefront_size: 64
  - .agpr_count:     0
    .args:
      - .actual_access:  read_only
        .address_space:  global
        .offset:         0
        .size:           8
        .value_kind:     global_buffer
      - .actual_access:  read_only
        .address_space:  global
        .offset:         8
        .size:           8
        .value_kind:     global_buffer
      - .actual_access:  write_only
        .address_space:  global
        .offset:         16
        .size:           8
        .value_kind:     global_buffer
      - .actual_access:  write_only
        .address_space:  global
        .offset:         24
        .size:           8
        .value_kind:     global_buffer
      - .actual_access:  write_only
        .address_space:  global
        .offset:         32
        .size:           8
        .value_kind:     global_buffer
      - .actual_access:  read_only
        .address_space:  global
        .offset:         40
        .size:           8
        .value_kind:     global_buffer
      - .actual_access:  read_only
        .address_space:  global
        .offset:         48
        .size:           8
        .value_kind:     global_buffer
      - .actual_access:  read_only
        .address_space:  global
        .offset:         56
        .size:           8
        .value_kind:     global_buffer
      - .actual_access:  read_only
        .address_space:  global
        .offset:         64
        .size:           8
        .value_kind:     global_buffer
      - .actual_access:  read_only
        .address_space:  global
        .offset:         72
        .size:           8
        .value_kind:     global_buffer
      - .offset:         80
        .size:           4
        .value_kind:     by_value
      - .offset:         84
        .size:           4
        .value_kind:     by_value
      - .offset:         88
        .size:           4
        .value_kind:     by_value
      - .offset:         92
        .size:           4
        .value_kind:     by_value
      - .offset:         96
        .size:           4
        .value_kind:     by_value
      - .offset:         100
        .size:           4
        .value_kind:     by_value
      - .offset:         104
        .size:           4
        .value_kind:     by_value
      - .offset:         108
        .size:           4
        .value_kind:     by_value
      - .offset:         112
        .size:           4
        .value_kind:     by_value
      - .offset:         116
        .size:           4
        .value_kind:     by_value
      - .offset:         120
        .size:           4
        .value_kind:     by_value
      - .offset:         124
        .size:           4
        .value_kind:     by_value
      - .offset:         128
        .size:           4
        .value_kind:     by_value
      - .offset:         132
        .size:           4
        .value_kind:     by_value
      - .offset:         136
        .size:           4
        .value_kind:     by_value
      - .offset:         144
        .size:           4
        .value_kind:     hidden_block_count_x
      - .offset:         148
        .size:           4
        .value_kind:     hidden_block_count_y
      - .offset:         152
        .size:           4
        .value_kind:     hidden_block_count_z
      - .offset:         156
        .size:           2
        .value_kind:     hidden_group_size_x
      - .offset:         158
        .size:           2
        .value_kind:     hidden_group_size_y
      - .offset:         160
        .size:           2
        .value_kind:     hidden_group_size_z
      - .offset:         162
        .size:           2
        .value_kind:     hidden_remainder_x
      - .offset:         164
        .size:           2
        .value_kind:     hidden_remainder_y
      - .offset:         166
        .size:           2
        .value_kind:     hidden_remainder_z
      - .offset:         184
        .size:           8
        .value_kind:     hidden_global_offset_x
      - .offset:         192
        .size:           8
        .value_kind:     hidden_global_offset_y
      - .offset:         200
        .size:           8
        .value_kind:     hidden_global_offset_z
      - .offset:         208
        .size:           2
        .value_kind:     hidden_grid_dims
    .group_segment_fixed_size: 16
    .kernarg_segment_align: 8
    .kernarg_segment_size: 400
    .language:       OpenCL C
    .language_version:
      - 2
      - 0
    .max_flat_workgroup_size: 1024
    .name:           _ZN5aiter35fused_qk_rmsnorm_group_quant_kernelIDF16_DB8_Li128ELi16ELi4ELb1ELb1ELb0ELb1ELb0ELb0EEEvPT0_PvPT_S6_S6_PKS5_S8_S8_S8_S8_ffiiiiiiiiiiiii
    .private_segment_fixed_size: 0
    .sgpr_count:     36
    .sgpr_spill_count: 0
    .symbol:         _ZN5aiter35fused_qk_rmsnorm_group_quant_kernelIDF16_DB8_Li128ELi16ELi4ELb1ELb1ELb0ELb1ELb0ELb0EEEvPT0_PvPT_S6_S6_PKS5_S8_S8_S8_S8_ffiiiiiiiiiiiii.kd
    .uniform_work_group_size: 1
    .uses_dynamic_stack: false
    .vgpr_count:     49
    .vgpr_spill_count: 0
    .wavefront_size: 64
  - .agpr_count:     0
    .args:
      - .actual_access:  read_only
        .address_space:  global
        .offset:         0
        .size:           8
        .value_kind:     global_buffer
      - .actual_access:  read_only
        .address_space:  global
        .offset:         8
        .size:           8
        .value_kind:     global_buffer
      - .actual_access:  write_only
        .address_space:  global
        .offset:         16
        .size:           8
        .value_kind:     global_buffer
      - .actual_access:  write_only
        .address_space:  global
        .offset:         24
        .size:           8
        .value_kind:     global_buffer
      - .actual_access:  write_only
        .address_space:  global
        .offset:         32
        .size:           8
        .value_kind:     global_buffer
      - .actual_access:  read_only
        .address_space:  global
        .offset:         40
        .size:           8
        .value_kind:     global_buffer
      - .actual_access:  read_only
        .address_space:  global
        .offset:         48
        .size:           8
        .value_kind:     global_buffer
      - .actual_access:  read_only
        .address_space:  global
        .offset:         56
        .size:           8
        .value_kind:     global_buffer
      - .actual_access:  read_only
        .address_space:  global
        .offset:         64
        .size:           8
        .value_kind:     global_buffer
      - .actual_access:  read_only
        .address_space:  global
        .offset:         72
        .size:           8
        .value_kind:     global_buffer
      - .offset:         80
        .size:           4
        .value_kind:     by_value
      - .offset:         84
        .size:           4
        .value_kind:     by_value
      - .offset:         88
        .size:           4
        .value_kind:     by_value
      - .offset:         92
        .size:           4
        .value_kind:     by_value
      - .offset:         96
        .size:           4
        .value_kind:     by_value
      - .offset:         100
        .size:           4
        .value_kind:     by_value
      - .offset:         104
        .size:           4
        .value_kind:     by_value
      - .offset:         108
        .size:           4
        .value_kind:     by_value
      - .offset:         112
        .size:           4
        .value_kind:     by_value
      - .offset:         116
        .size:           4
        .value_kind:     by_value
      - .offset:         120
        .size:           4
        .value_kind:     by_value
      - .offset:         124
        .size:           4
        .value_kind:     by_value
      - .offset:         128
        .size:           4
        .value_kind:     by_value
      - .offset:         132
        .size:           4
        .value_kind:     by_value
      - .offset:         136
        .size:           4
        .value_kind:     by_value
      - .offset:         144
        .size:           4
        .value_kind:     hidden_block_count_x
      - .offset:         148
        .size:           4
        .value_kind:     hidden_block_count_y
      - .offset:         152
        .size:           4
        .value_kind:     hidden_block_count_z
      - .offset:         156
        .size:           2
        .value_kind:     hidden_group_size_x
      - .offset:         158
        .size:           2
        .value_kind:     hidden_group_size_y
      - .offset:         160
        .size:           2
        .value_kind:     hidden_group_size_z
      - .offset:         162
        .size:           2
        .value_kind:     hidden_remainder_x
      - .offset:         164
        .size:           2
        .value_kind:     hidden_remainder_y
      - .offset:         166
        .size:           2
        .value_kind:     hidden_remainder_z
      - .offset:         184
        .size:           8
        .value_kind:     hidden_global_offset_x
      - .offset:         192
        .size:           8
        .value_kind:     hidden_global_offset_y
      - .offset:         200
        .size:           8
        .value_kind:     hidden_global_offset_z
      - .offset:         208
        .size:           2
        .value_kind:     hidden_grid_dims
    .group_segment_fixed_size: 16
    .kernarg_segment_align: 8
    .kernarg_segment_size: 400
    .language:       OpenCL C
    .language_version:
      - 2
      - 0
    .max_flat_workgroup_size: 1024
    .name:           _ZN5aiter35fused_qk_rmsnorm_group_quant_kernelItDB8_Li128ELi16ELi4ELb1ELb1ELb0ELb1ELb0ELb0EEEvPT0_PvPT_S6_S6_PKS5_S8_S8_S8_S8_ffiiiiiiiiiiiii
    .private_segment_fixed_size: 0
    .sgpr_count:     36
    .sgpr_spill_count: 0
    .symbol:         _ZN5aiter35fused_qk_rmsnorm_group_quant_kernelItDB8_Li128ELi16ELi4ELb1ELb1ELb0ELb1ELb0ELb0EEEvPT0_PvPT_S6_S6_PKS5_S8_S8_S8_S8_ffiiiiiiiiiiiii.kd
    .uniform_work_group_size: 1
    .uses_dynamic_stack: false
    .vgpr_count:     90
    .vgpr_spill_count: 0
    .wavefront_size: 64
  - .agpr_count:     0
    .args:
      - .actual_access:  read_only
        .address_space:  global
        .offset:         0
        .size:           8
        .value_kind:     global_buffer
      - .actual_access:  read_only
        .address_space:  global
        .offset:         8
        .size:           8
        .value_kind:     global_buffer
      - .actual_access:  write_only
        .address_space:  global
        .offset:         16
        .size:           8
        .value_kind:     global_buffer
      - .actual_access:  write_only
        .address_space:  global
        .offset:         24
        .size:           8
        .value_kind:     global_buffer
      - .actual_access:  write_only
        .address_space:  global
        .offset:         32
        .size:           8
        .value_kind:     global_buffer
      - .actual_access:  read_only
        .address_space:  global
        .offset:         40
        .size:           8
        .value_kind:     global_buffer
      - .actual_access:  read_only
        .address_space:  global
        .offset:         48
        .size:           8
        .value_kind:     global_buffer
      - .actual_access:  read_only
        .address_space:  global
        .offset:         56
        .size:           8
        .value_kind:     global_buffer
      - .actual_access:  read_only
        .address_space:  global
        .offset:         64
        .size:           8
        .value_kind:     global_buffer
      - .actual_access:  read_only
        .address_space:  global
        .offset:         72
        .size:           8
        .value_kind:     global_buffer
      - .offset:         80
        .size:           4
        .value_kind:     by_value
      - .offset:         84
        .size:           4
        .value_kind:     by_value
      - .offset:         88
        .size:           4
        .value_kind:     by_value
      - .offset:         92
        .size:           4
        .value_kind:     by_value
      - .offset:         96
        .size:           4
        .value_kind:     by_value
      - .offset:         100
        .size:           4
        .value_kind:     by_value
      - .offset:         104
        .size:           4
        .value_kind:     by_value
      - .offset:         108
        .size:           4
        .value_kind:     by_value
      - .offset:         112
        .size:           4
        .value_kind:     by_value
      - .offset:         116
        .size:           4
        .value_kind:     by_value
      - .offset:         120
        .size:           4
        .value_kind:     by_value
      - .offset:         124
        .size:           4
        .value_kind:     by_value
      - .offset:         128
        .size:           4
        .value_kind:     by_value
      - .offset:         132
        .size:           4
        .value_kind:     by_value
      - .offset:         136
        .size:           4
        .value_kind:     by_value
      - .offset:         144
        .size:           4
        .value_kind:     hidden_block_count_x
      - .offset:         148
        .size:           4
        .value_kind:     hidden_block_count_y
      - .offset:         152
        .size:           4
        .value_kind:     hidden_block_count_z
      - .offset:         156
        .size:           2
        .value_kind:     hidden_group_size_x
      - .offset:         158
        .size:           2
        .value_kind:     hidden_group_size_y
      - .offset:         160
        .size:           2
        .value_kind:     hidden_group_size_z
      - .offset:         162
        .size:           2
        .value_kind:     hidden_remainder_x
      - .offset:         164
        .size:           2
        .value_kind:     hidden_remainder_y
      - .offset:         166
        .size:           2
        .value_kind:     hidden_remainder_z
      - .offset:         184
        .size:           8
        .value_kind:     hidden_global_offset_x
      - .offset:         192
        .size:           8
        .value_kind:     hidden_global_offset_y
      - .offset:         200
        .size:           8
        .value_kind:     hidden_global_offset_z
      - .offset:         208
        .size:           2
        .value_kind:     hidden_grid_dims
    .group_segment_fixed_size: 16
    .kernarg_segment_align: 8
    .kernarg_segment_size: 400
    .language:       OpenCL C
    .language_version:
      - 2
      - 0
    .max_flat_workgroup_size: 1024
    .name:           _ZN5aiter35fused_qk_rmsnorm_group_quant_kernelIDF16_N4opus5fp4_tELi128ELi16ELi4ELb1ELb1ELb0ELb1ELb0ELb0EEEvPT0_PvPT_S7_S7_PKS6_S9_S9_S9_S9_ffiiiiiiiiiiiii
    .private_segment_fixed_size: 0
    .sgpr_count:     36
    .sgpr_spill_count: 0
    .symbol:         _ZN5aiter35fused_qk_rmsnorm_group_quant_kernelIDF16_N4opus5fp4_tELi128ELi16ELi4ELb1ELb1ELb0ELb1ELb0ELb0EEEvPT0_PvPT_S7_S7_PKS6_S9_S9_S9_S9_ffiiiiiiiiiiiii.kd
    .uniform_work_group_size: 1
    .uses_dynamic_stack: false
    .vgpr_count:     49
    .vgpr_spill_count: 0
    .wavefront_size: 64
  - .agpr_count:     0
    .args:
      - .actual_access:  read_only
        .address_space:  global
        .offset:         0
        .size:           8
        .value_kind:     global_buffer
      - .actual_access:  read_only
        .address_space:  global
        .offset:         8
        .size:           8
        .value_kind:     global_buffer
      - .actual_access:  write_only
        .address_space:  global
        .offset:         16
        .size:           8
        .value_kind:     global_buffer
      - .actual_access:  write_only
        .address_space:  global
        .offset:         24
        .size:           8
        .value_kind:     global_buffer
      - .actual_access:  write_only
        .address_space:  global
        .offset:         32
        .size:           8
        .value_kind:     global_buffer
      - .actual_access:  read_only
        .address_space:  global
        .offset:         40
        .size:           8
        .value_kind:     global_buffer
      - .actual_access:  read_only
        .address_space:  global
        .offset:         48
        .size:           8
        .value_kind:     global_buffer
      - .actual_access:  read_only
        .address_space:  global
        .offset:         56
        .size:           8
        .value_kind:     global_buffer
      - .actual_access:  read_only
        .address_space:  global
        .offset:         64
        .size:           8
        .value_kind:     global_buffer
      - .actual_access:  read_only
        .address_space:  global
        .offset:         72
        .size:           8
        .value_kind:     global_buffer
      - .offset:         80
        .size:           4
        .value_kind:     by_value
      - .offset:         84
        .size:           4
        .value_kind:     by_value
      - .offset:         88
        .size:           4
        .value_kind:     by_value
      - .offset:         92
        .size:           4
        .value_kind:     by_value
      - .offset:         96
        .size:           4
        .value_kind:     by_value
      - .offset:         100
        .size:           4
        .value_kind:     by_value
      - .offset:         104
        .size:           4
        .value_kind:     by_value
      - .offset:         108
        .size:           4
        .value_kind:     by_value
      - .offset:         112
        .size:           4
        .value_kind:     by_value
      - .offset:         116
        .size:           4
        .value_kind:     by_value
      - .offset:         120
        .size:           4
        .value_kind:     by_value
      - .offset:         124
        .size:           4
        .value_kind:     by_value
      - .offset:         128
        .size:           4
        .value_kind:     by_value
      - .offset:         132
        .size:           4
        .value_kind:     by_value
      - .offset:         136
        .size:           4
        .value_kind:     by_value
      - .offset:         144
        .size:           4
        .value_kind:     hidden_block_count_x
      - .offset:         148
        .size:           4
        .value_kind:     hidden_block_count_y
      - .offset:         152
        .size:           4
        .value_kind:     hidden_block_count_z
      - .offset:         156
        .size:           2
        .value_kind:     hidden_group_size_x
      - .offset:         158
        .size:           2
        .value_kind:     hidden_group_size_y
      - .offset:         160
        .size:           2
        .value_kind:     hidden_group_size_z
      - .offset:         162
        .size:           2
        .value_kind:     hidden_remainder_x
      - .offset:         164
        .size:           2
        .value_kind:     hidden_remainder_y
      - .offset:         166
        .size:           2
        .value_kind:     hidden_remainder_z
      - .offset:         184
        .size:           8
        .value_kind:     hidden_global_offset_x
      - .offset:         192
        .size:           8
        .value_kind:     hidden_global_offset_y
      - .offset:         200
        .size:           8
        .value_kind:     hidden_global_offset_z
      - .offset:         208
        .size:           2
        .value_kind:     hidden_grid_dims
    .group_segment_fixed_size: 16
    .kernarg_segment_align: 8
    .kernarg_segment_size: 400
    .language:       OpenCL C
    .language_version:
      - 2
      - 0
    .max_flat_workgroup_size: 1024
    .name:           _ZN5aiter35fused_qk_rmsnorm_group_quant_kernelItN4opus5fp4_tELi128ELi16ELi4ELb1ELb1ELb0ELb1ELb0ELb0EEEvPT0_PvPT_S7_S7_PKS6_S9_S9_S9_S9_ffiiiiiiiiiiiii
    .private_segment_fixed_size: 0
    .sgpr_count:     36
    .sgpr_spill_count: 0
    .symbol:         _ZN5aiter35fused_qk_rmsnorm_group_quant_kernelItN4opus5fp4_tELi128ELi16ELi4ELb1ELb1ELb0ELb1ELb0ELb0EEEvPT0_PvPT_S7_S7_PKS6_S9_S9_S9_S9_ffiiiiiiiiiiiii.kd
    .uniform_work_group_size: 1
    .uses_dynamic_stack: false
    .vgpr_count:     90
    .vgpr_spill_count: 0
    .wavefront_size: 64
  - .agpr_count:     0
    .args:
      - .actual_access:  read_only
        .address_space:  global
        .offset:         0
        .size:           8
        .value_kind:     global_buffer
      - .actual_access:  read_only
        .address_space:  global
        .offset:         8
        .size:           8
        .value_kind:     global_buffer
      - .actual_access:  write_only
        .address_space:  global
        .offset:         16
        .size:           8
        .value_kind:     global_buffer
      - .actual_access:  write_only
        .address_space:  global
        .offset:         24
        .size:           8
        .value_kind:     global_buffer
      - .actual_access:  read_only
        .address_space:  global
        .offset:         32
        .size:           8
        .value_kind:     global_buffer
      - .actual_access:  read_only
        .address_space:  global
        .offset:         40
        .size:           8
        .value_kind:     global_buffer
      - .actual_access:  read_only
        .address_space:  global
        .offset:         48
        .size:           8
        .value_kind:     global_buffer
      - .actual_access:  read_only
        .address_space:  global
        .offset:         56
        .size:           8
        .value_kind:     global_buffer
      - .actual_access:  read_only
        .address_space:  global
        .offset:         64
        .size:           8
        .value_kind:     global_buffer
      - .actual_access:  read_only
        .address_space:  global
        .offset:         72
        .size:           8
        .value_kind:     global_buffer
      - .offset:         80
        .size:           4
        .value_kind:     by_value
      - .offset:         84
        .size:           4
        .value_kind:     by_value
      - .offset:         88
        .size:           4
        .value_kind:     by_value
      - .offset:         92
        .size:           4
        .value_kind:     by_value
      - .offset:         96
        .size:           4
        .value_kind:     by_value
      - .offset:         100
        .size:           4
        .value_kind:     by_value
      - .offset:         104
        .size:           4
        .value_kind:     by_value
      - .offset:         108
        .size:           4
        .value_kind:     by_value
      - .offset:         112
        .size:           4
        .value_kind:     by_value
      - .offset:         116
        .size:           4
        .value_kind:     by_value
      - .offset:         120
        .size:           4
        .value_kind:     by_value
      - .offset:         124
        .size:           4
        .value_kind:     by_value
      - .offset:         128
        .size:           4
        .value_kind:     by_value
      - .offset:         132
        .size:           4
        .value_kind:     by_value
      - .offset:         136
        .size:           4
        .value_kind:     by_value
      - .offset:         144
        .size:           4
        .value_kind:     hidden_block_count_x
      - .offset:         148
        .size:           4
        .value_kind:     hidden_block_count_y
      - .offset:         152
        .size:           4
        .value_kind:     hidden_block_count_z
      - .offset:         156
        .size:           2
        .value_kind:     hidden_group_size_x
      - .offset:         158
        .size:           2
        .value_kind:     hidden_group_size_y
      - .offset:         160
        .size:           2
        .value_kind:     hidden_group_size_z
      - .offset:         162
        .size:           2
        .value_kind:     hidden_remainder_x
      - .offset:         164
        .size:           2
        .value_kind:     hidden_remainder_y
      - .offset:         166
        .size:           2
        .value_kind:     hidden_remainder_z
      - .offset:         184
        .size:           8
        .value_kind:     hidden_global_offset_x
      - .offset:         192
        .size:           8
        .value_kind:     hidden_global_offset_y
      - .offset:         200
        .size:           8
        .value_kind:     hidden_global_offset_z
      - .offset:         208
        .size:           2
        .value_kind:     hidden_grid_dims
    .group_segment_fixed_size: 16
    .kernarg_segment_align: 8
    .kernarg_segment_size: 400
    .language:       OpenCL C
    .language_version:
      - 2
      - 0
    .max_flat_workgroup_size: 1024
    .name:           _ZN5aiter35fused_qk_rmsnorm_group_quant_kernelIDF16_DB8_Li128ELi16ELi4ELb0ELb1ELb1ELb1ELb0ELb0EEEvPT0_PvPT_S6_S6_PKS5_S8_S8_S8_S8_ffiiiiiiiiiiiii
    .private_segment_fixed_size: 0
    .sgpr_count:     36
    .sgpr_spill_count: 0
    .symbol:         _ZN5aiter35fused_qk_rmsnorm_group_quant_kernelIDF16_DB8_Li128ELi16ELi4ELb0ELb1ELb1ELb1ELb0ELb0EEEvPT0_PvPT_S6_S6_PKS5_S8_S8_S8_S8_ffiiiiiiiiiiiii.kd
    .uniform_work_group_size: 1
    .uses_dynamic_stack: false
    .vgpr_count:     35
    .vgpr_spill_count: 0
    .wavefront_size: 64
  - .agpr_count:     0
    .args:
      - .actual_access:  read_only
        .address_space:  global
        .offset:         0
        .size:           8
        .value_kind:     global_buffer
      - .actual_access:  read_only
        .address_space:  global
        .offset:         8
        .size:           8
        .value_kind:     global_buffer
      - .actual_access:  write_only
        .address_space:  global
        .offset:         16
        .size:           8
        .value_kind:     global_buffer
      - .actual_access:  write_only
        .address_space:  global
        .offset:         24
        .size:           8
        .value_kind:     global_buffer
      - .actual_access:  read_only
        .address_space:  global
        .offset:         32
        .size:           8
        .value_kind:     global_buffer
      - .actual_access:  read_only
        .address_space:  global
        .offset:         40
        .size:           8
        .value_kind:     global_buffer
      - .actual_access:  read_only
        .address_space:  global
        .offset:         48
        .size:           8
        .value_kind:     global_buffer
      - .actual_access:  read_only
        .address_space:  global
        .offset:         56
        .size:           8
        .value_kind:     global_buffer
      - .actual_access:  read_only
        .address_space:  global
        .offset:         64
        .size:           8
        .value_kind:     global_buffer
      - .actual_access:  read_only
        .address_space:  global
        .offset:         72
        .size:           8
        .value_kind:     global_buffer
      - .offset:         80
        .size:           4
        .value_kind:     by_value
      - .offset:         84
        .size:           4
        .value_kind:     by_value
      - .offset:         88
        .size:           4
        .value_kind:     by_value
      - .offset:         92
        .size:           4
        .value_kind:     by_value
      - .offset:         96
        .size:           4
        .value_kind:     by_value
      - .offset:         100
        .size:           4
        .value_kind:     by_value
      - .offset:         104
        .size:           4
        .value_kind:     by_value
      - .offset:         108
        .size:           4
        .value_kind:     by_value
      - .offset:         112
        .size:           4
        .value_kind:     by_value
      - .offset:         116
        .size:           4
        .value_kind:     by_value
      - .offset:         120
        .size:           4
        .value_kind:     by_value
      - .offset:         124
        .size:           4
        .value_kind:     by_value
      - .offset:         128
        .size:           4
        .value_kind:     by_value
      - .offset:         132
        .size:           4
        .value_kind:     by_value
      - .offset:         136
        .size:           4
        .value_kind:     by_value
      - .offset:         144
        .size:           4
        .value_kind:     hidden_block_count_x
      - .offset:         148
        .size:           4
        .value_kind:     hidden_block_count_y
      - .offset:         152
        .size:           4
        .value_kind:     hidden_block_count_z
      - .offset:         156
        .size:           2
        .value_kind:     hidden_group_size_x
      - .offset:         158
        .size:           2
        .value_kind:     hidden_group_size_y
      - .offset:         160
        .size:           2
        .value_kind:     hidden_group_size_z
      - .offset:         162
        .size:           2
        .value_kind:     hidden_remainder_x
      - .offset:         164
        .size:           2
        .value_kind:     hidden_remainder_y
      - .offset:         166
        .size:           2
        .value_kind:     hidden_remainder_z
      - .offset:         184
        .size:           8
        .value_kind:     hidden_global_offset_x
      - .offset:         192
        .size:           8
        .value_kind:     hidden_global_offset_y
      - .offset:         200
        .size:           8
        .value_kind:     hidden_global_offset_z
      - .offset:         208
        .size:           2
        .value_kind:     hidden_grid_dims
    .group_segment_fixed_size: 16
    .kernarg_segment_align: 8
    .kernarg_segment_size: 400
    .language:       OpenCL C
    .language_version:
      - 2
      - 0
    .max_flat_workgroup_size: 1024
    .name:           _ZN5aiter35fused_qk_rmsnorm_group_quant_kernelItDB8_Li128ELi16ELi4ELb0ELb1ELb1ELb1ELb0ELb0EEEvPT0_PvPT_S6_S6_PKS5_S8_S8_S8_S8_ffiiiiiiiiiiiii
    .private_segment_fixed_size: 0
    .sgpr_count:     36
    .sgpr_spill_count: 0
    .symbol:         _ZN5aiter35fused_qk_rmsnorm_group_quant_kernelItDB8_Li128ELi16ELi4ELb0ELb1ELb1ELb1ELb0ELb0EEEvPT0_PvPT_S6_S6_PKS5_S8_S8_S8_S8_ffiiiiiiiiiiiii.kd
    .uniform_work_group_size: 1
    .uses_dynamic_stack: false
    .vgpr_count:     35
    .vgpr_spill_count: 0
    .wavefront_size: 64
  - .agpr_count:     0
    .args:
      - .actual_access:  read_only
        .address_space:  global
        .offset:         0
        .size:           8
        .value_kind:     global_buffer
      - .actual_access:  read_only
        .address_space:  global
        .offset:         8
        .size:           8
        .value_kind:     global_buffer
      - .actual_access:  write_only
        .address_space:  global
        .offset:         16
        .size:           8
        .value_kind:     global_buffer
      - .actual_access:  write_only
        .address_space:  global
        .offset:         24
        .size:           8
        .value_kind:     global_buffer
      - .actual_access:  read_only
        .address_space:  global
        .offset:         32
        .size:           8
        .value_kind:     global_buffer
      - .actual_access:  read_only
        .address_space:  global
        .offset:         40
        .size:           8
        .value_kind:     global_buffer
      - .actual_access:  read_only
        .address_space:  global
        .offset:         48
        .size:           8
        .value_kind:     global_buffer
      - .actual_access:  read_only
        .address_space:  global
        .offset:         56
        .size:           8
        .value_kind:     global_buffer
      - .actual_access:  read_only
        .address_space:  global
        .offset:         64
        .size:           8
        .value_kind:     global_buffer
      - .actual_access:  read_only
        .address_space:  global
        .offset:         72
        .size:           8
        .value_kind:     global_buffer
      - .offset:         80
        .size:           4
        .value_kind:     by_value
      - .offset:         84
        .size:           4
        .value_kind:     by_value
      - .offset:         88
        .size:           4
        .value_kind:     by_value
      - .offset:         92
        .size:           4
        .value_kind:     by_value
      - .offset:         96
        .size:           4
        .value_kind:     by_value
      - .offset:         100
        .size:           4
        .value_kind:     by_value
      - .offset:         104
        .size:           4
        .value_kind:     by_value
      - .offset:         108
        .size:           4
        .value_kind:     by_value
      - .offset:         112
        .size:           4
        .value_kind:     by_value
      - .offset:         116
        .size:           4
        .value_kind:     by_value
      - .offset:         120
        .size:           4
        .value_kind:     by_value
      - .offset:         124
        .size:           4
        .value_kind:     by_value
      - .offset:         128
        .size:           4
        .value_kind:     by_value
      - .offset:         132
        .size:           4
        .value_kind:     by_value
      - .offset:         136
        .size:           4
        .value_kind:     by_value
      - .offset:         144
        .size:           4
        .value_kind:     hidden_block_count_x
      - .offset:         148
        .size:           4
        .value_kind:     hidden_block_count_y
      - .offset:         152
        .size:           4
        .value_kind:     hidden_block_count_z
      - .offset:         156
        .size:           2
        .value_kind:     hidden_group_size_x
      - .offset:         158
        .size:           2
        .value_kind:     hidden_group_size_y
      - .offset:         160
        .size:           2
        .value_kind:     hidden_group_size_z
      - .offset:         162
        .size:           2
        .value_kind:     hidden_remainder_x
      - .offset:         164
        .size:           2
        .value_kind:     hidden_remainder_y
      - .offset:         166
        .size:           2
        .value_kind:     hidden_remainder_z
      - .offset:         184
        .size:           8
        .value_kind:     hidden_global_offset_x
      - .offset:         192
        .size:           8
        .value_kind:     hidden_global_offset_y
      - .offset:         200
        .size:           8
        .value_kind:     hidden_global_offset_z
      - .offset:         208
        .size:           2
        .value_kind:     hidden_grid_dims
    .group_segment_fixed_size: 16
    .kernarg_segment_align: 8
    .kernarg_segment_size: 400
    .language:       OpenCL C
    .language_version:
      - 2
      - 0
    .max_flat_workgroup_size: 1024
    .name:           _ZN5aiter35fused_qk_rmsnorm_group_quant_kernelIDF16_N4opus5fp4_tELi128ELi16ELi4ELb0ELb1ELb1ELb1ELb0ELb0EEEvPT0_PvPT_S7_S7_PKS6_S9_S9_S9_S9_ffiiiiiiiiiiiii
    .private_segment_fixed_size: 0
    .sgpr_count:     36
    .sgpr_spill_count: 0
    .symbol:         _ZN5aiter35fused_qk_rmsnorm_group_quant_kernelIDF16_N4opus5fp4_tELi128ELi16ELi4ELb0ELb1ELb1ELb1ELb0ELb0EEEvPT0_PvPT_S7_S7_PKS6_S9_S9_S9_S9_ffiiiiiiiiiiiii.kd
    .uniform_work_group_size: 1
    .uses_dynamic_stack: false
    .vgpr_count:     35
    .vgpr_spill_count: 0
    .wavefront_size: 64
  - .agpr_count:     0
    .args:
      - .actual_access:  read_only
        .address_space:  global
        .offset:         0
        .size:           8
        .value_kind:     global_buffer
      - .actual_access:  read_only
        .address_space:  global
        .offset:         8
        .size:           8
        .value_kind:     global_buffer
      - .actual_access:  write_only
        .address_space:  global
        .offset:         16
        .size:           8
        .value_kind:     global_buffer
      - .actual_access:  write_only
        .address_space:  global
        .offset:         24
        .size:           8
        .value_kind:     global_buffer
      - .actual_access:  read_only
        .address_space:  global
        .offset:         32
        .size:           8
        .value_kind:     global_buffer
      - .actual_access:  read_only
        .address_space:  global
        .offset:         40
        .size:           8
        .value_kind:     global_buffer
      - .actual_access:  read_only
        .address_space:  global
        .offset:         48
        .size:           8
        .value_kind:     global_buffer
      - .actual_access:  read_only
        .address_space:  global
        .offset:         56
        .size:           8
        .value_kind:     global_buffer
      - .actual_access:  read_only
        .address_space:  global
        .offset:         64
        .size:           8
        .value_kind:     global_buffer
      - .actual_access:  read_only
        .address_space:  global
        .offset:         72
        .size:           8
        .value_kind:     global_buffer
      - .offset:         80
        .size:           4
        .value_kind:     by_value
      - .offset:         84
        .size:           4
        .value_kind:     by_value
      - .offset:         88
        .size:           4
        .value_kind:     by_value
      - .offset:         92
        .size:           4
        .value_kind:     by_value
      - .offset:         96
        .size:           4
        .value_kind:     by_value
      - .offset:         100
        .size:           4
        .value_kind:     by_value
      - .offset:         104
        .size:           4
        .value_kind:     by_value
      - .offset:         108
        .size:           4
        .value_kind:     by_value
      - .offset:         112
        .size:           4
        .value_kind:     by_value
      - .offset:         116
        .size:           4
        .value_kind:     by_value
      - .offset:         120
        .size:           4
        .value_kind:     by_value
      - .offset:         124
        .size:           4
        .value_kind:     by_value
      - .offset:         128
        .size:           4
        .value_kind:     by_value
      - .offset:         132
        .size:           4
        .value_kind:     by_value
      - .offset:         136
        .size:           4
        .value_kind:     by_value
      - .offset:         144
        .size:           4
        .value_kind:     hidden_block_count_x
      - .offset:         148
        .size:           4
        .value_kind:     hidden_block_count_y
      - .offset:         152
        .size:           4
        .value_kind:     hidden_block_count_z
      - .offset:         156
        .size:           2
        .value_kind:     hidden_group_size_x
      - .offset:         158
        .size:           2
        .value_kind:     hidden_group_size_y
      - .offset:         160
        .size:           2
        .value_kind:     hidden_group_size_z
      - .offset:         162
        .size:           2
        .value_kind:     hidden_remainder_x
      - .offset:         164
        .size:           2
        .value_kind:     hidden_remainder_y
      - .offset:         166
        .size:           2
        .value_kind:     hidden_remainder_z
      - .offset:         184
        .size:           8
        .value_kind:     hidden_global_offset_x
      - .offset:         192
        .size:           8
        .value_kind:     hidden_global_offset_y
      - .offset:         200
        .size:           8
        .value_kind:     hidden_global_offset_z
      - .offset:         208
        .size:           2
        .value_kind:     hidden_grid_dims
    .group_segment_fixed_size: 16
    .kernarg_segment_align: 8
    .kernarg_segment_size: 400
    .language:       OpenCL C
    .language_version:
      - 2
      - 0
    .max_flat_workgroup_size: 1024
    .name:           _ZN5aiter35fused_qk_rmsnorm_group_quant_kernelItN4opus5fp4_tELi128ELi16ELi4ELb0ELb1ELb1ELb1ELb0ELb0EEEvPT0_PvPT_S7_S7_PKS6_S9_S9_S9_S9_ffiiiiiiiiiiiii
    .private_segment_fixed_size: 0
    .sgpr_count:     36
    .sgpr_spill_count: 0
    .symbol:         _ZN5aiter35fused_qk_rmsnorm_group_quant_kernelItN4opus5fp4_tELi128ELi16ELi4ELb0ELb1ELb1ELb1ELb0ELb0EEEvPT0_PvPT_S7_S7_PKS6_S9_S9_S9_S9_ffiiiiiiiiiiiii.kd
    .uniform_work_group_size: 1
    .uses_dynamic_stack: false
    .vgpr_count:     35
    .vgpr_spill_count: 0
    .wavefront_size: 64
  - .agpr_count:     0
    .args:
      - .actual_access:  read_only
        .address_space:  global
        .offset:         0
        .size:           8
        .value_kind:     global_buffer
      - .actual_access:  read_only
        .address_space:  global
        .offset:         8
        .size:           8
        .value_kind:     global_buffer
      - .actual_access:  write_only
        .address_space:  global
        .offset:         16
        .size:           8
        .value_kind:     global_buffer
      - .actual_access:  write_only
        .address_space:  global
        .offset:         24
        .size:           8
        .value_kind:     global_buffer
      - .actual_access:  read_only
        .address_space:  global
        .offset:         32
        .size:           8
        .value_kind:     global_buffer
      - .actual_access:  read_only
        .address_space:  global
        .offset:         40
        .size:           8
        .value_kind:     global_buffer
      - .actual_access:  read_only
        .address_space:  global
        .offset:         48
        .size:           8
        .value_kind:     global_buffer
      - .actual_access:  read_only
        .address_space:  global
        .offset:         56
        .size:           8
        .value_kind:     global_buffer
      - .actual_access:  read_only
        .address_space:  global
        .offset:         64
        .size:           8
        .value_kind:     global_buffer
      - .actual_access:  read_only
        .address_space:  global
        .offset:         72
        .size:           8
        .value_kind:     global_buffer
      - .offset:         80
        .size:           4
        .value_kind:     by_value
      - .offset:         84
        .size:           4
        .value_kind:     by_value
      - .offset:         88
        .size:           4
        .value_kind:     by_value
      - .offset:         92
        .size:           4
        .value_kind:     by_value
      - .offset:         96
        .size:           4
        .value_kind:     by_value
      - .offset:         100
        .size:           4
        .value_kind:     by_value
      - .offset:         104
        .size:           4
        .value_kind:     by_value
      - .offset:         108
        .size:           4
        .value_kind:     by_value
      - .offset:         112
        .size:           4
        .value_kind:     by_value
      - .offset:         116
        .size:           4
        .value_kind:     by_value
      - .offset:         120
        .size:           4
        .value_kind:     by_value
      - .offset:         124
        .size:           4
        .value_kind:     by_value
      - .offset:         128
        .size:           4
        .value_kind:     by_value
      - .offset:         132
        .size:           4
        .value_kind:     by_value
      - .offset:         136
        .size:           4
        .value_kind:     by_value
      - .offset:         144
        .size:           4
        .value_kind:     hidden_block_count_x
      - .offset:         148
        .size:           4
        .value_kind:     hidden_block_count_y
      - .offset:         152
        .size:           4
        .value_kind:     hidden_block_count_z
      - .offset:         156
        .size:           2
        .value_kind:     hidden_group_size_x
      - .offset:         158
        .size:           2
        .value_kind:     hidden_group_size_y
      - .offset:         160
        .size:           2
        .value_kind:     hidden_group_size_z
      - .offset:         162
        .size:           2
        .value_kind:     hidden_remainder_x
      - .offset:         164
        .size:           2
        .value_kind:     hidden_remainder_y
      - .offset:         166
        .size:           2
        .value_kind:     hidden_remainder_z
      - .offset:         184
        .size:           8
        .value_kind:     hidden_global_offset_x
      - .offset:         192
        .size:           8
        .value_kind:     hidden_global_offset_y
      - .offset:         200
        .size:           8
        .value_kind:     hidden_global_offset_z
      - .offset:         208
        .size:           2
        .value_kind:     hidden_grid_dims
    .group_segment_fixed_size: 16
    .kernarg_segment_align: 8
    .kernarg_segment_size: 400
    .language:       OpenCL C
    .language_version:
      - 2
      - 0
    .max_flat_workgroup_size: 1024
    .name:           _ZN5aiter35fused_qk_rmsnorm_group_quant_kernelIDF16_DB8_Li128ELi16ELi4ELb0ELb1ELb0ELb1ELb0ELb0EEEvPT0_PvPT_S6_S6_PKS5_S8_S8_S8_S8_ffiiiiiiiiiiiii
    .private_segment_fixed_size: 0
    .sgpr_count:     36
    .sgpr_spill_count: 0
    .symbol:         _ZN5aiter35fused_qk_rmsnorm_group_quant_kernelIDF16_DB8_Li128ELi16ELi4ELb0ELb1ELb0ELb1ELb0ELb0EEEvPT0_PvPT_S6_S6_PKS5_S8_S8_S8_S8_ffiiiiiiiiiiiii.kd
    .uniform_work_group_size: 1
    .uses_dynamic_stack: false
    .vgpr_count:     35
    .vgpr_spill_count: 0
    .wavefront_size: 64
  - .agpr_count:     0
    .args:
      - .actual_access:  read_only
        .address_space:  global
        .offset:         0
        .size:           8
        .value_kind:     global_buffer
      - .actual_access:  read_only
        .address_space:  global
        .offset:         8
        .size:           8
        .value_kind:     global_buffer
      - .actual_access:  write_only
        .address_space:  global
        .offset:         16
        .size:           8
        .value_kind:     global_buffer
      - .actual_access:  write_only
        .address_space:  global
        .offset:         24
        .size:           8
        .value_kind:     global_buffer
      - .actual_access:  read_only
        .address_space:  global
        .offset:         32
        .size:           8
        .value_kind:     global_buffer
      - .actual_access:  read_only
        .address_space:  global
        .offset:         40
        .size:           8
        .value_kind:     global_buffer
      - .actual_access:  read_only
        .address_space:  global
        .offset:         48
        .size:           8
        .value_kind:     global_buffer
      - .actual_access:  read_only
        .address_space:  global
        .offset:         56
        .size:           8
        .value_kind:     global_buffer
      - .actual_access:  read_only
        .address_space:  global
        .offset:         64
        .size:           8
        .value_kind:     global_buffer
      - .actual_access:  read_only
        .address_space:  global
        .offset:         72
        .size:           8
        .value_kind:     global_buffer
      - .offset:         80
        .size:           4
        .value_kind:     by_value
      - .offset:         84
        .size:           4
        .value_kind:     by_value
      - .offset:         88
        .size:           4
        .value_kind:     by_value
      - .offset:         92
        .size:           4
        .value_kind:     by_value
      - .offset:         96
        .size:           4
        .value_kind:     by_value
      - .offset:         100
        .size:           4
        .value_kind:     by_value
      - .offset:         104
        .size:           4
        .value_kind:     by_value
      - .offset:         108
        .size:           4
        .value_kind:     by_value
      - .offset:         112
        .size:           4
        .value_kind:     by_value
      - .offset:         116
        .size:           4
        .value_kind:     by_value
      - .offset:         120
        .size:           4
        .value_kind:     by_value
      - .offset:         124
        .size:           4
        .value_kind:     by_value
      - .offset:         128
        .size:           4
        .value_kind:     by_value
      - .offset:         132
        .size:           4
        .value_kind:     by_value
      - .offset:         136
        .size:           4
        .value_kind:     by_value
      - .offset:         144
        .size:           4
        .value_kind:     hidden_block_count_x
      - .offset:         148
        .size:           4
        .value_kind:     hidden_block_count_y
      - .offset:         152
        .size:           4
        .value_kind:     hidden_block_count_z
      - .offset:         156
        .size:           2
        .value_kind:     hidden_group_size_x
      - .offset:         158
        .size:           2
        .value_kind:     hidden_group_size_y
      - .offset:         160
        .size:           2
        .value_kind:     hidden_group_size_z
      - .offset:         162
        .size:           2
        .value_kind:     hidden_remainder_x
      - .offset:         164
        .size:           2
        .value_kind:     hidden_remainder_y
      - .offset:         166
        .size:           2
        .value_kind:     hidden_remainder_z
      - .offset:         184
        .size:           8
        .value_kind:     hidden_global_offset_x
      - .offset:         192
        .size:           8
        .value_kind:     hidden_global_offset_y
      - .offset:         200
        .size:           8
        .value_kind:     hidden_global_offset_z
      - .offset:         208
        .size:           2
        .value_kind:     hidden_grid_dims
    .group_segment_fixed_size: 16
    .kernarg_segment_align: 8
    .kernarg_segment_size: 400
    .language:       OpenCL C
    .language_version:
      - 2
      - 0
    .max_flat_workgroup_size: 1024
    .name:           _ZN5aiter35fused_qk_rmsnorm_group_quant_kernelItDB8_Li128ELi16ELi4ELb0ELb1ELb0ELb1ELb0ELb0EEEvPT0_PvPT_S6_S6_PKS5_S8_S8_S8_S8_ffiiiiiiiiiiiii
    .private_segment_fixed_size: 0
    .sgpr_count:     36
    .sgpr_spill_count: 0
    .symbol:         _ZN5aiter35fused_qk_rmsnorm_group_quant_kernelItDB8_Li128ELi16ELi4ELb0ELb1ELb0ELb1ELb0ELb0EEEvPT0_PvPT_S6_S6_PKS5_S8_S8_S8_S8_ffiiiiiiiiiiiii.kd
    .uniform_work_group_size: 1
    .uses_dynamic_stack: false
    .vgpr_count:     35
    .vgpr_spill_count: 0
    .wavefront_size: 64
  - .agpr_count:     0
    .args:
      - .actual_access:  read_only
        .address_space:  global
        .offset:         0
        .size:           8
        .value_kind:     global_buffer
      - .actual_access:  read_only
        .address_space:  global
        .offset:         8
        .size:           8
        .value_kind:     global_buffer
      - .actual_access:  write_only
        .address_space:  global
        .offset:         16
        .size:           8
        .value_kind:     global_buffer
      - .actual_access:  write_only
        .address_space:  global
        .offset:         24
        .size:           8
        .value_kind:     global_buffer
      - .actual_access:  read_only
        .address_space:  global
        .offset:         32
        .size:           8
        .value_kind:     global_buffer
      - .actual_access:  read_only
        .address_space:  global
        .offset:         40
        .size:           8
        .value_kind:     global_buffer
      - .actual_access:  read_only
        .address_space:  global
        .offset:         48
        .size:           8
        .value_kind:     global_buffer
      - .actual_access:  read_only
        .address_space:  global
        .offset:         56
        .size:           8
        .value_kind:     global_buffer
      - .actual_access:  read_only
        .address_space:  global
        .offset:         64
        .size:           8
        .value_kind:     global_buffer
      - .actual_access:  read_only
        .address_space:  global
        .offset:         72
        .size:           8
        .value_kind:     global_buffer
      - .offset:         80
        .size:           4
        .value_kind:     by_value
      - .offset:         84
        .size:           4
        .value_kind:     by_value
      - .offset:         88
        .size:           4
        .value_kind:     by_value
      - .offset:         92
        .size:           4
        .value_kind:     by_value
      - .offset:         96
        .size:           4
        .value_kind:     by_value
      - .offset:         100
        .size:           4
        .value_kind:     by_value
      - .offset:         104
        .size:           4
        .value_kind:     by_value
      - .offset:         108
        .size:           4
        .value_kind:     by_value
      - .offset:         112
        .size:           4
        .value_kind:     by_value
      - .offset:         116
        .size:           4
        .value_kind:     by_value
      - .offset:         120
        .size:           4
        .value_kind:     by_value
      - .offset:         124
        .size:           4
        .value_kind:     by_value
      - .offset:         128
        .size:           4
        .value_kind:     by_value
      - .offset:         132
        .size:           4
        .value_kind:     by_value
      - .offset:         136
        .size:           4
        .value_kind:     by_value
      - .offset:         144
        .size:           4
        .value_kind:     hidden_block_count_x
      - .offset:         148
        .size:           4
        .value_kind:     hidden_block_count_y
      - .offset:         152
        .size:           4
        .value_kind:     hidden_block_count_z
      - .offset:         156
        .size:           2
        .value_kind:     hidden_group_size_x
      - .offset:         158
        .size:           2
        .value_kind:     hidden_group_size_y
      - .offset:         160
        .size:           2
        .value_kind:     hidden_group_size_z
      - .offset:         162
        .size:           2
        .value_kind:     hidden_remainder_x
      - .offset:         164
        .size:           2
        .value_kind:     hidden_remainder_y
      - .offset:         166
        .size:           2
        .value_kind:     hidden_remainder_z
      - .offset:         184
        .size:           8
        .value_kind:     hidden_global_offset_x
      - .offset:         192
        .size:           8
        .value_kind:     hidden_global_offset_y
      - .offset:         200
        .size:           8
        .value_kind:     hidden_global_offset_z
      - .offset:         208
        .size:           2
        .value_kind:     hidden_grid_dims
    .group_segment_fixed_size: 16
    .kernarg_segment_align: 8
    .kernarg_segment_size: 400
    .language:       OpenCL C
    .language_version:
      - 2
      - 0
    .max_flat_workgroup_size: 1024
    .name:           _ZN5aiter35fused_qk_rmsnorm_group_quant_kernelIDF16_N4opus5fp4_tELi128ELi16ELi4ELb0ELb1ELb0ELb1ELb0ELb0EEEvPT0_PvPT_S7_S7_PKS6_S9_S9_S9_S9_ffiiiiiiiiiiiii
    .private_segment_fixed_size: 0
    .sgpr_count:     36
    .sgpr_spill_count: 0
    .symbol:         _ZN5aiter35fused_qk_rmsnorm_group_quant_kernelIDF16_N4opus5fp4_tELi128ELi16ELi4ELb0ELb1ELb0ELb1ELb0ELb0EEEvPT0_PvPT_S7_S7_PKS6_S9_S9_S9_S9_ffiiiiiiiiiiiii.kd
    .uniform_work_group_size: 1
    .uses_dynamic_stack: false
    .vgpr_count:     35
    .vgpr_spill_count: 0
    .wavefront_size: 64
  - .agpr_count:     0
    .args:
      - .actual_access:  read_only
        .address_space:  global
        .offset:         0
        .size:           8
        .value_kind:     global_buffer
      - .actual_access:  read_only
        .address_space:  global
        .offset:         8
        .size:           8
        .value_kind:     global_buffer
      - .actual_access:  write_only
        .address_space:  global
        .offset:         16
        .size:           8
        .value_kind:     global_buffer
      - .actual_access:  write_only
        .address_space:  global
        .offset:         24
        .size:           8
        .value_kind:     global_buffer
      - .actual_access:  read_only
        .address_space:  global
        .offset:         32
        .size:           8
        .value_kind:     global_buffer
      - .actual_access:  read_only
        .address_space:  global
        .offset:         40
        .size:           8
        .value_kind:     global_buffer
      - .actual_access:  read_only
        .address_space:  global
        .offset:         48
        .size:           8
        .value_kind:     global_buffer
      - .actual_access:  read_only
        .address_space:  global
        .offset:         56
        .size:           8
        .value_kind:     global_buffer
      - .actual_access:  read_only
        .address_space:  global
        .offset:         64
        .size:           8
        .value_kind:     global_buffer
      - .actual_access:  read_only
        .address_space:  global
        .offset:         72
        .size:           8
        .value_kind:     global_buffer
      - .offset:         80
        .size:           4
        .value_kind:     by_value
      - .offset:         84
        .size:           4
        .value_kind:     by_value
      - .offset:         88
        .size:           4
        .value_kind:     by_value
      - .offset:         92
        .size:           4
        .value_kind:     by_value
      - .offset:         96
        .size:           4
        .value_kind:     by_value
      - .offset:         100
        .size:           4
        .value_kind:     by_value
      - .offset:         104
        .size:           4
        .value_kind:     by_value
      - .offset:         108
        .size:           4
        .value_kind:     by_value
      - .offset:         112
        .size:           4
        .value_kind:     by_value
      - .offset:         116
        .size:           4
        .value_kind:     by_value
      - .offset:         120
        .size:           4
        .value_kind:     by_value
      - .offset:         124
        .size:           4
        .value_kind:     by_value
      - .offset:         128
        .size:           4
        .value_kind:     by_value
      - .offset:         132
        .size:           4
        .value_kind:     by_value
      - .offset:         136
        .size:           4
        .value_kind:     by_value
      - .offset:         144
        .size:           4
        .value_kind:     hidden_block_count_x
      - .offset:         148
        .size:           4
        .value_kind:     hidden_block_count_y
      - .offset:         152
        .size:           4
        .value_kind:     hidden_block_count_z
      - .offset:         156
        .size:           2
        .value_kind:     hidden_group_size_x
      - .offset:         158
        .size:           2
        .value_kind:     hidden_group_size_y
      - .offset:         160
        .size:           2
        .value_kind:     hidden_group_size_z
      - .offset:         162
        .size:           2
        .value_kind:     hidden_remainder_x
      - .offset:         164
        .size:           2
        .value_kind:     hidden_remainder_y
      - .offset:         166
        .size:           2
        .value_kind:     hidden_remainder_z
      - .offset:         184
        .size:           8
        .value_kind:     hidden_global_offset_x
      - .offset:         192
        .size:           8
        .value_kind:     hidden_global_offset_y
      - .offset:         200
        .size:           8
        .value_kind:     hidden_global_offset_z
      - .offset:         208
        .size:           2
        .value_kind:     hidden_grid_dims
    .group_segment_fixed_size: 16
    .kernarg_segment_align: 8
    .kernarg_segment_size: 400
    .language:       OpenCL C
    .language_version:
      - 2
      - 0
    .max_flat_workgroup_size: 1024
    .name:           _ZN5aiter35fused_qk_rmsnorm_group_quant_kernelItN4opus5fp4_tELi128ELi16ELi4ELb0ELb1ELb0ELb1ELb0ELb0EEEvPT0_PvPT_S7_S7_PKS6_S9_S9_S9_S9_ffiiiiiiiiiiiii
    .private_segment_fixed_size: 0
    .sgpr_count:     36
    .sgpr_spill_count: 0
    .symbol:         _ZN5aiter35fused_qk_rmsnorm_group_quant_kernelItN4opus5fp4_tELi128ELi16ELi4ELb0ELb1ELb0ELb1ELb0ELb0EEEvPT0_PvPT_S7_S7_PKS6_S9_S9_S9_S9_ffiiiiiiiiiiiii.kd
    .uniform_work_group_size: 1
    .uses_dynamic_stack: false
    .vgpr_count:     35
    .vgpr_spill_count: 0
    .wavefront_size: 64
  - .agpr_count:     0
    .args:
      - .actual_access:  write_only
        .address_space:  global
        .offset:         0
        .size:           8
        .value_kind:     global_buffer
      - .actual_access:  write_only
        .address_space:  global
        .offset:         8
        .size:           8
        .value_kind:     global_buffer
      - .actual_access:  write_only
        .address_space:  global
        .offset:         16
        .size:           8
        .value_kind:     global_buffer
      - .actual_access:  write_only
        .address_space:  global
        .offset:         24
        .size:           8
        .value_kind:     global_buffer
      - .actual_access:  write_only
        .address_space:  global
        .offset:         32
        .size:           8
        .value_kind:     global_buffer
      - .actual_access:  read_only
        .address_space:  global
        .offset:         40
        .size:           8
        .value_kind:     global_buffer
      - .actual_access:  read_only
        .address_space:  global
        .offset:         48
        .size:           8
        .value_kind:     global_buffer
      - .actual_access:  read_only
        .address_space:  global
        .offset:         56
        .size:           8
        .value_kind:     global_buffer
      - .actual_access:  read_only
        .address_space:  global
        .offset:         64
        .size:           8
        .value_kind:     global_buffer
      - .actual_access:  read_only
        .address_space:  global
        .offset:         72
        .size:           8
        .value_kind:     global_buffer
      - .offset:         80
        .size:           4
        .value_kind:     by_value
      - .offset:         84
        .size:           4
        .value_kind:     by_value
      - .offset:         88
        .size:           4
        .value_kind:     by_value
      - .offset:         92
        .size:           4
        .value_kind:     by_value
      - .offset:         96
        .size:           4
        .value_kind:     by_value
      - .offset:         100
        .size:           4
        .value_kind:     by_value
      - .offset:         104
        .size:           4
        .value_kind:     by_value
      - .offset:         108
        .size:           4
        .value_kind:     by_value
      - .offset:         112
        .size:           4
        .value_kind:     by_value
      - .offset:         116
        .size:           4
        .value_kind:     by_value
      - .offset:         120
        .size:           4
        .value_kind:     by_value
      - .offset:         124
        .size:           4
        .value_kind:     by_value
      - .offset:         128
        .size:           4
        .value_kind:     by_value
      - .offset:         132
        .size:           4
        .value_kind:     by_value
      - .offset:         136
        .size:           4
        .value_kind:     by_value
      - .offset:         144
        .size:           4
        .value_kind:     hidden_block_count_x
      - .offset:         148
        .size:           4
        .value_kind:     hidden_block_count_y
      - .offset:         152
        .size:           4
        .value_kind:     hidden_block_count_z
      - .offset:         156
        .size:           2
        .value_kind:     hidden_group_size_x
      - .offset:         158
        .size:           2
        .value_kind:     hidden_group_size_y
      - .offset:         160
        .size:           2
        .value_kind:     hidden_group_size_z
      - .offset:         162
        .size:           2
        .value_kind:     hidden_remainder_x
      - .offset:         164
        .size:           2
        .value_kind:     hidden_remainder_y
      - .offset:         166
        .size:           2
        .value_kind:     hidden_remainder_z
      - .offset:         184
        .size:           8
        .value_kind:     hidden_global_offset_x
      - .offset:         192
        .size:           8
        .value_kind:     hidden_global_offset_y
      - .offset:         200
        .size:           8
        .value_kind:     hidden_global_offset_z
      - .offset:         208
        .size:           2
        .value_kind:     hidden_grid_dims
    .group_segment_fixed_size: 16
    .kernarg_segment_align: 8
    .kernarg_segment_size: 400
    .language:       OpenCL C
    .language_version:
      - 2
      - 0
    .max_flat_workgroup_size: 1024
    .name:           _ZN5aiter35fused_qk_rmsnorm_group_quant_kernelIDF16_DB8_Li128ELi16ELi4ELb1ELb1ELb1ELb0ELb0ELb0EEEvPT0_PvPT_S6_S6_PKS5_S8_S8_S8_S8_ffiiiiiiiiiiiii
    .private_segment_fixed_size: 0
    .sgpr_count:     48
    .sgpr_spill_count: 0
    .symbol:         _ZN5aiter35fused_qk_rmsnorm_group_quant_kernelIDF16_DB8_Li128ELi16ELi4ELb1ELb1ELb1ELb0ELb0ELb0EEEvPT0_PvPT_S6_S6_PKS5_S8_S8_S8_S8_ffiiiiiiiiiiiii.kd
    .uniform_work_group_size: 1
    .uses_dynamic_stack: false
    .vgpr_count:     90
    .vgpr_spill_count: 0
    .wavefront_size: 64
  - .agpr_count:     0
    .args:
      - .actual_access:  write_only
        .address_space:  global
        .offset:         0
        .size:           8
        .value_kind:     global_buffer
      - .actual_access:  write_only
        .address_space:  global
        .offset:         8
        .size:           8
        .value_kind:     global_buffer
      - .actual_access:  write_only
        .address_space:  global
        .offset:         16
        .size:           8
        .value_kind:     global_buffer
      - .actual_access:  write_only
        .address_space:  global
        .offset:         24
        .size:           8
        .value_kind:     global_buffer
      - .actual_access:  write_only
        .address_space:  global
        .offset:         32
        .size:           8
        .value_kind:     global_buffer
      - .actual_access:  read_only
        .address_space:  global
        .offset:         40
        .size:           8
        .value_kind:     global_buffer
      - .actual_access:  read_only
        .address_space:  global
        .offset:         48
        .size:           8
        .value_kind:     global_buffer
      - .actual_access:  read_only
        .address_space:  global
        .offset:         56
        .size:           8
        .value_kind:     global_buffer
      - .actual_access:  read_only
        .address_space:  global
        .offset:         64
        .size:           8
        .value_kind:     global_buffer
      - .actual_access:  read_only
        .address_space:  global
        .offset:         72
        .size:           8
        .value_kind:     global_buffer
      - .offset:         80
        .size:           4
        .value_kind:     by_value
      - .offset:         84
        .size:           4
        .value_kind:     by_value
      - .offset:         88
        .size:           4
        .value_kind:     by_value
      - .offset:         92
        .size:           4
        .value_kind:     by_value
      - .offset:         96
        .size:           4
        .value_kind:     by_value
      - .offset:         100
        .size:           4
        .value_kind:     by_value
      - .offset:         104
        .size:           4
        .value_kind:     by_value
      - .offset:         108
        .size:           4
        .value_kind:     by_value
      - .offset:         112
        .size:           4
        .value_kind:     by_value
      - .offset:         116
        .size:           4
        .value_kind:     by_value
      - .offset:         120
        .size:           4
        .value_kind:     by_value
      - .offset:         124
        .size:           4
        .value_kind:     by_value
      - .offset:         128
        .size:           4
        .value_kind:     by_value
      - .offset:         132
        .size:           4
        .value_kind:     by_value
      - .offset:         136
        .size:           4
        .value_kind:     by_value
      - .offset:         144
        .size:           4
        .value_kind:     hidden_block_count_x
      - .offset:         148
        .size:           4
        .value_kind:     hidden_block_count_y
      - .offset:         152
        .size:           4
        .value_kind:     hidden_block_count_z
      - .offset:         156
        .size:           2
        .value_kind:     hidden_group_size_x
      - .offset:         158
        .size:           2
        .value_kind:     hidden_group_size_y
      - .offset:         160
        .size:           2
        .value_kind:     hidden_group_size_z
      - .offset:         162
        .size:           2
        .value_kind:     hidden_remainder_x
      - .offset:         164
        .size:           2
        .value_kind:     hidden_remainder_y
      - .offset:         166
        .size:           2
        .value_kind:     hidden_remainder_z
      - .offset:         184
        .size:           8
        .value_kind:     hidden_global_offset_x
      - .offset:         192
        .size:           8
        .value_kind:     hidden_global_offset_y
      - .offset:         200
        .size:           8
        .value_kind:     hidden_global_offset_z
      - .offset:         208
        .size:           2
        .value_kind:     hidden_grid_dims
    .group_segment_fixed_size: 16
    .kernarg_segment_align: 8
    .kernarg_segment_size: 400
    .language:       OpenCL C
    .language_version:
      - 2
      - 0
    .max_flat_workgroup_size: 1024
    .name:           _ZN5aiter35fused_qk_rmsnorm_group_quant_kernelItDB8_Li128ELi16ELi4ELb1ELb1ELb1ELb0ELb0ELb0EEEvPT0_PvPT_S6_S6_PKS5_S8_S8_S8_S8_ffiiiiiiiiiiiii
    .private_segment_fixed_size: 0
    .sgpr_count:     48
    .sgpr_spill_count: 0
    .symbol:         _ZN5aiter35fused_qk_rmsnorm_group_quant_kernelItDB8_Li128ELi16ELi4ELb1ELb1ELb1ELb0ELb0ELb0EEEvPT0_PvPT_S6_S6_PKS5_S8_S8_S8_S8_ffiiiiiiiiiiiii.kd
    .uniform_work_group_size: 1
    .uses_dynamic_stack: false
    .vgpr_count:     88
    .vgpr_spill_count: 0
    .wavefront_size: 64
  - .agpr_count:     0
    .args:
      - .actual_access:  write_only
        .address_space:  global
        .offset:         0
        .size:           8
        .value_kind:     global_buffer
      - .actual_access:  write_only
        .address_space:  global
        .offset:         8
        .size:           8
        .value_kind:     global_buffer
      - .actual_access:  write_only
        .address_space:  global
        .offset:         16
        .size:           8
        .value_kind:     global_buffer
      - .actual_access:  write_only
        .address_space:  global
        .offset:         24
        .size:           8
        .value_kind:     global_buffer
      - .actual_access:  write_only
        .address_space:  global
        .offset:         32
        .size:           8
        .value_kind:     global_buffer
      - .actual_access:  read_only
        .address_space:  global
        .offset:         40
        .size:           8
        .value_kind:     global_buffer
      - .actual_access:  read_only
        .address_space:  global
        .offset:         48
        .size:           8
        .value_kind:     global_buffer
      - .actual_access:  read_only
        .address_space:  global
        .offset:         56
        .size:           8
        .value_kind:     global_buffer
      - .actual_access:  read_only
        .address_space:  global
        .offset:         64
        .size:           8
        .value_kind:     global_buffer
      - .actual_access:  read_only
        .address_space:  global
        .offset:         72
        .size:           8
        .value_kind:     global_buffer
      - .offset:         80
        .size:           4
        .value_kind:     by_value
      - .offset:         84
        .size:           4
        .value_kind:     by_value
      - .offset:         88
        .size:           4
        .value_kind:     by_value
      - .offset:         92
        .size:           4
        .value_kind:     by_value
      - .offset:         96
        .size:           4
        .value_kind:     by_value
      - .offset:         100
        .size:           4
        .value_kind:     by_value
      - .offset:         104
        .size:           4
        .value_kind:     by_value
      - .offset:         108
        .size:           4
        .value_kind:     by_value
      - .offset:         112
        .size:           4
        .value_kind:     by_value
      - .offset:         116
        .size:           4
        .value_kind:     by_value
      - .offset:         120
        .size:           4
        .value_kind:     by_value
      - .offset:         124
        .size:           4
        .value_kind:     by_value
      - .offset:         128
        .size:           4
        .value_kind:     by_value
      - .offset:         132
        .size:           4
        .value_kind:     by_value
      - .offset:         136
        .size:           4
        .value_kind:     by_value
      - .offset:         144
        .size:           4
        .value_kind:     hidden_block_count_x
      - .offset:         148
        .size:           4
        .value_kind:     hidden_block_count_y
      - .offset:         152
        .size:           4
        .value_kind:     hidden_block_count_z
      - .offset:         156
        .size:           2
        .value_kind:     hidden_group_size_x
      - .offset:         158
        .size:           2
        .value_kind:     hidden_group_size_y
      - .offset:         160
        .size:           2
        .value_kind:     hidden_group_size_z
      - .offset:         162
        .size:           2
        .value_kind:     hidden_remainder_x
      - .offset:         164
        .size:           2
        .value_kind:     hidden_remainder_y
      - .offset:         166
        .size:           2
        .value_kind:     hidden_remainder_z
      - .offset:         184
        .size:           8
        .value_kind:     hidden_global_offset_x
      - .offset:         192
        .size:           8
        .value_kind:     hidden_global_offset_y
      - .offset:         200
        .size:           8
        .value_kind:     hidden_global_offset_z
      - .offset:         208
        .size:           2
        .value_kind:     hidden_grid_dims
    .group_segment_fixed_size: 16
    .kernarg_segment_align: 8
    .kernarg_segment_size: 400
    .language:       OpenCL C
    .language_version:
      - 2
      - 0
    .max_flat_workgroup_size: 1024
    .name:           _ZN5aiter35fused_qk_rmsnorm_group_quant_kernelIDF16_N4opus5fp4_tELi128ELi16ELi4ELb1ELb1ELb1ELb0ELb0ELb0EEEvPT0_PvPT_S7_S7_PKS6_S9_S9_S9_S9_ffiiiiiiiiiiiii
    .private_segment_fixed_size: 0
    .sgpr_count:     48
    .sgpr_spill_count: 0
    .symbol:         _ZN5aiter35fused_qk_rmsnorm_group_quant_kernelIDF16_N4opus5fp4_tELi128ELi16ELi4ELb1ELb1ELb1ELb0ELb0ELb0EEEvPT0_PvPT_S7_S7_PKS6_S9_S9_S9_S9_ffiiiiiiiiiiiii.kd
    .uniform_work_group_size: 1
    .uses_dynamic_stack: false
    .vgpr_count:     49
    .vgpr_spill_count: 0
    .wavefront_size: 64
  - .agpr_count:     0
    .args:
      - .actual_access:  write_only
        .address_space:  global
        .offset:         0
        .size:           8
        .value_kind:     global_buffer
      - .actual_access:  write_only
        .address_space:  global
        .offset:         8
        .size:           8
        .value_kind:     global_buffer
      - .actual_access:  write_only
        .address_space:  global
        .offset:         16
        .size:           8
        .value_kind:     global_buffer
      - .actual_access:  write_only
        .address_space:  global
        .offset:         24
        .size:           8
        .value_kind:     global_buffer
      - .actual_access:  write_only
        .address_space:  global
        .offset:         32
        .size:           8
        .value_kind:     global_buffer
      - .actual_access:  read_only
        .address_space:  global
        .offset:         40
        .size:           8
        .value_kind:     global_buffer
      - .actual_access:  read_only
        .address_space:  global
        .offset:         48
        .size:           8
        .value_kind:     global_buffer
      - .actual_access:  read_only
        .address_space:  global
        .offset:         56
        .size:           8
        .value_kind:     global_buffer
      - .actual_access:  read_only
        .address_space:  global
        .offset:         64
        .size:           8
        .value_kind:     global_buffer
      - .actual_access:  read_only
        .address_space:  global
        .offset:         72
        .size:           8
        .value_kind:     global_buffer
      - .offset:         80
        .size:           4
        .value_kind:     by_value
      - .offset:         84
        .size:           4
        .value_kind:     by_value
      - .offset:         88
        .size:           4
        .value_kind:     by_value
      - .offset:         92
        .size:           4
        .value_kind:     by_value
      - .offset:         96
        .size:           4
        .value_kind:     by_value
      - .offset:         100
        .size:           4
        .value_kind:     by_value
      - .offset:         104
        .size:           4
        .value_kind:     by_value
      - .offset:         108
        .size:           4
        .value_kind:     by_value
      - .offset:         112
        .size:           4
        .value_kind:     by_value
      - .offset:         116
        .size:           4
        .value_kind:     by_value
      - .offset:         120
        .size:           4
        .value_kind:     by_value
      - .offset:         124
        .size:           4
        .value_kind:     by_value
      - .offset:         128
        .size:           4
        .value_kind:     by_value
      - .offset:         132
        .size:           4
        .value_kind:     by_value
      - .offset:         136
        .size:           4
        .value_kind:     by_value
      - .offset:         144
        .size:           4
        .value_kind:     hidden_block_count_x
      - .offset:         148
        .size:           4
        .value_kind:     hidden_block_count_y
      - .offset:         152
        .size:           4
        .value_kind:     hidden_block_count_z
      - .offset:         156
        .size:           2
        .value_kind:     hidden_group_size_x
      - .offset:         158
        .size:           2
        .value_kind:     hidden_group_size_y
      - .offset:         160
        .size:           2
        .value_kind:     hidden_group_size_z
      - .offset:         162
        .size:           2
        .value_kind:     hidden_remainder_x
      - .offset:         164
        .size:           2
        .value_kind:     hidden_remainder_y
      - .offset:         166
        .size:           2
        .value_kind:     hidden_remainder_z
      - .offset:         184
        .size:           8
        .value_kind:     hidden_global_offset_x
      - .offset:         192
        .size:           8
        .value_kind:     hidden_global_offset_y
      - .offset:         200
        .size:           8
        .value_kind:     hidden_global_offset_z
      - .offset:         208
        .size:           2
        .value_kind:     hidden_grid_dims
    .group_segment_fixed_size: 16
    .kernarg_segment_align: 8
    .kernarg_segment_size: 400
    .language:       OpenCL C
    .language_version:
      - 2
      - 0
    .max_flat_workgroup_size: 1024
    .name:           _ZN5aiter35fused_qk_rmsnorm_group_quant_kernelItN4opus5fp4_tELi128ELi16ELi4ELb1ELb1ELb1ELb0ELb0ELb0EEEvPT0_PvPT_S7_S7_PKS6_S9_S9_S9_S9_ffiiiiiiiiiiiii
    .private_segment_fixed_size: 0
    .sgpr_count:     48
    .sgpr_spill_count: 0
    .symbol:         _ZN5aiter35fused_qk_rmsnorm_group_quant_kernelItN4opus5fp4_tELi128ELi16ELi4ELb1ELb1ELb1ELb0ELb0ELb0EEEvPT0_PvPT_S7_S7_PKS6_S9_S9_S9_S9_ffiiiiiiiiiiiii.kd
    .uniform_work_group_size: 1
    .uses_dynamic_stack: false
    .vgpr_count:     76
    .vgpr_spill_count: 0
    .wavefront_size: 64
  - .agpr_count:     0
    .args:
      - .actual_access:  write_only
        .address_space:  global
        .offset:         0
        .size:           8
        .value_kind:     global_buffer
      - .actual_access:  write_only
        .address_space:  global
        .offset:         8
        .size:           8
        .value_kind:     global_buffer
      - .actual_access:  write_only
        .address_space:  global
        .offset:         16
        .size:           8
        .value_kind:     global_buffer
      - .actual_access:  write_only
        .address_space:  global
        .offset:         24
        .size:           8
        .value_kind:     global_buffer
      - .actual_access:  write_only
        .address_space:  global
        .offset:         32
        .size:           8
        .value_kind:     global_buffer
      - .actual_access:  read_only
        .address_space:  global
        .offset:         40
        .size:           8
        .value_kind:     global_buffer
      - .actual_access:  read_only
        .address_space:  global
        .offset:         48
        .size:           8
        .value_kind:     global_buffer
      - .actual_access:  read_only
        .address_space:  global
        .offset:         56
        .size:           8
        .value_kind:     global_buffer
      - .actual_access:  read_only
        .address_space:  global
        .offset:         64
        .size:           8
        .value_kind:     global_buffer
      - .actual_access:  read_only
        .address_space:  global
        .offset:         72
        .size:           8
        .value_kind:     global_buffer
      - .offset:         80
        .size:           4
        .value_kind:     by_value
      - .offset:         84
        .size:           4
        .value_kind:     by_value
      - .offset:         88
        .size:           4
        .value_kind:     by_value
      - .offset:         92
        .size:           4
        .value_kind:     by_value
      - .offset:         96
        .size:           4
        .value_kind:     by_value
      - .offset:         100
        .size:           4
        .value_kind:     by_value
      - .offset:         104
        .size:           4
        .value_kind:     by_value
      - .offset:         108
        .size:           4
        .value_kind:     by_value
      - .offset:         112
        .size:           4
        .value_kind:     by_value
      - .offset:         116
        .size:           4
        .value_kind:     by_value
      - .offset:         120
        .size:           4
        .value_kind:     by_value
      - .offset:         124
        .size:           4
        .value_kind:     by_value
      - .offset:         128
        .size:           4
        .value_kind:     by_value
      - .offset:         132
        .size:           4
        .value_kind:     by_value
      - .offset:         136
        .size:           4
        .value_kind:     by_value
      - .offset:         144
        .size:           4
        .value_kind:     hidden_block_count_x
      - .offset:         148
        .size:           4
        .value_kind:     hidden_block_count_y
      - .offset:         152
        .size:           4
        .value_kind:     hidden_block_count_z
      - .offset:         156
        .size:           2
        .value_kind:     hidden_group_size_x
      - .offset:         158
        .size:           2
        .value_kind:     hidden_group_size_y
      - .offset:         160
        .size:           2
        .value_kind:     hidden_group_size_z
      - .offset:         162
        .size:           2
        .value_kind:     hidden_remainder_x
      - .offset:         164
        .size:           2
        .value_kind:     hidden_remainder_y
      - .offset:         166
        .size:           2
        .value_kind:     hidden_remainder_z
      - .offset:         184
        .size:           8
        .value_kind:     hidden_global_offset_x
      - .offset:         192
        .size:           8
        .value_kind:     hidden_global_offset_y
      - .offset:         200
        .size:           8
        .value_kind:     hidden_global_offset_z
      - .offset:         208
        .size:           2
        .value_kind:     hidden_grid_dims
    .group_segment_fixed_size: 16
    .kernarg_segment_align: 8
    .kernarg_segment_size: 400
    .language:       OpenCL C
    .language_version:
      - 2
      - 0
    .max_flat_workgroup_size: 1024
    .name:           _ZN5aiter35fused_qk_rmsnorm_group_quant_kernelIDF16_DB8_Li128ELi16ELi4ELb1ELb1ELb0ELb0ELb0ELb0EEEvPT0_PvPT_S6_S6_PKS5_S8_S8_S8_S8_ffiiiiiiiiiiiii
    .private_segment_fixed_size: 0
    .sgpr_count:     48
    .sgpr_spill_count: 0
    .symbol:         _ZN5aiter35fused_qk_rmsnorm_group_quant_kernelIDF16_DB8_Li128ELi16ELi4ELb1ELb1ELb0ELb0ELb0ELb0EEEvPT0_PvPT_S6_S6_PKS5_S8_S8_S8_S8_ffiiiiiiiiiiiii.kd
    .uniform_work_group_size: 1
    .uses_dynamic_stack: false
    .vgpr_count:     94
    .vgpr_spill_count: 0
    .wavefront_size: 64
  - .agpr_count:     0
    .args:
      - .actual_access:  write_only
        .address_space:  global
        .offset:         0
        .size:           8
        .value_kind:     global_buffer
      - .actual_access:  write_only
        .address_space:  global
        .offset:         8
        .size:           8
        .value_kind:     global_buffer
      - .actual_access:  write_only
        .address_space:  global
        .offset:         16
        .size:           8
        .value_kind:     global_buffer
      - .actual_access:  write_only
        .address_space:  global
        .offset:         24
        .size:           8
        .value_kind:     global_buffer
      - .actual_access:  write_only
        .address_space:  global
        .offset:         32
        .size:           8
        .value_kind:     global_buffer
      - .actual_access:  read_only
        .address_space:  global
        .offset:         40
        .size:           8
        .value_kind:     global_buffer
      - .actual_access:  read_only
        .address_space:  global
        .offset:         48
        .size:           8
        .value_kind:     global_buffer
      - .actual_access:  read_only
        .address_space:  global
        .offset:         56
        .size:           8
        .value_kind:     global_buffer
      - .actual_access:  read_only
        .address_space:  global
        .offset:         64
        .size:           8
        .value_kind:     global_buffer
      - .actual_access:  read_only
        .address_space:  global
        .offset:         72
        .size:           8
        .value_kind:     global_buffer
      - .offset:         80
        .size:           4
        .value_kind:     by_value
      - .offset:         84
        .size:           4
        .value_kind:     by_value
      - .offset:         88
        .size:           4
        .value_kind:     by_value
      - .offset:         92
        .size:           4
        .value_kind:     by_value
      - .offset:         96
        .size:           4
        .value_kind:     by_value
      - .offset:         100
        .size:           4
        .value_kind:     by_value
      - .offset:         104
        .size:           4
        .value_kind:     by_value
      - .offset:         108
        .size:           4
        .value_kind:     by_value
      - .offset:         112
        .size:           4
        .value_kind:     by_value
      - .offset:         116
        .size:           4
        .value_kind:     by_value
      - .offset:         120
        .size:           4
        .value_kind:     by_value
      - .offset:         124
        .size:           4
        .value_kind:     by_value
      - .offset:         128
        .size:           4
        .value_kind:     by_value
      - .offset:         132
        .size:           4
        .value_kind:     by_value
      - .offset:         136
        .size:           4
        .value_kind:     by_value
      - .offset:         144
        .size:           4
        .value_kind:     hidden_block_count_x
      - .offset:         148
        .size:           4
        .value_kind:     hidden_block_count_y
      - .offset:         152
        .size:           4
        .value_kind:     hidden_block_count_z
      - .offset:         156
        .size:           2
        .value_kind:     hidden_group_size_x
      - .offset:         158
        .size:           2
        .value_kind:     hidden_group_size_y
      - .offset:         160
        .size:           2
        .value_kind:     hidden_group_size_z
      - .offset:         162
        .size:           2
        .value_kind:     hidden_remainder_x
      - .offset:         164
        .size:           2
        .value_kind:     hidden_remainder_y
      - .offset:         166
        .size:           2
        .value_kind:     hidden_remainder_z
      - .offset:         184
        .size:           8
        .value_kind:     hidden_global_offset_x
      - .offset:         192
        .size:           8
        .value_kind:     hidden_global_offset_y
      - .offset:         200
        .size:           8
        .value_kind:     hidden_global_offset_z
      - .offset:         208
        .size:           2
        .value_kind:     hidden_grid_dims
    .group_segment_fixed_size: 16
    .kernarg_segment_align: 8
    .kernarg_segment_size: 400
    .language:       OpenCL C
    .language_version:
      - 2
      - 0
    .max_flat_workgroup_size: 1024
    .name:           _ZN5aiter35fused_qk_rmsnorm_group_quant_kernelItDB8_Li128ELi16ELi4ELb1ELb1ELb0ELb0ELb0ELb0EEEvPT0_PvPT_S6_S6_PKS5_S8_S8_S8_S8_ffiiiiiiiiiiiii
    .private_segment_fixed_size: 0
    .sgpr_count:     48
    .sgpr_spill_count: 0
    .symbol:         _ZN5aiter35fused_qk_rmsnorm_group_quant_kernelItDB8_Li128ELi16ELi4ELb1ELb1ELb0ELb0ELb0ELb0EEEvPT0_PvPT_S6_S6_PKS5_S8_S8_S8_S8_ffiiiiiiiiiiiii.kd
    .uniform_work_group_size: 1
    .uses_dynamic_stack: false
    .vgpr_count:     96
    .vgpr_spill_count: 0
    .wavefront_size: 64
  - .agpr_count:     0
    .args:
      - .actual_access:  write_only
        .address_space:  global
        .offset:         0
        .size:           8
        .value_kind:     global_buffer
      - .actual_access:  write_only
        .address_space:  global
        .offset:         8
        .size:           8
        .value_kind:     global_buffer
      - .actual_access:  write_only
        .address_space:  global
        .offset:         16
        .size:           8
        .value_kind:     global_buffer
      - .actual_access:  write_only
        .address_space:  global
        .offset:         24
        .size:           8
        .value_kind:     global_buffer
      - .actual_access:  write_only
        .address_space:  global
        .offset:         32
        .size:           8
        .value_kind:     global_buffer
      - .actual_access:  read_only
        .address_space:  global
        .offset:         40
        .size:           8
        .value_kind:     global_buffer
      - .actual_access:  read_only
        .address_space:  global
        .offset:         48
        .size:           8
        .value_kind:     global_buffer
      - .actual_access:  read_only
        .address_space:  global
        .offset:         56
        .size:           8
        .value_kind:     global_buffer
      - .actual_access:  read_only
        .address_space:  global
        .offset:         64
        .size:           8
        .value_kind:     global_buffer
      - .actual_access:  read_only
        .address_space:  global
        .offset:         72
        .size:           8
        .value_kind:     global_buffer
      - .offset:         80
        .size:           4
        .value_kind:     by_value
      - .offset:         84
        .size:           4
        .value_kind:     by_value
      - .offset:         88
        .size:           4
        .value_kind:     by_value
      - .offset:         92
        .size:           4
        .value_kind:     by_value
      - .offset:         96
        .size:           4
        .value_kind:     by_value
      - .offset:         100
        .size:           4
        .value_kind:     by_value
      - .offset:         104
        .size:           4
        .value_kind:     by_value
      - .offset:         108
        .size:           4
        .value_kind:     by_value
      - .offset:         112
        .size:           4
        .value_kind:     by_value
      - .offset:         116
        .size:           4
        .value_kind:     by_value
      - .offset:         120
        .size:           4
        .value_kind:     by_value
      - .offset:         124
        .size:           4
        .value_kind:     by_value
      - .offset:         128
        .size:           4
        .value_kind:     by_value
      - .offset:         132
        .size:           4
        .value_kind:     by_value
      - .offset:         136
        .size:           4
        .value_kind:     by_value
      - .offset:         144
        .size:           4
        .value_kind:     hidden_block_count_x
      - .offset:         148
        .size:           4
        .value_kind:     hidden_block_count_y
      - .offset:         152
        .size:           4
        .value_kind:     hidden_block_count_z
      - .offset:         156
        .size:           2
        .value_kind:     hidden_group_size_x
      - .offset:         158
        .size:           2
        .value_kind:     hidden_group_size_y
      - .offset:         160
        .size:           2
        .value_kind:     hidden_group_size_z
      - .offset:         162
        .size:           2
        .value_kind:     hidden_remainder_x
      - .offset:         164
        .size:           2
        .value_kind:     hidden_remainder_y
      - .offset:         166
        .size:           2
        .value_kind:     hidden_remainder_z
      - .offset:         184
        .size:           8
        .value_kind:     hidden_global_offset_x
      - .offset:         192
        .size:           8
        .value_kind:     hidden_global_offset_y
      - .offset:         200
        .size:           8
        .value_kind:     hidden_global_offset_z
      - .offset:         208
        .size:           2
        .value_kind:     hidden_grid_dims
    .group_segment_fixed_size: 16
    .kernarg_segment_align: 8
    .kernarg_segment_size: 400
    .language:       OpenCL C
    .language_version:
      - 2
      - 0
    .max_flat_workgroup_size: 1024
    .name:           _ZN5aiter35fused_qk_rmsnorm_group_quant_kernelIDF16_N4opus5fp4_tELi128ELi16ELi4ELb1ELb1ELb0ELb0ELb0ELb0EEEvPT0_PvPT_S7_S7_PKS6_S9_S9_S9_S9_ffiiiiiiiiiiiii
    .private_segment_fixed_size: 0
    .sgpr_count:     48
    .sgpr_spill_count: 0
    .symbol:         _ZN5aiter35fused_qk_rmsnorm_group_quant_kernelIDF16_N4opus5fp4_tELi128ELi16ELi4ELb1ELb1ELb0ELb0ELb0ELb0EEEvPT0_PvPT_S7_S7_PKS6_S9_S9_S9_S9_ffiiiiiiiiiiiii.kd
    .uniform_work_group_size: 1
    .uses_dynamic_stack: false
    .vgpr_count:     47
    .vgpr_spill_count: 0
    .wavefront_size: 64
  - .agpr_count:     0
    .args:
      - .actual_access:  write_only
        .address_space:  global
        .offset:         0
        .size:           8
        .value_kind:     global_buffer
      - .actual_access:  write_only
        .address_space:  global
        .offset:         8
        .size:           8
        .value_kind:     global_buffer
      - .actual_access:  write_only
        .address_space:  global
        .offset:         16
        .size:           8
        .value_kind:     global_buffer
      - .actual_access:  write_only
        .address_space:  global
        .offset:         24
        .size:           8
        .value_kind:     global_buffer
      - .actual_access:  write_only
        .address_space:  global
        .offset:         32
        .size:           8
        .value_kind:     global_buffer
      - .actual_access:  read_only
        .address_space:  global
        .offset:         40
        .size:           8
        .value_kind:     global_buffer
      - .actual_access:  read_only
        .address_space:  global
        .offset:         48
        .size:           8
        .value_kind:     global_buffer
      - .actual_access:  read_only
        .address_space:  global
        .offset:         56
        .size:           8
        .value_kind:     global_buffer
      - .actual_access:  read_only
        .address_space:  global
        .offset:         64
        .size:           8
        .value_kind:     global_buffer
      - .actual_access:  read_only
        .address_space:  global
        .offset:         72
        .size:           8
        .value_kind:     global_buffer
      - .offset:         80
        .size:           4
        .value_kind:     by_value
      - .offset:         84
        .size:           4
        .value_kind:     by_value
      - .offset:         88
        .size:           4
        .value_kind:     by_value
      - .offset:         92
        .size:           4
        .value_kind:     by_value
      - .offset:         96
        .size:           4
        .value_kind:     by_value
      - .offset:         100
        .size:           4
        .value_kind:     by_value
      - .offset:         104
        .size:           4
        .value_kind:     by_value
      - .offset:         108
        .size:           4
        .value_kind:     by_value
      - .offset:         112
        .size:           4
        .value_kind:     by_value
      - .offset:         116
        .size:           4
        .value_kind:     by_value
      - .offset:         120
        .size:           4
        .value_kind:     by_value
      - .offset:         124
        .size:           4
        .value_kind:     by_value
      - .offset:         128
        .size:           4
        .value_kind:     by_value
      - .offset:         132
        .size:           4
        .value_kind:     by_value
      - .offset:         136
        .size:           4
        .value_kind:     by_value
      - .offset:         144
        .size:           4
        .value_kind:     hidden_block_count_x
      - .offset:         148
        .size:           4
        .value_kind:     hidden_block_count_y
      - .offset:         152
        .size:           4
        .value_kind:     hidden_block_count_z
      - .offset:         156
        .size:           2
        .value_kind:     hidden_group_size_x
      - .offset:         158
        .size:           2
        .value_kind:     hidden_group_size_y
      - .offset:         160
        .size:           2
        .value_kind:     hidden_group_size_z
      - .offset:         162
        .size:           2
        .value_kind:     hidden_remainder_x
      - .offset:         164
        .size:           2
        .value_kind:     hidden_remainder_y
      - .offset:         166
        .size:           2
        .value_kind:     hidden_remainder_z
      - .offset:         184
        .size:           8
        .value_kind:     hidden_global_offset_x
      - .offset:         192
        .size:           8
        .value_kind:     hidden_global_offset_y
      - .offset:         200
        .size:           8
        .value_kind:     hidden_global_offset_z
      - .offset:         208
        .size:           2
        .value_kind:     hidden_grid_dims
    .group_segment_fixed_size: 16
    .kernarg_segment_align: 8
    .kernarg_segment_size: 400
    .language:       OpenCL C
    .language_version:
      - 2
      - 0
    .max_flat_workgroup_size: 1024
    .name:           _ZN5aiter35fused_qk_rmsnorm_group_quant_kernelItN4opus5fp4_tELi128ELi16ELi4ELb1ELb1ELb0ELb0ELb0ELb0EEEvPT0_PvPT_S7_S7_PKS6_S9_S9_S9_S9_ffiiiiiiiiiiiii
    .private_segment_fixed_size: 0
    .sgpr_count:     48
    .sgpr_spill_count: 0
    .symbol:         _ZN5aiter35fused_qk_rmsnorm_group_quant_kernelItN4opus5fp4_tELi128ELi16ELi4ELb1ELb1ELb0ELb0ELb0ELb0EEEvPT0_PvPT_S7_S7_PKS6_S9_S9_S9_S9_ffiiiiiiiiiiiii.kd
    .uniform_work_group_size: 1
    .uses_dynamic_stack: false
    .vgpr_count:     94
    .vgpr_spill_count: 0
    .wavefront_size: 64
  - .agpr_count:     0
    .args:
      - .actual_access:  write_only
        .address_space:  global
        .offset:         0
        .size:           8
        .value_kind:     global_buffer
      - .actual_access:  write_only
        .address_space:  global
        .offset:         8
        .size:           8
        .value_kind:     global_buffer
      - .actual_access:  read_only
        .address_space:  global
        .offset:         16
        .size:           8
        .value_kind:     global_buffer
      - .actual_access:  write_only
        .address_space:  global
        .offset:         24
        .size:           8
        .value_kind:     global_buffer
      - .actual_access:  write_only
        .address_space:  global
        .offset:         32
        .size:           8
        .value_kind:     global_buffer
      - .actual_access:  read_only
        .address_space:  global
        .offset:         40
        .size:           8
        .value_kind:     global_buffer
      - .actual_access:  read_only
        .address_space:  global
        .offset:         48
        .size:           8
        .value_kind:     global_buffer
      - .actual_access:  read_only
        .address_space:  global
        .offset:         56
        .size:           8
        .value_kind:     global_buffer
      - .actual_access:  read_only
        .address_space:  global
        .offset:         64
        .size:           8
        .value_kind:     global_buffer
      - .actual_access:  read_only
        .address_space:  global
        .offset:         72
        .size:           8
        .value_kind:     global_buffer
      - .offset:         80
        .size:           4
        .value_kind:     by_value
      - .offset:         84
        .size:           4
        .value_kind:     by_value
      - .offset:         88
        .size:           4
        .value_kind:     by_value
      - .offset:         92
        .size:           4
        .value_kind:     by_value
      - .offset:         96
        .size:           4
        .value_kind:     by_value
      - .offset:         100
        .size:           4
        .value_kind:     by_value
      - .offset:         104
        .size:           4
        .value_kind:     by_value
      - .offset:         108
        .size:           4
        .value_kind:     by_value
      - .offset:         112
        .size:           4
        .value_kind:     by_value
      - .offset:         116
        .size:           4
        .value_kind:     by_value
      - .offset:         120
        .size:           4
        .value_kind:     by_value
      - .offset:         124
        .size:           4
        .value_kind:     by_value
      - .offset:         128
        .size:           4
        .value_kind:     by_value
      - .offset:         132
        .size:           4
        .value_kind:     by_value
      - .offset:         136
        .size:           4
        .value_kind:     by_value
      - .offset:         144
        .size:           4
        .value_kind:     hidden_block_count_x
      - .offset:         148
        .size:           4
        .value_kind:     hidden_block_count_y
      - .offset:         152
        .size:           4
        .value_kind:     hidden_block_count_z
      - .offset:         156
        .size:           2
        .value_kind:     hidden_group_size_x
      - .offset:         158
        .size:           2
        .value_kind:     hidden_group_size_y
      - .offset:         160
        .size:           2
        .value_kind:     hidden_group_size_z
      - .offset:         162
        .size:           2
        .value_kind:     hidden_remainder_x
      - .offset:         164
        .size:           2
        .value_kind:     hidden_remainder_y
      - .offset:         166
        .size:           2
        .value_kind:     hidden_remainder_z
      - .offset:         184
        .size:           8
        .value_kind:     hidden_global_offset_x
      - .offset:         192
        .size:           8
        .value_kind:     hidden_global_offset_y
      - .offset:         200
        .size:           8
        .value_kind:     hidden_global_offset_z
      - .offset:         208
        .size:           2
        .value_kind:     hidden_grid_dims
    .group_segment_fixed_size: 16
    .kernarg_segment_align: 8
    .kernarg_segment_size: 400
    .language:       OpenCL C
    .language_version:
      - 2
      - 0
    .max_flat_workgroup_size: 1024
    .name:           _ZN5aiter35fused_qk_rmsnorm_group_quant_kernelIDF16_DB8_Li128ELi16ELi4ELb1ELb0ELb1ELb0ELb0ELb0EEEvPT0_PvPT_S6_S6_PKS5_S8_S8_S8_S8_ffiiiiiiiiiiiii
    .private_segment_fixed_size: 0
    .sgpr_count:     48
    .sgpr_spill_count: 0
    .symbol:         _ZN5aiter35fused_qk_rmsnorm_group_quant_kernelIDF16_DB8_Li128ELi16ELi4ELb1ELb0ELb1ELb0ELb0ELb0EEEvPT0_PvPT_S6_S6_PKS5_S8_S8_S8_S8_ffiiiiiiiiiiiii.kd
    .uniform_work_group_size: 1
    .uses_dynamic_stack: false
    .vgpr_count:     90
    .vgpr_spill_count: 0
    .wavefront_size: 64
  - .agpr_count:     0
    .args:
      - .actual_access:  write_only
        .address_space:  global
        .offset:         0
        .size:           8
        .value_kind:     global_buffer
      - .actual_access:  write_only
        .address_space:  global
        .offset:         8
        .size:           8
        .value_kind:     global_buffer
      - .actual_access:  read_only
        .address_space:  global
        .offset:         16
        .size:           8
        .value_kind:     global_buffer
      - .actual_access:  write_only
        .address_space:  global
        .offset:         24
        .size:           8
        .value_kind:     global_buffer
      - .actual_access:  write_only
        .address_space:  global
        .offset:         32
        .size:           8
        .value_kind:     global_buffer
      - .actual_access:  read_only
        .address_space:  global
        .offset:         40
        .size:           8
        .value_kind:     global_buffer
      - .actual_access:  read_only
        .address_space:  global
        .offset:         48
        .size:           8
        .value_kind:     global_buffer
      - .actual_access:  read_only
        .address_space:  global
        .offset:         56
        .size:           8
        .value_kind:     global_buffer
      - .actual_access:  read_only
        .address_space:  global
        .offset:         64
        .size:           8
        .value_kind:     global_buffer
      - .actual_access:  read_only
        .address_space:  global
        .offset:         72
        .size:           8
        .value_kind:     global_buffer
      - .offset:         80
        .size:           4
        .value_kind:     by_value
      - .offset:         84
        .size:           4
        .value_kind:     by_value
      - .offset:         88
        .size:           4
        .value_kind:     by_value
      - .offset:         92
        .size:           4
        .value_kind:     by_value
      - .offset:         96
        .size:           4
        .value_kind:     by_value
      - .offset:         100
        .size:           4
        .value_kind:     by_value
      - .offset:         104
        .size:           4
        .value_kind:     by_value
      - .offset:         108
        .size:           4
        .value_kind:     by_value
      - .offset:         112
        .size:           4
        .value_kind:     by_value
      - .offset:         116
        .size:           4
        .value_kind:     by_value
      - .offset:         120
        .size:           4
        .value_kind:     by_value
      - .offset:         124
        .size:           4
        .value_kind:     by_value
      - .offset:         128
        .size:           4
        .value_kind:     by_value
      - .offset:         132
        .size:           4
        .value_kind:     by_value
      - .offset:         136
        .size:           4
        .value_kind:     by_value
      - .offset:         144
        .size:           4
        .value_kind:     hidden_block_count_x
      - .offset:         148
        .size:           4
        .value_kind:     hidden_block_count_y
      - .offset:         152
        .size:           4
        .value_kind:     hidden_block_count_z
      - .offset:         156
        .size:           2
        .value_kind:     hidden_group_size_x
      - .offset:         158
        .size:           2
        .value_kind:     hidden_group_size_y
      - .offset:         160
        .size:           2
        .value_kind:     hidden_group_size_z
      - .offset:         162
        .size:           2
        .value_kind:     hidden_remainder_x
      - .offset:         164
        .size:           2
        .value_kind:     hidden_remainder_y
      - .offset:         166
        .size:           2
        .value_kind:     hidden_remainder_z
      - .offset:         184
        .size:           8
        .value_kind:     hidden_global_offset_x
      - .offset:         192
        .size:           8
        .value_kind:     hidden_global_offset_y
      - .offset:         200
        .size:           8
        .value_kind:     hidden_global_offset_z
      - .offset:         208
        .size:           2
        .value_kind:     hidden_grid_dims
    .group_segment_fixed_size: 16
    .kernarg_segment_align: 8
    .kernarg_segment_size: 400
    .language:       OpenCL C
    .language_version:
      - 2
      - 0
    .max_flat_workgroup_size: 1024
    .name:           _ZN5aiter35fused_qk_rmsnorm_group_quant_kernelItDB8_Li128ELi16ELi4ELb1ELb0ELb1ELb0ELb0ELb0EEEvPT0_PvPT_S6_S6_PKS5_S8_S8_S8_S8_ffiiiiiiiiiiiii
    .private_segment_fixed_size: 0
    .sgpr_count:     48
    .sgpr_spill_count: 0
    .symbol:         _ZN5aiter35fused_qk_rmsnorm_group_quant_kernelItDB8_Li128ELi16ELi4ELb1ELb0ELb1ELb0ELb0ELb0EEEvPT0_PvPT_S6_S6_PKS5_S8_S8_S8_S8_ffiiiiiiiiiiiii.kd
    .uniform_work_group_size: 1
    .uses_dynamic_stack: false
    .vgpr_count:     88
    .vgpr_spill_count: 0
    .wavefront_size: 64
  - .agpr_count:     0
    .args:
      - .actual_access:  write_only
        .address_space:  global
        .offset:         0
        .size:           8
        .value_kind:     global_buffer
      - .actual_access:  write_only
        .address_space:  global
        .offset:         8
        .size:           8
        .value_kind:     global_buffer
      - .actual_access:  read_only
        .address_space:  global
        .offset:         16
        .size:           8
        .value_kind:     global_buffer
      - .actual_access:  write_only
        .address_space:  global
        .offset:         24
        .size:           8
        .value_kind:     global_buffer
      - .actual_access:  write_only
        .address_space:  global
        .offset:         32
        .size:           8
        .value_kind:     global_buffer
      - .actual_access:  read_only
        .address_space:  global
        .offset:         40
        .size:           8
        .value_kind:     global_buffer
      - .actual_access:  read_only
        .address_space:  global
        .offset:         48
        .size:           8
        .value_kind:     global_buffer
      - .actual_access:  read_only
        .address_space:  global
        .offset:         56
        .size:           8
        .value_kind:     global_buffer
      - .actual_access:  read_only
        .address_space:  global
        .offset:         64
        .size:           8
        .value_kind:     global_buffer
      - .actual_access:  read_only
        .address_space:  global
        .offset:         72
        .size:           8
        .value_kind:     global_buffer
      - .offset:         80
        .size:           4
        .value_kind:     by_value
      - .offset:         84
        .size:           4
        .value_kind:     by_value
      - .offset:         88
        .size:           4
        .value_kind:     by_value
      - .offset:         92
        .size:           4
        .value_kind:     by_value
      - .offset:         96
        .size:           4
        .value_kind:     by_value
      - .offset:         100
        .size:           4
        .value_kind:     by_value
      - .offset:         104
        .size:           4
        .value_kind:     by_value
      - .offset:         108
        .size:           4
        .value_kind:     by_value
      - .offset:         112
        .size:           4
        .value_kind:     by_value
      - .offset:         116
        .size:           4
        .value_kind:     by_value
      - .offset:         120
        .size:           4
        .value_kind:     by_value
      - .offset:         124
        .size:           4
        .value_kind:     by_value
      - .offset:         128
        .size:           4
        .value_kind:     by_value
      - .offset:         132
        .size:           4
        .value_kind:     by_value
      - .offset:         136
        .size:           4
        .value_kind:     by_value
      - .offset:         144
        .size:           4
        .value_kind:     hidden_block_count_x
      - .offset:         148
        .size:           4
        .value_kind:     hidden_block_count_y
      - .offset:         152
        .size:           4
        .value_kind:     hidden_block_count_z
      - .offset:         156
        .size:           2
        .value_kind:     hidden_group_size_x
      - .offset:         158
        .size:           2
        .value_kind:     hidden_group_size_y
      - .offset:         160
        .size:           2
        .value_kind:     hidden_group_size_z
      - .offset:         162
        .size:           2
        .value_kind:     hidden_remainder_x
      - .offset:         164
        .size:           2
        .value_kind:     hidden_remainder_y
      - .offset:         166
        .size:           2
        .value_kind:     hidden_remainder_z
      - .offset:         184
        .size:           8
        .value_kind:     hidden_global_offset_x
      - .offset:         192
        .size:           8
        .value_kind:     hidden_global_offset_y
      - .offset:         200
        .size:           8
        .value_kind:     hidden_global_offset_z
      - .offset:         208
        .size:           2
        .value_kind:     hidden_grid_dims
    .group_segment_fixed_size: 16
    .kernarg_segment_align: 8
    .kernarg_segment_size: 400
    .language:       OpenCL C
    .language_version:
      - 2
      - 0
    .max_flat_workgroup_size: 1024
    .name:           _ZN5aiter35fused_qk_rmsnorm_group_quant_kernelIDF16_N4opus5fp4_tELi128ELi16ELi4ELb1ELb0ELb1ELb0ELb0ELb0EEEvPT0_PvPT_S7_S7_PKS6_S9_S9_S9_S9_ffiiiiiiiiiiiii
    .private_segment_fixed_size: 0
    .sgpr_count:     44
    .sgpr_spill_count: 0
    .symbol:         _ZN5aiter35fused_qk_rmsnorm_group_quant_kernelIDF16_N4opus5fp4_tELi128ELi16ELi4ELb1ELb0ELb1ELb0ELb0ELb0EEEvPT0_PvPT_S7_S7_PKS6_S9_S9_S9_S9_ffiiiiiiiiiiiii.kd
    .uniform_work_group_size: 1
    .uses_dynamic_stack: false
    .vgpr_count:     49
    .vgpr_spill_count: 0
    .wavefront_size: 64
  - .agpr_count:     0
    .args:
      - .actual_access:  write_only
        .address_space:  global
        .offset:         0
        .size:           8
        .value_kind:     global_buffer
      - .actual_access:  write_only
        .address_space:  global
        .offset:         8
        .size:           8
        .value_kind:     global_buffer
      - .actual_access:  read_only
        .address_space:  global
        .offset:         16
        .size:           8
        .value_kind:     global_buffer
      - .actual_access:  write_only
        .address_space:  global
        .offset:         24
        .size:           8
        .value_kind:     global_buffer
      - .actual_access:  write_only
        .address_space:  global
        .offset:         32
        .size:           8
        .value_kind:     global_buffer
      - .actual_access:  read_only
        .address_space:  global
        .offset:         40
        .size:           8
        .value_kind:     global_buffer
      - .actual_access:  read_only
        .address_space:  global
        .offset:         48
        .size:           8
        .value_kind:     global_buffer
      - .actual_access:  read_only
        .address_space:  global
        .offset:         56
        .size:           8
        .value_kind:     global_buffer
      - .actual_access:  read_only
        .address_space:  global
        .offset:         64
        .size:           8
        .value_kind:     global_buffer
      - .actual_access:  read_only
        .address_space:  global
        .offset:         72
        .size:           8
        .value_kind:     global_buffer
      - .offset:         80
        .size:           4
        .value_kind:     by_value
      - .offset:         84
        .size:           4
        .value_kind:     by_value
      - .offset:         88
        .size:           4
        .value_kind:     by_value
      - .offset:         92
        .size:           4
        .value_kind:     by_value
      - .offset:         96
        .size:           4
        .value_kind:     by_value
      - .offset:         100
        .size:           4
        .value_kind:     by_value
      - .offset:         104
        .size:           4
        .value_kind:     by_value
      - .offset:         108
        .size:           4
        .value_kind:     by_value
      - .offset:         112
        .size:           4
        .value_kind:     by_value
      - .offset:         116
        .size:           4
        .value_kind:     by_value
      - .offset:         120
        .size:           4
        .value_kind:     by_value
      - .offset:         124
        .size:           4
        .value_kind:     by_value
      - .offset:         128
        .size:           4
        .value_kind:     by_value
      - .offset:         132
        .size:           4
        .value_kind:     by_value
      - .offset:         136
        .size:           4
        .value_kind:     by_value
      - .offset:         144
        .size:           4
        .value_kind:     hidden_block_count_x
      - .offset:         148
        .size:           4
        .value_kind:     hidden_block_count_y
      - .offset:         152
        .size:           4
        .value_kind:     hidden_block_count_z
      - .offset:         156
        .size:           2
        .value_kind:     hidden_group_size_x
      - .offset:         158
        .size:           2
        .value_kind:     hidden_group_size_y
      - .offset:         160
        .size:           2
        .value_kind:     hidden_group_size_z
      - .offset:         162
        .size:           2
        .value_kind:     hidden_remainder_x
      - .offset:         164
        .size:           2
        .value_kind:     hidden_remainder_y
      - .offset:         166
        .size:           2
        .value_kind:     hidden_remainder_z
      - .offset:         184
        .size:           8
        .value_kind:     hidden_global_offset_x
      - .offset:         192
        .size:           8
        .value_kind:     hidden_global_offset_y
      - .offset:         200
        .size:           8
        .value_kind:     hidden_global_offset_z
      - .offset:         208
        .size:           2
        .value_kind:     hidden_grid_dims
    .group_segment_fixed_size: 16
    .kernarg_segment_align: 8
    .kernarg_segment_size: 400
    .language:       OpenCL C
    .language_version:
      - 2
      - 0
    .max_flat_workgroup_size: 1024
    .name:           _ZN5aiter35fused_qk_rmsnorm_group_quant_kernelItN4opus5fp4_tELi128ELi16ELi4ELb1ELb0ELb1ELb0ELb0ELb0EEEvPT0_PvPT_S7_S7_PKS6_S9_S9_S9_S9_ffiiiiiiiiiiiii
    .private_segment_fixed_size: 0
    .sgpr_count:     44
    .sgpr_spill_count: 0
    .symbol:         _ZN5aiter35fused_qk_rmsnorm_group_quant_kernelItN4opus5fp4_tELi128ELi16ELi4ELb1ELb0ELb1ELb0ELb0ELb0EEEvPT0_PvPT_S7_S7_PKS6_S9_S9_S9_S9_ffiiiiiiiiiiiii.kd
    .uniform_work_group_size: 1
    .uses_dynamic_stack: false
    .vgpr_count:     76
    .vgpr_spill_count: 0
    .wavefront_size: 64
  - .agpr_count:     0
    .args:
      - .actual_access:  write_only
        .address_space:  global
        .offset:         0
        .size:           8
        .value_kind:     global_buffer
      - .actual_access:  write_only
        .address_space:  global
        .offset:         8
        .size:           8
        .value_kind:     global_buffer
      - .actual_access:  read_only
        .address_space:  global
        .offset:         16
        .size:           8
        .value_kind:     global_buffer
      - .actual_access:  write_only
        .address_space:  global
        .offset:         24
        .size:           8
        .value_kind:     global_buffer
      - .actual_access:  write_only
        .address_space:  global
        .offset:         32
        .size:           8
        .value_kind:     global_buffer
      - .actual_access:  read_only
        .address_space:  global
        .offset:         40
        .size:           8
        .value_kind:     global_buffer
      - .actual_access:  read_only
        .address_space:  global
        .offset:         48
        .size:           8
        .value_kind:     global_buffer
      - .actual_access:  read_only
        .address_space:  global
        .offset:         56
        .size:           8
        .value_kind:     global_buffer
      - .actual_access:  read_only
        .address_space:  global
        .offset:         64
        .size:           8
        .value_kind:     global_buffer
      - .actual_access:  read_only
        .address_space:  global
        .offset:         72
        .size:           8
        .value_kind:     global_buffer
      - .offset:         80
        .size:           4
        .value_kind:     by_value
      - .offset:         84
        .size:           4
        .value_kind:     by_value
      - .offset:         88
        .size:           4
        .value_kind:     by_value
      - .offset:         92
        .size:           4
        .value_kind:     by_value
      - .offset:         96
        .size:           4
        .value_kind:     by_value
      - .offset:         100
        .size:           4
        .value_kind:     by_value
      - .offset:         104
        .size:           4
        .value_kind:     by_value
      - .offset:         108
        .size:           4
        .value_kind:     by_value
      - .offset:         112
        .size:           4
        .value_kind:     by_value
      - .offset:         116
        .size:           4
        .value_kind:     by_value
      - .offset:         120
        .size:           4
        .value_kind:     by_value
      - .offset:         124
        .size:           4
        .value_kind:     by_value
      - .offset:         128
        .size:           4
        .value_kind:     by_value
      - .offset:         132
        .size:           4
        .value_kind:     by_value
      - .offset:         136
        .size:           4
        .value_kind:     by_value
      - .offset:         144
        .size:           4
        .value_kind:     hidden_block_count_x
      - .offset:         148
        .size:           4
        .value_kind:     hidden_block_count_y
      - .offset:         152
        .size:           4
        .value_kind:     hidden_block_count_z
      - .offset:         156
        .size:           2
        .value_kind:     hidden_group_size_x
      - .offset:         158
        .size:           2
        .value_kind:     hidden_group_size_y
      - .offset:         160
        .size:           2
        .value_kind:     hidden_group_size_z
      - .offset:         162
        .size:           2
        .value_kind:     hidden_remainder_x
      - .offset:         164
        .size:           2
        .value_kind:     hidden_remainder_y
      - .offset:         166
        .size:           2
        .value_kind:     hidden_remainder_z
      - .offset:         184
        .size:           8
        .value_kind:     hidden_global_offset_x
      - .offset:         192
        .size:           8
        .value_kind:     hidden_global_offset_y
      - .offset:         200
        .size:           8
        .value_kind:     hidden_global_offset_z
      - .offset:         208
        .size:           2
        .value_kind:     hidden_grid_dims
    .group_segment_fixed_size: 16
    .kernarg_segment_align: 8
    .kernarg_segment_size: 400
    .language:       OpenCL C
    .language_version:
      - 2
      - 0
    .max_flat_workgroup_size: 1024
    .name:           _ZN5aiter35fused_qk_rmsnorm_group_quant_kernelIDF16_DB8_Li128ELi16ELi4ELb1ELb0ELb0ELb0ELb0ELb0EEEvPT0_PvPT_S6_S6_PKS5_S8_S8_S8_S8_ffiiiiiiiiiiiii
    .private_segment_fixed_size: 0
    .sgpr_count:     48
    .sgpr_spill_count: 0
    .symbol:         _ZN5aiter35fused_qk_rmsnorm_group_quant_kernelIDF16_DB8_Li128ELi16ELi4ELb1ELb0ELb0ELb0ELb0ELb0EEEvPT0_PvPT_S6_S6_PKS5_S8_S8_S8_S8_ffiiiiiiiiiiiii.kd
    .uniform_work_group_size: 1
    .uses_dynamic_stack: false
    .vgpr_count:     94
    .vgpr_spill_count: 0
    .wavefront_size: 64
  - .agpr_count:     0
    .args:
      - .actual_access:  write_only
        .address_space:  global
        .offset:         0
        .size:           8
        .value_kind:     global_buffer
      - .actual_access:  write_only
        .address_space:  global
        .offset:         8
        .size:           8
        .value_kind:     global_buffer
      - .actual_access:  read_only
        .address_space:  global
        .offset:         16
        .size:           8
        .value_kind:     global_buffer
      - .actual_access:  write_only
        .address_space:  global
        .offset:         24
        .size:           8
        .value_kind:     global_buffer
      - .actual_access:  write_only
        .address_space:  global
        .offset:         32
        .size:           8
        .value_kind:     global_buffer
      - .actual_access:  read_only
        .address_space:  global
        .offset:         40
        .size:           8
        .value_kind:     global_buffer
      - .actual_access:  read_only
        .address_space:  global
        .offset:         48
        .size:           8
        .value_kind:     global_buffer
      - .actual_access:  read_only
        .address_space:  global
        .offset:         56
        .size:           8
        .value_kind:     global_buffer
      - .actual_access:  read_only
        .address_space:  global
        .offset:         64
        .size:           8
        .value_kind:     global_buffer
      - .actual_access:  read_only
        .address_space:  global
        .offset:         72
        .size:           8
        .value_kind:     global_buffer
      - .offset:         80
        .size:           4
        .value_kind:     by_value
      - .offset:         84
        .size:           4
        .value_kind:     by_value
      - .offset:         88
        .size:           4
        .value_kind:     by_value
      - .offset:         92
        .size:           4
        .value_kind:     by_value
      - .offset:         96
        .size:           4
        .value_kind:     by_value
      - .offset:         100
        .size:           4
        .value_kind:     by_value
      - .offset:         104
        .size:           4
        .value_kind:     by_value
      - .offset:         108
        .size:           4
        .value_kind:     by_value
      - .offset:         112
        .size:           4
        .value_kind:     by_value
      - .offset:         116
        .size:           4
        .value_kind:     by_value
      - .offset:         120
        .size:           4
        .value_kind:     by_value
      - .offset:         124
        .size:           4
        .value_kind:     by_value
      - .offset:         128
        .size:           4
        .value_kind:     by_value
      - .offset:         132
        .size:           4
        .value_kind:     by_value
      - .offset:         136
        .size:           4
        .value_kind:     by_value
      - .offset:         144
        .size:           4
        .value_kind:     hidden_block_count_x
      - .offset:         148
        .size:           4
        .value_kind:     hidden_block_count_y
      - .offset:         152
        .size:           4
        .value_kind:     hidden_block_count_z
      - .offset:         156
        .size:           2
        .value_kind:     hidden_group_size_x
      - .offset:         158
        .size:           2
        .value_kind:     hidden_group_size_y
      - .offset:         160
        .size:           2
        .value_kind:     hidden_group_size_z
      - .offset:         162
        .size:           2
        .value_kind:     hidden_remainder_x
      - .offset:         164
        .size:           2
        .value_kind:     hidden_remainder_y
      - .offset:         166
        .size:           2
        .value_kind:     hidden_remainder_z
      - .offset:         184
        .size:           8
        .value_kind:     hidden_global_offset_x
      - .offset:         192
        .size:           8
        .value_kind:     hidden_global_offset_y
      - .offset:         200
        .size:           8
        .value_kind:     hidden_global_offset_z
      - .offset:         208
        .size:           2
        .value_kind:     hidden_grid_dims
    .group_segment_fixed_size: 16
    .kernarg_segment_align: 8
    .kernarg_segment_size: 400
    .language:       OpenCL C
    .language_version:
      - 2
      - 0
    .max_flat_workgroup_size: 1024
    .name:           _ZN5aiter35fused_qk_rmsnorm_group_quant_kernelItDB8_Li128ELi16ELi4ELb1ELb0ELb0ELb0ELb0ELb0EEEvPT0_PvPT_S6_S6_PKS5_S8_S8_S8_S8_ffiiiiiiiiiiiii
    .private_segment_fixed_size: 0
    .sgpr_count:     48
    .sgpr_spill_count: 0
    .symbol:         _ZN5aiter35fused_qk_rmsnorm_group_quant_kernelItDB8_Li128ELi16ELi4ELb1ELb0ELb0ELb0ELb0ELb0EEEvPT0_PvPT_S6_S6_PKS5_S8_S8_S8_S8_ffiiiiiiiiiiiii.kd
    .uniform_work_group_size: 1
    .uses_dynamic_stack: false
    .vgpr_count:     96
    .vgpr_spill_count: 0
    .wavefront_size: 64
  - .agpr_count:     0
    .args:
      - .actual_access:  write_only
        .address_space:  global
        .offset:         0
        .size:           8
        .value_kind:     global_buffer
      - .actual_access:  write_only
        .address_space:  global
        .offset:         8
        .size:           8
        .value_kind:     global_buffer
      - .actual_access:  read_only
        .address_space:  global
        .offset:         16
        .size:           8
        .value_kind:     global_buffer
      - .actual_access:  write_only
        .address_space:  global
        .offset:         24
        .size:           8
        .value_kind:     global_buffer
      - .actual_access:  write_only
        .address_space:  global
        .offset:         32
        .size:           8
        .value_kind:     global_buffer
      - .actual_access:  read_only
        .address_space:  global
        .offset:         40
        .size:           8
        .value_kind:     global_buffer
      - .actual_access:  read_only
        .address_space:  global
        .offset:         48
        .size:           8
        .value_kind:     global_buffer
      - .actual_access:  read_only
        .address_space:  global
        .offset:         56
        .size:           8
        .value_kind:     global_buffer
      - .actual_access:  read_only
        .address_space:  global
        .offset:         64
        .size:           8
        .value_kind:     global_buffer
      - .actual_access:  read_only
        .address_space:  global
        .offset:         72
        .size:           8
        .value_kind:     global_buffer
      - .offset:         80
        .size:           4
        .value_kind:     by_value
      - .offset:         84
        .size:           4
        .value_kind:     by_value
      - .offset:         88
        .size:           4
        .value_kind:     by_value
      - .offset:         92
        .size:           4
        .value_kind:     by_value
      - .offset:         96
        .size:           4
        .value_kind:     by_value
      - .offset:         100
        .size:           4
        .value_kind:     by_value
      - .offset:         104
        .size:           4
        .value_kind:     by_value
      - .offset:         108
        .size:           4
        .value_kind:     by_value
      - .offset:         112
        .size:           4
        .value_kind:     by_value
      - .offset:         116
        .size:           4
        .value_kind:     by_value
      - .offset:         120
        .size:           4
        .value_kind:     by_value
      - .offset:         124
        .size:           4
        .value_kind:     by_value
      - .offset:         128
        .size:           4
        .value_kind:     by_value
      - .offset:         132
        .size:           4
        .value_kind:     by_value
      - .offset:         136
        .size:           4
        .value_kind:     by_value
      - .offset:         144
        .size:           4
        .value_kind:     hidden_block_count_x
      - .offset:         148
        .size:           4
        .value_kind:     hidden_block_count_y
      - .offset:         152
        .size:           4
        .value_kind:     hidden_block_count_z
      - .offset:         156
        .size:           2
        .value_kind:     hidden_group_size_x
      - .offset:         158
        .size:           2
        .value_kind:     hidden_group_size_y
      - .offset:         160
        .size:           2
        .value_kind:     hidden_group_size_z
      - .offset:         162
        .size:           2
        .value_kind:     hidden_remainder_x
      - .offset:         164
        .size:           2
        .value_kind:     hidden_remainder_y
      - .offset:         166
        .size:           2
        .value_kind:     hidden_remainder_z
      - .offset:         184
        .size:           8
        .value_kind:     hidden_global_offset_x
      - .offset:         192
        .size:           8
        .value_kind:     hidden_global_offset_y
      - .offset:         200
        .size:           8
        .value_kind:     hidden_global_offset_z
      - .offset:         208
        .size:           2
        .value_kind:     hidden_grid_dims
    .group_segment_fixed_size: 16
    .kernarg_segment_align: 8
    .kernarg_segment_size: 400
    .language:       OpenCL C
    .language_version:
      - 2
      - 0
    .max_flat_workgroup_size: 1024
    .name:           _ZN5aiter35fused_qk_rmsnorm_group_quant_kernelIDF16_N4opus5fp4_tELi128ELi16ELi4ELb1ELb0ELb0ELb0ELb0ELb0EEEvPT0_PvPT_S7_S7_PKS6_S9_S9_S9_S9_ffiiiiiiiiiiiii
    .private_segment_fixed_size: 0
    .sgpr_count:     44
    .sgpr_spill_count: 0
    .symbol:         _ZN5aiter35fused_qk_rmsnorm_group_quant_kernelIDF16_N4opus5fp4_tELi128ELi16ELi4ELb1ELb0ELb0ELb0ELb0ELb0EEEvPT0_PvPT_S7_S7_PKS6_S9_S9_S9_S9_ffiiiiiiiiiiiii.kd
    .uniform_work_group_size: 1
    .uses_dynamic_stack: false
    .vgpr_count:     47
    .vgpr_spill_count: 0
    .wavefront_size: 64
  - .agpr_count:     0
    .args:
      - .actual_access:  write_only
        .address_space:  global
        .offset:         0
        .size:           8
        .value_kind:     global_buffer
      - .actual_access:  write_only
        .address_space:  global
        .offset:         8
        .size:           8
        .value_kind:     global_buffer
      - .actual_access:  read_only
        .address_space:  global
        .offset:         16
        .size:           8
        .value_kind:     global_buffer
      - .actual_access:  write_only
        .address_space:  global
        .offset:         24
        .size:           8
        .value_kind:     global_buffer
      - .actual_access:  write_only
        .address_space:  global
        .offset:         32
        .size:           8
        .value_kind:     global_buffer
      - .actual_access:  read_only
        .address_space:  global
        .offset:         40
        .size:           8
        .value_kind:     global_buffer
      - .actual_access:  read_only
        .address_space:  global
        .offset:         48
        .size:           8
        .value_kind:     global_buffer
      - .actual_access:  read_only
        .address_space:  global
        .offset:         56
        .size:           8
        .value_kind:     global_buffer
      - .actual_access:  read_only
        .address_space:  global
        .offset:         64
        .size:           8
        .value_kind:     global_buffer
      - .actual_access:  read_only
        .address_space:  global
        .offset:         72
        .size:           8
        .value_kind:     global_buffer
      - .offset:         80
        .size:           4
        .value_kind:     by_value
      - .offset:         84
        .size:           4
        .value_kind:     by_value
      - .offset:         88
        .size:           4
        .value_kind:     by_value
      - .offset:         92
        .size:           4
        .value_kind:     by_value
      - .offset:         96
        .size:           4
        .value_kind:     by_value
      - .offset:         100
        .size:           4
        .value_kind:     by_value
      - .offset:         104
        .size:           4
        .value_kind:     by_value
      - .offset:         108
        .size:           4
        .value_kind:     by_value
      - .offset:         112
        .size:           4
        .value_kind:     by_value
      - .offset:         116
        .size:           4
        .value_kind:     by_value
      - .offset:         120
        .size:           4
        .value_kind:     by_value
      - .offset:         124
        .size:           4
        .value_kind:     by_value
      - .offset:         128
        .size:           4
        .value_kind:     by_value
      - .offset:         132
        .size:           4
        .value_kind:     by_value
      - .offset:         136
        .size:           4
        .value_kind:     by_value
      - .offset:         144
        .size:           4
        .value_kind:     hidden_block_count_x
      - .offset:         148
        .size:           4
        .value_kind:     hidden_block_count_y
      - .offset:         152
        .size:           4
        .value_kind:     hidden_block_count_z
      - .offset:         156
        .size:           2
        .value_kind:     hidden_group_size_x
      - .offset:         158
        .size:           2
        .value_kind:     hidden_group_size_y
      - .offset:         160
        .size:           2
        .value_kind:     hidden_group_size_z
      - .offset:         162
        .size:           2
        .value_kind:     hidden_remainder_x
      - .offset:         164
        .size:           2
        .value_kind:     hidden_remainder_y
      - .offset:         166
        .size:           2
        .value_kind:     hidden_remainder_z
      - .offset:         184
        .size:           8
        .value_kind:     hidden_global_offset_x
      - .offset:         192
        .size:           8
        .value_kind:     hidden_global_offset_y
      - .offset:         200
        .size:           8
        .value_kind:     hidden_global_offset_z
      - .offset:         208
        .size:           2
        .value_kind:     hidden_grid_dims
    .group_segment_fixed_size: 16
    .kernarg_segment_align: 8
    .kernarg_segment_size: 400
    .language:       OpenCL C
    .language_version:
      - 2
      - 0
    .max_flat_workgroup_size: 1024
    .name:           _ZN5aiter35fused_qk_rmsnorm_group_quant_kernelItN4opus5fp4_tELi128ELi16ELi4ELb1ELb0ELb0ELb0ELb0ELb0EEEvPT0_PvPT_S7_S7_PKS6_S9_S9_S9_S9_ffiiiiiiiiiiiii
    .private_segment_fixed_size: 0
    .sgpr_count:     44
    .sgpr_spill_count: 0
    .symbol:         _ZN5aiter35fused_qk_rmsnorm_group_quant_kernelItN4opus5fp4_tELi128ELi16ELi4ELb1ELb0ELb0ELb0ELb0ELb0EEEvPT0_PvPT_S7_S7_PKS6_S9_S9_S9_S9_ffiiiiiiiiiiiii.kd
    .uniform_work_group_size: 1
    .uses_dynamic_stack: false
    .vgpr_count:     94
    .vgpr_spill_count: 0
    .wavefront_size: 64
  - .agpr_count:     0
    .args:
      - .actual_access:  write_only
        .address_space:  global
        .offset:         0
        .size:           8
        .value_kind:     global_buffer
      - .actual_access:  write_only
        .address_space:  global
        .offset:         8
        .size:           8
        .value_kind:     global_buffer
      - .actual_access:  write_only
        .address_space:  global
        .offset:         16
        .size:           8
        .value_kind:     global_buffer
      - .actual_access:  write_only
        .address_space:  global
        .offset:         24
        .size:           8
        .value_kind:     global_buffer
      - .actual_access:  read_only
        .address_space:  global
        .offset:         32
        .size:           8
        .value_kind:     global_buffer
      - .actual_access:  read_only
        .address_space:  global
        .offset:         40
        .size:           8
        .value_kind:     global_buffer
      - .actual_access:  read_only
        .address_space:  global
        .offset:         48
        .size:           8
        .value_kind:     global_buffer
      - .actual_access:  read_only
        .address_space:  global
        .offset:         56
        .size:           8
        .value_kind:     global_buffer
      - .actual_access:  read_only
        .address_space:  global
        .offset:         64
        .size:           8
        .value_kind:     global_buffer
      - .actual_access:  read_only
        .address_space:  global
        .offset:         72
        .size:           8
        .value_kind:     global_buffer
      - .offset:         80
        .size:           4
        .value_kind:     by_value
      - .offset:         84
        .size:           4
        .value_kind:     by_value
      - .offset:         88
        .size:           4
        .value_kind:     by_value
      - .offset:         92
        .size:           4
        .value_kind:     by_value
      - .offset:         96
        .size:           4
        .value_kind:     by_value
      - .offset:         100
        .size:           4
        .value_kind:     by_value
      - .offset:         104
        .size:           4
        .value_kind:     by_value
      - .offset:         108
        .size:           4
        .value_kind:     by_value
      - .offset:         112
        .size:           4
        .value_kind:     by_value
      - .offset:         116
        .size:           4
        .value_kind:     by_value
      - .offset:         120
        .size:           4
        .value_kind:     by_value
      - .offset:         124
        .size:           4
        .value_kind:     by_value
      - .offset:         128
        .size:           4
        .value_kind:     by_value
      - .offset:         132
        .size:           4
        .value_kind:     by_value
      - .offset:         136
        .size:           4
        .value_kind:     by_value
      - .offset:         144
        .size:           4
        .value_kind:     hidden_block_count_x
      - .offset:         148
        .size:           4
        .value_kind:     hidden_block_count_y
      - .offset:         152
        .size:           4
        .value_kind:     hidden_block_count_z
      - .offset:         156
        .size:           2
        .value_kind:     hidden_group_size_x
      - .offset:         158
        .size:           2
        .value_kind:     hidden_group_size_y
      - .offset:         160
        .size:           2
        .value_kind:     hidden_group_size_z
      - .offset:         162
        .size:           2
        .value_kind:     hidden_remainder_x
      - .offset:         164
        .size:           2
        .value_kind:     hidden_remainder_y
      - .offset:         166
        .size:           2
        .value_kind:     hidden_remainder_z
      - .offset:         184
        .size:           8
        .value_kind:     hidden_global_offset_x
      - .offset:         192
        .size:           8
        .value_kind:     hidden_global_offset_y
      - .offset:         200
        .size:           8
        .value_kind:     hidden_global_offset_z
      - .offset:         208
        .size:           2
        .value_kind:     hidden_grid_dims
    .group_segment_fixed_size: 16
    .kernarg_segment_align: 8
    .kernarg_segment_size: 400
    .language:       OpenCL C
    .language_version:
      - 2
      - 0
    .max_flat_workgroup_size: 1024
    .name:           _ZN5aiter35fused_qk_rmsnorm_group_quant_kernelIDF16_DB8_Li128ELi16ELi4ELb0ELb1ELb1ELb0ELb0ELb0EEEvPT0_PvPT_S6_S6_PKS5_S8_S8_S8_S8_ffiiiiiiiiiiiii
    .private_segment_fixed_size: 0
    .sgpr_count:     40
    .sgpr_spill_count: 0
    .symbol:         _ZN5aiter35fused_qk_rmsnorm_group_quant_kernelIDF16_DB8_Li128ELi16ELi4ELb0ELb1ELb1ELb0ELb0ELb0EEEvPT0_PvPT_S6_S6_PKS5_S8_S8_S8_S8_ffiiiiiiiiiiiii.kd
    .uniform_work_group_size: 1
    .uses_dynamic_stack: false
    .vgpr_count:     35
    .vgpr_spill_count: 0
    .wavefront_size: 64
  - .agpr_count:     0
    .args:
      - .actual_access:  write_only
        .address_space:  global
        .offset:         0
        .size:           8
        .value_kind:     global_buffer
      - .actual_access:  write_only
        .address_space:  global
        .offset:         8
        .size:           8
        .value_kind:     global_buffer
      - .actual_access:  write_only
        .address_space:  global
        .offset:         16
        .size:           8
        .value_kind:     global_buffer
      - .actual_access:  write_only
        .address_space:  global
        .offset:         24
        .size:           8
        .value_kind:     global_buffer
      - .actual_access:  read_only
        .address_space:  global
        .offset:         32
        .size:           8
        .value_kind:     global_buffer
      - .actual_access:  read_only
        .address_space:  global
        .offset:         40
        .size:           8
        .value_kind:     global_buffer
      - .actual_access:  read_only
        .address_space:  global
        .offset:         48
        .size:           8
        .value_kind:     global_buffer
      - .actual_access:  read_only
        .address_space:  global
        .offset:         56
        .size:           8
        .value_kind:     global_buffer
      - .actual_access:  read_only
        .address_space:  global
        .offset:         64
        .size:           8
        .value_kind:     global_buffer
      - .actual_access:  read_only
        .address_space:  global
        .offset:         72
        .size:           8
        .value_kind:     global_buffer
      - .offset:         80
        .size:           4
        .value_kind:     by_value
      - .offset:         84
        .size:           4
        .value_kind:     by_value
      - .offset:         88
        .size:           4
        .value_kind:     by_value
      - .offset:         92
        .size:           4
        .value_kind:     by_value
      - .offset:         96
        .size:           4
        .value_kind:     by_value
      - .offset:         100
        .size:           4
        .value_kind:     by_value
      - .offset:         104
        .size:           4
        .value_kind:     by_value
      - .offset:         108
        .size:           4
        .value_kind:     by_value
      - .offset:         112
        .size:           4
        .value_kind:     by_value
      - .offset:         116
        .size:           4
        .value_kind:     by_value
      - .offset:         120
        .size:           4
        .value_kind:     by_value
      - .offset:         124
        .size:           4
        .value_kind:     by_value
      - .offset:         128
        .size:           4
        .value_kind:     by_value
      - .offset:         132
        .size:           4
        .value_kind:     by_value
      - .offset:         136
        .size:           4
        .value_kind:     by_value
      - .offset:         144
        .size:           4
        .value_kind:     hidden_block_count_x
      - .offset:         148
        .size:           4
        .value_kind:     hidden_block_count_y
      - .offset:         152
        .size:           4
        .value_kind:     hidden_block_count_z
      - .offset:         156
        .size:           2
        .value_kind:     hidden_group_size_x
      - .offset:         158
        .size:           2
        .value_kind:     hidden_group_size_y
      - .offset:         160
        .size:           2
        .value_kind:     hidden_group_size_z
      - .offset:         162
        .size:           2
        .value_kind:     hidden_remainder_x
      - .offset:         164
        .size:           2
        .value_kind:     hidden_remainder_y
      - .offset:         166
        .size:           2
        .value_kind:     hidden_remainder_z
      - .offset:         184
        .size:           8
        .value_kind:     hidden_global_offset_x
      - .offset:         192
        .size:           8
        .value_kind:     hidden_global_offset_y
      - .offset:         200
        .size:           8
        .value_kind:     hidden_global_offset_z
      - .offset:         208
        .size:           2
        .value_kind:     hidden_grid_dims
    .group_segment_fixed_size: 16
    .kernarg_segment_align: 8
    .kernarg_segment_size: 400
    .language:       OpenCL C
    .language_version:
      - 2
      - 0
    .max_flat_workgroup_size: 1024
    .name:           _ZN5aiter35fused_qk_rmsnorm_group_quant_kernelItDB8_Li128ELi16ELi4ELb0ELb1ELb1ELb0ELb0ELb0EEEvPT0_PvPT_S6_S6_PKS5_S8_S8_S8_S8_ffiiiiiiiiiiiii
    .private_segment_fixed_size: 0
    .sgpr_count:     40
    .sgpr_spill_count: 0
    .symbol:         _ZN5aiter35fused_qk_rmsnorm_group_quant_kernelItDB8_Li128ELi16ELi4ELb0ELb1ELb1ELb0ELb0ELb0EEEvPT0_PvPT_S6_S6_PKS5_S8_S8_S8_S8_ffiiiiiiiiiiiii.kd
    .uniform_work_group_size: 1
    .uses_dynamic_stack: false
    .vgpr_count:     35
    .vgpr_spill_count: 0
    .wavefront_size: 64
  - .agpr_count:     0
    .args:
      - .actual_access:  write_only
        .address_space:  global
        .offset:         0
        .size:           8
        .value_kind:     global_buffer
      - .actual_access:  write_only
        .address_space:  global
        .offset:         8
        .size:           8
        .value_kind:     global_buffer
      - .actual_access:  write_only
        .address_space:  global
        .offset:         16
        .size:           8
        .value_kind:     global_buffer
      - .actual_access:  write_only
        .address_space:  global
        .offset:         24
        .size:           8
        .value_kind:     global_buffer
      - .actual_access:  read_only
        .address_space:  global
        .offset:         32
        .size:           8
        .value_kind:     global_buffer
      - .actual_access:  read_only
        .address_space:  global
        .offset:         40
        .size:           8
        .value_kind:     global_buffer
      - .actual_access:  read_only
        .address_space:  global
        .offset:         48
        .size:           8
        .value_kind:     global_buffer
      - .actual_access:  read_only
        .address_space:  global
        .offset:         56
        .size:           8
        .value_kind:     global_buffer
      - .actual_access:  read_only
        .address_space:  global
        .offset:         64
        .size:           8
        .value_kind:     global_buffer
      - .actual_access:  read_only
        .address_space:  global
        .offset:         72
        .size:           8
        .value_kind:     global_buffer
      - .offset:         80
        .size:           4
        .value_kind:     by_value
      - .offset:         84
        .size:           4
        .value_kind:     by_value
      - .offset:         88
        .size:           4
        .value_kind:     by_value
      - .offset:         92
        .size:           4
        .value_kind:     by_value
      - .offset:         96
        .size:           4
        .value_kind:     by_value
      - .offset:         100
        .size:           4
        .value_kind:     by_value
      - .offset:         104
        .size:           4
        .value_kind:     by_value
      - .offset:         108
        .size:           4
        .value_kind:     by_value
      - .offset:         112
        .size:           4
        .value_kind:     by_value
      - .offset:         116
        .size:           4
        .value_kind:     by_value
      - .offset:         120
        .size:           4
        .value_kind:     by_value
      - .offset:         124
        .size:           4
        .value_kind:     by_value
      - .offset:         128
        .size:           4
        .value_kind:     by_value
      - .offset:         132
        .size:           4
        .value_kind:     by_value
      - .offset:         136
        .size:           4
        .value_kind:     by_value
      - .offset:         144
        .size:           4
        .value_kind:     hidden_block_count_x
      - .offset:         148
        .size:           4
        .value_kind:     hidden_block_count_y
      - .offset:         152
        .size:           4
        .value_kind:     hidden_block_count_z
      - .offset:         156
        .size:           2
        .value_kind:     hidden_group_size_x
      - .offset:         158
        .size:           2
        .value_kind:     hidden_group_size_y
      - .offset:         160
        .size:           2
        .value_kind:     hidden_group_size_z
      - .offset:         162
        .size:           2
        .value_kind:     hidden_remainder_x
      - .offset:         164
        .size:           2
        .value_kind:     hidden_remainder_y
      - .offset:         166
        .size:           2
        .value_kind:     hidden_remainder_z
      - .offset:         184
        .size:           8
        .value_kind:     hidden_global_offset_x
      - .offset:         192
        .size:           8
        .value_kind:     hidden_global_offset_y
      - .offset:         200
        .size:           8
        .value_kind:     hidden_global_offset_z
      - .offset:         208
        .size:           2
        .value_kind:     hidden_grid_dims
    .group_segment_fixed_size: 16
    .kernarg_segment_align: 8
    .kernarg_segment_size: 400
    .language:       OpenCL C
    .language_version:
      - 2
      - 0
    .max_flat_workgroup_size: 1024
    .name:           _ZN5aiter35fused_qk_rmsnorm_group_quant_kernelIDF16_N4opus5fp4_tELi128ELi16ELi4ELb0ELb1ELb1ELb0ELb0ELb0EEEvPT0_PvPT_S7_S7_PKS6_S9_S9_S9_S9_ffiiiiiiiiiiiii
    .private_segment_fixed_size: 0
    .sgpr_count:     40
    .sgpr_spill_count: 0
    .symbol:         _ZN5aiter35fused_qk_rmsnorm_group_quant_kernelIDF16_N4opus5fp4_tELi128ELi16ELi4ELb0ELb1ELb1ELb0ELb0ELb0EEEvPT0_PvPT_S7_S7_PKS6_S9_S9_S9_S9_ffiiiiiiiiiiiii.kd
    .uniform_work_group_size: 1
    .uses_dynamic_stack: false
    .vgpr_count:     35
    .vgpr_spill_count: 0
    .wavefront_size: 64
  - .agpr_count:     0
    .args:
      - .actual_access:  write_only
        .address_space:  global
        .offset:         0
        .size:           8
        .value_kind:     global_buffer
      - .actual_access:  write_only
        .address_space:  global
        .offset:         8
        .size:           8
        .value_kind:     global_buffer
      - .actual_access:  write_only
        .address_space:  global
        .offset:         16
        .size:           8
        .value_kind:     global_buffer
      - .actual_access:  write_only
        .address_space:  global
        .offset:         24
        .size:           8
        .value_kind:     global_buffer
      - .actual_access:  read_only
        .address_space:  global
        .offset:         32
        .size:           8
        .value_kind:     global_buffer
      - .actual_access:  read_only
        .address_space:  global
        .offset:         40
        .size:           8
        .value_kind:     global_buffer
      - .actual_access:  read_only
        .address_space:  global
        .offset:         48
        .size:           8
        .value_kind:     global_buffer
      - .actual_access:  read_only
        .address_space:  global
        .offset:         56
        .size:           8
        .value_kind:     global_buffer
      - .actual_access:  read_only
        .address_space:  global
        .offset:         64
        .size:           8
        .value_kind:     global_buffer
      - .actual_access:  read_only
        .address_space:  global
        .offset:         72
        .size:           8
        .value_kind:     global_buffer
      - .offset:         80
        .size:           4
        .value_kind:     by_value
      - .offset:         84
        .size:           4
        .value_kind:     by_value
      - .offset:         88
        .size:           4
        .value_kind:     by_value
      - .offset:         92
        .size:           4
        .value_kind:     by_value
      - .offset:         96
        .size:           4
        .value_kind:     by_value
      - .offset:         100
        .size:           4
        .value_kind:     by_value
      - .offset:         104
        .size:           4
        .value_kind:     by_value
      - .offset:         108
        .size:           4
        .value_kind:     by_value
      - .offset:         112
        .size:           4
        .value_kind:     by_value
      - .offset:         116
        .size:           4
        .value_kind:     by_value
      - .offset:         120
        .size:           4
        .value_kind:     by_value
      - .offset:         124
        .size:           4
        .value_kind:     by_value
      - .offset:         128
        .size:           4
        .value_kind:     by_value
      - .offset:         132
        .size:           4
        .value_kind:     by_value
      - .offset:         136
        .size:           4
        .value_kind:     by_value
      - .offset:         144
        .size:           4
        .value_kind:     hidden_block_count_x
      - .offset:         148
        .size:           4
        .value_kind:     hidden_block_count_y
      - .offset:         152
        .size:           4
        .value_kind:     hidden_block_count_z
      - .offset:         156
        .size:           2
        .value_kind:     hidden_group_size_x
      - .offset:         158
        .size:           2
        .value_kind:     hidden_group_size_y
      - .offset:         160
        .size:           2
        .value_kind:     hidden_group_size_z
      - .offset:         162
        .size:           2
        .value_kind:     hidden_remainder_x
      - .offset:         164
        .size:           2
        .value_kind:     hidden_remainder_y
      - .offset:         166
        .size:           2
        .value_kind:     hidden_remainder_z
      - .offset:         184
        .size:           8
        .value_kind:     hidden_global_offset_x
      - .offset:         192
        .size:           8
        .value_kind:     hidden_global_offset_y
      - .offset:         200
        .size:           8
        .value_kind:     hidden_global_offset_z
      - .offset:         208
        .size:           2
        .value_kind:     hidden_grid_dims
    .group_segment_fixed_size: 16
    .kernarg_segment_align: 8
    .kernarg_segment_size: 400
    .language:       OpenCL C
    .language_version:
      - 2
      - 0
    .max_flat_workgroup_size: 1024
    .name:           _ZN5aiter35fused_qk_rmsnorm_group_quant_kernelItN4opus5fp4_tELi128ELi16ELi4ELb0ELb1ELb1ELb0ELb0ELb0EEEvPT0_PvPT_S7_S7_PKS6_S9_S9_S9_S9_ffiiiiiiiiiiiii
    .private_segment_fixed_size: 0
    .sgpr_count:     40
    .sgpr_spill_count: 0
    .symbol:         _ZN5aiter35fused_qk_rmsnorm_group_quant_kernelItN4opus5fp4_tELi128ELi16ELi4ELb0ELb1ELb1ELb0ELb0ELb0EEEvPT0_PvPT_S7_S7_PKS6_S9_S9_S9_S9_ffiiiiiiiiiiiii.kd
    .uniform_work_group_size: 1
    .uses_dynamic_stack: false
    .vgpr_count:     35
    .vgpr_spill_count: 0
    .wavefront_size: 64
  - .agpr_count:     0
    .args:
      - .actual_access:  write_only
        .address_space:  global
        .offset:         0
        .size:           8
        .value_kind:     global_buffer
      - .actual_access:  write_only
        .address_space:  global
        .offset:         8
        .size:           8
        .value_kind:     global_buffer
      - .actual_access:  write_only
        .address_space:  global
        .offset:         16
        .size:           8
        .value_kind:     global_buffer
      - .actual_access:  write_only
        .address_space:  global
        .offset:         24
        .size:           8
        .value_kind:     global_buffer
      - .actual_access:  read_only
        .address_space:  global
        .offset:         32
        .size:           8
        .value_kind:     global_buffer
      - .actual_access:  read_only
        .address_space:  global
        .offset:         40
        .size:           8
        .value_kind:     global_buffer
      - .actual_access:  read_only
        .address_space:  global
        .offset:         48
        .size:           8
        .value_kind:     global_buffer
      - .actual_access:  read_only
        .address_space:  global
        .offset:         56
        .size:           8
        .value_kind:     global_buffer
      - .actual_access:  read_only
        .address_space:  global
        .offset:         64
        .size:           8
        .value_kind:     global_buffer
      - .actual_access:  read_only
        .address_space:  global
        .offset:         72
        .size:           8
        .value_kind:     global_buffer
      - .offset:         80
        .size:           4
        .value_kind:     by_value
      - .offset:         84
        .size:           4
        .value_kind:     by_value
      - .offset:         88
        .size:           4
        .value_kind:     by_value
      - .offset:         92
        .size:           4
        .value_kind:     by_value
      - .offset:         96
        .size:           4
        .value_kind:     by_value
      - .offset:         100
        .size:           4
        .value_kind:     by_value
      - .offset:         104
        .size:           4
        .value_kind:     by_value
      - .offset:         108
        .size:           4
        .value_kind:     by_value
      - .offset:         112
        .size:           4
        .value_kind:     by_value
      - .offset:         116
        .size:           4
        .value_kind:     by_value
      - .offset:         120
        .size:           4
        .value_kind:     by_value
      - .offset:         124
        .size:           4
        .value_kind:     by_value
      - .offset:         128
        .size:           4
        .value_kind:     by_value
      - .offset:         132
        .size:           4
        .value_kind:     by_value
      - .offset:         136
        .size:           4
        .value_kind:     by_value
      - .offset:         144
        .size:           4
        .value_kind:     hidden_block_count_x
      - .offset:         148
        .size:           4
        .value_kind:     hidden_block_count_y
      - .offset:         152
        .size:           4
        .value_kind:     hidden_block_count_z
      - .offset:         156
        .size:           2
        .value_kind:     hidden_group_size_x
      - .offset:         158
        .size:           2
        .value_kind:     hidden_group_size_y
      - .offset:         160
        .size:           2
        .value_kind:     hidden_group_size_z
      - .offset:         162
        .size:           2
        .value_kind:     hidden_remainder_x
      - .offset:         164
        .size:           2
        .value_kind:     hidden_remainder_y
      - .offset:         166
        .size:           2
        .value_kind:     hidden_remainder_z
      - .offset:         184
        .size:           8
        .value_kind:     hidden_global_offset_x
      - .offset:         192
        .size:           8
        .value_kind:     hidden_global_offset_y
      - .offset:         200
        .size:           8
        .value_kind:     hidden_global_offset_z
      - .offset:         208
        .size:           2
        .value_kind:     hidden_grid_dims
    .group_segment_fixed_size: 16
    .kernarg_segment_align: 8
    .kernarg_segment_size: 400
    .language:       OpenCL C
    .language_version:
      - 2
      - 0
    .max_flat_workgroup_size: 1024
    .name:           _ZN5aiter35fused_qk_rmsnorm_group_quant_kernelIDF16_DB8_Li128ELi16ELi4ELb0ELb1ELb0ELb0ELb0ELb0EEEvPT0_PvPT_S6_S6_PKS5_S8_S8_S8_S8_ffiiiiiiiiiiiii
    .private_segment_fixed_size: 0
    .sgpr_count:     40
    .sgpr_spill_count: 0
    .symbol:         _ZN5aiter35fused_qk_rmsnorm_group_quant_kernelIDF16_DB8_Li128ELi16ELi4ELb0ELb1ELb0ELb0ELb0ELb0EEEvPT0_PvPT_S6_S6_PKS5_S8_S8_S8_S8_ffiiiiiiiiiiiii.kd
    .uniform_work_group_size: 1
    .uses_dynamic_stack: false
    .vgpr_count:     38
    .vgpr_spill_count: 0
    .wavefront_size: 64
  - .agpr_count:     0
    .args:
      - .actual_access:  write_only
        .address_space:  global
        .offset:         0
        .size:           8
        .value_kind:     global_buffer
      - .actual_access:  write_only
        .address_space:  global
        .offset:         8
        .size:           8
        .value_kind:     global_buffer
      - .actual_access:  write_only
        .address_space:  global
        .offset:         16
        .size:           8
        .value_kind:     global_buffer
      - .actual_access:  write_only
        .address_space:  global
        .offset:         24
        .size:           8
        .value_kind:     global_buffer
      - .actual_access:  read_only
        .address_space:  global
        .offset:         32
        .size:           8
        .value_kind:     global_buffer
      - .actual_access:  read_only
        .address_space:  global
        .offset:         40
        .size:           8
        .value_kind:     global_buffer
      - .actual_access:  read_only
        .address_space:  global
        .offset:         48
        .size:           8
        .value_kind:     global_buffer
      - .actual_access:  read_only
        .address_space:  global
        .offset:         56
        .size:           8
        .value_kind:     global_buffer
      - .actual_access:  read_only
        .address_space:  global
        .offset:         64
        .size:           8
        .value_kind:     global_buffer
      - .actual_access:  read_only
        .address_space:  global
        .offset:         72
        .size:           8
        .value_kind:     global_buffer
      - .offset:         80
        .size:           4
        .value_kind:     by_value
      - .offset:         84
        .size:           4
        .value_kind:     by_value
      - .offset:         88
        .size:           4
        .value_kind:     by_value
      - .offset:         92
        .size:           4
        .value_kind:     by_value
      - .offset:         96
        .size:           4
        .value_kind:     by_value
      - .offset:         100
        .size:           4
        .value_kind:     by_value
      - .offset:         104
        .size:           4
        .value_kind:     by_value
      - .offset:         108
        .size:           4
        .value_kind:     by_value
      - .offset:         112
        .size:           4
        .value_kind:     by_value
      - .offset:         116
        .size:           4
        .value_kind:     by_value
      - .offset:         120
        .size:           4
        .value_kind:     by_value
      - .offset:         124
        .size:           4
        .value_kind:     by_value
      - .offset:         128
        .size:           4
        .value_kind:     by_value
      - .offset:         132
        .size:           4
        .value_kind:     by_value
      - .offset:         136
        .size:           4
        .value_kind:     by_value
      - .offset:         144
        .size:           4
        .value_kind:     hidden_block_count_x
      - .offset:         148
        .size:           4
        .value_kind:     hidden_block_count_y
      - .offset:         152
        .size:           4
        .value_kind:     hidden_block_count_z
      - .offset:         156
        .size:           2
        .value_kind:     hidden_group_size_x
      - .offset:         158
        .size:           2
        .value_kind:     hidden_group_size_y
      - .offset:         160
        .size:           2
        .value_kind:     hidden_group_size_z
      - .offset:         162
        .size:           2
        .value_kind:     hidden_remainder_x
      - .offset:         164
        .size:           2
        .value_kind:     hidden_remainder_y
      - .offset:         166
        .size:           2
        .value_kind:     hidden_remainder_z
      - .offset:         184
        .size:           8
        .value_kind:     hidden_global_offset_x
      - .offset:         192
        .size:           8
        .value_kind:     hidden_global_offset_y
      - .offset:         200
        .size:           8
        .value_kind:     hidden_global_offset_z
      - .offset:         208
        .size:           2
        .value_kind:     hidden_grid_dims
    .group_segment_fixed_size: 16
    .kernarg_segment_align: 8
    .kernarg_segment_size: 400
    .language:       OpenCL C
    .language_version:
      - 2
      - 0
    .max_flat_workgroup_size: 1024
    .name:           _ZN5aiter35fused_qk_rmsnorm_group_quant_kernelItDB8_Li128ELi16ELi4ELb0ELb1ELb0ELb0ELb0ELb0EEEvPT0_PvPT_S6_S6_PKS5_S8_S8_S8_S8_ffiiiiiiiiiiiii
    .private_segment_fixed_size: 0
    .sgpr_count:     40
    .sgpr_spill_count: 0
    .symbol:         _ZN5aiter35fused_qk_rmsnorm_group_quant_kernelItDB8_Li128ELi16ELi4ELb0ELb1ELb0ELb0ELb0ELb0EEEvPT0_PvPT_S6_S6_PKS5_S8_S8_S8_S8_ffiiiiiiiiiiiii.kd
    .uniform_work_group_size: 1
    .uses_dynamic_stack: false
    .vgpr_count:     38
    .vgpr_spill_count: 0
    .wavefront_size: 64
  - .agpr_count:     0
    .args:
      - .actual_access:  write_only
        .address_space:  global
        .offset:         0
        .size:           8
        .value_kind:     global_buffer
      - .actual_access:  write_only
        .address_space:  global
        .offset:         8
        .size:           8
        .value_kind:     global_buffer
      - .actual_access:  write_only
        .address_space:  global
        .offset:         16
        .size:           8
        .value_kind:     global_buffer
      - .actual_access:  write_only
        .address_space:  global
        .offset:         24
        .size:           8
        .value_kind:     global_buffer
      - .actual_access:  read_only
        .address_space:  global
        .offset:         32
        .size:           8
        .value_kind:     global_buffer
      - .actual_access:  read_only
        .address_space:  global
        .offset:         40
        .size:           8
        .value_kind:     global_buffer
      - .actual_access:  read_only
        .address_space:  global
        .offset:         48
        .size:           8
        .value_kind:     global_buffer
      - .actual_access:  read_only
        .address_space:  global
        .offset:         56
        .size:           8
        .value_kind:     global_buffer
      - .actual_access:  read_only
        .address_space:  global
        .offset:         64
        .size:           8
        .value_kind:     global_buffer
      - .actual_access:  read_only
        .address_space:  global
        .offset:         72
        .size:           8
        .value_kind:     global_buffer
      - .offset:         80
        .size:           4
        .value_kind:     by_value
      - .offset:         84
        .size:           4
        .value_kind:     by_value
      - .offset:         88
        .size:           4
        .value_kind:     by_value
      - .offset:         92
        .size:           4
        .value_kind:     by_value
      - .offset:         96
        .size:           4
        .value_kind:     by_value
      - .offset:         100
        .size:           4
        .value_kind:     by_value
      - .offset:         104
        .size:           4
        .value_kind:     by_value
      - .offset:         108
        .size:           4
        .value_kind:     by_value
      - .offset:         112
        .size:           4
        .value_kind:     by_value
      - .offset:         116
        .size:           4
        .value_kind:     by_value
      - .offset:         120
        .size:           4
        .value_kind:     by_value
      - .offset:         124
        .size:           4
        .value_kind:     by_value
      - .offset:         128
        .size:           4
        .value_kind:     by_value
      - .offset:         132
        .size:           4
        .value_kind:     by_value
      - .offset:         136
        .size:           4
        .value_kind:     by_value
      - .offset:         144
        .size:           4
        .value_kind:     hidden_block_count_x
      - .offset:         148
        .size:           4
        .value_kind:     hidden_block_count_y
      - .offset:         152
        .size:           4
        .value_kind:     hidden_block_count_z
      - .offset:         156
        .size:           2
        .value_kind:     hidden_group_size_x
      - .offset:         158
        .size:           2
        .value_kind:     hidden_group_size_y
      - .offset:         160
        .size:           2
        .value_kind:     hidden_group_size_z
      - .offset:         162
        .size:           2
        .value_kind:     hidden_remainder_x
      - .offset:         164
        .size:           2
        .value_kind:     hidden_remainder_y
      - .offset:         166
        .size:           2
        .value_kind:     hidden_remainder_z
      - .offset:         184
        .size:           8
        .value_kind:     hidden_global_offset_x
      - .offset:         192
        .size:           8
        .value_kind:     hidden_global_offset_y
      - .offset:         200
        .size:           8
        .value_kind:     hidden_global_offset_z
      - .offset:         208
        .size:           2
        .value_kind:     hidden_grid_dims
    .group_segment_fixed_size: 16
    .kernarg_segment_align: 8
    .kernarg_segment_size: 400
    .language:       OpenCL C
    .language_version:
      - 2
      - 0
    .max_flat_workgroup_size: 1024
    .name:           _ZN5aiter35fused_qk_rmsnorm_group_quant_kernelIDF16_N4opus5fp4_tELi128ELi16ELi4ELb0ELb1ELb0ELb0ELb0ELb0EEEvPT0_PvPT_S7_S7_PKS6_S9_S9_S9_S9_ffiiiiiiiiiiiii
    .private_segment_fixed_size: 0
    .sgpr_count:     40
    .sgpr_spill_count: 0
    .symbol:         _ZN5aiter35fused_qk_rmsnorm_group_quant_kernelIDF16_N4opus5fp4_tELi128ELi16ELi4ELb0ELb1ELb0ELb0ELb0ELb0EEEvPT0_PvPT_S7_S7_PKS6_S9_S9_S9_S9_ffiiiiiiiiiiiii.kd
    .uniform_work_group_size: 1
    .uses_dynamic_stack: false
    .vgpr_count:     35
    .vgpr_spill_count: 0
    .wavefront_size: 64
  - .agpr_count:     0
    .args:
      - .actual_access:  write_only
        .address_space:  global
        .offset:         0
        .size:           8
        .value_kind:     global_buffer
      - .actual_access:  write_only
        .address_space:  global
        .offset:         8
        .size:           8
        .value_kind:     global_buffer
      - .actual_access:  write_only
        .address_space:  global
        .offset:         16
        .size:           8
        .value_kind:     global_buffer
      - .actual_access:  write_only
        .address_space:  global
        .offset:         24
        .size:           8
        .value_kind:     global_buffer
      - .actual_access:  read_only
        .address_space:  global
        .offset:         32
        .size:           8
        .value_kind:     global_buffer
      - .actual_access:  read_only
        .address_space:  global
        .offset:         40
        .size:           8
        .value_kind:     global_buffer
      - .actual_access:  read_only
        .address_space:  global
        .offset:         48
        .size:           8
        .value_kind:     global_buffer
      - .actual_access:  read_only
        .address_space:  global
        .offset:         56
        .size:           8
        .value_kind:     global_buffer
      - .actual_access:  read_only
        .address_space:  global
        .offset:         64
        .size:           8
        .value_kind:     global_buffer
      - .actual_access:  read_only
        .address_space:  global
        .offset:         72
        .size:           8
        .value_kind:     global_buffer
      - .offset:         80
        .size:           4
        .value_kind:     by_value
      - .offset:         84
        .size:           4
        .value_kind:     by_value
      - .offset:         88
        .size:           4
        .value_kind:     by_value
      - .offset:         92
        .size:           4
        .value_kind:     by_value
      - .offset:         96
        .size:           4
        .value_kind:     by_value
      - .offset:         100
        .size:           4
        .value_kind:     by_value
      - .offset:         104
        .size:           4
        .value_kind:     by_value
      - .offset:         108
        .size:           4
        .value_kind:     by_value
      - .offset:         112
        .size:           4
        .value_kind:     by_value
      - .offset:         116
        .size:           4
        .value_kind:     by_value
      - .offset:         120
        .size:           4
        .value_kind:     by_value
      - .offset:         124
        .size:           4
        .value_kind:     by_value
      - .offset:         128
        .size:           4
        .value_kind:     by_value
      - .offset:         132
        .size:           4
        .value_kind:     by_value
      - .offset:         136
        .size:           4
        .value_kind:     by_value
      - .offset:         144
        .size:           4
        .value_kind:     hidden_block_count_x
      - .offset:         148
        .size:           4
        .value_kind:     hidden_block_count_y
      - .offset:         152
        .size:           4
        .value_kind:     hidden_block_count_z
      - .offset:         156
        .size:           2
        .value_kind:     hidden_group_size_x
      - .offset:         158
        .size:           2
        .value_kind:     hidden_group_size_y
      - .offset:         160
        .size:           2
        .value_kind:     hidden_group_size_z
      - .offset:         162
        .size:           2
        .value_kind:     hidden_remainder_x
      - .offset:         164
        .size:           2
        .value_kind:     hidden_remainder_y
      - .offset:         166
        .size:           2
        .value_kind:     hidden_remainder_z
      - .offset:         184
        .size:           8
        .value_kind:     hidden_global_offset_x
      - .offset:         192
        .size:           8
        .value_kind:     hidden_global_offset_y
      - .offset:         200
        .size:           8
        .value_kind:     hidden_global_offset_z
      - .offset:         208
        .size:           2
        .value_kind:     hidden_grid_dims
    .group_segment_fixed_size: 16
    .kernarg_segment_align: 8
    .kernarg_segment_size: 400
    .language:       OpenCL C
    .language_version:
      - 2
      - 0
    .max_flat_workgroup_size: 1024
    .name:           _ZN5aiter35fused_qk_rmsnorm_group_quant_kernelItN4opus5fp4_tELi128ELi16ELi4ELb0ELb1ELb0ELb0ELb0ELb0EEEvPT0_PvPT_S7_S7_PKS6_S9_S9_S9_S9_ffiiiiiiiiiiiii
    .private_segment_fixed_size: 0
    .sgpr_count:     40
    .sgpr_spill_count: 0
    .symbol:         _ZN5aiter35fused_qk_rmsnorm_group_quant_kernelItN4opus5fp4_tELi128ELi16ELi4ELb0ELb1ELb0ELb0ELb0ELb0EEEvPT0_PvPT_S7_S7_PKS6_S9_S9_S9_S9_ffiiiiiiiiiiiii.kd
    .uniform_work_group_size: 1
    .uses_dynamic_stack: false
    .vgpr_count:     35
    .vgpr_spill_count: 0
    .wavefront_size: 64
  - .agpr_count:     0
    .args:
      - .actual_access:  write_only
        .address_space:  global
        .offset:         0
        .size:           8
        .value_kind:     global_buffer
      - .actual_access:  write_only
        .address_space:  global
        .offset:         8
        .size:           8
        .value_kind:     global_buffer
      - .actual_access:  read_only
        .address_space:  global
        .offset:         16
        .size:           8
        .value_kind:     global_buffer
      - .actual_access:  write_only
        .address_space:  global
        .offset:         24
        .size:           8
        .value_kind:     global_buffer
      - .actual_access:  read_only
        .address_space:  global
        .offset:         32
        .size:           8
        .value_kind:     global_buffer
      - .actual_access:  read_only
        .address_space:  global
        .offset:         40
        .size:           8
        .value_kind:     global_buffer
      - .actual_access:  read_only
        .address_space:  global
        .offset:         48
        .size:           8
        .value_kind:     global_buffer
      - .actual_access:  read_only
        .address_space:  global
        .offset:         56
        .size:           8
        .value_kind:     global_buffer
      - .actual_access:  read_only
        .address_space:  global
        .offset:         64
        .size:           8
        .value_kind:     global_buffer
      - .actual_access:  read_only
        .address_space:  global
        .offset:         72
        .size:           8
        .value_kind:     global_buffer
      - .offset:         80
        .size:           4
        .value_kind:     by_value
      - .offset:         84
        .size:           4
        .value_kind:     by_value
      - .offset:         88
        .size:           4
        .value_kind:     by_value
      - .offset:         92
        .size:           4
        .value_kind:     by_value
      - .offset:         96
        .size:           4
        .value_kind:     by_value
      - .offset:         100
        .size:           4
        .value_kind:     by_value
      - .offset:         104
        .size:           4
        .value_kind:     by_value
      - .offset:         108
        .size:           4
        .value_kind:     by_value
      - .offset:         112
        .size:           4
        .value_kind:     by_value
      - .offset:         116
        .size:           4
        .value_kind:     by_value
      - .offset:         120
        .size:           4
        .value_kind:     by_value
      - .offset:         124
        .size:           4
        .value_kind:     by_value
      - .offset:         128
        .size:           4
        .value_kind:     by_value
      - .offset:         132
        .size:           4
        .value_kind:     by_value
      - .offset:         136
        .size:           4
        .value_kind:     by_value
      - .offset:         144
        .size:           4
        .value_kind:     hidden_block_count_x
      - .offset:         148
        .size:           4
        .value_kind:     hidden_block_count_y
      - .offset:         152
        .size:           4
        .value_kind:     hidden_block_count_z
      - .offset:         156
        .size:           2
        .value_kind:     hidden_group_size_x
      - .offset:         158
        .size:           2
        .value_kind:     hidden_group_size_y
      - .offset:         160
        .size:           2
        .value_kind:     hidden_group_size_z
      - .offset:         162
        .size:           2
        .value_kind:     hidden_remainder_x
      - .offset:         164
        .size:           2
        .value_kind:     hidden_remainder_y
      - .offset:         166
        .size:           2
        .value_kind:     hidden_remainder_z
      - .offset:         184
        .size:           8
        .value_kind:     hidden_global_offset_x
      - .offset:         192
        .size:           8
        .value_kind:     hidden_global_offset_y
      - .offset:         200
        .size:           8
        .value_kind:     hidden_global_offset_z
      - .offset:         208
        .size:           2
        .value_kind:     hidden_grid_dims
    .group_segment_fixed_size: 16
    .kernarg_segment_align: 8
    .kernarg_segment_size: 400
    .language:       OpenCL C
    .language_version:
      - 2
      - 0
    .max_flat_workgroup_size: 1024
    .name:           _ZN5aiter35fused_qk_rmsnorm_group_quant_kernelIDF16_DB8_Li128ELi16ELi4ELb0ELb0ELb1ELb0ELb0ELb0EEEvPT0_PvPT_S6_S6_PKS5_S8_S8_S8_S8_ffiiiiiiiiiiiii
    .private_segment_fixed_size: 0
    .sgpr_count:     36
    .sgpr_spill_count: 0
    .symbol:         _ZN5aiter35fused_qk_rmsnorm_group_quant_kernelIDF16_DB8_Li128ELi16ELi4ELb0ELb0ELb1ELb0ELb0ELb0EEEvPT0_PvPT_S6_S6_PKS5_S8_S8_S8_S8_ffiiiiiiiiiiiii.kd
    .uniform_work_group_size: 1
    .uses_dynamic_stack: false
    .vgpr_count:     35
    .vgpr_spill_count: 0
    .wavefront_size: 64
  - .agpr_count:     0
    .args:
      - .actual_access:  write_only
        .address_space:  global
        .offset:         0
        .size:           8
        .value_kind:     global_buffer
      - .actual_access:  write_only
        .address_space:  global
        .offset:         8
        .size:           8
        .value_kind:     global_buffer
      - .actual_access:  read_only
        .address_space:  global
        .offset:         16
        .size:           8
        .value_kind:     global_buffer
      - .actual_access:  write_only
        .address_space:  global
        .offset:         24
        .size:           8
        .value_kind:     global_buffer
      - .actual_access:  read_only
        .address_space:  global
        .offset:         32
        .size:           8
        .value_kind:     global_buffer
      - .actual_access:  read_only
        .address_space:  global
        .offset:         40
        .size:           8
        .value_kind:     global_buffer
      - .actual_access:  read_only
        .address_space:  global
        .offset:         48
        .size:           8
        .value_kind:     global_buffer
      - .actual_access:  read_only
        .address_space:  global
        .offset:         56
        .size:           8
        .value_kind:     global_buffer
      - .actual_access:  read_only
        .address_space:  global
        .offset:         64
        .size:           8
        .value_kind:     global_buffer
      - .actual_access:  read_only
        .address_space:  global
        .offset:         72
        .size:           8
        .value_kind:     global_buffer
      - .offset:         80
        .size:           4
        .value_kind:     by_value
      - .offset:         84
        .size:           4
        .value_kind:     by_value
      - .offset:         88
        .size:           4
        .value_kind:     by_value
      - .offset:         92
        .size:           4
        .value_kind:     by_value
      - .offset:         96
        .size:           4
        .value_kind:     by_value
      - .offset:         100
        .size:           4
        .value_kind:     by_value
      - .offset:         104
        .size:           4
        .value_kind:     by_value
      - .offset:         108
        .size:           4
        .value_kind:     by_value
      - .offset:         112
        .size:           4
        .value_kind:     by_value
      - .offset:         116
        .size:           4
        .value_kind:     by_value
      - .offset:         120
        .size:           4
        .value_kind:     by_value
      - .offset:         124
        .size:           4
        .value_kind:     by_value
      - .offset:         128
        .size:           4
        .value_kind:     by_value
      - .offset:         132
        .size:           4
        .value_kind:     by_value
      - .offset:         136
        .size:           4
        .value_kind:     by_value
      - .offset:         144
        .size:           4
        .value_kind:     hidden_block_count_x
      - .offset:         148
        .size:           4
        .value_kind:     hidden_block_count_y
      - .offset:         152
        .size:           4
        .value_kind:     hidden_block_count_z
      - .offset:         156
        .size:           2
        .value_kind:     hidden_group_size_x
      - .offset:         158
        .size:           2
        .value_kind:     hidden_group_size_y
      - .offset:         160
        .size:           2
        .value_kind:     hidden_group_size_z
      - .offset:         162
        .size:           2
        .value_kind:     hidden_remainder_x
      - .offset:         164
        .size:           2
        .value_kind:     hidden_remainder_y
      - .offset:         166
        .size:           2
        .value_kind:     hidden_remainder_z
      - .offset:         184
        .size:           8
        .value_kind:     hidden_global_offset_x
      - .offset:         192
        .size:           8
        .value_kind:     hidden_global_offset_y
      - .offset:         200
        .size:           8
        .value_kind:     hidden_global_offset_z
      - .offset:         208
        .size:           2
        .value_kind:     hidden_grid_dims
    .group_segment_fixed_size: 16
    .kernarg_segment_align: 8
    .kernarg_segment_size: 400
    .language:       OpenCL C
    .language_version:
      - 2
      - 0
    .max_flat_workgroup_size: 1024
    .name:           _ZN5aiter35fused_qk_rmsnorm_group_quant_kernelItDB8_Li128ELi16ELi4ELb0ELb0ELb1ELb0ELb0ELb0EEEvPT0_PvPT_S6_S6_PKS5_S8_S8_S8_S8_ffiiiiiiiiiiiii
    .private_segment_fixed_size: 0
    .sgpr_count:     36
    .sgpr_spill_count: 0
    .symbol:         _ZN5aiter35fused_qk_rmsnorm_group_quant_kernelItDB8_Li128ELi16ELi4ELb0ELb0ELb1ELb0ELb0ELb0EEEvPT0_PvPT_S6_S6_PKS5_S8_S8_S8_S8_ffiiiiiiiiiiiii.kd
    .uniform_work_group_size: 1
    .uses_dynamic_stack: false
    .vgpr_count:     35
    .vgpr_spill_count: 0
    .wavefront_size: 64
  - .agpr_count:     0
    .args:
      - .actual_access:  write_only
        .address_space:  global
        .offset:         0
        .size:           8
        .value_kind:     global_buffer
      - .actual_access:  write_only
        .address_space:  global
        .offset:         8
        .size:           8
        .value_kind:     global_buffer
      - .actual_access:  read_only
        .address_space:  global
        .offset:         16
        .size:           8
        .value_kind:     global_buffer
      - .actual_access:  write_only
        .address_space:  global
        .offset:         24
        .size:           8
        .value_kind:     global_buffer
      - .actual_access:  read_only
        .address_space:  global
        .offset:         32
        .size:           8
        .value_kind:     global_buffer
      - .actual_access:  read_only
        .address_space:  global
        .offset:         40
        .size:           8
        .value_kind:     global_buffer
      - .actual_access:  read_only
        .address_space:  global
        .offset:         48
        .size:           8
        .value_kind:     global_buffer
      - .actual_access:  read_only
        .address_space:  global
        .offset:         56
        .size:           8
        .value_kind:     global_buffer
      - .actual_access:  read_only
        .address_space:  global
        .offset:         64
        .size:           8
        .value_kind:     global_buffer
      - .actual_access:  read_only
        .address_space:  global
        .offset:         72
        .size:           8
        .value_kind:     global_buffer
      - .offset:         80
        .size:           4
        .value_kind:     by_value
      - .offset:         84
        .size:           4
        .value_kind:     by_value
      - .offset:         88
        .size:           4
        .value_kind:     by_value
      - .offset:         92
        .size:           4
        .value_kind:     by_value
      - .offset:         96
        .size:           4
        .value_kind:     by_value
      - .offset:         100
        .size:           4
        .value_kind:     by_value
      - .offset:         104
        .size:           4
        .value_kind:     by_value
      - .offset:         108
        .size:           4
        .value_kind:     by_value
      - .offset:         112
        .size:           4
        .value_kind:     by_value
      - .offset:         116
        .size:           4
        .value_kind:     by_value
      - .offset:         120
        .size:           4
        .value_kind:     by_value
      - .offset:         124
        .size:           4
        .value_kind:     by_value
      - .offset:         128
        .size:           4
        .value_kind:     by_value
      - .offset:         132
        .size:           4
        .value_kind:     by_value
      - .offset:         136
        .size:           4
        .value_kind:     by_value
      - .offset:         144
        .size:           4
        .value_kind:     hidden_block_count_x
      - .offset:         148
        .size:           4
        .value_kind:     hidden_block_count_y
      - .offset:         152
        .size:           4
        .value_kind:     hidden_block_count_z
      - .offset:         156
        .size:           2
        .value_kind:     hidden_group_size_x
      - .offset:         158
        .size:           2
        .value_kind:     hidden_group_size_y
      - .offset:         160
        .size:           2
        .value_kind:     hidden_group_size_z
      - .offset:         162
        .size:           2
        .value_kind:     hidden_remainder_x
      - .offset:         164
        .size:           2
        .value_kind:     hidden_remainder_y
      - .offset:         166
        .size:           2
        .value_kind:     hidden_remainder_z
      - .offset:         184
        .size:           8
        .value_kind:     hidden_global_offset_x
      - .offset:         192
        .size:           8
        .value_kind:     hidden_global_offset_y
      - .offset:         200
        .size:           8
        .value_kind:     hidden_global_offset_z
      - .offset:         208
        .size:           2
        .value_kind:     hidden_grid_dims
    .group_segment_fixed_size: 16
    .kernarg_segment_align: 8
    .kernarg_segment_size: 400
    .language:       OpenCL C
    .language_version:
      - 2
      - 0
    .max_flat_workgroup_size: 1024
    .name:           _ZN5aiter35fused_qk_rmsnorm_group_quant_kernelIDF16_N4opus5fp4_tELi128ELi16ELi4ELb0ELb0ELb1ELb0ELb0ELb0EEEvPT0_PvPT_S7_S7_PKS6_S9_S9_S9_S9_ffiiiiiiiiiiiii
    .private_segment_fixed_size: 0
    .sgpr_count:     36
    .sgpr_spill_count: 0
    .symbol:         _ZN5aiter35fused_qk_rmsnorm_group_quant_kernelIDF16_N4opus5fp4_tELi128ELi16ELi4ELb0ELb0ELb1ELb0ELb0ELb0EEEvPT0_PvPT_S7_S7_PKS6_S9_S9_S9_S9_ffiiiiiiiiiiiii.kd
    .uniform_work_group_size: 1
    .uses_dynamic_stack: false
    .vgpr_count:     35
    .vgpr_spill_count: 0
    .wavefront_size: 64
  - .agpr_count:     0
    .args:
      - .actual_access:  write_only
        .address_space:  global
        .offset:         0
        .size:           8
        .value_kind:     global_buffer
      - .actual_access:  write_only
        .address_space:  global
        .offset:         8
        .size:           8
        .value_kind:     global_buffer
      - .actual_access:  read_only
        .address_space:  global
        .offset:         16
        .size:           8
        .value_kind:     global_buffer
      - .actual_access:  write_only
        .address_space:  global
        .offset:         24
        .size:           8
        .value_kind:     global_buffer
      - .actual_access:  read_only
        .address_space:  global
        .offset:         32
        .size:           8
        .value_kind:     global_buffer
      - .actual_access:  read_only
        .address_space:  global
        .offset:         40
        .size:           8
        .value_kind:     global_buffer
      - .actual_access:  read_only
        .address_space:  global
        .offset:         48
        .size:           8
        .value_kind:     global_buffer
      - .actual_access:  read_only
        .address_space:  global
        .offset:         56
        .size:           8
        .value_kind:     global_buffer
      - .actual_access:  read_only
        .address_space:  global
        .offset:         64
        .size:           8
        .value_kind:     global_buffer
      - .actual_access:  read_only
        .address_space:  global
        .offset:         72
        .size:           8
        .value_kind:     global_buffer
      - .offset:         80
        .size:           4
        .value_kind:     by_value
      - .offset:         84
        .size:           4
        .value_kind:     by_value
      - .offset:         88
        .size:           4
        .value_kind:     by_value
      - .offset:         92
        .size:           4
        .value_kind:     by_value
      - .offset:         96
        .size:           4
        .value_kind:     by_value
      - .offset:         100
        .size:           4
        .value_kind:     by_value
      - .offset:         104
        .size:           4
        .value_kind:     by_value
      - .offset:         108
        .size:           4
        .value_kind:     by_value
      - .offset:         112
        .size:           4
        .value_kind:     by_value
      - .offset:         116
        .size:           4
        .value_kind:     by_value
      - .offset:         120
        .size:           4
        .value_kind:     by_value
      - .offset:         124
        .size:           4
        .value_kind:     by_value
      - .offset:         128
        .size:           4
        .value_kind:     by_value
      - .offset:         132
        .size:           4
        .value_kind:     by_value
      - .offset:         136
        .size:           4
        .value_kind:     by_value
      - .offset:         144
        .size:           4
        .value_kind:     hidden_block_count_x
      - .offset:         148
        .size:           4
        .value_kind:     hidden_block_count_y
      - .offset:         152
        .size:           4
        .value_kind:     hidden_block_count_z
      - .offset:         156
        .size:           2
        .value_kind:     hidden_group_size_x
      - .offset:         158
        .size:           2
        .value_kind:     hidden_group_size_y
      - .offset:         160
        .size:           2
        .value_kind:     hidden_group_size_z
      - .offset:         162
        .size:           2
        .value_kind:     hidden_remainder_x
      - .offset:         164
        .size:           2
        .value_kind:     hidden_remainder_y
      - .offset:         166
        .size:           2
        .value_kind:     hidden_remainder_z
      - .offset:         184
        .size:           8
        .value_kind:     hidden_global_offset_x
      - .offset:         192
        .size:           8
        .value_kind:     hidden_global_offset_y
      - .offset:         200
        .size:           8
        .value_kind:     hidden_global_offset_z
      - .offset:         208
        .size:           2
        .value_kind:     hidden_grid_dims
    .group_segment_fixed_size: 16
    .kernarg_segment_align: 8
    .kernarg_segment_size: 400
    .language:       OpenCL C
    .language_version:
      - 2
      - 0
    .max_flat_workgroup_size: 1024
    .name:           _ZN5aiter35fused_qk_rmsnorm_group_quant_kernelItN4opus5fp4_tELi128ELi16ELi4ELb0ELb0ELb1ELb0ELb0ELb0EEEvPT0_PvPT_S7_S7_PKS6_S9_S9_S9_S9_ffiiiiiiiiiiiii
    .private_segment_fixed_size: 0
    .sgpr_count:     36
    .sgpr_spill_count: 0
    .symbol:         _ZN5aiter35fused_qk_rmsnorm_group_quant_kernelItN4opus5fp4_tELi128ELi16ELi4ELb0ELb0ELb1ELb0ELb0ELb0EEEvPT0_PvPT_S7_S7_PKS6_S9_S9_S9_S9_ffiiiiiiiiiiiii.kd
    .uniform_work_group_size: 1
    .uses_dynamic_stack: false
    .vgpr_count:     35
    .vgpr_spill_count: 0
    .wavefront_size: 64
  - .agpr_count:     0
    .args:
      - .actual_access:  write_only
        .address_space:  global
        .offset:         0
        .size:           8
        .value_kind:     global_buffer
      - .actual_access:  write_only
        .address_space:  global
        .offset:         8
        .size:           8
        .value_kind:     global_buffer
      - .actual_access:  read_only
        .address_space:  global
        .offset:         16
        .size:           8
        .value_kind:     global_buffer
      - .actual_access:  write_only
        .address_space:  global
        .offset:         24
        .size:           8
        .value_kind:     global_buffer
      - .actual_access:  read_only
        .address_space:  global
        .offset:         32
        .size:           8
        .value_kind:     global_buffer
      - .actual_access:  read_only
        .address_space:  global
        .offset:         40
        .size:           8
        .value_kind:     global_buffer
      - .actual_access:  read_only
        .address_space:  global
        .offset:         48
        .size:           8
        .value_kind:     global_buffer
      - .actual_access:  read_only
        .address_space:  global
        .offset:         56
        .size:           8
        .value_kind:     global_buffer
      - .actual_access:  read_only
        .address_space:  global
        .offset:         64
        .size:           8
        .value_kind:     global_buffer
      - .actual_access:  read_only
        .address_space:  global
        .offset:         72
        .size:           8
        .value_kind:     global_buffer
      - .offset:         80
        .size:           4
        .value_kind:     by_value
      - .offset:         84
        .size:           4
        .value_kind:     by_value
      - .offset:         88
        .size:           4
        .value_kind:     by_value
      - .offset:         92
        .size:           4
        .value_kind:     by_value
      - .offset:         96
        .size:           4
        .value_kind:     by_value
      - .offset:         100
        .size:           4
        .value_kind:     by_value
      - .offset:         104
        .size:           4
        .value_kind:     by_value
      - .offset:         108
        .size:           4
        .value_kind:     by_value
      - .offset:         112
        .size:           4
        .value_kind:     by_value
      - .offset:         116
        .size:           4
        .value_kind:     by_value
      - .offset:         120
        .size:           4
        .value_kind:     by_value
      - .offset:         124
        .size:           4
        .value_kind:     by_value
      - .offset:         128
        .size:           4
        .value_kind:     by_value
      - .offset:         132
        .size:           4
        .value_kind:     by_value
      - .offset:         136
        .size:           4
        .value_kind:     by_value
      - .offset:         144
        .size:           4
        .value_kind:     hidden_block_count_x
      - .offset:         148
        .size:           4
        .value_kind:     hidden_block_count_y
      - .offset:         152
        .size:           4
        .value_kind:     hidden_block_count_z
      - .offset:         156
        .size:           2
        .value_kind:     hidden_group_size_x
      - .offset:         158
        .size:           2
        .value_kind:     hidden_group_size_y
      - .offset:         160
        .size:           2
        .value_kind:     hidden_group_size_z
      - .offset:         162
        .size:           2
        .value_kind:     hidden_remainder_x
      - .offset:         164
        .size:           2
        .value_kind:     hidden_remainder_y
      - .offset:         166
        .size:           2
        .value_kind:     hidden_remainder_z
      - .offset:         184
        .size:           8
        .value_kind:     hidden_global_offset_x
      - .offset:         192
        .size:           8
        .value_kind:     hidden_global_offset_y
      - .offset:         200
        .size:           8
        .value_kind:     hidden_global_offset_z
      - .offset:         208
        .size:           2
        .value_kind:     hidden_grid_dims
    .group_segment_fixed_size: 16
    .kernarg_segment_align: 8
    .kernarg_segment_size: 400
    .language:       OpenCL C
    .language_version:
      - 2
      - 0
    .max_flat_workgroup_size: 1024
    .name:           _ZN5aiter35fused_qk_rmsnorm_group_quant_kernelIDF16_DB8_Li128ELi16ELi4ELb0ELb0ELb0ELb0ELb0ELb0EEEvPT0_PvPT_S6_S6_PKS5_S8_S8_S8_S8_ffiiiiiiiiiiiii
    .private_segment_fixed_size: 0
    .sgpr_count:     36
    .sgpr_spill_count: 0
    .symbol:         _ZN5aiter35fused_qk_rmsnorm_group_quant_kernelIDF16_DB8_Li128ELi16ELi4ELb0ELb0ELb0ELb0ELb0ELb0EEEvPT0_PvPT_S6_S6_PKS5_S8_S8_S8_S8_ffiiiiiiiiiiiii.kd
    .uniform_work_group_size: 1
    .uses_dynamic_stack: false
    .vgpr_count:     38
    .vgpr_spill_count: 0
    .wavefront_size: 64
  - .agpr_count:     0
    .args:
      - .actual_access:  write_only
        .address_space:  global
        .offset:         0
        .size:           8
        .value_kind:     global_buffer
      - .actual_access:  write_only
        .address_space:  global
        .offset:         8
        .size:           8
        .value_kind:     global_buffer
      - .actual_access:  read_only
        .address_space:  global
        .offset:         16
        .size:           8
        .value_kind:     global_buffer
      - .actual_access:  write_only
        .address_space:  global
        .offset:         24
        .size:           8
        .value_kind:     global_buffer
      - .actual_access:  read_only
        .address_space:  global
        .offset:         32
        .size:           8
        .value_kind:     global_buffer
      - .actual_access:  read_only
        .address_space:  global
        .offset:         40
        .size:           8
        .value_kind:     global_buffer
      - .actual_access:  read_only
        .address_space:  global
        .offset:         48
        .size:           8
        .value_kind:     global_buffer
      - .actual_access:  read_only
        .address_space:  global
        .offset:         56
        .size:           8
        .value_kind:     global_buffer
      - .actual_access:  read_only
        .address_space:  global
        .offset:         64
        .size:           8
        .value_kind:     global_buffer
      - .actual_access:  read_only
        .address_space:  global
        .offset:         72
        .size:           8
        .value_kind:     global_buffer
      - .offset:         80
        .size:           4
        .value_kind:     by_value
      - .offset:         84
        .size:           4
        .value_kind:     by_value
      - .offset:         88
        .size:           4
        .value_kind:     by_value
      - .offset:         92
        .size:           4
        .value_kind:     by_value
      - .offset:         96
        .size:           4
        .value_kind:     by_value
      - .offset:         100
        .size:           4
        .value_kind:     by_value
      - .offset:         104
        .size:           4
        .value_kind:     by_value
      - .offset:         108
        .size:           4
        .value_kind:     by_value
      - .offset:         112
        .size:           4
        .value_kind:     by_value
      - .offset:         116
        .size:           4
        .value_kind:     by_value
      - .offset:         120
        .size:           4
        .value_kind:     by_value
      - .offset:         124
        .size:           4
        .value_kind:     by_value
      - .offset:         128
        .size:           4
        .value_kind:     by_value
      - .offset:         132
        .size:           4
        .value_kind:     by_value
      - .offset:         136
        .size:           4
        .value_kind:     by_value
      - .offset:         144
        .size:           4
        .value_kind:     hidden_block_count_x
      - .offset:         148
        .size:           4
        .value_kind:     hidden_block_count_y
      - .offset:         152
        .size:           4
        .value_kind:     hidden_block_count_z
      - .offset:         156
        .size:           2
        .value_kind:     hidden_group_size_x
      - .offset:         158
        .size:           2
        .value_kind:     hidden_group_size_y
      - .offset:         160
        .size:           2
        .value_kind:     hidden_group_size_z
      - .offset:         162
        .size:           2
        .value_kind:     hidden_remainder_x
      - .offset:         164
        .size:           2
        .value_kind:     hidden_remainder_y
      - .offset:         166
        .size:           2
        .value_kind:     hidden_remainder_z
      - .offset:         184
        .size:           8
        .value_kind:     hidden_global_offset_x
      - .offset:         192
        .size:           8
        .value_kind:     hidden_global_offset_y
      - .offset:         200
        .size:           8
        .value_kind:     hidden_global_offset_z
      - .offset:         208
        .size:           2
        .value_kind:     hidden_grid_dims
    .group_segment_fixed_size: 16
    .kernarg_segment_align: 8
    .kernarg_segment_size: 400
    .language:       OpenCL C
    .language_version:
      - 2
      - 0
    .max_flat_workgroup_size: 1024
    .name:           _ZN5aiter35fused_qk_rmsnorm_group_quant_kernelItDB8_Li128ELi16ELi4ELb0ELb0ELb0ELb0ELb0ELb0EEEvPT0_PvPT_S6_S6_PKS5_S8_S8_S8_S8_ffiiiiiiiiiiiii
    .private_segment_fixed_size: 0
    .sgpr_count:     36
    .sgpr_spill_count: 0
    .symbol:         _ZN5aiter35fused_qk_rmsnorm_group_quant_kernelItDB8_Li128ELi16ELi4ELb0ELb0ELb0ELb0ELb0ELb0EEEvPT0_PvPT_S6_S6_PKS5_S8_S8_S8_S8_ffiiiiiiiiiiiii.kd
    .uniform_work_group_size: 1
    .uses_dynamic_stack: false
    .vgpr_count:     38
    .vgpr_spill_count: 0
    .wavefront_size: 64
  - .agpr_count:     0
    .args:
      - .actual_access:  write_only
        .address_space:  global
        .offset:         0
        .size:           8
        .value_kind:     global_buffer
      - .actual_access:  write_only
        .address_space:  global
        .offset:         8
        .size:           8
        .value_kind:     global_buffer
      - .actual_access:  read_only
        .address_space:  global
        .offset:         16
        .size:           8
        .value_kind:     global_buffer
      - .actual_access:  write_only
        .address_space:  global
        .offset:         24
        .size:           8
        .value_kind:     global_buffer
      - .actual_access:  read_only
        .address_space:  global
        .offset:         32
        .size:           8
        .value_kind:     global_buffer
      - .actual_access:  read_only
        .address_space:  global
        .offset:         40
        .size:           8
        .value_kind:     global_buffer
      - .actual_access:  read_only
        .address_space:  global
        .offset:         48
        .size:           8
        .value_kind:     global_buffer
      - .actual_access:  read_only
        .address_space:  global
        .offset:         56
        .size:           8
        .value_kind:     global_buffer
      - .actual_access:  read_only
        .address_space:  global
        .offset:         64
        .size:           8
        .value_kind:     global_buffer
      - .actual_access:  read_only
        .address_space:  global
        .offset:         72
        .size:           8
        .value_kind:     global_buffer
      - .offset:         80
        .size:           4
        .value_kind:     by_value
      - .offset:         84
        .size:           4
        .value_kind:     by_value
      - .offset:         88
        .size:           4
        .value_kind:     by_value
      - .offset:         92
        .size:           4
        .value_kind:     by_value
      - .offset:         96
        .size:           4
        .value_kind:     by_value
      - .offset:         100
        .size:           4
        .value_kind:     by_value
      - .offset:         104
        .size:           4
        .value_kind:     by_value
      - .offset:         108
        .size:           4
        .value_kind:     by_value
      - .offset:         112
        .size:           4
        .value_kind:     by_value
      - .offset:         116
        .size:           4
        .value_kind:     by_value
      - .offset:         120
        .size:           4
        .value_kind:     by_value
      - .offset:         124
        .size:           4
        .value_kind:     by_value
      - .offset:         128
        .size:           4
        .value_kind:     by_value
      - .offset:         132
        .size:           4
        .value_kind:     by_value
      - .offset:         136
        .size:           4
        .value_kind:     by_value
      - .offset:         144
        .size:           4
        .value_kind:     hidden_block_count_x
      - .offset:         148
        .size:           4
        .value_kind:     hidden_block_count_y
      - .offset:         152
        .size:           4
        .value_kind:     hidden_block_count_z
      - .offset:         156
        .size:           2
        .value_kind:     hidden_group_size_x
      - .offset:         158
        .size:           2
        .value_kind:     hidden_group_size_y
      - .offset:         160
        .size:           2
        .value_kind:     hidden_group_size_z
      - .offset:         162
        .size:           2
        .value_kind:     hidden_remainder_x
      - .offset:         164
        .size:           2
        .value_kind:     hidden_remainder_y
      - .offset:         166
        .size:           2
        .value_kind:     hidden_remainder_z
      - .offset:         184
        .size:           8
        .value_kind:     hidden_global_offset_x
      - .offset:         192
        .size:           8
        .value_kind:     hidden_global_offset_y
      - .offset:         200
        .size:           8
        .value_kind:     hidden_global_offset_z
      - .offset:         208
        .size:           2
        .value_kind:     hidden_grid_dims
    .group_segment_fixed_size: 16
    .kernarg_segment_align: 8
    .kernarg_segment_size: 400
    .language:       OpenCL C
    .language_version:
      - 2
      - 0
    .max_flat_workgroup_size: 1024
    .name:           _ZN5aiter35fused_qk_rmsnorm_group_quant_kernelIDF16_N4opus5fp4_tELi128ELi16ELi4ELb0ELb0ELb0ELb0ELb0ELb0EEEvPT0_PvPT_S7_S7_PKS6_S9_S9_S9_S9_ffiiiiiiiiiiiii
    .private_segment_fixed_size: 0
    .sgpr_count:     36
    .sgpr_spill_count: 0
    .symbol:         _ZN5aiter35fused_qk_rmsnorm_group_quant_kernelIDF16_N4opus5fp4_tELi128ELi16ELi4ELb0ELb0ELb0ELb0ELb0ELb0EEEvPT0_PvPT_S7_S7_PKS6_S9_S9_S9_S9_ffiiiiiiiiiiiii.kd
    .uniform_work_group_size: 1
    .uses_dynamic_stack: false
    .vgpr_count:     35
    .vgpr_spill_count: 0
    .wavefront_size: 64
  - .agpr_count:     0
    .args:
      - .actual_access:  write_only
        .address_space:  global
        .offset:         0
        .size:           8
        .value_kind:     global_buffer
      - .actual_access:  write_only
        .address_space:  global
        .offset:         8
        .size:           8
        .value_kind:     global_buffer
      - .actual_access:  read_only
        .address_space:  global
        .offset:         16
        .size:           8
        .value_kind:     global_buffer
      - .actual_access:  write_only
        .address_space:  global
        .offset:         24
        .size:           8
        .value_kind:     global_buffer
      - .actual_access:  read_only
        .address_space:  global
        .offset:         32
        .size:           8
        .value_kind:     global_buffer
      - .actual_access:  read_only
        .address_space:  global
        .offset:         40
        .size:           8
        .value_kind:     global_buffer
      - .actual_access:  read_only
        .address_space:  global
        .offset:         48
        .size:           8
        .value_kind:     global_buffer
      - .actual_access:  read_only
        .address_space:  global
        .offset:         56
        .size:           8
        .value_kind:     global_buffer
      - .actual_access:  read_only
        .address_space:  global
        .offset:         64
        .size:           8
        .value_kind:     global_buffer
      - .actual_access:  read_only
        .address_space:  global
        .offset:         72
        .size:           8
        .value_kind:     global_buffer
      - .offset:         80
        .size:           4
        .value_kind:     by_value
      - .offset:         84
        .size:           4
        .value_kind:     by_value
      - .offset:         88
        .size:           4
        .value_kind:     by_value
      - .offset:         92
        .size:           4
        .value_kind:     by_value
      - .offset:         96
        .size:           4
        .value_kind:     by_value
      - .offset:         100
        .size:           4
        .value_kind:     by_value
      - .offset:         104
        .size:           4
        .value_kind:     by_value
      - .offset:         108
        .size:           4
        .value_kind:     by_value
      - .offset:         112
        .size:           4
        .value_kind:     by_value
      - .offset:         116
        .size:           4
        .value_kind:     by_value
      - .offset:         120
        .size:           4
        .value_kind:     by_value
      - .offset:         124
        .size:           4
        .value_kind:     by_value
      - .offset:         128
        .size:           4
        .value_kind:     by_value
      - .offset:         132
        .size:           4
        .value_kind:     by_value
      - .offset:         136
        .size:           4
        .value_kind:     by_value
      - .offset:         144
        .size:           4
        .value_kind:     hidden_block_count_x
      - .offset:         148
        .size:           4
        .value_kind:     hidden_block_count_y
      - .offset:         152
        .size:           4
        .value_kind:     hidden_block_count_z
      - .offset:         156
        .size:           2
        .value_kind:     hidden_group_size_x
      - .offset:         158
        .size:           2
        .value_kind:     hidden_group_size_y
      - .offset:         160
        .size:           2
        .value_kind:     hidden_group_size_z
      - .offset:         162
        .size:           2
        .value_kind:     hidden_remainder_x
      - .offset:         164
        .size:           2
        .value_kind:     hidden_remainder_y
      - .offset:         166
        .size:           2
        .value_kind:     hidden_remainder_z
      - .offset:         184
        .size:           8
        .value_kind:     hidden_global_offset_x
      - .offset:         192
        .size:           8
        .value_kind:     hidden_global_offset_y
      - .offset:         200
        .size:           8
        .value_kind:     hidden_global_offset_z
      - .offset:         208
        .size:           2
        .value_kind:     hidden_grid_dims
    .group_segment_fixed_size: 16
    .kernarg_segment_align: 8
    .kernarg_segment_size: 400
    .language:       OpenCL C
    .language_version:
      - 2
      - 0
    .max_flat_workgroup_size: 1024
    .name:           _ZN5aiter35fused_qk_rmsnorm_group_quant_kernelItN4opus5fp4_tELi128ELi16ELi4ELb0ELb0ELb0ELb0ELb0ELb0EEEvPT0_PvPT_S7_S7_PKS6_S9_S9_S9_S9_ffiiiiiiiiiiiii
    .private_segment_fixed_size: 0
    .sgpr_count:     36
    .sgpr_spill_count: 0
    .symbol:         _ZN5aiter35fused_qk_rmsnorm_group_quant_kernelItN4opus5fp4_tELi128ELi16ELi4ELb0ELb0ELb0ELb0ELb0ELb0EEEvPT0_PvPT_S7_S7_PKS6_S9_S9_S9_S9_ffiiiiiiiiiiiii.kd
    .uniform_work_group_size: 1
    .uses_dynamic_stack: false
    .vgpr_count:     35
    .vgpr_spill_count: 0
    .wavefront_size: 64
  - .agpr_count:     0
    .args:
      - .actual_access:  read_only
        .address_space:  global
        .offset:         0
        .size:           8
        .value_kind:     global_buffer
      - .actual_access:  read_only
        .address_space:  global
        .offset:         8
        .size:           8
        .value_kind:     global_buffer
      - .actual_access:  write_only
        .address_space:  global
        .offset:         16
        .size:           8
        .value_kind:     global_buffer
      - .actual_access:  write_only
        .address_space:  global
        .offset:         24
        .size:           8
        .value_kind:     global_buffer
      - .actual_access:  write_only
        .address_space:  global
        .offset:         32
        .size:           8
        .value_kind:     global_buffer
      - .actual_access:  read_only
        .address_space:  global
        .offset:         40
        .size:           8
        .value_kind:     global_buffer
      - .actual_access:  read_only
        .address_space:  global
        .offset:         48
        .size:           8
        .value_kind:     global_buffer
      - .actual_access:  read_only
        .address_space:  global
        .offset:         56
        .size:           8
        .value_kind:     global_buffer
      - .actual_access:  read_only
        .address_space:  global
        .offset:         64
        .size:           8
        .value_kind:     global_buffer
      - .actual_access:  read_only
        .address_space:  global
        .offset:         72
        .size:           8
        .value_kind:     global_buffer
      - .offset:         80
        .size:           4
        .value_kind:     by_value
      - .offset:         84
        .size:           4
        .value_kind:     by_value
      - .offset:         88
        .size:           4
        .value_kind:     by_value
      - .offset:         92
        .size:           4
        .value_kind:     by_value
      - .offset:         96
        .size:           4
        .value_kind:     by_value
      - .offset:         100
        .size:           4
        .value_kind:     by_value
      - .offset:         104
        .size:           4
        .value_kind:     by_value
      - .offset:         108
        .size:           4
        .value_kind:     by_value
      - .offset:         112
        .size:           4
        .value_kind:     by_value
      - .offset:         116
        .size:           4
        .value_kind:     by_value
      - .offset:         120
        .size:           4
        .value_kind:     by_value
      - .offset:         124
        .size:           4
        .value_kind:     by_value
      - .offset:         128
        .size:           4
        .value_kind:     by_value
      - .offset:         132
        .size:           4
        .value_kind:     by_value
      - .offset:         136
        .size:           4
        .value_kind:     by_value
      - .offset:         144
        .size:           4
        .value_kind:     hidden_block_count_x
      - .offset:         148
        .size:           4
        .value_kind:     hidden_block_count_y
      - .offset:         152
        .size:           4
        .value_kind:     hidden_block_count_z
      - .offset:         156
        .size:           2
        .value_kind:     hidden_group_size_x
      - .offset:         158
        .size:           2
        .value_kind:     hidden_group_size_y
      - .offset:         160
        .size:           2
        .value_kind:     hidden_group_size_z
      - .offset:         162
        .size:           2
        .value_kind:     hidden_remainder_x
      - .offset:         164
        .size:           2
        .value_kind:     hidden_remainder_y
      - .offset:         166
        .size:           2
        .value_kind:     hidden_remainder_z
      - .offset:         184
        .size:           8
        .value_kind:     hidden_global_offset_x
      - .offset:         192
        .size:           8
        .value_kind:     hidden_global_offset_y
      - .offset:         200
        .size:           8
        .value_kind:     hidden_global_offset_z
      - .offset:         208
        .size:           2
        .value_kind:     hidden_grid_dims
    .group_segment_fixed_size: 16
    .kernarg_segment_align: 8
    .kernarg_segment_size: 400
    .language:       OpenCL C
    .language_version:
      - 2
      - 0
    .max_flat_workgroup_size: 1024
    .name:           _ZN5aiter35fused_qk_rmsnorm_group_quant_kernelIDF16_DB8_Li128ELi16ELi2ELb1ELb1ELb1ELb1ELb0ELb0EEEvPT0_PvPT_S6_S6_PKS5_S8_S8_S8_S8_ffiiiiiiiiiiiii
    .private_segment_fixed_size: 0
    .sgpr_count:     36
    .sgpr_spill_count: 0
    .symbol:         _ZN5aiter35fused_qk_rmsnorm_group_quant_kernelIDF16_DB8_Li128ELi16ELi2ELb1ELb1ELb1ELb1ELb0ELb0EEEvPT0_PvPT_S6_S6_PKS5_S8_S8_S8_S8_ffiiiiiiiiiiiii.kd
    .uniform_work_group_size: 1
    .uses_dynamic_stack: false
    .vgpr_count:     49
    .vgpr_spill_count: 0
    .wavefront_size: 64
  - .agpr_count:     0
    .args:
      - .actual_access:  read_only
        .address_space:  global
        .offset:         0
        .size:           8
        .value_kind:     global_buffer
      - .actual_access:  read_only
        .address_space:  global
        .offset:         8
        .size:           8
        .value_kind:     global_buffer
      - .actual_access:  write_only
        .address_space:  global
        .offset:         16
        .size:           8
        .value_kind:     global_buffer
      - .actual_access:  write_only
        .address_space:  global
        .offset:         24
        .size:           8
        .value_kind:     global_buffer
      - .actual_access:  write_only
        .address_space:  global
        .offset:         32
        .size:           8
        .value_kind:     global_buffer
      - .actual_access:  read_only
        .address_space:  global
        .offset:         40
        .size:           8
        .value_kind:     global_buffer
      - .actual_access:  read_only
        .address_space:  global
        .offset:         48
        .size:           8
        .value_kind:     global_buffer
      - .actual_access:  read_only
        .address_space:  global
        .offset:         56
        .size:           8
        .value_kind:     global_buffer
      - .actual_access:  read_only
        .address_space:  global
        .offset:         64
        .size:           8
        .value_kind:     global_buffer
      - .actual_access:  read_only
        .address_space:  global
        .offset:         72
        .size:           8
        .value_kind:     global_buffer
      - .offset:         80
        .size:           4
        .value_kind:     by_value
      - .offset:         84
        .size:           4
        .value_kind:     by_value
      - .offset:         88
        .size:           4
        .value_kind:     by_value
      - .offset:         92
        .size:           4
        .value_kind:     by_value
      - .offset:         96
        .size:           4
        .value_kind:     by_value
      - .offset:         100
        .size:           4
        .value_kind:     by_value
      - .offset:         104
        .size:           4
        .value_kind:     by_value
      - .offset:         108
        .size:           4
        .value_kind:     by_value
      - .offset:         112
        .size:           4
        .value_kind:     by_value
      - .offset:         116
        .size:           4
        .value_kind:     by_value
      - .offset:         120
        .size:           4
        .value_kind:     by_value
      - .offset:         124
        .size:           4
        .value_kind:     by_value
      - .offset:         128
        .size:           4
        .value_kind:     by_value
      - .offset:         132
        .size:           4
        .value_kind:     by_value
      - .offset:         136
        .size:           4
        .value_kind:     by_value
      - .offset:         144
        .size:           4
        .value_kind:     hidden_block_count_x
      - .offset:         148
        .size:           4
        .value_kind:     hidden_block_count_y
      - .offset:         152
        .size:           4
        .value_kind:     hidden_block_count_z
      - .offset:         156
        .size:           2
        .value_kind:     hidden_group_size_x
      - .offset:         158
        .size:           2
        .value_kind:     hidden_group_size_y
      - .offset:         160
        .size:           2
        .value_kind:     hidden_group_size_z
      - .offset:         162
        .size:           2
        .value_kind:     hidden_remainder_x
      - .offset:         164
        .size:           2
        .value_kind:     hidden_remainder_y
      - .offset:         166
        .size:           2
        .value_kind:     hidden_remainder_z
      - .offset:         184
        .size:           8
        .value_kind:     hidden_global_offset_x
      - .offset:         192
        .size:           8
        .value_kind:     hidden_global_offset_y
      - .offset:         200
        .size:           8
        .value_kind:     hidden_global_offset_z
      - .offset:         208
        .size:           2
        .value_kind:     hidden_grid_dims
    .group_segment_fixed_size: 16
    .kernarg_segment_align: 8
    .kernarg_segment_size: 400
    .language:       OpenCL C
    .language_version:
      - 2
      - 0
    .max_flat_workgroup_size: 1024
    .name:           _ZN5aiter35fused_qk_rmsnorm_group_quant_kernelItDB8_Li128ELi16ELi2ELb1ELb1ELb1ELb1ELb0ELb0EEEvPT0_PvPT_S6_S6_PKS5_S8_S8_S8_S8_ffiiiiiiiiiiiii
    .private_segment_fixed_size: 0
    .sgpr_count:     36
    .sgpr_spill_count: 0
    .symbol:         _ZN5aiter35fused_qk_rmsnorm_group_quant_kernelItDB8_Li128ELi16ELi2ELb1ELb1ELb1ELb1ELb0ELb0EEEvPT0_PvPT_S6_S6_PKS5_S8_S8_S8_S8_ffiiiiiiiiiiiii.kd
    .uniform_work_group_size: 1
    .uses_dynamic_stack: false
    .vgpr_count:     76
    .vgpr_spill_count: 0
    .wavefront_size: 64
  - .agpr_count:     0
    .args:
      - .actual_access:  read_only
        .address_space:  global
        .offset:         0
        .size:           8
        .value_kind:     global_buffer
      - .actual_access:  read_only
        .address_space:  global
        .offset:         8
        .size:           8
        .value_kind:     global_buffer
      - .actual_access:  write_only
        .address_space:  global
        .offset:         16
        .size:           8
        .value_kind:     global_buffer
      - .actual_access:  write_only
        .address_space:  global
        .offset:         24
        .size:           8
        .value_kind:     global_buffer
      - .actual_access:  write_only
        .address_space:  global
        .offset:         32
        .size:           8
        .value_kind:     global_buffer
      - .actual_access:  read_only
        .address_space:  global
        .offset:         40
        .size:           8
        .value_kind:     global_buffer
      - .actual_access:  read_only
        .address_space:  global
        .offset:         48
        .size:           8
        .value_kind:     global_buffer
      - .actual_access:  read_only
        .address_space:  global
        .offset:         56
        .size:           8
        .value_kind:     global_buffer
      - .actual_access:  read_only
        .address_space:  global
        .offset:         64
        .size:           8
        .value_kind:     global_buffer
      - .actual_access:  read_only
        .address_space:  global
        .offset:         72
        .size:           8
        .value_kind:     global_buffer
      - .offset:         80
        .size:           4
        .value_kind:     by_value
      - .offset:         84
        .size:           4
        .value_kind:     by_value
      - .offset:         88
        .size:           4
        .value_kind:     by_value
      - .offset:         92
        .size:           4
        .value_kind:     by_value
      - .offset:         96
        .size:           4
        .value_kind:     by_value
      - .offset:         100
        .size:           4
        .value_kind:     by_value
      - .offset:         104
        .size:           4
        .value_kind:     by_value
      - .offset:         108
        .size:           4
        .value_kind:     by_value
      - .offset:         112
        .size:           4
        .value_kind:     by_value
      - .offset:         116
        .size:           4
        .value_kind:     by_value
      - .offset:         120
        .size:           4
        .value_kind:     by_value
      - .offset:         124
        .size:           4
        .value_kind:     by_value
      - .offset:         128
        .size:           4
        .value_kind:     by_value
      - .offset:         132
        .size:           4
        .value_kind:     by_value
      - .offset:         136
        .size:           4
        .value_kind:     by_value
      - .offset:         144
        .size:           4
        .value_kind:     hidden_block_count_x
      - .offset:         148
        .size:           4
        .value_kind:     hidden_block_count_y
      - .offset:         152
        .size:           4
        .value_kind:     hidden_block_count_z
      - .offset:         156
        .size:           2
        .value_kind:     hidden_group_size_x
      - .offset:         158
        .size:           2
        .value_kind:     hidden_group_size_y
      - .offset:         160
        .size:           2
        .value_kind:     hidden_group_size_z
      - .offset:         162
        .size:           2
        .value_kind:     hidden_remainder_x
      - .offset:         164
        .size:           2
        .value_kind:     hidden_remainder_y
      - .offset:         166
        .size:           2
        .value_kind:     hidden_remainder_z
      - .offset:         184
        .size:           8
        .value_kind:     hidden_global_offset_x
      - .offset:         192
        .size:           8
        .value_kind:     hidden_global_offset_y
      - .offset:         200
        .size:           8
        .value_kind:     hidden_global_offset_z
      - .offset:         208
        .size:           2
        .value_kind:     hidden_grid_dims
    .group_segment_fixed_size: 16
    .kernarg_segment_align: 8
    .kernarg_segment_size: 400
    .language:       OpenCL C
    .language_version:
      - 2
      - 0
    .max_flat_workgroup_size: 1024
    .name:           _ZN5aiter35fused_qk_rmsnorm_group_quant_kernelIDF16_N4opus5fp4_tELi128ELi16ELi2ELb1ELb1ELb1ELb1ELb0ELb0EEEvPT0_PvPT_S7_S7_PKS6_S9_S9_S9_S9_ffiiiiiiiiiiiii
    .private_segment_fixed_size: 0
    .sgpr_count:     36
    .sgpr_spill_count: 0
    .symbol:         _ZN5aiter35fused_qk_rmsnorm_group_quant_kernelIDF16_N4opus5fp4_tELi128ELi16ELi2ELb1ELb1ELb1ELb1ELb0ELb0EEEvPT0_PvPT_S7_S7_PKS6_S9_S9_S9_S9_ffiiiiiiiiiiiii.kd
    .uniform_work_group_size: 1
    .uses_dynamic_stack: false
    .vgpr_count:     49
    .vgpr_spill_count: 0
    .wavefront_size: 64
  - .agpr_count:     0
    .args:
      - .actual_access:  read_only
        .address_space:  global
        .offset:         0
        .size:           8
        .value_kind:     global_buffer
      - .actual_access:  read_only
        .address_space:  global
        .offset:         8
        .size:           8
        .value_kind:     global_buffer
      - .actual_access:  write_only
        .address_space:  global
        .offset:         16
        .size:           8
        .value_kind:     global_buffer
      - .actual_access:  write_only
        .address_space:  global
        .offset:         24
        .size:           8
        .value_kind:     global_buffer
      - .actual_access:  write_only
        .address_space:  global
        .offset:         32
        .size:           8
        .value_kind:     global_buffer
      - .actual_access:  read_only
        .address_space:  global
        .offset:         40
        .size:           8
        .value_kind:     global_buffer
      - .actual_access:  read_only
        .address_space:  global
        .offset:         48
        .size:           8
        .value_kind:     global_buffer
      - .actual_access:  read_only
        .address_space:  global
        .offset:         56
        .size:           8
        .value_kind:     global_buffer
      - .actual_access:  read_only
        .address_space:  global
        .offset:         64
        .size:           8
        .value_kind:     global_buffer
      - .actual_access:  read_only
        .address_space:  global
        .offset:         72
        .size:           8
        .value_kind:     global_buffer
      - .offset:         80
        .size:           4
        .value_kind:     by_value
      - .offset:         84
        .size:           4
        .value_kind:     by_value
      - .offset:         88
        .size:           4
        .value_kind:     by_value
      - .offset:         92
        .size:           4
        .value_kind:     by_value
      - .offset:         96
        .size:           4
        .value_kind:     by_value
      - .offset:         100
        .size:           4
        .value_kind:     by_value
      - .offset:         104
        .size:           4
        .value_kind:     by_value
      - .offset:         108
        .size:           4
        .value_kind:     by_value
      - .offset:         112
        .size:           4
        .value_kind:     by_value
      - .offset:         116
        .size:           4
        .value_kind:     by_value
      - .offset:         120
        .size:           4
        .value_kind:     by_value
      - .offset:         124
        .size:           4
        .value_kind:     by_value
      - .offset:         128
        .size:           4
        .value_kind:     by_value
      - .offset:         132
        .size:           4
        .value_kind:     by_value
      - .offset:         136
        .size:           4
        .value_kind:     by_value
      - .offset:         144
        .size:           4
        .value_kind:     hidden_block_count_x
      - .offset:         148
        .size:           4
        .value_kind:     hidden_block_count_y
      - .offset:         152
        .size:           4
        .value_kind:     hidden_block_count_z
      - .offset:         156
        .size:           2
        .value_kind:     hidden_group_size_x
      - .offset:         158
        .size:           2
        .value_kind:     hidden_group_size_y
      - .offset:         160
        .size:           2
        .value_kind:     hidden_group_size_z
      - .offset:         162
        .size:           2
        .value_kind:     hidden_remainder_x
      - .offset:         164
        .size:           2
        .value_kind:     hidden_remainder_y
      - .offset:         166
        .size:           2
        .value_kind:     hidden_remainder_z
      - .offset:         184
        .size:           8
        .value_kind:     hidden_global_offset_x
      - .offset:         192
        .size:           8
        .value_kind:     hidden_global_offset_y
      - .offset:         200
        .size:           8
        .value_kind:     hidden_global_offset_z
      - .offset:         208
        .size:           2
        .value_kind:     hidden_grid_dims
    .group_segment_fixed_size: 16
    .kernarg_segment_align: 8
    .kernarg_segment_size: 400
    .language:       OpenCL C
    .language_version:
      - 2
      - 0
    .max_flat_workgroup_size: 1024
    .name:           _ZN5aiter35fused_qk_rmsnorm_group_quant_kernelItN4opus5fp4_tELi128ELi16ELi2ELb1ELb1ELb1ELb1ELb0ELb0EEEvPT0_PvPT_S7_S7_PKS6_S9_S9_S9_S9_ffiiiiiiiiiiiii
    .private_segment_fixed_size: 0
    .sgpr_count:     36
    .sgpr_spill_count: 0
    .symbol:         _ZN5aiter35fused_qk_rmsnorm_group_quant_kernelItN4opus5fp4_tELi128ELi16ELi2ELb1ELb1ELb1ELb1ELb0ELb0EEEvPT0_PvPT_S7_S7_PKS6_S9_S9_S9_S9_ffiiiiiiiiiiiii.kd
    .uniform_work_group_size: 1
    .uses_dynamic_stack: false
    .vgpr_count:     76
    .vgpr_spill_count: 0
    .wavefront_size: 64
  - .agpr_count:     0
    .args:
      - .actual_access:  read_only
        .address_space:  global
        .offset:         0
        .size:           8
        .value_kind:     global_buffer
      - .actual_access:  read_only
        .address_space:  global
        .offset:         8
        .size:           8
        .value_kind:     global_buffer
      - .actual_access:  write_only
        .address_space:  global
        .offset:         16
        .size:           8
        .value_kind:     global_buffer
      - .actual_access:  write_only
        .address_space:  global
        .offset:         24
        .size:           8
        .value_kind:     global_buffer
      - .actual_access:  write_only
        .address_space:  global
        .offset:         32
        .size:           8
        .value_kind:     global_buffer
      - .actual_access:  read_only
        .address_space:  global
        .offset:         40
        .size:           8
        .value_kind:     global_buffer
      - .actual_access:  read_only
        .address_space:  global
        .offset:         48
        .size:           8
        .value_kind:     global_buffer
      - .actual_access:  read_only
        .address_space:  global
        .offset:         56
        .size:           8
        .value_kind:     global_buffer
      - .actual_access:  read_only
        .address_space:  global
        .offset:         64
        .size:           8
        .value_kind:     global_buffer
      - .actual_access:  read_only
        .address_space:  global
        .offset:         72
        .size:           8
        .value_kind:     global_buffer
      - .offset:         80
        .size:           4
        .value_kind:     by_value
      - .offset:         84
        .size:           4
        .value_kind:     by_value
      - .offset:         88
        .size:           4
        .value_kind:     by_value
      - .offset:         92
        .size:           4
        .value_kind:     by_value
      - .offset:         96
        .size:           4
        .value_kind:     by_value
      - .offset:         100
        .size:           4
        .value_kind:     by_value
      - .offset:         104
        .size:           4
        .value_kind:     by_value
      - .offset:         108
        .size:           4
        .value_kind:     by_value
      - .offset:         112
        .size:           4
        .value_kind:     by_value
      - .offset:         116
        .size:           4
        .value_kind:     by_value
      - .offset:         120
        .size:           4
        .value_kind:     by_value
      - .offset:         124
        .size:           4
        .value_kind:     by_value
      - .offset:         128
        .size:           4
        .value_kind:     by_value
      - .offset:         132
        .size:           4
        .value_kind:     by_value
      - .offset:         136
        .size:           4
        .value_kind:     by_value
      - .offset:         144
        .size:           4
        .value_kind:     hidden_block_count_x
      - .offset:         148
        .size:           4
        .value_kind:     hidden_block_count_y
      - .offset:         152
        .size:           4
        .value_kind:     hidden_block_count_z
      - .offset:         156
        .size:           2
        .value_kind:     hidden_group_size_x
      - .offset:         158
        .size:           2
        .value_kind:     hidden_group_size_y
      - .offset:         160
        .size:           2
        .value_kind:     hidden_group_size_z
      - .offset:         162
        .size:           2
        .value_kind:     hidden_remainder_x
      - .offset:         164
        .size:           2
        .value_kind:     hidden_remainder_y
      - .offset:         166
        .size:           2
        .value_kind:     hidden_remainder_z
      - .offset:         184
        .size:           8
        .value_kind:     hidden_global_offset_x
      - .offset:         192
        .size:           8
        .value_kind:     hidden_global_offset_y
      - .offset:         200
        .size:           8
        .value_kind:     hidden_global_offset_z
      - .offset:         208
        .size:           2
        .value_kind:     hidden_grid_dims
    .group_segment_fixed_size: 16
    .kernarg_segment_align: 8
    .kernarg_segment_size: 400
    .language:       OpenCL C
    .language_version:
      - 2
      - 0
    .max_flat_workgroup_size: 1024
    .name:           _ZN5aiter35fused_qk_rmsnorm_group_quant_kernelIDF16_DB8_Li128ELi16ELi2ELb1ELb1ELb0ELb1ELb0ELb0EEEvPT0_PvPT_S6_S6_PKS5_S8_S8_S8_S8_ffiiiiiiiiiiiii
    .private_segment_fixed_size: 0
    .sgpr_count:     36
    .sgpr_spill_count: 0
    .symbol:         _ZN5aiter35fused_qk_rmsnorm_group_quant_kernelIDF16_DB8_Li128ELi16ELi2ELb1ELb1ELb0ELb1ELb0ELb0EEEvPT0_PvPT_S6_S6_PKS5_S8_S8_S8_S8_ffiiiiiiiiiiiii.kd
    .uniform_work_group_size: 1
    .uses_dynamic_stack: false
    .vgpr_count:     49
    .vgpr_spill_count: 0
    .wavefront_size: 64
  - .agpr_count:     0
    .args:
      - .actual_access:  read_only
        .address_space:  global
        .offset:         0
        .size:           8
        .value_kind:     global_buffer
      - .actual_access:  read_only
        .address_space:  global
        .offset:         8
        .size:           8
        .value_kind:     global_buffer
      - .actual_access:  write_only
        .address_space:  global
        .offset:         16
        .size:           8
        .value_kind:     global_buffer
      - .actual_access:  write_only
        .address_space:  global
        .offset:         24
        .size:           8
        .value_kind:     global_buffer
      - .actual_access:  write_only
        .address_space:  global
        .offset:         32
        .size:           8
        .value_kind:     global_buffer
      - .actual_access:  read_only
        .address_space:  global
        .offset:         40
        .size:           8
        .value_kind:     global_buffer
      - .actual_access:  read_only
        .address_space:  global
        .offset:         48
        .size:           8
        .value_kind:     global_buffer
      - .actual_access:  read_only
        .address_space:  global
        .offset:         56
        .size:           8
        .value_kind:     global_buffer
      - .actual_access:  read_only
        .address_space:  global
        .offset:         64
        .size:           8
        .value_kind:     global_buffer
      - .actual_access:  read_only
        .address_space:  global
        .offset:         72
        .size:           8
        .value_kind:     global_buffer
      - .offset:         80
        .size:           4
        .value_kind:     by_value
      - .offset:         84
        .size:           4
        .value_kind:     by_value
      - .offset:         88
        .size:           4
        .value_kind:     by_value
      - .offset:         92
        .size:           4
        .value_kind:     by_value
      - .offset:         96
        .size:           4
        .value_kind:     by_value
      - .offset:         100
        .size:           4
        .value_kind:     by_value
      - .offset:         104
        .size:           4
        .value_kind:     by_value
      - .offset:         108
        .size:           4
        .value_kind:     by_value
      - .offset:         112
        .size:           4
        .value_kind:     by_value
      - .offset:         116
        .size:           4
        .value_kind:     by_value
      - .offset:         120
        .size:           4
        .value_kind:     by_value
      - .offset:         124
        .size:           4
        .value_kind:     by_value
      - .offset:         128
        .size:           4
        .value_kind:     by_value
      - .offset:         132
        .size:           4
        .value_kind:     by_value
      - .offset:         136
        .size:           4
        .value_kind:     by_value
      - .offset:         144
        .size:           4
        .value_kind:     hidden_block_count_x
      - .offset:         148
        .size:           4
        .value_kind:     hidden_block_count_y
      - .offset:         152
        .size:           4
        .value_kind:     hidden_block_count_z
      - .offset:         156
        .size:           2
        .value_kind:     hidden_group_size_x
      - .offset:         158
        .size:           2
        .value_kind:     hidden_group_size_y
      - .offset:         160
        .size:           2
        .value_kind:     hidden_group_size_z
      - .offset:         162
        .size:           2
        .value_kind:     hidden_remainder_x
      - .offset:         164
        .size:           2
        .value_kind:     hidden_remainder_y
      - .offset:         166
        .size:           2
        .value_kind:     hidden_remainder_z
      - .offset:         184
        .size:           8
        .value_kind:     hidden_global_offset_x
      - .offset:         192
        .size:           8
        .value_kind:     hidden_global_offset_y
      - .offset:         200
        .size:           8
        .value_kind:     hidden_global_offset_z
      - .offset:         208
        .size:           2
        .value_kind:     hidden_grid_dims
    .group_segment_fixed_size: 16
    .kernarg_segment_align: 8
    .kernarg_segment_size: 400
    .language:       OpenCL C
    .language_version:
      - 2
      - 0
    .max_flat_workgroup_size: 1024
    .name:           _ZN5aiter35fused_qk_rmsnorm_group_quant_kernelItDB8_Li128ELi16ELi2ELb1ELb1ELb0ELb1ELb0ELb0EEEvPT0_PvPT_S6_S6_PKS5_S8_S8_S8_S8_ffiiiiiiiiiiiii
    .private_segment_fixed_size: 0
    .sgpr_count:     36
    .sgpr_spill_count: 0
    .symbol:         _ZN5aiter35fused_qk_rmsnorm_group_quant_kernelItDB8_Li128ELi16ELi2ELb1ELb1ELb0ELb1ELb0ELb0EEEvPT0_PvPT_S6_S6_PKS5_S8_S8_S8_S8_ffiiiiiiiiiiiii.kd
    .uniform_work_group_size: 1
    .uses_dynamic_stack: false
    .vgpr_count:     90
    .vgpr_spill_count: 0
    .wavefront_size: 64
  - .agpr_count:     0
    .args:
      - .actual_access:  read_only
        .address_space:  global
        .offset:         0
        .size:           8
        .value_kind:     global_buffer
      - .actual_access:  read_only
        .address_space:  global
        .offset:         8
        .size:           8
        .value_kind:     global_buffer
      - .actual_access:  write_only
        .address_space:  global
        .offset:         16
        .size:           8
        .value_kind:     global_buffer
      - .actual_access:  write_only
        .address_space:  global
        .offset:         24
        .size:           8
        .value_kind:     global_buffer
      - .actual_access:  write_only
        .address_space:  global
        .offset:         32
        .size:           8
        .value_kind:     global_buffer
      - .actual_access:  read_only
        .address_space:  global
        .offset:         40
        .size:           8
        .value_kind:     global_buffer
      - .actual_access:  read_only
        .address_space:  global
        .offset:         48
        .size:           8
        .value_kind:     global_buffer
      - .actual_access:  read_only
        .address_space:  global
        .offset:         56
        .size:           8
        .value_kind:     global_buffer
      - .actual_access:  read_only
        .address_space:  global
        .offset:         64
        .size:           8
        .value_kind:     global_buffer
      - .actual_access:  read_only
        .address_space:  global
        .offset:         72
        .size:           8
        .value_kind:     global_buffer
      - .offset:         80
        .size:           4
        .value_kind:     by_value
      - .offset:         84
        .size:           4
        .value_kind:     by_value
      - .offset:         88
        .size:           4
        .value_kind:     by_value
      - .offset:         92
        .size:           4
        .value_kind:     by_value
      - .offset:         96
        .size:           4
        .value_kind:     by_value
      - .offset:         100
        .size:           4
        .value_kind:     by_value
      - .offset:         104
        .size:           4
        .value_kind:     by_value
      - .offset:         108
        .size:           4
        .value_kind:     by_value
      - .offset:         112
        .size:           4
        .value_kind:     by_value
      - .offset:         116
        .size:           4
        .value_kind:     by_value
      - .offset:         120
        .size:           4
        .value_kind:     by_value
      - .offset:         124
        .size:           4
        .value_kind:     by_value
      - .offset:         128
        .size:           4
        .value_kind:     by_value
      - .offset:         132
        .size:           4
        .value_kind:     by_value
      - .offset:         136
        .size:           4
        .value_kind:     by_value
      - .offset:         144
        .size:           4
        .value_kind:     hidden_block_count_x
      - .offset:         148
        .size:           4
        .value_kind:     hidden_block_count_y
      - .offset:         152
        .size:           4
        .value_kind:     hidden_block_count_z
      - .offset:         156
        .size:           2
        .value_kind:     hidden_group_size_x
      - .offset:         158
        .size:           2
        .value_kind:     hidden_group_size_y
      - .offset:         160
        .size:           2
        .value_kind:     hidden_group_size_z
      - .offset:         162
        .size:           2
        .value_kind:     hidden_remainder_x
      - .offset:         164
        .size:           2
        .value_kind:     hidden_remainder_y
      - .offset:         166
        .size:           2
        .value_kind:     hidden_remainder_z
      - .offset:         184
        .size:           8
        .value_kind:     hidden_global_offset_x
      - .offset:         192
        .size:           8
        .value_kind:     hidden_global_offset_y
      - .offset:         200
        .size:           8
        .value_kind:     hidden_global_offset_z
      - .offset:         208
        .size:           2
        .value_kind:     hidden_grid_dims
    .group_segment_fixed_size: 16
    .kernarg_segment_align: 8
    .kernarg_segment_size: 400
    .language:       OpenCL C
    .language_version:
      - 2
      - 0
    .max_flat_workgroup_size: 1024
    .name:           _ZN5aiter35fused_qk_rmsnorm_group_quant_kernelIDF16_N4opus5fp4_tELi128ELi16ELi2ELb1ELb1ELb0ELb1ELb0ELb0EEEvPT0_PvPT_S7_S7_PKS6_S9_S9_S9_S9_ffiiiiiiiiiiiii
    .private_segment_fixed_size: 0
    .sgpr_count:     36
    .sgpr_spill_count: 0
    .symbol:         _ZN5aiter35fused_qk_rmsnorm_group_quant_kernelIDF16_N4opus5fp4_tELi128ELi16ELi2ELb1ELb1ELb0ELb1ELb0ELb0EEEvPT0_PvPT_S7_S7_PKS6_S9_S9_S9_S9_ffiiiiiiiiiiiii.kd
    .uniform_work_group_size: 1
    .uses_dynamic_stack: false
    .vgpr_count:     49
    .vgpr_spill_count: 0
    .wavefront_size: 64
  - .agpr_count:     0
    .args:
      - .actual_access:  read_only
        .address_space:  global
        .offset:         0
        .size:           8
        .value_kind:     global_buffer
      - .actual_access:  read_only
        .address_space:  global
        .offset:         8
        .size:           8
        .value_kind:     global_buffer
      - .actual_access:  write_only
        .address_space:  global
        .offset:         16
        .size:           8
        .value_kind:     global_buffer
      - .actual_access:  write_only
        .address_space:  global
        .offset:         24
        .size:           8
        .value_kind:     global_buffer
      - .actual_access:  write_only
        .address_space:  global
        .offset:         32
        .size:           8
        .value_kind:     global_buffer
      - .actual_access:  read_only
        .address_space:  global
        .offset:         40
        .size:           8
        .value_kind:     global_buffer
      - .actual_access:  read_only
        .address_space:  global
        .offset:         48
        .size:           8
        .value_kind:     global_buffer
      - .actual_access:  read_only
        .address_space:  global
        .offset:         56
        .size:           8
        .value_kind:     global_buffer
      - .actual_access:  read_only
        .address_space:  global
        .offset:         64
        .size:           8
        .value_kind:     global_buffer
      - .actual_access:  read_only
        .address_space:  global
        .offset:         72
        .size:           8
        .value_kind:     global_buffer
      - .offset:         80
        .size:           4
        .value_kind:     by_value
      - .offset:         84
        .size:           4
        .value_kind:     by_value
      - .offset:         88
        .size:           4
        .value_kind:     by_value
      - .offset:         92
        .size:           4
        .value_kind:     by_value
      - .offset:         96
        .size:           4
        .value_kind:     by_value
      - .offset:         100
        .size:           4
        .value_kind:     by_value
      - .offset:         104
        .size:           4
        .value_kind:     by_value
      - .offset:         108
        .size:           4
        .value_kind:     by_value
      - .offset:         112
        .size:           4
        .value_kind:     by_value
      - .offset:         116
        .size:           4
        .value_kind:     by_value
      - .offset:         120
        .size:           4
        .value_kind:     by_value
      - .offset:         124
        .size:           4
        .value_kind:     by_value
      - .offset:         128
        .size:           4
        .value_kind:     by_value
      - .offset:         132
        .size:           4
        .value_kind:     by_value
      - .offset:         136
        .size:           4
        .value_kind:     by_value
      - .offset:         144
        .size:           4
        .value_kind:     hidden_block_count_x
      - .offset:         148
        .size:           4
        .value_kind:     hidden_block_count_y
      - .offset:         152
        .size:           4
        .value_kind:     hidden_block_count_z
      - .offset:         156
        .size:           2
        .value_kind:     hidden_group_size_x
      - .offset:         158
        .size:           2
        .value_kind:     hidden_group_size_y
      - .offset:         160
        .size:           2
        .value_kind:     hidden_group_size_z
      - .offset:         162
        .size:           2
        .value_kind:     hidden_remainder_x
      - .offset:         164
        .size:           2
        .value_kind:     hidden_remainder_y
      - .offset:         166
        .size:           2
        .value_kind:     hidden_remainder_z
      - .offset:         184
        .size:           8
        .value_kind:     hidden_global_offset_x
      - .offset:         192
        .size:           8
        .value_kind:     hidden_global_offset_y
      - .offset:         200
        .size:           8
        .value_kind:     hidden_global_offset_z
      - .offset:         208
        .size:           2
        .value_kind:     hidden_grid_dims
    .group_segment_fixed_size: 16
    .kernarg_segment_align: 8
    .kernarg_segment_size: 400
    .language:       OpenCL C
    .language_version:
      - 2
      - 0
    .max_flat_workgroup_size: 1024
    .name:           _ZN5aiter35fused_qk_rmsnorm_group_quant_kernelItN4opus5fp4_tELi128ELi16ELi2ELb1ELb1ELb0ELb1ELb0ELb0EEEvPT0_PvPT_S7_S7_PKS6_S9_S9_S9_S9_ffiiiiiiiiiiiii
    .private_segment_fixed_size: 0
    .sgpr_count:     36
    .sgpr_spill_count: 0
    .symbol:         _ZN5aiter35fused_qk_rmsnorm_group_quant_kernelItN4opus5fp4_tELi128ELi16ELi2ELb1ELb1ELb0ELb1ELb0ELb0EEEvPT0_PvPT_S7_S7_PKS6_S9_S9_S9_S9_ffiiiiiiiiiiiii.kd
    .uniform_work_group_size: 1
    .uses_dynamic_stack: false
    .vgpr_count:     90
    .vgpr_spill_count: 0
    .wavefront_size: 64
  - .agpr_count:     0
    .args:
      - .actual_access:  read_only
        .address_space:  global
        .offset:         0
        .size:           8
        .value_kind:     global_buffer
      - .actual_access:  read_only
        .address_space:  global
        .offset:         8
        .size:           8
        .value_kind:     global_buffer
      - .actual_access:  write_only
        .address_space:  global
        .offset:         16
        .size:           8
        .value_kind:     global_buffer
      - .actual_access:  write_only
        .address_space:  global
        .offset:         24
        .size:           8
        .value_kind:     global_buffer
      - .actual_access:  read_only
        .address_space:  global
        .offset:         32
        .size:           8
        .value_kind:     global_buffer
      - .actual_access:  read_only
        .address_space:  global
        .offset:         40
        .size:           8
        .value_kind:     global_buffer
      - .actual_access:  read_only
        .address_space:  global
        .offset:         48
        .size:           8
        .value_kind:     global_buffer
      - .actual_access:  read_only
        .address_space:  global
        .offset:         56
        .size:           8
        .value_kind:     global_buffer
      - .actual_access:  read_only
        .address_space:  global
        .offset:         64
        .size:           8
        .value_kind:     global_buffer
      - .actual_access:  read_only
        .address_space:  global
        .offset:         72
        .size:           8
        .value_kind:     global_buffer
      - .offset:         80
        .size:           4
        .value_kind:     by_value
      - .offset:         84
        .size:           4
        .value_kind:     by_value
      - .offset:         88
        .size:           4
        .value_kind:     by_value
      - .offset:         92
        .size:           4
        .value_kind:     by_value
      - .offset:         96
        .size:           4
        .value_kind:     by_value
      - .offset:         100
        .size:           4
        .value_kind:     by_value
      - .offset:         104
        .size:           4
        .value_kind:     by_value
      - .offset:         108
        .size:           4
        .value_kind:     by_value
      - .offset:         112
        .size:           4
        .value_kind:     by_value
      - .offset:         116
        .size:           4
        .value_kind:     by_value
      - .offset:         120
        .size:           4
        .value_kind:     by_value
      - .offset:         124
        .size:           4
        .value_kind:     by_value
      - .offset:         128
        .size:           4
        .value_kind:     by_value
      - .offset:         132
        .size:           4
        .value_kind:     by_value
      - .offset:         136
        .size:           4
        .value_kind:     by_value
      - .offset:         144
        .size:           4
        .value_kind:     hidden_block_count_x
      - .offset:         148
        .size:           4
        .value_kind:     hidden_block_count_y
      - .offset:         152
        .size:           4
        .value_kind:     hidden_block_count_z
      - .offset:         156
        .size:           2
        .value_kind:     hidden_group_size_x
      - .offset:         158
        .size:           2
        .value_kind:     hidden_group_size_y
      - .offset:         160
        .size:           2
        .value_kind:     hidden_group_size_z
      - .offset:         162
        .size:           2
        .value_kind:     hidden_remainder_x
      - .offset:         164
        .size:           2
        .value_kind:     hidden_remainder_y
      - .offset:         166
        .size:           2
        .value_kind:     hidden_remainder_z
      - .offset:         184
        .size:           8
        .value_kind:     hidden_global_offset_x
      - .offset:         192
        .size:           8
        .value_kind:     hidden_global_offset_y
      - .offset:         200
        .size:           8
        .value_kind:     hidden_global_offset_z
      - .offset:         208
        .size:           2
        .value_kind:     hidden_grid_dims
    .group_segment_fixed_size: 16
    .kernarg_segment_align: 8
    .kernarg_segment_size: 400
    .language:       OpenCL C
    .language_version:
      - 2
      - 0
    .max_flat_workgroup_size: 1024
    .name:           _ZN5aiter35fused_qk_rmsnorm_group_quant_kernelIDF16_DB8_Li128ELi16ELi2ELb0ELb1ELb1ELb1ELb0ELb0EEEvPT0_PvPT_S6_S6_PKS5_S8_S8_S8_S8_ffiiiiiiiiiiiii
    .private_segment_fixed_size: 0
    .sgpr_count:     36
    .sgpr_spill_count: 0
    .symbol:         _ZN5aiter35fused_qk_rmsnorm_group_quant_kernelIDF16_DB8_Li128ELi16ELi2ELb0ELb1ELb1ELb1ELb0ELb0EEEvPT0_PvPT_S6_S6_PKS5_S8_S8_S8_S8_ffiiiiiiiiiiiii.kd
    .uniform_work_group_size: 1
    .uses_dynamic_stack: false
    .vgpr_count:     35
    .vgpr_spill_count: 0
    .wavefront_size: 64
  - .agpr_count:     0
    .args:
      - .actual_access:  read_only
        .address_space:  global
        .offset:         0
        .size:           8
        .value_kind:     global_buffer
      - .actual_access:  read_only
        .address_space:  global
        .offset:         8
        .size:           8
        .value_kind:     global_buffer
      - .actual_access:  write_only
        .address_space:  global
        .offset:         16
        .size:           8
        .value_kind:     global_buffer
      - .actual_access:  write_only
        .address_space:  global
        .offset:         24
        .size:           8
        .value_kind:     global_buffer
      - .actual_access:  read_only
        .address_space:  global
        .offset:         32
        .size:           8
        .value_kind:     global_buffer
      - .actual_access:  read_only
        .address_space:  global
        .offset:         40
        .size:           8
        .value_kind:     global_buffer
      - .actual_access:  read_only
        .address_space:  global
        .offset:         48
        .size:           8
        .value_kind:     global_buffer
      - .actual_access:  read_only
        .address_space:  global
        .offset:         56
        .size:           8
        .value_kind:     global_buffer
      - .actual_access:  read_only
        .address_space:  global
        .offset:         64
        .size:           8
        .value_kind:     global_buffer
      - .actual_access:  read_only
        .address_space:  global
        .offset:         72
        .size:           8
        .value_kind:     global_buffer
      - .offset:         80
        .size:           4
        .value_kind:     by_value
      - .offset:         84
        .size:           4
        .value_kind:     by_value
      - .offset:         88
        .size:           4
        .value_kind:     by_value
      - .offset:         92
        .size:           4
        .value_kind:     by_value
      - .offset:         96
        .size:           4
        .value_kind:     by_value
      - .offset:         100
        .size:           4
        .value_kind:     by_value
      - .offset:         104
        .size:           4
        .value_kind:     by_value
      - .offset:         108
        .size:           4
        .value_kind:     by_value
      - .offset:         112
        .size:           4
        .value_kind:     by_value
      - .offset:         116
        .size:           4
        .value_kind:     by_value
      - .offset:         120
        .size:           4
        .value_kind:     by_value
      - .offset:         124
        .size:           4
        .value_kind:     by_value
      - .offset:         128
        .size:           4
        .value_kind:     by_value
      - .offset:         132
        .size:           4
        .value_kind:     by_value
      - .offset:         136
        .size:           4
        .value_kind:     by_value
      - .offset:         144
        .size:           4
        .value_kind:     hidden_block_count_x
      - .offset:         148
        .size:           4
        .value_kind:     hidden_block_count_y
      - .offset:         152
        .size:           4
        .value_kind:     hidden_block_count_z
      - .offset:         156
        .size:           2
        .value_kind:     hidden_group_size_x
      - .offset:         158
        .size:           2
        .value_kind:     hidden_group_size_y
      - .offset:         160
        .size:           2
        .value_kind:     hidden_group_size_z
      - .offset:         162
        .size:           2
        .value_kind:     hidden_remainder_x
      - .offset:         164
        .size:           2
        .value_kind:     hidden_remainder_y
      - .offset:         166
        .size:           2
        .value_kind:     hidden_remainder_z
      - .offset:         184
        .size:           8
        .value_kind:     hidden_global_offset_x
      - .offset:         192
        .size:           8
        .value_kind:     hidden_global_offset_y
      - .offset:         200
        .size:           8
        .value_kind:     hidden_global_offset_z
      - .offset:         208
        .size:           2
        .value_kind:     hidden_grid_dims
    .group_segment_fixed_size: 16
    .kernarg_segment_align: 8
    .kernarg_segment_size: 400
    .language:       OpenCL C
    .language_version:
      - 2
      - 0
    .max_flat_workgroup_size: 1024
    .name:           _ZN5aiter35fused_qk_rmsnorm_group_quant_kernelItDB8_Li128ELi16ELi2ELb0ELb1ELb1ELb1ELb0ELb0EEEvPT0_PvPT_S6_S6_PKS5_S8_S8_S8_S8_ffiiiiiiiiiiiii
    .private_segment_fixed_size: 0
    .sgpr_count:     36
    .sgpr_spill_count: 0
    .symbol:         _ZN5aiter35fused_qk_rmsnorm_group_quant_kernelItDB8_Li128ELi16ELi2ELb0ELb1ELb1ELb1ELb0ELb0EEEvPT0_PvPT_S6_S6_PKS5_S8_S8_S8_S8_ffiiiiiiiiiiiii.kd
    .uniform_work_group_size: 1
    .uses_dynamic_stack: false
    .vgpr_count:     35
    .vgpr_spill_count: 0
    .wavefront_size: 64
  - .agpr_count:     0
    .args:
      - .actual_access:  read_only
        .address_space:  global
        .offset:         0
        .size:           8
        .value_kind:     global_buffer
      - .actual_access:  read_only
        .address_space:  global
        .offset:         8
        .size:           8
        .value_kind:     global_buffer
      - .actual_access:  write_only
        .address_space:  global
        .offset:         16
        .size:           8
        .value_kind:     global_buffer
      - .actual_access:  write_only
        .address_space:  global
        .offset:         24
        .size:           8
        .value_kind:     global_buffer
      - .actual_access:  read_only
        .address_space:  global
        .offset:         32
        .size:           8
        .value_kind:     global_buffer
      - .actual_access:  read_only
        .address_space:  global
        .offset:         40
        .size:           8
        .value_kind:     global_buffer
      - .actual_access:  read_only
        .address_space:  global
        .offset:         48
        .size:           8
        .value_kind:     global_buffer
      - .actual_access:  read_only
        .address_space:  global
        .offset:         56
        .size:           8
        .value_kind:     global_buffer
      - .actual_access:  read_only
        .address_space:  global
        .offset:         64
        .size:           8
        .value_kind:     global_buffer
      - .actual_access:  read_only
        .address_space:  global
        .offset:         72
        .size:           8
        .value_kind:     global_buffer
      - .offset:         80
        .size:           4
        .value_kind:     by_value
      - .offset:         84
        .size:           4
        .value_kind:     by_value
      - .offset:         88
        .size:           4
        .value_kind:     by_value
      - .offset:         92
        .size:           4
        .value_kind:     by_value
      - .offset:         96
        .size:           4
        .value_kind:     by_value
      - .offset:         100
        .size:           4
        .value_kind:     by_value
      - .offset:         104
        .size:           4
        .value_kind:     by_value
      - .offset:         108
        .size:           4
        .value_kind:     by_value
      - .offset:         112
        .size:           4
        .value_kind:     by_value
      - .offset:         116
        .size:           4
        .value_kind:     by_value
      - .offset:         120
        .size:           4
        .value_kind:     by_value
      - .offset:         124
        .size:           4
        .value_kind:     by_value
      - .offset:         128
        .size:           4
        .value_kind:     by_value
      - .offset:         132
        .size:           4
        .value_kind:     by_value
      - .offset:         136
        .size:           4
        .value_kind:     by_value
      - .offset:         144
        .size:           4
        .value_kind:     hidden_block_count_x
      - .offset:         148
        .size:           4
        .value_kind:     hidden_block_count_y
      - .offset:         152
        .size:           4
        .value_kind:     hidden_block_count_z
      - .offset:         156
        .size:           2
        .value_kind:     hidden_group_size_x
      - .offset:         158
        .size:           2
        .value_kind:     hidden_group_size_y
      - .offset:         160
        .size:           2
        .value_kind:     hidden_group_size_z
      - .offset:         162
        .size:           2
        .value_kind:     hidden_remainder_x
      - .offset:         164
        .size:           2
        .value_kind:     hidden_remainder_y
      - .offset:         166
        .size:           2
        .value_kind:     hidden_remainder_z
      - .offset:         184
        .size:           8
        .value_kind:     hidden_global_offset_x
      - .offset:         192
        .size:           8
        .value_kind:     hidden_global_offset_y
      - .offset:         200
        .size:           8
        .value_kind:     hidden_global_offset_z
      - .offset:         208
        .size:           2
        .value_kind:     hidden_grid_dims
    .group_segment_fixed_size: 16
    .kernarg_segment_align: 8
    .kernarg_segment_size: 400
    .language:       OpenCL C
    .language_version:
      - 2
      - 0
    .max_flat_workgroup_size: 1024
    .name:           _ZN5aiter35fused_qk_rmsnorm_group_quant_kernelIDF16_N4opus5fp4_tELi128ELi16ELi2ELb0ELb1ELb1ELb1ELb0ELb0EEEvPT0_PvPT_S7_S7_PKS6_S9_S9_S9_S9_ffiiiiiiiiiiiii
    .private_segment_fixed_size: 0
    .sgpr_count:     36
    .sgpr_spill_count: 0
    .symbol:         _ZN5aiter35fused_qk_rmsnorm_group_quant_kernelIDF16_N4opus5fp4_tELi128ELi16ELi2ELb0ELb1ELb1ELb1ELb0ELb0EEEvPT0_PvPT_S7_S7_PKS6_S9_S9_S9_S9_ffiiiiiiiiiiiii.kd
    .uniform_work_group_size: 1
    .uses_dynamic_stack: false
    .vgpr_count:     35
    .vgpr_spill_count: 0
    .wavefront_size: 64
  - .agpr_count:     0
    .args:
      - .actual_access:  read_only
        .address_space:  global
        .offset:         0
        .size:           8
        .value_kind:     global_buffer
      - .actual_access:  read_only
        .address_space:  global
        .offset:         8
        .size:           8
        .value_kind:     global_buffer
      - .actual_access:  write_only
        .address_space:  global
        .offset:         16
        .size:           8
        .value_kind:     global_buffer
      - .actual_access:  write_only
        .address_space:  global
        .offset:         24
        .size:           8
        .value_kind:     global_buffer
      - .actual_access:  read_only
        .address_space:  global
        .offset:         32
        .size:           8
        .value_kind:     global_buffer
      - .actual_access:  read_only
        .address_space:  global
        .offset:         40
        .size:           8
        .value_kind:     global_buffer
      - .actual_access:  read_only
        .address_space:  global
        .offset:         48
        .size:           8
        .value_kind:     global_buffer
      - .actual_access:  read_only
        .address_space:  global
        .offset:         56
        .size:           8
        .value_kind:     global_buffer
      - .actual_access:  read_only
        .address_space:  global
        .offset:         64
        .size:           8
        .value_kind:     global_buffer
      - .actual_access:  read_only
        .address_space:  global
        .offset:         72
        .size:           8
        .value_kind:     global_buffer
      - .offset:         80
        .size:           4
        .value_kind:     by_value
      - .offset:         84
        .size:           4
        .value_kind:     by_value
      - .offset:         88
        .size:           4
        .value_kind:     by_value
      - .offset:         92
        .size:           4
        .value_kind:     by_value
      - .offset:         96
        .size:           4
        .value_kind:     by_value
      - .offset:         100
        .size:           4
        .value_kind:     by_value
      - .offset:         104
        .size:           4
        .value_kind:     by_value
      - .offset:         108
        .size:           4
        .value_kind:     by_value
      - .offset:         112
        .size:           4
        .value_kind:     by_value
      - .offset:         116
        .size:           4
        .value_kind:     by_value
      - .offset:         120
        .size:           4
        .value_kind:     by_value
      - .offset:         124
        .size:           4
        .value_kind:     by_value
      - .offset:         128
        .size:           4
        .value_kind:     by_value
      - .offset:         132
        .size:           4
        .value_kind:     by_value
      - .offset:         136
        .size:           4
        .value_kind:     by_value
      - .offset:         144
        .size:           4
        .value_kind:     hidden_block_count_x
      - .offset:         148
        .size:           4
        .value_kind:     hidden_block_count_y
      - .offset:         152
        .size:           4
        .value_kind:     hidden_block_count_z
      - .offset:         156
        .size:           2
        .value_kind:     hidden_group_size_x
      - .offset:         158
        .size:           2
        .value_kind:     hidden_group_size_y
      - .offset:         160
        .size:           2
        .value_kind:     hidden_group_size_z
      - .offset:         162
        .size:           2
        .value_kind:     hidden_remainder_x
      - .offset:         164
        .size:           2
        .value_kind:     hidden_remainder_y
      - .offset:         166
        .size:           2
        .value_kind:     hidden_remainder_z
      - .offset:         184
        .size:           8
        .value_kind:     hidden_global_offset_x
      - .offset:         192
        .size:           8
        .value_kind:     hidden_global_offset_y
      - .offset:         200
        .size:           8
        .value_kind:     hidden_global_offset_z
      - .offset:         208
        .size:           2
        .value_kind:     hidden_grid_dims
    .group_segment_fixed_size: 16
    .kernarg_segment_align: 8
    .kernarg_segment_size: 400
    .language:       OpenCL C
    .language_version:
      - 2
      - 0
    .max_flat_workgroup_size: 1024
    .name:           _ZN5aiter35fused_qk_rmsnorm_group_quant_kernelItN4opus5fp4_tELi128ELi16ELi2ELb0ELb1ELb1ELb1ELb0ELb0EEEvPT0_PvPT_S7_S7_PKS6_S9_S9_S9_S9_ffiiiiiiiiiiiii
    .private_segment_fixed_size: 0
    .sgpr_count:     36
    .sgpr_spill_count: 0
    .symbol:         _ZN5aiter35fused_qk_rmsnorm_group_quant_kernelItN4opus5fp4_tELi128ELi16ELi2ELb0ELb1ELb1ELb1ELb0ELb0EEEvPT0_PvPT_S7_S7_PKS6_S9_S9_S9_S9_ffiiiiiiiiiiiii.kd
    .uniform_work_group_size: 1
    .uses_dynamic_stack: false
    .vgpr_count:     35
    .vgpr_spill_count: 0
    .wavefront_size: 64
  - .agpr_count:     0
    .args:
      - .actual_access:  read_only
        .address_space:  global
        .offset:         0
        .size:           8
        .value_kind:     global_buffer
      - .actual_access:  read_only
        .address_space:  global
        .offset:         8
        .size:           8
        .value_kind:     global_buffer
      - .actual_access:  write_only
        .address_space:  global
        .offset:         16
        .size:           8
        .value_kind:     global_buffer
      - .actual_access:  write_only
        .address_space:  global
        .offset:         24
        .size:           8
        .value_kind:     global_buffer
      - .actual_access:  read_only
        .address_space:  global
        .offset:         32
        .size:           8
        .value_kind:     global_buffer
      - .actual_access:  read_only
        .address_space:  global
        .offset:         40
        .size:           8
        .value_kind:     global_buffer
      - .actual_access:  read_only
        .address_space:  global
        .offset:         48
        .size:           8
        .value_kind:     global_buffer
      - .actual_access:  read_only
        .address_space:  global
        .offset:         56
        .size:           8
        .value_kind:     global_buffer
      - .actual_access:  read_only
        .address_space:  global
        .offset:         64
        .size:           8
        .value_kind:     global_buffer
      - .actual_access:  read_only
        .address_space:  global
        .offset:         72
        .size:           8
        .value_kind:     global_buffer
      - .offset:         80
        .size:           4
        .value_kind:     by_value
      - .offset:         84
        .size:           4
        .value_kind:     by_value
      - .offset:         88
        .size:           4
        .value_kind:     by_value
      - .offset:         92
        .size:           4
        .value_kind:     by_value
      - .offset:         96
        .size:           4
        .value_kind:     by_value
      - .offset:         100
        .size:           4
        .value_kind:     by_value
      - .offset:         104
        .size:           4
        .value_kind:     by_value
      - .offset:         108
        .size:           4
        .value_kind:     by_value
      - .offset:         112
        .size:           4
        .value_kind:     by_value
      - .offset:         116
        .size:           4
        .value_kind:     by_value
      - .offset:         120
        .size:           4
        .value_kind:     by_value
      - .offset:         124
        .size:           4
        .value_kind:     by_value
      - .offset:         128
        .size:           4
        .value_kind:     by_value
      - .offset:         132
        .size:           4
        .value_kind:     by_value
      - .offset:         136
        .size:           4
        .value_kind:     by_value
      - .offset:         144
        .size:           4
        .value_kind:     hidden_block_count_x
      - .offset:         148
        .size:           4
        .value_kind:     hidden_block_count_y
      - .offset:         152
        .size:           4
        .value_kind:     hidden_block_count_z
      - .offset:         156
        .size:           2
        .value_kind:     hidden_group_size_x
      - .offset:         158
        .size:           2
        .value_kind:     hidden_group_size_y
      - .offset:         160
        .size:           2
        .value_kind:     hidden_group_size_z
      - .offset:         162
        .size:           2
        .value_kind:     hidden_remainder_x
      - .offset:         164
        .size:           2
        .value_kind:     hidden_remainder_y
      - .offset:         166
        .size:           2
        .value_kind:     hidden_remainder_z
      - .offset:         184
        .size:           8
        .value_kind:     hidden_global_offset_x
      - .offset:         192
        .size:           8
        .value_kind:     hidden_global_offset_y
      - .offset:         200
        .size:           8
        .value_kind:     hidden_global_offset_z
      - .offset:         208
        .size:           2
        .value_kind:     hidden_grid_dims
    .group_segment_fixed_size: 16
    .kernarg_segment_align: 8
    .kernarg_segment_size: 400
    .language:       OpenCL C
    .language_version:
      - 2
      - 0
    .max_flat_workgroup_size: 1024
    .name:           _ZN5aiter35fused_qk_rmsnorm_group_quant_kernelIDF16_DB8_Li128ELi16ELi2ELb0ELb1ELb0ELb1ELb0ELb0EEEvPT0_PvPT_S6_S6_PKS5_S8_S8_S8_S8_ffiiiiiiiiiiiii
    .private_segment_fixed_size: 0
    .sgpr_count:     36
    .sgpr_spill_count: 0
    .symbol:         _ZN5aiter35fused_qk_rmsnorm_group_quant_kernelIDF16_DB8_Li128ELi16ELi2ELb0ELb1ELb0ELb1ELb0ELb0EEEvPT0_PvPT_S6_S6_PKS5_S8_S8_S8_S8_ffiiiiiiiiiiiii.kd
    .uniform_work_group_size: 1
    .uses_dynamic_stack: false
    .vgpr_count:     35
    .vgpr_spill_count: 0
    .wavefront_size: 64
  - .agpr_count:     0
    .args:
      - .actual_access:  read_only
        .address_space:  global
        .offset:         0
        .size:           8
        .value_kind:     global_buffer
      - .actual_access:  read_only
        .address_space:  global
        .offset:         8
        .size:           8
        .value_kind:     global_buffer
      - .actual_access:  write_only
        .address_space:  global
        .offset:         16
        .size:           8
        .value_kind:     global_buffer
      - .actual_access:  write_only
        .address_space:  global
        .offset:         24
        .size:           8
        .value_kind:     global_buffer
      - .actual_access:  read_only
        .address_space:  global
        .offset:         32
        .size:           8
        .value_kind:     global_buffer
      - .actual_access:  read_only
        .address_space:  global
        .offset:         40
        .size:           8
        .value_kind:     global_buffer
      - .actual_access:  read_only
        .address_space:  global
        .offset:         48
        .size:           8
        .value_kind:     global_buffer
      - .actual_access:  read_only
        .address_space:  global
        .offset:         56
        .size:           8
        .value_kind:     global_buffer
      - .actual_access:  read_only
        .address_space:  global
        .offset:         64
        .size:           8
        .value_kind:     global_buffer
      - .actual_access:  read_only
        .address_space:  global
        .offset:         72
        .size:           8
        .value_kind:     global_buffer
      - .offset:         80
        .size:           4
        .value_kind:     by_value
      - .offset:         84
        .size:           4
        .value_kind:     by_value
      - .offset:         88
        .size:           4
        .value_kind:     by_value
      - .offset:         92
        .size:           4
        .value_kind:     by_value
      - .offset:         96
        .size:           4
        .value_kind:     by_value
      - .offset:         100
        .size:           4
        .value_kind:     by_value
      - .offset:         104
        .size:           4
        .value_kind:     by_value
      - .offset:         108
        .size:           4
        .value_kind:     by_value
      - .offset:         112
        .size:           4
        .value_kind:     by_value
      - .offset:         116
        .size:           4
        .value_kind:     by_value
      - .offset:         120
        .size:           4
        .value_kind:     by_value
      - .offset:         124
        .size:           4
        .value_kind:     by_value
      - .offset:         128
        .size:           4
        .value_kind:     by_value
      - .offset:         132
        .size:           4
        .value_kind:     by_value
      - .offset:         136
        .size:           4
        .value_kind:     by_value
      - .offset:         144
        .size:           4
        .value_kind:     hidden_block_count_x
      - .offset:         148
        .size:           4
        .value_kind:     hidden_block_count_y
      - .offset:         152
        .size:           4
        .value_kind:     hidden_block_count_z
      - .offset:         156
        .size:           2
        .value_kind:     hidden_group_size_x
      - .offset:         158
        .size:           2
        .value_kind:     hidden_group_size_y
      - .offset:         160
        .size:           2
        .value_kind:     hidden_group_size_z
      - .offset:         162
        .size:           2
        .value_kind:     hidden_remainder_x
      - .offset:         164
        .size:           2
        .value_kind:     hidden_remainder_y
      - .offset:         166
        .size:           2
        .value_kind:     hidden_remainder_z
      - .offset:         184
        .size:           8
        .value_kind:     hidden_global_offset_x
      - .offset:         192
        .size:           8
        .value_kind:     hidden_global_offset_y
      - .offset:         200
        .size:           8
        .value_kind:     hidden_global_offset_z
      - .offset:         208
        .size:           2
        .value_kind:     hidden_grid_dims
    .group_segment_fixed_size: 16
    .kernarg_segment_align: 8
    .kernarg_segment_size: 400
    .language:       OpenCL C
    .language_version:
      - 2
      - 0
    .max_flat_workgroup_size: 1024
    .name:           _ZN5aiter35fused_qk_rmsnorm_group_quant_kernelItDB8_Li128ELi16ELi2ELb0ELb1ELb0ELb1ELb0ELb0EEEvPT0_PvPT_S6_S6_PKS5_S8_S8_S8_S8_ffiiiiiiiiiiiii
    .private_segment_fixed_size: 0
    .sgpr_count:     36
    .sgpr_spill_count: 0
    .symbol:         _ZN5aiter35fused_qk_rmsnorm_group_quant_kernelItDB8_Li128ELi16ELi2ELb0ELb1ELb0ELb1ELb0ELb0EEEvPT0_PvPT_S6_S6_PKS5_S8_S8_S8_S8_ffiiiiiiiiiiiii.kd
    .uniform_work_group_size: 1
    .uses_dynamic_stack: false
    .vgpr_count:     35
    .vgpr_spill_count: 0
    .wavefront_size: 64
  - .agpr_count:     0
    .args:
      - .actual_access:  read_only
        .address_space:  global
        .offset:         0
        .size:           8
        .value_kind:     global_buffer
      - .actual_access:  read_only
        .address_space:  global
        .offset:         8
        .size:           8
        .value_kind:     global_buffer
      - .actual_access:  write_only
        .address_space:  global
        .offset:         16
        .size:           8
        .value_kind:     global_buffer
      - .actual_access:  write_only
        .address_space:  global
        .offset:         24
        .size:           8
        .value_kind:     global_buffer
      - .actual_access:  read_only
        .address_space:  global
        .offset:         32
        .size:           8
        .value_kind:     global_buffer
      - .actual_access:  read_only
        .address_space:  global
        .offset:         40
        .size:           8
        .value_kind:     global_buffer
      - .actual_access:  read_only
        .address_space:  global
        .offset:         48
        .size:           8
        .value_kind:     global_buffer
      - .actual_access:  read_only
        .address_space:  global
        .offset:         56
        .size:           8
        .value_kind:     global_buffer
      - .actual_access:  read_only
        .address_space:  global
        .offset:         64
        .size:           8
        .value_kind:     global_buffer
      - .actual_access:  read_only
        .address_space:  global
        .offset:         72
        .size:           8
        .value_kind:     global_buffer
      - .offset:         80
        .size:           4
        .value_kind:     by_value
      - .offset:         84
        .size:           4
        .value_kind:     by_value
      - .offset:         88
        .size:           4
        .value_kind:     by_value
      - .offset:         92
        .size:           4
        .value_kind:     by_value
      - .offset:         96
        .size:           4
        .value_kind:     by_value
      - .offset:         100
        .size:           4
        .value_kind:     by_value
      - .offset:         104
        .size:           4
        .value_kind:     by_value
      - .offset:         108
        .size:           4
        .value_kind:     by_value
      - .offset:         112
        .size:           4
        .value_kind:     by_value
      - .offset:         116
        .size:           4
        .value_kind:     by_value
      - .offset:         120
        .size:           4
        .value_kind:     by_value
      - .offset:         124
        .size:           4
        .value_kind:     by_value
      - .offset:         128
        .size:           4
        .value_kind:     by_value
      - .offset:         132
        .size:           4
        .value_kind:     by_value
      - .offset:         136
        .size:           4
        .value_kind:     by_value
      - .offset:         144
        .size:           4
        .value_kind:     hidden_block_count_x
      - .offset:         148
        .size:           4
        .value_kind:     hidden_block_count_y
      - .offset:         152
        .size:           4
        .value_kind:     hidden_block_count_z
      - .offset:         156
        .size:           2
        .value_kind:     hidden_group_size_x
      - .offset:         158
        .size:           2
        .value_kind:     hidden_group_size_y
      - .offset:         160
        .size:           2
        .value_kind:     hidden_group_size_z
      - .offset:         162
        .size:           2
        .value_kind:     hidden_remainder_x
      - .offset:         164
        .size:           2
        .value_kind:     hidden_remainder_y
      - .offset:         166
        .size:           2
        .value_kind:     hidden_remainder_z
      - .offset:         184
        .size:           8
        .value_kind:     hidden_global_offset_x
      - .offset:         192
        .size:           8
        .value_kind:     hidden_global_offset_y
      - .offset:         200
        .size:           8
        .value_kind:     hidden_global_offset_z
      - .offset:         208
        .size:           2
        .value_kind:     hidden_grid_dims
    .group_segment_fixed_size: 16
    .kernarg_segment_align: 8
    .kernarg_segment_size: 400
    .language:       OpenCL C
    .language_version:
      - 2
      - 0
    .max_flat_workgroup_size: 1024
    .name:           _ZN5aiter35fused_qk_rmsnorm_group_quant_kernelIDF16_N4opus5fp4_tELi128ELi16ELi2ELb0ELb1ELb0ELb1ELb0ELb0EEEvPT0_PvPT_S7_S7_PKS6_S9_S9_S9_S9_ffiiiiiiiiiiiii
    .private_segment_fixed_size: 0
    .sgpr_count:     36
    .sgpr_spill_count: 0
    .symbol:         _ZN5aiter35fused_qk_rmsnorm_group_quant_kernelIDF16_N4opus5fp4_tELi128ELi16ELi2ELb0ELb1ELb0ELb1ELb0ELb0EEEvPT0_PvPT_S7_S7_PKS6_S9_S9_S9_S9_ffiiiiiiiiiiiii.kd
    .uniform_work_group_size: 1
    .uses_dynamic_stack: false
    .vgpr_count:     35
    .vgpr_spill_count: 0
    .wavefront_size: 64
  - .agpr_count:     0
    .args:
      - .actual_access:  read_only
        .address_space:  global
        .offset:         0
        .size:           8
        .value_kind:     global_buffer
      - .actual_access:  read_only
        .address_space:  global
        .offset:         8
        .size:           8
        .value_kind:     global_buffer
      - .actual_access:  write_only
        .address_space:  global
        .offset:         16
        .size:           8
        .value_kind:     global_buffer
      - .actual_access:  write_only
        .address_space:  global
        .offset:         24
        .size:           8
        .value_kind:     global_buffer
      - .actual_access:  read_only
        .address_space:  global
        .offset:         32
        .size:           8
        .value_kind:     global_buffer
      - .actual_access:  read_only
        .address_space:  global
        .offset:         40
        .size:           8
        .value_kind:     global_buffer
      - .actual_access:  read_only
        .address_space:  global
        .offset:         48
        .size:           8
        .value_kind:     global_buffer
      - .actual_access:  read_only
        .address_space:  global
        .offset:         56
        .size:           8
        .value_kind:     global_buffer
      - .actual_access:  read_only
        .address_space:  global
        .offset:         64
        .size:           8
        .value_kind:     global_buffer
      - .actual_access:  read_only
        .address_space:  global
        .offset:         72
        .size:           8
        .value_kind:     global_buffer
      - .offset:         80
        .size:           4
        .value_kind:     by_value
      - .offset:         84
        .size:           4
        .value_kind:     by_value
      - .offset:         88
        .size:           4
        .value_kind:     by_value
      - .offset:         92
        .size:           4
        .value_kind:     by_value
      - .offset:         96
        .size:           4
        .value_kind:     by_value
      - .offset:         100
        .size:           4
        .value_kind:     by_value
      - .offset:         104
        .size:           4
        .value_kind:     by_value
      - .offset:         108
        .size:           4
        .value_kind:     by_value
      - .offset:         112
        .size:           4
        .value_kind:     by_value
      - .offset:         116
        .size:           4
        .value_kind:     by_value
      - .offset:         120
        .size:           4
        .value_kind:     by_value
      - .offset:         124
        .size:           4
        .value_kind:     by_value
      - .offset:         128
        .size:           4
        .value_kind:     by_value
      - .offset:         132
        .size:           4
        .value_kind:     by_value
      - .offset:         136
        .size:           4
        .value_kind:     by_value
      - .offset:         144
        .size:           4
        .value_kind:     hidden_block_count_x
      - .offset:         148
        .size:           4
        .value_kind:     hidden_block_count_y
      - .offset:         152
        .size:           4
        .value_kind:     hidden_block_count_z
      - .offset:         156
        .size:           2
        .value_kind:     hidden_group_size_x
      - .offset:         158
        .size:           2
        .value_kind:     hidden_group_size_y
      - .offset:         160
        .size:           2
        .value_kind:     hidden_group_size_z
      - .offset:         162
        .size:           2
        .value_kind:     hidden_remainder_x
      - .offset:         164
        .size:           2
        .value_kind:     hidden_remainder_y
      - .offset:         166
        .size:           2
        .value_kind:     hidden_remainder_z
      - .offset:         184
        .size:           8
        .value_kind:     hidden_global_offset_x
      - .offset:         192
        .size:           8
        .value_kind:     hidden_global_offset_y
      - .offset:         200
        .size:           8
        .value_kind:     hidden_global_offset_z
      - .offset:         208
        .size:           2
        .value_kind:     hidden_grid_dims
    .group_segment_fixed_size: 16
    .kernarg_segment_align: 8
    .kernarg_segment_size: 400
    .language:       OpenCL C
    .language_version:
      - 2
      - 0
    .max_flat_workgroup_size: 1024
    .name:           _ZN5aiter35fused_qk_rmsnorm_group_quant_kernelItN4opus5fp4_tELi128ELi16ELi2ELb0ELb1ELb0ELb1ELb0ELb0EEEvPT0_PvPT_S7_S7_PKS6_S9_S9_S9_S9_ffiiiiiiiiiiiii
    .private_segment_fixed_size: 0
    .sgpr_count:     36
    .sgpr_spill_count: 0
    .symbol:         _ZN5aiter35fused_qk_rmsnorm_group_quant_kernelItN4opus5fp4_tELi128ELi16ELi2ELb0ELb1ELb0ELb1ELb0ELb0EEEvPT0_PvPT_S7_S7_PKS6_S9_S9_S9_S9_ffiiiiiiiiiiiii.kd
    .uniform_work_group_size: 1
    .uses_dynamic_stack: false
    .vgpr_count:     35
    .vgpr_spill_count: 0
    .wavefront_size: 64
  - .agpr_count:     0
    .args:
      - .actual_access:  write_only
        .address_space:  global
        .offset:         0
        .size:           8
        .value_kind:     global_buffer
      - .actual_access:  write_only
        .address_space:  global
        .offset:         8
        .size:           8
        .value_kind:     global_buffer
      - .actual_access:  write_only
        .address_space:  global
        .offset:         16
        .size:           8
        .value_kind:     global_buffer
      - .actual_access:  write_only
        .address_space:  global
        .offset:         24
        .size:           8
        .value_kind:     global_buffer
      - .actual_access:  write_only
        .address_space:  global
        .offset:         32
        .size:           8
        .value_kind:     global_buffer
      - .actual_access:  read_only
        .address_space:  global
        .offset:         40
        .size:           8
        .value_kind:     global_buffer
      - .actual_access:  read_only
        .address_space:  global
        .offset:         48
        .size:           8
        .value_kind:     global_buffer
      - .actual_access:  read_only
        .address_space:  global
        .offset:         56
        .size:           8
        .value_kind:     global_buffer
      - .actual_access:  read_only
        .address_space:  global
        .offset:         64
        .size:           8
        .value_kind:     global_buffer
      - .actual_access:  read_only
        .address_space:  global
        .offset:         72
        .size:           8
        .value_kind:     global_buffer
      - .offset:         80
        .size:           4
        .value_kind:     by_value
      - .offset:         84
        .size:           4
        .value_kind:     by_value
      - .offset:         88
        .size:           4
        .value_kind:     by_value
      - .offset:         92
        .size:           4
        .value_kind:     by_value
      - .offset:         96
        .size:           4
        .value_kind:     by_value
      - .offset:         100
        .size:           4
        .value_kind:     by_value
      - .offset:         104
        .size:           4
        .value_kind:     by_value
      - .offset:         108
        .size:           4
        .value_kind:     by_value
      - .offset:         112
        .size:           4
        .value_kind:     by_value
      - .offset:         116
        .size:           4
        .value_kind:     by_value
      - .offset:         120
        .size:           4
        .value_kind:     by_value
      - .offset:         124
        .size:           4
        .value_kind:     by_value
      - .offset:         128
        .size:           4
        .value_kind:     by_value
      - .offset:         132
        .size:           4
        .value_kind:     by_value
      - .offset:         136
        .size:           4
        .value_kind:     by_value
      - .offset:         144
        .size:           4
        .value_kind:     hidden_block_count_x
      - .offset:         148
        .size:           4
        .value_kind:     hidden_block_count_y
      - .offset:         152
        .size:           4
        .value_kind:     hidden_block_count_z
      - .offset:         156
        .size:           2
        .value_kind:     hidden_group_size_x
      - .offset:         158
        .size:           2
        .value_kind:     hidden_group_size_y
      - .offset:         160
        .size:           2
        .value_kind:     hidden_group_size_z
      - .offset:         162
        .size:           2
        .value_kind:     hidden_remainder_x
      - .offset:         164
        .size:           2
        .value_kind:     hidden_remainder_y
      - .offset:         166
        .size:           2
        .value_kind:     hidden_remainder_z
      - .offset:         184
        .size:           8
        .value_kind:     hidden_global_offset_x
      - .offset:         192
        .size:           8
        .value_kind:     hidden_global_offset_y
      - .offset:         200
        .size:           8
        .value_kind:     hidden_global_offset_z
      - .offset:         208
        .size:           2
        .value_kind:     hidden_grid_dims
    .group_segment_fixed_size: 16
    .kernarg_segment_align: 8
    .kernarg_segment_size: 400
    .language:       OpenCL C
    .language_version:
      - 2
      - 0
    .max_flat_workgroup_size: 1024
    .name:           _ZN5aiter35fused_qk_rmsnorm_group_quant_kernelIDF16_DB8_Li128ELi16ELi2ELb1ELb1ELb1ELb0ELb0ELb0EEEvPT0_PvPT_S6_S6_PKS5_S8_S8_S8_S8_ffiiiiiiiiiiiii
    .private_segment_fixed_size: 0
    .sgpr_count:     48
    .sgpr_spill_count: 0
    .symbol:         _ZN5aiter35fused_qk_rmsnorm_group_quant_kernelIDF16_DB8_Li128ELi16ELi2ELb1ELb1ELb1ELb0ELb0ELb0EEEvPT0_PvPT_S6_S6_PKS5_S8_S8_S8_S8_ffiiiiiiiiiiiii.kd
    .uniform_work_group_size: 1
    .uses_dynamic_stack: false
    .vgpr_count:     90
    .vgpr_spill_count: 0
    .wavefront_size: 64
  - .agpr_count:     0
    .args:
      - .actual_access:  write_only
        .address_space:  global
        .offset:         0
        .size:           8
        .value_kind:     global_buffer
      - .actual_access:  write_only
        .address_space:  global
        .offset:         8
        .size:           8
        .value_kind:     global_buffer
      - .actual_access:  write_only
        .address_space:  global
        .offset:         16
        .size:           8
        .value_kind:     global_buffer
      - .actual_access:  write_only
        .address_space:  global
        .offset:         24
        .size:           8
        .value_kind:     global_buffer
      - .actual_access:  write_only
        .address_space:  global
        .offset:         32
        .size:           8
        .value_kind:     global_buffer
      - .actual_access:  read_only
        .address_space:  global
        .offset:         40
        .size:           8
        .value_kind:     global_buffer
      - .actual_access:  read_only
        .address_space:  global
        .offset:         48
        .size:           8
        .value_kind:     global_buffer
      - .actual_access:  read_only
        .address_space:  global
        .offset:         56
        .size:           8
        .value_kind:     global_buffer
      - .actual_access:  read_only
        .address_space:  global
        .offset:         64
        .size:           8
        .value_kind:     global_buffer
      - .actual_access:  read_only
        .address_space:  global
        .offset:         72
        .size:           8
        .value_kind:     global_buffer
      - .offset:         80
        .size:           4
        .value_kind:     by_value
      - .offset:         84
        .size:           4
        .value_kind:     by_value
      - .offset:         88
        .size:           4
        .value_kind:     by_value
      - .offset:         92
        .size:           4
        .value_kind:     by_value
      - .offset:         96
        .size:           4
        .value_kind:     by_value
      - .offset:         100
        .size:           4
        .value_kind:     by_value
      - .offset:         104
        .size:           4
        .value_kind:     by_value
      - .offset:         108
        .size:           4
        .value_kind:     by_value
      - .offset:         112
        .size:           4
        .value_kind:     by_value
      - .offset:         116
        .size:           4
        .value_kind:     by_value
      - .offset:         120
        .size:           4
        .value_kind:     by_value
      - .offset:         124
        .size:           4
        .value_kind:     by_value
      - .offset:         128
        .size:           4
        .value_kind:     by_value
      - .offset:         132
        .size:           4
        .value_kind:     by_value
      - .offset:         136
        .size:           4
        .value_kind:     by_value
      - .offset:         144
        .size:           4
        .value_kind:     hidden_block_count_x
      - .offset:         148
        .size:           4
        .value_kind:     hidden_block_count_y
      - .offset:         152
        .size:           4
        .value_kind:     hidden_block_count_z
      - .offset:         156
        .size:           2
        .value_kind:     hidden_group_size_x
      - .offset:         158
        .size:           2
        .value_kind:     hidden_group_size_y
      - .offset:         160
        .size:           2
        .value_kind:     hidden_group_size_z
      - .offset:         162
        .size:           2
        .value_kind:     hidden_remainder_x
      - .offset:         164
        .size:           2
        .value_kind:     hidden_remainder_y
      - .offset:         166
        .size:           2
        .value_kind:     hidden_remainder_z
      - .offset:         184
        .size:           8
        .value_kind:     hidden_global_offset_x
      - .offset:         192
        .size:           8
        .value_kind:     hidden_global_offset_y
      - .offset:         200
        .size:           8
        .value_kind:     hidden_global_offset_z
      - .offset:         208
        .size:           2
        .value_kind:     hidden_grid_dims
    .group_segment_fixed_size: 16
    .kernarg_segment_align: 8
    .kernarg_segment_size: 400
    .language:       OpenCL C
    .language_version:
      - 2
      - 0
    .max_flat_workgroup_size: 1024
    .name:           _ZN5aiter35fused_qk_rmsnorm_group_quant_kernelItDB8_Li128ELi16ELi2ELb1ELb1ELb1ELb0ELb0ELb0EEEvPT0_PvPT_S6_S6_PKS5_S8_S8_S8_S8_ffiiiiiiiiiiiii
    .private_segment_fixed_size: 0
    .sgpr_count:     48
    .sgpr_spill_count: 0
    .symbol:         _ZN5aiter35fused_qk_rmsnorm_group_quant_kernelItDB8_Li128ELi16ELi2ELb1ELb1ELb1ELb0ELb0ELb0EEEvPT0_PvPT_S6_S6_PKS5_S8_S8_S8_S8_ffiiiiiiiiiiiii.kd
    .uniform_work_group_size: 1
    .uses_dynamic_stack: false
    .vgpr_count:     88
    .vgpr_spill_count: 0
    .wavefront_size: 64
  - .agpr_count:     0
    .args:
      - .actual_access:  write_only
        .address_space:  global
        .offset:         0
        .size:           8
        .value_kind:     global_buffer
      - .actual_access:  write_only
        .address_space:  global
        .offset:         8
        .size:           8
        .value_kind:     global_buffer
      - .actual_access:  write_only
        .address_space:  global
        .offset:         16
        .size:           8
        .value_kind:     global_buffer
      - .actual_access:  write_only
        .address_space:  global
        .offset:         24
        .size:           8
        .value_kind:     global_buffer
      - .actual_access:  write_only
        .address_space:  global
        .offset:         32
        .size:           8
        .value_kind:     global_buffer
      - .actual_access:  read_only
        .address_space:  global
        .offset:         40
        .size:           8
        .value_kind:     global_buffer
      - .actual_access:  read_only
        .address_space:  global
        .offset:         48
        .size:           8
        .value_kind:     global_buffer
      - .actual_access:  read_only
        .address_space:  global
        .offset:         56
        .size:           8
        .value_kind:     global_buffer
      - .actual_access:  read_only
        .address_space:  global
        .offset:         64
        .size:           8
        .value_kind:     global_buffer
      - .actual_access:  read_only
        .address_space:  global
        .offset:         72
        .size:           8
        .value_kind:     global_buffer
      - .offset:         80
        .size:           4
        .value_kind:     by_value
      - .offset:         84
        .size:           4
        .value_kind:     by_value
      - .offset:         88
        .size:           4
        .value_kind:     by_value
      - .offset:         92
        .size:           4
        .value_kind:     by_value
      - .offset:         96
        .size:           4
        .value_kind:     by_value
      - .offset:         100
        .size:           4
        .value_kind:     by_value
      - .offset:         104
        .size:           4
        .value_kind:     by_value
      - .offset:         108
        .size:           4
        .value_kind:     by_value
      - .offset:         112
        .size:           4
        .value_kind:     by_value
      - .offset:         116
        .size:           4
        .value_kind:     by_value
      - .offset:         120
        .size:           4
        .value_kind:     by_value
      - .offset:         124
        .size:           4
        .value_kind:     by_value
      - .offset:         128
        .size:           4
        .value_kind:     by_value
      - .offset:         132
        .size:           4
        .value_kind:     by_value
      - .offset:         136
        .size:           4
        .value_kind:     by_value
      - .offset:         144
        .size:           4
        .value_kind:     hidden_block_count_x
      - .offset:         148
        .size:           4
        .value_kind:     hidden_block_count_y
      - .offset:         152
        .size:           4
        .value_kind:     hidden_block_count_z
      - .offset:         156
        .size:           2
        .value_kind:     hidden_group_size_x
      - .offset:         158
        .size:           2
        .value_kind:     hidden_group_size_y
      - .offset:         160
        .size:           2
        .value_kind:     hidden_group_size_z
      - .offset:         162
        .size:           2
        .value_kind:     hidden_remainder_x
      - .offset:         164
        .size:           2
        .value_kind:     hidden_remainder_y
      - .offset:         166
        .size:           2
        .value_kind:     hidden_remainder_z
      - .offset:         184
        .size:           8
        .value_kind:     hidden_global_offset_x
      - .offset:         192
        .size:           8
        .value_kind:     hidden_global_offset_y
      - .offset:         200
        .size:           8
        .value_kind:     hidden_global_offset_z
      - .offset:         208
        .size:           2
        .value_kind:     hidden_grid_dims
    .group_segment_fixed_size: 16
    .kernarg_segment_align: 8
    .kernarg_segment_size: 400
    .language:       OpenCL C
    .language_version:
      - 2
      - 0
    .max_flat_workgroup_size: 1024
    .name:           _ZN5aiter35fused_qk_rmsnorm_group_quant_kernelIDF16_N4opus5fp4_tELi128ELi16ELi2ELb1ELb1ELb1ELb0ELb0ELb0EEEvPT0_PvPT_S7_S7_PKS6_S9_S9_S9_S9_ffiiiiiiiiiiiii
    .private_segment_fixed_size: 0
    .sgpr_count:     48
    .sgpr_spill_count: 0
    .symbol:         _ZN5aiter35fused_qk_rmsnorm_group_quant_kernelIDF16_N4opus5fp4_tELi128ELi16ELi2ELb1ELb1ELb1ELb0ELb0ELb0EEEvPT0_PvPT_S7_S7_PKS6_S9_S9_S9_S9_ffiiiiiiiiiiiii.kd
    .uniform_work_group_size: 1
    .uses_dynamic_stack: false
    .vgpr_count:     49
    .vgpr_spill_count: 0
    .wavefront_size: 64
  - .agpr_count:     0
    .args:
      - .actual_access:  write_only
        .address_space:  global
        .offset:         0
        .size:           8
        .value_kind:     global_buffer
      - .actual_access:  write_only
        .address_space:  global
        .offset:         8
        .size:           8
        .value_kind:     global_buffer
      - .actual_access:  write_only
        .address_space:  global
        .offset:         16
        .size:           8
        .value_kind:     global_buffer
      - .actual_access:  write_only
        .address_space:  global
        .offset:         24
        .size:           8
        .value_kind:     global_buffer
      - .actual_access:  write_only
        .address_space:  global
        .offset:         32
        .size:           8
        .value_kind:     global_buffer
      - .actual_access:  read_only
        .address_space:  global
        .offset:         40
        .size:           8
        .value_kind:     global_buffer
      - .actual_access:  read_only
        .address_space:  global
        .offset:         48
        .size:           8
        .value_kind:     global_buffer
      - .actual_access:  read_only
        .address_space:  global
        .offset:         56
        .size:           8
        .value_kind:     global_buffer
      - .actual_access:  read_only
        .address_space:  global
        .offset:         64
        .size:           8
        .value_kind:     global_buffer
      - .actual_access:  read_only
        .address_space:  global
        .offset:         72
        .size:           8
        .value_kind:     global_buffer
      - .offset:         80
        .size:           4
        .value_kind:     by_value
      - .offset:         84
        .size:           4
        .value_kind:     by_value
      - .offset:         88
        .size:           4
        .value_kind:     by_value
      - .offset:         92
        .size:           4
        .value_kind:     by_value
      - .offset:         96
        .size:           4
        .value_kind:     by_value
      - .offset:         100
        .size:           4
        .value_kind:     by_value
      - .offset:         104
        .size:           4
        .value_kind:     by_value
      - .offset:         108
        .size:           4
        .value_kind:     by_value
      - .offset:         112
        .size:           4
        .value_kind:     by_value
      - .offset:         116
        .size:           4
        .value_kind:     by_value
      - .offset:         120
        .size:           4
        .value_kind:     by_value
      - .offset:         124
        .size:           4
        .value_kind:     by_value
      - .offset:         128
        .size:           4
        .value_kind:     by_value
      - .offset:         132
        .size:           4
        .value_kind:     by_value
      - .offset:         136
        .size:           4
        .value_kind:     by_value
      - .offset:         144
        .size:           4
        .value_kind:     hidden_block_count_x
      - .offset:         148
        .size:           4
        .value_kind:     hidden_block_count_y
      - .offset:         152
        .size:           4
        .value_kind:     hidden_block_count_z
      - .offset:         156
        .size:           2
        .value_kind:     hidden_group_size_x
      - .offset:         158
        .size:           2
        .value_kind:     hidden_group_size_y
      - .offset:         160
        .size:           2
        .value_kind:     hidden_group_size_z
      - .offset:         162
        .size:           2
        .value_kind:     hidden_remainder_x
      - .offset:         164
        .size:           2
        .value_kind:     hidden_remainder_y
      - .offset:         166
        .size:           2
        .value_kind:     hidden_remainder_z
      - .offset:         184
        .size:           8
        .value_kind:     hidden_global_offset_x
      - .offset:         192
        .size:           8
        .value_kind:     hidden_global_offset_y
      - .offset:         200
        .size:           8
        .value_kind:     hidden_global_offset_z
      - .offset:         208
        .size:           2
        .value_kind:     hidden_grid_dims
    .group_segment_fixed_size: 16
    .kernarg_segment_align: 8
    .kernarg_segment_size: 400
    .language:       OpenCL C
    .language_version:
      - 2
      - 0
    .max_flat_workgroup_size: 1024
    .name:           _ZN5aiter35fused_qk_rmsnorm_group_quant_kernelItN4opus5fp4_tELi128ELi16ELi2ELb1ELb1ELb1ELb0ELb0ELb0EEEvPT0_PvPT_S7_S7_PKS6_S9_S9_S9_S9_ffiiiiiiiiiiiii
    .private_segment_fixed_size: 0
    .sgpr_count:     48
    .sgpr_spill_count: 0
    .symbol:         _ZN5aiter35fused_qk_rmsnorm_group_quant_kernelItN4opus5fp4_tELi128ELi16ELi2ELb1ELb1ELb1ELb0ELb0ELb0EEEvPT0_PvPT_S7_S7_PKS6_S9_S9_S9_S9_ffiiiiiiiiiiiii.kd
    .uniform_work_group_size: 1
    .uses_dynamic_stack: false
    .vgpr_count:     76
    .vgpr_spill_count: 0
    .wavefront_size: 64
  - .agpr_count:     0
    .args:
      - .actual_access:  write_only
        .address_space:  global
        .offset:         0
        .size:           8
        .value_kind:     global_buffer
      - .actual_access:  write_only
        .address_space:  global
        .offset:         8
        .size:           8
        .value_kind:     global_buffer
      - .actual_access:  write_only
        .address_space:  global
        .offset:         16
        .size:           8
        .value_kind:     global_buffer
      - .actual_access:  write_only
        .address_space:  global
        .offset:         24
        .size:           8
        .value_kind:     global_buffer
      - .actual_access:  write_only
        .address_space:  global
        .offset:         32
        .size:           8
        .value_kind:     global_buffer
      - .actual_access:  read_only
        .address_space:  global
        .offset:         40
        .size:           8
        .value_kind:     global_buffer
      - .actual_access:  read_only
        .address_space:  global
        .offset:         48
        .size:           8
        .value_kind:     global_buffer
      - .actual_access:  read_only
        .address_space:  global
        .offset:         56
        .size:           8
        .value_kind:     global_buffer
      - .actual_access:  read_only
        .address_space:  global
        .offset:         64
        .size:           8
        .value_kind:     global_buffer
      - .actual_access:  read_only
        .address_space:  global
        .offset:         72
        .size:           8
        .value_kind:     global_buffer
      - .offset:         80
        .size:           4
        .value_kind:     by_value
      - .offset:         84
        .size:           4
        .value_kind:     by_value
      - .offset:         88
        .size:           4
        .value_kind:     by_value
      - .offset:         92
        .size:           4
        .value_kind:     by_value
      - .offset:         96
        .size:           4
        .value_kind:     by_value
      - .offset:         100
        .size:           4
        .value_kind:     by_value
      - .offset:         104
        .size:           4
        .value_kind:     by_value
      - .offset:         108
        .size:           4
        .value_kind:     by_value
      - .offset:         112
        .size:           4
        .value_kind:     by_value
      - .offset:         116
        .size:           4
        .value_kind:     by_value
      - .offset:         120
        .size:           4
        .value_kind:     by_value
      - .offset:         124
        .size:           4
        .value_kind:     by_value
      - .offset:         128
        .size:           4
        .value_kind:     by_value
      - .offset:         132
        .size:           4
        .value_kind:     by_value
      - .offset:         136
        .size:           4
        .value_kind:     by_value
      - .offset:         144
        .size:           4
        .value_kind:     hidden_block_count_x
      - .offset:         148
        .size:           4
        .value_kind:     hidden_block_count_y
      - .offset:         152
        .size:           4
        .value_kind:     hidden_block_count_z
      - .offset:         156
        .size:           2
        .value_kind:     hidden_group_size_x
      - .offset:         158
        .size:           2
        .value_kind:     hidden_group_size_y
      - .offset:         160
        .size:           2
        .value_kind:     hidden_group_size_z
      - .offset:         162
        .size:           2
        .value_kind:     hidden_remainder_x
      - .offset:         164
        .size:           2
        .value_kind:     hidden_remainder_y
      - .offset:         166
        .size:           2
        .value_kind:     hidden_remainder_z
      - .offset:         184
        .size:           8
        .value_kind:     hidden_global_offset_x
      - .offset:         192
        .size:           8
        .value_kind:     hidden_global_offset_y
      - .offset:         200
        .size:           8
        .value_kind:     hidden_global_offset_z
      - .offset:         208
        .size:           2
        .value_kind:     hidden_grid_dims
    .group_segment_fixed_size: 16
    .kernarg_segment_align: 8
    .kernarg_segment_size: 400
    .language:       OpenCL C
    .language_version:
      - 2
      - 0
    .max_flat_workgroup_size: 1024
    .name:           _ZN5aiter35fused_qk_rmsnorm_group_quant_kernelIDF16_DB8_Li128ELi16ELi2ELb1ELb1ELb0ELb0ELb0ELb0EEEvPT0_PvPT_S6_S6_PKS5_S8_S8_S8_S8_ffiiiiiiiiiiiii
    .private_segment_fixed_size: 0
    .sgpr_count:     48
    .sgpr_spill_count: 0
    .symbol:         _ZN5aiter35fused_qk_rmsnorm_group_quant_kernelIDF16_DB8_Li128ELi16ELi2ELb1ELb1ELb0ELb0ELb0ELb0EEEvPT0_PvPT_S6_S6_PKS5_S8_S8_S8_S8_ffiiiiiiiiiiiii.kd
    .uniform_work_group_size: 1
    .uses_dynamic_stack: false
    .vgpr_count:     94
    .vgpr_spill_count: 0
    .wavefront_size: 64
  - .agpr_count:     0
    .args:
      - .actual_access:  write_only
        .address_space:  global
        .offset:         0
        .size:           8
        .value_kind:     global_buffer
      - .actual_access:  write_only
        .address_space:  global
        .offset:         8
        .size:           8
        .value_kind:     global_buffer
      - .actual_access:  write_only
        .address_space:  global
        .offset:         16
        .size:           8
        .value_kind:     global_buffer
      - .actual_access:  write_only
        .address_space:  global
        .offset:         24
        .size:           8
        .value_kind:     global_buffer
      - .actual_access:  write_only
        .address_space:  global
        .offset:         32
        .size:           8
        .value_kind:     global_buffer
      - .actual_access:  read_only
        .address_space:  global
        .offset:         40
        .size:           8
        .value_kind:     global_buffer
      - .actual_access:  read_only
        .address_space:  global
        .offset:         48
        .size:           8
        .value_kind:     global_buffer
      - .actual_access:  read_only
        .address_space:  global
        .offset:         56
        .size:           8
        .value_kind:     global_buffer
      - .actual_access:  read_only
        .address_space:  global
        .offset:         64
        .size:           8
        .value_kind:     global_buffer
      - .actual_access:  read_only
        .address_space:  global
        .offset:         72
        .size:           8
        .value_kind:     global_buffer
      - .offset:         80
        .size:           4
        .value_kind:     by_value
      - .offset:         84
        .size:           4
        .value_kind:     by_value
      - .offset:         88
        .size:           4
        .value_kind:     by_value
      - .offset:         92
        .size:           4
        .value_kind:     by_value
      - .offset:         96
        .size:           4
        .value_kind:     by_value
      - .offset:         100
        .size:           4
        .value_kind:     by_value
      - .offset:         104
        .size:           4
        .value_kind:     by_value
      - .offset:         108
        .size:           4
        .value_kind:     by_value
      - .offset:         112
        .size:           4
        .value_kind:     by_value
      - .offset:         116
        .size:           4
        .value_kind:     by_value
      - .offset:         120
        .size:           4
        .value_kind:     by_value
      - .offset:         124
        .size:           4
        .value_kind:     by_value
      - .offset:         128
        .size:           4
        .value_kind:     by_value
      - .offset:         132
        .size:           4
        .value_kind:     by_value
      - .offset:         136
        .size:           4
        .value_kind:     by_value
      - .offset:         144
        .size:           4
        .value_kind:     hidden_block_count_x
      - .offset:         148
        .size:           4
        .value_kind:     hidden_block_count_y
      - .offset:         152
        .size:           4
        .value_kind:     hidden_block_count_z
      - .offset:         156
        .size:           2
        .value_kind:     hidden_group_size_x
      - .offset:         158
        .size:           2
        .value_kind:     hidden_group_size_y
      - .offset:         160
        .size:           2
        .value_kind:     hidden_group_size_z
      - .offset:         162
        .size:           2
        .value_kind:     hidden_remainder_x
      - .offset:         164
        .size:           2
        .value_kind:     hidden_remainder_y
      - .offset:         166
        .size:           2
        .value_kind:     hidden_remainder_z
      - .offset:         184
        .size:           8
        .value_kind:     hidden_global_offset_x
      - .offset:         192
        .size:           8
        .value_kind:     hidden_global_offset_y
      - .offset:         200
        .size:           8
        .value_kind:     hidden_global_offset_z
      - .offset:         208
        .size:           2
        .value_kind:     hidden_grid_dims
    .group_segment_fixed_size: 16
    .kernarg_segment_align: 8
    .kernarg_segment_size: 400
    .language:       OpenCL C
    .language_version:
      - 2
      - 0
    .max_flat_workgroup_size: 1024
    .name:           _ZN5aiter35fused_qk_rmsnorm_group_quant_kernelItDB8_Li128ELi16ELi2ELb1ELb1ELb0ELb0ELb0ELb0EEEvPT0_PvPT_S6_S6_PKS5_S8_S8_S8_S8_ffiiiiiiiiiiiii
    .private_segment_fixed_size: 0
    .sgpr_count:     48
    .sgpr_spill_count: 0
    .symbol:         _ZN5aiter35fused_qk_rmsnorm_group_quant_kernelItDB8_Li128ELi16ELi2ELb1ELb1ELb0ELb0ELb0ELb0EEEvPT0_PvPT_S6_S6_PKS5_S8_S8_S8_S8_ffiiiiiiiiiiiii.kd
    .uniform_work_group_size: 1
    .uses_dynamic_stack: false
    .vgpr_count:     96
    .vgpr_spill_count: 0
    .wavefront_size: 64
  - .agpr_count:     0
    .args:
      - .actual_access:  write_only
        .address_space:  global
        .offset:         0
        .size:           8
        .value_kind:     global_buffer
      - .actual_access:  write_only
        .address_space:  global
        .offset:         8
        .size:           8
        .value_kind:     global_buffer
      - .actual_access:  write_only
        .address_space:  global
        .offset:         16
        .size:           8
        .value_kind:     global_buffer
      - .actual_access:  write_only
        .address_space:  global
        .offset:         24
        .size:           8
        .value_kind:     global_buffer
      - .actual_access:  write_only
        .address_space:  global
        .offset:         32
        .size:           8
        .value_kind:     global_buffer
      - .actual_access:  read_only
        .address_space:  global
        .offset:         40
        .size:           8
        .value_kind:     global_buffer
      - .actual_access:  read_only
        .address_space:  global
        .offset:         48
        .size:           8
        .value_kind:     global_buffer
      - .actual_access:  read_only
        .address_space:  global
        .offset:         56
        .size:           8
        .value_kind:     global_buffer
      - .actual_access:  read_only
        .address_space:  global
        .offset:         64
        .size:           8
        .value_kind:     global_buffer
      - .actual_access:  read_only
        .address_space:  global
        .offset:         72
        .size:           8
        .value_kind:     global_buffer
      - .offset:         80
        .size:           4
        .value_kind:     by_value
      - .offset:         84
        .size:           4
        .value_kind:     by_value
      - .offset:         88
        .size:           4
        .value_kind:     by_value
      - .offset:         92
        .size:           4
        .value_kind:     by_value
      - .offset:         96
        .size:           4
        .value_kind:     by_value
      - .offset:         100
        .size:           4
        .value_kind:     by_value
      - .offset:         104
        .size:           4
        .value_kind:     by_value
      - .offset:         108
        .size:           4
        .value_kind:     by_value
      - .offset:         112
        .size:           4
        .value_kind:     by_value
      - .offset:         116
        .size:           4
        .value_kind:     by_value
      - .offset:         120
        .size:           4
        .value_kind:     by_value
      - .offset:         124
        .size:           4
        .value_kind:     by_value
      - .offset:         128
        .size:           4
        .value_kind:     by_value
      - .offset:         132
        .size:           4
        .value_kind:     by_value
      - .offset:         136
        .size:           4
        .value_kind:     by_value
      - .offset:         144
        .size:           4
        .value_kind:     hidden_block_count_x
      - .offset:         148
        .size:           4
        .value_kind:     hidden_block_count_y
      - .offset:         152
        .size:           4
        .value_kind:     hidden_block_count_z
      - .offset:         156
        .size:           2
        .value_kind:     hidden_group_size_x
      - .offset:         158
        .size:           2
        .value_kind:     hidden_group_size_y
      - .offset:         160
        .size:           2
        .value_kind:     hidden_group_size_z
      - .offset:         162
        .size:           2
        .value_kind:     hidden_remainder_x
      - .offset:         164
        .size:           2
        .value_kind:     hidden_remainder_y
      - .offset:         166
        .size:           2
        .value_kind:     hidden_remainder_z
      - .offset:         184
        .size:           8
        .value_kind:     hidden_global_offset_x
      - .offset:         192
        .size:           8
        .value_kind:     hidden_global_offset_y
      - .offset:         200
        .size:           8
        .value_kind:     hidden_global_offset_z
      - .offset:         208
        .size:           2
        .value_kind:     hidden_grid_dims
    .group_segment_fixed_size: 16
    .kernarg_segment_align: 8
    .kernarg_segment_size: 400
    .language:       OpenCL C
    .language_version:
      - 2
      - 0
    .max_flat_workgroup_size: 1024
    .name:           _ZN5aiter35fused_qk_rmsnorm_group_quant_kernelIDF16_N4opus5fp4_tELi128ELi16ELi2ELb1ELb1ELb0ELb0ELb0ELb0EEEvPT0_PvPT_S7_S7_PKS6_S9_S9_S9_S9_ffiiiiiiiiiiiii
    .private_segment_fixed_size: 0
    .sgpr_count:     48
    .sgpr_spill_count: 0
    .symbol:         _ZN5aiter35fused_qk_rmsnorm_group_quant_kernelIDF16_N4opus5fp4_tELi128ELi16ELi2ELb1ELb1ELb0ELb0ELb0ELb0EEEvPT0_PvPT_S7_S7_PKS6_S9_S9_S9_S9_ffiiiiiiiiiiiii.kd
    .uniform_work_group_size: 1
    .uses_dynamic_stack: false
    .vgpr_count:     47
    .vgpr_spill_count: 0
    .wavefront_size: 64
  - .agpr_count:     0
    .args:
      - .actual_access:  write_only
        .address_space:  global
        .offset:         0
        .size:           8
        .value_kind:     global_buffer
      - .actual_access:  write_only
        .address_space:  global
        .offset:         8
        .size:           8
        .value_kind:     global_buffer
      - .actual_access:  write_only
        .address_space:  global
        .offset:         16
        .size:           8
        .value_kind:     global_buffer
      - .actual_access:  write_only
        .address_space:  global
        .offset:         24
        .size:           8
        .value_kind:     global_buffer
      - .actual_access:  write_only
        .address_space:  global
        .offset:         32
        .size:           8
        .value_kind:     global_buffer
      - .actual_access:  read_only
        .address_space:  global
        .offset:         40
        .size:           8
        .value_kind:     global_buffer
      - .actual_access:  read_only
        .address_space:  global
        .offset:         48
        .size:           8
        .value_kind:     global_buffer
      - .actual_access:  read_only
        .address_space:  global
        .offset:         56
        .size:           8
        .value_kind:     global_buffer
      - .actual_access:  read_only
        .address_space:  global
        .offset:         64
        .size:           8
        .value_kind:     global_buffer
      - .actual_access:  read_only
        .address_space:  global
        .offset:         72
        .size:           8
        .value_kind:     global_buffer
      - .offset:         80
        .size:           4
        .value_kind:     by_value
      - .offset:         84
        .size:           4
        .value_kind:     by_value
      - .offset:         88
        .size:           4
        .value_kind:     by_value
      - .offset:         92
        .size:           4
        .value_kind:     by_value
      - .offset:         96
        .size:           4
        .value_kind:     by_value
      - .offset:         100
        .size:           4
        .value_kind:     by_value
      - .offset:         104
        .size:           4
        .value_kind:     by_value
      - .offset:         108
        .size:           4
        .value_kind:     by_value
      - .offset:         112
        .size:           4
        .value_kind:     by_value
      - .offset:         116
        .size:           4
        .value_kind:     by_value
      - .offset:         120
        .size:           4
        .value_kind:     by_value
      - .offset:         124
        .size:           4
        .value_kind:     by_value
      - .offset:         128
        .size:           4
        .value_kind:     by_value
      - .offset:         132
        .size:           4
        .value_kind:     by_value
      - .offset:         136
        .size:           4
        .value_kind:     by_value
      - .offset:         144
        .size:           4
        .value_kind:     hidden_block_count_x
      - .offset:         148
        .size:           4
        .value_kind:     hidden_block_count_y
      - .offset:         152
        .size:           4
        .value_kind:     hidden_block_count_z
      - .offset:         156
        .size:           2
        .value_kind:     hidden_group_size_x
      - .offset:         158
        .size:           2
        .value_kind:     hidden_group_size_y
      - .offset:         160
        .size:           2
        .value_kind:     hidden_group_size_z
      - .offset:         162
        .size:           2
        .value_kind:     hidden_remainder_x
      - .offset:         164
        .size:           2
        .value_kind:     hidden_remainder_y
      - .offset:         166
        .size:           2
        .value_kind:     hidden_remainder_z
      - .offset:         184
        .size:           8
        .value_kind:     hidden_global_offset_x
      - .offset:         192
        .size:           8
        .value_kind:     hidden_global_offset_y
      - .offset:         200
        .size:           8
        .value_kind:     hidden_global_offset_z
      - .offset:         208
        .size:           2
        .value_kind:     hidden_grid_dims
    .group_segment_fixed_size: 16
    .kernarg_segment_align: 8
    .kernarg_segment_size: 400
    .language:       OpenCL C
    .language_version:
      - 2
      - 0
    .max_flat_workgroup_size: 1024
    .name:           _ZN5aiter35fused_qk_rmsnorm_group_quant_kernelItN4opus5fp4_tELi128ELi16ELi2ELb1ELb1ELb0ELb0ELb0ELb0EEEvPT0_PvPT_S7_S7_PKS6_S9_S9_S9_S9_ffiiiiiiiiiiiii
    .private_segment_fixed_size: 0
    .sgpr_count:     48
    .sgpr_spill_count: 0
    .symbol:         _ZN5aiter35fused_qk_rmsnorm_group_quant_kernelItN4opus5fp4_tELi128ELi16ELi2ELb1ELb1ELb0ELb0ELb0ELb0EEEvPT0_PvPT_S7_S7_PKS6_S9_S9_S9_S9_ffiiiiiiiiiiiii.kd
    .uniform_work_group_size: 1
    .uses_dynamic_stack: false
    .vgpr_count:     94
    .vgpr_spill_count: 0
    .wavefront_size: 64
  - .agpr_count:     0
    .args:
      - .actual_access:  write_only
        .address_space:  global
        .offset:         0
        .size:           8
        .value_kind:     global_buffer
      - .actual_access:  write_only
        .address_space:  global
        .offset:         8
        .size:           8
        .value_kind:     global_buffer
      - .actual_access:  read_only
        .address_space:  global
        .offset:         16
        .size:           8
        .value_kind:     global_buffer
      - .actual_access:  write_only
        .address_space:  global
        .offset:         24
        .size:           8
        .value_kind:     global_buffer
      - .actual_access:  write_only
        .address_space:  global
        .offset:         32
        .size:           8
        .value_kind:     global_buffer
      - .actual_access:  read_only
        .address_space:  global
        .offset:         40
        .size:           8
        .value_kind:     global_buffer
      - .actual_access:  read_only
        .address_space:  global
        .offset:         48
        .size:           8
        .value_kind:     global_buffer
      - .actual_access:  read_only
        .address_space:  global
        .offset:         56
        .size:           8
        .value_kind:     global_buffer
      - .actual_access:  read_only
        .address_space:  global
        .offset:         64
        .size:           8
        .value_kind:     global_buffer
      - .actual_access:  read_only
        .address_space:  global
        .offset:         72
        .size:           8
        .value_kind:     global_buffer
      - .offset:         80
        .size:           4
        .value_kind:     by_value
      - .offset:         84
        .size:           4
        .value_kind:     by_value
      - .offset:         88
        .size:           4
        .value_kind:     by_value
      - .offset:         92
        .size:           4
        .value_kind:     by_value
      - .offset:         96
        .size:           4
        .value_kind:     by_value
      - .offset:         100
        .size:           4
        .value_kind:     by_value
      - .offset:         104
        .size:           4
        .value_kind:     by_value
      - .offset:         108
        .size:           4
        .value_kind:     by_value
      - .offset:         112
        .size:           4
        .value_kind:     by_value
      - .offset:         116
        .size:           4
        .value_kind:     by_value
      - .offset:         120
        .size:           4
        .value_kind:     by_value
      - .offset:         124
        .size:           4
        .value_kind:     by_value
      - .offset:         128
        .size:           4
        .value_kind:     by_value
      - .offset:         132
        .size:           4
        .value_kind:     by_value
      - .offset:         136
        .size:           4
        .value_kind:     by_value
      - .offset:         144
        .size:           4
        .value_kind:     hidden_block_count_x
      - .offset:         148
        .size:           4
        .value_kind:     hidden_block_count_y
      - .offset:         152
        .size:           4
        .value_kind:     hidden_block_count_z
      - .offset:         156
        .size:           2
        .value_kind:     hidden_group_size_x
      - .offset:         158
        .size:           2
        .value_kind:     hidden_group_size_y
      - .offset:         160
        .size:           2
        .value_kind:     hidden_group_size_z
      - .offset:         162
        .size:           2
        .value_kind:     hidden_remainder_x
      - .offset:         164
        .size:           2
        .value_kind:     hidden_remainder_y
      - .offset:         166
        .size:           2
        .value_kind:     hidden_remainder_z
      - .offset:         184
        .size:           8
        .value_kind:     hidden_global_offset_x
      - .offset:         192
        .size:           8
        .value_kind:     hidden_global_offset_y
      - .offset:         200
        .size:           8
        .value_kind:     hidden_global_offset_z
      - .offset:         208
        .size:           2
        .value_kind:     hidden_grid_dims
    .group_segment_fixed_size: 16
    .kernarg_segment_align: 8
    .kernarg_segment_size: 400
    .language:       OpenCL C
    .language_version:
      - 2
      - 0
    .max_flat_workgroup_size: 1024
    .name:           _ZN5aiter35fused_qk_rmsnorm_group_quant_kernelIDF16_DB8_Li128ELi16ELi2ELb1ELb0ELb1ELb0ELb0ELb0EEEvPT0_PvPT_S6_S6_PKS5_S8_S8_S8_S8_ffiiiiiiiiiiiii
    .private_segment_fixed_size: 0
    .sgpr_count:     48
    .sgpr_spill_count: 0
    .symbol:         _ZN5aiter35fused_qk_rmsnorm_group_quant_kernelIDF16_DB8_Li128ELi16ELi2ELb1ELb0ELb1ELb0ELb0ELb0EEEvPT0_PvPT_S6_S6_PKS5_S8_S8_S8_S8_ffiiiiiiiiiiiii.kd
    .uniform_work_group_size: 1
    .uses_dynamic_stack: false
    .vgpr_count:     90
    .vgpr_spill_count: 0
    .wavefront_size: 64
  - .agpr_count:     0
    .args:
      - .actual_access:  write_only
        .address_space:  global
        .offset:         0
        .size:           8
        .value_kind:     global_buffer
      - .actual_access:  write_only
        .address_space:  global
        .offset:         8
        .size:           8
        .value_kind:     global_buffer
      - .actual_access:  read_only
        .address_space:  global
        .offset:         16
        .size:           8
        .value_kind:     global_buffer
      - .actual_access:  write_only
        .address_space:  global
        .offset:         24
        .size:           8
        .value_kind:     global_buffer
      - .actual_access:  write_only
        .address_space:  global
        .offset:         32
        .size:           8
        .value_kind:     global_buffer
      - .actual_access:  read_only
        .address_space:  global
        .offset:         40
        .size:           8
        .value_kind:     global_buffer
      - .actual_access:  read_only
        .address_space:  global
        .offset:         48
        .size:           8
        .value_kind:     global_buffer
      - .actual_access:  read_only
        .address_space:  global
        .offset:         56
        .size:           8
        .value_kind:     global_buffer
      - .actual_access:  read_only
        .address_space:  global
        .offset:         64
        .size:           8
        .value_kind:     global_buffer
      - .actual_access:  read_only
        .address_space:  global
        .offset:         72
        .size:           8
        .value_kind:     global_buffer
      - .offset:         80
        .size:           4
        .value_kind:     by_value
      - .offset:         84
        .size:           4
        .value_kind:     by_value
      - .offset:         88
        .size:           4
        .value_kind:     by_value
      - .offset:         92
        .size:           4
        .value_kind:     by_value
      - .offset:         96
        .size:           4
        .value_kind:     by_value
      - .offset:         100
        .size:           4
        .value_kind:     by_value
      - .offset:         104
        .size:           4
        .value_kind:     by_value
      - .offset:         108
        .size:           4
        .value_kind:     by_value
      - .offset:         112
        .size:           4
        .value_kind:     by_value
      - .offset:         116
        .size:           4
        .value_kind:     by_value
      - .offset:         120
        .size:           4
        .value_kind:     by_value
      - .offset:         124
        .size:           4
        .value_kind:     by_value
      - .offset:         128
        .size:           4
        .value_kind:     by_value
      - .offset:         132
        .size:           4
        .value_kind:     by_value
      - .offset:         136
        .size:           4
        .value_kind:     by_value
      - .offset:         144
        .size:           4
        .value_kind:     hidden_block_count_x
      - .offset:         148
        .size:           4
        .value_kind:     hidden_block_count_y
      - .offset:         152
        .size:           4
        .value_kind:     hidden_block_count_z
      - .offset:         156
        .size:           2
        .value_kind:     hidden_group_size_x
      - .offset:         158
        .size:           2
        .value_kind:     hidden_group_size_y
      - .offset:         160
        .size:           2
        .value_kind:     hidden_group_size_z
      - .offset:         162
        .size:           2
        .value_kind:     hidden_remainder_x
      - .offset:         164
        .size:           2
        .value_kind:     hidden_remainder_y
      - .offset:         166
        .size:           2
        .value_kind:     hidden_remainder_z
      - .offset:         184
        .size:           8
        .value_kind:     hidden_global_offset_x
      - .offset:         192
        .size:           8
        .value_kind:     hidden_global_offset_y
      - .offset:         200
        .size:           8
        .value_kind:     hidden_global_offset_z
      - .offset:         208
        .size:           2
        .value_kind:     hidden_grid_dims
    .group_segment_fixed_size: 16
    .kernarg_segment_align: 8
    .kernarg_segment_size: 400
    .language:       OpenCL C
    .language_version:
      - 2
      - 0
    .max_flat_workgroup_size: 1024
    .name:           _ZN5aiter35fused_qk_rmsnorm_group_quant_kernelItDB8_Li128ELi16ELi2ELb1ELb0ELb1ELb0ELb0ELb0EEEvPT0_PvPT_S6_S6_PKS5_S8_S8_S8_S8_ffiiiiiiiiiiiii
    .private_segment_fixed_size: 0
    .sgpr_count:     48
    .sgpr_spill_count: 0
    .symbol:         _ZN5aiter35fused_qk_rmsnorm_group_quant_kernelItDB8_Li128ELi16ELi2ELb1ELb0ELb1ELb0ELb0ELb0EEEvPT0_PvPT_S6_S6_PKS5_S8_S8_S8_S8_ffiiiiiiiiiiiii.kd
    .uniform_work_group_size: 1
    .uses_dynamic_stack: false
    .vgpr_count:     88
    .vgpr_spill_count: 0
    .wavefront_size: 64
  - .agpr_count:     0
    .args:
      - .actual_access:  write_only
        .address_space:  global
        .offset:         0
        .size:           8
        .value_kind:     global_buffer
      - .actual_access:  write_only
        .address_space:  global
        .offset:         8
        .size:           8
        .value_kind:     global_buffer
      - .actual_access:  read_only
        .address_space:  global
        .offset:         16
        .size:           8
        .value_kind:     global_buffer
      - .actual_access:  write_only
        .address_space:  global
        .offset:         24
        .size:           8
        .value_kind:     global_buffer
      - .actual_access:  write_only
        .address_space:  global
        .offset:         32
        .size:           8
        .value_kind:     global_buffer
      - .actual_access:  read_only
        .address_space:  global
        .offset:         40
        .size:           8
        .value_kind:     global_buffer
      - .actual_access:  read_only
        .address_space:  global
        .offset:         48
        .size:           8
        .value_kind:     global_buffer
      - .actual_access:  read_only
        .address_space:  global
        .offset:         56
        .size:           8
        .value_kind:     global_buffer
      - .actual_access:  read_only
        .address_space:  global
        .offset:         64
        .size:           8
        .value_kind:     global_buffer
      - .actual_access:  read_only
        .address_space:  global
        .offset:         72
        .size:           8
        .value_kind:     global_buffer
      - .offset:         80
        .size:           4
        .value_kind:     by_value
      - .offset:         84
        .size:           4
        .value_kind:     by_value
      - .offset:         88
        .size:           4
        .value_kind:     by_value
      - .offset:         92
        .size:           4
        .value_kind:     by_value
      - .offset:         96
        .size:           4
        .value_kind:     by_value
      - .offset:         100
        .size:           4
        .value_kind:     by_value
      - .offset:         104
        .size:           4
        .value_kind:     by_value
      - .offset:         108
        .size:           4
        .value_kind:     by_value
      - .offset:         112
        .size:           4
        .value_kind:     by_value
      - .offset:         116
        .size:           4
        .value_kind:     by_value
      - .offset:         120
        .size:           4
        .value_kind:     by_value
      - .offset:         124
        .size:           4
        .value_kind:     by_value
      - .offset:         128
        .size:           4
        .value_kind:     by_value
      - .offset:         132
        .size:           4
        .value_kind:     by_value
      - .offset:         136
        .size:           4
        .value_kind:     by_value
      - .offset:         144
        .size:           4
        .value_kind:     hidden_block_count_x
      - .offset:         148
        .size:           4
        .value_kind:     hidden_block_count_y
      - .offset:         152
        .size:           4
        .value_kind:     hidden_block_count_z
      - .offset:         156
        .size:           2
        .value_kind:     hidden_group_size_x
      - .offset:         158
        .size:           2
        .value_kind:     hidden_group_size_y
      - .offset:         160
        .size:           2
        .value_kind:     hidden_group_size_z
      - .offset:         162
        .size:           2
        .value_kind:     hidden_remainder_x
      - .offset:         164
        .size:           2
        .value_kind:     hidden_remainder_y
      - .offset:         166
        .size:           2
        .value_kind:     hidden_remainder_z
      - .offset:         184
        .size:           8
        .value_kind:     hidden_global_offset_x
      - .offset:         192
        .size:           8
        .value_kind:     hidden_global_offset_y
      - .offset:         200
        .size:           8
        .value_kind:     hidden_global_offset_z
      - .offset:         208
        .size:           2
        .value_kind:     hidden_grid_dims
    .group_segment_fixed_size: 16
    .kernarg_segment_align: 8
    .kernarg_segment_size: 400
    .language:       OpenCL C
    .language_version:
      - 2
      - 0
    .max_flat_workgroup_size: 1024
    .name:           _ZN5aiter35fused_qk_rmsnorm_group_quant_kernelIDF16_N4opus5fp4_tELi128ELi16ELi2ELb1ELb0ELb1ELb0ELb0ELb0EEEvPT0_PvPT_S7_S7_PKS6_S9_S9_S9_S9_ffiiiiiiiiiiiii
    .private_segment_fixed_size: 0
    .sgpr_count:     44
    .sgpr_spill_count: 0
    .symbol:         _ZN5aiter35fused_qk_rmsnorm_group_quant_kernelIDF16_N4opus5fp4_tELi128ELi16ELi2ELb1ELb0ELb1ELb0ELb0ELb0EEEvPT0_PvPT_S7_S7_PKS6_S9_S9_S9_S9_ffiiiiiiiiiiiii.kd
    .uniform_work_group_size: 1
    .uses_dynamic_stack: false
    .vgpr_count:     49
    .vgpr_spill_count: 0
    .wavefront_size: 64
  - .agpr_count:     0
    .args:
      - .actual_access:  write_only
        .address_space:  global
        .offset:         0
        .size:           8
        .value_kind:     global_buffer
      - .actual_access:  write_only
        .address_space:  global
        .offset:         8
        .size:           8
        .value_kind:     global_buffer
      - .actual_access:  read_only
        .address_space:  global
        .offset:         16
        .size:           8
        .value_kind:     global_buffer
      - .actual_access:  write_only
        .address_space:  global
        .offset:         24
        .size:           8
        .value_kind:     global_buffer
      - .actual_access:  write_only
        .address_space:  global
        .offset:         32
        .size:           8
        .value_kind:     global_buffer
      - .actual_access:  read_only
        .address_space:  global
        .offset:         40
        .size:           8
        .value_kind:     global_buffer
      - .actual_access:  read_only
        .address_space:  global
        .offset:         48
        .size:           8
        .value_kind:     global_buffer
      - .actual_access:  read_only
        .address_space:  global
        .offset:         56
        .size:           8
        .value_kind:     global_buffer
      - .actual_access:  read_only
        .address_space:  global
        .offset:         64
        .size:           8
        .value_kind:     global_buffer
      - .actual_access:  read_only
        .address_space:  global
        .offset:         72
        .size:           8
        .value_kind:     global_buffer
      - .offset:         80
        .size:           4
        .value_kind:     by_value
      - .offset:         84
        .size:           4
        .value_kind:     by_value
      - .offset:         88
        .size:           4
        .value_kind:     by_value
      - .offset:         92
        .size:           4
        .value_kind:     by_value
      - .offset:         96
        .size:           4
        .value_kind:     by_value
      - .offset:         100
        .size:           4
        .value_kind:     by_value
      - .offset:         104
        .size:           4
        .value_kind:     by_value
      - .offset:         108
        .size:           4
        .value_kind:     by_value
      - .offset:         112
        .size:           4
        .value_kind:     by_value
      - .offset:         116
        .size:           4
        .value_kind:     by_value
      - .offset:         120
        .size:           4
        .value_kind:     by_value
      - .offset:         124
        .size:           4
        .value_kind:     by_value
      - .offset:         128
        .size:           4
        .value_kind:     by_value
      - .offset:         132
        .size:           4
        .value_kind:     by_value
      - .offset:         136
        .size:           4
        .value_kind:     by_value
      - .offset:         144
        .size:           4
        .value_kind:     hidden_block_count_x
      - .offset:         148
        .size:           4
        .value_kind:     hidden_block_count_y
      - .offset:         152
        .size:           4
        .value_kind:     hidden_block_count_z
      - .offset:         156
        .size:           2
        .value_kind:     hidden_group_size_x
      - .offset:         158
        .size:           2
        .value_kind:     hidden_group_size_y
      - .offset:         160
        .size:           2
        .value_kind:     hidden_group_size_z
      - .offset:         162
        .size:           2
        .value_kind:     hidden_remainder_x
      - .offset:         164
        .size:           2
        .value_kind:     hidden_remainder_y
      - .offset:         166
        .size:           2
        .value_kind:     hidden_remainder_z
      - .offset:         184
        .size:           8
        .value_kind:     hidden_global_offset_x
      - .offset:         192
        .size:           8
        .value_kind:     hidden_global_offset_y
      - .offset:         200
        .size:           8
        .value_kind:     hidden_global_offset_z
      - .offset:         208
        .size:           2
        .value_kind:     hidden_grid_dims
    .group_segment_fixed_size: 16
    .kernarg_segment_align: 8
    .kernarg_segment_size: 400
    .language:       OpenCL C
    .language_version:
      - 2
      - 0
    .max_flat_workgroup_size: 1024
    .name:           _ZN5aiter35fused_qk_rmsnorm_group_quant_kernelItN4opus5fp4_tELi128ELi16ELi2ELb1ELb0ELb1ELb0ELb0ELb0EEEvPT0_PvPT_S7_S7_PKS6_S9_S9_S9_S9_ffiiiiiiiiiiiii
    .private_segment_fixed_size: 0
    .sgpr_count:     44
    .sgpr_spill_count: 0
    .symbol:         _ZN5aiter35fused_qk_rmsnorm_group_quant_kernelItN4opus5fp4_tELi128ELi16ELi2ELb1ELb0ELb1ELb0ELb0ELb0EEEvPT0_PvPT_S7_S7_PKS6_S9_S9_S9_S9_ffiiiiiiiiiiiii.kd
    .uniform_work_group_size: 1
    .uses_dynamic_stack: false
    .vgpr_count:     76
    .vgpr_spill_count: 0
    .wavefront_size: 64
  - .agpr_count:     0
    .args:
      - .actual_access:  write_only
        .address_space:  global
        .offset:         0
        .size:           8
        .value_kind:     global_buffer
      - .actual_access:  write_only
        .address_space:  global
        .offset:         8
        .size:           8
        .value_kind:     global_buffer
      - .actual_access:  read_only
        .address_space:  global
        .offset:         16
        .size:           8
        .value_kind:     global_buffer
      - .actual_access:  write_only
        .address_space:  global
        .offset:         24
        .size:           8
        .value_kind:     global_buffer
      - .actual_access:  write_only
        .address_space:  global
        .offset:         32
        .size:           8
        .value_kind:     global_buffer
      - .actual_access:  read_only
        .address_space:  global
        .offset:         40
        .size:           8
        .value_kind:     global_buffer
      - .actual_access:  read_only
        .address_space:  global
        .offset:         48
        .size:           8
        .value_kind:     global_buffer
      - .actual_access:  read_only
        .address_space:  global
        .offset:         56
        .size:           8
        .value_kind:     global_buffer
      - .actual_access:  read_only
        .address_space:  global
        .offset:         64
        .size:           8
        .value_kind:     global_buffer
      - .actual_access:  read_only
        .address_space:  global
        .offset:         72
        .size:           8
        .value_kind:     global_buffer
      - .offset:         80
        .size:           4
        .value_kind:     by_value
      - .offset:         84
        .size:           4
        .value_kind:     by_value
      - .offset:         88
        .size:           4
        .value_kind:     by_value
      - .offset:         92
        .size:           4
        .value_kind:     by_value
      - .offset:         96
        .size:           4
        .value_kind:     by_value
      - .offset:         100
        .size:           4
        .value_kind:     by_value
      - .offset:         104
        .size:           4
        .value_kind:     by_value
      - .offset:         108
        .size:           4
        .value_kind:     by_value
      - .offset:         112
        .size:           4
        .value_kind:     by_value
      - .offset:         116
        .size:           4
        .value_kind:     by_value
      - .offset:         120
        .size:           4
        .value_kind:     by_value
      - .offset:         124
        .size:           4
        .value_kind:     by_value
      - .offset:         128
        .size:           4
        .value_kind:     by_value
      - .offset:         132
        .size:           4
        .value_kind:     by_value
      - .offset:         136
        .size:           4
        .value_kind:     by_value
      - .offset:         144
        .size:           4
        .value_kind:     hidden_block_count_x
      - .offset:         148
        .size:           4
        .value_kind:     hidden_block_count_y
      - .offset:         152
        .size:           4
        .value_kind:     hidden_block_count_z
      - .offset:         156
        .size:           2
        .value_kind:     hidden_group_size_x
      - .offset:         158
        .size:           2
        .value_kind:     hidden_group_size_y
      - .offset:         160
        .size:           2
        .value_kind:     hidden_group_size_z
      - .offset:         162
        .size:           2
        .value_kind:     hidden_remainder_x
      - .offset:         164
        .size:           2
        .value_kind:     hidden_remainder_y
      - .offset:         166
        .size:           2
        .value_kind:     hidden_remainder_z
      - .offset:         184
        .size:           8
        .value_kind:     hidden_global_offset_x
      - .offset:         192
        .size:           8
        .value_kind:     hidden_global_offset_y
      - .offset:         200
        .size:           8
        .value_kind:     hidden_global_offset_z
      - .offset:         208
        .size:           2
        .value_kind:     hidden_grid_dims
    .group_segment_fixed_size: 16
    .kernarg_segment_align: 8
    .kernarg_segment_size: 400
    .language:       OpenCL C
    .language_version:
      - 2
      - 0
    .max_flat_workgroup_size: 1024
    .name:           _ZN5aiter35fused_qk_rmsnorm_group_quant_kernelIDF16_DB8_Li128ELi16ELi2ELb1ELb0ELb0ELb0ELb0ELb0EEEvPT0_PvPT_S6_S6_PKS5_S8_S8_S8_S8_ffiiiiiiiiiiiii
    .private_segment_fixed_size: 0
    .sgpr_count:     48
    .sgpr_spill_count: 0
    .symbol:         _ZN5aiter35fused_qk_rmsnorm_group_quant_kernelIDF16_DB8_Li128ELi16ELi2ELb1ELb0ELb0ELb0ELb0ELb0EEEvPT0_PvPT_S6_S6_PKS5_S8_S8_S8_S8_ffiiiiiiiiiiiii.kd
    .uniform_work_group_size: 1
    .uses_dynamic_stack: false
    .vgpr_count:     94
    .vgpr_spill_count: 0
    .wavefront_size: 64
  - .agpr_count:     0
    .args:
      - .actual_access:  write_only
        .address_space:  global
        .offset:         0
        .size:           8
        .value_kind:     global_buffer
      - .actual_access:  write_only
        .address_space:  global
        .offset:         8
        .size:           8
        .value_kind:     global_buffer
      - .actual_access:  read_only
        .address_space:  global
        .offset:         16
        .size:           8
        .value_kind:     global_buffer
      - .actual_access:  write_only
        .address_space:  global
        .offset:         24
        .size:           8
        .value_kind:     global_buffer
      - .actual_access:  write_only
        .address_space:  global
        .offset:         32
        .size:           8
        .value_kind:     global_buffer
      - .actual_access:  read_only
        .address_space:  global
        .offset:         40
        .size:           8
        .value_kind:     global_buffer
      - .actual_access:  read_only
        .address_space:  global
        .offset:         48
        .size:           8
        .value_kind:     global_buffer
      - .actual_access:  read_only
        .address_space:  global
        .offset:         56
        .size:           8
        .value_kind:     global_buffer
      - .actual_access:  read_only
        .address_space:  global
        .offset:         64
        .size:           8
        .value_kind:     global_buffer
      - .actual_access:  read_only
        .address_space:  global
        .offset:         72
        .size:           8
        .value_kind:     global_buffer
      - .offset:         80
        .size:           4
        .value_kind:     by_value
      - .offset:         84
        .size:           4
        .value_kind:     by_value
      - .offset:         88
        .size:           4
        .value_kind:     by_value
      - .offset:         92
        .size:           4
        .value_kind:     by_value
      - .offset:         96
        .size:           4
        .value_kind:     by_value
      - .offset:         100
        .size:           4
        .value_kind:     by_value
      - .offset:         104
        .size:           4
        .value_kind:     by_value
      - .offset:         108
        .size:           4
        .value_kind:     by_value
      - .offset:         112
        .size:           4
        .value_kind:     by_value
      - .offset:         116
        .size:           4
        .value_kind:     by_value
      - .offset:         120
        .size:           4
        .value_kind:     by_value
      - .offset:         124
        .size:           4
        .value_kind:     by_value
      - .offset:         128
        .size:           4
        .value_kind:     by_value
      - .offset:         132
        .size:           4
        .value_kind:     by_value
      - .offset:         136
        .size:           4
        .value_kind:     by_value
      - .offset:         144
        .size:           4
        .value_kind:     hidden_block_count_x
      - .offset:         148
        .size:           4
        .value_kind:     hidden_block_count_y
      - .offset:         152
        .size:           4
        .value_kind:     hidden_block_count_z
      - .offset:         156
        .size:           2
        .value_kind:     hidden_group_size_x
      - .offset:         158
        .size:           2
        .value_kind:     hidden_group_size_y
      - .offset:         160
        .size:           2
        .value_kind:     hidden_group_size_z
      - .offset:         162
        .size:           2
        .value_kind:     hidden_remainder_x
      - .offset:         164
        .size:           2
        .value_kind:     hidden_remainder_y
      - .offset:         166
        .size:           2
        .value_kind:     hidden_remainder_z
      - .offset:         184
        .size:           8
        .value_kind:     hidden_global_offset_x
      - .offset:         192
        .size:           8
        .value_kind:     hidden_global_offset_y
      - .offset:         200
        .size:           8
        .value_kind:     hidden_global_offset_z
      - .offset:         208
        .size:           2
        .value_kind:     hidden_grid_dims
    .group_segment_fixed_size: 16
    .kernarg_segment_align: 8
    .kernarg_segment_size: 400
    .language:       OpenCL C
    .language_version:
      - 2
      - 0
    .max_flat_workgroup_size: 1024
    .name:           _ZN5aiter35fused_qk_rmsnorm_group_quant_kernelItDB8_Li128ELi16ELi2ELb1ELb0ELb0ELb0ELb0ELb0EEEvPT0_PvPT_S6_S6_PKS5_S8_S8_S8_S8_ffiiiiiiiiiiiii
    .private_segment_fixed_size: 0
    .sgpr_count:     48
    .sgpr_spill_count: 0
    .symbol:         _ZN5aiter35fused_qk_rmsnorm_group_quant_kernelItDB8_Li128ELi16ELi2ELb1ELb0ELb0ELb0ELb0ELb0EEEvPT0_PvPT_S6_S6_PKS5_S8_S8_S8_S8_ffiiiiiiiiiiiii.kd
    .uniform_work_group_size: 1
    .uses_dynamic_stack: false
    .vgpr_count:     96
    .vgpr_spill_count: 0
    .wavefront_size: 64
  - .agpr_count:     0
    .args:
      - .actual_access:  write_only
        .address_space:  global
        .offset:         0
        .size:           8
        .value_kind:     global_buffer
      - .actual_access:  write_only
        .address_space:  global
        .offset:         8
        .size:           8
        .value_kind:     global_buffer
      - .actual_access:  read_only
        .address_space:  global
        .offset:         16
        .size:           8
        .value_kind:     global_buffer
      - .actual_access:  write_only
        .address_space:  global
        .offset:         24
        .size:           8
        .value_kind:     global_buffer
      - .actual_access:  write_only
        .address_space:  global
        .offset:         32
        .size:           8
        .value_kind:     global_buffer
      - .actual_access:  read_only
        .address_space:  global
        .offset:         40
        .size:           8
        .value_kind:     global_buffer
      - .actual_access:  read_only
        .address_space:  global
        .offset:         48
        .size:           8
        .value_kind:     global_buffer
      - .actual_access:  read_only
        .address_space:  global
        .offset:         56
        .size:           8
        .value_kind:     global_buffer
      - .actual_access:  read_only
        .address_space:  global
        .offset:         64
        .size:           8
        .value_kind:     global_buffer
      - .actual_access:  read_only
        .address_space:  global
        .offset:         72
        .size:           8
        .value_kind:     global_buffer
      - .offset:         80
        .size:           4
        .value_kind:     by_value
      - .offset:         84
        .size:           4
        .value_kind:     by_value
      - .offset:         88
        .size:           4
        .value_kind:     by_value
      - .offset:         92
        .size:           4
        .value_kind:     by_value
      - .offset:         96
        .size:           4
        .value_kind:     by_value
      - .offset:         100
        .size:           4
        .value_kind:     by_value
      - .offset:         104
        .size:           4
        .value_kind:     by_value
      - .offset:         108
        .size:           4
        .value_kind:     by_value
      - .offset:         112
        .size:           4
        .value_kind:     by_value
      - .offset:         116
        .size:           4
        .value_kind:     by_value
      - .offset:         120
        .size:           4
        .value_kind:     by_value
      - .offset:         124
        .size:           4
        .value_kind:     by_value
      - .offset:         128
        .size:           4
        .value_kind:     by_value
      - .offset:         132
        .size:           4
        .value_kind:     by_value
      - .offset:         136
        .size:           4
        .value_kind:     by_value
      - .offset:         144
        .size:           4
        .value_kind:     hidden_block_count_x
      - .offset:         148
        .size:           4
        .value_kind:     hidden_block_count_y
      - .offset:         152
        .size:           4
        .value_kind:     hidden_block_count_z
      - .offset:         156
        .size:           2
        .value_kind:     hidden_group_size_x
      - .offset:         158
        .size:           2
        .value_kind:     hidden_group_size_y
      - .offset:         160
        .size:           2
        .value_kind:     hidden_group_size_z
      - .offset:         162
        .size:           2
        .value_kind:     hidden_remainder_x
      - .offset:         164
        .size:           2
        .value_kind:     hidden_remainder_y
      - .offset:         166
        .size:           2
        .value_kind:     hidden_remainder_z
      - .offset:         184
        .size:           8
        .value_kind:     hidden_global_offset_x
      - .offset:         192
        .size:           8
        .value_kind:     hidden_global_offset_y
      - .offset:         200
        .size:           8
        .value_kind:     hidden_global_offset_z
      - .offset:         208
        .size:           2
        .value_kind:     hidden_grid_dims
    .group_segment_fixed_size: 16
    .kernarg_segment_align: 8
    .kernarg_segment_size: 400
    .language:       OpenCL C
    .language_version:
      - 2
      - 0
    .max_flat_workgroup_size: 1024
    .name:           _ZN5aiter35fused_qk_rmsnorm_group_quant_kernelIDF16_N4opus5fp4_tELi128ELi16ELi2ELb1ELb0ELb0ELb0ELb0ELb0EEEvPT0_PvPT_S7_S7_PKS6_S9_S9_S9_S9_ffiiiiiiiiiiiii
    .private_segment_fixed_size: 0
    .sgpr_count:     44
    .sgpr_spill_count: 0
    .symbol:         _ZN5aiter35fused_qk_rmsnorm_group_quant_kernelIDF16_N4opus5fp4_tELi128ELi16ELi2ELb1ELb0ELb0ELb0ELb0ELb0EEEvPT0_PvPT_S7_S7_PKS6_S9_S9_S9_S9_ffiiiiiiiiiiiii.kd
    .uniform_work_group_size: 1
    .uses_dynamic_stack: false
    .vgpr_count:     47
    .vgpr_spill_count: 0
    .wavefront_size: 64
  - .agpr_count:     0
    .args:
      - .actual_access:  write_only
        .address_space:  global
        .offset:         0
        .size:           8
        .value_kind:     global_buffer
      - .actual_access:  write_only
        .address_space:  global
        .offset:         8
        .size:           8
        .value_kind:     global_buffer
      - .actual_access:  read_only
        .address_space:  global
        .offset:         16
        .size:           8
        .value_kind:     global_buffer
      - .actual_access:  write_only
        .address_space:  global
        .offset:         24
        .size:           8
        .value_kind:     global_buffer
      - .actual_access:  write_only
        .address_space:  global
        .offset:         32
        .size:           8
        .value_kind:     global_buffer
      - .actual_access:  read_only
        .address_space:  global
        .offset:         40
        .size:           8
        .value_kind:     global_buffer
      - .actual_access:  read_only
        .address_space:  global
        .offset:         48
        .size:           8
        .value_kind:     global_buffer
      - .actual_access:  read_only
        .address_space:  global
        .offset:         56
        .size:           8
        .value_kind:     global_buffer
      - .actual_access:  read_only
        .address_space:  global
        .offset:         64
        .size:           8
        .value_kind:     global_buffer
      - .actual_access:  read_only
        .address_space:  global
        .offset:         72
        .size:           8
        .value_kind:     global_buffer
      - .offset:         80
        .size:           4
        .value_kind:     by_value
      - .offset:         84
        .size:           4
        .value_kind:     by_value
      - .offset:         88
        .size:           4
        .value_kind:     by_value
      - .offset:         92
        .size:           4
        .value_kind:     by_value
      - .offset:         96
        .size:           4
        .value_kind:     by_value
      - .offset:         100
        .size:           4
        .value_kind:     by_value
      - .offset:         104
        .size:           4
        .value_kind:     by_value
      - .offset:         108
        .size:           4
        .value_kind:     by_value
      - .offset:         112
        .size:           4
        .value_kind:     by_value
      - .offset:         116
        .size:           4
        .value_kind:     by_value
      - .offset:         120
        .size:           4
        .value_kind:     by_value
      - .offset:         124
        .size:           4
        .value_kind:     by_value
      - .offset:         128
        .size:           4
        .value_kind:     by_value
      - .offset:         132
        .size:           4
        .value_kind:     by_value
      - .offset:         136
        .size:           4
        .value_kind:     by_value
      - .offset:         144
        .size:           4
        .value_kind:     hidden_block_count_x
      - .offset:         148
        .size:           4
        .value_kind:     hidden_block_count_y
      - .offset:         152
        .size:           4
        .value_kind:     hidden_block_count_z
      - .offset:         156
        .size:           2
        .value_kind:     hidden_group_size_x
      - .offset:         158
        .size:           2
        .value_kind:     hidden_group_size_y
      - .offset:         160
        .size:           2
        .value_kind:     hidden_group_size_z
      - .offset:         162
        .size:           2
        .value_kind:     hidden_remainder_x
      - .offset:         164
        .size:           2
        .value_kind:     hidden_remainder_y
      - .offset:         166
        .size:           2
        .value_kind:     hidden_remainder_z
      - .offset:         184
        .size:           8
        .value_kind:     hidden_global_offset_x
      - .offset:         192
        .size:           8
        .value_kind:     hidden_global_offset_y
      - .offset:         200
        .size:           8
        .value_kind:     hidden_global_offset_z
      - .offset:         208
        .size:           2
        .value_kind:     hidden_grid_dims
    .group_segment_fixed_size: 16
    .kernarg_segment_align: 8
    .kernarg_segment_size: 400
    .language:       OpenCL C
    .language_version:
      - 2
      - 0
    .max_flat_workgroup_size: 1024
    .name:           _ZN5aiter35fused_qk_rmsnorm_group_quant_kernelItN4opus5fp4_tELi128ELi16ELi2ELb1ELb0ELb0ELb0ELb0ELb0EEEvPT0_PvPT_S7_S7_PKS6_S9_S9_S9_S9_ffiiiiiiiiiiiii
    .private_segment_fixed_size: 0
    .sgpr_count:     44
    .sgpr_spill_count: 0
    .symbol:         _ZN5aiter35fused_qk_rmsnorm_group_quant_kernelItN4opus5fp4_tELi128ELi16ELi2ELb1ELb0ELb0ELb0ELb0ELb0EEEvPT0_PvPT_S7_S7_PKS6_S9_S9_S9_S9_ffiiiiiiiiiiiii.kd
    .uniform_work_group_size: 1
    .uses_dynamic_stack: false
    .vgpr_count:     94
    .vgpr_spill_count: 0
    .wavefront_size: 64
  - .agpr_count:     0
    .args:
      - .actual_access:  write_only
        .address_space:  global
        .offset:         0
        .size:           8
        .value_kind:     global_buffer
      - .actual_access:  write_only
        .address_space:  global
        .offset:         8
        .size:           8
        .value_kind:     global_buffer
      - .actual_access:  write_only
        .address_space:  global
        .offset:         16
        .size:           8
        .value_kind:     global_buffer
      - .actual_access:  write_only
        .address_space:  global
        .offset:         24
        .size:           8
        .value_kind:     global_buffer
      - .actual_access:  read_only
        .address_space:  global
        .offset:         32
        .size:           8
        .value_kind:     global_buffer
      - .actual_access:  read_only
        .address_space:  global
        .offset:         40
        .size:           8
        .value_kind:     global_buffer
      - .actual_access:  read_only
        .address_space:  global
        .offset:         48
        .size:           8
        .value_kind:     global_buffer
      - .actual_access:  read_only
        .address_space:  global
        .offset:         56
        .size:           8
        .value_kind:     global_buffer
      - .actual_access:  read_only
        .address_space:  global
        .offset:         64
        .size:           8
        .value_kind:     global_buffer
      - .actual_access:  read_only
        .address_space:  global
        .offset:         72
        .size:           8
        .value_kind:     global_buffer
      - .offset:         80
        .size:           4
        .value_kind:     by_value
      - .offset:         84
        .size:           4
        .value_kind:     by_value
      - .offset:         88
        .size:           4
        .value_kind:     by_value
      - .offset:         92
        .size:           4
        .value_kind:     by_value
      - .offset:         96
        .size:           4
        .value_kind:     by_value
      - .offset:         100
        .size:           4
        .value_kind:     by_value
      - .offset:         104
        .size:           4
        .value_kind:     by_value
      - .offset:         108
        .size:           4
        .value_kind:     by_value
      - .offset:         112
        .size:           4
        .value_kind:     by_value
      - .offset:         116
        .size:           4
        .value_kind:     by_value
      - .offset:         120
        .size:           4
        .value_kind:     by_value
      - .offset:         124
        .size:           4
        .value_kind:     by_value
      - .offset:         128
        .size:           4
        .value_kind:     by_value
      - .offset:         132
        .size:           4
        .value_kind:     by_value
      - .offset:         136
        .size:           4
        .value_kind:     by_value
      - .offset:         144
        .size:           4
        .value_kind:     hidden_block_count_x
      - .offset:         148
        .size:           4
        .value_kind:     hidden_block_count_y
      - .offset:         152
        .size:           4
        .value_kind:     hidden_block_count_z
      - .offset:         156
        .size:           2
        .value_kind:     hidden_group_size_x
      - .offset:         158
        .size:           2
        .value_kind:     hidden_group_size_y
      - .offset:         160
        .size:           2
        .value_kind:     hidden_group_size_z
      - .offset:         162
        .size:           2
        .value_kind:     hidden_remainder_x
      - .offset:         164
        .size:           2
        .value_kind:     hidden_remainder_y
      - .offset:         166
        .size:           2
        .value_kind:     hidden_remainder_z
      - .offset:         184
        .size:           8
        .value_kind:     hidden_global_offset_x
      - .offset:         192
        .size:           8
        .value_kind:     hidden_global_offset_y
      - .offset:         200
        .size:           8
        .value_kind:     hidden_global_offset_z
      - .offset:         208
        .size:           2
        .value_kind:     hidden_grid_dims
    .group_segment_fixed_size: 16
    .kernarg_segment_align: 8
    .kernarg_segment_size: 400
    .language:       OpenCL C
    .language_version:
      - 2
      - 0
    .max_flat_workgroup_size: 1024
    .name:           _ZN5aiter35fused_qk_rmsnorm_group_quant_kernelIDF16_DB8_Li128ELi16ELi2ELb0ELb1ELb1ELb0ELb0ELb0EEEvPT0_PvPT_S6_S6_PKS5_S8_S8_S8_S8_ffiiiiiiiiiiiii
    .private_segment_fixed_size: 0
    .sgpr_count:     40
    .sgpr_spill_count: 0
    .symbol:         _ZN5aiter35fused_qk_rmsnorm_group_quant_kernelIDF16_DB8_Li128ELi16ELi2ELb0ELb1ELb1ELb0ELb0ELb0EEEvPT0_PvPT_S6_S6_PKS5_S8_S8_S8_S8_ffiiiiiiiiiiiii.kd
    .uniform_work_group_size: 1
    .uses_dynamic_stack: false
    .vgpr_count:     36
    .vgpr_spill_count: 0
    .wavefront_size: 64
  - .agpr_count:     0
    .args:
      - .actual_access:  write_only
        .address_space:  global
        .offset:         0
        .size:           8
        .value_kind:     global_buffer
      - .actual_access:  write_only
        .address_space:  global
        .offset:         8
        .size:           8
        .value_kind:     global_buffer
      - .actual_access:  write_only
        .address_space:  global
        .offset:         16
        .size:           8
        .value_kind:     global_buffer
      - .actual_access:  write_only
        .address_space:  global
        .offset:         24
        .size:           8
        .value_kind:     global_buffer
      - .actual_access:  read_only
        .address_space:  global
        .offset:         32
        .size:           8
        .value_kind:     global_buffer
      - .actual_access:  read_only
        .address_space:  global
        .offset:         40
        .size:           8
        .value_kind:     global_buffer
      - .actual_access:  read_only
        .address_space:  global
        .offset:         48
        .size:           8
        .value_kind:     global_buffer
      - .actual_access:  read_only
        .address_space:  global
        .offset:         56
        .size:           8
        .value_kind:     global_buffer
      - .actual_access:  read_only
        .address_space:  global
        .offset:         64
        .size:           8
        .value_kind:     global_buffer
      - .actual_access:  read_only
        .address_space:  global
        .offset:         72
        .size:           8
        .value_kind:     global_buffer
      - .offset:         80
        .size:           4
        .value_kind:     by_value
      - .offset:         84
        .size:           4
        .value_kind:     by_value
      - .offset:         88
        .size:           4
        .value_kind:     by_value
      - .offset:         92
        .size:           4
        .value_kind:     by_value
      - .offset:         96
        .size:           4
        .value_kind:     by_value
      - .offset:         100
        .size:           4
        .value_kind:     by_value
      - .offset:         104
        .size:           4
        .value_kind:     by_value
      - .offset:         108
        .size:           4
        .value_kind:     by_value
      - .offset:         112
        .size:           4
        .value_kind:     by_value
      - .offset:         116
        .size:           4
        .value_kind:     by_value
      - .offset:         120
        .size:           4
        .value_kind:     by_value
      - .offset:         124
        .size:           4
        .value_kind:     by_value
      - .offset:         128
        .size:           4
        .value_kind:     by_value
      - .offset:         132
        .size:           4
        .value_kind:     by_value
      - .offset:         136
        .size:           4
        .value_kind:     by_value
      - .offset:         144
        .size:           4
        .value_kind:     hidden_block_count_x
      - .offset:         148
        .size:           4
        .value_kind:     hidden_block_count_y
      - .offset:         152
        .size:           4
        .value_kind:     hidden_block_count_z
      - .offset:         156
        .size:           2
        .value_kind:     hidden_group_size_x
      - .offset:         158
        .size:           2
        .value_kind:     hidden_group_size_y
      - .offset:         160
        .size:           2
        .value_kind:     hidden_group_size_z
      - .offset:         162
        .size:           2
        .value_kind:     hidden_remainder_x
      - .offset:         164
        .size:           2
        .value_kind:     hidden_remainder_y
      - .offset:         166
        .size:           2
        .value_kind:     hidden_remainder_z
      - .offset:         184
        .size:           8
        .value_kind:     hidden_global_offset_x
      - .offset:         192
        .size:           8
        .value_kind:     hidden_global_offset_y
      - .offset:         200
        .size:           8
        .value_kind:     hidden_global_offset_z
      - .offset:         208
        .size:           2
        .value_kind:     hidden_grid_dims
    .group_segment_fixed_size: 16
    .kernarg_segment_align: 8
    .kernarg_segment_size: 400
    .language:       OpenCL C
    .language_version:
      - 2
      - 0
    .max_flat_workgroup_size: 1024
    .name:           _ZN5aiter35fused_qk_rmsnorm_group_quant_kernelItDB8_Li128ELi16ELi2ELb0ELb1ELb1ELb0ELb0ELb0EEEvPT0_PvPT_S6_S6_PKS5_S8_S8_S8_S8_ffiiiiiiiiiiiii
    .private_segment_fixed_size: 0
    .sgpr_count:     40
    .sgpr_spill_count: 0
    .symbol:         _ZN5aiter35fused_qk_rmsnorm_group_quant_kernelItDB8_Li128ELi16ELi2ELb0ELb1ELb1ELb0ELb0ELb0EEEvPT0_PvPT_S6_S6_PKS5_S8_S8_S8_S8_ffiiiiiiiiiiiii.kd
    .uniform_work_group_size: 1
    .uses_dynamic_stack: false
    .vgpr_count:     36
    .vgpr_spill_count: 0
    .wavefront_size: 64
  - .agpr_count:     0
    .args:
      - .actual_access:  write_only
        .address_space:  global
        .offset:         0
        .size:           8
        .value_kind:     global_buffer
      - .actual_access:  write_only
        .address_space:  global
        .offset:         8
        .size:           8
        .value_kind:     global_buffer
      - .actual_access:  write_only
        .address_space:  global
        .offset:         16
        .size:           8
        .value_kind:     global_buffer
      - .actual_access:  write_only
        .address_space:  global
        .offset:         24
        .size:           8
        .value_kind:     global_buffer
      - .actual_access:  read_only
        .address_space:  global
        .offset:         32
        .size:           8
        .value_kind:     global_buffer
      - .actual_access:  read_only
        .address_space:  global
        .offset:         40
        .size:           8
        .value_kind:     global_buffer
      - .actual_access:  read_only
        .address_space:  global
        .offset:         48
        .size:           8
        .value_kind:     global_buffer
      - .actual_access:  read_only
        .address_space:  global
        .offset:         56
        .size:           8
        .value_kind:     global_buffer
      - .actual_access:  read_only
        .address_space:  global
        .offset:         64
        .size:           8
        .value_kind:     global_buffer
      - .actual_access:  read_only
        .address_space:  global
        .offset:         72
        .size:           8
        .value_kind:     global_buffer
      - .offset:         80
        .size:           4
        .value_kind:     by_value
      - .offset:         84
        .size:           4
        .value_kind:     by_value
      - .offset:         88
        .size:           4
        .value_kind:     by_value
      - .offset:         92
        .size:           4
        .value_kind:     by_value
      - .offset:         96
        .size:           4
        .value_kind:     by_value
      - .offset:         100
        .size:           4
        .value_kind:     by_value
      - .offset:         104
        .size:           4
        .value_kind:     by_value
      - .offset:         108
        .size:           4
        .value_kind:     by_value
      - .offset:         112
        .size:           4
        .value_kind:     by_value
      - .offset:         116
        .size:           4
        .value_kind:     by_value
      - .offset:         120
        .size:           4
        .value_kind:     by_value
      - .offset:         124
        .size:           4
        .value_kind:     by_value
      - .offset:         128
        .size:           4
        .value_kind:     by_value
      - .offset:         132
        .size:           4
        .value_kind:     by_value
      - .offset:         136
        .size:           4
        .value_kind:     by_value
      - .offset:         144
        .size:           4
        .value_kind:     hidden_block_count_x
      - .offset:         148
        .size:           4
        .value_kind:     hidden_block_count_y
      - .offset:         152
        .size:           4
        .value_kind:     hidden_block_count_z
      - .offset:         156
        .size:           2
        .value_kind:     hidden_group_size_x
      - .offset:         158
        .size:           2
        .value_kind:     hidden_group_size_y
      - .offset:         160
        .size:           2
        .value_kind:     hidden_group_size_z
      - .offset:         162
        .size:           2
        .value_kind:     hidden_remainder_x
      - .offset:         164
        .size:           2
        .value_kind:     hidden_remainder_y
      - .offset:         166
        .size:           2
        .value_kind:     hidden_remainder_z
      - .offset:         184
        .size:           8
        .value_kind:     hidden_global_offset_x
      - .offset:         192
        .size:           8
        .value_kind:     hidden_global_offset_y
      - .offset:         200
        .size:           8
        .value_kind:     hidden_global_offset_z
      - .offset:         208
        .size:           2
        .value_kind:     hidden_grid_dims
    .group_segment_fixed_size: 16
    .kernarg_segment_align: 8
    .kernarg_segment_size: 400
    .language:       OpenCL C
    .language_version:
      - 2
      - 0
    .max_flat_workgroup_size: 1024
    .name:           _ZN5aiter35fused_qk_rmsnorm_group_quant_kernelIDF16_N4opus5fp4_tELi128ELi16ELi2ELb0ELb1ELb1ELb0ELb0ELb0EEEvPT0_PvPT_S7_S7_PKS6_S9_S9_S9_S9_ffiiiiiiiiiiiii
    .private_segment_fixed_size: 0
    .sgpr_count:     40
    .sgpr_spill_count: 0
    .symbol:         _ZN5aiter35fused_qk_rmsnorm_group_quant_kernelIDF16_N4opus5fp4_tELi128ELi16ELi2ELb0ELb1ELb1ELb0ELb0ELb0EEEvPT0_PvPT_S7_S7_PKS6_S9_S9_S9_S9_ffiiiiiiiiiiiii.kd
    .uniform_work_group_size: 1
    .uses_dynamic_stack: false
    .vgpr_count:     36
    .vgpr_spill_count: 0
    .wavefront_size: 64
  - .agpr_count:     0
    .args:
      - .actual_access:  write_only
        .address_space:  global
        .offset:         0
        .size:           8
        .value_kind:     global_buffer
      - .actual_access:  write_only
        .address_space:  global
        .offset:         8
        .size:           8
        .value_kind:     global_buffer
      - .actual_access:  write_only
        .address_space:  global
        .offset:         16
        .size:           8
        .value_kind:     global_buffer
      - .actual_access:  write_only
        .address_space:  global
        .offset:         24
        .size:           8
        .value_kind:     global_buffer
      - .actual_access:  read_only
        .address_space:  global
        .offset:         32
        .size:           8
        .value_kind:     global_buffer
      - .actual_access:  read_only
        .address_space:  global
        .offset:         40
        .size:           8
        .value_kind:     global_buffer
      - .actual_access:  read_only
        .address_space:  global
        .offset:         48
        .size:           8
        .value_kind:     global_buffer
      - .actual_access:  read_only
        .address_space:  global
        .offset:         56
        .size:           8
        .value_kind:     global_buffer
      - .actual_access:  read_only
        .address_space:  global
        .offset:         64
        .size:           8
        .value_kind:     global_buffer
      - .actual_access:  read_only
        .address_space:  global
        .offset:         72
        .size:           8
        .value_kind:     global_buffer
      - .offset:         80
        .size:           4
        .value_kind:     by_value
      - .offset:         84
        .size:           4
        .value_kind:     by_value
      - .offset:         88
        .size:           4
        .value_kind:     by_value
      - .offset:         92
        .size:           4
        .value_kind:     by_value
      - .offset:         96
        .size:           4
        .value_kind:     by_value
      - .offset:         100
        .size:           4
        .value_kind:     by_value
      - .offset:         104
        .size:           4
        .value_kind:     by_value
      - .offset:         108
        .size:           4
        .value_kind:     by_value
      - .offset:         112
        .size:           4
        .value_kind:     by_value
      - .offset:         116
        .size:           4
        .value_kind:     by_value
      - .offset:         120
        .size:           4
        .value_kind:     by_value
      - .offset:         124
        .size:           4
        .value_kind:     by_value
      - .offset:         128
        .size:           4
        .value_kind:     by_value
      - .offset:         132
        .size:           4
        .value_kind:     by_value
      - .offset:         136
        .size:           4
        .value_kind:     by_value
      - .offset:         144
        .size:           4
        .value_kind:     hidden_block_count_x
      - .offset:         148
        .size:           4
        .value_kind:     hidden_block_count_y
      - .offset:         152
        .size:           4
        .value_kind:     hidden_block_count_z
      - .offset:         156
        .size:           2
        .value_kind:     hidden_group_size_x
      - .offset:         158
        .size:           2
        .value_kind:     hidden_group_size_y
      - .offset:         160
        .size:           2
        .value_kind:     hidden_group_size_z
      - .offset:         162
        .size:           2
        .value_kind:     hidden_remainder_x
      - .offset:         164
        .size:           2
        .value_kind:     hidden_remainder_y
      - .offset:         166
        .size:           2
        .value_kind:     hidden_remainder_z
      - .offset:         184
        .size:           8
        .value_kind:     hidden_global_offset_x
      - .offset:         192
        .size:           8
        .value_kind:     hidden_global_offset_y
      - .offset:         200
        .size:           8
        .value_kind:     hidden_global_offset_z
      - .offset:         208
        .size:           2
        .value_kind:     hidden_grid_dims
    .group_segment_fixed_size: 16
    .kernarg_segment_align: 8
    .kernarg_segment_size: 400
    .language:       OpenCL C
    .language_version:
      - 2
      - 0
    .max_flat_workgroup_size: 1024
    .name:           _ZN5aiter35fused_qk_rmsnorm_group_quant_kernelItN4opus5fp4_tELi128ELi16ELi2ELb0ELb1ELb1ELb0ELb0ELb0EEEvPT0_PvPT_S7_S7_PKS6_S9_S9_S9_S9_ffiiiiiiiiiiiii
    .private_segment_fixed_size: 0
    .sgpr_count:     40
    .sgpr_spill_count: 0
    .symbol:         _ZN5aiter35fused_qk_rmsnorm_group_quant_kernelItN4opus5fp4_tELi128ELi16ELi2ELb0ELb1ELb1ELb0ELb0ELb0EEEvPT0_PvPT_S7_S7_PKS6_S9_S9_S9_S9_ffiiiiiiiiiiiii.kd
    .uniform_work_group_size: 1
    .uses_dynamic_stack: false
    .vgpr_count:     36
    .vgpr_spill_count: 0
    .wavefront_size: 64
  - .agpr_count:     0
    .args:
      - .actual_access:  write_only
        .address_space:  global
        .offset:         0
        .size:           8
        .value_kind:     global_buffer
      - .actual_access:  write_only
        .address_space:  global
        .offset:         8
        .size:           8
        .value_kind:     global_buffer
      - .actual_access:  write_only
        .address_space:  global
        .offset:         16
        .size:           8
        .value_kind:     global_buffer
      - .actual_access:  write_only
        .address_space:  global
        .offset:         24
        .size:           8
        .value_kind:     global_buffer
      - .actual_access:  read_only
        .address_space:  global
        .offset:         32
        .size:           8
        .value_kind:     global_buffer
      - .actual_access:  read_only
        .address_space:  global
        .offset:         40
        .size:           8
        .value_kind:     global_buffer
      - .actual_access:  read_only
        .address_space:  global
        .offset:         48
        .size:           8
        .value_kind:     global_buffer
      - .actual_access:  read_only
        .address_space:  global
        .offset:         56
        .size:           8
        .value_kind:     global_buffer
      - .actual_access:  read_only
        .address_space:  global
        .offset:         64
        .size:           8
        .value_kind:     global_buffer
      - .actual_access:  read_only
        .address_space:  global
        .offset:         72
        .size:           8
        .value_kind:     global_buffer
      - .offset:         80
        .size:           4
        .value_kind:     by_value
      - .offset:         84
        .size:           4
        .value_kind:     by_value
      - .offset:         88
        .size:           4
        .value_kind:     by_value
      - .offset:         92
        .size:           4
        .value_kind:     by_value
      - .offset:         96
        .size:           4
        .value_kind:     by_value
      - .offset:         100
        .size:           4
        .value_kind:     by_value
      - .offset:         104
        .size:           4
        .value_kind:     by_value
      - .offset:         108
        .size:           4
        .value_kind:     by_value
      - .offset:         112
        .size:           4
        .value_kind:     by_value
      - .offset:         116
        .size:           4
        .value_kind:     by_value
      - .offset:         120
        .size:           4
        .value_kind:     by_value
      - .offset:         124
        .size:           4
        .value_kind:     by_value
      - .offset:         128
        .size:           4
        .value_kind:     by_value
      - .offset:         132
        .size:           4
        .value_kind:     by_value
      - .offset:         136
        .size:           4
        .value_kind:     by_value
      - .offset:         144
        .size:           4
        .value_kind:     hidden_block_count_x
      - .offset:         148
        .size:           4
        .value_kind:     hidden_block_count_y
      - .offset:         152
        .size:           4
        .value_kind:     hidden_block_count_z
      - .offset:         156
        .size:           2
        .value_kind:     hidden_group_size_x
      - .offset:         158
        .size:           2
        .value_kind:     hidden_group_size_y
      - .offset:         160
        .size:           2
        .value_kind:     hidden_group_size_z
      - .offset:         162
        .size:           2
        .value_kind:     hidden_remainder_x
      - .offset:         164
        .size:           2
        .value_kind:     hidden_remainder_y
      - .offset:         166
        .size:           2
        .value_kind:     hidden_remainder_z
      - .offset:         184
        .size:           8
        .value_kind:     hidden_global_offset_x
      - .offset:         192
        .size:           8
        .value_kind:     hidden_global_offset_y
      - .offset:         200
        .size:           8
        .value_kind:     hidden_global_offset_z
      - .offset:         208
        .size:           2
        .value_kind:     hidden_grid_dims
    .group_segment_fixed_size: 16
    .kernarg_segment_align: 8
    .kernarg_segment_size: 400
    .language:       OpenCL C
    .language_version:
      - 2
      - 0
    .max_flat_workgroup_size: 1024
    .name:           _ZN5aiter35fused_qk_rmsnorm_group_quant_kernelIDF16_DB8_Li128ELi16ELi2ELb0ELb1ELb0ELb0ELb0ELb0EEEvPT0_PvPT_S6_S6_PKS5_S8_S8_S8_S8_ffiiiiiiiiiiiii
    .private_segment_fixed_size: 0
    .sgpr_count:     40
    .sgpr_spill_count: 0
    .symbol:         _ZN5aiter35fused_qk_rmsnorm_group_quant_kernelIDF16_DB8_Li128ELi16ELi2ELb0ELb1ELb0ELb0ELb0ELb0EEEvPT0_PvPT_S6_S6_PKS5_S8_S8_S8_S8_ffiiiiiiiiiiiii.kd
    .uniform_work_group_size: 1
    .uses_dynamic_stack: false
    .vgpr_count:     38
    .vgpr_spill_count: 0
    .wavefront_size: 64
  - .agpr_count:     0
    .args:
      - .actual_access:  write_only
        .address_space:  global
        .offset:         0
        .size:           8
        .value_kind:     global_buffer
      - .actual_access:  write_only
        .address_space:  global
        .offset:         8
        .size:           8
        .value_kind:     global_buffer
      - .actual_access:  write_only
        .address_space:  global
        .offset:         16
        .size:           8
        .value_kind:     global_buffer
      - .actual_access:  write_only
        .address_space:  global
        .offset:         24
        .size:           8
        .value_kind:     global_buffer
      - .actual_access:  read_only
        .address_space:  global
        .offset:         32
        .size:           8
        .value_kind:     global_buffer
      - .actual_access:  read_only
        .address_space:  global
        .offset:         40
        .size:           8
        .value_kind:     global_buffer
      - .actual_access:  read_only
        .address_space:  global
        .offset:         48
        .size:           8
        .value_kind:     global_buffer
      - .actual_access:  read_only
        .address_space:  global
        .offset:         56
        .size:           8
        .value_kind:     global_buffer
      - .actual_access:  read_only
        .address_space:  global
        .offset:         64
        .size:           8
        .value_kind:     global_buffer
      - .actual_access:  read_only
        .address_space:  global
        .offset:         72
        .size:           8
        .value_kind:     global_buffer
      - .offset:         80
        .size:           4
        .value_kind:     by_value
      - .offset:         84
        .size:           4
        .value_kind:     by_value
      - .offset:         88
        .size:           4
        .value_kind:     by_value
      - .offset:         92
        .size:           4
        .value_kind:     by_value
      - .offset:         96
        .size:           4
        .value_kind:     by_value
      - .offset:         100
        .size:           4
        .value_kind:     by_value
      - .offset:         104
        .size:           4
        .value_kind:     by_value
      - .offset:         108
        .size:           4
        .value_kind:     by_value
      - .offset:         112
        .size:           4
        .value_kind:     by_value
      - .offset:         116
        .size:           4
        .value_kind:     by_value
      - .offset:         120
        .size:           4
        .value_kind:     by_value
      - .offset:         124
        .size:           4
        .value_kind:     by_value
      - .offset:         128
        .size:           4
        .value_kind:     by_value
      - .offset:         132
        .size:           4
        .value_kind:     by_value
      - .offset:         136
        .size:           4
        .value_kind:     by_value
      - .offset:         144
        .size:           4
        .value_kind:     hidden_block_count_x
      - .offset:         148
        .size:           4
        .value_kind:     hidden_block_count_y
      - .offset:         152
        .size:           4
        .value_kind:     hidden_block_count_z
      - .offset:         156
        .size:           2
        .value_kind:     hidden_group_size_x
      - .offset:         158
        .size:           2
        .value_kind:     hidden_group_size_y
      - .offset:         160
        .size:           2
        .value_kind:     hidden_group_size_z
      - .offset:         162
        .size:           2
        .value_kind:     hidden_remainder_x
      - .offset:         164
        .size:           2
        .value_kind:     hidden_remainder_y
      - .offset:         166
        .size:           2
        .value_kind:     hidden_remainder_z
      - .offset:         184
        .size:           8
        .value_kind:     hidden_global_offset_x
      - .offset:         192
        .size:           8
        .value_kind:     hidden_global_offset_y
      - .offset:         200
        .size:           8
        .value_kind:     hidden_global_offset_z
      - .offset:         208
        .size:           2
        .value_kind:     hidden_grid_dims
    .group_segment_fixed_size: 16
    .kernarg_segment_align: 8
    .kernarg_segment_size: 400
    .language:       OpenCL C
    .language_version:
      - 2
      - 0
    .max_flat_workgroup_size: 1024
    .name:           _ZN5aiter35fused_qk_rmsnorm_group_quant_kernelItDB8_Li128ELi16ELi2ELb0ELb1ELb0ELb0ELb0ELb0EEEvPT0_PvPT_S6_S6_PKS5_S8_S8_S8_S8_ffiiiiiiiiiiiii
    .private_segment_fixed_size: 0
    .sgpr_count:     40
    .sgpr_spill_count: 0
    .symbol:         _ZN5aiter35fused_qk_rmsnorm_group_quant_kernelItDB8_Li128ELi16ELi2ELb0ELb1ELb0ELb0ELb0ELb0EEEvPT0_PvPT_S6_S6_PKS5_S8_S8_S8_S8_ffiiiiiiiiiiiii.kd
    .uniform_work_group_size: 1
    .uses_dynamic_stack: false
    .vgpr_count:     38
    .vgpr_spill_count: 0
    .wavefront_size: 64
  - .agpr_count:     0
    .args:
      - .actual_access:  write_only
        .address_space:  global
        .offset:         0
        .size:           8
        .value_kind:     global_buffer
      - .actual_access:  write_only
        .address_space:  global
        .offset:         8
        .size:           8
        .value_kind:     global_buffer
      - .actual_access:  write_only
        .address_space:  global
        .offset:         16
        .size:           8
        .value_kind:     global_buffer
      - .actual_access:  write_only
        .address_space:  global
        .offset:         24
        .size:           8
        .value_kind:     global_buffer
      - .actual_access:  read_only
        .address_space:  global
        .offset:         32
        .size:           8
        .value_kind:     global_buffer
      - .actual_access:  read_only
        .address_space:  global
        .offset:         40
        .size:           8
        .value_kind:     global_buffer
      - .actual_access:  read_only
        .address_space:  global
        .offset:         48
        .size:           8
        .value_kind:     global_buffer
      - .actual_access:  read_only
        .address_space:  global
        .offset:         56
        .size:           8
        .value_kind:     global_buffer
      - .actual_access:  read_only
        .address_space:  global
        .offset:         64
        .size:           8
        .value_kind:     global_buffer
      - .actual_access:  read_only
        .address_space:  global
        .offset:         72
        .size:           8
        .value_kind:     global_buffer
      - .offset:         80
        .size:           4
        .value_kind:     by_value
      - .offset:         84
        .size:           4
        .value_kind:     by_value
      - .offset:         88
        .size:           4
        .value_kind:     by_value
      - .offset:         92
        .size:           4
        .value_kind:     by_value
      - .offset:         96
        .size:           4
        .value_kind:     by_value
      - .offset:         100
        .size:           4
        .value_kind:     by_value
      - .offset:         104
        .size:           4
        .value_kind:     by_value
      - .offset:         108
        .size:           4
        .value_kind:     by_value
      - .offset:         112
        .size:           4
        .value_kind:     by_value
      - .offset:         116
        .size:           4
        .value_kind:     by_value
      - .offset:         120
        .size:           4
        .value_kind:     by_value
      - .offset:         124
        .size:           4
        .value_kind:     by_value
      - .offset:         128
        .size:           4
        .value_kind:     by_value
      - .offset:         132
        .size:           4
        .value_kind:     by_value
      - .offset:         136
        .size:           4
        .value_kind:     by_value
      - .offset:         144
        .size:           4
        .value_kind:     hidden_block_count_x
      - .offset:         148
        .size:           4
        .value_kind:     hidden_block_count_y
      - .offset:         152
        .size:           4
        .value_kind:     hidden_block_count_z
      - .offset:         156
        .size:           2
        .value_kind:     hidden_group_size_x
      - .offset:         158
        .size:           2
        .value_kind:     hidden_group_size_y
      - .offset:         160
        .size:           2
        .value_kind:     hidden_group_size_z
      - .offset:         162
        .size:           2
        .value_kind:     hidden_remainder_x
      - .offset:         164
        .size:           2
        .value_kind:     hidden_remainder_y
      - .offset:         166
        .size:           2
        .value_kind:     hidden_remainder_z
      - .offset:         184
        .size:           8
        .value_kind:     hidden_global_offset_x
      - .offset:         192
        .size:           8
        .value_kind:     hidden_global_offset_y
      - .offset:         200
        .size:           8
        .value_kind:     hidden_global_offset_z
      - .offset:         208
        .size:           2
        .value_kind:     hidden_grid_dims
    .group_segment_fixed_size: 16
    .kernarg_segment_align: 8
    .kernarg_segment_size: 400
    .language:       OpenCL C
    .language_version:
      - 2
      - 0
    .max_flat_workgroup_size: 1024
    .name:           _ZN5aiter35fused_qk_rmsnorm_group_quant_kernelIDF16_N4opus5fp4_tELi128ELi16ELi2ELb0ELb1ELb0ELb0ELb0ELb0EEEvPT0_PvPT_S7_S7_PKS6_S9_S9_S9_S9_ffiiiiiiiiiiiii
    .private_segment_fixed_size: 0
    .sgpr_count:     40
    .sgpr_spill_count: 0
    .symbol:         _ZN5aiter35fused_qk_rmsnorm_group_quant_kernelIDF16_N4opus5fp4_tELi128ELi16ELi2ELb0ELb1ELb0ELb0ELb0ELb0EEEvPT0_PvPT_S7_S7_PKS6_S9_S9_S9_S9_ffiiiiiiiiiiiii.kd
    .uniform_work_group_size: 1
    .uses_dynamic_stack: false
    .vgpr_count:     36
    .vgpr_spill_count: 0
    .wavefront_size: 64
  - .agpr_count:     0
    .args:
      - .actual_access:  write_only
        .address_space:  global
        .offset:         0
        .size:           8
        .value_kind:     global_buffer
      - .actual_access:  write_only
        .address_space:  global
        .offset:         8
        .size:           8
        .value_kind:     global_buffer
      - .actual_access:  write_only
        .address_space:  global
        .offset:         16
        .size:           8
        .value_kind:     global_buffer
      - .actual_access:  write_only
        .address_space:  global
        .offset:         24
        .size:           8
        .value_kind:     global_buffer
      - .actual_access:  read_only
        .address_space:  global
        .offset:         32
        .size:           8
        .value_kind:     global_buffer
      - .actual_access:  read_only
        .address_space:  global
        .offset:         40
        .size:           8
        .value_kind:     global_buffer
      - .actual_access:  read_only
        .address_space:  global
        .offset:         48
        .size:           8
        .value_kind:     global_buffer
      - .actual_access:  read_only
        .address_space:  global
        .offset:         56
        .size:           8
        .value_kind:     global_buffer
      - .actual_access:  read_only
        .address_space:  global
        .offset:         64
        .size:           8
        .value_kind:     global_buffer
      - .actual_access:  read_only
        .address_space:  global
        .offset:         72
        .size:           8
        .value_kind:     global_buffer
      - .offset:         80
        .size:           4
        .value_kind:     by_value
      - .offset:         84
        .size:           4
        .value_kind:     by_value
      - .offset:         88
        .size:           4
        .value_kind:     by_value
      - .offset:         92
        .size:           4
        .value_kind:     by_value
      - .offset:         96
        .size:           4
        .value_kind:     by_value
      - .offset:         100
        .size:           4
        .value_kind:     by_value
      - .offset:         104
        .size:           4
        .value_kind:     by_value
      - .offset:         108
        .size:           4
        .value_kind:     by_value
      - .offset:         112
        .size:           4
        .value_kind:     by_value
      - .offset:         116
        .size:           4
        .value_kind:     by_value
      - .offset:         120
        .size:           4
        .value_kind:     by_value
      - .offset:         124
        .size:           4
        .value_kind:     by_value
      - .offset:         128
        .size:           4
        .value_kind:     by_value
      - .offset:         132
        .size:           4
        .value_kind:     by_value
      - .offset:         136
        .size:           4
        .value_kind:     by_value
      - .offset:         144
        .size:           4
        .value_kind:     hidden_block_count_x
      - .offset:         148
        .size:           4
        .value_kind:     hidden_block_count_y
      - .offset:         152
        .size:           4
        .value_kind:     hidden_block_count_z
      - .offset:         156
        .size:           2
        .value_kind:     hidden_group_size_x
      - .offset:         158
        .size:           2
        .value_kind:     hidden_group_size_y
      - .offset:         160
        .size:           2
        .value_kind:     hidden_group_size_z
      - .offset:         162
        .size:           2
        .value_kind:     hidden_remainder_x
      - .offset:         164
        .size:           2
        .value_kind:     hidden_remainder_y
      - .offset:         166
        .size:           2
        .value_kind:     hidden_remainder_z
      - .offset:         184
        .size:           8
        .value_kind:     hidden_global_offset_x
      - .offset:         192
        .size:           8
        .value_kind:     hidden_global_offset_y
      - .offset:         200
        .size:           8
        .value_kind:     hidden_global_offset_z
      - .offset:         208
        .size:           2
        .value_kind:     hidden_grid_dims
    .group_segment_fixed_size: 16
    .kernarg_segment_align: 8
    .kernarg_segment_size: 400
    .language:       OpenCL C
    .language_version:
      - 2
      - 0
    .max_flat_workgroup_size: 1024
    .name:           _ZN5aiter35fused_qk_rmsnorm_group_quant_kernelItN4opus5fp4_tELi128ELi16ELi2ELb0ELb1ELb0ELb0ELb0ELb0EEEvPT0_PvPT_S7_S7_PKS6_S9_S9_S9_S9_ffiiiiiiiiiiiii
    .private_segment_fixed_size: 0
    .sgpr_count:     40
    .sgpr_spill_count: 0
    .symbol:         _ZN5aiter35fused_qk_rmsnorm_group_quant_kernelItN4opus5fp4_tELi128ELi16ELi2ELb0ELb1ELb0ELb0ELb0ELb0EEEvPT0_PvPT_S7_S7_PKS6_S9_S9_S9_S9_ffiiiiiiiiiiiii.kd
    .uniform_work_group_size: 1
    .uses_dynamic_stack: false
    .vgpr_count:     36
    .vgpr_spill_count: 0
    .wavefront_size: 64
  - .agpr_count:     0
    .args:
      - .actual_access:  write_only
        .address_space:  global
        .offset:         0
        .size:           8
        .value_kind:     global_buffer
      - .actual_access:  write_only
        .address_space:  global
        .offset:         8
        .size:           8
        .value_kind:     global_buffer
      - .actual_access:  read_only
        .address_space:  global
        .offset:         16
        .size:           8
        .value_kind:     global_buffer
      - .actual_access:  write_only
        .address_space:  global
        .offset:         24
        .size:           8
        .value_kind:     global_buffer
      - .actual_access:  read_only
        .address_space:  global
        .offset:         32
        .size:           8
        .value_kind:     global_buffer
      - .actual_access:  read_only
        .address_space:  global
        .offset:         40
        .size:           8
        .value_kind:     global_buffer
      - .actual_access:  read_only
        .address_space:  global
        .offset:         48
        .size:           8
        .value_kind:     global_buffer
      - .actual_access:  read_only
        .address_space:  global
        .offset:         56
        .size:           8
        .value_kind:     global_buffer
      - .actual_access:  read_only
        .address_space:  global
        .offset:         64
        .size:           8
        .value_kind:     global_buffer
      - .actual_access:  read_only
        .address_space:  global
        .offset:         72
        .size:           8
        .value_kind:     global_buffer
      - .offset:         80
        .size:           4
        .value_kind:     by_value
      - .offset:         84
        .size:           4
        .value_kind:     by_value
      - .offset:         88
        .size:           4
        .value_kind:     by_value
      - .offset:         92
        .size:           4
        .value_kind:     by_value
      - .offset:         96
        .size:           4
        .value_kind:     by_value
      - .offset:         100
        .size:           4
        .value_kind:     by_value
      - .offset:         104
        .size:           4
        .value_kind:     by_value
      - .offset:         108
        .size:           4
        .value_kind:     by_value
      - .offset:         112
        .size:           4
        .value_kind:     by_value
      - .offset:         116
        .size:           4
        .value_kind:     by_value
      - .offset:         120
        .size:           4
        .value_kind:     by_value
      - .offset:         124
        .size:           4
        .value_kind:     by_value
      - .offset:         128
        .size:           4
        .value_kind:     by_value
      - .offset:         132
        .size:           4
        .value_kind:     by_value
      - .offset:         136
        .size:           4
        .value_kind:     by_value
      - .offset:         144
        .size:           4
        .value_kind:     hidden_block_count_x
      - .offset:         148
        .size:           4
        .value_kind:     hidden_block_count_y
      - .offset:         152
        .size:           4
        .value_kind:     hidden_block_count_z
      - .offset:         156
        .size:           2
        .value_kind:     hidden_group_size_x
      - .offset:         158
        .size:           2
        .value_kind:     hidden_group_size_y
      - .offset:         160
        .size:           2
        .value_kind:     hidden_group_size_z
      - .offset:         162
        .size:           2
        .value_kind:     hidden_remainder_x
      - .offset:         164
        .size:           2
        .value_kind:     hidden_remainder_y
      - .offset:         166
        .size:           2
        .value_kind:     hidden_remainder_z
      - .offset:         184
        .size:           8
        .value_kind:     hidden_global_offset_x
      - .offset:         192
        .size:           8
        .value_kind:     hidden_global_offset_y
      - .offset:         200
        .size:           8
        .value_kind:     hidden_global_offset_z
      - .offset:         208
        .size:           2
        .value_kind:     hidden_grid_dims
    .group_segment_fixed_size: 16
    .kernarg_segment_align: 8
    .kernarg_segment_size: 400
    .language:       OpenCL C
    .language_version:
      - 2
      - 0
    .max_flat_workgroup_size: 1024
    .name:           _ZN5aiter35fused_qk_rmsnorm_group_quant_kernelIDF16_DB8_Li128ELi16ELi2ELb0ELb0ELb1ELb0ELb0ELb0EEEvPT0_PvPT_S6_S6_PKS5_S8_S8_S8_S8_ffiiiiiiiiiiiii
    .private_segment_fixed_size: 0
    .sgpr_count:     36
    .sgpr_spill_count: 0
    .symbol:         _ZN5aiter35fused_qk_rmsnorm_group_quant_kernelIDF16_DB8_Li128ELi16ELi2ELb0ELb0ELb1ELb0ELb0ELb0EEEvPT0_PvPT_S6_S6_PKS5_S8_S8_S8_S8_ffiiiiiiiiiiiii.kd
    .uniform_work_group_size: 1
    .uses_dynamic_stack: false
    .vgpr_count:     36
    .vgpr_spill_count: 0
    .wavefront_size: 64
  - .agpr_count:     0
    .args:
      - .actual_access:  write_only
        .address_space:  global
        .offset:         0
        .size:           8
        .value_kind:     global_buffer
      - .actual_access:  write_only
        .address_space:  global
        .offset:         8
        .size:           8
        .value_kind:     global_buffer
      - .actual_access:  read_only
        .address_space:  global
        .offset:         16
        .size:           8
        .value_kind:     global_buffer
      - .actual_access:  write_only
        .address_space:  global
        .offset:         24
        .size:           8
        .value_kind:     global_buffer
      - .actual_access:  read_only
        .address_space:  global
        .offset:         32
        .size:           8
        .value_kind:     global_buffer
      - .actual_access:  read_only
        .address_space:  global
        .offset:         40
        .size:           8
        .value_kind:     global_buffer
      - .actual_access:  read_only
        .address_space:  global
        .offset:         48
        .size:           8
        .value_kind:     global_buffer
      - .actual_access:  read_only
        .address_space:  global
        .offset:         56
        .size:           8
        .value_kind:     global_buffer
      - .actual_access:  read_only
        .address_space:  global
        .offset:         64
        .size:           8
        .value_kind:     global_buffer
      - .actual_access:  read_only
        .address_space:  global
        .offset:         72
        .size:           8
        .value_kind:     global_buffer
      - .offset:         80
        .size:           4
        .value_kind:     by_value
      - .offset:         84
        .size:           4
        .value_kind:     by_value
      - .offset:         88
        .size:           4
        .value_kind:     by_value
      - .offset:         92
        .size:           4
        .value_kind:     by_value
      - .offset:         96
        .size:           4
        .value_kind:     by_value
      - .offset:         100
        .size:           4
        .value_kind:     by_value
      - .offset:         104
        .size:           4
        .value_kind:     by_value
      - .offset:         108
        .size:           4
        .value_kind:     by_value
      - .offset:         112
        .size:           4
        .value_kind:     by_value
      - .offset:         116
        .size:           4
        .value_kind:     by_value
      - .offset:         120
        .size:           4
        .value_kind:     by_value
      - .offset:         124
        .size:           4
        .value_kind:     by_value
      - .offset:         128
        .size:           4
        .value_kind:     by_value
      - .offset:         132
        .size:           4
        .value_kind:     by_value
      - .offset:         136
        .size:           4
        .value_kind:     by_value
      - .offset:         144
        .size:           4
        .value_kind:     hidden_block_count_x
      - .offset:         148
        .size:           4
        .value_kind:     hidden_block_count_y
      - .offset:         152
        .size:           4
        .value_kind:     hidden_block_count_z
      - .offset:         156
        .size:           2
        .value_kind:     hidden_group_size_x
      - .offset:         158
        .size:           2
        .value_kind:     hidden_group_size_y
      - .offset:         160
        .size:           2
        .value_kind:     hidden_group_size_z
      - .offset:         162
        .size:           2
        .value_kind:     hidden_remainder_x
      - .offset:         164
        .size:           2
        .value_kind:     hidden_remainder_y
      - .offset:         166
        .size:           2
        .value_kind:     hidden_remainder_z
      - .offset:         184
        .size:           8
        .value_kind:     hidden_global_offset_x
      - .offset:         192
        .size:           8
        .value_kind:     hidden_global_offset_y
      - .offset:         200
        .size:           8
        .value_kind:     hidden_global_offset_z
      - .offset:         208
        .size:           2
        .value_kind:     hidden_grid_dims
    .group_segment_fixed_size: 16
    .kernarg_segment_align: 8
    .kernarg_segment_size: 400
    .language:       OpenCL C
    .language_version:
      - 2
      - 0
    .max_flat_workgroup_size: 1024
    .name:           _ZN5aiter35fused_qk_rmsnorm_group_quant_kernelItDB8_Li128ELi16ELi2ELb0ELb0ELb1ELb0ELb0ELb0EEEvPT0_PvPT_S6_S6_PKS5_S8_S8_S8_S8_ffiiiiiiiiiiiii
    .private_segment_fixed_size: 0
    .sgpr_count:     36
    .sgpr_spill_count: 0
    .symbol:         _ZN5aiter35fused_qk_rmsnorm_group_quant_kernelItDB8_Li128ELi16ELi2ELb0ELb0ELb1ELb0ELb0ELb0EEEvPT0_PvPT_S6_S6_PKS5_S8_S8_S8_S8_ffiiiiiiiiiiiii.kd
    .uniform_work_group_size: 1
    .uses_dynamic_stack: false
    .vgpr_count:     36
    .vgpr_spill_count: 0
    .wavefront_size: 64
  - .agpr_count:     0
    .args:
      - .actual_access:  write_only
        .address_space:  global
        .offset:         0
        .size:           8
        .value_kind:     global_buffer
      - .actual_access:  write_only
        .address_space:  global
        .offset:         8
        .size:           8
        .value_kind:     global_buffer
      - .actual_access:  read_only
        .address_space:  global
        .offset:         16
        .size:           8
        .value_kind:     global_buffer
      - .actual_access:  write_only
        .address_space:  global
        .offset:         24
        .size:           8
        .value_kind:     global_buffer
      - .actual_access:  read_only
        .address_space:  global
        .offset:         32
        .size:           8
        .value_kind:     global_buffer
      - .actual_access:  read_only
        .address_space:  global
        .offset:         40
        .size:           8
        .value_kind:     global_buffer
      - .actual_access:  read_only
        .address_space:  global
        .offset:         48
        .size:           8
        .value_kind:     global_buffer
      - .actual_access:  read_only
        .address_space:  global
        .offset:         56
        .size:           8
        .value_kind:     global_buffer
      - .actual_access:  read_only
        .address_space:  global
        .offset:         64
        .size:           8
        .value_kind:     global_buffer
      - .actual_access:  read_only
        .address_space:  global
        .offset:         72
        .size:           8
        .value_kind:     global_buffer
      - .offset:         80
        .size:           4
        .value_kind:     by_value
      - .offset:         84
        .size:           4
        .value_kind:     by_value
      - .offset:         88
        .size:           4
        .value_kind:     by_value
      - .offset:         92
        .size:           4
        .value_kind:     by_value
      - .offset:         96
        .size:           4
        .value_kind:     by_value
      - .offset:         100
        .size:           4
        .value_kind:     by_value
      - .offset:         104
        .size:           4
        .value_kind:     by_value
      - .offset:         108
        .size:           4
        .value_kind:     by_value
      - .offset:         112
        .size:           4
        .value_kind:     by_value
      - .offset:         116
        .size:           4
        .value_kind:     by_value
      - .offset:         120
        .size:           4
        .value_kind:     by_value
      - .offset:         124
        .size:           4
        .value_kind:     by_value
      - .offset:         128
        .size:           4
        .value_kind:     by_value
      - .offset:         132
        .size:           4
        .value_kind:     by_value
      - .offset:         136
        .size:           4
        .value_kind:     by_value
      - .offset:         144
        .size:           4
        .value_kind:     hidden_block_count_x
      - .offset:         148
        .size:           4
        .value_kind:     hidden_block_count_y
      - .offset:         152
        .size:           4
        .value_kind:     hidden_block_count_z
      - .offset:         156
        .size:           2
        .value_kind:     hidden_group_size_x
      - .offset:         158
        .size:           2
        .value_kind:     hidden_group_size_y
      - .offset:         160
        .size:           2
        .value_kind:     hidden_group_size_z
      - .offset:         162
        .size:           2
        .value_kind:     hidden_remainder_x
      - .offset:         164
        .size:           2
        .value_kind:     hidden_remainder_y
      - .offset:         166
        .size:           2
        .value_kind:     hidden_remainder_z
      - .offset:         184
        .size:           8
        .value_kind:     hidden_global_offset_x
      - .offset:         192
        .size:           8
        .value_kind:     hidden_global_offset_y
      - .offset:         200
        .size:           8
        .value_kind:     hidden_global_offset_z
      - .offset:         208
        .size:           2
        .value_kind:     hidden_grid_dims
    .group_segment_fixed_size: 16
    .kernarg_segment_align: 8
    .kernarg_segment_size: 400
    .language:       OpenCL C
    .language_version:
      - 2
      - 0
    .max_flat_workgroup_size: 1024
    .name:           _ZN5aiter35fused_qk_rmsnorm_group_quant_kernelIDF16_N4opus5fp4_tELi128ELi16ELi2ELb0ELb0ELb1ELb0ELb0ELb0EEEvPT0_PvPT_S7_S7_PKS6_S9_S9_S9_S9_ffiiiiiiiiiiiii
    .private_segment_fixed_size: 0
    .sgpr_count:     36
    .sgpr_spill_count: 0
    .symbol:         _ZN5aiter35fused_qk_rmsnorm_group_quant_kernelIDF16_N4opus5fp4_tELi128ELi16ELi2ELb0ELb0ELb1ELb0ELb0ELb0EEEvPT0_PvPT_S7_S7_PKS6_S9_S9_S9_S9_ffiiiiiiiiiiiii.kd
    .uniform_work_group_size: 1
    .uses_dynamic_stack: false
    .vgpr_count:     36
    .vgpr_spill_count: 0
    .wavefront_size: 64
  - .agpr_count:     0
    .args:
      - .actual_access:  write_only
        .address_space:  global
        .offset:         0
        .size:           8
        .value_kind:     global_buffer
      - .actual_access:  write_only
        .address_space:  global
        .offset:         8
        .size:           8
        .value_kind:     global_buffer
      - .actual_access:  read_only
        .address_space:  global
        .offset:         16
        .size:           8
        .value_kind:     global_buffer
      - .actual_access:  write_only
        .address_space:  global
        .offset:         24
        .size:           8
        .value_kind:     global_buffer
      - .actual_access:  read_only
        .address_space:  global
        .offset:         32
        .size:           8
        .value_kind:     global_buffer
      - .actual_access:  read_only
        .address_space:  global
        .offset:         40
        .size:           8
        .value_kind:     global_buffer
      - .actual_access:  read_only
        .address_space:  global
        .offset:         48
        .size:           8
        .value_kind:     global_buffer
      - .actual_access:  read_only
        .address_space:  global
        .offset:         56
        .size:           8
        .value_kind:     global_buffer
      - .actual_access:  read_only
        .address_space:  global
        .offset:         64
        .size:           8
        .value_kind:     global_buffer
      - .actual_access:  read_only
        .address_space:  global
        .offset:         72
        .size:           8
        .value_kind:     global_buffer
      - .offset:         80
        .size:           4
        .value_kind:     by_value
      - .offset:         84
        .size:           4
        .value_kind:     by_value
      - .offset:         88
        .size:           4
        .value_kind:     by_value
      - .offset:         92
        .size:           4
        .value_kind:     by_value
      - .offset:         96
        .size:           4
        .value_kind:     by_value
      - .offset:         100
        .size:           4
        .value_kind:     by_value
      - .offset:         104
        .size:           4
        .value_kind:     by_value
      - .offset:         108
        .size:           4
        .value_kind:     by_value
      - .offset:         112
        .size:           4
        .value_kind:     by_value
      - .offset:         116
        .size:           4
        .value_kind:     by_value
      - .offset:         120
        .size:           4
        .value_kind:     by_value
      - .offset:         124
        .size:           4
        .value_kind:     by_value
      - .offset:         128
        .size:           4
        .value_kind:     by_value
      - .offset:         132
        .size:           4
        .value_kind:     by_value
      - .offset:         136
        .size:           4
        .value_kind:     by_value
      - .offset:         144
        .size:           4
        .value_kind:     hidden_block_count_x
      - .offset:         148
        .size:           4
        .value_kind:     hidden_block_count_y
      - .offset:         152
        .size:           4
        .value_kind:     hidden_block_count_z
      - .offset:         156
        .size:           2
        .value_kind:     hidden_group_size_x
      - .offset:         158
        .size:           2
        .value_kind:     hidden_group_size_y
      - .offset:         160
        .size:           2
        .value_kind:     hidden_group_size_z
      - .offset:         162
        .size:           2
        .value_kind:     hidden_remainder_x
      - .offset:         164
        .size:           2
        .value_kind:     hidden_remainder_y
      - .offset:         166
        .size:           2
        .value_kind:     hidden_remainder_z
      - .offset:         184
        .size:           8
        .value_kind:     hidden_global_offset_x
      - .offset:         192
        .size:           8
        .value_kind:     hidden_global_offset_y
      - .offset:         200
        .size:           8
        .value_kind:     hidden_global_offset_z
      - .offset:         208
        .size:           2
        .value_kind:     hidden_grid_dims
    .group_segment_fixed_size: 16
    .kernarg_segment_align: 8
    .kernarg_segment_size: 400
    .language:       OpenCL C
    .language_version:
      - 2
      - 0
    .max_flat_workgroup_size: 1024
    .name:           _ZN5aiter35fused_qk_rmsnorm_group_quant_kernelItN4opus5fp4_tELi128ELi16ELi2ELb0ELb0ELb1ELb0ELb0ELb0EEEvPT0_PvPT_S7_S7_PKS6_S9_S9_S9_S9_ffiiiiiiiiiiiii
    .private_segment_fixed_size: 0
    .sgpr_count:     36
    .sgpr_spill_count: 0
    .symbol:         _ZN5aiter35fused_qk_rmsnorm_group_quant_kernelItN4opus5fp4_tELi128ELi16ELi2ELb0ELb0ELb1ELb0ELb0ELb0EEEvPT0_PvPT_S7_S7_PKS6_S9_S9_S9_S9_ffiiiiiiiiiiiii.kd
    .uniform_work_group_size: 1
    .uses_dynamic_stack: false
    .vgpr_count:     36
    .vgpr_spill_count: 0
    .wavefront_size: 64
  - .agpr_count:     0
    .args:
      - .actual_access:  write_only
        .address_space:  global
        .offset:         0
        .size:           8
        .value_kind:     global_buffer
      - .actual_access:  write_only
        .address_space:  global
        .offset:         8
        .size:           8
        .value_kind:     global_buffer
      - .actual_access:  read_only
        .address_space:  global
        .offset:         16
        .size:           8
        .value_kind:     global_buffer
      - .actual_access:  write_only
        .address_space:  global
        .offset:         24
        .size:           8
        .value_kind:     global_buffer
      - .actual_access:  read_only
        .address_space:  global
        .offset:         32
        .size:           8
        .value_kind:     global_buffer
      - .actual_access:  read_only
        .address_space:  global
        .offset:         40
        .size:           8
        .value_kind:     global_buffer
      - .actual_access:  read_only
        .address_space:  global
        .offset:         48
        .size:           8
        .value_kind:     global_buffer
      - .actual_access:  read_only
        .address_space:  global
        .offset:         56
        .size:           8
        .value_kind:     global_buffer
      - .actual_access:  read_only
        .address_space:  global
        .offset:         64
        .size:           8
        .value_kind:     global_buffer
      - .actual_access:  read_only
        .address_space:  global
        .offset:         72
        .size:           8
        .value_kind:     global_buffer
      - .offset:         80
        .size:           4
        .value_kind:     by_value
      - .offset:         84
        .size:           4
        .value_kind:     by_value
      - .offset:         88
        .size:           4
        .value_kind:     by_value
      - .offset:         92
        .size:           4
        .value_kind:     by_value
      - .offset:         96
        .size:           4
        .value_kind:     by_value
      - .offset:         100
        .size:           4
        .value_kind:     by_value
      - .offset:         104
        .size:           4
        .value_kind:     by_value
      - .offset:         108
        .size:           4
        .value_kind:     by_value
      - .offset:         112
        .size:           4
        .value_kind:     by_value
      - .offset:         116
        .size:           4
        .value_kind:     by_value
      - .offset:         120
        .size:           4
        .value_kind:     by_value
      - .offset:         124
        .size:           4
        .value_kind:     by_value
      - .offset:         128
        .size:           4
        .value_kind:     by_value
      - .offset:         132
        .size:           4
        .value_kind:     by_value
      - .offset:         136
        .size:           4
        .value_kind:     by_value
      - .offset:         144
        .size:           4
        .value_kind:     hidden_block_count_x
      - .offset:         148
        .size:           4
        .value_kind:     hidden_block_count_y
      - .offset:         152
        .size:           4
        .value_kind:     hidden_block_count_z
      - .offset:         156
        .size:           2
        .value_kind:     hidden_group_size_x
      - .offset:         158
        .size:           2
        .value_kind:     hidden_group_size_y
      - .offset:         160
        .size:           2
        .value_kind:     hidden_group_size_z
      - .offset:         162
        .size:           2
        .value_kind:     hidden_remainder_x
      - .offset:         164
        .size:           2
        .value_kind:     hidden_remainder_y
      - .offset:         166
        .size:           2
        .value_kind:     hidden_remainder_z
      - .offset:         184
        .size:           8
        .value_kind:     hidden_global_offset_x
      - .offset:         192
        .size:           8
        .value_kind:     hidden_global_offset_y
      - .offset:         200
        .size:           8
        .value_kind:     hidden_global_offset_z
      - .offset:         208
        .size:           2
        .value_kind:     hidden_grid_dims
    .group_segment_fixed_size: 16
    .kernarg_segment_align: 8
    .kernarg_segment_size: 400
    .language:       OpenCL C
    .language_version:
      - 2
      - 0
    .max_flat_workgroup_size: 1024
    .name:           _ZN5aiter35fused_qk_rmsnorm_group_quant_kernelIDF16_DB8_Li128ELi16ELi2ELb0ELb0ELb0ELb0ELb0ELb0EEEvPT0_PvPT_S6_S6_PKS5_S8_S8_S8_S8_ffiiiiiiiiiiiii
    .private_segment_fixed_size: 0
    .sgpr_count:     36
    .sgpr_spill_count: 0
    .symbol:         _ZN5aiter35fused_qk_rmsnorm_group_quant_kernelIDF16_DB8_Li128ELi16ELi2ELb0ELb0ELb0ELb0ELb0ELb0EEEvPT0_PvPT_S6_S6_PKS5_S8_S8_S8_S8_ffiiiiiiiiiiiii.kd
    .uniform_work_group_size: 1
    .uses_dynamic_stack: false
    .vgpr_count:     38
    .vgpr_spill_count: 0
    .wavefront_size: 64
  - .agpr_count:     0
    .args:
      - .actual_access:  write_only
        .address_space:  global
        .offset:         0
        .size:           8
        .value_kind:     global_buffer
      - .actual_access:  write_only
        .address_space:  global
        .offset:         8
        .size:           8
        .value_kind:     global_buffer
      - .actual_access:  read_only
        .address_space:  global
        .offset:         16
        .size:           8
        .value_kind:     global_buffer
      - .actual_access:  write_only
        .address_space:  global
        .offset:         24
        .size:           8
        .value_kind:     global_buffer
      - .actual_access:  read_only
        .address_space:  global
        .offset:         32
        .size:           8
        .value_kind:     global_buffer
      - .actual_access:  read_only
        .address_space:  global
        .offset:         40
        .size:           8
        .value_kind:     global_buffer
      - .actual_access:  read_only
        .address_space:  global
        .offset:         48
        .size:           8
        .value_kind:     global_buffer
      - .actual_access:  read_only
        .address_space:  global
        .offset:         56
        .size:           8
        .value_kind:     global_buffer
      - .actual_access:  read_only
        .address_space:  global
        .offset:         64
        .size:           8
        .value_kind:     global_buffer
      - .actual_access:  read_only
        .address_space:  global
        .offset:         72
        .size:           8
        .value_kind:     global_buffer
      - .offset:         80
        .size:           4
        .value_kind:     by_value
      - .offset:         84
        .size:           4
        .value_kind:     by_value
      - .offset:         88
        .size:           4
        .value_kind:     by_value
      - .offset:         92
        .size:           4
        .value_kind:     by_value
      - .offset:         96
        .size:           4
        .value_kind:     by_value
      - .offset:         100
        .size:           4
        .value_kind:     by_value
      - .offset:         104
        .size:           4
        .value_kind:     by_value
      - .offset:         108
        .size:           4
        .value_kind:     by_value
      - .offset:         112
        .size:           4
        .value_kind:     by_value
      - .offset:         116
        .size:           4
        .value_kind:     by_value
      - .offset:         120
        .size:           4
        .value_kind:     by_value
      - .offset:         124
        .size:           4
        .value_kind:     by_value
      - .offset:         128
        .size:           4
        .value_kind:     by_value
      - .offset:         132
        .size:           4
        .value_kind:     by_value
      - .offset:         136
        .size:           4
        .value_kind:     by_value
      - .offset:         144
        .size:           4
        .value_kind:     hidden_block_count_x
      - .offset:         148
        .size:           4
        .value_kind:     hidden_block_count_y
      - .offset:         152
        .size:           4
        .value_kind:     hidden_block_count_z
      - .offset:         156
        .size:           2
        .value_kind:     hidden_group_size_x
      - .offset:         158
        .size:           2
        .value_kind:     hidden_group_size_y
      - .offset:         160
        .size:           2
        .value_kind:     hidden_group_size_z
      - .offset:         162
        .size:           2
        .value_kind:     hidden_remainder_x
      - .offset:         164
        .size:           2
        .value_kind:     hidden_remainder_y
      - .offset:         166
        .size:           2
        .value_kind:     hidden_remainder_z
      - .offset:         184
        .size:           8
        .value_kind:     hidden_global_offset_x
      - .offset:         192
        .size:           8
        .value_kind:     hidden_global_offset_y
      - .offset:         200
        .size:           8
        .value_kind:     hidden_global_offset_z
      - .offset:         208
        .size:           2
        .value_kind:     hidden_grid_dims
    .group_segment_fixed_size: 16
    .kernarg_segment_align: 8
    .kernarg_segment_size: 400
    .language:       OpenCL C
    .language_version:
      - 2
      - 0
    .max_flat_workgroup_size: 1024
    .name:           _ZN5aiter35fused_qk_rmsnorm_group_quant_kernelItDB8_Li128ELi16ELi2ELb0ELb0ELb0ELb0ELb0ELb0EEEvPT0_PvPT_S6_S6_PKS5_S8_S8_S8_S8_ffiiiiiiiiiiiii
    .private_segment_fixed_size: 0
    .sgpr_count:     36
    .sgpr_spill_count: 0
    .symbol:         _ZN5aiter35fused_qk_rmsnorm_group_quant_kernelItDB8_Li128ELi16ELi2ELb0ELb0ELb0ELb0ELb0ELb0EEEvPT0_PvPT_S6_S6_PKS5_S8_S8_S8_S8_ffiiiiiiiiiiiii.kd
    .uniform_work_group_size: 1
    .uses_dynamic_stack: false
    .vgpr_count:     38
    .vgpr_spill_count: 0
    .wavefront_size: 64
  - .agpr_count:     0
    .args:
      - .actual_access:  write_only
        .address_space:  global
        .offset:         0
        .size:           8
        .value_kind:     global_buffer
      - .actual_access:  write_only
        .address_space:  global
        .offset:         8
        .size:           8
        .value_kind:     global_buffer
      - .actual_access:  read_only
        .address_space:  global
        .offset:         16
        .size:           8
        .value_kind:     global_buffer
      - .actual_access:  write_only
        .address_space:  global
        .offset:         24
        .size:           8
        .value_kind:     global_buffer
      - .actual_access:  read_only
        .address_space:  global
        .offset:         32
        .size:           8
        .value_kind:     global_buffer
      - .actual_access:  read_only
        .address_space:  global
        .offset:         40
        .size:           8
        .value_kind:     global_buffer
      - .actual_access:  read_only
        .address_space:  global
        .offset:         48
        .size:           8
        .value_kind:     global_buffer
      - .actual_access:  read_only
        .address_space:  global
        .offset:         56
        .size:           8
        .value_kind:     global_buffer
      - .actual_access:  read_only
        .address_space:  global
        .offset:         64
        .size:           8
        .value_kind:     global_buffer
      - .actual_access:  read_only
        .address_space:  global
        .offset:         72
        .size:           8
        .value_kind:     global_buffer
      - .offset:         80
        .size:           4
        .value_kind:     by_value
      - .offset:         84
        .size:           4
        .value_kind:     by_value
      - .offset:         88
        .size:           4
        .value_kind:     by_value
      - .offset:         92
        .size:           4
        .value_kind:     by_value
      - .offset:         96
        .size:           4
        .value_kind:     by_value
      - .offset:         100
        .size:           4
        .value_kind:     by_value
      - .offset:         104
        .size:           4
        .value_kind:     by_value
      - .offset:         108
        .size:           4
        .value_kind:     by_value
      - .offset:         112
        .size:           4
        .value_kind:     by_value
      - .offset:         116
        .size:           4
        .value_kind:     by_value
      - .offset:         120
        .size:           4
        .value_kind:     by_value
      - .offset:         124
        .size:           4
        .value_kind:     by_value
      - .offset:         128
        .size:           4
        .value_kind:     by_value
      - .offset:         132
        .size:           4
        .value_kind:     by_value
      - .offset:         136
        .size:           4
        .value_kind:     by_value
      - .offset:         144
        .size:           4
        .value_kind:     hidden_block_count_x
      - .offset:         148
        .size:           4
        .value_kind:     hidden_block_count_y
      - .offset:         152
        .size:           4
        .value_kind:     hidden_block_count_z
      - .offset:         156
        .size:           2
        .value_kind:     hidden_group_size_x
      - .offset:         158
        .size:           2
        .value_kind:     hidden_group_size_y
      - .offset:         160
        .size:           2
        .value_kind:     hidden_group_size_z
      - .offset:         162
        .size:           2
        .value_kind:     hidden_remainder_x
      - .offset:         164
        .size:           2
        .value_kind:     hidden_remainder_y
      - .offset:         166
        .size:           2
        .value_kind:     hidden_remainder_z
      - .offset:         184
        .size:           8
        .value_kind:     hidden_global_offset_x
      - .offset:         192
        .size:           8
        .value_kind:     hidden_global_offset_y
      - .offset:         200
        .size:           8
        .value_kind:     hidden_global_offset_z
      - .offset:         208
        .size:           2
        .value_kind:     hidden_grid_dims
    .group_segment_fixed_size: 16
    .kernarg_segment_align: 8
    .kernarg_segment_size: 400
    .language:       OpenCL C
    .language_version:
      - 2
      - 0
    .max_flat_workgroup_size: 1024
    .name:           _ZN5aiter35fused_qk_rmsnorm_group_quant_kernelIDF16_N4opus5fp4_tELi128ELi16ELi2ELb0ELb0ELb0ELb0ELb0ELb0EEEvPT0_PvPT_S7_S7_PKS6_S9_S9_S9_S9_ffiiiiiiiiiiiii
    .private_segment_fixed_size: 0
    .sgpr_count:     36
    .sgpr_spill_count: 0
    .symbol:         _ZN5aiter35fused_qk_rmsnorm_group_quant_kernelIDF16_N4opus5fp4_tELi128ELi16ELi2ELb0ELb0ELb0ELb0ELb0ELb0EEEvPT0_PvPT_S7_S7_PKS6_S9_S9_S9_S9_ffiiiiiiiiiiiii.kd
    .uniform_work_group_size: 1
    .uses_dynamic_stack: false
    .vgpr_count:     36
    .vgpr_spill_count: 0
    .wavefront_size: 64
  - .agpr_count:     0
    .args:
      - .actual_access:  write_only
        .address_space:  global
        .offset:         0
        .size:           8
        .value_kind:     global_buffer
      - .actual_access:  write_only
        .address_space:  global
        .offset:         8
        .size:           8
        .value_kind:     global_buffer
      - .actual_access:  read_only
        .address_space:  global
        .offset:         16
        .size:           8
        .value_kind:     global_buffer
      - .actual_access:  write_only
        .address_space:  global
        .offset:         24
        .size:           8
        .value_kind:     global_buffer
      - .actual_access:  read_only
        .address_space:  global
        .offset:         32
        .size:           8
        .value_kind:     global_buffer
      - .actual_access:  read_only
        .address_space:  global
        .offset:         40
        .size:           8
        .value_kind:     global_buffer
      - .actual_access:  read_only
        .address_space:  global
        .offset:         48
        .size:           8
        .value_kind:     global_buffer
      - .actual_access:  read_only
        .address_space:  global
        .offset:         56
        .size:           8
        .value_kind:     global_buffer
      - .actual_access:  read_only
        .address_space:  global
        .offset:         64
        .size:           8
        .value_kind:     global_buffer
      - .actual_access:  read_only
        .address_space:  global
        .offset:         72
        .size:           8
        .value_kind:     global_buffer
      - .offset:         80
        .size:           4
        .value_kind:     by_value
      - .offset:         84
        .size:           4
        .value_kind:     by_value
      - .offset:         88
        .size:           4
        .value_kind:     by_value
      - .offset:         92
        .size:           4
        .value_kind:     by_value
      - .offset:         96
        .size:           4
        .value_kind:     by_value
      - .offset:         100
        .size:           4
        .value_kind:     by_value
      - .offset:         104
        .size:           4
        .value_kind:     by_value
      - .offset:         108
        .size:           4
        .value_kind:     by_value
      - .offset:         112
        .size:           4
        .value_kind:     by_value
      - .offset:         116
        .size:           4
        .value_kind:     by_value
      - .offset:         120
        .size:           4
        .value_kind:     by_value
      - .offset:         124
        .size:           4
        .value_kind:     by_value
      - .offset:         128
        .size:           4
        .value_kind:     by_value
      - .offset:         132
        .size:           4
        .value_kind:     by_value
      - .offset:         136
        .size:           4
        .value_kind:     by_value
      - .offset:         144
        .size:           4
        .value_kind:     hidden_block_count_x
      - .offset:         148
        .size:           4
        .value_kind:     hidden_block_count_y
      - .offset:         152
        .size:           4
        .value_kind:     hidden_block_count_z
      - .offset:         156
        .size:           2
        .value_kind:     hidden_group_size_x
      - .offset:         158
        .size:           2
        .value_kind:     hidden_group_size_y
      - .offset:         160
        .size:           2
        .value_kind:     hidden_group_size_z
      - .offset:         162
        .size:           2
        .value_kind:     hidden_remainder_x
      - .offset:         164
        .size:           2
        .value_kind:     hidden_remainder_y
      - .offset:         166
        .size:           2
        .value_kind:     hidden_remainder_z
      - .offset:         184
        .size:           8
        .value_kind:     hidden_global_offset_x
      - .offset:         192
        .size:           8
        .value_kind:     hidden_global_offset_y
      - .offset:         200
        .size:           8
        .value_kind:     hidden_global_offset_z
      - .offset:         208
        .size:           2
        .value_kind:     hidden_grid_dims
    .group_segment_fixed_size: 16
    .kernarg_segment_align: 8
    .kernarg_segment_size: 400
    .language:       OpenCL C
    .language_version:
      - 2
      - 0
    .max_flat_workgroup_size: 1024
    .name:           _ZN5aiter35fused_qk_rmsnorm_group_quant_kernelItN4opus5fp4_tELi128ELi16ELi2ELb0ELb0ELb0ELb0ELb0ELb0EEEvPT0_PvPT_S7_S7_PKS6_S9_S9_S9_S9_ffiiiiiiiiiiiii
    .private_segment_fixed_size: 0
    .sgpr_count:     36
    .sgpr_spill_count: 0
    .symbol:         _ZN5aiter35fused_qk_rmsnorm_group_quant_kernelItN4opus5fp4_tELi128ELi16ELi2ELb0ELb0ELb0ELb0ELb0ELb0EEEvPT0_PvPT_S7_S7_PKS6_S9_S9_S9_S9_ffiiiiiiiiiiiii.kd
    .uniform_work_group_size: 1
    .uses_dynamic_stack: false
    .vgpr_count:     36
    .vgpr_spill_count: 0
    .wavefront_size: 64
  - .agpr_count:     0
    .args:
      - .actual_access:  read_only
        .address_space:  global
        .offset:         0
        .size:           8
        .value_kind:     global_buffer
      - .actual_access:  read_only
        .address_space:  global
        .offset:         8
        .size:           8
        .value_kind:     global_buffer
      - .actual_access:  write_only
        .address_space:  global
        .offset:         16
        .size:           8
        .value_kind:     global_buffer
      - .actual_access:  write_only
        .address_space:  global
        .offset:         24
        .size:           8
        .value_kind:     global_buffer
      - .actual_access:  write_only
        .address_space:  global
        .offset:         32
        .size:           8
        .value_kind:     global_buffer
      - .actual_access:  read_only
        .address_space:  global
        .offset:         40
        .size:           8
        .value_kind:     global_buffer
      - .actual_access:  read_only
        .address_space:  global
        .offset:         48
        .size:           8
        .value_kind:     global_buffer
      - .actual_access:  read_only
        .address_space:  global
        .offset:         56
        .size:           8
        .value_kind:     global_buffer
      - .actual_access:  read_only
        .address_space:  global
        .offset:         64
        .size:           8
        .value_kind:     global_buffer
      - .actual_access:  read_only
        .address_space:  global
        .offset:         72
        .size:           8
        .value_kind:     global_buffer
      - .offset:         80
        .size:           4
        .value_kind:     by_value
      - .offset:         84
        .size:           4
        .value_kind:     by_value
      - .offset:         88
        .size:           4
        .value_kind:     by_value
      - .offset:         92
        .size:           4
        .value_kind:     by_value
      - .offset:         96
        .size:           4
        .value_kind:     by_value
      - .offset:         100
        .size:           4
        .value_kind:     by_value
      - .offset:         104
        .size:           4
        .value_kind:     by_value
      - .offset:         108
        .size:           4
        .value_kind:     by_value
      - .offset:         112
        .size:           4
        .value_kind:     by_value
      - .offset:         116
        .size:           4
        .value_kind:     by_value
      - .offset:         120
        .size:           4
        .value_kind:     by_value
      - .offset:         124
        .size:           4
        .value_kind:     by_value
      - .offset:         128
        .size:           4
        .value_kind:     by_value
      - .offset:         132
        .size:           4
        .value_kind:     by_value
      - .offset:         136
        .size:           4
        .value_kind:     by_value
      - .offset:         144
        .size:           4
        .value_kind:     hidden_block_count_x
      - .offset:         148
        .size:           4
        .value_kind:     hidden_block_count_y
      - .offset:         152
        .size:           4
        .value_kind:     hidden_block_count_z
      - .offset:         156
        .size:           2
        .value_kind:     hidden_group_size_x
      - .offset:         158
        .size:           2
        .value_kind:     hidden_group_size_y
      - .offset:         160
        .size:           2
        .value_kind:     hidden_group_size_z
      - .offset:         162
        .size:           2
        .value_kind:     hidden_remainder_x
      - .offset:         164
        .size:           2
        .value_kind:     hidden_remainder_y
      - .offset:         166
        .size:           2
        .value_kind:     hidden_remainder_z
      - .offset:         184
        .size:           8
        .value_kind:     hidden_global_offset_x
      - .offset:         192
        .size:           8
        .value_kind:     hidden_global_offset_y
      - .offset:         200
        .size:           8
        .value_kind:     hidden_global_offset_z
      - .offset:         208
        .size:           2
        .value_kind:     hidden_grid_dims
    .group_segment_fixed_size: 32
    .kernarg_segment_align: 8
    .kernarg_segment_size: 400
    .language:       OpenCL C
    .language_version:
      - 2
      - 0
    .max_flat_workgroup_size: 1024
    .name:           _ZN5aiter35fused_qk_rmsnorm_group_quant_kernelIDF16_DB8_Li256ELi16ELi8ELb1ELb1ELb1ELb1ELb0ELb0EEEvPT0_PvPT_S6_S6_PKS5_S8_S8_S8_S8_ffiiiiiiiiiiiii
    .private_segment_fixed_size: 0
    .sgpr_count:     36
    .sgpr_spill_count: 0
    .symbol:         _ZN5aiter35fused_qk_rmsnorm_group_quant_kernelIDF16_DB8_Li256ELi16ELi8ELb1ELb1ELb1ELb1ELb0ELb0EEEvPT0_PvPT_S6_S6_PKS5_S8_S8_S8_S8_ffiiiiiiiiiiiii.kd
    .uniform_work_group_size: 1
    .uses_dynamic_stack: false
    .vgpr_count:     49
    .vgpr_spill_count: 0
    .wavefront_size: 64
  - .agpr_count:     0
    .args:
      - .actual_access:  read_only
        .address_space:  global
        .offset:         0
        .size:           8
        .value_kind:     global_buffer
      - .actual_access:  read_only
        .address_space:  global
        .offset:         8
        .size:           8
        .value_kind:     global_buffer
      - .actual_access:  write_only
        .address_space:  global
        .offset:         16
        .size:           8
        .value_kind:     global_buffer
      - .actual_access:  write_only
        .address_space:  global
        .offset:         24
        .size:           8
        .value_kind:     global_buffer
      - .actual_access:  write_only
        .address_space:  global
        .offset:         32
        .size:           8
        .value_kind:     global_buffer
      - .actual_access:  read_only
        .address_space:  global
        .offset:         40
        .size:           8
        .value_kind:     global_buffer
      - .actual_access:  read_only
        .address_space:  global
        .offset:         48
        .size:           8
        .value_kind:     global_buffer
      - .actual_access:  read_only
        .address_space:  global
        .offset:         56
        .size:           8
        .value_kind:     global_buffer
      - .actual_access:  read_only
        .address_space:  global
        .offset:         64
        .size:           8
        .value_kind:     global_buffer
      - .actual_access:  read_only
        .address_space:  global
        .offset:         72
        .size:           8
        .value_kind:     global_buffer
      - .offset:         80
        .size:           4
        .value_kind:     by_value
      - .offset:         84
        .size:           4
        .value_kind:     by_value
      - .offset:         88
        .size:           4
        .value_kind:     by_value
      - .offset:         92
        .size:           4
        .value_kind:     by_value
      - .offset:         96
        .size:           4
        .value_kind:     by_value
      - .offset:         100
        .size:           4
        .value_kind:     by_value
      - .offset:         104
        .size:           4
        .value_kind:     by_value
      - .offset:         108
        .size:           4
        .value_kind:     by_value
      - .offset:         112
        .size:           4
        .value_kind:     by_value
      - .offset:         116
        .size:           4
        .value_kind:     by_value
      - .offset:         120
        .size:           4
        .value_kind:     by_value
      - .offset:         124
        .size:           4
        .value_kind:     by_value
      - .offset:         128
        .size:           4
        .value_kind:     by_value
      - .offset:         132
        .size:           4
        .value_kind:     by_value
      - .offset:         136
        .size:           4
        .value_kind:     by_value
      - .offset:         144
        .size:           4
        .value_kind:     hidden_block_count_x
      - .offset:         148
        .size:           4
        .value_kind:     hidden_block_count_y
      - .offset:         152
        .size:           4
        .value_kind:     hidden_block_count_z
      - .offset:         156
        .size:           2
        .value_kind:     hidden_group_size_x
      - .offset:         158
        .size:           2
        .value_kind:     hidden_group_size_y
      - .offset:         160
        .size:           2
        .value_kind:     hidden_group_size_z
      - .offset:         162
        .size:           2
        .value_kind:     hidden_remainder_x
      - .offset:         164
        .size:           2
        .value_kind:     hidden_remainder_y
      - .offset:         166
        .size:           2
        .value_kind:     hidden_remainder_z
      - .offset:         184
        .size:           8
        .value_kind:     hidden_global_offset_x
      - .offset:         192
        .size:           8
        .value_kind:     hidden_global_offset_y
      - .offset:         200
        .size:           8
        .value_kind:     hidden_global_offset_z
      - .offset:         208
        .size:           2
        .value_kind:     hidden_grid_dims
    .group_segment_fixed_size: 32
    .kernarg_segment_align: 8
    .kernarg_segment_size: 400
    .language:       OpenCL C
    .language_version:
      - 2
      - 0
    .max_flat_workgroup_size: 1024
    .name:           _ZN5aiter35fused_qk_rmsnorm_group_quant_kernelItDB8_Li256ELi16ELi8ELb1ELb1ELb1ELb1ELb0ELb0EEEvPT0_PvPT_S6_S6_PKS5_S8_S8_S8_S8_ffiiiiiiiiiiiii
    .private_segment_fixed_size: 0
    .sgpr_count:     36
    .sgpr_spill_count: 0
    .symbol:         _ZN5aiter35fused_qk_rmsnorm_group_quant_kernelItDB8_Li256ELi16ELi8ELb1ELb1ELb1ELb1ELb0ELb0EEEvPT0_PvPT_S6_S6_PKS5_S8_S8_S8_S8_ffiiiiiiiiiiiii.kd
    .uniform_work_group_size: 1
    .uses_dynamic_stack: false
    .vgpr_count:     76
    .vgpr_spill_count: 0
    .wavefront_size: 64
  - .agpr_count:     0
    .args:
      - .actual_access:  read_only
        .address_space:  global
        .offset:         0
        .size:           8
        .value_kind:     global_buffer
      - .actual_access:  read_only
        .address_space:  global
        .offset:         8
        .size:           8
        .value_kind:     global_buffer
      - .actual_access:  write_only
        .address_space:  global
        .offset:         16
        .size:           8
        .value_kind:     global_buffer
      - .actual_access:  write_only
        .address_space:  global
        .offset:         24
        .size:           8
        .value_kind:     global_buffer
      - .actual_access:  write_only
        .address_space:  global
        .offset:         32
        .size:           8
        .value_kind:     global_buffer
      - .actual_access:  read_only
        .address_space:  global
        .offset:         40
        .size:           8
        .value_kind:     global_buffer
      - .actual_access:  read_only
        .address_space:  global
        .offset:         48
        .size:           8
        .value_kind:     global_buffer
      - .actual_access:  read_only
        .address_space:  global
        .offset:         56
        .size:           8
        .value_kind:     global_buffer
      - .actual_access:  read_only
        .address_space:  global
        .offset:         64
        .size:           8
        .value_kind:     global_buffer
      - .actual_access:  read_only
        .address_space:  global
        .offset:         72
        .size:           8
        .value_kind:     global_buffer
      - .offset:         80
        .size:           4
        .value_kind:     by_value
      - .offset:         84
        .size:           4
        .value_kind:     by_value
      - .offset:         88
        .size:           4
        .value_kind:     by_value
      - .offset:         92
        .size:           4
        .value_kind:     by_value
      - .offset:         96
        .size:           4
        .value_kind:     by_value
      - .offset:         100
        .size:           4
        .value_kind:     by_value
      - .offset:         104
        .size:           4
        .value_kind:     by_value
      - .offset:         108
        .size:           4
        .value_kind:     by_value
      - .offset:         112
        .size:           4
        .value_kind:     by_value
      - .offset:         116
        .size:           4
        .value_kind:     by_value
      - .offset:         120
        .size:           4
        .value_kind:     by_value
      - .offset:         124
        .size:           4
        .value_kind:     by_value
      - .offset:         128
        .size:           4
        .value_kind:     by_value
      - .offset:         132
        .size:           4
        .value_kind:     by_value
      - .offset:         136
        .size:           4
        .value_kind:     by_value
      - .offset:         144
        .size:           4
        .value_kind:     hidden_block_count_x
      - .offset:         148
        .size:           4
        .value_kind:     hidden_block_count_y
      - .offset:         152
        .size:           4
        .value_kind:     hidden_block_count_z
      - .offset:         156
        .size:           2
        .value_kind:     hidden_group_size_x
      - .offset:         158
        .size:           2
        .value_kind:     hidden_group_size_y
      - .offset:         160
        .size:           2
        .value_kind:     hidden_group_size_z
      - .offset:         162
        .size:           2
        .value_kind:     hidden_remainder_x
      - .offset:         164
        .size:           2
        .value_kind:     hidden_remainder_y
      - .offset:         166
        .size:           2
        .value_kind:     hidden_remainder_z
      - .offset:         184
        .size:           8
        .value_kind:     hidden_global_offset_x
      - .offset:         192
        .size:           8
        .value_kind:     hidden_global_offset_y
      - .offset:         200
        .size:           8
        .value_kind:     hidden_global_offset_z
      - .offset:         208
        .size:           2
        .value_kind:     hidden_grid_dims
    .group_segment_fixed_size: 32
    .kernarg_segment_align: 8
    .kernarg_segment_size: 400
    .language:       OpenCL C
    .language_version:
      - 2
      - 0
    .max_flat_workgroup_size: 1024
    .name:           _ZN5aiter35fused_qk_rmsnorm_group_quant_kernelIDF16_N4opus5fp4_tELi256ELi16ELi8ELb1ELb1ELb1ELb1ELb0ELb0EEEvPT0_PvPT_S7_S7_PKS6_S9_S9_S9_S9_ffiiiiiiiiiiiii
    .private_segment_fixed_size: 0
    .sgpr_count:     36
    .sgpr_spill_count: 0
    .symbol:         _ZN5aiter35fused_qk_rmsnorm_group_quant_kernelIDF16_N4opus5fp4_tELi256ELi16ELi8ELb1ELb1ELb1ELb1ELb0ELb0EEEvPT0_PvPT_S7_S7_PKS6_S9_S9_S9_S9_ffiiiiiiiiiiiii.kd
    .uniform_work_group_size: 1
    .uses_dynamic_stack: false
    .vgpr_count:     49
    .vgpr_spill_count: 0
    .wavefront_size: 64
  - .agpr_count:     0
    .args:
      - .actual_access:  read_only
        .address_space:  global
        .offset:         0
        .size:           8
        .value_kind:     global_buffer
      - .actual_access:  read_only
        .address_space:  global
        .offset:         8
        .size:           8
        .value_kind:     global_buffer
      - .actual_access:  write_only
        .address_space:  global
        .offset:         16
        .size:           8
        .value_kind:     global_buffer
      - .actual_access:  write_only
        .address_space:  global
        .offset:         24
        .size:           8
        .value_kind:     global_buffer
      - .actual_access:  write_only
        .address_space:  global
        .offset:         32
        .size:           8
        .value_kind:     global_buffer
      - .actual_access:  read_only
        .address_space:  global
        .offset:         40
        .size:           8
        .value_kind:     global_buffer
      - .actual_access:  read_only
        .address_space:  global
        .offset:         48
        .size:           8
        .value_kind:     global_buffer
      - .actual_access:  read_only
        .address_space:  global
        .offset:         56
        .size:           8
        .value_kind:     global_buffer
      - .actual_access:  read_only
        .address_space:  global
        .offset:         64
        .size:           8
        .value_kind:     global_buffer
      - .actual_access:  read_only
        .address_space:  global
        .offset:         72
        .size:           8
        .value_kind:     global_buffer
      - .offset:         80
        .size:           4
        .value_kind:     by_value
      - .offset:         84
        .size:           4
        .value_kind:     by_value
      - .offset:         88
        .size:           4
        .value_kind:     by_value
      - .offset:         92
        .size:           4
        .value_kind:     by_value
      - .offset:         96
        .size:           4
        .value_kind:     by_value
      - .offset:         100
        .size:           4
        .value_kind:     by_value
      - .offset:         104
        .size:           4
        .value_kind:     by_value
      - .offset:         108
        .size:           4
        .value_kind:     by_value
      - .offset:         112
        .size:           4
        .value_kind:     by_value
      - .offset:         116
        .size:           4
        .value_kind:     by_value
      - .offset:         120
        .size:           4
        .value_kind:     by_value
      - .offset:         124
        .size:           4
        .value_kind:     by_value
      - .offset:         128
        .size:           4
        .value_kind:     by_value
      - .offset:         132
        .size:           4
        .value_kind:     by_value
      - .offset:         136
        .size:           4
        .value_kind:     by_value
      - .offset:         144
        .size:           4
        .value_kind:     hidden_block_count_x
      - .offset:         148
        .size:           4
        .value_kind:     hidden_block_count_y
      - .offset:         152
        .size:           4
        .value_kind:     hidden_block_count_z
      - .offset:         156
        .size:           2
        .value_kind:     hidden_group_size_x
      - .offset:         158
        .size:           2
        .value_kind:     hidden_group_size_y
      - .offset:         160
        .size:           2
        .value_kind:     hidden_group_size_z
      - .offset:         162
        .size:           2
        .value_kind:     hidden_remainder_x
      - .offset:         164
        .size:           2
        .value_kind:     hidden_remainder_y
      - .offset:         166
        .size:           2
        .value_kind:     hidden_remainder_z
      - .offset:         184
        .size:           8
        .value_kind:     hidden_global_offset_x
      - .offset:         192
        .size:           8
        .value_kind:     hidden_global_offset_y
      - .offset:         200
        .size:           8
        .value_kind:     hidden_global_offset_z
      - .offset:         208
        .size:           2
        .value_kind:     hidden_grid_dims
    .group_segment_fixed_size: 32
    .kernarg_segment_align: 8
    .kernarg_segment_size: 400
    .language:       OpenCL C
    .language_version:
      - 2
      - 0
    .max_flat_workgroup_size: 1024
    .name:           _ZN5aiter35fused_qk_rmsnorm_group_quant_kernelItN4opus5fp4_tELi256ELi16ELi8ELb1ELb1ELb1ELb1ELb0ELb0EEEvPT0_PvPT_S7_S7_PKS6_S9_S9_S9_S9_ffiiiiiiiiiiiii
    .private_segment_fixed_size: 0
    .sgpr_count:     36
    .sgpr_spill_count: 0
    .symbol:         _ZN5aiter35fused_qk_rmsnorm_group_quant_kernelItN4opus5fp4_tELi256ELi16ELi8ELb1ELb1ELb1ELb1ELb0ELb0EEEvPT0_PvPT_S7_S7_PKS6_S9_S9_S9_S9_ffiiiiiiiiiiiii.kd
    .uniform_work_group_size: 1
    .uses_dynamic_stack: false
    .vgpr_count:     76
    .vgpr_spill_count: 0
    .wavefront_size: 64
  - .agpr_count:     0
    .args:
      - .actual_access:  read_only
        .address_space:  global
        .offset:         0
        .size:           8
        .value_kind:     global_buffer
      - .actual_access:  read_only
        .address_space:  global
        .offset:         8
        .size:           8
        .value_kind:     global_buffer
      - .actual_access:  write_only
        .address_space:  global
        .offset:         16
        .size:           8
        .value_kind:     global_buffer
      - .actual_access:  write_only
        .address_space:  global
        .offset:         24
        .size:           8
        .value_kind:     global_buffer
      - .actual_access:  write_only
        .address_space:  global
        .offset:         32
        .size:           8
        .value_kind:     global_buffer
      - .actual_access:  read_only
        .address_space:  global
        .offset:         40
        .size:           8
        .value_kind:     global_buffer
      - .actual_access:  read_only
        .address_space:  global
        .offset:         48
        .size:           8
        .value_kind:     global_buffer
      - .actual_access:  read_only
        .address_space:  global
        .offset:         56
        .size:           8
        .value_kind:     global_buffer
      - .actual_access:  read_only
        .address_space:  global
        .offset:         64
        .size:           8
        .value_kind:     global_buffer
      - .actual_access:  read_only
        .address_space:  global
        .offset:         72
        .size:           8
        .value_kind:     global_buffer
      - .offset:         80
        .size:           4
        .value_kind:     by_value
      - .offset:         84
        .size:           4
        .value_kind:     by_value
      - .offset:         88
        .size:           4
        .value_kind:     by_value
      - .offset:         92
        .size:           4
        .value_kind:     by_value
      - .offset:         96
        .size:           4
        .value_kind:     by_value
      - .offset:         100
        .size:           4
        .value_kind:     by_value
      - .offset:         104
        .size:           4
        .value_kind:     by_value
      - .offset:         108
        .size:           4
        .value_kind:     by_value
      - .offset:         112
        .size:           4
        .value_kind:     by_value
      - .offset:         116
        .size:           4
        .value_kind:     by_value
      - .offset:         120
        .size:           4
        .value_kind:     by_value
      - .offset:         124
        .size:           4
        .value_kind:     by_value
      - .offset:         128
        .size:           4
        .value_kind:     by_value
      - .offset:         132
        .size:           4
        .value_kind:     by_value
      - .offset:         136
        .size:           4
        .value_kind:     by_value
      - .offset:         144
        .size:           4
        .value_kind:     hidden_block_count_x
      - .offset:         148
        .size:           4
        .value_kind:     hidden_block_count_y
      - .offset:         152
        .size:           4
        .value_kind:     hidden_block_count_z
      - .offset:         156
        .size:           2
        .value_kind:     hidden_group_size_x
      - .offset:         158
        .size:           2
        .value_kind:     hidden_group_size_y
      - .offset:         160
        .size:           2
        .value_kind:     hidden_group_size_z
      - .offset:         162
        .size:           2
        .value_kind:     hidden_remainder_x
      - .offset:         164
        .size:           2
        .value_kind:     hidden_remainder_y
      - .offset:         166
        .size:           2
        .value_kind:     hidden_remainder_z
      - .offset:         184
        .size:           8
        .value_kind:     hidden_global_offset_x
      - .offset:         192
        .size:           8
        .value_kind:     hidden_global_offset_y
      - .offset:         200
        .size:           8
        .value_kind:     hidden_global_offset_z
      - .offset:         208
        .size:           2
        .value_kind:     hidden_grid_dims
    .group_segment_fixed_size: 32
    .kernarg_segment_align: 8
    .kernarg_segment_size: 400
    .language:       OpenCL C
    .language_version:
      - 2
      - 0
    .max_flat_workgroup_size: 1024
    .name:           _ZN5aiter35fused_qk_rmsnorm_group_quant_kernelIDF16_DB8_Li256ELi16ELi8ELb1ELb1ELb0ELb1ELb0ELb0EEEvPT0_PvPT_S6_S6_PKS5_S8_S8_S8_S8_ffiiiiiiiiiiiii
    .private_segment_fixed_size: 0
    .sgpr_count:     36
    .sgpr_spill_count: 0
    .symbol:         _ZN5aiter35fused_qk_rmsnorm_group_quant_kernelIDF16_DB8_Li256ELi16ELi8ELb1ELb1ELb0ELb1ELb0ELb0EEEvPT0_PvPT_S6_S6_PKS5_S8_S8_S8_S8_ffiiiiiiiiiiiii.kd
    .uniform_work_group_size: 1
    .uses_dynamic_stack: false
    .vgpr_count:     49
    .vgpr_spill_count: 0
    .wavefront_size: 64
  - .agpr_count:     0
    .args:
      - .actual_access:  read_only
        .address_space:  global
        .offset:         0
        .size:           8
        .value_kind:     global_buffer
      - .actual_access:  read_only
        .address_space:  global
        .offset:         8
        .size:           8
        .value_kind:     global_buffer
      - .actual_access:  write_only
        .address_space:  global
        .offset:         16
        .size:           8
        .value_kind:     global_buffer
      - .actual_access:  write_only
        .address_space:  global
        .offset:         24
        .size:           8
        .value_kind:     global_buffer
      - .actual_access:  write_only
        .address_space:  global
        .offset:         32
        .size:           8
        .value_kind:     global_buffer
      - .actual_access:  read_only
        .address_space:  global
        .offset:         40
        .size:           8
        .value_kind:     global_buffer
      - .actual_access:  read_only
        .address_space:  global
        .offset:         48
        .size:           8
        .value_kind:     global_buffer
      - .actual_access:  read_only
        .address_space:  global
        .offset:         56
        .size:           8
        .value_kind:     global_buffer
      - .actual_access:  read_only
        .address_space:  global
        .offset:         64
        .size:           8
        .value_kind:     global_buffer
      - .actual_access:  read_only
        .address_space:  global
        .offset:         72
        .size:           8
        .value_kind:     global_buffer
      - .offset:         80
        .size:           4
        .value_kind:     by_value
      - .offset:         84
        .size:           4
        .value_kind:     by_value
      - .offset:         88
        .size:           4
        .value_kind:     by_value
      - .offset:         92
        .size:           4
        .value_kind:     by_value
      - .offset:         96
        .size:           4
        .value_kind:     by_value
      - .offset:         100
        .size:           4
        .value_kind:     by_value
      - .offset:         104
        .size:           4
        .value_kind:     by_value
      - .offset:         108
        .size:           4
        .value_kind:     by_value
      - .offset:         112
        .size:           4
        .value_kind:     by_value
      - .offset:         116
        .size:           4
        .value_kind:     by_value
      - .offset:         120
        .size:           4
        .value_kind:     by_value
      - .offset:         124
        .size:           4
        .value_kind:     by_value
      - .offset:         128
        .size:           4
        .value_kind:     by_value
      - .offset:         132
        .size:           4
        .value_kind:     by_value
      - .offset:         136
        .size:           4
        .value_kind:     by_value
      - .offset:         144
        .size:           4
        .value_kind:     hidden_block_count_x
      - .offset:         148
        .size:           4
        .value_kind:     hidden_block_count_y
      - .offset:         152
        .size:           4
        .value_kind:     hidden_block_count_z
      - .offset:         156
        .size:           2
        .value_kind:     hidden_group_size_x
      - .offset:         158
        .size:           2
        .value_kind:     hidden_group_size_y
      - .offset:         160
        .size:           2
        .value_kind:     hidden_group_size_z
      - .offset:         162
        .size:           2
        .value_kind:     hidden_remainder_x
      - .offset:         164
        .size:           2
        .value_kind:     hidden_remainder_y
      - .offset:         166
        .size:           2
        .value_kind:     hidden_remainder_z
      - .offset:         184
        .size:           8
        .value_kind:     hidden_global_offset_x
      - .offset:         192
        .size:           8
        .value_kind:     hidden_global_offset_y
      - .offset:         200
        .size:           8
        .value_kind:     hidden_global_offset_z
      - .offset:         208
        .size:           2
        .value_kind:     hidden_grid_dims
    .group_segment_fixed_size: 32
    .kernarg_segment_align: 8
    .kernarg_segment_size: 400
    .language:       OpenCL C
    .language_version:
      - 2
      - 0
    .max_flat_workgroup_size: 1024
    .name:           _ZN5aiter35fused_qk_rmsnorm_group_quant_kernelItDB8_Li256ELi16ELi8ELb1ELb1ELb0ELb1ELb0ELb0EEEvPT0_PvPT_S6_S6_PKS5_S8_S8_S8_S8_ffiiiiiiiiiiiii
    .private_segment_fixed_size: 0
    .sgpr_count:     36
    .sgpr_spill_count: 0
    .symbol:         _ZN5aiter35fused_qk_rmsnorm_group_quant_kernelItDB8_Li256ELi16ELi8ELb1ELb1ELb0ELb1ELb0ELb0EEEvPT0_PvPT_S6_S6_PKS5_S8_S8_S8_S8_ffiiiiiiiiiiiii.kd
    .uniform_work_group_size: 1
    .uses_dynamic_stack: false
    .vgpr_count:     90
    .vgpr_spill_count: 0
    .wavefront_size: 64
  - .agpr_count:     0
    .args:
      - .actual_access:  read_only
        .address_space:  global
        .offset:         0
        .size:           8
        .value_kind:     global_buffer
      - .actual_access:  read_only
        .address_space:  global
        .offset:         8
        .size:           8
        .value_kind:     global_buffer
      - .actual_access:  write_only
        .address_space:  global
        .offset:         16
        .size:           8
        .value_kind:     global_buffer
      - .actual_access:  write_only
        .address_space:  global
        .offset:         24
        .size:           8
        .value_kind:     global_buffer
      - .actual_access:  write_only
        .address_space:  global
        .offset:         32
        .size:           8
        .value_kind:     global_buffer
      - .actual_access:  read_only
        .address_space:  global
        .offset:         40
        .size:           8
        .value_kind:     global_buffer
      - .actual_access:  read_only
        .address_space:  global
        .offset:         48
        .size:           8
        .value_kind:     global_buffer
      - .actual_access:  read_only
        .address_space:  global
        .offset:         56
        .size:           8
        .value_kind:     global_buffer
      - .actual_access:  read_only
        .address_space:  global
        .offset:         64
        .size:           8
        .value_kind:     global_buffer
      - .actual_access:  read_only
        .address_space:  global
        .offset:         72
        .size:           8
        .value_kind:     global_buffer
      - .offset:         80
        .size:           4
        .value_kind:     by_value
      - .offset:         84
        .size:           4
        .value_kind:     by_value
      - .offset:         88
        .size:           4
        .value_kind:     by_value
      - .offset:         92
        .size:           4
        .value_kind:     by_value
      - .offset:         96
        .size:           4
        .value_kind:     by_value
      - .offset:         100
        .size:           4
        .value_kind:     by_value
      - .offset:         104
        .size:           4
        .value_kind:     by_value
      - .offset:         108
        .size:           4
        .value_kind:     by_value
      - .offset:         112
        .size:           4
        .value_kind:     by_value
      - .offset:         116
        .size:           4
        .value_kind:     by_value
      - .offset:         120
        .size:           4
        .value_kind:     by_value
      - .offset:         124
        .size:           4
        .value_kind:     by_value
      - .offset:         128
        .size:           4
        .value_kind:     by_value
      - .offset:         132
        .size:           4
        .value_kind:     by_value
      - .offset:         136
        .size:           4
        .value_kind:     by_value
      - .offset:         144
        .size:           4
        .value_kind:     hidden_block_count_x
      - .offset:         148
        .size:           4
        .value_kind:     hidden_block_count_y
      - .offset:         152
        .size:           4
        .value_kind:     hidden_block_count_z
      - .offset:         156
        .size:           2
        .value_kind:     hidden_group_size_x
      - .offset:         158
        .size:           2
        .value_kind:     hidden_group_size_y
      - .offset:         160
        .size:           2
        .value_kind:     hidden_group_size_z
      - .offset:         162
        .size:           2
        .value_kind:     hidden_remainder_x
      - .offset:         164
        .size:           2
        .value_kind:     hidden_remainder_y
      - .offset:         166
        .size:           2
        .value_kind:     hidden_remainder_z
      - .offset:         184
        .size:           8
        .value_kind:     hidden_global_offset_x
      - .offset:         192
        .size:           8
        .value_kind:     hidden_global_offset_y
      - .offset:         200
        .size:           8
        .value_kind:     hidden_global_offset_z
      - .offset:         208
        .size:           2
        .value_kind:     hidden_grid_dims
    .group_segment_fixed_size: 32
    .kernarg_segment_align: 8
    .kernarg_segment_size: 400
    .language:       OpenCL C
    .language_version:
      - 2
      - 0
    .max_flat_workgroup_size: 1024
    .name:           _ZN5aiter35fused_qk_rmsnorm_group_quant_kernelIDF16_N4opus5fp4_tELi256ELi16ELi8ELb1ELb1ELb0ELb1ELb0ELb0EEEvPT0_PvPT_S7_S7_PKS6_S9_S9_S9_S9_ffiiiiiiiiiiiii
    .private_segment_fixed_size: 0
    .sgpr_count:     36
    .sgpr_spill_count: 0
    .symbol:         _ZN5aiter35fused_qk_rmsnorm_group_quant_kernelIDF16_N4opus5fp4_tELi256ELi16ELi8ELb1ELb1ELb0ELb1ELb0ELb0EEEvPT0_PvPT_S7_S7_PKS6_S9_S9_S9_S9_ffiiiiiiiiiiiii.kd
    .uniform_work_group_size: 1
    .uses_dynamic_stack: false
    .vgpr_count:     49
    .vgpr_spill_count: 0
    .wavefront_size: 64
  - .agpr_count:     0
    .args:
      - .actual_access:  read_only
        .address_space:  global
        .offset:         0
        .size:           8
        .value_kind:     global_buffer
      - .actual_access:  read_only
        .address_space:  global
        .offset:         8
        .size:           8
        .value_kind:     global_buffer
      - .actual_access:  write_only
        .address_space:  global
        .offset:         16
        .size:           8
        .value_kind:     global_buffer
      - .actual_access:  write_only
        .address_space:  global
        .offset:         24
        .size:           8
        .value_kind:     global_buffer
      - .actual_access:  write_only
        .address_space:  global
        .offset:         32
        .size:           8
        .value_kind:     global_buffer
      - .actual_access:  read_only
        .address_space:  global
        .offset:         40
        .size:           8
        .value_kind:     global_buffer
      - .actual_access:  read_only
        .address_space:  global
        .offset:         48
        .size:           8
        .value_kind:     global_buffer
      - .actual_access:  read_only
        .address_space:  global
        .offset:         56
        .size:           8
        .value_kind:     global_buffer
      - .actual_access:  read_only
        .address_space:  global
        .offset:         64
        .size:           8
        .value_kind:     global_buffer
      - .actual_access:  read_only
        .address_space:  global
        .offset:         72
        .size:           8
        .value_kind:     global_buffer
      - .offset:         80
        .size:           4
        .value_kind:     by_value
      - .offset:         84
        .size:           4
        .value_kind:     by_value
      - .offset:         88
        .size:           4
        .value_kind:     by_value
      - .offset:         92
        .size:           4
        .value_kind:     by_value
      - .offset:         96
        .size:           4
        .value_kind:     by_value
      - .offset:         100
        .size:           4
        .value_kind:     by_value
      - .offset:         104
        .size:           4
        .value_kind:     by_value
      - .offset:         108
        .size:           4
        .value_kind:     by_value
      - .offset:         112
        .size:           4
        .value_kind:     by_value
      - .offset:         116
        .size:           4
        .value_kind:     by_value
      - .offset:         120
        .size:           4
        .value_kind:     by_value
      - .offset:         124
        .size:           4
        .value_kind:     by_value
      - .offset:         128
        .size:           4
        .value_kind:     by_value
      - .offset:         132
        .size:           4
        .value_kind:     by_value
      - .offset:         136
        .size:           4
        .value_kind:     by_value
      - .offset:         144
        .size:           4
        .value_kind:     hidden_block_count_x
      - .offset:         148
        .size:           4
        .value_kind:     hidden_block_count_y
      - .offset:         152
        .size:           4
        .value_kind:     hidden_block_count_z
      - .offset:         156
        .size:           2
        .value_kind:     hidden_group_size_x
      - .offset:         158
        .size:           2
        .value_kind:     hidden_group_size_y
      - .offset:         160
        .size:           2
        .value_kind:     hidden_group_size_z
      - .offset:         162
        .size:           2
        .value_kind:     hidden_remainder_x
      - .offset:         164
        .size:           2
        .value_kind:     hidden_remainder_y
      - .offset:         166
        .size:           2
        .value_kind:     hidden_remainder_z
      - .offset:         184
        .size:           8
        .value_kind:     hidden_global_offset_x
      - .offset:         192
        .size:           8
        .value_kind:     hidden_global_offset_y
      - .offset:         200
        .size:           8
        .value_kind:     hidden_global_offset_z
      - .offset:         208
        .size:           2
        .value_kind:     hidden_grid_dims
    .group_segment_fixed_size: 32
    .kernarg_segment_align: 8
    .kernarg_segment_size: 400
    .language:       OpenCL C
    .language_version:
      - 2
      - 0
    .max_flat_workgroup_size: 1024
    .name:           _ZN5aiter35fused_qk_rmsnorm_group_quant_kernelItN4opus5fp4_tELi256ELi16ELi8ELb1ELb1ELb0ELb1ELb0ELb0EEEvPT0_PvPT_S7_S7_PKS6_S9_S9_S9_S9_ffiiiiiiiiiiiii
    .private_segment_fixed_size: 0
    .sgpr_count:     36
    .sgpr_spill_count: 0
    .symbol:         _ZN5aiter35fused_qk_rmsnorm_group_quant_kernelItN4opus5fp4_tELi256ELi16ELi8ELb1ELb1ELb0ELb1ELb0ELb0EEEvPT0_PvPT_S7_S7_PKS6_S9_S9_S9_S9_ffiiiiiiiiiiiii.kd
    .uniform_work_group_size: 1
    .uses_dynamic_stack: false
    .vgpr_count:     90
    .vgpr_spill_count: 0
    .wavefront_size: 64
  - .agpr_count:     0
    .args:
      - .actual_access:  read_only
        .address_space:  global
        .offset:         0
        .size:           8
        .value_kind:     global_buffer
      - .actual_access:  read_only
        .address_space:  global
        .offset:         8
        .size:           8
        .value_kind:     global_buffer
      - .actual_access:  write_only
        .address_space:  global
        .offset:         16
        .size:           8
        .value_kind:     global_buffer
      - .actual_access:  write_only
        .address_space:  global
        .offset:         24
        .size:           8
        .value_kind:     global_buffer
      - .actual_access:  read_only
        .address_space:  global
        .offset:         32
        .size:           8
        .value_kind:     global_buffer
      - .actual_access:  read_only
        .address_space:  global
        .offset:         40
        .size:           8
        .value_kind:     global_buffer
      - .actual_access:  read_only
        .address_space:  global
        .offset:         48
        .size:           8
        .value_kind:     global_buffer
      - .actual_access:  read_only
        .address_space:  global
        .offset:         56
        .size:           8
        .value_kind:     global_buffer
      - .actual_access:  read_only
        .address_space:  global
        .offset:         64
        .size:           8
        .value_kind:     global_buffer
      - .actual_access:  read_only
        .address_space:  global
        .offset:         72
        .size:           8
        .value_kind:     global_buffer
      - .offset:         80
        .size:           4
        .value_kind:     by_value
      - .offset:         84
        .size:           4
        .value_kind:     by_value
      - .offset:         88
        .size:           4
        .value_kind:     by_value
      - .offset:         92
        .size:           4
        .value_kind:     by_value
      - .offset:         96
        .size:           4
        .value_kind:     by_value
      - .offset:         100
        .size:           4
        .value_kind:     by_value
      - .offset:         104
        .size:           4
        .value_kind:     by_value
      - .offset:         108
        .size:           4
        .value_kind:     by_value
      - .offset:         112
        .size:           4
        .value_kind:     by_value
      - .offset:         116
        .size:           4
        .value_kind:     by_value
      - .offset:         120
        .size:           4
        .value_kind:     by_value
      - .offset:         124
        .size:           4
        .value_kind:     by_value
      - .offset:         128
        .size:           4
        .value_kind:     by_value
      - .offset:         132
        .size:           4
        .value_kind:     by_value
      - .offset:         136
        .size:           4
        .value_kind:     by_value
      - .offset:         144
        .size:           4
        .value_kind:     hidden_block_count_x
      - .offset:         148
        .size:           4
        .value_kind:     hidden_block_count_y
      - .offset:         152
        .size:           4
        .value_kind:     hidden_block_count_z
      - .offset:         156
        .size:           2
        .value_kind:     hidden_group_size_x
      - .offset:         158
        .size:           2
        .value_kind:     hidden_group_size_y
      - .offset:         160
        .size:           2
        .value_kind:     hidden_group_size_z
      - .offset:         162
        .size:           2
        .value_kind:     hidden_remainder_x
      - .offset:         164
        .size:           2
        .value_kind:     hidden_remainder_y
      - .offset:         166
        .size:           2
        .value_kind:     hidden_remainder_z
      - .offset:         184
        .size:           8
        .value_kind:     hidden_global_offset_x
      - .offset:         192
        .size:           8
        .value_kind:     hidden_global_offset_y
      - .offset:         200
        .size:           8
        .value_kind:     hidden_global_offset_z
      - .offset:         208
        .size:           2
        .value_kind:     hidden_grid_dims
    .group_segment_fixed_size: 32
    .kernarg_segment_align: 8
    .kernarg_segment_size: 400
    .language:       OpenCL C
    .language_version:
      - 2
      - 0
    .max_flat_workgroup_size: 1024
    .name:           _ZN5aiter35fused_qk_rmsnorm_group_quant_kernelIDF16_DB8_Li256ELi16ELi8ELb0ELb1ELb1ELb1ELb0ELb0EEEvPT0_PvPT_S6_S6_PKS5_S8_S8_S8_S8_ffiiiiiiiiiiiii
    .private_segment_fixed_size: 0
    .sgpr_count:     36
    .sgpr_spill_count: 0
    .symbol:         _ZN5aiter35fused_qk_rmsnorm_group_quant_kernelIDF16_DB8_Li256ELi16ELi8ELb0ELb1ELb1ELb1ELb0ELb0EEEvPT0_PvPT_S6_S6_PKS5_S8_S8_S8_S8_ffiiiiiiiiiiiii.kd
    .uniform_work_group_size: 1
    .uses_dynamic_stack: false
    .vgpr_count:     35
    .vgpr_spill_count: 0
    .wavefront_size: 64
  - .agpr_count:     0
    .args:
      - .actual_access:  read_only
        .address_space:  global
        .offset:         0
        .size:           8
        .value_kind:     global_buffer
      - .actual_access:  read_only
        .address_space:  global
        .offset:         8
        .size:           8
        .value_kind:     global_buffer
      - .actual_access:  write_only
        .address_space:  global
        .offset:         16
        .size:           8
        .value_kind:     global_buffer
      - .actual_access:  write_only
        .address_space:  global
        .offset:         24
        .size:           8
        .value_kind:     global_buffer
      - .actual_access:  read_only
        .address_space:  global
        .offset:         32
        .size:           8
        .value_kind:     global_buffer
      - .actual_access:  read_only
        .address_space:  global
        .offset:         40
        .size:           8
        .value_kind:     global_buffer
      - .actual_access:  read_only
        .address_space:  global
        .offset:         48
        .size:           8
        .value_kind:     global_buffer
      - .actual_access:  read_only
        .address_space:  global
        .offset:         56
        .size:           8
        .value_kind:     global_buffer
      - .actual_access:  read_only
        .address_space:  global
        .offset:         64
        .size:           8
        .value_kind:     global_buffer
      - .actual_access:  read_only
        .address_space:  global
        .offset:         72
        .size:           8
        .value_kind:     global_buffer
      - .offset:         80
        .size:           4
        .value_kind:     by_value
      - .offset:         84
        .size:           4
        .value_kind:     by_value
      - .offset:         88
        .size:           4
        .value_kind:     by_value
      - .offset:         92
        .size:           4
        .value_kind:     by_value
      - .offset:         96
        .size:           4
        .value_kind:     by_value
      - .offset:         100
        .size:           4
        .value_kind:     by_value
      - .offset:         104
        .size:           4
        .value_kind:     by_value
      - .offset:         108
        .size:           4
        .value_kind:     by_value
      - .offset:         112
        .size:           4
        .value_kind:     by_value
      - .offset:         116
        .size:           4
        .value_kind:     by_value
      - .offset:         120
        .size:           4
        .value_kind:     by_value
      - .offset:         124
        .size:           4
        .value_kind:     by_value
      - .offset:         128
        .size:           4
        .value_kind:     by_value
      - .offset:         132
        .size:           4
        .value_kind:     by_value
      - .offset:         136
        .size:           4
        .value_kind:     by_value
      - .offset:         144
        .size:           4
        .value_kind:     hidden_block_count_x
      - .offset:         148
        .size:           4
        .value_kind:     hidden_block_count_y
      - .offset:         152
        .size:           4
        .value_kind:     hidden_block_count_z
      - .offset:         156
        .size:           2
        .value_kind:     hidden_group_size_x
      - .offset:         158
        .size:           2
        .value_kind:     hidden_group_size_y
      - .offset:         160
        .size:           2
        .value_kind:     hidden_group_size_z
      - .offset:         162
        .size:           2
        .value_kind:     hidden_remainder_x
      - .offset:         164
        .size:           2
        .value_kind:     hidden_remainder_y
      - .offset:         166
        .size:           2
        .value_kind:     hidden_remainder_z
      - .offset:         184
        .size:           8
        .value_kind:     hidden_global_offset_x
      - .offset:         192
        .size:           8
        .value_kind:     hidden_global_offset_y
      - .offset:         200
        .size:           8
        .value_kind:     hidden_global_offset_z
      - .offset:         208
        .size:           2
        .value_kind:     hidden_grid_dims
    .group_segment_fixed_size: 32
    .kernarg_segment_align: 8
    .kernarg_segment_size: 400
    .language:       OpenCL C
    .language_version:
      - 2
      - 0
    .max_flat_workgroup_size: 1024
    .name:           _ZN5aiter35fused_qk_rmsnorm_group_quant_kernelItDB8_Li256ELi16ELi8ELb0ELb1ELb1ELb1ELb0ELb0EEEvPT0_PvPT_S6_S6_PKS5_S8_S8_S8_S8_ffiiiiiiiiiiiii
    .private_segment_fixed_size: 0
    .sgpr_count:     36
    .sgpr_spill_count: 0
    .symbol:         _ZN5aiter35fused_qk_rmsnorm_group_quant_kernelItDB8_Li256ELi16ELi8ELb0ELb1ELb1ELb1ELb0ELb0EEEvPT0_PvPT_S6_S6_PKS5_S8_S8_S8_S8_ffiiiiiiiiiiiii.kd
    .uniform_work_group_size: 1
    .uses_dynamic_stack: false
    .vgpr_count:     35
    .vgpr_spill_count: 0
    .wavefront_size: 64
  - .agpr_count:     0
    .args:
      - .actual_access:  read_only
        .address_space:  global
        .offset:         0
        .size:           8
        .value_kind:     global_buffer
      - .actual_access:  read_only
        .address_space:  global
        .offset:         8
        .size:           8
        .value_kind:     global_buffer
      - .actual_access:  write_only
        .address_space:  global
        .offset:         16
        .size:           8
        .value_kind:     global_buffer
      - .actual_access:  write_only
        .address_space:  global
        .offset:         24
        .size:           8
        .value_kind:     global_buffer
      - .actual_access:  read_only
        .address_space:  global
        .offset:         32
        .size:           8
        .value_kind:     global_buffer
      - .actual_access:  read_only
        .address_space:  global
        .offset:         40
        .size:           8
        .value_kind:     global_buffer
      - .actual_access:  read_only
        .address_space:  global
        .offset:         48
        .size:           8
        .value_kind:     global_buffer
      - .actual_access:  read_only
        .address_space:  global
        .offset:         56
        .size:           8
        .value_kind:     global_buffer
      - .actual_access:  read_only
        .address_space:  global
        .offset:         64
        .size:           8
        .value_kind:     global_buffer
      - .actual_access:  read_only
        .address_space:  global
        .offset:         72
        .size:           8
        .value_kind:     global_buffer
      - .offset:         80
        .size:           4
        .value_kind:     by_value
      - .offset:         84
        .size:           4
        .value_kind:     by_value
      - .offset:         88
        .size:           4
        .value_kind:     by_value
      - .offset:         92
        .size:           4
        .value_kind:     by_value
      - .offset:         96
        .size:           4
        .value_kind:     by_value
      - .offset:         100
        .size:           4
        .value_kind:     by_value
      - .offset:         104
        .size:           4
        .value_kind:     by_value
      - .offset:         108
        .size:           4
        .value_kind:     by_value
      - .offset:         112
        .size:           4
        .value_kind:     by_value
      - .offset:         116
        .size:           4
        .value_kind:     by_value
      - .offset:         120
        .size:           4
        .value_kind:     by_value
      - .offset:         124
        .size:           4
        .value_kind:     by_value
      - .offset:         128
        .size:           4
        .value_kind:     by_value
      - .offset:         132
        .size:           4
        .value_kind:     by_value
      - .offset:         136
        .size:           4
        .value_kind:     by_value
      - .offset:         144
        .size:           4
        .value_kind:     hidden_block_count_x
      - .offset:         148
        .size:           4
        .value_kind:     hidden_block_count_y
      - .offset:         152
        .size:           4
        .value_kind:     hidden_block_count_z
      - .offset:         156
        .size:           2
        .value_kind:     hidden_group_size_x
      - .offset:         158
        .size:           2
        .value_kind:     hidden_group_size_y
      - .offset:         160
        .size:           2
        .value_kind:     hidden_group_size_z
      - .offset:         162
        .size:           2
        .value_kind:     hidden_remainder_x
      - .offset:         164
        .size:           2
        .value_kind:     hidden_remainder_y
      - .offset:         166
        .size:           2
        .value_kind:     hidden_remainder_z
      - .offset:         184
        .size:           8
        .value_kind:     hidden_global_offset_x
      - .offset:         192
        .size:           8
        .value_kind:     hidden_global_offset_y
      - .offset:         200
        .size:           8
        .value_kind:     hidden_global_offset_z
      - .offset:         208
        .size:           2
        .value_kind:     hidden_grid_dims
    .group_segment_fixed_size: 32
    .kernarg_segment_align: 8
    .kernarg_segment_size: 400
    .language:       OpenCL C
    .language_version:
      - 2
      - 0
    .max_flat_workgroup_size: 1024
    .name:           _ZN5aiter35fused_qk_rmsnorm_group_quant_kernelIDF16_N4opus5fp4_tELi256ELi16ELi8ELb0ELb1ELb1ELb1ELb0ELb0EEEvPT0_PvPT_S7_S7_PKS6_S9_S9_S9_S9_ffiiiiiiiiiiiii
    .private_segment_fixed_size: 0
    .sgpr_count:     36
    .sgpr_spill_count: 0
    .symbol:         _ZN5aiter35fused_qk_rmsnorm_group_quant_kernelIDF16_N4opus5fp4_tELi256ELi16ELi8ELb0ELb1ELb1ELb1ELb0ELb0EEEvPT0_PvPT_S7_S7_PKS6_S9_S9_S9_S9_ffiiiiiiiiiiiii.kd
    .uniform_work_group_size: 1
    .uses_dynamic_stack: false
    .vgpr_count:     35
    .vgpr_spill_count: 0
    .wavefront_size: 64
  - .agpr_count:     0
    .args:
      - .actual_access:  read_only
        .address_space:  global
        .offset:         0
        .size:           8
        .value_kind:     global_buffer
      - .actual_access:  read_only
        .address_space:  global
        .offset:         8
        .size:           8
        .value_kind:     global_buffer
      - .actual_access:  write_only
        .address_space:  global
        .offset:         16
        .size:           8
        .value_kind:     global_buffer
      - .actual_access:  write_only
        .address_space:  global
        .offset:         24
        .size:           8
        .value_kind:     global_buffer
      - .actual_access:  read_only
        .address_space:  global
        .offset:         32
        .size:           8
        .value_kind:     global_buffer
      - .actual_access:  read_only
        .address_space:  global
        .offset:         40
        .size:           8
        .value_kind:     global_buffer
      - .actual_access:  read_only
        .address_space:  global
        .offset:         48
        .size:           8
        .value_kind:     global_buffer
      - .actual_access:  read_only
        .address_space:  global
        .offset:         56
        .size:           8
        .value_kind:     global_buffer
      - .actual_access:  read_only
        .address_space:  global
        .offset:         64
        .size:           8
        .value_kind:     global_buffer
      - .actual_access:  read_only
        .address_space:  global
        .offset:         72
        .size:           8
        .value_kind:     global_buffer
      - .offset:         80
        .size:           4
        .value_kind:     by_value
      - .offset:         84
        .size:           4
        .value_kind:     by_value
      - .offset:         88
        .size:           4
        .value_kind:     by_value
      - .offset:         92
        .size:           4
        .value_kind:     by_value
      - .offset:         96
        .size:           4
        .value_kind:     by_value
      - .offset:         100
        .size:           4
        .value_kind:     by_value
      - .offset:         104
        .size:           4
        .value_kind:     by_value
      - .offset:         108
        .size:           4
        .value_kind:     by_value
      - .offset:         112
        .size:           4
        .value_kind:     by_value
      - .offset:         116
        .size:           4
        .value_kind:     by_value
      - .offset:         120
        .size:           4
        .value_kind:     by_value
      - .offset:         124
        .size:           4
        .value_kind:     by_value
      - .offset:         128
        .size:           4
        .value_kind:     by_value
      - .offset:         132
        .size:           4
        .value_kind:     by_value
      - .offset:         136
        .size:           4
        .value_kind:     by_value
      - .offset:         144
        .size:           4
        .value_kind:     hidden_block_count_x
      - .offset:         148
        .size:           4
        .value_kind:     hidden_block_count_y
      - .offset:         152
        .size:           4
        .value_kind:     hidden_block_count_z
      - .offset:         156
        .size:           2
        .value_kind:     hidden_group_size_x
      - .offset:         158
        .size:           2
        .value_kind:     hidden_group_size_y
      - .offset:         160
        .size:           2
        .value_kind:     hidden_group_size_z
      - .offset:         162
        .size:           2
        .value_kind:     hidden_remainder_x
      - .offset:         164
        .size:           2
        .value_kind:     hidden_remainder_y
      - .offset:         166
        .size:           2
        .value_kind:     hidden_remainder_z
      - .offset:         184
        .size:           8
        .value_kind:     hidden_global_offset_x
      - .offset:         192
        .size:           8
        .value_kind:     hidden_global_offset_y
      - .offset:         200
        .size:           8
        .value_kind:     hidden_global_offset_z
      - .offset:         208
        .size:           2
        .value_kind:     hidden_grid_dims
    .group_segment_fixed_size: 32
    .kernarg_segment_align: 8
    .kernarg_segment_size: 400
    .language:       OpenCL C
    .language_version:
      - 2
      - 0
    .max_flat_workgroup_size: 1024
    .name:           _ZN5aiter35fused_qk_rmsnorm_group_quant_kernelItN4opus5fp4_tELi256ELi16ELi8ELb0ELb1ELb1ELb1ELb0ELb0EEEvPT0_PvPT_S7_S7_PKS6_S9_S9_S9_S9_ffiiiiiiiiiiiii
    .private_segment_fixed_size: 0
    .sgpr_count:     36
    .sgpr_spill_count: 0
    .symbol:         _ZN5aiter35fused_qk_rmsnorm_group_quant_kernelItN4opus5fp4_tELi256ELi16ELi8ELb0ELb1ELb1ELb1ELb0ELb0EEEvPT0_PvPT_S7_S7_PKS6_S9_S9_S9_S9_ffiiiiiiiiiiiii.kd
    .uniform_work_group_size: 1
    .uses_dynamic_stack: false
    .vgpr_count:     35
    .vgpr_spill_count: 0
    .wavefront_size: 64
  - .agpr_count:     0
    .args:
      - .actual_access:  read_only
        .address_space:  global
        .offset:         0
        .size:           8
        .value_kind:     global_buffer
      - .actual_access:  read_only
        .address_space:  global
        .offset:         8
        .size:           8
        .value_kind:     global_buffer
      - .actual_access:  write_only
        .address_space:  global
        .offset:         16
        .size:           8
        .value_kind:     global_buffer
      - .actual_access:  write_only
        .address_space:  global
        .offset:         24
        .size:           8
        .value_kind:     global_buffer
      - .actual_access:  read_only
        .address_space:  global
        .offset:         32
        .size:           8
        .value_kind:     global_buffer
      - .actual_access:  read_only
        .address_space:  global
        .offset:         40
        .size:           8
        .value_kind:     global_buffer
      - .actual_access:  read_only
        .address_space:  global
        .offset:         48
        .size:           8
        .value_kind:     global_buffer
      - .actual_access:  read_only
        .address_space:  global
        .offset:         56
        .size:           8
        .value_kind:     global_buffer
      - .actual_access:  read_only
        .address_space:  global
        .offset:         64
        .size:           8
        .value_kind:     global_buffer
      - .actual_access:  read_only
        .address_space:  global
        .offset:         72
        .size:           8
        .value_kind:     global_buffer
      - .offset:         80
        .size:           4
        .value_kind:     by_value
      - .offset:         84
        .size:           4
        .value_kind:     by_value
      - .offset:         88
        .size:           4
        .value_kind:     by_value
      - .offset:         92
        .size:           4
        .value_kind:     by_value
      - .offset:         96
        .size:           4
        .value_kind:     by_value
      - .offset:         100
        .size:           4
        .value_kind:     by_value
      - .offset:         104
        .size:           4
        .value_kind:     by_value
      - .offset:         108
        .size:           4
        .value_kind:     by_value
      - .offset:         112
        .size:           4
        .value_kind:     by_value
      - .offset:         116
        .size:           4
        .value_kind:     by_value
      - .offset:         120
        .size:           4
        .value_kind:     by_value
      - .offset:         124
        .size:           4
        .value_kind:     by_value
      - .offset:         128
        .size:           4
        .value_kind:     by_value
      - .offset:         132
        .size:           4
        .value_kind:     by_value
      - .offset:         136
        .size:           4
        .value_kind:     by_value
      - .offset:         144
        .size:           4
        .value_kind:     hidden_block_count_x
      - .offset:         148
        .size:           4
        .value_kind:     hidden_block_count_y
      - .offset:         152
        .size:           4
        .value_kind:     hidden_block_count_z
      - .offset:         156
        .size:           2
        .value_kind:     hidden_group_size_x
      - .offset:         158
        .size:           2
        .value_kind:     hidden_group_size_y
      - .offset:         160
        .size:           2
        .value_kind:     hidden_group_size_z
      - .offset:         162
        .size:           2
        .value_kind:     hidden_remainder_x
      - .offset:         164
        .size:           2
        .value_kind:     hidden_remainder_y
      - .offset:         166
        .size:           2
        .value_kind:     hidden_remainder_z
      - .offset:         184
        .size:           8
        .value_kind:     hidden_global_offset_x
      - .offset:         192
        .size:           8
        .value_kind:     hidden_global_offset_y
      - .offset:         200
        .size:           8
        .value_kind:     hidden_global_offset_z
      - .offset:         208
        .size:           2
        .value_kind:     hidden_grid_dims
    .group_segment_fixed_size: 32
    .kernarg_segment_align: 8
    .kernarg_segment_size: 400
    .language:       OpenCL C
    .language_version:
      - 2
      - 0
    .max_flat_workgroup_size: 1024
    .name:           _ZN5aiter35fused_qk_rmsnorm_group_quant_kernelIDF16_DB8_Li256ELi16ELi8ELb0ELb1ELb0ELb1ELb0ELb0EEEvPT0_PvPT_S6_S6_PKS5_S8_S8_S8_S8_ffiiiiiiiiiiiii
    .private_segment_fixed_size: 0
    .sgpr_count:     36
    .sgpr_spill_count: 0
    .symbol:         _ZN5aiter35fused_qk_rmsnorm_group_quant_kernelIDF16_DB8_Li256ELi16ELi8ELb0ELb1ELb0ELb1ELb0ELb0EEEvPT0_PvPT_S6_S6_PKS5_S8_S8_S8_S8_ffiiiiiiiiiiiii.kd
    .uniform_work_group_size: 1
    .uses_dynamic_stack: false
    .vgpr_count:     35
    .vgpr_spill_count: 0
    .wavefront_size: 64
  - .agpr_count:     0
    .args:
      - .actual_access:  read_only
        .address_space:  global
        .offset:         0
        .size:           8
        .value_kind:     global_buffer
      - .actual_access:  read_only
        .address_space:  global
        .offset:         8
        .size:           8
        .value_kind:     global_buffer
      - .actual_access:  write_only
        .address_space:  global
        .offset:         16
        .size:           8
        .value_kind:     global_buffer
      - .actual_access:  write_only
        .address_space:  global
        .offset:         24
        .size:           8
        .value_kind:     global_buffer
      - .actual_access:  read_only
        .address_space:  global
        .offset:         32
        .size:           8
        .value_kind:     global_buffer
      - .actual_access:  read_only
        .address_space:  global
        .offset:         40
        .size:           8
        .value_kind:     global_buffer
      - .actual_access:  read_only
        .address_space:  global
        .offset:         48
        .size:           8
        .value_kind:     global_buffer
      - .actual_access:  read_only
        .address_space:  global
        .offset:         56
        .size:           8
        .value_kind:     global_buffer
      - .actual_access:  read_only
        .address_space:  global
        .offset:         64
        .size:           8
        .value_kind:     global_buffer
      - .actual_access:  read_only
        .address_space:  global
        .offset:         72
        .size:           8
        .value_kind:     global_buffer
      - .offset:         80
        .size:           4
        .value_kind:     by_value
      - .offset:         84
        .size:           4
        .value_kind:     by_value
      - .offset:         88
        .size:           4
        .value_kind:     by_value
      - .offset:         92
        .size:           4
        .value_kind:     by_value
      - .offset:         96
        .size:           4
        .value_kind:     by_value
      - .offset:         100
        .size:           4
        .value_kind:     by_value
      - .offset:         104
        .size:           4
        .value_kind:     by_value
      - .offset:         108
        .size:           4
        .value_kind:     by_value
      - .offset:         112
        .size:           4
        .value_kind:     by_value
      - .offset:         116
        .size:           4
        .value_kind:     by_value
      - .offset:         120
        .size:           4
        .value_kind:     by_value
      - .offset:         124
        .size:           4
        .value_kind:     by_value
      - .offset:         128
        .size:           4
        .value_kind:     by_value
      - .offset:         132
        .size:           4
        .value_kind:     by_value
      - .offset:         136
        .size:           4
        .value_kind:     by_value
      - .offset:         144
        .size:           4
        .value_kind:     hidden_block_count_x
      - .offset:         148
        .size:           4
        .value_kind:     hidden_block_count_y
      - .offset:         152
        .size:           4
        .value_kind:     hidden_block_count_z
      - .offset:         156
        .size:           2
        .value_kind:     hidden_group_size_x
      - .offset:         158
        .size:           2
        .value_kind:     hidden_group_size_y
      - .offset:         160
        .size:           2
        .value_kind:     hidden_group_size_z
      - .offset:         162
        .size:           2
        .value_kind:     hidden_remainder_x
      - .offset:         164
        .size:           2
        .value_kind:     hidden_remainder_y
      - .offset:         166
        .size:           2
        .value_kind:     hidden_remainder_z
      - .offset:         184
        .size:           8
        .value_kind:     hidden_global_offset_x
      - .offset:         192
        .size:           8
        .value_kind:     hidden_global_offset_y
      - .offset:         200
        .size:           8
        .value_kind:     hidden_global_offset_z
      - .offset:         208
        .size:           2
        .value_kind:     hidden_grid_dims
    .group_segment_fixed_size: 32
    .kernarg_segment_align: 8
    .kernarg_segment_size: 400
    .language:       OpenCL C
    .language_version:
      - 2
      - 0
    .max_flat_workgroup_size: 1024
    .name:           _ZN5aiter35fused_qk_rmsnorm_group_quant_kernelItDB8_Li256ELi16ELi8ELb0ELb1ELb0ELb1ELb0ELb0EEEvPT0_PvPT_S6_S6_PKS5_S8_S8_S8_S8_ffiiiiiiiiiiiii
    .private_segment_fixed_size: 0
    .sgpr_count:     36
    .sgpr_spill_count: 0
    .symbol:         _ZN5aiter35fused_qk_rmsnorm_group_quant_kernelItDB8_Li256ELi16ELi8ELb0ELb1ELb0ELb1ELb0ELb0EEEvPT0_PvPT_S6_S6_PKS5_S8_S8_S8_S8_ffiiiiiiiiiiiii.kd
    .uniform_work_group_size: 1
    .uses_dynamic_stack: false
    .vgpr_count:     35
    .vgpr_spill_count: 0
    .wavefront_size: 64
  - .agpr_count:     0
    .args:
      - .actual_access:  read_only
        .address_space:  global
        .offset:         0
        .size:           8
        .value_kind:     global_buffer
      - .actual_access:  read_only
        .address_space:  global
        .offset:         8
        .size:           8
        .value_kind:     global_buffer
      - .actual_access:  write_only
        .address_space:  global
        .offset:         16
        .size:           8
        .value_kind:     global_buffer
      - .actual_access:  write_only
        .address_space:  global
        .offset:         24
        .size:           8
        .value_kind:     global_buffer
      - .actual_access:  read_only
        .address_space:  global
        .offset:         32
        .size:           8
        .value_kind:     global_buffer
      - .actual_access:  read_only
        .address_space:  global
        .offset:         40
        .size:           8
        .value_kind:     global_buffer
      - .actual_access:  read_only
        .address_space:  global
        .offset:         48
        .size:           8
        .value_kind:     global_buffer
      - .actual_access:  read_only
        .address_space:  global
        .offset:         56
        .size:           8
        .value_kind:     global_buffer
      - .actual_access:  read_only
        .address_space:  global
        .offset:         64
        .size:           8
        .value_kind:     global_buffer
      - .actual_access:  read_only
        .address_space:  global
        .offset:         72
        .size:           8
        .value_kind:     global_buffer
      - .offset:         80
        .size:           4
        .value_kind:     by_value
      - .offset:         84
        .size:           4
        .value_kind:     by_value
      - .offset:         88
        .size:           4
        .value_kind:     by_value
      - .offset:         92
        .size:           4
        .value_kind:     by_value
      - .offset:         96
        .size:           4
        .value_kind:     by_value
      - .offset:         100
        .size:           4
        .value_kind:     by_value
      - .offset:         104
        .size:           4
        .value_kind:     by_value
      - .offset:         108
        .size:           4
        .value_kind:     by_value
      - .offset:         112
        .size:           4
        .value_kind:     by_value
      - .offset:         116
        .size:           4
        .value_kind:     by_value
      - .offset:         120
        .size:           4
        .value_kind:     by_value
      - .offset:         124
        .size:           4
        .value_kind:     by_value
      - .offset:         128
        .size:           4
        .value_kind:     by_value
      - .offset:         132
        .size:           4
        .value_kind:     by_value
      - .offset:         136
        .size:           4
        .value_kind:     by_value
      - .offset:         144
        .size:           4
        .value_kind:     hidden_block_count_x
      - .offset:         148
        .size:           4
        .value_kind:     hidden_block_count_y
      - .offset:         152
        .size:           4
        .value_kind:     hidden_block_count_z
      - .offset:         156
        .size:           2
        .value_kind:     hidden_group_size_x
      - .offset:         158
        .size:           2
        .value_kind:     hidden_group_size_y
      - .offset:         160
        .size:           2
        .value_kind:     hidden_group_size_z
      - .offset:         162
        .size:           2
        .value_kind:     hidden_remainder_x
      - .offset:         164
        .size:           2
        .value_kind:     hidden_remainder_y
      - .offset:         166
        .size:           2
        .value_kind:     hidden_remainder_z
      - .offset:         184
        .size:           8
        .value_kind:     hidden_global_offset_x
      - .offset:         192
        .size:           8
        .value_kind:     hidden_global_offset_y
      - .offset:         200
        .size:           8
        .value_kind:     hidden_global_offset_z
      - .offset:         208
        .size:           2
        .value_kind:     hidden_grid_dims
    .group_segment_fixed_size: 32
    .kernarg_segment_align: 8
    .kernarg_segment_size: 400
    .language:       OpenCL C
    .language_version:
      - 2
      - 0
    .max_flat_workgroup_size: 1024
    .name:           _ZN5aiter35fused_qk_rmsnorm_group_quant_kernelIDF16_N4opus5fp4_tELi256ELi16ELi8ELb0ELb1ELb0ELb1ELb0ELb0EEEvPT0_PvPT_S7_S7_PKS6_S9_S9_S9_S9_ffiiiiiiiiiiiii
    .private_segment_fixed_size: 0
    .sgpr_count:     36
    .sgpr_spill_count: 0
    .symbol:         _ZN5aiter35fused_qk_rmsnorm_group_quant_kernelIDF16_N4opus5fp4_tELi256ELi16ELi8ELb0ELb1ELb0ELb1ELb0ELb0EEEvPT0_PvPT_S7_S7_PKS6_S9_S9_S9_S9_ffiiiiiiiiiiiii.kd
    .uniform_work_group_size: 1
    .uses_dynamic_stack: false
    .vgpr_count:     35
    .vgpr_spill_count: 0
    .wavefront_size: 64
  - .agpr_count:     0
    .args:
      - .actual_access:  read_only
        .address_space:  global
        .offset:         0
        .size:           8
        .value_kind:     global_buffer
      - .actual_access:  read_only
        .address_space:  global
        .offset:         8
        .size:           8
        .value_kind:     global_buffer
      - .actual_access:  write_only
        .address_space:  global
        .offset:         16
        .size:           8
        .value_kind:     global_buffer
      - .actual_access:  write_only
        .address_space:  global
        .offset:         24
        .size:           8
        .value_kind:     global_buffer
      - .actual_access:  read_only
        .address_space:  global
        .offset:         32
        .size:           8
        .value_kind:     global_buffer
      - .actual_access:  read_only
        .address_space:  global
        .offset:         40
        .size:           8
        .value_kind:     global_buffer
      - .actual_access:  read_only
        .address_space:  global
        .offset:         48
        .size:           8
        .value_kind:     global_buffer
      - .actual_access:  read_only
        .address_space:  global
        .offset:         56
        .size:           8
        .value_kind:     global_buffer
      - .actual_access:  read_only
        .address_space:  global
        .offset:         64
        .size:           8
        .value_kind:     global_buffer
      - .actual_access:  read_only
        .address_space:  global
        .offset:         72
        .size:           8
        .value_kind:     global_buffer
      - .offset:         80
        .size:           4
        .value_kind:     by_value
      - .offset:         84
        .size:           4
        .value_kind:     by_value
      - .offset:         88
        .size:           4
        .value_kind:     by_value
      - .offset:         92
        .size:           4
        .value_kind:     by_value
      - .offset:         96
        .size:           4
        .value_kind:     by_value
      - .offset:         100
        .size:           4
        .value_kind:     by_value
      - .offset:         104
        .size:           4
        .value_kind:     by_value
      - .offset:         108
        .size:           4
        .value_kind:     by_value
      - .offset:         112
        .size:           4
        .value_kind:     by_value
      - .offset:         116
        .size:           4
        .value_kind:     by_value
      - .offset:         120
        .size:           4
        .value_kind:     by_value
      - .offset:         124
        .size:           4
        .value_kind:     by_value
      - .offset:         128
        .size:           4
        .value_kind:     by_value
      - .offset:         132
        .size:           4
        .value_kind:     by_value
      - .offset:         136
        .size:           4
        .value_kind:     by_value
      - .offset:         144
        .size:           4
        .value_kind:     hidden_block_count_x
      - .offset:         148
        .size:           4
        .value_kind:     hidden_block_count_y
      - .offset:         152
        .size:           4
        .value_kind:     hidden_block_count_z
      - .offset:         156
        .size:           2
        .value_kind:     hidden_group_size_x
      - .offset:         158
        .size:           2
        .value_kind:     hidden_group_size_y
      - .offset:         160
        .size:           2
        .value_kind:     hidden_group_size_z
      - .offset:         162
        .size:           2
        .value_kind:     hidden_remainder_x
      - .offset:         164
        .size:           2
        .value_kind:     hidden_remainder_y
      - .offset:         166
        .size:           2
        .value_kind:     hidden_remainder_z
      - .offset:         184
        .size:           8
        .value_kind:     hidden_global_offset_x
      - .offset:         192
        .size:           8
        .value_kind:     hidden_global_offset_y
      - .offset:         200
        .size:           8
        .value_kind:     hidden_global_offset_z
      - .offset:         208
        .size:           2
        .value_kind:     hidden_grid_dims
    .group_segment_fixed_size: 32
    .kernarg_segment_align: 8
    .kernarg_segment_size: 400
    .language:       OpenCL C
    .language_version:
      - 2
      - 0
    .max_flat_workgroup_size: 1024
    .name:           _ZN5aiter35fused_qk_rmsnorm_group_quant_kernelItN4opus5fp4_tELi256ELi16ELi8ELb0ELb1ELb0ELb1ELb0ELb0EEEvPT0_PvPT_S7_S7_PKS6_S9_S9_S9_S9_ffiiiiiiiiiiiii
    .private_segment_fixed_size: 0
    .sgpr_count:     36
    .sgpr_spill_count: 0
    .symbol:         _ZN5aiter35fused_qk_rmsnorm_group_quant_kernelItN4opus5fp4_tELi256ELi16ELi8ELb0ELb1ELb0ELb1ELb0ELb0EEEvPT0_PvPT_S7_S7_PKS6_S9_S9_S9_S9_ffiiiiiiiiiiiii.kd
    .uniform_work_group_size: 1
    .uses_dynamic_stack: false
    .vgpr_count:     35
    .vgpr_spill_count: 0
    .wavefront_size: 64
  - .agpr_count:     0
    .args:
      - .actual_access:  write_only
        .address_space:  global
        .offset:         0
        .size:           8
        .value_kind:     global_buffer
      - .actual_access:  write_only
        .address_space:  global
        .offset:         8
        .size:           8
        .value_kind:     global_buffer
      - .actual_access:  write_only
        .address_space:  global
        .offset:         16
        .size:           8
        .value_kind:     global_buffer
      - .actual_access:  write_only
        .address_space:  global
        .offset:         24
        .size:           8
        .value_kind:     global_buffer
      - .actual_access:  write_only
        .address_space:  global
        .offset:         32
        .size:           8
        .value_kind:     global_buffer
      - .actual_access:  read_only
        .address_space:  global
        .offset:         40
        .size:           8
        .value_kind:     global_buffer
      - .actual_access:  read_only
        .address_space:  global
        .offset:         48
        .size:           8
        .value_kind:     global_buffer
      - .actual_access:  read_only
        .address_space:  global
        .offset:         56
        .size:           8
        .value_kind:     global_buffer
      - .actual_access:  read_only
        .address_space:  global
        .offset:         64
        .size:           8
        .value_kind:     global_buffer
      - .actual_access:  read_only
        .address_space:  global
        .offset:         72
        .size:           8
        .value_kind:     global_buffer
      - .offset:         80
        .size:           4
        .value_kind:     by_value
      - .offset:         84
        .size:           4
        .value_kind:     by_value
      - .offset:         88
        .size:           4
        .value_kind:     by_value
      - .offset:         92
        .size:           4
        .value_kind:     by_value
      - .offset:         96
        .size:           4
        .value_kind:     by_value
      - .offset:         100
        .size:           4
        .value_kind:     by_value
      - .offset:         104
        .size:           4
        .value_kind:     by_value
      - .offset:         108
        .size:           4
        .value_kind:     by_value
      - .offset:         112
        .size:           4
        .value_kind:     by_value
      - .offset:         116
        .size:           4
        .value_kind:     by_value
      - .offset:         120
        .size:           4
        .value_kind:     by_value
      - .offset:         124
        .size:           4
        .value_kind:     by_value
      - .offset:         128
        .size:           4
        .value_kind:     by_value
      - .offset:         132
        .size:           4
        .value_kind:     by_value
      - .offset:         136
        .size:           4
        .value_kind:     by_value
      - .offset:         144
        .size:           4
        .value_kind:     hidden_block_count_x
      - .offset:         148
        .size:           4
        .value_kind:     hidden_block_count_y
      - .offset:         152
        .size:           4
        .value_kind:     hidden_block_count_z
      - .offset:         156
        .size:           2
        .value_kind:     hidden_group_size_x
      - .offset:         158
        .size:           2
        .value_kind:     hidden_group_size_y
      - .offset:         160
        .size:           2
        .value_kind:     hidden_group_size_z
      - .offset:         162
        .size:           2
        .value_kind:     hidden_remainder_x
      - .offset:         164
        .size:           2
        .value_kind:     hidden_remainder_y
      - .offset:         166
        .size:           2
        .value_kind:     hidden_remainder_z
      - .offset:         184
        .size:           8
        .value_kind:     hidden_global_offset_x
      - .offset:         192
        .size:           8
        .value_kind:     hidden_global_offset_y
      - .offset:         200
        .size:           8
        .value_kind:     hidden_global_offset_z
      - .offset:         208
        .size:           2
        .value_kind:     hidden_grid_dims
    .group_segment_fixed_size: 32
    .kernarg_segment_align: 8
    .kernarg_segment_size: 400
    .language:       OpenCL C
    .language_version:
      - 2
      - 0
    .max_flat_workgroup_size: 1024
    .name:           _ZN5aiter35fused_qk_rmsnorm_group_quant_kernelIDF16_DB8_Li256ELi16ELi8ELb1ELb1ELb1ELb0ELb0ELb0EEEvPT0_PvPT_S6_S6_PKS5_S8_S8_S8_S8_ffiiiiiiiiiiiii
    .private_segment_fixed_size: 0
    .sgpr_count:     48
    .sgpr_spill_count: 0
    .symbol:         _ZN5aiter35fused_qk_rmsnorm_group_quant_kernelIDF16_DB8_Li256ELi16ELi8ELb1ELb1ELb1ELb0ELb0ELb0EEEvPT0_PvPT_S6_S6_PKS5_S8_S8_S8_S8_ffiiiiiiiiiiiii.kd
    .uniform_work_group_size: 1
    .uses_dynamic_stack: false
    .vgpr_count:     90
    .vgpr_spill_count: 0
    .wavefront_size: 64
  - .agpr_count:     0
    .args:
      - .actual_access:  write_only
        .address_space:  global
        .offset:         0
        .size:           8
        .value_kind:     global_buffer
      - .actual_access:  write_only
        .address_space:  global
        .offset:         8
        .size:           8
        .value_kind:     global_buffer
      - .actual_access:  write_only
        .address_space:  global
        .offset:         16
        .size:           8
        .value_kind:     global_buffer
      - .actual_access:  write_only
        .address_space:  global
        .offset:         24
        .size:           8
        .value_kind:     global_buffer
      - .actual_access:  write_only
        .address_space:  global
        .offset:         32
        .size:           8
        .value_kind:     global_buffer
      - .actual_access:  read_only
        .address_space:  global
        .offset:         40
        .size:           8
        .value_kind:     global_buffer
      - .actual_access:  read_only
        .address_space:  global
        .offset:         48
        .size:           8
        .value_kind:     global_buffer
      - .actual_access:  read_only
        .address_space:  global
        .offset:         56
        .size:           8
        .value_kind:     global_buffer
      - .actual_access:  read_only
        .address_space:  global
        .offset:         64
        .size:           8
        .value_kind:     global_buffer
      - .actual_access:  read_only
        .address_space:  global
        .offset:         72
        .size:           8
        .value_kind:     global_buffer
      - .offset:         80
        .size:           4
        .value_kind:     by_value
      - .offset:         84
        .size:           4
        .value_kind:     by_value
      - .offset:         88
        .size:           4
        .value_kind:     by_value
      - .offset:         92
        .size:           4
        .value_kind:     by_value
      - .offset:         96
        .size:           4
        .value_kind:     by_value
      - .offset:         100
        .size:           4
        .value_kind:     by_value
      - .offset:         104
        .size:           4
        .value_kind:     by_value
      - .offset:         108
        .size:           4
        .value_kind:     by_value
      - .offset:         112
        .size:           4
        .value_kind:     by_value
      - .offset:         116
        .size:           4
        .value_kind:     by_value
      - .offset:         120
        .size:           4
        .value_kind:     by_value
      - .offset:         124
        .size:           4
        .value_kind:     by_value
      - .offset:         128
        .size:           4
        .value_kind:     by_value
      - .offset:         132
        .size:           4
        .value_kind:     by_value
      - .offset:         136
        .size:           4
        .value_kind:     by_value
      - .offset:         144
        .size:           4
        .value_kind:     hidden_block_count_x
      - .offset:         148
        .size:           4
        .value_kind:     hidden_block_count_y
      - .offset:         152
        .size:           4
        .value_kind:     hidden_block_count_z
      - .offset:         156
        .size:           2
        .value_kind:     hidden_group_size_x
      - .offset:         158
        .size:           2
        .value_kind:     hidden_group_size_y
      - .offset:         160
        .size:           2
        .value_kind:     hidden_group_size_z
      - .offset:         162
        .size:           2
        .value_kind:     hidden_remainder_x
      - .offset:         164
        .size:           2
        .value_kind:     hidden_remainder_y
      - .offset:         166
        .size:           2
        .value_kind:     hidden_remainder_z
      - .offset:         184
        .size:           8
        .value_kind:     hidden_global_offset_x
      - .offset:         192
        .size:           8
        .value_kind:     hidden_global_offset_y
      - .offset:         200
        .size:           8
        .value_kind:     hidden_global_offset_z
      - .offset:         208
        .size:           2
        .value_kind:     hidden_grid_dims
    .group_segment_fixed_size: 32
    .kernarg_segment_align: 8
    .kernarg_segment_size: 400
    .language:       OpenCL C
    .language_version:
      - 2
      - 0
    .max_flat_workgroup_size: 1024
    .name:           _ZN5aiter35fused_qk_rmsnorm_group_quant_kernelItDB8_Li256ELi16ELi8ELb1ELb1ELb1ELb0ELb0ELb0EEEvPT0_PvPT_S6_S6_PKS5_S8_S8_S8_S8_ffiiiiiiiiiiiii
    .private_segment_fixed_size: 0
    .sgpr_count:     48
    .sgpr_spill_count: 0
    .symbol:         _ZN5aiter35fused_qk_rmsnorm_group_quant_kernelItDB8_Li256ELi16ELi8ELb1ELb1ELb1ELb0ELb0ELb0EEEvPT0_PvPT_S6_S6_PKS5_S8_S8_S8_S8_ffiiiiiiiiiiiii.kd
    .uniform_work_group_size: 1
    .uses_dynamic_stack: false
    .vgpr_count:     88
    .vgpr_spill_count: 0
    .wavefront_size: 64
  - .agpr_count:     0
    .args:
      - .actual_access:  write_only
        .address_space:  global
        .offset:         0
        .size:           8
        .value_kind:     global_buffer
      - .actual_access:  write_only
        .address_space:  global
        .offset:         8
        .size:           8
        .value_kind:     global_buffer
      - .actual_access:  write_only
        .address_space:  global
        .offset:         16
        .size:           8
        .value_kind:     global_buffer
      - .actual_access:  write_only
        .address_space:  global
        .offset:         24
        .size:           8
        .value_kind:     global_buffer
      - .actual_access:  write_only
        .address_space:  global
        .offset:         32
        .size:           8
        .value_kind:     global_buffer
      - .actual_access:  read_only
        .address_space:  global
        .offset:         40
        .size:           8
        .value_kind:     global_buffer
      - .actual_access:  read_only
        .address_space:  global
        .offset:         48
        .size:           8
        .value_kind:     global_buffer
      - .actual_access:  read_only
        .address_space:  global
        .offset:         56
        .size:           8
        .value_kind:     global_buffer
      - .actual_access:  read_only
        .address_space:  global
        .offset:         64
        .size:           8
        .value_kind:     global_buffer
      - .actual_access:  read_only
        .address_space:  global
        .offset:         72
        .size:           8
        .value_kind:     global_buffer
      - .offset:         80
        .size:           4
        .value_kind:     by_value
      - .offset:         84
        .size:           4
        .value_kind:     by_value
      - .offset:         88
        .size:           4
        .value_kind:     by_value
      - .offset:         92
        .size:           4
        .value_kind:     by_value
      - .offset:         96
        .size:           4
        .value_kind:     by_value
      - .offset:         100
        .size:           4
        .value_kind:     by_value
      - .offset:         104
        .size:           4
        .value_kind:     by_value
      - .offset:         108
        .size:           4
        .value_kind:     by_value
      - .offset:         112
        .size:           4
        .value_kind:     by_value
      - .offset:         116
        .size:           4
        .value_kind:     by_value
      - .offset:         120
        .size:           4
        .value_kind:     by_value
      - .offset:         124
        .size:           4
        .value_kind:     by_value
      - .offset:         128
        .size:           4
        .value_kind:     by_value
      - .offset:         132
        .size:           4
        .value_kind:     by_value
      - .offset:         136
        .size:           4
        .value_kind:     by_value
      - .offset:         144
        .size:           4
        .value_kind:     hidden_block_count_x
      - .offset:         148
        .size:           4
        .value_kind:     hidden_block_count_y
      - .offset:         152
        .size:           4
        .value_kind:     hidden_block_count_z
      - .offset:         156
        .size:           2
        .value_kind:     hidden_group_size_x
      - .offset:         158
        .size:           2
        .value_kind:     hidden_group_size_y
      - .offset:         160
        .size:           2
        .value_kind:     hidden_group_size_z
      - .offset:         162
        .size:           2
        .value_kind:     hidden_remainder_x
      - .offset:         164
        .size:           2
        .value_kind:     hidden_remainder_y
      - .offset:         166
        .size:           2
        .value_kind:     hidden_remainder_z
      - .offset:         184
        .size:           8
        .value_kind:     hidden_global_offset_x
      - .offset:         192
        .size:           8
        .value_kind:     hidden_global_offset_y
      - .offset:         200
        .size:           8
        .value_kind:     hidden_global_offset_z
      - .offset:         208
        .size:           2
        .value_kind:     hidden_grid_dims
    .group_segment_fixed_size: 32
    .kernarg_segment_align: 8
    .kernarg_segment_size: 400
    .language:       OpenCL C
    .language_version:
      - 2
      - 0
    .max_flat_workgroup_size: 1024
    .name:           _ZN5aiter35fused_qk_rmsnorm_group_quant_kernelIDF16_N4opus5fp4_tELi256ELi16ELi8ELb1ELb1ELb1ELb0ELb0ELb0EEEvPT0_PvPT_S7_S7_PKS6_S9_S9_S9_S9_ffiiiiiiiiiiiii
    .private_segment_fixed_size: 0
    .sgpr_count:     48
    .sgpr_spill_count: 0
    .symbol:         _ZN5aiter35fused_qk_rmsnorm_group_quant_kernelIDF16_N4opus5fp4_tELi256ELi16ELi8ELb1ELb1ELb1ELb0ELb0ELb0EEEvPT0_PvPT_S7_S7_PKS6_S9_S9_S9_S9_ffiiiiiiiiiiiii.kd
    .uniform_work_group_size: 1
    .uses_dynamic_stack: false
    .vgpr_count:     49
    .vgpr_spill_count: 0
    .wavefront_size: 64
  - .agpr_count:     0
    .args:
      - .actual_access:  write_only
        .address_space:  global
        .offset:         0
        .size:           8
        .value_kind:     global_buffer
      - .actual_access:  write_only
        .address_space:  global
        .offset:         8
        .size:           8
        .value_kind:     global_buffer
      - .actual_access:  write_only
        .address_space:  global
        .offset:         16
        .size:           8
        .value_kind:     global_buffer
      - .actual_access:  write_only
        .address_space:  global
        .offset:         24
        .size:           8
        .value_kind:     global_buffer
      - .actual_access:  write_only
        .address_space:  global
        .offset:         32
        .size:           8
        .value_kind:     global_buffer
      - .actual_access:  read_only
        .address_space:  global
        .offset:         40
        .size:           8
        .value_kind:     global_buffer
      - .actual_access:  read_only
        .address_space:  global
        .offset:         48
        .size:           8
        .value_kind:     global_buffer
      - .actual_access:  read_only
        .address_space:  global
        .offset:         56
        .size:           8
        .value_kind:     global_buffer
      - .actual_access:  read_only
        .address_space:  global
        .offset:         64
        .size:           8
        .value_kind:     global_buffer
      - .actual_access:  read_only
        .address_space:  global
        .offset:         72
        .size:           8
        .value_kind:     global_buffer
      - .offset:         80
        .size:           4
        .value_kind:     by_value
      - .offset:         84
        .size:           4
        .value_kind:     by_value
      - .offset:         88
        .size:           4
        .value_kind:     by_value
      - .offset:         92
        .size:           4
        .value_kind:     by_value
      - .offset:         96
        .size:           4
        .value_kind:     by_value
      - .offset:         100
        .size:           4
        .value_kind:     by_value
      - .offset:         104
        .size:           4
        .value_kind:     by_value
      - .offset:         108
        .size:           4
        .value_kind:     by_value
      - .offset:         112
        .size:           4
        .value_kind:     by_value
      - .offset:         116
        .size:           4
        .value_kind:     by_value
      - .offset:         120
        .size:           4
        .value_kind:     by_value
      - .offset:         124
        .size:           4
        .value_kind:     by_value
      - .offset:         128
        .size:           4
        .value_kind:     by_value
      - .offset:         132
        .size:           4
        .value_kind:     by_value
      - .offset:         136
        .size:           4
        .value_kind:     by_value
      - .offset:         144
        .size:           4
        .value_kind:     hidden_block_count_x
      - .offset:         148
        .size:           4
        .value_kind:     hidden_block_count_y
      - .offset:         152
        .size:           4
        .value_kind:     hidden_block_count_z
      - .offset:         156
        .size:           2
        .value_kind:     hidden_group_size_x
      - .offset:         158
        .size:           2
        .value_kind:     hidden_group_size_y
      - .offset:         160
        .size:           2
        .value_kind:     hidden_group_size_z
      - .offset:         162
        .size:           2
        .value_kind:     hidden_remainder_x
      - .offset:         164
        .size:           2
        .value_kind:     hidden_remainder_y
      - .offset:         166
        .size:           2
        .value_kind:     hidden_remainder_z
      - .offset:         184
        .size:           8
        .value_kind:     hidden_global_offset_x
      - .offset:         192
        .size:           8
        .value_kind:     hidden_global_offset_y
      - .offset:         200
        .size:           8
        .value_kind:     hidden_global_offset_z
      - .offset:         208
        .size:           2
        .value_kind:     hidden_grid_dims
    .group_segment_fixed_size: 32
    .kernarg_segment_align: 8
    .kernarg_segment_size: 400
    .language:       OpenCL C
    .language_version:
      - 2
      - 0
    .max_flat_workgroup_size: 1024
    .name:           _ZN5aiter35fused_qk_rmsnorm_group_quant_kernelItN4opus5fp4_tELi256ELi16ELi8ELb1ELb1ELb1ELb0ELb0ELb0EEEvPT0_PvPT_S7_S7_PKS6_S9_S9_S9_S9_ffiiiiiiiiiiiii
    .private_segment_fixed_size: 0
    .sgpr_count:     48
    .sgpr_spill_count: 0
    .symbol:         _ZN5aiter35fused_qk_rmsnorm_group_quant_kernelItN4opus5fp4_tELi256ELi16ELi8ELb1ELb1ELb1ELb0ELb0ELb0EEEvPT0_PvPT_S7_S7_PKS6_S9_S9_S9_S9_ffiiiiiiiiiiiii.kd
    .uniform_work_group_size: 1
    .uses_dynamic_stack: false
    .vgpr_count:     76
    .vgpr_spill_count: 0
    .wavefront_size: 64
  - .agpr_count:     0
    .args:
      - .actual_access:  write_only
        .address_space:  global
        .offset:         0
        .size:           8
        .value_kind:     global_buffer
      - .actual_access:  write_only
        .address_space:  global
        .offset:         8
        .size:           8
        .value_kind:     global_buffer
      - .actual_access:  write_only
        .address_space:  global
        .offset:         16
        .size:           8
        .value_kind:     global_buffer
      - .actual_access:  write_only
        .address_space:  global
        .offset:         24
        .size:           8
        .value_kind:     global_buffer
      - .actual_access:  write_only
        .address_space:  global
        .offset:         32
        .size:           8
        .value_kind:     global_buffer
      - .actual_access:  read_only
        .address_space:  global
        .offset:         40
        .size:           8
        .value_kind:     global_buffer
      - .actual_access:  read_only
        .address_space:  global
        .offset:         48
        .size:           8
        .value_kind:     global_buffer
      - .actual_access:  read_only
        .address_space:  global
        .offset:         56
        .size:           8
        .value_kind:     global_buffer
      - .actual_access:  read_only
        .address_space:  global
        .offset:         64
        .size:           8
        .value_kind:     global_buffer
      - .actual_access:  read_only
        .address_space:  global
        .offset:         72
        .size:           8
        .value_kind:     global_buffer
      - .offset:         80
        .size:           4
        .value_kind:     by_value
      - .offset:         84
        .size:           4
        .value_kind:     by_value
      - .offset:         88
        .size:           4
        .value_kind:     by_value
      - .offset:         92
        .size:           4
        .value_kind:     by_value
      - .offset:         96
        .size:           4
        .value_kind:     by_value
      - .offset:         100
        .size:           4
        .value_kind:     by_value
      - .offset:         104
        .size:           4
        .value_kind:     by_value
      - .offset:         108
        .size:           4
        .value_kind:     by_value
      - .offset:         112
        .size:           4
        .value_kind:     by_value
      - .offset:         116
        .size:           4
        .value_kind:     by_value
      - .offset:         120
        .size:           4
        .value_kind:     by_value
      - .offset:         124
        .size:           4
        .value_kind:     by_value
      - .offset:         128
        .size:           4
        .value_kind:     by_value
      - .offset:         132
        .size:           4
        .value_kind:     by_value
      - .offset:         136
        .size:           4
        .value_kind:     by_value
      - .offset:         144
        .size:           4
        .value_kind:     hidden_block_count_x
      - .offset:         148
        .size:           4
        .value_kind:     hidden_block_count_y
      - .offset:         152
        .size:           4
        .value_kind:     hidden_block_count_z
      - .offset:         156
        .size:           2
        .value_kind:     hidden_group_size_x
      - .offset:         158
        .size:           2
        .value_kind:     hidden_group_size_y
      - .offset:         160
        .size:           2
        .value_kind:     hidden_group_size_z
      - .offset:         162
        .size:           2
        .value_kind:     hidden_remainder_x
      - .offset:         164
        .size:           2
        .value_kind:     hidden_remainder_y
      - .offset:         166
        .size:           2
        .value_kind:     hidden_remainder_z
      - .offset:         184
        .size:           8
        .value_kind:     hidden_global_offset_x
      - .offset:         192
        .size:           8
        .value_kind:     hidden_global_offset_y
      - .offset:         200
        .size:           8
        .value_kind:     hidden_global_offset_z
      - .offset:         208
        .size:           2
        .value_kind:     hidden_grid_dims
    .group_segment_fixed_size: 32
    .kernarg_segment_align: 8
    .kernarg_segment_size: 400
    .language:       OpenCL C
    .language_version:
      - 2
      - 0
    .max_flat_workgroup_size: 1024
    .name:           _ZN5aiter35fused_qk_rmsnorm_group_quant_kernelIDF16_DB8_Li256ELi16ELi8ELb1ELb1ELb0ELb0ELb0ELb0EEEvPT0_PvPT_S6_S6_PKS5_S8_S8_S8_S8_ffiiiiiiiiiiiii
    .private_segment_fixed_size: 0
    .sgpr_count:     48
    .sgpr_spill_count: 0
    .symbol:         _ZN5aiter35fused_qk_rmsnorm_group_quant_kernelIDF16_DB8_Li256ELi16ELi8ELb1ELb1ELb0ELb0ELb0ELb0EEEvPT0_PvPT_S6_S6_PKS5_S8_S8_S8_S8_ffiiiiiiiiiiiii.kd
    .uniform_work_group_size: 1
    .uses_dynamic_stack: false
    .vgpr_count:     94
    .vgpr_spill_count: 0
    .wavefront_size: 64
  - .agpr_count:     0
    .args:
      - .actual_access:  write_only
        .address_space:  global
        .offset:         0
        .size:           8
        .value_kind:     global_buffer
      - .actual_access:  write_only
        .address_space:  global
        .offset:         8
        .size:           8
        .value_kind:     global_buffer
      - .actual_access:  write_only
        .address_space:  global
        .offset:         16
        .size:           8
        .value_kind:     global_buffer
      - .actual_access:  write_only
        .address_space:  global
        .offset:         24
        .size:           8
        .value_kind:     global_buffer
      - .actual_access:  write_only
        .address_space:  global
        .offset:         32
        .size:           8
        .value_kind:     global_buffer
      - .actual_access:  read_only
        .address_space:  global
        .offset:         40
        .size:           8
        .value_kind:     global_buffer
      - .actual_access:  read_only
        .address_space:  global
        .offset:         48
        .size:           8
        .value_kind:     global_buffer
      - .actual_access:  read_only
        .address_space:  global
        .offset:         56
        .size:           8
        .value_kind:     global_buffer
      - .actual_access:  read_only
        .address_space:  global
        .offset:         64
        .size:           8
        .value_kind:     global_buffer
      - .actual_access:  read_only
        .address_space:  global
        .offset:         72
        .size:           8
        .value_kind:     global_buffer
      - .offset:         80
        .size:           4
        .value_kind:     by_value
      - .offset:         84
        .size:           4
        .value_kind:     by_value
      - .offset:         88
        .size:           4
        .value_kind:     by_value
      - .offset:         92
        .size:           4
        .value_kind:     by_value
      - .offset:         96
        .size:           4
        .value_kind:     by_value
      - .offset:         100
        .size:           4
        .value_kind:     by_value
      - .offset:         104
        .size:           4
        .value_kind:     by_value
      - .offset:         108
        .size:           4
        .value_kind:     by_value
      - .offset:         112
        .size:           4
        .value_kind:     by_value
      - .offset:         116
        .size:           4
        .value_kind:     by_value
      - .offset:         120
        .size:           4
        .value_kind:     by_value
      - .offset:         124
        .size:           4
        .value_kind:     by_value
      - .offset:         128
        .size:           4
        .value_kind:     by_value
      - .offset:         132
        .size:           4
        .value_kind:     by_value
      - .offset:         136
        .size:           4
        .value_kind:     by_value
      - .offset:         144
        .size:           4
        .value_kind:     hidden_block_count_x
      - .offset:         148
        .size:           4
        .value_kind:     hidden_block_count_y
      - .offset:         152
        .size:           4
        .value_kind:     hidden_block_count_z
      - .offset:         156
        .size:           2
        .value_kind:     hidden_group_size_x
      - .offset:         158
        .size:           2
        .value_kind:     hidden_group_size_y
      - .offset:         160
        .size:           2
        .value_kind:     hidden_group_size_z
      - .offset:         162
        .size:           2
        .value_kind:     hidden_remainder_x
      - .offset:         164
        .size:           2
        .value_kind:     hidden_remainder_y
      - .offset:         166
        .size:           2
        .value_kind:     hidden_remainder_z
      - .offset:         184
        .size:           8
        .value_kind:     hidden_global_offset_x
      - .offset:         192
        .size:           8
        .value_kind:     hidden_global_offset_y
      - .offset:         200
        .size:           8
        .value_kind:     hidden_global_offset_z
      - .offset:         208
        .size:           2
        .value_kind:     hidden_grid_dims
    .group_segment_fixed_size: 32
    .kernarg_segment_align: 8
    .kernarg_segment_size: 400
    .language:       OpenCL C
    .language_version:
      - 2
      - 0
    .max_flat_workgroup_size: 1024
    .name:           _ZN5aiter35fused_qk_rmsnorm_group_quant_kernelItDB8_Li256ELi16ELi8ELb1ELb1ELb0ELb0ELb0ELb0EEEvPT0_PvPT_S6_S6_PKS5_S8_S8_S8_S8_ffiiiiiiiiiiiii
    .private_segment_fixed_size: 0
    .sgpr_count:     48
    .sgpr_spill_count: 0
    .symbol:         _ZN5aiter35fused_qk_rmsnorm_group_quant_kernelItDB8_Li256ELi16ELi8ELb1ELb1ELb0ELb0ELb0ELb0EEEvPT0_PvPT_S6_S6_PKS5_S8_S8_S8_S8_ffiiiiiiiiiiiii.kd
    .uniform_work_group_size: 1
    .uses_dynamic_stack: false
    .vgpr_count:     96
    .vgpr_spill_count: 0
    .wavefront_size: 64
  - .agpr_count:     0
    .args:
      - .actual_access:  write_only
        .address_space:  global
        .offset:         0
        .size:           8
        .value_kind:     global_buffer
      - .actual_access:  write_only
        .address_space:  global
        .offset:         8
        .size:           8
        .value_kind:     global_buffer
      - .actual_access:  write_only
        .address_space:  global
        .offset:         16
        .size:           8
        .value_kind:     global_buffer
      - .actual_access:  write_only
        .address_space:  global
        .offset:         24
        .size:           8
        .value_kind:     global_buffer
      - .actual_access:  write_only
        .address_space:  global
        .offset:         32
        .size:           8
        .value_kind:     global_buffer
      - .actual_access:  read_only
        .address_space:  global
        .offset:         40
        .size:           8
        .value_kind:     global_buffer
      - .actual_access:  read_only
        .address_space:  global
        .offset:         48
        .size:           8
        .value_kind:     global_buffer
      - .actual_access:  read_only
        .address_space:  global
        .offset:         56
        .size:           8
        .value_kind:     global_buffer
      - .actual_access:  read_only
        .address_space:  global
        .offset:         64
        .size:           8
        .value_kind:     global_buffer
      - .actual_access:  read_only
        .address_space:  global
        .offset:         72
        .size:           8
        .value_kind:     global_buffer
      - .offset:         80
        .size:           4
        .value_kind:     by_value
      - .offset:         84
        .size:           4
        .value_kind:     by_value
      - .offset:         88
        .size:           4
        .value_kind:     by_value
      - .offset:         92
        .size:           4
        .value_kind:     by_value
      - .offset:         96
        .size:           4
        .value_kind:     by_value
      - .offset:         100
        .size:           4
        .value_kind:     by_value
      - .offset:         104
        .size:           4
        .value_kind:     by_value
      - .offset:         108
        .size:           4
        .value_kind:     by_value
      - .offset:         112
        .size:           4
        .value_kind:     by_value
      - .offset:         116
        .size:           4
        .value_kind:     by_value
      - .offset:         120
        .size:           4
        .value_kind:     by_value
      - .offset:         124
        .size:           4
        .value_kind:     by_value
      - .offset:         128
        .size:           4
        .value_kind:     by_value
      - .offset:         132
        .size:           4
        .value_kind:     by_value
      - .offset:         136
        .size:           4
        .value_kind:     by_value
      - .offset:         144
        .size:           4
        .value_kind:     hidden_block_count_x
      - .offset:         148
        .size:           4
        .value_kind:     hidden_block_count_y
      - .offset:         152
        .size:           4
        .value_kind:     hidden_block_count_z
      - .offset:         156
        .size:           2
        .value_kind:     hidden_group_size_x
      - .offset:         158
        .size:           2
        .value_kind:     hidden_group_size_y
      - .offset:         160
        .size:           2
        .value_kind:     hidden_group_size_z
      - .offset:         162
        .size:           2
        .value_kind:     hidden_remainder_x
      - .offset:         164
        .size:           2
        .value_kind:     hidden_remainder_y
      - .offset:         166
        .size:           2
        .value_kind:     hidden_remainder_z
      - .offset:         184
        .size:           8
        .value_kind:     hidden_global_offset_x
      - .offset:         192
        .size:           8
        .value_kind:     hidden_global_offset_y
      - .offset:         200
        .size:           8
        .value_kind:     hidden_global_offset_z
      - .offset:         208
        .size:           2
        .value_kind:     hidden_grid_dims
    .group_segment_fixed_size: 32
    .kernarg_segment_align: 8
    .kernarg_segment_size: 400
    .language:       OpenCL C
    .language_version:
      - 2
      - 0
    .max_flat_workgroup_size: 1024
    .name:           _ZN5aiter35fused_qk_rmsnorm_group_quant_kernelIDF16_N4opus5fp4_tELi256ELi16ELi8ELb1ELb1ELb0ELb0ELb0ELb0EEEvPT0_PvPT_S7_S7_PKS6_S9_S9_S9_S9_ffiiiiiiiiiiiii
    .private_segment_fixed_size: 0
    .sgpr_count:     48
    .sgpr_spill_count: 0
    .symbol:         _ZN5aiter35fused_qk_rmsnorm_group_quant_kernelIDF16_N4opus5fp4_tELi256ELi16ELi8ELb1ELb1ELb0ELb0ELb0ELb0EEEvPT0_PvPT_S7_S7_PKS6_S9_S9_S9_S9_ffiiiiiiiiiiiii.kd
    .uniform_work_group_size: 1
    .uses_dynamic_stack: false
    .vgpr_count:     47
    .vgpr_spill_count: 0
    .wavefront_size: 64
  - .agpr_count:     0
    .args:
      - .actual_access:  write_only
        .address_space:  global
        .offset:         0
        .size:           8
        .value_kind:     global_buffer
      - .actual_access:  write_only
        .address_space:  global
        .offset:         8
        .size:           8
        .value_kind:     global_buffer
      - .actual_access:  write_only
        .address_space:  global
        .offset:         16
        .size:           8
        .value_kind:     global_buffer
      - .actual_access:  write_only
        .address_space:  global
        .offset:         24
        .size:           8
        .value_kind:     global_buffer
      - .actual_access:  write_only
        .address_space:  global
        .offset:         32
        .size:           8
        .value_kind:     global_buffer
      - .actual_access:  read_only
        .address_space:  global
        .offset:         40
        .size:           8
        .value_kind:     global_buffer
      - .actual_access:  read_only
        .address_space:  global
        .offset:         48
        .size:           8
        .value_kind:     global_buffer
      - .actual_access:  read_only
        .address_space:  global
        .offset:         56
        .size:           8
        .value_kind:     global_buffer
      - .actual_access:  read_only
        .address_space:  global
        .offset:         64
        .size:           8
        .value_kind:     global_buffer
      - .actual_access:  read_only
        .address_space:  global
        .offset:         72
        .size:           8
        .value_kind:     global_buffer
      - .offset:         80
        .size:           4
        .value_kind:     by_value
      - .offset:         84
        .size:           4
        .value_kind:     by_value
      - .offset:         88
        .size:           4
        .value_kind:     by_value
      - .offset:         92
        .size:           4
        .value_kind:     by_value
      - .offset:         96
        .size:           4
        .value_kind:     by_value
      - .offset:         100
        .size:           4
        .value_kind:     by_value
      - .offset:         104
        .size:           4
        .value_kind:     by_value
      - .offset:         108
        .size:           4
        .value_kind:     by_value
      - .offset:         112
        .size:           4
        .value_kind:     by_value
      - .offset:         116
        .size:           4
        .value_kind:     by_value
      - .offset:         120
        .size:           4
        .value_kind:     by_value
      - .offset:         124
        .size:           4
        .value_kind:     by_value
      - .offset:         128
        .size:           4
        .value_kind:     by_value
      - .offset:         132
        .size:           4
        .value_kind:     by_value
      - .offset:         136
        .size:           4
        .value_kind:     by_value
      - .offset:         144
        .size:           4
        .value_kind:     hidden_block_count_x
      - .offset:         148
        .size:           4
        .value_kind:     hidden_block_count_y
      - .offset:         152
        .size:           4
        .value_kind:     hidden_block_count_z
      - .offset:         156
        .size:           2
        .value_kind:     hidden_group_size_x
      - .offset:         158
        .size:           2
        .value_kind:     hidden_group_size_y
      - .offset:         160
        .size:           2
        .value_kind:     hidden_group_size_z
      - .offset:         162
        .size:           2
        .value_kind:     hidden_remainder_x
      - .offset:         164
        .size:           2
        .value_kind:     hidden_remainder_y
      - .offset:         166
        .size:           2
        .value_kind:     hidden_remainder_z
      - .offset:         184
        .size:           8
        .value_kind:     hidden_global_offset_x
      - .offset:         192
        .size:           8
        .value_kind:     hidden_global_offset_y
      - .offset:         200
        .size:           8
        .value_kind:     hidden_global_offset_z
      - .offset:         208
        .size:           2
        .value_kind:     hidden_grid_dims
    .group_segment_fixed_size: 32
    .kernarg_segment_align: 8
    .kernarg_segment_size: 400
    .language:       OpenCL C
    .language_version:
      - 2
      - 0
    .max_flat_workgroup_size: 1024
    .name:           _ZN5aiter35fused_qk_rmsnorm_group_quant_kernelItN4opus5fp4_tELi256ELi16ELi8ELb1ELb1ELb0ELb0ELb0ELb0EEEvPT0_PvPT_S7_S7_PKS6_S9_S9_S9_S9_ffiiiiiiiiiiiii
    .private_segment_fixed_size: 0
    .sgpr_count:     48
    .sgpr_spill_count: 0
    .symbol:         _ZN5aiter35fused_qk_rmsnorm_group_quant_kernelItN4opus5fp4_tELi256ELi16ELi8ELb1ELb1ELb0ELb0ELb0ELb0EEEvPT0_PvPT_S7_S7_PKS6_S9_S9_S9_S9_ffiiiiiiiiiiiii.kd
    .uniform_work_group_size: 1
    .uses_dynamic_stack: false
    .vgpr_count:     94
    .vgpr_spill_count: 0
    .wavefront_size: 64
  - .agpr_count:     0
    .args:
      - .actual_access:  write_only
        .address_space:  global
        .offset:         0
        .size:           8
        .value_kind:     global_buffer
      - .actual_access:  write_only
        .address_space:  global
        .offset:         8
        .size:           8
        .value_kind:     global_buffer
      - .actual_access:  read_only
        .address_space:  global
        .offset:         16
        .size:           8
        .value_kind:     global_buffer
      - .actual_access:  write_only
        .address_space:  global
        .offset:         24
        .size:           8
        .value_kind:     global_buffer
      - .actual_access:  write_only
        .address_space:  global
        .offset:         32
        .size:           8
        .value_kind:     global_buffer
      - .actual_access:  read_only
        .address_space:  global
        .offset:         40
        .size:           8
        .value_kind:     global_buffer
      - .actual_access:  read_only
        .address_space:  global
        .offset:         48
        .size:           8
        .value_kind:     global_buffer
      - .actual_access:  read_only
        .address_space:  global
        .offset:         56
        .size:           8
        .value_kind:     global_buffer
      - .actual_access:  read_only
        .address_space:  global
        .offset:         64
        .size:           8
        .value_kind:     global_buffer
      - .actual_access:  read_only
        .address_space:  global
        .offset:         72
        .size:           8
        .value_kind:     global_buffer
      - .offset:         80
        .size:           4
        .value_kind:     by_value
      - .offset:         84
        .size:           4
        .value_kind:     by_value
      - .offset:         88
        .size:           4
        .value_kind:     by_value
      - .offset:         92
        .size:           4
        .value_kind:     by_value
      - .offset:         96
        .size:           4
        .value_kind:     by_value
      - .offset:         100
        .size:           4
        .value_kind:     by_value
      - .offset:         104
        .size:           4
        .value_kind:     by_value
      - .offset:         108
        .size:           4
        .value_kind:     by_value
      - .offset:         112
        .size:           4
        .value_kind:     by_value
      - .offset:         116
        .size:           4
        .value_kind:     by_value
      - .offset:         120
        .size:           4
        .value_kind:     by_value
      - .offset:         124
        .size:           4
        .value_kind:     by_value
      - .offset:         128
        .size:           4
        .value_kind:     by_value
      - .offset:         132
        .size:           4
        .value_kind:     by_value
      - .offset:         136
        .size:           4
        .value_kind:     by_value
      - .offset:         144
        .size:           4
        .value_kind:     hidden_block_count_x
      - .offset:         148
        .size:           4
        .value_kind:     hidden_block_count_y
      - .offset:         152
        .size:           4
        .value_kind:     hidden_block_count_z
      - .offset:         156
        .size:           2
        .value_kind:     hidden_group_size_x
      - .offset:         158
        .size:           2
        .value_kind:     hidden_group_size_y
      - .offset:         160
        .size:           2
        .value_kind:     hidden_group_size_z
      - .offset:         162
        .size:           2
        .value_kind:     hidden_remainder_x
      - .offset:         164
        .size:           2
        .value_kind:     hidden_remainder_y
      - .offset:         166
        .size:           2
        .value_kind:     hidden_remainder_z
      - .offset:         184
        .size:           8
        .value_kind:     hidden_global_offset_x
      - .offset:         192
        .size:           8
        .value_kind:     hidden_global_offset_y
      - .offset:         200
        .size:           8
        .value_kind:     hidden_global_offset_z
      - .offset:         208
        .size:           2
        .value_kind:     hidden_grid_dims
    .group_segment_fixed_size: 32
    .kernarg_segment_align: 8
    .kernarg_segment_size: 400
    .language:       OpenCL C
    .language_version:
      - 2
      - 0
    .max_flat_workgroup_size: 1024
    .name:           _ZN5aiter35fused_qk_rmsnorm_group_quant_kernelIDF16_DB8_Li256ELi16ELi8ELb1ELb0ELb1ELb0ELb0ELb0EEEvPT0_PvPT_S6_S6_PKS5_S8_S8_S8_S8_ffiiiiiiiiiiiii
    .private_segment_fixed_size: 0
    .sgpr_count:     48
    .sgpr_spill_count: 0
    .symbol:         _ZN5aiter35fused_qk_rmsnorm_group_quant_kernelIDF16_DB8_Li256ELi16ELi8ELb1ELb0ELb1ELb0ELb0ELb0EEEvPT0_PvPT_S6_S6_PKS5_S8_S8_S8_S8_ffiiiiiiiiiiiii.kd
    .uniform_work_group_size: 1
    .uses_dynamic_stack: false
    .vgpr_count:     90
    .vgpr_spill_count: 0
    .wavefront_size: 64
  - .agpr_count:     0
    .args:
      - .actual_access:  write_only
        .address_space:  global
        .offset:         0
        .size:           8
        .value_kind:     global_buffer
      - .actual_access:  write_only
        .address_space:  global
        .offset:         8
        .size:           8
        .value_kind:     global_buffer
      - .actual_access:  read_only
        .address_space:  global
        .offset:         16
        .size:           8
        .value_kind:     global_buffer
      - .actual_access:  write_only
        .address_space:  global
        .offset:         24
        .size:           8
        .value_kind:     global_buffer
      - .actual_access:  write_only
        .address_space:  global
        .offset:         32
        .size:           8
        .value_kind:     global_buffer
      - .actual_access:  read_only
        .address_space:  global
        .offset:         40
        .size:           8
        .value_kind:     global_buffer
      - .actual_access:  read_only
        .address_space:  global
        .offset:         48
        .size:           8
        .value_kind:     global_buffer
      - .actual_access:  read_only
        .address_space:  global
        .offset:         56
        .size:           8
        .value_kind:     global_buffer
      - .actual_access:  read_only
        .address_space:  global
        .offset:         64
        .size:           8
        .value_kind:     global_buffer
      - .actual_access:  read_only
        .address_space:  global
        .offset:         72
        .size:           8
        .value_kind:     global_buffer
      - .offset:         80
        .size:           4
        .value_kind:     by_value
      - .offset:         84
        .size:           4
        .value_kind:     by_value
      - .offset:         88
        .size:           4
        .value_kind:     by_value
      - .offset:         92
        .size:           4
        .value_kind:     by_value
      - .offset:         96
        .size:           4
        .value_kind:     by_value
      - .offset:         100
        .size:           4
        .value_kind:     by_value
      - .offset:         104
        .size:           4
        .value_kind:     by_value
      - .offset:         108
        .size:           4
        .value_kind:     by_value
      - .offset:         112
        .size:           4
        .value_kind:     by_value
      - .offset:         116
        .size:           4
        .value_kind:     by_value
      - .offset:         120
        .size:           4
        .value_kind:     by_value
      - .offset:         124
        .size:           4
        .value_kind:     by_value
      - .offset:         128
        .size:           4
        .value_kind:     by_value
      - .offset:         132
        .size:           4
        .value_kind:     by_value
      - .offset:         136
        .size:           4
        .value_kind:     by_value
      - .offset:         144
        .size:           4
        .value_kind:     hidden_block_count_x
      - .offset:         148
        .size:           4
        .value_kind:     hidden_block_count_y
      - .offset:         152
        .size:           4
        .value_kind:     hidden_block_count_z
      - .offset:         156
        .size:           2
        .value_kind:     hidden_group_size_x
      - .offset:         158
        .size:           2
        .value_kind:     hidden_group_size_y
      - .offset:         160
        .size:           2
        .value_kind:     hidden_group_size_z
      - .offset:         162
        .size:           2
        .value_kind:     hidden_remainder_x
      - .offset:         164
        .size:           2
        .value_kind:     hidden_remainder_y
      - .offset:         166
        .size:           2
        .value_kind:     hidden_remainder_z
      - .offset:         184
        .size:           8
        .value_kind:     hidden_global_offset_x
      - .offset:         192
        .size:           8
        .value_kind:     hidden_global_offset_y
      - .offset:         200
        .size:           8
        .value_kind:     hidden_global_offset_z
      - .offset:         208
        .size:           2
        .value_kind:     hidden_grid_dims
    .group_segment_fixed_size: 32
    .kernarg_segment_align: 8
    .kernarg_segment_size: 400
    .language:       OpenCL C
    .language_version:
      - 2
      - 0
    .max_flat_workgroup_size: 1024
    .name:           _ZN5aiter35fused_qk_rmsnorm_group_quant_kernelItDB8_Li256ELi16ELi8ELb1ELb0ELb1ELb0ELb0ELb0EEEvPT0_PvPT_S6_S6_PKS5_S8_S8_S8_S8_ffiiiiiiiiiiiii
    .private_segment_fixed_size: 0
    .sgpr_count:     48
    .sgpr_spill_count: 0
    .symbol:         _ZN5aiter35fused_qk_rmsnorm_group_quant_kernelItDB8_Li256ELi16ELi8ELb1ELb0ELb1ELb0ELb0ELb0EEEvPT0_PvPT_S6_S6_PKS5_S8_S8_S8_S8_ffiiiiiiiiiiiii.kd
    .uniform_work_group_size: 1
    .uses_dynamic_stack: false
    .vgpr_count:     88
    .vgpr_spill_count: 0
    .wavefront_size: 64
  - .agpr_count:     0
    .args:
      - .actual_access:  write_only
        .address_space:  global
        .offset:         0
        .size:           8
        .value_kind:     global_buffer
      - .actual_access:  write_only
        .address_space:  global
        .offset:         8
        .size:           8
        .value_kind:     global_buffer
      - .actual_access:  read_only
        .address_space:  global
        .offset:         16
        .size:           8
        .value_kind:     global_buffer
      - .actual_access:  write_only
        .address_space:  global
        .offset:         24
        .size:           8
        .value_kind:     global_buffer
      - .actual_access:  write_only
        .address_space:  global
        .offset:         32
        .size:           8
        .value_kind:     global_buffer
      - .actual_access:  read_only
        .address_space:  global
        .offset:         40
        .size:           8
        .value_kind:     global_buffer
      - .actual_access:  read_only
        .address_space:  global
        .offset:         48
        .size:           8
        .value_kind:     global_buffer
      - .actual_access:  read_only
        .address_space:  global
        .offset:         56
        .size:           8
        .value_kind:     global_buffer
      - .actual_access:  read_only
        .address_space:  global
        .offset:         64
        .size:           8
        .value_kind:     global_buffer
      - .actual_access:  read_only
        .address_space:  global
        .offset:         72
        .size:           8
        .value_kind:     global_buffer
      - .offset:         80
        .size:           4
        .value_kind:     by_value
      - .offset:         84
        .size:           4
        .value_kind:     by_value
      - .offset:         88
        .size:           4
        .value_kind:     by_value
      - .offset:         92
        .size:           4
        .value_kind:     by_value
      - .offset:         96
        .size:           4
        .value_kind:     by_value
      - .offset:         100
        .size:           4
        .value_kind:     by_value
      - .offset:         104
        .size:           4
        .value_kind:     by_value
      - .offset:         108
        .size:           4
        .value_kind:     by_value
      - .offset:         112
        .size:           4
        .value_kind:     by_value
      - .offset:         116
        .size:           4
        .value_kind:     by_value
      - .offset:         120
        .size:           4
        .value_kind:     by_value
      - .offset:         124
        .size:           4
        .value_kind:     by_value
      - .offset:         128
        .size:           4
        .value_kind:     by_value
      - .offset:         132
        .size:           4
        .value_kind:     by_value
      - .offset:         136
        .size:           4
        .value_kind:     by_value
      - .offset:         144
        .size:           4
        .value_kind:     hidden_block_count_x
      - .offset:         148
        .size:           4
        .value_kind:     hidden_block_count_y
      - .offset:         152
        .size:           4
        .value_kind:     hidden_block_count_z
      - .offset:         156
        .size:           2
        .value_kind:     hidden_group_size_x
      - .offset:         158
        .size:           2
        .value_kind:     hidden_group_size_y
      - .offset:         160
        .size:           2
        .value_kind:     hidden_group_size_z
      - .offset:         162
        .size:           2
        .value_kind:     hidden_remainder_x
      - .offset:         164
        .size:           2
        .value_kind:     hidden_remainder_y
      - .offset:         166
        .size:           2
        .value_kind:     hidden_remainder_z
      - .offset:         184
        .size:           8
        .value_kind:     hidden_global_offset_x
      - .offset:         192
        .size:           8
        .value_kind:     hidden_global_offset_y
      - .offset:         200
        .size:           8
        .value_kind:     hidden_global_offset_z
      - .offset:         208
        .size:           2
        .value_kind:     hidden_grid_dims
    .group_segment_fixed_size: 32
    .kernarg_segment_align: 8
    .kernarg_segment_size: 400
    .language:       OpenCL C
    .language_version:
      - 2
      - 0
    .max_flat_workgroup_size: 1024
    .name:           _ZN5aiter35fused_qk_rmsnorm_group_quant_kernelIDF16_N4opus5fp4_tELi256ELi16ELi8ELb1ELb0ELb1ELb0ELb0ELb0EEEvPT0_PvPT_S7_S7_PKS6_S9_S9_S9_S9_ffiiiiiiiiiiiii
    .private_segment_fixed_size: 0
    .sgpr_count:     44
    .sgpr_spill_count: 0
    .symbol:         _ZN5aiter35fused_qk_rmsnorm_group_quant_kernelIDF16_N4opus5fp4_tELi256ELi16ELi8ELb1ELb0ELb1ELb0ELb0ELb0EEEvPT0_PvPT_S7_S7_PKS6_S9_S9_S9_S9_ffiiiiiiiiiiiii.kd
    .uniform_work_group_size: 1
    .uses_dynamic_stack: false
    .vgpr_count:     49
    .vgpr_spill_count: 0
    .wavefront_size: 64
  - .agpr_count:     0
    .args:
      - .actual_access:  write_only
        .address_space:  global
        .offset:         0
        .size:           8
        .value_kind:     global_buffer
      - .actual_access:  write_only
        .address_space:  global
        .offset:         8
        .size:           8
        .value_kind:     global_buffer
      - .actual_access:  read_only
        .address_space:  global
        .offset:         16
        .size:           8
        .value_kind:     global_buffer
      - .actual_access:  write_only
        .address_space:  global
        .offset:         24
        .size:           8
        .value_kind:     global_buffer
      - .actual_access:  write_only
        .address_space:  global
        .offset:         32
        .size:           8
        .value_kind:     global_buffer
      - .actual_access:  read_only
        .address_space:  global
        .offset:         40
        .size:           8
        .value_kind:     global_buffer
      - .actual_access:  read_only
        .address_space:  global
        .offset:         48
        .size:           8
        .value_kind:     global_buffer
      - .actual_access:  read_only
        .address_space:  global
        .offset:         56
        .size:           8
        .value_kind:     global_buffer
      - .actual_access:  read_only
        .address_space:  global
        .offset:         64
        .size:           8
        .value_kind:     global_buffer
      - .actual_access:  read_only
        .address_space:  global
        .offset:         72
        .size:           8
        .value_kind:     global_buffer
      - .offset:         80
        .size:           4
        .value_kind:     by_value
      - .offset:         84
        .size:           4
        .value_kind:     by_value
      - .offset:         88
        .size:           4
        .value_kind:     by_value
      - .offset:         92
        .size:           4
        .value_kind:     by_value
      - .offset:         96
        .size:           4
        .value_kind:     by_value
      - .offset:         100
        .size:           4
        .value_kind:     by_value
      - .offset:         104
        .size:           4
        .value_kind:     by_value
      - .offset:         108
        .size:           4
        .value_kind:     by_value
      - .offset:         112
        .size:           4
        .value_kind:     by_value
      - .offset:         116
        .size:           4
        .value_kind:     by_value
      - .offset:         120
        .size:           4
        .value_kind:     by_value
      - .offset:         124
        .size:           4
        .value_kind:     by_value
      - .offset:         128
        .size:           4
        .value_kind:     by_value
      - .offset:         132
        .size:           4
        .value_kind:     by_value
      - .offset:         136
        .size:           4
        .value_kind:     by_value
      - .offset:         144
        .size:           4
        .value_kind:     hidden_block_count_x
      - .offset:         148
        .size:           4
        .value_kind:     hidden_block_count_y
      - .offset:         152
        .size:           4
        .value_kind:     hidden_block_count_z
      - .offset:         156
        .size:           2
        .value_kind:     hidden_group_size_x
      - .offset:         158
        .size:           2
        .value_kind:     hidden_group_size_y
      - .offset:         160
        .size:           2
        .value_kind:     hidden_group_size_z
      - .offset:         162
        .size:           2
        .value_kind:     hidden_remainder_x
      - .offset:         164
        .size:           2
        .value_kind:     hidden_remainder_y
      - .offset:         166
        .size:           2
        .value_kind:     hidden_remainder_z
      - .offset:         184
        .size:           8
        .value_kind:     hidden_global_offset_x
      - .offset:         192
        .size:           8
        .value_kind:     hidden_global_offset_y
      - .offset:         200
        .size:           8
        .value_kind:     hidden_global_offset_z
      - .offset:         208
        .size:           2
        .value_kind:     hidden_grid_dims
    .group_segment_fixed_size: 32
    .kernarg_segment_align: 8
    .kernarg_segment_size: 400
    .language:       OpenCL C
    .language_version:
      - 2
      - 0
    .max_flat_workgroup_size: 1024
    .name:           _ZN5aiter35fused_qk_rmsnorm_group_quant_kernelItN4opus5fp4_tELi256ELi16ELi8ELb1ELb0ELb1ELb0ELb0ELb0EEEvPT0_PvPT_S7_S7_PKS6_S9_S9_S9_S9_ffiiiiiiiiiiiii
    .private_segment_fixed_size: 0
    .sgpr_count:     44
    .sgpr_spill_count: 0
    .symbol:         _ZN5aiter35fused_qk_rmsnorm_group_quant_kernelItN4opus5fp4_tELi256ELi16ELi8ELb1ELb0ELb1ELb0ELb0ELb0EEEvPT0_PvPT_S7_S7_PKS6_S9_S9_S9_S9_ffiiiiiiiiiiiii.kd
    .uniform_work_group_size: 1
    .uses_dynamic_stack: false
    .vgpr_count:     76
    .vgpr_spill_count: 0
    .wavefront_size: 64
  - .agpr_count:     0
    .args:
      - .actual_access:  write_only
        .address_space:  global
        .offset:         0
        .size:           8
        .value_kind:     global_buffer
      - .actual_access:  write_only
        .address_space:  global
        .offset:         8
        .size:           8
        .value_kind:     global_buffer
      - .actual_access:  read_only
        .address_space:  global
        .offset:         16
        .size:           8
        .value_kind:     global_buffer
      - .actual_access:  write_only
        .address_space:  global
        .offset:         24
        .size:           8
        .value_kind:     global_buffer
      - .actual_access:  write_only
        .address_space:  global
        .offset:         32
        .size:           8
        .value_kind:     global_buffer
      - .actual_access:  read_only
        .address_space:  global
        .offset:         40
        .size:           8
        .value_kind:     global_buffer
      - .actual_access:  read_only
        .address_space:  global
        .offset:         48
        .size:           8
        .value_kind:     global_buffer
      - .actual_access:  read_only
        .address_space:  global
        .offset:         56
        .size:           8
        .value_kind:     global_buffer
      - .actual_access:  read_only
        .address_space:  global
        .offset:         64
        .size:           8
        .value_kind:     global_buffer
      - .actual_access:  read_only
        .address_space:  global
        .offset:         72
        .size:           8
        .value_kind:     global_buffer
      - .offset:         80
        .size:           4
        .value_kind:     by_value
      - .offset:         84
        .size:           4
        .value_kind:     by_value
      - .offset:         88
        .size:           4
        .value_kind:     by_value
      - .offset:         92
        .size:           4
        .value_kind:     by_value
      - .offset:         96
        .size:           4
        .value_kind:     by_value
      - .offset:         100
        .size:           4
        .value_kind:     by_value
      - .offset:         104
        .size:           4
        .value_kind:     by_value
      - .offset:         108
        .size:           4
        .value_kind:     by_value
      - .offset:         112
        .size:           4
        .value_kind:     by_value
      - .offset:         116
        .size:           4
        .value_kind:     by_value
      - .offset:         120
        .size:           4
        .value_kind:     by_value
      - .offset:         124
        .size:           4
        .value_kind:     by_value
      - .offset:         128
        .size:           4
        .value_kind:     by_value
      - .offset:         132
        .size:           4
        .value_kind:     by_value
      - .offset:         136
        .size:           4
        .value_kind:     by_value
      - .offset:         144
        .size:           4
        .value_kind:     hidden_block_count_x
      - .offset:         148
        .size:           4
        .value_kind:     hidden_block_count_y
      - .offset:         152
        .size:           4
        .value_kind:     hidden_block_count_z
      - .offset:         156
        .size:           2
        .value_kind:     hidden_group_size_x
      - .offset:         158
        .size:           2
        .value_kind:     hidden_group_size_y
      - .offset:         160
        .size:           2
        .value_kind:     hidden_group_size_z
      - .offset:         162
        .size:           2
        .value_kind:     hidden_remainder_x
      - .offset:         164
        .size:           2
        .value_kind:     hidden_remainder_y
      - .offset:         166
        .size:           2
        .value_kind:     hidden_remainder_z
      - .offset:         184
        .size:           8
        .value_kind:     hidden_global_offset_x
      - .offset:         192
        .size:           8
        .value_kind:     hidden_global_offset_y
      - .offset:         200
        .size:           8
        .value_kind:     hidden_global_offset_z
      - .offset:         208
        .size:           2
        .value_kind:     hidden_grid_dims
    .group_segment_fixed_size: 32
    .kernarg_segment_align: 8
    .kernarg_segment_size: 400
    .language:       OpenCL C
    .language_version:
      - 2
      - 0
    .max_flat_workgroup_size: 1024
    .name:           _ZN5aiter35fused_qk_rmsnorm_group_quant_kernelIDF16_DB8_Li256ELi16ELi8ELb1ELb0ELb0ELb0ELb0ELb0EEEvPT0_PvPT_S6_S6_PKS5_S8_S8_S8_S8_ffiiiiiiiiiiiii
    .private_segment_fixed_size: 0
    .sgpr_count:     48
    .sgpr_spill_count: 0
    .symbol:         _ZN5aiter35fused_qk_rmsnorm_group_quant_kernelIDF16_DB8_Li256ELi16ELi8ELb1ELb0ELb0ELb0ELb0ELb0EEEvPT0_PvPT_S6_S6_PKS5_S8_S8_S8_S8_ffiiiiiiiiiiiii.kd
    .uniform_work_group_size: 1
    .uses_dynamic_stack: false
    .vgpr_count:     94
    .vgpr_spill_count: 0
    .wavefront_size: 64
  - .agpr_count:     0
    .args:
      - .actual_access:  write_only
        .address_space:  global
        .offset:         0
        .size:           8
        .value_kind:     global_buffer
      - .actual_access:  write_only
        .address_space:  global
        .offset:         8
        .size:           8
        .value_kind:     global_buffer
      - .actual_access:  read_only
        .address_space:  global
        .offset:         16
        .size:           8
        .value_kind:     global_buffer
      - .actual_access:  write_only
        .address_space:  global
        .offset:         24
        .size:           8
        .value_kind:     global_buffer
      - .actual_access:  write_only
        .address_space:  global
        .offset:         32
        .size:           8
        .value_kind:     global_buffer
      - .actual_access:  read_only
        .address_space:  global
        .offset:         40
        .size:           8
        .value_kind:     global_buffer
      - .actual_access:  read_only
        .address_space:  global
        .offset:         48
        .size:           8
        .value_kind:     global_buffer
      - .actual_access:  read_only
        .address_space:  global
        .offset:         56
        .size:           8
        .value_kind:     global_buffer
      - .actual_access:  read_only
        .address_space:  global
        .offset:         64
        .size:           8
        .value_kind:     global_buffer
      - .actual_access:  read_only
        .address_space:  global
        .offset:         72
        .size:           8
        .value_kind:     global_buffer
      - .offset:         80
        .size:           4
        .value_kind:     by_value
      - .offset:         84
        .size:           4
        .value_kind:     by_value
      - .offset:         88
        .size:           4
        .value_kind:     by_value
      - .offset:         92
        .size:           4
        .value_kind:     by_value
      - .offset:         96
        .size:           4
        .value_kind:     by_value
      - .offset:         100
        .size:           4
        .value_kind:     by_value
      - .offset:         104
        .size:           4
        .value_kind:     by_value
      - .offset:         108
        .size:           4
        .value_kind:     by_value
      - .offset:         112
        .size:           4
        .value_kind:     by_value
      - .offset:         116
        .size:           4
        .value_kind:     by_value
      - .offset:         120
        .size:           4
        .value_kind:     by_value
      - .offset:         124
        .size:           4
        .value_kind:     by_value
      - .offset:         128
        .size:           4
        .value_kind:     by_value
      - .offset:         132
        .size:           4
        .value_kind:     by_value
      - .offset:         136
        .size:           4
        .value_kind:     by_value
      - .offset:         144
        .size:           4
        .value_kind:     hidden_block_count_x
      - .offset:         148
        .size:           4
        .value_kind:     hidden_block_count_y
      - .offset:         152
        .size:           4
        .value_kind:     hidden_block_count_z
      - .offset:         156
        .size:           2
        .value_kind:     hidden_group_size_x
      - .offset:         158
        .size:           2
        .value_kind:     hidden_group_size_y
      - .offset:         160
        .size:           2
        .value_kind:     hidden_group_size_z
      - .offset:         162
        .size:           2
        .value_kind:     hidden_remainder_x
      - .offset:         164
        .size:           2
        .value_kind:     hidden_remainder_y
      - .offset:         166
        .size:           2
        .value_kind:     hidden_remainder_z
      - .offset:         184
        .size:           8
        .value_kind:     hidden_global_offset_x
      - .offset:         192
        .size:           8
        .value_kind:     hidden_global_offset_y
      - .offset:         200
        .size:           8
        .value_kind:     hidden_global_offset_z
      - .offset:         208
        .size:           2
        .value_kind:     hidden_grid_dims
    .group_segment_fixed_size: 32
    .kernarg_segment_align: 8
    .kernarg_segment_size: 400
    .language:       OpenCL C
    .language_version:
      - 2
      - 0
    .max_flat_workgroup_size: 1024
    .name:           _ZN5aiter35fused_qk_rmsnorm_group_quant_kernelItDB8_Li256ELi16ELi8ELb1ELb0ELb0ELb0ELb0ELb0EEEvPT0_PvPT_S6_S6_PKS5_S8_S8_S8_S8_ffiiiiiiiiiiiii
    .private_segment_fixed_size: 0
    .sgpr_count:     48
    .sgpr_spill_count: 0
    .symbol:         _ZN5aiter35fused_qk_rmsnorm_group_quant_kernelItDB8_Li256ELi16ELi8ELb1ELb0ELb0ELb0ELb0ELb0EEEvPT0_PvPT_S6_S6_PKS5_S8_S8_S8_S8_ffiiiiiiiiiiiii.kd
    .uniform_work_group_size: 1
    .uses_dynamic_stack: false
    .vgpr_count:     96
    .vgpr_spill_count: 0
    .wavefront_size: 64
  - .agpr_count:     0
    .args:
      - .actual_access:  write_only
        .address_space:  global
        .offset:         0
        .size:           8
        .value_kind:     global_buffer
      - .actual_access:  write_only
        .address_space:  global
        .offset:         8
        .size:           8
        .value_kind:     global_buffer
      - .actual_access:  read_only
        .address_space:  global
        .offset:         16
        .size:           8
        .value_kind:     global_buffer
      - .actual_access:  write_only
        .address_space:  global
        .offset:         24
        .size:           8
        .value_kind:     global_buffer
      - .actual_access:  write_only
        .address_space:  global
        .offset:         32
        .size:           8
        .value_kind:     global_buffer
      - .actual_access:  read_only
        .address_space:  global
        .offset:         40
        .size:           8
        .value_kind:     global_buffer
      - .actual_access:  read_only
        .address_space:  global
        .offset:         48
        .size:           8
        .value_kind:     global_buffer
      - .actual_access:  read_only
        .address_space:  global
        .offset:         56
        .size:           8
        .value_kind:     global_buffer
      - .actual_access:  read_only
        .address_space:  global
        .offset:         64
        .size:           8
        .value_kind:     global_buffer
      - .actual_access:  read_only
        .address_space:  global
        .offset:         72
        .size:           8
        .value_kind:     global_buffer
      - .offset:         80
        .size:           4
        .value_kind:     by_value
      - .offset:         84
        .size:           4
        .value_kind:     by_value
      - .offset:         88
        .size:           4
        .value_kind:     by_value
      - .offset:         92
        .size:           4
        .value_kind:     by_value
      - .offset:         96
        .size:           4
        .value_kind:     by_value
      - .offset:         100
        .size:           4
        .value_kind:     by_value
      - .offset:         104
        .size:           4
        .value_kind:     by_value
      - .offset:         108
        .size:           4
        .value_kind:     by_value
      - .offset:         112
        .size:           4
        .value_kind:     by_value
      - .offset:         116
        .size:           4
        .value_kind:     by_value
      - .offset:         120
        .size:           4
        .value_kind:     by_value
      - .offset:         124
        .size:           4
        .value_kind:     by_value
      - .offset:         128
        .size:           4
        .value_kind:     by_value
      - .offset:         132
        .size:           4
        .value_kind:     by_value
      - .offset:         136
        .size:           4
        .value_kind:     by_value
      - .offset:         144
        .size:           4
        .value_kind:     hidden_block_count_x
      - .offset:         148
        .size:           4
        .value_kind:     hidden_block_count_y
      - .offset:         152
        .size:           4
        .value_kind:     hidden_block_count_z
      - .offset:         156
        .size:           2
        .value_kind:     hidden_group_size_x
      - .offset:         158
        .size:           2
        .value_kind:     hidden_group_size_y
      - .offset:         160
        .size:           2
        .value_kind:     hidden_group_size_z
      - .offset:         162
        .size:           2
        .value_kind:     hidden_remainder_x
      - .offset:         164
        .size:           2
        .value_kind:     hidden_remainder_y
      - .offset:         166
        .size:           2
        .value_kind:     hidden_remainder_z
      - .offset:         184
        .size:           8
        .value_kind:     hidden_global_offset_x
      - .offset:         192
        .size:           8
        .value_kind:     hidden_global_offset_y
      - .offset:         200
        .size:           8
        .value_kind:     hidden_global_offset_z
      - .offset:         208
        .size:           2
        .value_kind:     hidden_grid_dims
    .group_segment_fixed_size: 32
    .kernarg_segment_align: 8
    .kernarg_segment_size: 400
    .language:       OpenCL C
    .language_version:
      - 2
      - 0
    .max_flat_workgroup_size: 1024
    .name:           _ZN5aiter35fused_qk_rmsnorm_group_quant_kernelIDF16_N4opus5fp4_tELi256ELi16ELi8ELb1ELb0ELb0ELb0ELb0ELb0EEEvPT0_PvPT_S7_S7_PKS6_S9_S9_S9_S9_ffiiiiiiiiiiiii
    .private_segment_fixed_size: 0
    .sgpr_count:     44
    .sgpr_spill_count: 0
    .symbol:         _ZN5aiter35fused_qk_rmsnorm_group_quant_kernelIDF16_N4opus5fp4_tELi256ELi16ELi8ELb1ELb0ELb0ELb0ELb0ELb0EEEvPT0_PvPT_S7_S7_PKS6_S9_S9_S9_S9_ffiiiiiiiiiiiii.kd
    .uniform_work_group_size: 1
    .uses_dynamic_stack: false
    .vgpr_count:     47
    .vgpr_spill_count: 0
    .wavefront_size: 64
  - .agpr_count:     0
    .args:
      - .actual_access:  write_only
        .address_space:  global
        .offset:         0
        .size:           8
        .value_kind:     global_buffer
      - .actual_access:  write_only
        .address_space:  global
        .offset:         8
        .size:           8
        .value_kind:     global_buffer
      - .actual_access:  read_only
        .address_space:  global
        .offset:         16
        .size:           8
        .value_kind:     global_buffer
      - .actual_access:  write_only
        .address_space:  global
        .offset:         24
        .size:           8
        .value_kind:     global_buffer
      - .actual_access:  write_only
        .address_space:  global
        .offset:         32
        .size:           8
        .value_kind:     global_buffer
      - .actual_access:  read_only
        .address_space:  global
        .offset:         40
        .size:           8
        .value_kind:     global_buffer
      - .actual_access:  read_only
        .address_space:  global
        .offset:         48
        .size:           8
        .value_kind:     global_buffer
      - .actual_access:  read_only
        .address_space:  global
        .offset:         56
        .size:           8
        .value_kind:     global_buffer
      - .actual_access:  read_only
        .address_space:  global
        .offset:         64
        .size:           8
        .value_kind:     global_buffer
      - .actual_access:  read_only
        .address_space:  global
        .offset:         72
        .size:           8
        .value_kind:     global_buffer
      - .offset:         80
        .size:           4
        .value_kind:     by_value
      - .offset:         84
        .size:           4
        .value_kind:     by_value
      - .offset:         88
        .size:           4
        .value_kind:     by_value
      - .offset:         92
        .size:           4
        .value_kind:     by_value
      - .offset:         96
        .size:           4
        .value_kind:     by_value
      - .offset:         100
        .size:           4
        .value_kind:     by_value
      - .offset:         104
        .size:           4
        .value_kind:     by_value
      - .offset:         108
        .size:           4
        .value_kind:     by_value
      - .offset:         112
        .size:           4
        .value_kind:     by_value
      - .offset:         116
        .size:           4
        .value_kind:     by_value
      - .offset:         120
        .size:           4
        .value_kind:     by_value
      - .offset:         124
        .size:           4
        .value_kind:     by_value
      - .offset:         128
        .size:           4
        .value_kind:     by_value
      - .offset:         132
        .size:           4
        .value_kind:     by_value
      - .offset:         136
        .size:           4
        .value_kind:     by_value
      - .offset:         144
        .size:           4
        .value_kind:     hidden_block_count_x
      - .offset:         148
        .size:           4
        .value_kind:     hidden_block_count_y
      - .offset:         152
        .size:           4
        .value_kind:     hidden_block_count_z
      - .offset:         156
        .size:           2
        .value_kind:     hidden_group_size_x
      - .offset:         158
        .size:           2
        .value_kind:     hidden_group_size_y
      - .offset:         160
        .size:           2
        .value_kind:     hidden_group_size_z
      - .offset:         162
        .size:           2
        .value_kind:     hidden_remainder_x
      - .offset:         164
        .size:           2
        .value_kind:     hidden_remainder_y
      - .offset:         166
        .size:           2
        .value_kind:     hidden_remainder_z
      - .offset:         184
        .size:           8
        .value_kind:     hidden_global_offset_x
      - .offset:         192
        .size:           8
        .value_kind:     hidden_global_offset_y
      - .offset:         200
        .size:           8
        .value_kind:     hidden_global_offset_z
      - .offset:         208
        .size:           2
        .value_kind:     hidden_grid_dims
    .group_segment_fixed_size: 32
    .kernarg_segment_align: 8
    .kernarg_segment_size: 400
    .language:       OpenCL C
    .language_version:
      - 2
      - 0
    .max_flat_workgroup_size: 1024
    .name:           _ZN5aiter35fused_qk_rmsnorm_group_quant_kernelItN4opus5fp4_tELi256ELi16ELi8ELb1ELb0ELb0ELb0ELb0ELb0EEEvPT0_PvPT_S7_S7_PKS6_S9_S9_S9_S9_ffiiiiiiiiiiiii
    .private_segment_fixed_size: 0
    .sgpr_count:     44
    .sgpr_spill_count: 0
    .symbol:         _ZN5aiter35fused_qk_rmsnorm_group_quant_kernelItN4opus5fp4_tELi256ELi16ELi8ELb1ELb0ELb0ELb0ELb0ELb0EEEvPT0_PvPT_S7_S7_PKS6_S9_S9_S9_S9_ffiiiiiiiiiiiii.kd
    .uniform_work_group_size: 1
    .uses_dynamic_stack: false
    .vgpr_count:     94
    .vgpr_spill_count: 0
    .wavefront_size: 64
  - .agpr_count:     0
    .args:
      - .actual_access:  write_only
        .address_space:  global
        .offset:         0
        .size:           8
        .value_kind:     global_buffer
      - .actual_access:  write_only
        .address_space:  global
        .offset:         8
        .size:           8
        .value_kind:     global_buffer
      - .actual_access:  write_only
        .address_space:  global
        .offset:         16
        .size:           8
        .value_kind:     global_buffer
      - .actual_access:  write_only
        .address_space:  global
        .offset:         24
        .size:           8
        .value_kind:     global_buffer
      - .actual_access:  read_only
        .address_space:  global
        .offset:         32
        .size:           8
        .value_kind:     global_buffer
      - .actual_access:  read_only
        .address_space:  global
        .offset:         40
        .size:           8
        .value_kind:     global_buffer
      - .actual_access:  read_only
        .address_space:  global
        .offset:         48
        .size:           8
        .value_kind:     global_buffer
      - .actual_access:  read_only
        .address_space:  global
        .offset:         56
        .size:           8
        .value_kind:     global_buffer
      - .actual_access:  read_only
        .address_space:  global
        .offset:         64
        .size:           8
        .value_kind:     global_buffer
      - .actual_access:  read_only
        .address_space:  global
        .offset:         72
        .size:           8
        .value_kind:     global_buffer
      - .offset:         80
        .size:           4
        .value_kind:     by_value
      - .offset:         84
        .size:           4
        .value_kind:     by_value
      - .offset:         88
        .size:           4
        .value_kind:     by_value
      - .offset:         92
        .size:           4
        .value_kind:     by_value
      - .offset:         96
        .size:           4
        .value_kind:     by_value
      - .offset:         100
        .size:           4
        .value_kind:     by_value
      - .offset:         104
        .size:           4
        .value_kind:     by_value
      - .offset:         108
        .size:           4
        .value_kind:     by_value
      - .offset:         112
        .size:           4
        .value_kind:     by_value
      - .offset:         116
        .size:           4
        .value_kind:     by_value
      - .offset:         120
        .size:           4
        .value_kind:     by_value
      - .offset:         124
        .size:           4
        .value_kind:     by_value
      - .offset:         128
        .size:           4
        .value_kind:     by_value
      - .offset:         132
        .size:           4
        .value_kind:     by_value
      - .offset:         136
        .size:           4
        .value_kind:     by_value
      - .offset:         144
        .size:           4
        .value_kind:     hidden_block_count_x
      - .offset:         148
        .size:           4
        .value_kind:     hidden_block_count_y
      - .offset:         152
        .size:           4
        .value_kind:     hidden_block_count_z
      - .offset:         156
        .size:           2
        .value_kind:     hidden_group_size_x
      - .offset:         158
        .size:           2
        .value_kind:     hidden_group_size_y
      - .offset:         160
        .size:           2
        .value_kind:     hidden_group_size_z
      - .offset:         162
        .size:           2
        .value_kind:     hidden_remainder_x
      - .offset:         164
        .size:           2
        .value_kind:     hidden_remainder_y
      - .offset:         166
        .size:           2
        .value_kind:     hidden_remainder_z
      - .offset:         184
        .size:           8
        .value_kind:     hidden_global_offset_x
      - .offset:         192
        .size:           8
        .value_kind:     hidden_global_offset_y
      - .offset:         200
        .size:           8
        .value_kind:     hidden_global_offset_z
      - .offset:         208
        .size:           2
        .value_kind:     hidden_grid_dims
    .group_segment_fixed_size: 32
    .kernarg_segment_align: 8
    .kernarg_segment_size: 400
    .language:       OpenCL C
    .language_version:
      - 2
      - 0
    .max_flat_workgroup_size: 1024
    .name:           _ZN5aiter35fused_qk_rmsnorm_group_quant_kernelIDF16_DB8_Li256ELi16ELi8ELb0ELb1ELb1ELb0ELb0ELb0EEEvPT0_PvPT_S6_S6_PKS5_S8_S8_S8_S8_ffiiiiiiiiiiiii
    .private_segment_fixed_size: 0
    .sgpr_count:     40
    .sgpr_spill_count: 0
    .symbol:         _ZN5aiter35fused_qk_rmsnorm_group_quant_kernelIDF16_DB8_Li256ELi16ELi8ELb0ELb1ELb1ELb0ELb0ELb0EEEvPT0_PvPT_S6_S6_PKS5_S8_S8_S8_S8_ffiiiiiiiiiiiii.kd
    .uniform_work_group_size: 1
    .uses_dynamic_stack: false
    .vgpr_count:     35
    .vgpr_spill_count: 0
    .wavefront_size: 64
  - .agpr_count:     0
    .args:
      - .actual_access:  write_only
        .address_space:  global
        .offset:         0
        .size:           8
        .value_kind:     global_buffer
      - .actual_access:  write_only
        .address_space:  global
        .offset:         8
        .size:           8
        .value_kind:     global_buffer
      - .actual_access:  write_only
        .address_space:  global
        .offset:         16
        .size:           8
        .value_kind:     global_buffer
      - .actual_access:  write_only
        .address_space:  global
        .offset:         24
        .size:           8
        .value_kind:     global_buffer
      - .actual_access:  read_only
        .address_space:  global
        .offset:         32
        .size:           8
        .value_kind:     global_buffer
      - .actual_access:  read_only
        .address_space:  global
        .offset:         40
        .size:           8
        .value_kind:     global_buffer
      - .actual_access:  read_only
        .address_space:  global
        .offset:         48
        .size:           8
        .value_kind:     global_buffer
      - .actual_access:  read_only
        .address_space:  global
        .offset:         56
        .size:           8
        .value_kind:     global_buffer
      - .actual_access:  read_only
        .address_space:  global
        .offset:         64
        .size:           8
        .value_kind:     global_buffer
      - .actual_access:  read_only
        .address_space:  global
        .offset:         72
        .size:           8
        .value_kind:     global_buffer
      - .offset:         80
        .size:           4
        .value_kind:     by_value
      - .offset:         84
        .size:           4
        .value_kind:     by_value
      - .offset:         88
        .size:           4
        .value_kind:     by_value
      - .offset:         92
        .size:           4
        .value_kind:     by_value
      - .offset:         96
        .size:           4
        .value_kind:     by_value
      - .offset:         100
        .size:           4
        .value_kind:     by_value
      - .offset:         104
        .size:           4
        .value_kind:     by_value
      - .offset:         108
        .size:           4
        .value_kind:     by_value
      - .offset:         112
        .size:           4
        .value_kind:     by_value
      - .offset:         116
        .size:           4
        .value_kind:     by_value
      - .offset:         120
        .size:           4
        .value_kind:     by_value
      - .offset:         124
        .size:           4
        .value_kind:     by_value
      - .offset:         128
        .size:           4
        .value_kind:     by_value
      - .offset:         132
        .size:           4
        .value_kind:     by_value
      - .offset:         136
        .size:           4
        .value_kind:     by_value
      - .offset:         144
        .size:           4
        .value_kind:     hidden_block_count_x
      - .offset:         148
        .size:           4
        .value_kind:     hidden_block_count_y
      - .offset:         152
        .size:           4
        .value_kind:     hidden_block_count_z
      - .offset:         156
        .size:           2
        .value_kind:     hidden_group_size_x
      - .offset:         158
        .size:           2
        .value_kind:     hidden_group_size_y
      - .offset:         160
        .size:           2
        .value_kind:     hidden_group_size_z
      - .offset:         162
        .size:           2
        .value_kind:     hidden_remainder_x
      - .offset:         164
        .size:           2
        .value_kind:     hidden_remainder_y
      - .offset:         166
        .size:           2
        .value_kind:     hidden_remainder_z
      - .offset:         184
        .size:           8
        .value_kind:     hidden_global_offset_x
      - .offset:         192
        .size:           8
        .value_kind:     hidden_global_offset_y
      - .offset:         200
        .size:           8
        .value_kind:     hidden_global_offset_z
      - .offset:         208
        .size:           2
        .value_kind:     hidden_grid_dims
    .group_segment_fixed_size: 32
    .kernarg_segment_align: 8
    .kernarg_segment_size: 400
    .language:       OpenCL C
    .language_version:
      - 2
      - 0
    .max_flat_workgroup_size: 1024
    .name:           _ZN5aiter35fused_qk_rmsnorm_group_quant_kernelItDB8_Li256ELi16ELi8ELb0ELb1ELb1ELb0ELb0ELb0EEEvPT0_PvPT_S6_S6_PKS5_S8_S8_S8_S8_ffiiiiiiiiiiiii
    .private_segment_fixed_size: 0
    .sgpr_count:     40
    .sgpr_spill_count: 0
    .symbol:         _ZN5aiter35fused_qk_rmsnorm_group_quant_kernelItDB8_Li256ELi16ELi8ELb0ELb1ELb1ELb0ELb0ELb0EEEvPT0_PvPT_S6_S6_PKS5_S8_S8_S8_S8_ffiiiiiiiiiiiii.kd
    .uniform_work_group_size: 1
    .uses_dynamic_stack: false
    .vgpr_count:     35
    .vgpr_spill_count: 0
    .wavefront_size: 64
  - .agpr_count:     0
    .args:
      - .actual_access:  write_only
        .address_space:  global
        .offset:         0
        .size:           8
        .value_kind:     global_buffer
      - .actual_access:  write_only
        .address_space:  global
        .offset:         8
        .size:           8
        .value_kind:     global_buffer
      - .actual_access:  write_only
        .address_space:  global
        .offset:         16
        .size:           8
        .value_kind:     global_buffer
      - .actual_access:  write_only
        .address_space:  global
        .offset:         24
        .size:           8
        .value_kind:     global_buffer
      - .actual_access:  read_only
        .address_space:  global
        .offset:         32
        .size:           8
        .value_kind:     global_buffer
      - .actual_access:  read_only
        .address_space:  global
        .offset:         40
        .size:           8
        .value_kind:     global_buffer
      - .actual_access:  read_only
        .address_space:  global
        .offset:         48
        .size:           8
        .value_kind:     global_buffer
      - .actual_access:  read_only
        .address_space:  global
        .offset:         56
        .size:           8
        .value_kind:     global_buffer
      - .actual_access:  read_only
        .address_space:  global
        .offset:         64
        .size:           8
        .value_kind:     global_buffer
      - .actual_access:  read_only
        .address_space:  global
        .offset:         72
        .size:           8
        .value_kind:     global_buffer
      - .offset:         80
        .size:           4
        .value_kind:     by_value
      - .offset:         84
        .size:           4
        .value_kind:     by_value
      - .offset:         88
        .size:           4
        .value_kind:     by_value
      - .offset:         92
        .size:           4
        .value_kind:     by_value
      - .offset:         96
        .size:           4
        .value_kind:     by_value
      - .offset:         100
        .size:           4
        .value_kind:     by_value
      - .offset:         104
        .size:           4
        .value_kind:     by_value
      - .offset:         108
        .size:           4
        .value_kind:     by_value
      - .offset:         112
        .size:           4
        .value_kind:     by_value
      - .offset:         116
        .size:           4
        .value_kind:     by_value
      - .offset:         120
        .size:           4
        .value_kind:     by_value
      - .offset:         124
        .size:           4
        .value_kind:     by_value
      - .offset:         128
        .size:           4
        .value_kind:     by_value
      - .offset:         132
        .size:           4
        .value_kind:     by_value
      - .offset:         136
        .size:           4
        .value_kind:     by_value
      - .offset:         144
        .size:           4
        .value_kind:     hidden_block_count_x
      - .offset:         148
        .size:           4
        .value_kind:     hidden_block_count_y
      - .offset:         152
        .size:           4
        .value_kind:     hidden_block_count_z
      - .offset:         156
        .size:           2
        .value_kind:     hidden_group_size_x
      - .offset:         158
        .size:           2
        .value_kind:     hidden_group_size_y
      - .offset:         160
        .size:           2
        .value_kind:     hidden_group_size_z
      - .offset:         162
        .size:           2
        .value_kind:     hidden_remainder_x
      - .offset:         164
        .size:           2
        .value_kind:     hidden_remainder_y
      - .offset:         166
        .size:           2
        .value_kind:     hidden_remainder_z
      - .offset:         184
        .size:           8
        .value_kind:     hidden_global_offset_x
      - .offset:         192
        .size:           8
        .value_kind:     hidden_global_offset_y
      - .offset:         200
        .size:           8
        .value_kind:     hidden_global_offset_z
      - .offset:         208
        .size:           2
        .value_kind:     hidden_grid_dims
    .group_segment_fixed_size: 32
    .kernarg_segment_align: 8
    .kernarg_segment_size: 400
    .language:       OpenCL C
    .language_version:
      - 2
      - 0
    .max_flat_workgroup_size: 1024
    .name:           _ZN5aiter35fused_qk_rmsnorm_group_quant_kernelIDF16_N4opus5fp4_tELi256ELi16ELi8ELb0ELb1ELb1ELb0ELb0ELb0EEEvPT0_PvPT_S7_S7_PKS6_S9_S9_S9_S9_ffiiiiiiiiiiiii
    .private_segment_fixed_size: 0
    .sgpr_count:     40
    .sgpr_spill_count: 0
    .symbol:         _ZN5aiter35fused_qk_rmsnorm_group_quant_kernelIDF16_N4opus5fp4_tELi256ELi16ELi8ELb0ELb1ELb1ELb0ELb0ELb0EEEvPT0_PvPT_S7_S7_PKS6_S9_S9_S9_S9_ffiiiiiiiiiiiii.kd
    .uniform_work_group_size: 1
    .uses_dynamic_stack: false
    .vgpr_count:     35
    .vgpr_spill_count: 0
    .wavefront_size: 64
  - .agpr_count:     0
    .args:
      - .actual_access:  write_only
        .address_space:  global
        .offset:         0
        .size:           8
        .value_kind:     global_buffer
      - .actual_access:  write_only
        .address_space:  global
        .offset:         8
        .size:           8
        .value_kind:     global_buffer
      - .actual_access:  write_only
        .address_space:  global
        .offset:         16
        .size:           8
        .value_kind:     global_buffer
      - .actual_access:  write_only
        .address_space:  global
        .offset:         24
        .size:           8
        .value_kind:     global_buffer
      - .actual_access:  read_only
        .address_space:  global
        .offset:         32
        .size:           8
        .value_kind:     global_buffer
      - .actual_access:  read_only
        .address_space:  global
        .offset:         40
        .size:           8
        .value_kind:     global_buffer
      - .actual_access:  read_only
        .address_space:  global
        .offset:         48
        .size:           8
        .value_kind:     global_buffer
      - .actual_access:  read_only
        .address_space:  global
        .offset:         56
        .size:           8
        .value_kind:     global_buffer
      - .actual_access:  read_only
        .address_space:  global
        .offset:         64
        .size:           8
        .value_kind:     global_buffer
      - .actual_access:  read_only
        .address_space:  global
        .offset:         72
        .size:           8
        .value_kind:     global_buffer
      - .offset:         80
        .size:           4
        .value_kind:     by_value
      - .offset:         84
        .size:           4
        .value_kind:     by_value
      - .offset:         88
        .size:           4
        .value_kind:     by_value
      - .offset:         92
        .size:           4
        .value_kind:     by_value
      - .offset:         96
        .size:           4
        .value_kind:     by_value
      - .offset:         100
        .size:           4
        .value_kind:     by_value
      - .offset:         104
        .size:           4
        .value_kind:     by_value
      - .offset:         108
        .size:           4
        .value_kind:     by_value
      - .offset:         112
        .size:           4
        .value_kind:     by_value
      - .offset:         116
        .size:           4
        .value_kind:     by_value
      - .offset:         120
        .size:           4
        .value_kind:     by_value
      - .offset:         124
        .size:           4
        .value_kind:     by_value
      - .offset:         128
        .size:           4
        .value_kind:     by_value
      - .offset:         132
        .size:           4
        .value_kind:     by_value
      - .offset:         136
        .size:           4
        .value_kind:     by_value
      - .offset:         144
        .size:           4
        .value_kind:     hidden_block_count_x
      - .offset:         148
        .size:           4
        .value_kind:     hidden_block_count_y
      - .offset:         152
        .size:           4
        .value_kind:     hidden_block_count_z
      - .offset:         156
        .size:           2
        .value_kind:     hidden_group_size_x
      - .offset:         158
        .size:           2
        .value_kind:     hidden_group_size_y
      - .offset:         160
        .size:           2
        .value_kind:     hidden_group_size_z
      - .offset:         162
        .size:           2
        .value_kind:     hidden_remainder_x
      - .offset:         164
        .size:           2
        .value_kind:     hidden_remainder_y
      - .offset:         166
        .size:           2
        .value_kind:     hidden_remainder_z
      - .offset:         184
        .size:           8
        .value_kind:     hidden_global_offset_x
      - .offset:         192
        .size:           8
        .value_kind:     hidden_global_offset_y
      - .offset:         200
        .size:           8
        .value_kind:     hidden_global_offset_z
      - .offset:         208
        .size:           2
        .value_kind:     hidden_grid_dims
    .group_segment_fixed_size: 32
    .kernarg_segment_align: 8
    .kernarg_segment_size: 400
    .language:       OpenCL C
    .language_version:
      - 2
      - 0
    .max_flat_workgroup_size: 1024
    .name:           _ZN5aiter35fused_qk_rmsnorm_group_quant_kernelItN4opus5fp4_tELi256ELi16ELi8ELb0ELb1ELb1ELb0ELb0ELb0EEEvPT0_PvPT_S7_S7_PKS6_S9_S9_S9_S9_ffiiiiiiiiiiiii
    .private_segment_fixed_size: 0
    .sgpr_count:     40
    .sgpr_spill_count: 0
    .symbol:         _ZN5aiter35fused_qk_rmsnorm_group_quant_kernelItN4opus5fp4_tELi256ELi16ELi8ELb0ELb1ELb1ELb0ELb0ELb0EEEvPT0_PvPT_S7_S7_PKS6_S9_S9_S9_S9_ffiiiiiiiiiiiii.kd
    .uniform_work_group_size: 1
    .uses_dynamic_stack: false
    .vgpr_count:     35
    .vgpr_spill_count: 0
    .wavefront_size: 64
  - .agpr_count:     0
    .args:
      - .actual_access:  write_only
        .address_space:  global
        .offset:         0
        .size:           8
        .value_kind:     global_buffer
      - .actual_access:  write_only
        .address_space:  global
        .offset:         8
        .size:           8
        .value_kind:     global_buffer
      - .actual_access:  write_only
        .address_space:  global
        .offset:         16
        .size:           8
        .value_kind:     global_buffer
      - .actual_access:  write_only
        .address_space:  global
        .offset:         24
        .size:           8
        .value_kind:     global_buffer
      - .actual_access:  read_only
        .address_space:  global
        .offset:         32
        .size:           8
        .value_kind:     global_buffer
      - .actual_access:  read_only
        .address_space:  global
        .offset:         40
        .size:           8
        .value_kind:     global_buffer
      - .actual_access:  read_only
        .address_space:  global
        .offset:         48
        .size:           8
        .value_kind:     global_buffer
      - .actual_access:  read_only
        .address_space:  global
        .offset:         56
        .size:           8
        .value_kind:     global_buffer
      - .actual_access:  read_only
        .address_space:  global
        .offset:         64
        .size:           8
        .value_kind:     global_buffer
      - .actual_access:  read_only
        .address_space:  global
        .offset:         72
        .size:           8
        .value_kind:     global_buffer
      - .offset:         80
        .size:           4
        .value_kind:     by_value
      - .offset:         84
        .size:           4
        .value_kind:     by_value
      - .offset:         88
        .size:           4
        .value_kind:     by_value
      - .offset:         92
        .size:           4
        .value_kind:     by_value
      - .offset:         96
        .size:           4
        .value_kind:     by_value
      - .offset:         100
        .size:           4
        .value_kind:     by_value
      - .offset:         104
        .size:           4
        .value_kind:     by_value
      - .offset:         108
        .size:           4
        .value_kind:     by_value
      - .offset:         112
        .size:           4
        .value_kind:     by_value
      - .offset:         116
        .size:           4
        .value_kind:     by_value
      - .offset:         120
        .size:           4
        .value_kind:     by_value
      - .offset:         124
        .size:           4
        .value_kind:     by_value
      - .offset:         128
        .size:           4
        .value_kind:     by_value
      - .offset:         132
        .size:           4
        .value_kind:     by_value
      - .offset:         136
        .size:           4
        .value_kind:     by_value
      - .offset:         144
        .size:           4
        .value_kind:     hidden_block_count_x
      - .offset:         148
        .size:           4
        .value_kind:     hidden_block_count_y
      - .offset:         152
        .size:           4
        .value_kind:     hidden_block_count_z
      - .offset:         156
        .size:           2
        .value_kind:     hidden_group_size_x
      - .offset:         158
        .size:           2
        .value_kind:     hidden_group_size_y
      - .offset:         160
        .size:           2
        .value_kind:     hidden_group_size_z
      - .offset:         162
        .size:           2
        .value_kind:     hidden_remainder_x
      - .offset:         164
        .size:           2
        .value_kind:     hidden_remainder_y
      - .offset:         166
        .size:           2
        .value_kind:     hidden_remainder_z
      - .offset:         184
        .size:           8
        .value_kind:     hidden_global_offset_x
      - .offset:         192
        .size:           8
        .value_kind:     hidden_global_offset_y
      - .offset:         200
        .size:           8
        .value_kind:     hidden_global_offset_z
      - .offset:         208
        .size:           2
        .value_kind:     hidden_grid_dims
    .group_segment_fixed_size: 32
    .kernarg_segment_align: 8
    .kernarg_segment_size: 400
    .language:       OpenCL C
    .language_version:
      - 2
      - 0
    .max_flat_workgroup_size: 1024
    .name:           _ZN5aiter35fused_qk_rmsnorm_group_quant_kernelIDF16_DB8_Li256ELi16ELi8ELb0ELb1ELb0ELb0ELb0ELb0EEEvPT0_PvPT_S6_S6_PKS5_S8_S8_S8_S8_ffiiiiiiiiiiiii
    .private_segment_fixed_size: 0
    .sgpr_count:     40
    .sgpr_spill_count: 0
    .symbol:         _ZN5aiter35fused_qk_rmsnorm_group_quant_kernelIDF16_DB8_Li256ELi16ELi8ELb0ELb1ELb0ELb0ELb0ELb0EEEvPT0_PvPT_S6_S6_PKS5_S8_S8_S8_S8_ffiiiiiiiiiiiii.kd
    .uniform_work_group_size: 1
    .uses_dynamic_stack: false
    .vgpr_count:     38
    .vgpr_spill_count: 0
    .wavefront_size: 64
  - .agpr_count:     0
    .args:
      - .actual_access:  write_only
        .address_space:  global
        .offset:         0
        .size:           8
        .value_kind:     global_buffer
      - .actual_access:  write_only
        .address_space:  global
        .offset:         8
        .size:           8
        .value_kind:     global_buffer
      - .actual_access:  write_only
        .address_space:  global
        .offset:         16
        .size:           8
        .value_kind:     global_buffer
      - .actual_access:  write_only
        .address_space:  global
        .offset:         24
        .size:           8
        .value_kind:     global_buffer
      - .actual_access:  read_only
        .address_space:  global
        .offset:         32
        .size:           8
        .value_kind:     global_buffer
      - .actual_access:  read_only
        .address_space:  global
        .offset:         40
        .size:           8
        .value_kind:     global_buffer
      - .actual_access:  read_only
        .address_space:  global
        .offset:         48
        .size:           8
        .value_kind:     global_buffer
      - .actual_access:  read_only
        .address_space:  global
        .offset:         56
        .size:           8
        .value_kind:     global_buffer
      - .actual_access:  read_only
        .address_space:  global
        .offset:         64
        .size:           8
        .value_kind:     global_buffer
      - .actual_access:  read_only
        .address_space:  global
        .offset:         72
        .size:           8
        .value_kind:     global_buffer
      - .offset:         80
        .size:           4
        .value_kind:     by_value
      - .offset:         84
        .size:           4
        .value_kind:     by_value
      - .offset:         88
        .size:           4
        .value_kind:     by_value
      - .offset:         92
        .size:           4
        .value_kind:     by_value
      - .offset:         96
        .size:           4
        .value_kind:     by_value
      - .offset:         100
        .size:           4
        .value_kind:     by_value
      - .offset:         104
        .size:           4
        .value_kind:     by_value
      - .offset:         108
        .size:           4
        .value_kind:     by_value
      - .offset:         112
        .size:           4
        .value_kind:     by_value
      - .offset:         116
        .size:           4
        .value_kind:     by_value
      - .offset:         120
        .size:           4
        .value_kind:     by_value
      - .offset:         124
        .size:           4
        .value_kind:     by_value
      - .offset:         128
        .size:           4
        .value_kind:     by_value
      - .offset:         132
        .size:           4
        .value_kind:     by_value
      - .offset:         136
        .size:           4
        .value_kind:     by_value
      - .offset:         144
        .size:           4
        .value_kind:     hidden_block_count_x
      - .offset:         148
        .size:           4
        .value_kind:     hidden_block_count_y
      - .offset:         152
        .size:           4
        .value_kind:     hidden_block_count_z
      - .offset:         156
        .size:           2
        .value_kind:     hidden_group_size_x
      - .offset:         158
        .size:           2
        .value_kind:     hidden_group_size_y
      - .offset:         160
        .size:           2
        .value_kind:     hidden_group_size_z
      - .offset:         162
        .size:           2
        .value_kind:     hidden_remainder_x
      - .offset:         164
        .size:           2
        .value_kind:     hidden_remainder_y
      - .offset:         166
        .size:           2
        .value_kind:     hidden_remainder_z
      - .offset:         184
        .size:           8
        .value_kind:     hidden_global_offset_x
      - .offset:         192
        .size:           8
        .value_kind:     hidden_global_offset_y
      - .offset:         200
        .size:           8
        .value_kind:     hidden_global_offset_z
      - .offset:         208
        .size:           2
        .value_kind:     hidden_grid_dims
    .group_segment_fixed_size: 32
    .kernarg_segment_align: 8
    .kernarg_segment_size: 400
    .language:       OpenCL C
    .language_version:
      - 2
      - 0
    .max_flat_workgroup_size: 1024
    .name:           _ZN5aiter35fused_qk_rmsnorm_group_quant_kernelItDB8_Li256ELi16ELi8ELb0ELb1ELb0ELb0ELb0ELb0EEEvPT0_PvPT_S6_S6_PKS5_S8_S8_S8_S8_ffiiiiiiiiiiiii
    .private_segment_fixed_size: 0
    .sgpr_count:     40
    .sgpr_spill_count: 0
    .symbol:         _ZN5aiter35fused_qk_rmsnorm_group_quant_kernelItDB8_Li256ELi16ELi8ELb0ELb1ELb0ELb0ELb0ELb0EEEvPT0_PvPT_S6_S6_PKS5_S8_S8_S8_S8_ffiiiiiiiiiiiii.kd
    .uniform_work_group_size: 1
    .uses_dynamic_stack: false
    .vgpr_count:     38
    .vgpr_spill_count: 0
    .wavefront_size: 64
  - .agpr_count:     0
    .args:
      - .actual_access:  write_only
        .address_space:  global
        .offset:         0
        .size:           8
        .value_kind:     global_buffer
      - .actual_access:  write_only
        .address_space:  global
        .offset:         8
        .size:           8
        .value_kind:     global_buffer
      - .actual_access:  write_only
        .address_space:  global
        .offset:         16
        .size:           8
        .value_kind:     global_buffer
      - .actual_access:  write_only
        .address_space:  global
        .offset:         24
        .size:           8
        .value_kind:     global_buffer
      - .actual_access:  read_only
        .address_space:  global
        .offset:         32
        .size:           8
        .value_kind:     global_buffer
      - .actual_access:  read_only
        .address_space:  global
        .offset:         40
        .size:           8
        .value_kind:     global_buffer
      - .actual_access:  read_only
        .address_space:  global
        .offset:         48
        .size:           8
        .value_kind:     global_buffer
      - .actual_access:  read_only
        .address_space:  global
        .offset:         56
        .size:           8
        .value_kind:     global_buffer
      - .actual_access:  read_only
        .address_space:  global
        .offset:         64
        .size:           8
        .value_kind:     global_buffer
      - .actual_access:  read_only
        .address_space:  global
        .offset:         72
        .size:           8
        .value_kind:     global_buffer
      - .offset:         80
        .size:           4
        .value_kind:     by_value
      - .offset:         84
        .size:           4
        .value_kind:     by_value
      - .offset:         88
        .size:           4
        .value_kind:     by_value
      - .offset:         92
        .size:           4
        .value_kind:     by_value
      - .offset:         96
        .size:           4
        .value_kind:     by_value
      - .offset:         100
        .size:           4
        .value_kind:     by_value
      - .offset:         104
        .size:           4
        .value_kind:     by_value
      - .offset:         108
        .size:           4
        .value_kind:     by_value
      - .offset:         112
        .size:           4
        .value_kind:     by_value
      - .offset:         116
        .size:           4
        .value_kind:     by_value
      - .offset:         120
        .size:           4
        .value_kind:     by_value
      - .offset:         124
        .size:           4
        .value_kind:     by_value
      - .offset:         128
        .size:           4
        .value_kind:     by_value
      - .offset:         132
        .size:           4
        .value_kind:     by_value
      - .offset:         136
        .size:           4
        .value_kind:     by_value
      - .offset:         144
        .size:           4
        .value_kind:     hidden_block_count_x
      - .offset:         148
        .size:           4
        .value_kind:     hidden_block_count_y
      - .offset:         152
        .size:           4
        .value_kind:     hidden_block_count_z
      - .offset:         156
        .size:           2
        .value_kind:     hidden_group_size_x
      - .offset:         158
        .size:           2
        .value_kind:     hidden_group_size_y
      - .offset:         160
        .size:           2
        .value_kind:     hidden_group_size_z
      - .offset:         162
        .size:           2
        .value_kind:     hidden_remainder_x
      - .offset:         164
        .size:           2
        .value_kind:     hidden_remainder_y
      - .offset:         166
        .size:           2
        .value_kind:     hidden_remainder_z
      - .offset:         184
        .size:           8
        .value_kind:     hidden_global_offset_x
      - .offset:         192
        .size:           8
        .value_kind:     hidden_global_offset_y
      - .offset:         200
        .size:           8
        .value_kind:     hidden_global_offset_z
      - .offset:         208
        .size:           2
        .value_kind:     hidden_grid_dims
    .group_segment_fixed_size: 32
    .kernarg_segment_align: 8
    .kernarg_segment_size: 400
    .language:       OpenCL C
    .language_version:
      - 2
      - 0
    .max_flat_workgroup_size: 1024
    .name:           _ZN5aiter35fused_qk_rmsnorm_group_quant_kernelIDF16_N4opus5fp4_tELi256ELi16ELi8ELb0ELb1ELb0ELb0ELb0ELb0EEEvPT0_PvPT_S7_S7_PKS6_S9_S9_S9_S9_ffiiiiiiiiiiiii
    .private_segment_fixed_size: 0
    .sgpr_count:     40
    .sgpr_spill_count: 0
    .symbol:         _ZN5aiter35fused_qk_rmsnorm_group_quant_kernelIDF16_N4opus5fp4_tELi256ELi16ELi8ELb0ELb1ELb0ELb0ELb0ELb0EEEvPT0_PvPT_S7_S7_PKS6_S9_S9_S9_S9_ffiiiiiiiiiiiii.kd
    .uniform_work_group_size: 1
    .uses_dynamic_stack: false
    .vgpr_count:     35
    .vgpr_spill_count: 0
    .wavefront_size: 64
  - .agpr_count:     0
    .args:
      - .actual_access:  write_only
        .address_space:  global
        .offset:         0
        .size:           8
        .value_kind:     global_buffer
      - .actual_access:  write_only
        .address_space:  global
        .offset:         8
        .size:           8
        .value_kind:     global_buffer
      - .actual_access:  write_only
        .address_space:  global
        .offset:         16
        .size:           8
        .value_kind:     global_buffer
      - .actual_access:  write_only
        .address_space:  global
        .offset:         24
        .size:           8
        .value_kind:     global_buffer
      - .actual_access:  read_only
        .address_space:  global
        .offset:         32
        .size:           8
        .value_kind:     global_buffer
      - .actual_access:  read_only
        .address_space:  global
        .offset:         40
        .size:           8
        .value_kind:     global_buffer
      - .actual_access:  read_only
        .address_space:  global
        .offset:         48
        .size:           8
        .value_kind:     global_buffer
      - .actual_access:  read_only
        .address_space:  global
        .offset:         56
        .size:           8
        .value_kind:     global_buffer
      - .actual_access:  read_only
        .address_space:  global
        .offset:         64
        .size:           8
        .value_kind:     global_buffer
      - .actual_access:  read_only
        .address_space:  global
        .offset:         72
        .size:           8
        .value_kind:     global_buffer
      - .offset:         80
        .size:           4
        .value_kind:     by_value
      - .offset:         84
        .size:           4
        .value_kind:     by_value
      - .offset:         88
        .size:           4
        .value_kind:     by_value
      - .offset:         92
        .size:           4
        .value_kind:     by_value
      - .offset:         96
        .size:           4
        .value_kind:     by_value
      - .offset:         100
        .size:           4
        .value_kind:     by_value
      - .offset:         104
        .size:           4
        .value_kind:     by_value
      - .offset:         108
        .size:           4
        .value_kind:     by_value
      - .offset:         112
        .size:           4
        .value_kind:     by_value
      - .offset:         116
        .size:           4
        .value_kind:     by_value
      - .offset:         120
        .size:           4
        .value_kind:     by_value
      - .offset:         124
        .size:           4
        .value_kind:     by_value
      - .offset:         128
        .size:           4
        .value_kind:     by_value
      - .offset:         132
        .size:           4
        .value_kind:     by_value
      - .offset:         136
        .size:           4
        .value_kind:     by_value
      - .offset:         144
        .size:           4
        .value_kind:     hidden_block_count_x
      - .offset:         148
        .size:           4
        .value_kind:     hidden_block_count_y
      - .offset:         152
        .size:           4
        .value_kind:     hidden_block_count_z
      - .offset:         156
        .size:           2
        .value_kind:     hidden_group_size_x
      - .offset:         158
        .size:           2
        .value_kind:     hidden_group_size_y
      - .offset:         160
        .size:           2
        .value_kind:     hidden_group_size_z
      - .offset:         162
        .size:           2
        .value_kind:     hidden_remainder_x
      - .offset:         164
        .size:           2
        .value_kind:     hidden_remainder_y
      - .offset:         166
        .size:           2
        .value_kind:     hidden_remainder_z
      - .offset:         184
        .size:           8
        .value_kind:     hidden_global_offset_x
      - .offset:         192
        .size:           8
        .value_kind:     hidden_global_offset_y
      - .offset:         200
        .size:           8
        .value_kind:     hidden_global_offset_z
      - .offset:         208
        .size:           2
        .value_kind:     hidden_grid_dims
    .group_segment_fixed_size: 32
    .kernarg_segment_align: 8
    .kernarg_segment_size: 400
    .language:       OpenCL C
    .language_version:
      - 2
      - 0
    .max_flat_workgroup_size: 1024
    .name:           _ZN5aiter35fused_qk_rmsnorm_group_quant_kernelItN4opus5fp4_tELi256ELi16ELi8ELb0ELb1ELb0ELb0ELb0ELb0EEEvPT0_PvPT_S7_S7_PKS6_S9_S9_S9_S9_ffiiiiiiiiiiiii
    .private_segment_fixed_size: 0
    .sgpr_count:     40
    .sgpr_spill_count: 0
    .symbol:         _ZN5aiter35fused_qk_rmsnorm_group_quant_kernelItN4opus5fp4_tELi256ELi16ELi8ELb0ELb1ELb0ELb0ELb0ELb0EEEvPT0_PvPT_S7_S7_PKS6_S9_S9_S9_S9_ffiiiiiiiiiiiii.kd
    .uniform_work_group_size: 1
    .uses_dynamic_stack: false
    .vgpr_count:     35
    .vgpr_spill_count: 0
    .wavefront_size: 64
  - .agpr_count:     0
    .args:
      - .actual_access:  write_only
        .address_space:  global
        .offset:         0
        .size:           8
        .value_kind:     global_buffer
      - .actual_access:  write_only
        .address_space:  global
        .offset:         8
        .size:           8
        .value_kind:     global_buffer
      - .actual_access:  read_only
        .address_space:  global
        .offset:         16
        .size:           8
        .value_kind:     global_buffer
      - .actual_access:  write_only
        .address_space:  global
        .offset:         24
        .size:           8
        .value_kind:     global_buffer
      - .actual_access:  read_only
        .address_space:  global
        .offset:         32
        .size:           8
        .value_kind:     global_buffer
      - .actual_access:  read_only
        .address_space:  global
        .offset:         40
        .size:           8
        .value_kind:     global_buffer
      - .actual_access:  read_only
        .address_space:  global
        .offset:         48
        .size:           8
        .value_kind:     global_buffer
      - .actual_access:  read_only
        .address_space:  global
        .offset:         56
        .size:           8
        .value_kind:     global_buffer
      - .actual_access:  read_only
        .address_space:  global
        .offset:         64
        .size:           8
        .value_kind:     global_buffer
      - .actual_access:  read_only
        .address_space:  global
        .offset:         72
        .size:           8
        .value_kind:     global_buffer
      - .offset:         80
        .size:           4
        .value_kind:     by_value
      - .offset:         84
        .size:           4
        .value_kind:     by_value
      - .offset:         88
        .size:           4
        .value_kind:     by_value
      - .offset:         92
        .size:           4
        .value_kind:     by_value
      - .offset:         96
        .size:           4
        .value_kind:     by_value
      - .offset:         100
        .size:           4
        .value_kind:     by_value
      - .offset:         104
        .size:           4
        .value_kind:     by_value
      - .offset:         108
        .size:           4
        .value_kind:     by_value
      - .offset:         112
        .size:           4
        .value_kind:     by_value
      - .offset:         116
        .size:           4
        .value_kind:     by_value
      - .offset:         120
        .size:           4
        .value_kind:     by_value
      - .offset:         124
        .size:           4
        .value_kind:     by_value
      - .offset:         128
        .size:           4
        .value_kind:     by_value
      - .offset:         132
        .size:           4
        .value_kind:     by_value
      - .offset:         136
        .size:           4
        .value_kind:     by_value
      - .offset:         144
        .size:           4
        .value_kind:     hidden_block_count_x
      - .offset:         148
        .size:           4
        .value_kind:     hidden_block_count_y
      - .offset:         152
        .size:           4
        .value_kind:     hidden_block_count_z
      - .offset:         156
        .size:           2
        .value_kind:     hidden_group_size_x
      - .offset:         158
        .size:           2
        .value_kind:     hidden_group_size_y
      - .offset:         160
        .size:           2
        .value_kind:     hidden_group_size_z
      - .offset:         162
        .size:           2
        .value_kind:     hidden_remainder_x
      - .offset:         164
        .size:           2
        .value_kind:     hidden_remainder_y
      - .offset:         166
        .size:           2
        .value_kind:     hidden_remainder_z
      - .offset:         184
        .size:           8
        .value_kind:     hidden_global_offset_x
      - .offset:         192
        .size:           8
        .value_kind:     hidden_global_offset_y
      - .offset:         200
        .size:           8
        .value_kind:     hidden_global_offset_z
      - .offset:         208
        .size:           2
        .value_kind:     hidden_grid_dims
    .group_segment_fixed_size: 32
    .kernarg_segment_align: 8
    .kernarg_segment_size: 400
    .language:       OpenCL C
    .language_version:
      - 2
      - 0
    .max_flat_workgroup_size: 1024
    .name:           _ZN5aiter35fused_qk_rmsnorm_group_quant_kernelIDF16_DB8_Li256ELi16ELi8ELb0ELb0ELb1ELb0ELb0ELb0EEEvPT0_PvPT_S6_S6_PKS5_S8_S8_S8_S8_ffiiiiiiiiiiiii
    .private_segment_fixed_size: 0
    .sgpr_count:     36
    .sgpr_spill_count: 0
    .symbol:         _ZN5aiter35fused_qk_rmsnorm_group_quant_kernelIDF16_DB8_Li256ELi16ELi8ELb0ELb0ELb1ELb0ELb0ELb0EEEvPT0_PvPT_S6_S6_PKS5_S8_S8_S8_S8_ffiiiiiiiiiiiii.kd
    .uniform_work_group_size: 1
    .uses_dynamic_stack: false
    .vgpr_count:     35
    .vgpr_spill_count: 0
    .wavefront_size: 64
  - .agpr_count:     0
    .args:
      - .actual_access:  write_only
        .address_space:  global
        .offset:         0
        .size:           8
        .value_kind:     global_buffer
      - .actual_access:  write_only
        .address_space:  global
        .offset:         8
        .size:           8
        .value_kind:     global_buffer
      - .actual_access:  read_only
        .address_space:  global
        .offset:         16
        .size:           8
        .value_kind:     global_buffer
      - .actual_access:  write_only
        .address_space:  global
        .offset:         24
        .size:           8
        .value_kind:     global_buffer
      - .actual_access:  read_only
        .address_space:  global
        .offset:         32
        .size:           8
        .value_kind:     global_buffer
      - .actual_access:  read_only
        .address_space:  global
        .offset:         40
        .size:           8
        .value_kind:     global_buffer
      - .actual_access:  read_only
        .address_space:  global
        .offset:         48
        .size:           8
        .value_kind:     global_buffer
      - .actual_access:  read_only
        .address_space:  global
        .offset:         56
        .size:           8
        .value_kind:     global_buffer
      - .actual_access:  read_only
        .address_space:  global
        .offset:         64
        .size:           8
        .value_kind:     global_buffer
      - .actual_access:  read_only
        .address_space:  global
        .offset:         72
        .size:           8
        .value_kind:     global_buffer
      - .offset:         80
        .size:           4
        .value_kind:     by_value
      - .offset:         84
        .size:           4
        .value_kind:     by_value
      - .offset:         88
        .size:           4
        .value_kind:     by_value
      - .offset:         92
        .size:           4
        .value_kind:     by_value
      - .offset:         96
        .size:           4
        .value_kind:     by_value
      - .offset:         100
        .size:           4
        .value_kind:     by_value
      - .offset:         104
        .size:           4
        .value_kind:     by_value
      - .offset:         108
        .size:           4
        .value_kind:     by_value
      - .offset:         112
        .size:           4
        .value_kind:     by_value
      - .offset:         116
        .size:           4
        .value_kind:     by_value
      - .offset:         120
        .size:           4
        .value_kind:     by_value
      - .offset:         124
        .size:           4
        .value_kind:     by_value
      - .offset:         128
        .size:           4
        .value_kind:     by_value
      - .offset:         132
        .size:           4
        .value_kind:     by_value
      - .offset:         136
        .size:           4
        .value_kind:     by_value
      - .offset:         144
        .size:           4
        .value_kind:     hidden_block_count_x
      - .offset:         148
        .size:           4
        .value_kind:     hidden_block_count_y
      - .offset:         152
        .size:           4
        .value_kind:     hidden_block_count_z
      - .offset:         156
        .size:           2
        .value_kind:     hidden_group_size_x
      - .offset:         158
        .size:           2
        .value_kind:     hidden_group_size_y
      - .offset:         160
        .size:           2
        .value_kind:     hidden_group_size_z
      - .offset:         162
        .size:           2
        .value_kind:     hidden_remainder_x
      - .offset:         164
        .size:           2
        .value_kind:     hidden_remainder_y
      - .offset:         166
        .size:           2
        .value_kind:     hidden_remainder_z
      - .offset:         184
        .size:           8
        .value_kind:     hidden_global_offset_x
      - .offset:         192
        .size:           8
        .value_kind:     hidden_global_offset_y
      - .offset:         200
        .size:           8
        .value_kind:     hidden_global_offset_z
      - .offset:         208
        .size:           2
        .value_kind:     hidden_grid_dims
    .group_segment_fixed_size: 32
    .kernarg_segment_align: 8
    .kernarg_segment_size: 400
    .language:       OpenCL C
    .language_version:
      - 2
      - 0
    .max_flat_workgroup_size: 1024
    .name:           _ZN5aiter35fused_qk_rmsnorm_group_quant_kernelItDB8_Li256ELi16ELi8ELb0ELb0ELb1ELb0ELb0ELb0EEEvPT0_PvPT_S6_S6_PKS5_S8_S8_S8_S8_ffiiiiiiiiiiiii
    .private_segment_fixed_size: 0
    .sgpr_count:     36
    .sgpr_spill_count: 0
    .symbol:         _ZN5aiter35fused_qk_rmsnorm_group_quant_kernelItDB8_Li256ELi16ELi8ELb0ELb0ELb1ELb0ELb0ELb0EEEvPT0_PvPT_S6_S6_PKS5_S8_S8_S8_S8_ffiiiiiiiiiiiii.kd
    .uniform_work_group_size: 1
    .uses_dynamic_stack: false
    .vgpr_count:     35
    .vgpr_spill_count: 0
    .wavefront_size: 64
  - .agpr_count:     0
    .args:
      - .actual_access:  write_only
        .address_space:  global
        .offset:         0
        .size:           8
        .value_kind:     global_buffer
      - .actual_access:  write_only
        .address_space:  global
        .offset:         8
        .size:           8
        .value_kind:     global_buffer
      - .actual_access:  read_only
        .address_space:  global
        .offset:         16
        .size:           8
        .value_kind:     global_buffer
      - .actual_access:  write_only
        .address_space:  global
        .offset:         24
        .size:           8
        .value_kind:     global_buffer
      - .actual_access:  read_only
        .address_space:  global
        .offset:         32
        .size:           8
        .value_kind:     global_buffer
      - .actual_access:  read_only
        .address_space:  global
        .offset:         40
        .size:           8
        .value_kind:     global_buffer
      - .actual_access:  read_only
        .address_space:  global
        .offset:         48
        .size:           8
        .value_kind:     global_buffer
      - .actual_access:  read_only
        .address_space:  global
        .offset:         56
        .size:           8
        .value_kind:     global_buffer
      - .actual_access:  read_only
        .address_space:  global
        .offset:         64
        .size:           8
        .value_kind:     global_buffer
      - .actual_access:  read_only
        .address_space:  global
        .offset:         72
        .size:           8
        .value_kind:     global_buffer
      - .offset:         80
        .size:           4
        .value_kind:     by_value
      - .offset:         84
        .size:           4
        .value_kind:     by_value
      - .offset:         88
        .size:           4
        .value_kind:     by_value
      - .offset:         92
        .size:           4
        .value_kind:     by_value
      - .offset:         96
        .size:           4
        .value_kind:     by_value
      - .offset:         100
        .size:           4
        .value_kind:     by_value
      - .offset:         104
        .size:           4
        .value_kind:     by_value
      - .offset:         108
        .size:           4
        .value_kind:     by_value
      - .offset:         112
        .size:           4
        .value_kind:     by_value
      - .offset:         116
        .size:           4
        .value_kind:     by_value
      - .offset:         120
        .size:           4
        .value_kind:     by_value
      - .offset:         124
        .size:           4
        .value_kind:     by_value
      - .offset:         128
        .size:           4
        .value_kind:     by_value
      - .offset:         132
        .size:           4
        .value_kind:     by_value
      - .offset:         136
        .size:           4
        .value_kind:     by_value
      - .offset:         144
        .size:           4
        .value_kind:     hidden_block_count_x
      - .offset:         148
        .size:           4
        .value_kind:     hidden_block_count_y
      - .offset:         152
        .size:           4
        .value_kind:     hidden_block_count_z
      - .offset:         156
        .size:           2
        .value_kind:     hidden_group_size_x
      - .offset:         158
        .size:           2
        .value_kind:     hidden_group_size_y
      - .offset:         160
        .size:           2
        .value_kind:     hidden_group_size_z
      - .offset:         162
        .size:           2
        .value_kind:     hidden_remainder_x
      - .offset:         164
        .size:           2
        .value_kind:     hidden_remainder_y
      - .offset:         166
        .size:           2
        .value_kind:     hidden_remainder_z
      - .offset:         184
        .size:           8
        .value_kind:     hidden_global_offset_x
      - .offset:         192
        .size:           8
        .value_kind:     hidden_global_offset_y
      - .offset:         200
        .size:           8
        .value_kind:     hidden_global_offset_z
      - .offset:         208
        .size:           2
        .value_kind:     hidden_grid_dims
    .group_segment_fixed_size: 32
    .kernarg_segment_align: 8
    .kernarg_segment_size: 400
    .language:       OpenCL C
    .language_version:
      - 2
      - 0
    .max_flat_workgroup_size: 1024
    .name:           _ZN5aiter35fused_qk_rmsnorm_group_quant_kernelIDF16_N4opus5fp4_tELi256ELi16ELi8ELb0ELb0ELb1ELb0ELb0ELb0EEEvPT0_PvPT_S7_S7_PKS6_S9_S9_S9_S9_ffiiiiiiiiiiiii
    .private_segment_fixed_size: 0
    .sgpr_count:     36
    .sgpr_spill_count: 0
    .symbol:         _ZN5aiter35fused_qk_rmsnorm_group_quant_kernelIDF16_N4opus5fp4_tELi256ELi16ELi8ELb0ELb0ELb1ELb0ELb0ELb0EEEvPT0_PvPT_S7_S7_PKS6_S9_S9_S9_S9_ffiiiiiiiiiiiii.kd
    .uniform_work_group_size: 1
    .uses_dynamic_stack: false
    .vgpr_count:     35
    .vgpr_spill_count: 0
    .wavefront_size: 64
  - .agpr_count:     0
    .args:
      - .actual_access:  write_only
        .address_space:  global
        .offset:         0
        .size:           8
        .value_kind:     global_buffer
      - .actual_access:  write_only
        .address_space:  global
        .offset:         8
        .size:           8
        .value_kind:     global_buffer
      - .actual_access:  read_only
        .address_space:  global
        .offset:         16
        .size:           8
        .value_kind:     global_buffer
      - .actual_access:  write_only
        .address_space:  global
        .offset:         24
        .size:           8
        .value_kind:     global_buffer
      - .actual_access:  read_only
        .address_space:  global
        .offset:         32
        .size:           8
        .value_kind:     global_buffer
      - .actual_access:  read_only
        .address_space:  global
        .offset:         40
        .size:           8
        .value_kind:     global_buffer
      - .actual_access:  read_only
        .address_space:  global
        .offset:         48
        .size:           8
        .value_kind:     global_buffer
      - .actual_access:  read_only
        .address_space:  global
        .offset:         56
        .size:           8
        .value_kind:     global_buffer
      - .actual_access:  read_only
        .address_space:  global
        .offset:         64
        .size:           8
        .value_kind:     global_buffer
      - .actual_access:  read_only
        .address_space:  global
        .offset:         72
        .size:           8
        .value_kind:     global_buffer
      - .offset:         80
        .size:           4
        .value_kind:     by_value
      - .offset:         84
        .size:           4
        .value_kind:     by_value
      - .offset:         88
        .size:           4
        .value_kind:     by_value
      - .offset:         92
        .size:           4
        .value_kind:     by_value
      - .offset:         96
        .size:           4
        .value_kind:     by_value
      - .offset:         100
        .size:           4
        .value_kind:     by_value
      - .offset:         104
        .size:           4
        .value_kind:     by_value
      - .offset:         108
        .size:           4
        .value_kind:     by_value
      - .offset:         112
        .size:           4
        .value_kind:     by_value
      - .offset:         116
        .size:           4
        .value_kind:     by_value
      - .offset:         120
        .size:           4
        .value_kind:     by_value
      - .offset:         124
        .size:           4
        .value_kind:     by_value
      - .offset:         128
        .size:           4
        .value_kind:     by_value
      - .offset:         132
        .size:           4
        .value_kind:     by_value
      - .offset:         136
        .size:           4
        .value_kind:     by_value
      - .offset:         144
        .size:           4
        .value_kind:     hidden_block_count_x
      - .offset:         148
        .size:           4
        .value_kind:     hidden_block_count_y
      - .offset:         152
        .size:           4
        .value_kind:     hidden_block_count_z
      - .offset:         156
        .size:           2
        .value_kind:     hidden_group_size_x
      - .offset:         158
        .size:           2
        .value_kind:     hidden_group_size_y
      - .offset:         160
        .size:           2
        .value_kind:     hidden_group_size_z
      - .offset:         162
        .size:           2
        .value_kind:     hidden_remainder_x
      - .offset:         164
        .size:           2
        .value_kind:     hidden_remainder_y
      - .offset:         166
        .size:           2
        .value_kind:     hidden_remainder_z
      - .offset:         184
        .size:           8
        .value_kind:     hidden_global_offset_x
      - .offset:         192
        .size:           8
        .value_kind:     hidden_global_offset_y
      - .offset:         200
        .size:           8
        .value_kind:     hidden_global_offset_z
      - .offset:         208
        .size:           2
        .value_kind:     hidden_grid_dims
    .group_segment_fixed_size: 32
    .kernarg_segment_align: 8
    .kernarg_segment_size: 400
    .language:       OpenCL C
    .language_version:
      - 2
      - 0
    .max_flat_workgroup_size: 1024
    .name:           _ZN5aiter35fused_qk_rmsnorm_group_quant_kernelItN4opus5fp4_tELi256ELi16ELi8ELb0ELb0ELb1ELb0ELb0ELb0EEEvPT0_PvPT_S7_S7_PKS6_S9_S9_S9_S9_ffiiiiiiiiiiiii
    .private_segment_fixed_size: 0
    .sgpr_count:     36
    .sgpr_spill_count: 0
    .symbol:         _ZN5aiter35fused_qk_rmsnorm_group_quant_kernelItN4opus5fp4_tELi256ELi16ELi8ELb0ELb0ELb1ELb0ELb0ELb0EEEvPT0_PvPT_S7_S7_PKS6_S9_S9_S9_S9_ffiiiiiiiiiiiii.kd
    .uniform_work_group_size: 1
    .uses_dynamic_stack: false
    .vgpr_count:     35
    .vgpr_spill_count: 0
    .wavefront_size: 64
  - .agpr_count:     0
    .args:
      - .actual_access:  write_only
        .address_space:  global
        .offset:         0
        .size:           8
        .value_kind:     global_buffer
      - .actual_access:  write_only
        .address_space:  global
        .offset:         8
        .size:           8
        .value_kind:     global_buffer
      - .actual_access:  read_only
        .address_space:  global
        .offset:         16
        .size:           8
        .value_kind:     global_buffer
      - .actual_access:  write_only
        .address_space:  global
        .offset:         24
        .size:           8
        .value_kind:     global_buffer
      - .actual_access:  read_only
        .address_space:  global
        .offset:         32
        .size:           8
        .value_kind:     global_buffer
      - .actual_access:  read_only
        .address_space:  global
        .offset:         40
        .size:           8
        .value_kind:     global_buffer
      - .actual_access:  read_only
        .address_space:  global
        .offset:         48
        .size:           8
        .value_kind:     global_buffer
      - .actual_access:  read_only
        .address_space:  global
        .offset:         56
        .size:           8
        .value_kind:     global_buffer
      - .actual_access:  read_only
        .address_space:  global
        .offset:         64
        .size:           8
        .value_kind:     global_buffer
      - .actual_access:  read_only
        .address_space:  global
        .offset:         72
        .size:           8
        .value_kind:     global_buffer
      - .offset:         80
        .size:           4
        .value_kind:     by_value
      - .offset:         84
        .size:           4
        .value_kind:     by_value
      - .offset:         88
        .size:           4
        .value_kind:     by_value
      - .offset:         92
        .size:           4
        .value_kind:     by_value
      - .offset:         96
        .size:           4
        .value_kind:     by_value
      - .offset:         100
        .size:           4
        .value_kind:     by_value
      - .offset:         104
        .size:           4
        .value_kind:     by_value
      - .offset:         108
        .size:           4
        .value_kind:     by_value
      - .offset:         112
        .size:           4
        .value_kind:     by_value
      - .offset:         116
        .size:           4
        .value_kind:     by_value
      - .offset:         120
        .size:           4
        .value_kind:     by_value
      - .offset:         124
        .size:           4
        .value_kind:     by_value
      - .offset:         128
        .size:           4
        .value_kind:     by_value
      - .offset:         132
        .size:           4
        .value_kind:     by_value
      - .offset:         136
        .size:           4
        .value_kind:     by_value
      - .offset:         144
        .size:           4
        .value_kind:     hidden_block_count_x
      - .offset:         148
        .size:           4
        .value_kind:     hidden_block_count_y
      - .offset:         152
        .size:           4
        .value_kind:     hidden_block_count_z
      - .offset:         156
        .size:           2
        .value_kind:     hidden_group_size_x
      - .offset:         158
        .size:           2
        .value_kind:     hidden_group_size_y
      - .offset:         160
        .size:           2
        .value_kind:     hidden_group_size_z
      - .offset:         162
        .size:           2
        .value_kind:     hidden_remainder_x
      - .offset:         164
        .size:           2
        .value_kind:     hidden_remainder_y
      - .offset:         166
        .size:           2
        .value_kind:     hidden_remainder_z
      - .offset:         184
        .size:           8
        .value_kind:     hidden_global_offset_x
      - .offset:         192
        .size:           8
        .value_kind:     hidden_global_offset_y
      - .offset:         200
        .size:           8
        .value_kind:     hidden_global_offset_z
      - .offset:         208
        .size:           2
        .value_kind:     hidden_grid_dims
    .group_segment_fixed_size: 32
    .kernarg_segment_align: 8
    .kernarg_segment_size: 400
    .language:       OpenCL C
    .language_version:
      - 2
      - 0
    .max_flat_workgroup_size: 1024
    .name:           _ZN5aiter35fused_qk_rmsnorm_group_quant_kernelIDF16_DB8_Li256ELi16ELi8ELb0ELb0ELb0ELb0ELb0ELb0EEEvPT0_PvPT_S6_S6_PKS5_S8_S8_S8_S8_ffiiiiiiiiiiiii
    .private_segment_fixed_size: 0
    .sgpr_count:     36
    .sgpr_spill_count: 0
    .symbol:         _ZN5aiter35fused_qk_rmsnorm_group_quant_kernelIDF16_DB8_Li256ELi16ELi8ELb0ELb0ELb0ELb0ELb0ELb0EEEvPT0_PvPT_S6_S6_PKS5_S8_S8_S8_S8_ffiiiiiiiiiiiii.kd
    .uniform_work_group_size: 1
    .uses_dynamic_stack: false
    .vgpr_count:     38
    .vgpr_spill_count: 0
    .wavefront_size: 64
  - .agpr_count:     0
    .args:
      - .actual_access:  write_only
        .address_space:  global
        .offset:         0
        .size:           8
        .value_kind:     global_buffer
      - .actual_access:  write_only
        .address_space:  global
        .offset:         8
        .size:           8
        .value_kind:     global_buffer
      - .actual_access:  read_only
        .address_space:  global
        .offset:         16
        .size:           8
        .value_kind:     global_buffer
      - .actual_access:  write_only
        .address_space:  global
        .offset:         24
        .size:           8
        .value_kind:     global_buffer
      - .actual_access:  read_only
        .address_space:  global
        .offset:         32
        .size:           8
        .value_kind:     global_buffer
      - .actual_access:  read_only
        .address_space:  global
        .offset:         40
        .size:           8
        .value_kind:     global_buffer
      - .actual_access:  read_only
        .address_space:  global
        .offset:         48
        .size:           8
        .value_kind:     global_buffer
      - .actual_access:  read_only
        .address_space:  global
        .offset:         56
        .size:           8
        .value_kind:     global_buffer
      - .actual_access:  read_only
        .address_space:  global
        .offset:         64
        .size:           8
        .value_kind:     global_buffer
      - .actual_access:  read_only
        .address_space:  global
        .offset:         72
        .size:           8
        .value_kind:     global_buffer
      - .offset:         80
        .size:           4
        .value_kind:     by_value
      - .offset:         84
        .size:           4
        .value_kind:     by_value
      - .offset:         88
        .size:           4
        .value_kind:     by_value
      - .offset:         92
        .size:           4
        .value_kind:     by_value
      - .offset:         96
        .size:           4
        .value_kind:     by_value
      - .offset:         100
        .size:           4
        .value_kind:     by_value
      - .offset:         104
        .size:           4
        .value_kind:     by_value
      - .offset:         108
        .size:           4
        .value_kind:     by_value
      - .offset:         112
        .size:           4
        .value_kind:     by_value
      - .offset:         116
        .size:           4
        .value_kind:     by_value
      - .offset:         120
        .size:           4
        .value_kind:     by_value
      - .offset:         124
        .size:           4
        .value_kind:     by_value
      - .offset:         128
        .size:           4
        .value_kind:     by_value
      - .offset:         132
        .size:           4
        .value_kind:     by_value
      - .offset:         136
        .size:           4
        .value_kind:     by_value
      - .offset:         144
        .size:           4
        .value_kind:     hidden_block_count_x
      - .offset:         148
        .size:           4
        .value_kind:     hidden_block_count_y
      - .offset:         152
        .size:           4
        .value_kind:     hidden_block_count_z
      - .offset:         156
        .size:           2
        .value_kind:     hidden_group_size_x
      - .offset:         158
        .size:           2
        .value_kind:     hidden_group_size_y
      - .offset:         160
        .size:           2
        .value_kind:     hidden_group_size_z
      - .offset:         162
        .size:           2
        .value_kind:     hidden_remainder_x
      - .offset:         164
        .size:           2
        .value_kind:     hidden_remainder_y
      - .offset:         166
        .size:           2
        .value_kind:     hidden_remainder_z
      - .offset:         184
        .size:           8
        .value_kind:     hidden_global_offset_x
      - .offset:         192
        .size:           8
        .value_kind:     hidden_global_offset_y
      - .offset:         200
        .size:           8
        .value_kind:     hidden_global_offset_z
      - .offset:         208
        .size:           2
        .value_kind:     hidden_grid_dims
    .group_segment_fixed_size: 32
    .kernarg_segment_align: 8
    .kernarg_segment_size: 400
    .language:       OpenCL C
    .language_version:
      - 2
      - 0
    .max_flat_workgroup_size: 1024
    .name:           _ZN5aiter35fused_qk_rmsnorm_group_quant_kernelItDB8_Li256ELi16ELi8ELb0ELb0ELb0ELb0ELb0ELb0EEEvPT0_PvPT_S6_S6_PKS5_S8_S8_S8_S8_ffiiiiiiiiiiiii
    .private_segment_fixed_size: 0
    .sgpr_count:     36
    .sgpr_spill_count: 0
    .symbol:         _ZN5aiter35fused_qk_rmsnorm_group_quant_kernelItDB8_Li256ELi16ELi8ELb0ELb0ELb0ELb0ELb0ELb0EEEvPT0_PvPT_S6_S6_PKS5_S8_S8_S8_S8_ffiiiiiiiiiiiii.kd
    .uniform_work_group_size: 1
    .uses_dynamic_stack: false
    .vgpr_count:     38
    .vgpr_spill_count: 0
    .wavefront_size: 64
  - .agpr_count:     0
    .args:
      - .actual_access:  write_only
        .address_space:  global
        .offset:         0
        .size:           8
        .value_kind:     global_buffer
      - .actual_access:  write_only
        .address_space:  global
        .offset:         8
        .size:           8
        .value_kind:     global_buffer
      - .actual_access:  read_only
        .address_space:  global
        .offset:         16
        .size:           8
        .value_kind:     global_buffer
      - .actual_access:  write_only
        .address_space:  global
        .offset:         24
        .size:           8
        .value_kind:     global_buffer
      - .actual_access:  read_only
        .address_space:  global
        .offset:         32
        .size:           8
        .value_kind:     global_buffer
      - .actual_access:  read_only
        .address_space:  global
        .offset:         40
        .size:           8
        .value_kind:     global_buffer
      - .actual_access:  read_only
        .address_space:  global
        .offset:         48
        .size:           8
        .value_kind:     global_buffer
      - .actual_access:  read_only
        .address_space:  global
        .offset:         56
        .size:           8
        .value_kind:     global_buffer
      - .actual_access:  read_only
        .address_space:  global
        .offset:         64
        .size:           8
        .value_kind:     global_buffer
      - .actual_access:  read_only
        .address_space:  global
        .offset:         72
        .size:           8
        .value_kind:     global_buffer
      - .offset:         80
        .size:           4
        .value_kind:     by_value
      - .offset:         84
        .size:           4
        .value_kind:     by_value
      - .offset:         88
        .size:           4
        .value_kind:     by_value
      - .offset:         92
        .size:           4
        .value_kind:     by_value
      - .offset:         96
        .size:           4
        .value_kind:     by_value
      - .offset:         100
        .size:           4
        .value_kind:     by_value
      - .offset:         104
        .size:           4
        .value_kind:     by_value
      - .offset:         108
        .size:           4
        .value_kind:     by_value
      - .offset:         112
        .size:           4
        .value_kind:     by_value
      - .offset:         116
        .size:           4
        .value_kind:     by_value
      - .offset:         120
        .size:           4
        .value_kind:     by_value
      - .offset:         124
        .size:           4
        .value_kind:     by_value
      - .offset:         128
        .size:           4
        .value_kind:     by_value
      - .offset:         132
        .size:           4
        .value_kind:     by_value
      - .offset:         136
        .size:           4
        .value_kind:     by_value
      - .offset:         144
        .size:           4
        .value_kind:     hidden_block_count_x
      - .offset:         148
        .size:           4
        .value_kind:     hidden_block_count_y
      - .offset:         152
        .size:           4
        .value_kind:     hidden_block_count_z
      - .offset:         156
        .size:           2
        .value_kind:     hidden_group_size_x
      - .offset:         158
        .size:           2
        .value_kind:     hidden_group_size_y
      - .offset:         160
        .size:           2
        .value_kind:     hidden_group_size_z
      - .offset:         162
        .size:           2
        .value_kind:     hidden_remainder_x
      - .offset:         164
        .size:           2
        .value_kind:     hidden_remainder_y
      - .offset:         166
        .size:           2
        .value_kind:     hidden_remainder_z
      - .offset:         184
        .size:           8
        .value_kind:     hidden_global_offset_x
      - .offset:         192
        .size:           8
        .value_kind:     hidden_global_offset_y
      - .offset:         200
        .size:           8
        .value_kind:     hidden_global_offset_z
      - .offset:         208
        .size:           2
        .value_kind:     hidden_grid_dims
    .group_segment_fixed_size: 32
    .kernarg_segment_align: 8
    .kernarg_segment_size: 400
    .language:       OpenCL C
    .language_version:
      - 2
      - 0
    .max_flat_workgroup_size: 1024
    .name:           _ZN5aiter35fused_qk_rmsnorm_group_quant_kernelIDF16_N4opus5fp4_tELi256ELi16ELi8ELb0ELb0ELb0ELb0ELb0ELb0EEEvPT0_PvPT_S7_S7_PKS6_S9_S9_S9_S9_ffiiiiiiiiiiiii
    .private_segment_fixed_size: 0
    .sgpr_count:     36
    .sgpr_spill_count: 0
    .symbol:         _ZN5aiter35fused_qk_rmsnorm_group_quant_kernelIDF16_N4opus5fp4_tELi256ELi16ELi8ELb0ELb0ELb0ELb0ELb0ELb0EEEvPT0_PvPT_S7_S7_PKS6_S9_S9_S9_S9_ffiiiiiiiiiiiii.kd
    .uniform_work_group_size: 1
    .uses_dynamic_stack: false
    .vgpr_count:     35
    .vgpr_spill_count: 0
    .wavefront_size: 64
  - .agpr_count:     0
    .args:
      - .actual_access:  write_only
        .address_space:  global
        .offset:         0
        .size:           8
        .value_kind:     global_buffer
      - .actual_access:  write_only
        .address_space:  global
        .offset:         8
        .size:           8
        .value_kind:     global_buffer
      - .actual_access:  read_only
        .address_space:  global
        .offset:         16
        .size:           8
        .value_kind:     global_buffer
      - .actual_access:  write_only
        .address_space:  global
        .offset:         24
        .size:           8
        .value_kind:     global_buffer
      - .actual_access:  read_only
        .address_space:  global
        .offset:         32
        .size:           8
        .value_kind:     global_buffer
      - .actual_access:  read_only
        .address_space:  global
        .offset:         40
        .size:           8
        .value_kind:     global_buffer
      - .actual_access:  read_only
        .address_space:  global
        .offset:         48
        .size:           8
        .value_kind:     global_buffer
      - .actual_access:  read_only
        .address_space:  global
        .offset:         56
        .size:           8
        .value_kind:     global_buffer
      - .actual_access:  read_only
        .address_space:  global
        .offset:         64
        .size:           8
        .value_kind:     global_buffer
      - .actual_access:  read_only
        .address_space:  global
        .offset:         72
        .size:           8
        .value_kind:     global_buffer
      - .offset:         80
        .size:           4
        .value_kind:     by_value
      - .offset:         84
        .size:           4
        .value_kind:     by_value
      - .offset:         88
        .size:           4
        .value_kind:     by_value
      - .offset:         92
        .size:           4
        .value_kind:     by_value
      - .offset:         96
        .size:           4
        .value_kind:     by_value
      - .offset:         100
        .size:           4
        .value_kind:     by_value
      - .offset:         104
        .size:           4
        .value_kind:     by_value
      - .offset:         108
        .size:           4
        .value_kind:     by_value
      - .offset:         112
        .size:           4
        .value_kind:     by_value
      - .offset:         116
        .size:           4
        .value_kind:     by_value
      - .offset:         120
        .size:           4
        .value_kind:     by_value
      - .offset:         124
        .size:           4
        .value_kind:     by_value
      - .offset:         128
        .size:           4
        .value_kind:     by_value
      - .offset:         132
        .size:           4
        .value_kind:     by_value
      - .offset:         136
        .size:           4
        .value_kind:     by_value
      - .offset:         144
        .size:           4
        .value_kind:     hidden_block_count_x
      - .offset:         148
        .size:           4
        .value_kind:     hidden_block_count_y
      - .offset:         152
        .size:           4
        .value_kind:     hidden_block_count_z
      - .offset:         156
        .size:           2
        .value_kind:     hidden_group_size_x
      - .offset:         158
        .size:           2
        .value_kind:     hidden_group_size_y
      - .offset:         160
        .size:           2
        .value_kind:     hidden_group_size_z
      - .offset:         162
        .size:           2
        .value_kind:     hidden_remainder_x
      - .offset:         164
        .size:           2
        .value_kind:     hidden_remainder_y
      - .offset:         166
        .size:           2
        .value_kind:     hidden_remainder_z
      - .offset:         184
        .size:           8
        .value_kind:     hidden_global_offset_x
      - .offset:         192
        .size:           8
        .value_kind:     hidden_global_offset_y
      - .offset:         200
        .size:           8
        .value_kind:     hidden_global_offset_z
      - .offset:         208
        .size:           2
        .value_kind:     hidden_grid_dims
    .group_segment_fixed_size: 32
    .kernarg_segment_align: 8
    .kernarg_segment_size: 400
    .language:       OpenCL C
    .language_version:
      - 2
      - 0
    .max_flat_workgroup_size: 1024
    .name:           _ZN5aiter35fused_qk_rmsnorm_group_quant_kernelItN4opus5fp4_tELi256ELi16ELi8ELb0ELb0ELb0ELb0ELb0ELb0EEEvPT0_PvPT_S7_S7_PKS6_S9_S9_S9_S9_ffiiiiiiiiiiiii
    .private_segment_fixed_size: 0
    .sgpr_count:     36
    .sgpr_spill_count: 0
    .symbol:         _ZN5aiter35fused_qk_rmsnorm_group_quant_kernelItN4opus5fp4_tELi256ELi16ELi8ELb0ELb0ELb0ELb0ELb0ELb0EEEvPT0_PvPT_S7_S7_PKS6_S9_S9_S9_S9_ffiiiiiiiiiiiii.kd
    .uniform_work_group_size: 1
    .uses_dynamic_stack: false
    .vgpr_count:     35
    .vgpr_spill_count: 0
    .wavefront_size: 64
  - .agpr_count:     0
    .args:
      - .actual_access:  read_only
        .address_space:  global
        .offset:         0
        .size:           8
        .value_kind:     global_buffer
      - .actual_access:  read_only
        .address_space:  global
        .offset:         8
        .size:           8
        .value_kind:     global_buffer
      - .actual_access:  write_only
        .address_space:  global
        .offset:         16
        .size:           8
        .value_kind:     global_buffer
      - .actual_access:  write_only
        .address_space:  global
        .offset:         24
        .size:           8
        .value_kind:     global_buffer
      - .actual_access:  write_only
        .address_space:  global
        .offset:         32
        .size:           8
        .value_kind:     global_buffer
      - .actual_access:  read_only
        .address_space:  global
        .offset:         40
        .size:           8
        .value_kind:     global_buffer
      - .actual_access:  read_only
        .address_space:  global
        .offset:         48
        .size:           8
        .value_kind:     global_buffer
      - .actual_access:  read_only
        .address_space:  global
        .offset:         56
        .size:           8
        .value_kind:     global_buffer
      - .actual_access:  read_only
        .address_space:  global
        .offset:         64
        .size:           8
        .value_kind:     global_buffer
      - .actual_access:  read_only
        .address_space:  global
        .offset:         72
        .size:           8
        .value_kind:     global_buffer
      - .offset:         80
        .size:           4
        .value_kind:     by_value
      - .offset:         84
        .size:           4
        .value_kind:     by_value
      - .offset:         88
        .size:           4
        .value_kind:     by_value
      - .offset:         92
        .size:           4
        .value_kind:     by_value
      - .offset:         96
        .size:           4
        .value_kind:     by_value
      - .offset:         100
        .size:           4
        .value_kind:     by_value
      - .offset:         104
        .size:           4
        .value_kind:     by_value
      - .offset:         108
        .size:           4
        .value_kind:     by_value
      - .offset:         112
        .size:           4
        .value_kind:     by_value
      - .offset:         116
        .size:           4
        .value_kind:     by_value
      - .offset:         120
        .size:           4
        .value_kind:     by_value
      - .offset:         124
        .size:           4
        .value_kind:     by_value
      - .offset:         128
        .size:           4
        .value_kind:     by_value
      - .offset:         132
        .size:           4
        .value_kind:     by_value
      - .offset:         136
        .size:           4
        .value_kind:     by_value
      - .offset:         144
        .size:           4
        .value_kind:     hidden_block_count_x
      - .offset:         148
        .size:           4
        .value_kind:     hidden_block_count_y
      - .offset:         152
        .size:           4
        .value_kind:     hidden_block_count_z
      - .offset:         156
        .size:           2
        .value_kind:     hidden_group_size_x
      - .offset:         158
        .size:           2
        .value_kind:     hidden_group_size_y
      - .offset:         160
        .size:           2
        .value_kind:     hidden_group_size_z
      - .offset:         162
        .size:           2
        .value_kind:     hidden_remainder_x
      - .offset:         164
        .size:           2
        .value_kind:     hidden_remainder_y
      - .offset:         166
        .size:           2
        .value_kind:     hidden_remainder_z
      - .offset:         184
        .size:           8
        .value_kind:     hidden_global_offset_x
      - .offset:         192
        .size:           8
        .value_kind:     hidden_global_offset_y
      - .offset:         200
        .size:           8
        .value_kind:     hidden_global_offset_z
      - .offset:         208
        .size:           2
        .value_kind:     hidden_grid_dims
    .group_segment_fixed_size: 32
    .kernarg_segment_align: 8
    .kernarg_segment_size: 400
    .language:       OpenCL C
    .language_version:
      - 2
      - 0
    .max_flat_workgroup_size: 1024
    .name:           _ZN5aiter35fused_qk_rmsnorm_group_quant_kernelIDF16_DB8_Li256ELi16ELi4ELb1ELb1ELb1ELb1ELb0ELb0EEEvPT0_PvPT_S6_S6_PKS5_S8_S8_S8_S8_ffiiiiiiiiiiiii
    .private_segment_fixed_size: 0
    .sgpr_count:     36
    .sgpr_spill_count: 0
    .symbol:         _ZN5aiter35fused_qk_rmsnorm_group_quant_kernelIDF16_DB8_Li256ELi16ELi4ELb1ELb1ELb1ELb1ELb0ELb0EEEvPT0_PvPT_S6_S6_PKS5_S8_S8_S8_S8_ffiiiiiiiiiiiii.kd
    .uniform_work_group_size: 1
    .uses_dynamic_stack: false
    .vgpr_count:     49
    .vgpr_spill_count: 0
    .wavefront_size: 64
  - .agpr_count:     0
    .args:
      - .actual_access:  read_only
        .address_space:  global
        .offset:         0
        .size:           8
        .value_kind:     global_buffer
      - .actual_access:  read_only
        .address_space:  global
        .offset:         8
        .size:           8
        .value_kind:     global_buffer
      - .actual_access:  write_only
        .address_space:  global
        .offset:         16
        .size:           8
        .value_kind:     global_buffer
      - .actual_access:  write_only
        .address_space:  global
        .offset:         24
        .size:           8
        .value_kind:     global_buffer
      - .actual_access:  write_only
        .address_space:  global
        .offset:         32
        .size:           8
        .value_kind:     global_buffer
      - .actual_access:  read_only
        .address_space:  global
        .offset:         40
        .size:           8
        .value_kind:     global_buffer
      - .actual_access:  read_only
        .address_space:  global
        .offset:         48
        .size:           8
        .value_kind:     global_buffer
      - .actual_access:  read_only
        .address_space:  global
        .offset:         56
        .size:           8
        .value_kind:     global_buffer
      - .actual_access:  read_only
        .address_space:  global
        .offset:         64
        .size:           8
        .value_kind:     global_buffer
      - .actual_access:  read_only
        .address_space:  global
        .offset:         72
        .size:           8
        .value_kind:     global_buffer
      - .offset:         80
        .size:           4
        .value_kind:     by_value
      - .offset:         84
        .size:           4
        .value_kind:     by_value
      - .offset:         88
        .size:           4
        .value_kind:     by_value
      - .offset:         92
        .size:           4
        .value_kind:     by_value
      - .offset:         96
        .size:           4
        .value_kind:     by_value
      - .offset:         100
        .size:           4
        .value_kind:     by_value
      - .offset:         104
        .size:           4
        .value_kind:     by_value
      - .offset:         108
        .size:           4
        .value_kind:     by_value
      - .offset:         112
        .size:           4
        .value_kind:     by_value
      - .offset:         116
        .size:           4
        .value_kind:     by_value
      - .offset:         120
        .size:           4
        .value_kind:     by_value
      - .offset:         124
        .size:           4
        .value_kind:     by_value
      - .offset:         128
        .size:           4
        .value_kind:     by_value
      - .offset:         132
        .size:           4
        .value_kind:     by_value
      - .offset:         136
        .size:           4
        .value_kind:     by_value
      - .offset:         144
        .size:           4
        .value_kind:     hidden_block_count_x
      - .offset:         148
        .size:           4
        .value_kind:     hidden_block_count_y
      - .offset:         152
        .size:           4
        .value_kind:     hidden_block_count_z
      - .offset:         156
        .size:           2
        .value_kind:     hidden_group_size_x
      - .offset:         158
        .size:           2
        .value_kind:     hidden_group_size_y
      - .offset:         160
        .size:           2
        .value_kind:     hidden_group_size_z
      - .offset:         162
        .size:           2
        .value_kind:     hidden_remainder_x
      - .offset:         164
        .size:           2
        .value_kind:     hidden_remainder_y
      - .offset:         166
        .size:           2
        .value_kind:     hidden_remainder_z
      - .offset:         184
        .size:           8
        .value_kind:     hidden_global_offset_x
      - .offset:         192
        .size:           8
        .value_kind:     hidden_global_offset_y
      - .offset:         200
        .size:           8
        .value_kind:     hidden_global_offset_z
      - .offset:         208
        .size:           2
        .value_kind:     hidden_grid_dims
    .group_segment_fixed_size: 32
    .kernarg_segment_align: 8
    .kernarg_segment_size: 400
    .language:       OpenCL C
    .language_version:
      - 2
      - 0
    .max_flat_workgroup_size: 1024
    .name:           _ZN5aiter35fused_qk_rmsnorm_group_quant_kernelItDB8_Li256ELi16ELi4ELb1ELb1ELb1ELb1ELb0ELb0EEEvPT0_PvPT_S6_S6_PKS5_S8_S8_S8_S8_ffiiiiiiiiiiiii
    .private_segment_fixed_size: 0
    .sgpr_count:     36
    .sgpr_spill_count: 0
    .symbol:         _ZN5aiter35fused_qk_rmsnorm_group_quant_kernelItDB8_Li256ELi16ELi4ELb1ELb1ELb1ELb1ELb0ELb0EEEvPT0_PvPT_S6_S6_PKS5_S8_S8_S8_S8_ffiiiiiiiiiiiii.kd
    .uniform_work_group_size: 1
    .uses_dynamic_stack: false
    .vgpr_count:     76
    .vgpr_spill_count: 0
    .wavefront_size: 64
  - .agpr_count:     0
    .args:
      - .actual_access:  read_only
        .address_space:  global
        .offset:         0
        .size:           8
        .value_kind:     global_buffer
      - .actual_access:  read_only
        .address_space:  global
        .offset:         8
        .size:           8
        .value_kind:     global_buffer
      - .actual_access:  write_only
        .address_space:  global
        .offset:         16
        .size:           8
        .value_kind:     global_buffer
      - .actual_access:  write_only
        .address_space:  global
        .offset:         24
        .size:           8
        .value_kind:     global_buffer
      - .actual_access:  write_only
        .address_space:  global
        .offset:         32
        .size:           8
        .value_kind:     global_buffer
      - .actual_access:  read_only
        .address_space:  global
        .offset:         40
        .size:           8
        .value_kind:     global_buffer
      - .actual_access:  read_only
        .address_space:  global
        .offset:         48
        .size:           8
        .value_kind:     global_buffer
      - .actual_access:  read_only
        .address_space:  global
        .offset:         56
        .size:           8
        .value_kind:     global_buffer
      - .actual_access:  read_only
        .address_space:  global
        .offset:         64
        .size:           8
        .value_kind:     global_buffer
      - .actual_access:  read_only
        .address_space:  global
        .offset:         72
        .size:           8
        .value_kind:     global_buffer
      - .offset:         80
        .size:           4
        .value_kind:     by_value
      - .offset:         84
        .size:           4
        .value_kind:     by_value
      - .offset:         88
        .size:           4
        .value_kind:     by_value
      - .offset:         92
        .size:           4
        .value_kind:     by_value
      - .offset:         96
        .size:           4
        .value_kind:     by_value
      - .offset:         100
        .size:           4
        .value_kind:     by_value
      - .offset:         104
        .size:           4
        .value_kind:     by_value
      - .offset:         108
        .size:           4
        .value_kind:     by_value
      - .offset:         112
        .size:           4
        .value_kind:     by_value
      - .offset:         116
        .size:           4
        .value_kind:     by_value
      - .offset:         120
        .size:           4
        .value_kind:     by_value
      - .offset:         124
        .size:           4
        .value_kind:     by_value
      - .offset:         128
        .size:           4
        .value_kind:     by_value
      - .offset:         132
        .size:           4
        .value_kind:     by_value
      - .offset:         136
        .size:           4
        .value_kind:     by_value
      - .offset:         144
        .size:           4
        .value_kind:     hidden_block_count_x
      - .offset:         148
        .size:           4
        .value_kind:     hidden_block_count_y
      - .offset:         152
        .size:           4
        .value_kind:     hidden_block_count_z
      - .offset:         156
        .size:           2
        .value_kind:     hidden_group_size_x
      - .offset:         158
        .size:           2
        .value_kind:     hidden_group_size_y
      - .offset:         160
        .size:           2
        .value_kind:     hidden_group_size_z
      - .offset:         162
        .size:           2
        .value_kind:     hidden_remainder_x
      - .offset:         164
        .size:           2
        .value_kind:     hidden_remainder_y
      - .offset:         166
        .size:           2
        .value_kind:     hidden_remainder_z
      - .offset:         184
        .size:           8
        .value_kind:     hidden_global_offset_x
      - .offset:         192
        .size:           8
        .value_kind:     hidden_global_offset_y
      - .offset:         200
        .size:           8
        .value_kind:     hidden_global_offset_z
      - .offset:         208
        .size:           2
        .value_kind:     hidden_grid_dims
    .group_segment_fixed_size: 32
    .kernarg_segment_align: 8
    .kernarg_segment_size: 400
    .language:       OpenCL C
    .language_version:
      - 2
      - 0
    .max_flat_workgroup_size: 1024
    .name:           _ZN5aiter35fused_qk_rmsnorm_group_quant_kernelIDF16_N4opus5fp4_tELi256ELi16ELi4ELb1ELb1ELb1ELb1ELb0ELb0EEEvPT0_PvPT_S7_S7_PKS6_S9_S9_S9_S9_ffiiiiiiiiiiiii
    .private_segment_fixed_size: 0
    .sgpr_count:     36
    .sgpr_spill_count: 0
    .symbol:         _ZN5aiter35fused_qk_rmsnorm_group_quant_kernelIDF16_N4opus5fp4_tELi256ELi16ELi4ELb1ELb1ELb1ELb1ELb0ELb0EEEvPT0_PvPT_S7_S7_PKS6_S9_S9_S9_S9_ffiiiiiiiiiiiii.kd
    .uniform_work_group_size: 1
    .uses_dynamic_stack: false
    .vgpr_count:     49
    .vgpr_spill_count: 0
    .wavefront_size: 64
  - .agpr_count:     0
    .args:
      - .actual_access:  read_only
        .address_space:  global
        .offset:         0
        .size:           8
        .value_kind:     global_buffer
      - .actual_access:  read_only
        .address_space:  global
        .offset:         8
        .size:           8
        .value_kind:     global_buffer
      - .actual_access:  write_only
        .address_space:  global
        .offset:         16
        .size:           8
        .value_kind:     global_buffer
      - .actual_access:  write_only
        .address_space:  global
        .offset:         24
        .size:           8
        .value_kind:     global_buffer
      - .actual_access:  write_only
        .address_space:  global
        .offset:         32
        .size:           8
        .value_kind:     global_buffer
      - .actual_access:  read_only
        .address_space:  global
        .offset:         40
        .size:           8
        .value_kind:     global_buffer
      - .actual_access:  read_only
        .address_space:  global
        .offset:         48
        .size:           8
        .value_kind:     global_buffer
      - .actual_access:  read_only
        .address_space:  global
        .offset:         56
        .size:           8
        .value_kind:     global_buffer
      - .actual_access:  read_only
        .address_space:  global
        .offset:         64
        .size:           8
        .value_kind:     global_buffer
      - .actual_access:  read_only
        .address_space:  global
        .offset:         72
        .size:           8
        .value_kind:     global_buffer
      - .offset:         80
        .size:           4
        .value_kind:     by_value
      - .offset:         84
        .size:           4
        .value_kind:     by_value
      - .offset:         88
        .size:           4
        .value_kind:     by_value
      - .offset:         92
        .size:           4
        .value_kind:     by_value
      - .offset:         96
        .size:           4
        .value_kind:     by_value
      - .offset:         100
        .size:           4
        .value_kind:     by_value
      - .offset:         104
        .size:           4
        .value_kind:     by_value
      - .offset:         108
        .size:           4
        .value_kind:     by_value
      - .offset:         112
        .size:           4
        .value_kind:     by_value
      - .offset:         116
        .size:           4
        .value_kind:     by_value
      - .offset:         120
        .size:           4
        .value_kind:     by_value
      - .offset:         124
        .size:           4
        .value_kind:     by_value
      - .offset:         128
        .size:           4
        .value_kind:     by_value
      - .offset:         132
        .size:           4
        .value_kind:     by_value
      - .offset:         136
        .size:           4
        .value_kind:     by_value
      - .offset:         144
        .size:           4
        .value_kind:     hidden_block_count_x
      - .offset:         148
        .size:           4
        .value_kind:     hidden_block_count_y
      - .offset:         152
        .size:           4
        .value_kind:     hidden_block_count_z
      - .offset:         156
        .size:           2
        .value_kind:     hidden_group_size_x
      - .offset:         158
        .size:           2
        .value_kind:     hidden_group_size_y
      - .offset:         160
        .size:           2
        .value_kind:     hidden_group_size_z
      - .offset:         162
        .size:           2
        .value_kind:     hidden_remainder_x
      - .offset:         164
        .size:           2
        .value_kind:     hidden_remainder_y
      - .offset:         166
        .size:           2
        .value_kind:     hidden_remainder_z
      - .offset:         184
        .size:           8
        .value_kind:     hidden_global_offset_x
      - .offset:         192
        .size:           8
        .value_kind:     hidden_global_offset_y
      - .offset:         200
        .size:           8
        .value_kind:     hidden_global_offset_z
      - .offset:         208
        .size:           2
        .value_kind:     hidden_grid_dims
    .group_segment_fixed_size: 32
    .kernarg_segment_align: 8
    .kernarg_segment_size: 400
    .language:       OpenCL C
    .language_version:
      - 2
      - 0
    .max_flat_workgroup_size: 1024
    .name:           _ZN5aiter35fused_qk_rmsnorm_group_quant_kernelItN4opus5fp4_tELi256ELi16ELi4ELb1ELb1ELb1ELb1ELb0ELb0EEEvPT0_PvPT_S7_S7_PKS6_S9_S9_S9_S9_ffiiiiiiiiiiiii
    .private_segment_fixed_size: 0
    .sgpr_count:     36
    .sgpr_spill_count: 0
    .symbol:         _ZN5aiter35fused_qk_rmsnorm_group_quant_kernelItN4opus5fp4_tELi256ELi16ELi4ELb1ELb1ELb1ELb1ELb0ELb0EEEvPT0_PvPT_S7_S7_PKS6_S9_S9_S9_S9_ffiiiiiiiiiiiii.kd
    .uniform_work_group_size: 1
    .uses_dynamic_stack: false
    .vgpr_count:     76
    .vgpr_spill_count: 0
    .wavefront_size: 64
  - .agpr_count:     0
    .args:
      - .actual_access:  read_only
        .address_space:  global
        .offset:         0
        .size:           8
        .value_kind:     global_buffer
      - .actual_access:  read_only
        .address_space:  global
        .offset:         8
        .size:           8
        .value_kind:     global_buffer
      - .actual_access:  write_only
        .address_space:  global
        .offset:         16
        .size:           8
        .value_kind:     global_buffer
      - .actual_access:  write_only
        .address_space:  global
        .offset:         24
        .size:           8
        .value_kind:     global_buffer
      - .actual_access:  write_only
        .address_space:  global
        .offset:         32
        .size:           8
        .value_kind:     global_buffer
      - .actual_access:  read_only
        .address_space:  global
        .offset:         40
        .size:           8
        .value_kind:     global_buffer
      - .actual_access:  read_only
        .address_space:  global
        .offset:         48
        .size:           8
        .value_kind:     global_buffer
      - .actual_access:  read_only
        .address_space:  global
        .offset:         56
        .size:           8
        .value_kind:     global_buffer
      - .actual_access:  read_only
        .address_space:  global
        .offset:         64
        .size:           8
        .value_kind:     global_buffer
      - .actual_access:  read_only
        .address_space:  global
        .offset:         72
        .size:           8
        .value_kind:     global_buffer
      - .offset:         80
        .size:           4
        .value_kind:     by_value
      - .offset:         84
        .size:           4
        .value_kind:     by_value
      - .offset:         88
        .size:           4
        .value_kind:     by_value
      - .offset:         92
        .size:           4
        .value_kind:     by_value
      - .offset:         96
        .size:           4
        .value_kind:     by_value
      - .offset:         100
        .size:           4
        .value_kind:     by_value
      - .offset:         104
        .size:           4
        .value_kind:     by_value
      - .offset:         108
        .size:           4
        .value_kind:     by_value
      - .offset:         112
        .size:           4
        .value_kind:     by_value
      - .offset:         116
        .size:           4
        .value_kind:     by_value
      - .offset:         120
        .size:           4
        .value_kind:     by_value
      - .offset:         124
        .size:           4
        .value_kind:     by_value
      - .offset:         128
        .size:           4
        .value_kind:     by_value
      - .offset:         132
        .size:           4
        .value_kind:     by_value
      - .offset:         136
        .size:           4
        .value_kind:     by_value
      - .offset:         144
        .size:           4
        .value_kind:     hidden_block_count_x
      - .offset:         148
        .size:           4
        .value_kind:     hidden_block_count_y
      - .offset:         152
        .size:           4
        .value_kind:     hidden_block_count_z
      - .offset:         156
        .size:           2
        .value_kind:     hidden_group_size_x
      - .offset:         158
        .size:           2
        .value_kind:     hidden_group_size_y
      - .offset:         160
        .size:           2
        .value_kind:     hidden_group_size_z
      - .offset:         162
        .size:           2
        .value_kind:     hidden_remainder_x
      - .offset:         164
        .size:           2
        .value_kind:     hidden_remainder_y
      - .offset:         166
        .size:           2
        .value_kind:     hidden_remainder_z
      - .offset:         184
        .size:           8
        .value_kind:     hidden_global_offset_x
      - .offset:         192
        .size:           8
        .value_kind:     hidden_global_offset_y
      - .offset:         200
        .size:           8
        .value_kind:     hidden_global_offset_z
      - .offset:         208
        .size:           2
        .value_kind:     hidden_grid_dims
    .group_segment_fixed_size: 32
    .kernarg_segment_align: 8
    .kernarg_segment_size: 400
    .language:       OpenCL C
    .language_version:
      - 2
      - 0
    .max_flat_workgroup_size: 1024
    .name:           _ZN5aiter35fused_qk_rmsnorm_group_quant_kernelIDF16_DB8_Li256ELi16ELi4ELb1ELb1ELb0ELb1ELb0ELb0EEEvPT0_PvPT_S6_S6_PKS5_S8_S8_S8_S8_ffiiiiiiiiiiiii
    .private_segment_fixed_size: 0
    .sgpr_count:     36
    .sgpr_spill_count: 0
    .symbol:         _ZN5aiter35fused_qk_rmsnorm_group_quant_kernelIDF16_DB8_Li256ELi16ELi4ELb1ELb1ELb0ELb1ELb0ELb0EEEvPT0_PvPT_S6_S6_PKS5_S8_S8_S8_S8_ffiiiiiiiiiiiii.kd
    .uniform_work_group_size: 1
    .uses_dynamic_stack: false
    .vgpr_count:     49
    .vgpr_spill_count: 0
    .wavefront_size: 64
  - .agpr_count:     0
    .args:
      - .actual_access:  read_only
        .address_space:  global
        .offset:         0
        .size:           8
        .value_kind:     global_buffer
      - .actual_access:  read_only
        .address_space:  global
        .offset:         8
        .size:           8
        .value_kind:     global_buffer
      - .actual_access:  write_only
        .address_space:  global
        .offset:         16
        .size:           8
        .value_kind:     global_buffer
      - .actual_access:  write_only
        .address_space:  global
        .offset:         24
        .size:           8
        .value_kind:     global_buffer
      - .actual_access:  write_only
        .address_space:  global
        .offset:         32
        .size:           8
        .value_kind:     global_buffer
      - .actual_access:  read_only
        .address_space:  global
        .offset:         40
        .size:           8
        .value_kind:     global_buffer
      - .actual_access:  read_only
        .address_space:  global
        .offset:         48
        .size:           8
        .value_kind:     global_buffer
      - .actual_access:  read_only
        .address_space:  global
        .offset:         56
        .size:           8
        .value_kind:     global_buffer
      - .actual_access:  read_only
        .address_space:  global
        .offset:         64
        .size:           8
        .value_kind:     global_buffer
      - .actual_access:  read_only
        .address_space:  global
        .offset:         72
        .size:           8
        .value_kind:     global_buffer
      - .offset:         80
        .size:           4
        .value_kind:     by_value
      - .offset:         84
        .size:           4
        .value_kind:     by_value
      - .offset:         88
        .size:           4
        .value_kind:     by_value
      - .offset:         92
        .size:           4
        .value_kind:     by_value
      - .offset:         96
        .size:           4
        .value_kind:     by_value
      - .offset:         100
        .size:           4
        .value_kind:     by_value
      - .offset:         104
        .size:           4
        .value_kind:     by_value
      - .offset:         108
        .size:           4
        .value_kind:     by_value
      - .offset:         112
        .size:           4
        .value_kind:     by_value
      - .offset:         116
        .size:           4
        .value_kind:     by_value
      - .offset:         120
        .size:           4
        .value_kind:     by_value
      - .offset:         124
        .size:           4
        .value_kind:     by_value
      - .offset:         128
        .size:           4
        .value_kind:     by_value
      - .offset:         132
        .size:           4
        .value_kind:     by_value
      - .offset:         136
        .size:           4
        .value_kind:     by_value
      - .offset:         144
        .size:           4
        .value_kind:     hidden_block_count_x
      - .offset:         148
        .size:           4
        .value_kind:     hidden_block_count_y
      - .offset:         152
        .size:           4
        .value_kind:     hidden_block_count_z
      - .offset:         156
        .size:           2
        .value_kind:     hidden_group_size_x
      - .offset:         158
        .size:           2
        .value_kind:     hidden_group_size_y
      - .offset:         160
        .size:           2
        .value_kind:     hidden_group_size_z
      - .offset:         162
        .size:           2
        .value_kind:     hidden_remainder_x
      - .offset:         164
        .size:           2
        .value_kind:     hidden_remainder_y
      - .offset:         166
        .size:           2
        .value_kind:     hidden_remainder_z
      - .offset:         184
        .size:           8
        .value_kind:     hidden_global_offset_x
      - .offset:         192
        .size:           8
        .value_kind:     hidden_global_offset_y
      - .offset:         200
        .size:           8
        .value_kind:     hidden_global_offset_z
      - .offset:         208
        .size:           2
        .value_kind:     hidden_grid_dims
    .group_segment_fixed_size: 32
    .kernarg_segment_align: 8
    .kernarg_segment_size: 400
    .language:       OpenCL C
    .language_version:
      - 2
      - 0
    .max_flat_workgroup_size: 1024
    .name:           _ZN5aiter35fused_qk_rmsnorm_group_quant_kernelItDB8_Li256ELi16ELi4ELb1ELb1ELb0ELb1ELb0ELb0EEEvPT0_PvPT_S6_S6_PKS5_S8_S8_S8_S8_ffiiiiiiiiiiiii
    .private_segment_fixed_size: 0
    .sgpr_count:     36
    .sgpr_spill_count: 0
    .symbol:         _ZN5aiter35fused_qk_rmsnorm_group_quant_kernelItDB8_Li256ELi16ELi4ELb1ELb1ELb0ELb1ELb0ELb0EEEvPT0_PvPT_S6_S6_PKS5_S8_S8_S8_S8_ffiiiiiiiiiiiii.kd
    .uniform_work_group_size: 1
    .uses_dynamic_stack: false
    .vgpr_count:     90
    .vgpr_spill_count: 0
    .wavefront_size: 64
  - .agpr_count:     0
    .args:
      - .actual_access:  read_only
        .address_space:  global
        .offset:         0
        .size:           8
        .value_kind:     global_buffer
      - .actual_access:  read_only
        .address_space:  global
        .offset:         8
        .size:           8
        .value_kind:     global_buffer
      - .actual_access:  write_only
        .address_space:  global
        .offset:         16
        .size:           8
        .value_kind:     global_buffer
      - .actual_access:  write_only
        .address_space:  global
        .offset:         24
        .size:           8
        .value_kind:     global_buffer
      - .actual_access:  write_only
        .address_space:  global
        .offset:         32
        .size:           8
        .value_kind:     global_buffer
      - .actual_access:  read_only
        .address_space:  global
        .offset:         40
        .size:           8
        .value_kind:     global_buffer
      - .actual_access:  read_only
        .address_space:  global
        .offset:         48
        .size:           8
        .value_kind:     global_buffer
      - .actual_access:  read_only
        .address_space:  global
        .offset:         56
        .size:           8
        .value_kind:     global_buffer
      - .actual_access:  read_only
        .address_space:  global
        .offset:         64
        .size:           8
        .value_kind:     global_buffer
      - .actual_access:  read_only
        .address_space:  global
        .offset:         72
        .size:           8
        .value_kind:     global_buffer
      - .offset:         80
        .size:           4
        .value_kind:     by_value
      - .offset:         84
        .size:           4
        .value_kind:     by_value
      - .offset:         88
        .size:           4
        .value_kind:     by_value
      - .offset:         92
        .size:           4
        .value_kind:     by_value
      - .offset:         96
        .size:           4
        .value_kind:     by_value
      - .offset:         100
        .size:           4
        .value_kind:     by_value
      - .offset:         104
        .size:           4
        .value_kind:     by_value
      - .offset:         108
        .size:           4
        .value_kind:     by_value
      - .offset:         112
        .size:           4
        .value_kind:     by_value
      - .offset:         116
        .size:           4
        .value_kind:     by_value
      - .offset:         120
        .size:           4
        .value_kind:     by_value
      - .offset:         124
        .size:           4
        .value_kind:     by_value
      - .offset:         128
        .size:           4
        .value_kind:     by_value
      - .offset:         132
        .size:           4
        .value_kind:     by_value
      - .offset:         136
        .size:           4
        .value_kind:     by_value
      - .offset:         144
        .size:           4
        .value_kind:     hidden_block_count_x
      - .offset:         148
        .size:           4
        .value_kind:     hidden_block_count_y
      - .offset:         152
        .size:           4
        .value_kind:     hidden_block_count_z
      - .offset:         156
        .size:           2
        .value_kind:     hidden_group_size_x
      - .offset:         158
        .size:           2
        .value_kind:     hidden_group_size_y
      - .offset:         160
        .size:           2
        .value_kind:     hidden_group_size_z
      - .offset:         162
        .size:           2
        .value_kind:     hidden_remainder_x
      - .offset:         164
        .size:           2
        .value_kind:     hidden_remainder_y
      - .offset:         166
        .size:           2
        .value_kind:     hidden_remainder_z
      - .offset:         184
        .size:           8
        .value_kind:     hidden_global_offset_x
      - .offset:         192
        .size:           8
        .value_kind:     hidden_global_offset_y
      - .offset:         200
        .size:           8
        .value_kind:     hidden_global_offset_z
      - .offset:         208
        .size:           2
        .value_kind:     hidden_grid_dims
    .group_segment_fixed_size: 32
    .kernarg_segment_align: 8
    .kernarg_segment_size: 400
    .language:       OpenCL C
    .language_version:
      - 2
      - 0
    .max_flat_workgroup_size: 1024
    .name:           _ZN5aiter35fused_qk_rmsnorm_group_quant_kernelIDF16_N4opus5fp4_tELi256ELi16ELi4ELb1ELb1ELb0ELb1ELb0ELb0EEEvPT0_PvPT_S7_S7_PKS6_S9_S9_S9_S9_ffiiiiiiiiiiiii
    .private_segment_fixed_size: 0
    .sgpr_count:     36
    .sgpr_spill_count: 0
    .symbol:         _ZN5aiter35fused_qk_rmsnorm_group_quant_kernelIDF16_N4opus5fp4_tELi256ELi16ELi4ELb1ELb1ELb0ELb1ELb0ELb0EEEvPT0_PvPT_S7_S7_PKS6_S9_S9_S9_S9_ffiiiiiiiiiiiii.kd
    .uniform_work_group_size: 1
    .uses_dynamic_stack: false
    .vgpr_count:     49
    .vgpr_spill_count: 0
    .wavefront_size: 64
  - .agpr_count:     0
    .args:
      - .actual_access:  read_only
        .address_space:  global
        .offset:         0
        .size:           8
        .value_kind:     global_buffer
      - .actual_access:  read_only
        .address_space:  global
        .offset:         8
        .size:           8
        .value_kind:     global_buffer
      - .actual_access:  write_only
        .address_space:  global
        .offset:         16
        .size:           8
        .value_kind:     global_buffer
      - .actual_access:  write_only
        .address_space:  global
        .offset:         24
        .size:           8
        .value_kind:     global_buffer
      - .actual_access:  write_only
        .address_space:  global
        .offset:         32
        .size:           8
        .value_kind:     global_buffer
      - .actual_access:  read_only
        .address_space:  global
        .offset:         40
        .size:           8
        .value_kind:     global_buffer
      - .actual_access:  read_only
        .address_space:  global
        .offset:         48
        .size:           8
        .value_kind:     global_buffer
      - .actual_access:  read_only
        .address_space:  global
        .offset:         56
        .size:           8
        .value_kind:     global_buffer
      - .actual_access:  read_only
        .address_space:  global
        .offset:         64
        .size:           8
        .value_kind:     global_buffer
      - .actual_access:  read_only
        .address_space:  global
        .offset:         72
        .size:           8
        .value_kind:     global_buffer
      - .offset:         80
        .size:           4
        .value_kind:     by_value
      - .offset:         84
        .size:           4
        .value_kind:     by_value
      - .offset:         88
        .size:           4
        .value_kind:     by_value
      - .offset:         92
        .size:           4
        .value_kind:     by_value
      - .offset:         96
        .size:           4
        .value_kind:     by_value
      - .offset:         100
        .size:           4
        .value_kind:     by_value
      - .offset:         104
        .size:           4
        .value_kind:     by_value
      - .offset:         108
        .size:           4
        .value_kind:     by_value
      - .offset:         112
        .size:           4
        .value_kind:     by_value
      - .offset:         116
        .size:           4
        .value_kind:     by_value
      - .offset:         120
        .size:           4
        .value_kind:     by_value
      - .offset:         124
        .size:           4
        .value_kind:     by_value
      - .offset:         128
        .size:           4
        .value_kind:     by_value
      - .offset:         132
        .size:           4
        .value_kind:     by_value
      - .offset:         136
        .size:           4
        .value_kind:     by_value
      - .offset:         144
        .size:           4
        .value_kind:     hidden_block_count_x
      - .offset:         148
        .size:           4
        .value_kind:     hidden_block_count_y
      - .offset:         152
        .size:           4
        .value_kind:     hidden_block_count_z
      - .offset:         156
        .size:           2
        .value_kind:     hidden_group_size_x
      - .offset:         158
        .size:           2
        .value_kind:     hidden_group_size_y
      - .offset:         160
        .size:           2
        .value_kind:     hidden_group_size_z
      - .offset:         162
        .size:           2
        .value_kind:     hidden_remainder_x
      - .offset:         164
        .size:           2
        .value_kind:     hidden_remainder_y
      - .offset:         166
        .size:           2
        .value_kind:     hidden_remainder_z
      - .offset:         184
        .size:           8
        .value_kind:     hidden_global_offset_x
      - .offset:         192
        .size:           8
        .value_kind:     hidden_global_offset_y
      - .offset:         200
        .size:           8
        .value_kind:     hidden_global_offset_z
      - .offset:         208
        .size:           2
        .value_kind:     hidden_grid_dims
    .group_segment_fixed_size: 32
    .kernarg_segment_align: 8
    .kernarg_segment_size: 400
    .language:       OpenCL C
    .language_version:
      - 2
      - 0
    .max_flat_workgroup_size: 1024
    .name:           _ZN5aiter35fused_qk_rmsnorm_group_quant_kernelItN4opus5fp4_tELi256ELi16ELi4ELb1ELb1ELb0ELb1ELb0ELb0EEEvPT0_PvPT_S7_S7_PKS6_S9_S9_S9_S9_ffiiiiiiiiiiiii
    .private_segment_fixed_size: 0
    .sgpr_count:     36
    .sgpr_spill_count: 0
    .symbol:         _ZN5aiter35fused_qk_rmsnorm_group_quant_kernelItN4opus5fp4_tELi256ELi16ELi4ELb1ELb1ELb0ELb1ELb0ELb0EEEvPT0_PvPT_S7_S7_PKS6_S9_S9_S9_S9_ffiiiiiiiiiiiii.kd
    .uniform_work_group_size: 1
    .uses_dynamic_stack: false
    .vgpr_count:     90
    .vgpr_spill_count: 0
    .wavefront_size: 64
  - .agpr_count:     0
    .args:
      - .actual_access:  read_only
        .address_space:  global
        .offset:         0
        .size:           8
        .value_kind:     global_buffer
      - .actual_access:  read_only
        .address_space:  global
        .offset:         8
        .size:           8
        .value_kind:     global_buffer
      - .actual_access:  write_only
        .address_space:  global
        .offset:         16
        .size:           8
        .value_kind:     global_buffer
      - .actual_access:  write_only
        .address_space:  global
        .offset:         24
        .size:           8
        .value_kind:     global_buffer
      - .actual_access:  read_only
        .address_space:  global
        .offset:         32
        .size:           8
        .value_kind:     global_buffer
      - .actual_access:  read_only
        .address_space:  global
        .offset:         40
        .size:           8
        .value_kind:     global_buffer
      - .actual_access:  read_only
        .address_space:  global
        .offset:         48
        .size:           8
        .value_kind:     global_buffer
      - .actual_access:  read_only
        .address_space:  global
        .offset:         56
        .size:           8
        .value_kind:     global_buffer
      - .actual_access:  read_only
        .address_space:  global
        .offset:         64
        .size:           8
        .value_kind:     global_buffer
      - .actual_access:  read_only
        .address_space:  global
        .offset:         72
        .size:           8
        .value_kind:     global_buffer
      - .offset:         80
        .size:           4
        .value_kind:     by_value
      - .offset:         84
        .size:           4
        .value_kind:     by_value
      - .offset:         88
        .size:           4
        .value_kind:     by_value
      - .offset:         92
        .size:           4
        .value_kind:     by_value
      - .offset:         96
        .size:           4
        .value_kind:     by_value
      - .offset:         100
        .size:           4
        .value_kind:     by_value
      - .offset:         104
        .size:           4
        .value_kind:     by_value
      - .offset:         108
        .size:           4
        .value_kind:     by_value
      - .offset:         112
        .size:           4
        .value_kind:     by_value
      - .offset:         116
        .size:           4
        .value_kind:     by_value
      - .offset:         120
        .size:           4
        .value_kind:     by_value
      - .offset:         124
        .size:           4
        .value_kind:     by_value
      - .offset:         128
        .size:           4
        .value_kind:     by_value
      - .offset:         132
        .size:           4
        .value_kind:     by_value
      - .offset:         136
        .size:           4
        .value_kind:     by_value
      - .offset:         144
        .size:           4
        .value_kind:     hidden_block_count_x
      - .offset:         148
        .size:           4
        .value_kind:     hidden_block_count_y
      - .offset:         152
        .size:           4
        .value_kind:     hidden_block_count_z
      - .offset:         156
        .size:           2
        .value_kind:     hidden_group_size_x
      - .offset:         158
        .size:           2
        .value_kind:     hidden_group_size_y
      - .offset:         160
        .size:           2
        .value_kind:     hidden_group_size_z
      - .offset:         162
        .size:           2
        .value_kind:     hidden_remainder_x
      - .offset:         164
        .size:           2
        .value_kind:     hidden_remainder_y
      - .offset:         166
        .size:           2
        .value_kind:     hidden_remainder_z
      - .offset:         184
        .size:           8
        .value_kind:     hidden_global_offset_x
      - .offset:         192
        .size:           8
        .value_kind:     hidden_global_offset_y
      - .offset:         200
        .size:           8
        .value_kind:     hidden_global_offset_z
      - .offset:         208
        .size:           2
        .value_kind:     hidden_grid_dims
    .group_segment_fixed_size: 32
    .kernarg_segment_align: 8
    .kernarg_segment_size: 400
    .language:       OpenCL C
    .language_version:
      - 2
      - 0
    .max_flat_workgroup_size: 1024
    .name:           _ZN5aiter35fused_qk_rmsnorm_group_quant_kernelIDF16_DB8_Li256ELi16ELi4ELb0ELb1ELb1ELb1ELb0ELb0EEEvPT0_PvPT_S6_S6_PKS5_S8_S8_S8_S8_ffiiiiiiiiiiiii
    .private_segment_fixed_size: 0
    .sgpr_count:     36
    .sgpr_spill_count: 0
    .symbol:         _ZN5aiter35fused_qk_rmsnorm_group_quant_kernelIDF16_DB8_Li256ELi16ELi4ELb0ELb1ELb1ELb1ELb0ELb0EEEvPT0_PvPT_S6_S6_PKS5_S8_S8_S8_S8_ffiiiiiiiiiiiii.kd
    .uniform_work_group_size: 1
    .uses_dynamic_stack: false
    .vgpr_count:     35
    .vgpr_spill_count: 0
    .wavefront_size: 64
  - .agpr_count:     0
    .args:
      - .actual_access:  read_only
        .address_space:  global
        .offset:         0
        .size:           8
        .value_kind:     global_buffer
      - .actual_access:  read_only
        .address_space:  global
        .offset:         8
        .size:           8
        .value_kind:     global_buffer
      - .actual_access:  write_only
        .address_space:  global
        .offset:         16
        .size:           8
        .value_kind:     global_buffer
      - .actual_access:  write_only
        .address_space:  global
        .offset:         24
        .size:           8
        .value_kind:     global_buffer
      - .actual_access:  read_only
        .address_space:  global
        .offset:         32
        .size:           8
        .value_kind:     global_buffer
      - .actual_access:  read_only
        .address_space:  global
        .offset:         40
        .size:           8
        .value_kind:     global_buffer
      - .actual_access:  read_only
        .address_space:  global
        .offset:         48
        .size:           8
        .value_kind:     global_buffer
      - .actual_access:  read_only
        .address_space:  global
        .offset:         56
        .size:           8
        .value_kind:     global_buffer
      - .actual_access:  read_only
        .address_space:  global
        .offset:         64
        .size:           8
        .value_kind:     global_buffer
      - .actual_access:  read_only
        .address_space:  global
        .offset:         72
        .size:           8
        .value_kind:     global_buffer
      - .offset:         80
        .size:           4
        .value_kind:     by_value
      - .offset:         84
        .size:           4
        .value_kind:     by_value
      - .offset:         88
        .size:           4
        .value_kind:     by_value
      - .offset:         92
        .size:           4
        .value_kind:     by_value
      - .offset:         96
        .size:           4
        .value_kind:     by_value
      - .offset:         100
        .size:           4
        .value_kind:     by_value
      - .offset:         104
        .size:           4
        .value_kind:     by_value
      - .offset:         108
        .size:           4
        .value_kind:     by_value
      - .offset:         112
        .size:           4
        .value_kind:     by_value
      - .offset:         116
        .size:           4
        .value_kind:     by_value
      - .offset:         120
        .size:           4
        .value_kind:     by_value
      - .offset:         124
        .size:           4
        .value_kind:     by_value
      - .offset:         128
        .size:           4
        .value_kind:     by_value
      - .offset:         132
        .size:           4
        .value_kind:     by_value
      - .offset:         136
        .size:           4
        .value_kind:     by_value
      - .offset:         144
        .size:           4
        .value_kind:     hidden_block_count_x
      - .offset:         148
        .size:           4
        .value_kind:     hidden_block_count_y
      - .offset:         152
        .size:           4
        .value_kind:     hidden_block_count_z
      - .offset:         156
        .size:           2
        .value_kind:     hidden_group_size_x
      - .offset:         158
        .size:           2
        .value_kind:     hidden_group_size_y
      - .offset:         160
        .size:           2
        .value_kind:     hidden_group_size_z
      - .offset:         162
        .size:           2
        .value_kind:     hidden_remainder_x
      - .offset:         164
        .size:           2
        .value_kind:     hidden_remainder_y
      - .offset:         166
        .size:           2
        .value_kind:     hidden_remainder_z
      - .offset:         184
        .size:           8
        .value_kind:     hidden_global_offset_x
      - .offset:         192
        .size:           8
        .value_kind:     hidden_global_offset_y
      - .offset:         200
        .size:           8
        .value_kind:     hidden_global_offset_z
      - .offset:         208
        .size:           2
        .value_kind:     hidden_grid_dims
    .group_segment_fixed_size: 32
    .kernarg_segment_align: 8
    .kernarg_segment_size: 400
    .language:       OpenCL C
    .language_version:
      - 2
      - 0
    .max_flat_workgroup_size: 1024
    .name:           _ZN5aiter35fused_qk_rmsnorm_group_quant_kernelItDB8_Li256ELi16ELi4ELb0ELb1ELb1ELb1ELb0ELb0EEEvPT0_PvPT_S6_S6_PKS5_S8_S8_S8_S8_ffiiiiiiiiiiiii
    .private_segment_fixed_size: 0
    .sgpr_count:     36
    .sgpr_spill_count: 0
    .symbol:         _ZN5aiter35fused_qk_rmsnorm_group_quant_kernelItDB8_Li256ELi16ELi4ELb0ELb1ELb1ELb1ELb0ELb0EEEvPT0_PvPT_S6_S6_PKS5_S8_S8_S8_S8_ffiiiiiiiiiiiii.kd
    .uniform_work_group_size: 1
    .uses_dynamic_stack: false
    .vgpr_count:     35
    .vgpr_spill_count: 0
    .wavefront_size: 64
  - .agpr_count:     0
    .args:
      - .actual_access:  read_only
        .address_space:  global
        .offset:         0
        .size:           8
        .value_kind:     global_buffer
      - .actual_access:  read_only
        .address_space:  global
        .offset:         8
        .size:           8
        .value_kind:     global_buffer
      - .actual_access:  write_only
        .address_space:  global
        .offset:         16
        .size:           8
        .value_kind:     global_buffer
      - .actual_access:  write_only
        .address_space:  global
        .offset:         24
        .size:           8
        .value_kind:     global_buffer
      - .actual_access:  read_only
        .address_space:  global
        .offset:         32
        .size:           8
        .value_kind:     global_buffer
      - .actual_access:  read_only
        .address_space:  global
        .offset:         40
        .size:           8
        .value_kind:     global_buffer
      - .actual_access:  read_only
        .address_space:  global
        .offset:         48
        .size:           8
        .value_kind:     global_buffer
      - .actual_access:  read_only
        .address_space:  global
        .offset:         56
        .size:           8
        .value_kind:     global_buffer
      - .actual_access:  read_only
        .address_space:  global
        .offset:         64
        .size:           8
        .value_kind:     global_buffer
      - .actual_access:  read_only
        .address_space:  global
        .offset:         72
        .size:           8
        .value_kind:     global_buffer
      - .offset:         80
        .size:           4
        .value_kind:     by_value
      - .offset:         84
        .size:           4
        .value_kind:     by_value
      - .offset:         88
        .size:           4
        .value_kind:     by_value
      - .offset:         92
        .size:           4
        .value_kind:     by_value
      - .offset:         96
        .size:           4
        .value_kind:     by_value
      - .offset:         100
        .size:           4
        .value_kind:     by_value
      - .offset:         104
        .size:           4
        .value_kind:     by_value
      - .offset:         108
        .size:           4
        .value_kind:     by_value
      - .offset:         112
        .size:           4
        .value_kind:     by_value
      - .offset:         116
        .size:           4
        .value_kind:     by_value
      - .offset:         120
        .size:           4
        .value_kind:     by_value
      - .offset:         124
        .size:           4
        .value_kind:     by_value
      - .offset:         128
        .size:           4
        .value_kind:     by_value
      - .offset:         132
        .size:           4
        .value_kind:     by_value
      - .offset:         136
        .size:           4
        .value_kind:     by_value
      - .offset:         144
        .size:           4
        .value_kind:     hidden_block_count_x
      - .offset:         148
        .size:           4
        .value_kind:     hidden_block_count_y
      - .offset:         152
        .size:           4
        .value_kind:     hidden_block_count_z
      - .offset:         156
        .size:           2
        .value_kind:     hidden_group_size_x
      - .offset:         158
        .size:           2
        .value_kind:     hidden_group_size_y
      - .offset:         160
        .size:           2
        .value_kind:     hidden_group_size_z
      - .offset:         162
        .size:           2
        .value_kind:     hidden_remainder_x
      - .offset:         164
        .size:           2
        .value_kind:     hidden_remainder_y
      - .offset:         166
        .size:           2
        .value_kind:     hidden_remainder_z
      - .offset:         184
        .size:           8
        .value_kind:     hidden_global_offset_x
      - .offset:         192
        .size:           8
        .value_kind:     hidden_global_offset_y
      - .offset:         200
        .size:           8
        .value_kind:     hidden_global_offset_z
      - .offset:         208
        .size:           2
        .value_kind:     hidden_grid_dims
    .group_segment_fixed_size: 32
    .kernarg_segment_align: 8
    .kernarg_segment_size: 400
    .language:       OpenCL C
    .language_version:
      - 2
      - 0
    .max_flat_workgroup_size: 1024
    .name:           _ZN5aiter35fused_qk_rmsnorm_group_quant_kernelIDF16_N4opus5fp4_tELi256ELi16ELi4ELb0ELb1ELb1ELb1ELb0ELb0EEEvPT0_PvPT_S7_S7_PKS6_S9_S9_S9_S9_ffiiiiiiiiiiiii
    .private_segment_fixed_size: 0
    .sgpr_count:     36
    .sgpr_spill_count: 0
    .symbol:         _ZN5aiter35fused_qk_rmsnorm_group_quant_kernelIDF16_N4opus5fp4_tELi256ELi16ELi4ELb0ELb1ELb1ELb1ELb0ELb0EEEvPT0_PvPT_S7_S7_PKS6_S9_S9_S9_S9_ffiiiiiiiiiiiii.kd
    .uniform_work_group_size: 1
    .uses_dynamic_stack: false
    .vgpr_count:     35
    .vgpr_spill_count: 0
    .wavefront_size: 64
  - .agpr_count:     0
    .args:
      - .actual_access:  read_only
        .address_space:  global
        .offset:         0
        .size:           8
        .value_kind:     global_buffer
      - .actual_access:  read_only
        .address_space:  global
        .offset:         8
        .size:           8
        .value_kind:     global_buffer
      - .actual_access:  write_only
        .address_space:  global
        .offset:         16
        .size:           8
        .value_kind:     global_buffer
      - .actual_access:  write_only
        .address_space:  global
        .offset:         24
        .size:           8
        .value_kind:     global_buffer
      - .actual_access:  read_only
        .address_space:  global
        .offset:         32
        .size:           8
        .value_kind:     global_buffer
      - .actual_access:  read_only
        .address_space:  global
        .offset:         40
        .size:           8
        .value_kind:     global_buffer
      - .actual_access:  read_only
        .address_space:  global
        .offset:         48
        .size:           8
        .value_kind:     global_buffer
      - .actual_access:  read_only
        .address_space:  global
        .offset:         56
        .size:           8
        .value_kind:     global_buffer
      - .actual_access:  read_only
        .address_space:  global
        .offset:         64
        .size:           8
        .value_kind:     global_buffer
      - .actual_access:  read_only
        .address_space:  global
        .offset:         72
        .size:           8
        .value_kind:     global_buffer
      - .offset:         80
        .size:           4
        .value_kind:     by_value
      - .offset:         84
        .size:           4
        .value_kind:     by_value
      - .offset:         88
        .size:           4
        .value_kind:     by_value
      - .offset:         92
        .size:           4
        .value_kind:     by_value
      - .offset:         96
        .size:           4
        .value_kind:     by_value
      - .offset:         100
        .size:           4
        .value_kind:     by_value
      - .offset:         104
        .size:           4
        .value_kind:     by_value
      - .offset:         108
        .size:           4
        .value_kind:     by_value
      - .offset:         112
        .size:           4
        .value_kind:     by_value
      - .offset:         116
        .size:           4
        .value_kind:     by_value
      - .offset:         120
        .size:           4
        .value_kind:     by_value
      - .offset:         124
        .size:           4
        .value_kind:     by_value
      - .offset:         128
        .size:           4
        .value_kind:     by_value
      - .offset:         132
        .size:           4
        .value_kind:     by_value
      - .offset:         136
        .size:           4
        .value_kind:     by_value
      - .offset:         144
        .size:           4
        .value_kind:     hidden_block_count_x
      - .offset:         148
        .size:           4
        .value_kind:     hidden_block_count_y
      - .offset:         152
        .size:           4
        .value_kind:     hidden_block_count_z
      - .offset:         156
        .size:           2
        .value_kind:     hidden_group_size_x
      - .offset:         158
        .size:           2
        .value_kind:     hidden_group_size_y
      - .offset:         160
        .size:           2
        .value_kind:     hidden_group_size_z
      - .offset:         162
        .size:           2
        .value_kind:     hidden_remainder_x
      - .offset:         164
        .size:           2
        .value_kind:     hidden_remainder_y
      - .offset:         166
        .size:           2
        .value_kind:     hidden_remainder_z
      - .offset:         184
        .size:           8
        .value_kind:     hidden_global_offset_x
      - .offset:         192
        .size:           8
        .value_kind:     hidden_global_offset_y
      - .offset:         200
        .size:           8
        .value_kind:     hidden_global_offset_z
      - .offset:         208
        .size:           2
        .value_kind:     hidden_grid_dims
    .group_segment_fixed_size: 32
    .kernarg_segment_align: 8
    .kernarg_segment_size: 400
    .language:       OpenCL C
    .language_version:
      - 2
      - 0
    .max_flat_workgroup_size: 1024
    .name:           _ZN5aiter35fused_qk_rmsnorm_group_quant_kernelItN4opus5fp4_tELi256ELi16ELi4ELb0ELb1ELb1ELb1ELb0ELb0EEEvPT0_PvPT_S7_S7_PKS6_S9_S9_S9_S9_ffiiiiiiiiiiiii
    .private_segment_fixed_size: 0
    .sgpr_count:     36
    .sgpr_spill_count: 0
    .symbol:         _ZN5aiter35fused_qk_rmsnorm_group_quant_kernelItN4opus5fp4_tELi256ELi16ELi4ELb0ELb1ELb1ELb1ELb0ELb0EEEvPT0_PvPT_S7_S7_PKS6_S9_S9_S9_S9_ffiiiiiiiiiiiii.kd
    .uniform_work_group_size: 1
    .uses_dynamic_stack: false
    .vgpr_count:     35
    .vgpr_spill_count: 0
    .wavefront_size: 64
  - .agpr_count:     0
    .args:
      - .actual_access:  read_only
        .address_space:  global
        .offset:         0
        .size:           8
        .value_kind:     global_buffer
      - .actual_access:  read_only
        .address_space:  global
        .offset:         8
        .size:           8
        .value_kind:     global_buffer
      - .actual_access:  write_only
        .address_space:  global
        .offset:         16
        .size:           8
        .value_kind:     global_buffer
      - .actual_access:  write_only
        .address_space:  global
        .offset:         24
        .size:           8
        .value_kind:     global_buffer
      - .actual_access:  read_only
        .address_space:  global
        .offset:         32
        .size:           8
        .value_kind:     global_buffer
      - .actual_access:  read_only
        .address_space:  global
        .offset:         40
        .size:           8
        .value_kind:     global_buffer
      - .actual_access:  read_only
        .address_space:  global
        .offset:         48
        .size:           8
        .value_kind:     global_buffer
      - .actual_access:  read_only
        .address_space:  global
        .offset:         56
        .size:           8
        .value_kind:     global_buffer
      - .actual_access:  read_only
        .address_space:  global
        .offset:         64
        .size:           8
        .value_kind:     global_buffer
      - .actual_access:  read_only
        .address_space:  global
        .offset:         72
        .size:           8
        .value_kind:     global_buffer
      - .offset:         80
        .size:           4
        .value_kind:     by_value
      - .offset:         84
        .size:           4
        .value_kind:     by_value
      - .offset:         88
        .size:           4
        .value_kind:     by_value
      - .offset:         92
        .size:           4
        .value_kind:     by_value
      - .offset:         96
        .size:           4
        .value_kind:     by_value
      - .offset:         100
        .size:           4
        .value_kind:     by_value
      - .offset:         104
        .size:           4
        .value_kind:     by_value
      - .offset:         108
        .size:           4
        .value_kind:     by_value
      - .offset:         112
        .size:           4
        .value_kind:     by_value
      - .offset:         116
        .size:           4
        .value_kind:     by_value
      - .offset:         120
        .size:           4
        .value_kind:     by_value
      - .offset:         124
        .size:           4
        .value_kind:     by_value
      - .offset:         128
        .size:           4
        .value_kind:     by_value
      - .offset:         132
        .size:           4
        .value_kind:     by_value
      - .offset:         136
        .size:           4
        .value_kind:     by_value
      - .offset:         144
        .size:           4
        .value_kind:     hidden_block_count_x
      - .offset:         148
        .size:           4
        .value_kind:     hidden_block_count_y
      - .offset:         152
        .size:           4
        .value_kind:     hidden_block_count_z
      - .offset:         156
        .size:           2
        .value_kind:     hidden_group_size_x
      - .offset:         158
        .size:           2
        .value_kind:     hidden_group_size_y
      - .offset:         160
        .size:           2
        .value_kind:     hidden_group_size_z
      - .offset:         162
        .size:           2
        .value_kind:     hidden_remainder_x
      - .offset:         164
        .size:           2
        .value_kind:     hidden_remainder_y
      - .offset:         166
        .size:           2
        .value_kind:     hidden_remainder_z
      - .offset:         184
        .size:           8
        .value_kind:     hidden_global_offset_x
      - .offset:         192
        .size:           8
        .value_kind:     hidden_global_offset_y
      - .offset:         200
        .size:           8
        .value_kind:     hidden_global_offset_z
      - .offset:         208
        .size:           2
        .value_kind:     hidden_grid_dims
    .group_segment_fixed_size: 32
    .kernarg_segment_align: 8
    .kernarg_segment_size: 400
    .language:       OpenCL C
    .language_version:
      - 2
      - 0
    .max_flat_workgroup_size: 1024
    .name:           _ZN5aiter35fused_qk_rmsnorm_group_quant_kernelIDF16_DB8_Li256ELi16ELi4ELb0ELb1ELb0ELb1ELb0ELb0EEEvPT0_PvPT_S6_S6_PKS5_S8_S8_S8_S8_ffiiiiiiiiiiiii
    .private_segment_fixed_size: 0
    .sgpr_count:     36
    .sgpr_spill_count: 0
    .symbol:         _ZN5aiter35fused_qk_rmsnorm_group_quant_kernelIDF16_DB8_Li256ELi16ELi4ELb0ELb1ELb0ELb1ELb0ELb0EEEvPT0_PvPT_S6_S6_PKS5_S8_S8_S8_S8_ffiiiiiiiiiiiii.kd
    .uniform_work_group_size: 1
    .uses_dynamic_stack: false
    .vgpr_count:     35
    .vgpr_spill_count: 0
    .wavefront_size: 64
  - .agpr_count:     0
    .args:
      - .actual_access:  read_only
        .address_space:  global
        .offset:         0
        .size:           8
        .value_kind:     global_buffer
      - .actual_access:  read_only
        .address_space:  global
        .offset:         8
        .size:           8
        .value_kind:     global_buffer
      - .actual_access:  write_only
        .address_space:  global
        .offset:         16
        .size:           8
        .value_kind:     global_buffer
      - .actual_access:  write_only
        .address_space:  global
        .offset:         24
        .size:           8
        .value_kind:     global_buffer
      - .actual_access:  read_only
        .address_space:  global
        .offset:         32
        .size:           8
        .value_kind:     global_buffer
      - .actual_access:  read_only
        .address_space:  global
        .offset:         40
        .size:           8
        .value_kind:     global_buffer
      - .actual_access:  read_only
        .address_space:  global
        .offset:         48
        .size:           8
        .value_kind:     global_buffer
      - .actual_access:  read_only
        .address_space:  global
        .offset:         56
        .size:           8
        .value_kind:     global_buffer
      - .actual_access:  read_only
        .address_space:  global
        .offset:         64
        .size:           8
        .value_kind:     global_buffer
      - .actual_access:  read_only
        .address_space:  global
        .offset:         72
        .size:           8
        .value_kind:     global_buffer
      - .offset:         80
        .size:           4
        .value_kind:     by_value
      - .offset:         84
        .size:           4
        .value_kind:     by_value
      - .offset:         88
        .size:           4
        .value_kind:     by_value
      - .offset:         92
        .size:           4
        .value_kind:     by_value
      - .offset:         96
        .size:           4
        .value_kind:     by_value
      - .offset:         100
        .size:           4
        .value_kind:     by_value
      - .offset:         104
        .size:           4
        .value_kind:     by_value
      - .offset:         108
        .size:           4
        .value_kind:     by_value
      - .offset:         112
        .size:           4
        .value_kind:     by_value
      - .offset:         116
        .size:           4
        .value_kind:     by_value
      - .offset:         120
        .size:           4
        .value_kind:     by_value
      - .offset:         124
        .size:           4
        .value_kind:     by_value
      - .offset:         128
        .size:           4
        .value_kind:     by_value
      - .offset:         132
        .size:           4
        .value_kind:     by_value
      - .offset:         136
        .size:           4
        .value_kind:     by_value
      - .offset:         144
        .size:           4
        .value_kind:     hidden_block_count_x
      - .offset:         148
        .size:           4
        .value_kind:     hidden_block_count_y
      - .offset:         152
        .size:           4
        .value_kind:     hidden_block_count_z
      - .offset:         156
        .size:           2
        .value_kind:     hidden_group_size_x
      - .offset:         158
        .size:           2
        .value_kind:     hidden_group_size_y
      - .offset:         160
        .size:           2
        .value_kind:     hidden_group_size_z
      - .offset:         162
        .size:           2
        .value_kind:     hidden_remainder_x
      - .offset:         164
        .size:           2
        .value_kind:     hidden_remainder_y
      - .offset:         166
        .size:           2
        .value_kind:     hidden_remainder_z
      - .offset:         184
        .size:           8
        .value_kind:     hidden_global_offset_x
      - .offset:         192
        .size:           8
        .value_kind:     hidden_global_offset_y
      - .offset:         200
        .size:           8
        .value_kind:     hidden_global_offset_z
      - .offset:         208
        .size:           2
        .value_kind:     hidden_grid_dims
    .group_segment_fixed_size: 32
    .kernarg_segment_align: 8
    .kernarg_segment_size: 400
    .language:       OpenCL C
    .language_version:
      - 2
      - 0
    .max_flat_workgroup_size: 1024
    .name:           _ZN5aiter35fused_qk_rmsnorm_group_quant_kernelItDB8_Li256ELi16ELi4ELb0ELb1ELb0ELb1ELb0ELb0EEEvPT0_PvPT_S6_S6_PKS5_S8_S8_S8_S8_ffiiiiiiiiiiiii
    .private_segment_fixed_size: 0
    .sgpr_count:     36
    .sgpr_spill_count: 0
    .symbol:         _ZN5aiter35fused_qk_rmsnorm_group_quant_kernelItDB8_Li256ELi16ELi4ELb0ELb1ELb0ELb1ELb0ELb0EEEvPT0_PvPT_S6_S6_PKS5_S8_S8_S8_S8_ffiiiiiiiiiiiii.kd
    .uniform_work_group_size: 1
    .uses_dynamic_stack: false
    .vgpr_count:     35
    .vgpr_spill_count: 0
    .wavefront_size: 64
  - .agpr_count:     0
    .args:
      - .actual_access:  read_only
        .address_space:  global
        .offset:         0
        .size:           8
        .value_kind:     global_buffer
      - .actual_access:  read_only
        .address_space:  global
        .offset:         8
        .size:           8
        .value_kind:     global_buffer
      - .actual_access:  write_only
        .address_space:  global
        .offset:         16
        .size:           8
        .value_kind:     global_buffer
      - .actual_access:  write_only
        .address_space:  global
        .offset:         24
        .size:           8
        .value_kind:     global_buffer
      - .actual_access:  read_only
        .address_space:  global
        .offset:         32
        .size:           8
        .value_kind:     global_buffer
      - .actual_access:  read_only
        .address_space:  global
        .offset:         40
        .size:           8
        .value_kind:     global_buffer
      - .actual_access:  read_only
        .address_space:  global
        .offset:         48
        .size:           8
        .value_kind:     global_buffer
      - .actual_access:  read_only
        .address_space:  global
        .offset:         56
        .size:           8
        .value_kind:     global_buffer
      - .actual_access:  read_only
        .address_space:  global
        .offset:         64
        .size:           8
        .value_kind:     global_buffer
      - .actual_access:  read_only
        .address_space:  global
        .offset:         72
        .size:           8
        .value_kind:     global_buffer
      - .offset:         80
        .size:           4
        .value_kind:     by_value
      - .offset:         84
        .size:           4
        .value_kind:     by_value
      - .offset:         88
        .size:           4
        .value_kind:     by_value
      - .offset:         92
        .size:           4
        .value_kind:     by_value
      - .offset:         96
        .size:           4
        .value_kind:     by_value
      - .offset:         100
        .size:           4
        .value_kind:     by_value
      - .offset:         104
        .size:           4
        .value_kind:     by_value
      - .offset:         108
        .size:           4
        .value_kind:     by_value
      - .offset:         112
        .size:           4
        .value_kind:     by_value
      - .offset:         116
        .size:           4
        .value_kind:     by_value
      - .offset:         120
        .size:           4
        .value_kind:     by_value
      - .offset:         124
        .size:           4
        .value_kind:     by_value
      - .offset:         128
        .size:           4
        .value_kind:     by_value
      - .offset:         132
        .size:           4
        .value_kind:     by_value
      - .offset:         136
        .size:           4
        .value_kind:     by_value
      - .offset:         144
        .size:           4
        .value_kind:     hidden_block_count_x
      - .offset:         148
        .size:           4
        .value_kind:     hidden_block_count_y
      - .offset:         152
        .size:           4
        .value_kind:     hidden_block_count_z
      - .offset:         156
        .size:           2
        .value_kind:     hidden_group_size_x
      - .offset:         158
        .size:           2
        .value_kind:     hidden_group_size_y
      - .offset:         160
        .size:           2
        .value_kind:     hidden_group_size_z
      - .offset:         162
        .size:           2
        .value_kind:     hidden_remainder_x
      - .offset:         164
        .size:           2
        .value_kind:     hidden_remainder_y
      - .offset:         166
        .size:           2
        .value_kind:     hidden_remainder_z
      - .offset:         184
        .size:           8
        .value_kind:     hidden_global_offset_x
      - .offset:         192
        .size:           8
        .value_kind:     hidden_global_offset_y
      - .offset:         200
        .size:           8
        .value_kind:     hidden_global_offset_z
      - .offset:         208
        .size:           2
        .value_kind:     hidden_grid_dims
    .group_segment_fixed_size: 32
    .kernarg_segment_align: 8
    .kernarg_segment_size: 400
    .language:       OpenCL C
    .language_version:
      - 2
      - 0
    .max_flat_workgroup_size: 1024
    .name:           _ZN5aiter35fused_qk_rmsnorm_group_quant_kernelIDF16_N4opus5fp4_tELi256ELi16ELi4ELb0ELb1ELb0ELb1ELb0ELb0EEEvPT0_PvPT_S7_S7_PKS6_S9_S9_S9_S9_ffiiiiiiiiiiiii
    .private_segment_fixed_size: 0
    .sgpr_count:     36
    .sgpr_spill_count: 0
    .symbol:         _ZN5aiter35fused_qk_rmsnorm_group_quant_kernelIDF16_N4opus5fp4_tELi256ELi16ELi4ELb0ELb1ELb0ELb1ELb0ELb0EEEvPT0_PvPT_S7_S7_PKS6_S9_S9_S9_S9_ffiiiiiiiiiiiii.kd
    .uniform_work_group_size: 1
    .uses_dynamic_stack: false
    .vgpr_count:     35
    .vgpr_spill_count: 0
    .wavefront_size: 64
  - .agpr_count:     0
    .args:
      - .actual_access:  read_only
        .address_space:  global
        .offset:         0
        .size:           8
        .value_kind:     global_buffer
      - .actual_access:  read_only
        .address_space:  global
        .offset:         8
        .size:           8
        .value_kind:     global_buffer
      - .actual_access:  write_only
        .address_space:  global
        .offset:         16
        .size:           8
        .value_kind:     global_buffer
      - .actual_access:  write_only
        .address_space:  global
        .offset:         24
        .size:           8
        .value_kind:     global_buffer
      - .actual_access:  read_only
        .address_space:  global
        .offset:         32
        .size:           8
        .value_kind:     global_buffer
      - .actual_access:  read_only
        .address_space:  global
        .offset:         40
        .size:           8
        .value_kind:     global_buffer
      - .actual_access:  read_only
        .address_space:  global
        .offset:         48
        .size:           8
        .value_kind:     global_buffer
      - .actual_access:  read_only
        .address_space:  global
        .offset:         56
        .size:           8
        .value_kind:     global_buffer
      - .actual_access:  read_only
        .address_space:  global
        .offset:         64
        .size:           8
        .value_kind:     global_buffer
      - .actual_access:  read_only
        .address_space:  global
        .offset:         72
        .size:           8
        .value_kind:     global_buffer
      - .offset:         80
        .size:           4
        .value_kind:     by_value
      - .offset:         84
        .size:           4
        .value_kind:     by_value
      - .offset:         88
        .size:           4
        .value_kind:     by_value
      - .offset:         92
        .size:           4
        .value_kind:     by_value
      - .offset:         96
        .size:           4
        .value_kind:     by_value
      - .offset:         100
        .size:           4
        .value_kind:     by_value
      - .offset:         104
        .size:           4
        .value_kind:     by_value
      - .offset:         108
        .size:           4
        .value_kind:     by_value
      - .offset:         112
        .size:           4
        .value_kind:     by_value
      - .offset:         116
        .size:           4
        .value_kind:     by_value
      - .offset:         120
        .size:           4
        .value_kind:     by_value
      - .offset:         124
        .size:           4
        .value_kind:     by_value
      - .offset:         128
        .size:           4
        .value_kind:     by_value
      - .offset:         132
        .size:           4
        .value_kind:     by_value
      - .offset:         136
        .size:           4
        .value_kind:     by_value
      - .offset:         144
        .size:           4
        .value_kind:     hidden_block_count_x
      - .offset:         148
        .size:           4
        .value_kind:     hidden_block_count_y
      - .offset:         152
        .size:           4
        .value_kind:     hidden_block_count_z
      - .offset:         156
        .size:           2
        .value_kind:     hidden_group_size_x
      - .offset:         158
        .size:           2
        .value_kind:     hidden_group_size_y
      - .offset:         160
        .size:           2
        .value_kind:     hidden_group_size_z
      - .offset:         162
        .size:           2
        .value_kind:     hidden_remainder_x
      - .offset:         164
        .size:           2
        .value_kind:     hidden_remainder_y
      - .offset:         166
        .size:           2
        .value_kind:     hidden_remainder_z
      - .offset:         184
        .size:           8
        .value_kind:     hidden_global_offset_x
      - .offset:         192
        .size:           8
        .value_kind:     hidden_global_offset_y
      - .offset:         200
        .size:           8
        .value_kind:     hidden_global_offset_z
      - .offset:         208
        .size:           2
        .value_kind:     hidden_grid_dims
    .group_segment_fixed_size: 32
    .kernarg_segment_align: 8
    .kernarg_segment_size: 400
    .language:       OpenCL C
    .language_version:
      - 2
      - 0
    .max_flat_workgroup_size: 1024
    .name:           _ZN5aiter35fused_qk_rmsnorm_group_quant_kernelItN4opus5fp4_tELi256ELi16ELi4ELb0ELb1ELb0ELb1ELb0ELb0EEEvPT0_PvPT_S7_S7_PKS6_S9_S9_S9_S9_ffiiiiiiiiiiiii
    .private_segment_fixed_size: 0
    .sgpr_count:     36
    .sgpr_spill_count: 0
    .symbol:         _ZN5aiter35fused_qk_rmsnorm_group_quant_kernelItN4opus5fp4_tELi256ELi16ELi4ELb0ELb1ELb0ELb1ELb0ELb0EEEvPT0_PvPT_S7_S7_PKS6_S9_S9_S9_S9_ffiiiiiiiiiiiii.kd
    .uniform_work_group_size: 1
    .uses_dynamic_stack: false
    .vgpr_count:     35
    .vgpr_spill_count: 0
    .wavefront_size: 64
  - .agpr_count:     0
    .args:
      - .actual_access:  write_only
        .address_space:  global
        .offset:         0
        .size:           8
        .value_kind:     global_buffer
      - .actual_access:  write_only
        .address_space:  global
        .offset:         8
        .size:           8
        .value_kind:     global_buffer
      - .actual_access:  write_only
        .address_space:  global
        .offset:         16
        .size:           8
        .value_kind:     global_buffer
      - .actual_access:  write_only
        .address_space:  global
        .offset:         24
        .size:           8
        .value_kind:     global_buffer
      - .actual_access:  write_only
        .address_space:  global
        .offset:         32
        .size:           8
        .value_kind:     global_buffer
      - .actual_access:  read_only
        .address_space:  global
        .offset:         40
        .size:           8
        .value_kind:     global_buffer
      - .actual_access:  read_only
        .address_space:  global
        .offset:         48
        .size:           8
        .value_kind:     global_buffer
      - .actual_access:  read_only
        .address_space:  global
        .offset:         56
        .size:           8
        .value_kind:     global_buffer
      - .actual_access:  read_only
        .address_space:  global
        .offset:         64
        .size:           8
        .value_kind:     global_buffer
      - .actual_access:  read_only
        .address_space:  global
        .offset:         72
        .size:           8
        .value_kind:     global_buffer
      - .offset:         80
        .size:           4
        .value_kind:     by_value
      - .offset:         84
        .size:           4
        .value_kind:     by_value
      - .offset:         88
        .size:           4
        .value_kind:     by_value
      - .offset:         92
        .size:           4
        .value_kind:     by_value
      - .offset:         96
        .size:           4
        .value_kind:     by_value
      - .offset:         100
        .size:           4
        .value_kind:     by_value
      - .offset:         104
        .size:           4
        .value_kind:     by_value
      - .offset:         108
        .size:           4
        .value_kind:     by_value
      - .offset:         112
        .size:           4
        .value_kind:     by_value
      - .offset:         116
        .size:           4
        .value_kind:     by_value
      - .offset:         120
        .size:           4
        .value_kind:     by_value
      - .offset:         124
        .size:           4
        .value_kind:     by_value
      - .offset:         128
        .size:           4
        .value_kind:     by_value
      - .offset:         132
        .size:           4
        .value_kind:     by_value
      - .offset:         136
        .size:           4
        .value_kind:     by_value
      - .offset:         144
        .size:           4
        .value_kind:     hidden_block_count_x
      - .offset:         148
        .size:           4
        .value_kind:     hidden_block_count_y
      - .offset:         152
        .size:           4
        .value_kind:     hidden_block_count_z
      - .offset:         156
        .size:           2
        .value_kind:     hidden_group_size_x
      - .offset:         158
        .size:           2
        .value_kind:     hidden_group_size_y
      - .offset:         160
        .size:           2
        .value_kind:     hidden_group_size_z
      - .offset:         162
        .size:           2
        .value_kind:     hidden_remainder_x
      - .offset:         164
        .size:           2
        .value_kind:     hidden_remainder_y
      - .offset:         166
        .size:           2
        .value_kind:     hidden_remainder_z
      - .offset:         184
        .size:           8
        .value_kind:     hidden_global_offset_x
      - .offset:         192
        .size:           8
        .value_kind:     hidden_global_offset_y
      - .offset:         200
        .size:           8
        .value_kind:     hidden_global_offset_z
      - .offset:         208
        .size:           2
        .value_kind:     hidden_grid_dims
    .group_segment_fixed_size: 32
    .kernarg_segment_align: 8
    .kernarg_segment_size: 400
    .language:       OpenCL C
    .language_version:
      - 2
      - 0
    .max_flat_workgroup_size: 1024
    .name:           _ZN5aiter35fused_qk_rmsnorm_group_quant_kernelIDF16_DB8_Li256ELi16ELi4ELb1ELb1ELb1ELb0ELb0ELb0EEEvPT0_PvPT_S6_S6_PKS5_S8_S8_S8_S8_ffiiiiiiiiiiiii
    .private_segment_fixed_size: 0
    .sgpr_count:     48
    .sgpr_spill_count: 0
    .symbol:         _ZN5aiter35fused_qk_rmsnorm_group_quant_kernelIDF16_DB8_Li256ELi16ELi4ELb1ELb1ELb1ELb0ELb0ELb0EEEvPT0_PvPT_S6_S6_PKS5_S8_S8_S8_S8_ffiiiiiiiiiiiii.kd
    .uniform_work_group_size: 1
    .uses_dynamic_stack: false
    .vgpr_count:     90
    .vgpr_spill_count: 0
    .wavefront_size: 64
  - .agpr_count:     0
    .args:
      - .actual_access:  write_only
        .address_space:  global
        .offset:         0
        .size:           8
        .value_kind:     global_buffer
      - .actual_access:  write_only
        .address_space:  global
        .offset:         8
        .size:           8
        .value_kind:     global_buffer
      - .actual_access:  write_only
        .address_space:  global
        .offset:         16
        .size:           8
        .value_kind:     global_buffer
      - .actual_access:  write_only
        .address_space:  global
        .offset:         24
        .size:           8
        .value_kind:     global_buffer
      - .actual_access:  write_only
        .address_space:  global
        .offset:         32
        .size:           8
        .value_kind:     global_buffer
      - .actual_access:  read_only
        .address_space:  global
        .offset:         40
        .size:           8
        .value_kind:     global_buffer
      - .actual_access:  read_only
        .address_space:  global
        .offset:         48
        .size:           8
        .value_kind:     global_buffer
      - .actual_access:  read_only
        .address_space:  global
        .offset:         56
        .size:           8
        .value_kind:     global_buffer
      - .actual_access:  read_only
        .address_space:  global
        .offset:         64
        .size:           8
        .value_kind:     global_buffer
      - .actual_access:  read_only
        .address_space:  global
        .offset:         72
        .size:           8
        .value_kind:     global_buffer
      - .offset:         80
        .size:           4
        .value_kind:     by_value
      - .offset:         84
        .size:           4
        .value_kind:     by_value
      - .offset:         88
        .size:           4
        .value_kind:     by_value
      - .offset:         92
        .size:           4
        .value_kind:     by_value
      - .offset:         96
        .size:           4
        .value_kind:     by_value
      - .offset:         100
        .size:           4
        .value_kind:     by_value
      - .offset:         104
        .size:           4
        .value_kind:     by_value
      - .offset:         108
        .size:           4
        .value_kind:     by_value
      - .offset:         112
        .size:           4
        .value_kind:     by_value
      - .offset:         116
        .size:           4
        .value_kind:     by_value
      - .offset:         120
        .size:           4
        .value_kind:     by_value
      - .offset:         124
        .size:           4
        .value_kind:     by_value
      - .offset:         128
        .size:           4
        .value_kind:     by_value
      - .offset:         132
        .size:           4
        .value_kind:     by_value
      - .offset:         136
        .size:           4
        .value_kind:     by_value
      - .offset:         144
        .size:           4
        .value_kind:     hidden_block_count_x
      - .offset:         148
        .size:           4
        .value_kind:     hidden_block_count_y
      - .offset:         152
        .size:           4
        .value_kind:     hidden_block_count_z
      - .offset:         156
        .size:           2
        .value_kind:     hidden_group_size_x
      - .offset:         158
        .size:           2
        .value_kind:     hidden_group_size_y
      - .offset:         160
        .size:           2
        .value_kind:     hidden_group_size_z
      - .offset:         162
        .size:           2
        .value_kind:     hidden_remainder_x
      - .offset:         164
        .size:           2
        .value_kind:     hidden_remainder_y
      - .offset:         166
        .size:           2
        .value_kind:     hidden_remainder_z
      - .offset:         184
        .size:           8
        .value_kind:     hidden_global_offset_x
      - .offset:         192
        .size:           8
        .value_kind:     hidden_global_offset_y
      - .offset:         200
        .size:           8
        .value_kind:     hidden_global_offset_z
      - .offset:         208
        .size:           2
        .value_kind:     hidden_grid_dims
    .group_segment_fixed_size: 32
    .kernarg_segment_align: 8
    .kernarg_segment_size: 400
    .language:       OpenCL C
    .language_version:
      - 2
      - 0
    .max_flat_workgroup_size: 1024
    .name:           _ZN5aiter35fused_qk_rmsnorm_group_quant_kernelItDB8_Li256ELi16ELi4ELb1ELb1ELb1ELb0ELb0ELb0EEEvPT0_PvPT_S6_S6_PKS5_S8_S8_S8_S8_ffiiiiiiiiiiiii
    .private_segment_fixed_size: 0
    .sgpr_count:     48
    .sgpr_spill_count: 0
    .symbol:         _ZN5aiter35fused_qk_rmsnorm_group_quant_kernelItDB8_Li256ELi16ELi4ELb1ELb1ELb1ELb0ELb0ELb0EEEvPT0_PvPT_S6_S6_PKS5_S8_S8_S8_S8_ffiiiiiiiiiiiii.kd
    .uniform_work_group_size: 1
    .uses_dynamic_stack: false
    .vgpr_count:     88
    .vgpr_spill_count: 0
    .wavefront_size: 64
  - .agpr_count:     0
    .args:
      - .actual_access:  write_only
        .address_space:  global
        .offset:         0
        .size:           8
        .value_kind:     global_buffer
      - .actual_access:  write_only
        .address_space:  global
        .offset:         8
        .size:           8
        .value_kind:     global_buffer
      - .actual_access:  write_only
        .address_space:  global
        .offset:         16
        .size:           8
        .value_kind:     global_buffer
      - .actual_access:  write_only
        .address_space:  global
        .offset:         24
        .size:           8
        .value_kind:     global_buffer
      - .actual_access:  write_only
        .address_space:  global
        .offset:         32
        .size:           8
        .value_kind:     global_buffer
      - .actual_access:  read_only
        .address_space:  global
        .offset:         40
        .size:           8
        .value_kind:     global_buffer
      - .actual_access:  read_only
        .address_space:  global
        .offset:         48
        .size:           8
        .value_kind:     global_buffer
      - .actual_access:  read_only
        .address_space:  global
        .offset:         56
        .size:           8
        .value_kind:     global_buffer
      - .actual_access:  read_only
        .address_space:  global
        .offset:         64
        .size:           8
        .value_kind:     global_buffer
      - .actual_access:  read_only
        .address_space:  global
        .offset:         72
        .size:           8
        .value_kind:     global_buffer
      - .offset:         80
        .size:           4
        .value_kind:     by_value
      - .offset:         84
        .size:           4
        .value_kind:     by_value
      - .offset:         88
        .size:           4
        .value_kind:     by_value
      - .offset:         92
        .size:           4
        .value_kind:     by_value
      - .offset:         96
        .size:           4
        .value_kind:     by_value
      - .offset:         100
        .size:           4
        .value_kind:     by_value
      - .offset:         104
        .size:           4
        .value_kind:     by_value
      - .offset:         108
        .size:           4
        .value_kind:     by_value
      - .offset:         112
        .size:           4
        .value_kind:     by_value
      - .offset:         116
        .size:           4
        .value_kind:     by_value
      - .offset:         120
        .size:           4
        .value_kind:     by_value
      - .offset:         124
        .size:           4
        .value_kind:     by_value
      - .offset:         128
        .size:           4
        .value_kind:     by_value
      - .offset:         132
        .size:           4
        .value_kind:     by_value
      - .offset:         136
        .size:           4
        .value_kind:     by_value
      - .offset:         144
        .size:           4
        .value_kind:     hidden_block_count_x
      - .offset:         148
        .size:           4
        .value_kind:     hidden_block_count_y
      - .offset:         152
        .size:           4
        .value_kind:     hidden_block_count_z
      - .offset:         156
        .size:           2
        .value_kind:     hidden_group_size_x
      - .offset:         158
        .size:           2
        .value_kind:     hidden_group_size_y
      - .offset:         160
        .size:           2
        .value_kind:     hidden_group_size_z
      - .offset:         162
        .size:           2
        .value_kind:     hidden_remainder_x
      - .offset:         164
        .size:           2
        .value_kind:     hidden_remainder_y
      - .offset:         166
        .size:           2
        .value_kind:     hidden_remainder_z
      - .offset:         184
        .size:           8
        .value_kind:     hidden_global_offset_x
      - .offset:         192
        .size:           8
        .value_kind:     hidden_global_offset_y
      - .offset:         200
        .size:           8
        .value_kind:     hidden_global_offset_z
      - .offset:         208
        .size:           2
        .value_kind:     hidden_grid_dims
    .group_segment_fixed_size: 32
    .kernarg_segment_align: 8
    .kernarg_segment_size: 400
    .language:       OpenCL C
    .language_version:
      - 2
      - 0
    .max_flat_workgroup_size: 1024
    .name:           _ZN5aiter35fused_qk_rmsnorm_group_quant_kernelIDF16_N4opus5fp4_tELi256ELi16ELi4ELb1ELb1ELb1ELb0ELb0ELb0EEEvPT0_PvPT_S7_S7_PKS6_S9_S9_S9_S9_ffiiiiiiiiiiiii
    .private_segment_fixed_size: 0
    .sgpr_count:     48
    .sgpr_spill_count: 0
    .symbol:         _ZN5aiter35fused_qk_rmsnorm_group_quant_kernelIDF16_N4opus5fp4_tELi256ELi16ELi4ELb1ELb1ELb1ELb0ELb0ELb0EEEvPT0_PvPT_S7_S7_PKS6_S9_S9_S9_S9_ffiiiiiiiiiiiii.kd
    .uniform_work_group_size: 1
    .uses_dynamic_stack: false
    .vgpr_count:     49
    .vgpr_spill_count: 0
    .wavefront_size: 64
  - .agpr_count:     0
    .args:
      - .actual_access:  write_only
        .address_space:  global
        .offset:         0
        .size:           8
        .value_kind:     global_buffer
      - .actual_access:  write_only
        .address_space:  global
        .offset:         8
        .size:           8
        .value_kind:     global_buffer
      - .actual_access:  write_only
        .address_space:  global
        .offset:         16
        .size:           8
        .value_kind:     global_buffer
      - .actual_access:  write_only
        .address_space:  global
        .offset:         24
        .size:           8
        .value_kind:     global_buffer
      - .actual_access:  write_only
        .address_space:  global
        .offset:         32
        .size:           8
        .value_kind:     global_buffer
      - .actual_access:  read_only
        .address_space:  global
        .offset:         40
        .size:           8
        .value_kind:     global_buffer
      - .actual_access:  read_only
        .address_space:  global
        .offset:         48
        .size:           8
        .value_kind:     global_buffer
      - .actual_access:  read_only
        .address_space:  global
        .offset:         56
        .size:           8
        .value_kind:     global_buffer
      - .actual_access:  read_only
        .address_space:  global
        .offset:         64
        .size:           8
        .value_kind:     global_buffer
      - .actual_access:  read_only
        .address_space:  global
        .offset:         72
        .size:           8
        .value_kind:     global_buffer
      - .offset:         80
        .size:           4
        .value_kind:     by_value
      - .offset:         84
        .size:           4
        .value_kind:     by_value
      - .offset:         88
        .size:           4
        .value_kind:     by_value
      - .offset:         92
        .size:           4
        .value_kind:     by_value
      - .offset:         96
        .size:           4
        .value_kind:     by_value
      - .offset:         100
        .size:           4
        .value_kind:     by_value
      - .offset:         104
        .size:           4
        .value_kind:     by_value
      - .offset:         108
        .size:           4
        .value_kind:     by_value
      - .offset:         112
        .size:           4
        .value_kind:     by_value
      - .offset:         116
        .size:           4
        .value_kind:     by_value
      - .offset:         120
        .size:           4
        .value_kind:     by_value
      - .offset:         124
        .size:           4
        .value_kind:     by_value
      - .offset:         128
        .size:           4
        .value_kind:     by_value
      - .offset:         132
        .size:           4
        .value_kind:     by_value
      - .offset:         136
        .size:           4
        .value_kind:     by_value
      - .offset:         144
        .size:           4
        .value_kind:     hidden_block_count_x
      - .offset:         148
        .size:           4
        .value_kind:     hidden_block_count_y
      - .offset:         152
        .size:           4
        .value_kind:     hidden_block_count_z
      - .offset:         156
        .size:           2
        .value_kind:     hidden_group_size_x
      - .offset:         158
        .size:           2
        .value_kind:     hidden_group_size_y
      - .offset:         160
        .size:           2
        .value_kind:     hidden_group_size_z
      - .offset:         162
        .size:           2
        .value_kind:     hidden_remainder_x
      - .offset:         164
        .size:           2
        .value_kind:     hidden_remainder_y
      - .offset:         166
        .size:           2
        .value_kind:     hidden_remainder_z
      - .offset:         184
        .size:           8
        .value_kind:     hidden_global_offset_x
      - .offset:         192
        .size:           8
        .value_kind:     hidden_global_offset_y
      - .offset:         200
        .size:           8
        .value_kind:     hidden_global_offset_z
      - .offset:         208
        .size:           2
        .value_kind:     hidden_grid_dims
    .group_segment_fixed_size: 32
    .kernarg_segment_align: 8
    .kernarg_segment_size: 400
    .language:       OpenCL C
    .language_version:
      - 2
      - 0
    .max_flat_workgroup_size: 1024
    .name:           _ZN5aiter35fused_qk_rmsnorm_group_quant_kernelItN4opus5fp4_tELi256ELi16ELi4ELb1ELb1ELb1ELb0ELb0ELb0EEEvPT0_PvPT_S7_S7_PKS6_S9_S9_S9_S9_ffiiiiiiiiiiiii
    .private_segment_fixed_size: 0
    .sgpr_count:     48
    .sgpr_spill_count: 0
    .symbol:         _ZN5aiter35fused_qk_rmsnorm_group_quant_kernelItN4opus5fp4_tELi256ELi16ELi4ELb1ELb1ELb1ELb0ELb0ELb0EEEvPT0_PvPT_S7_S7_PKS6_S9_S9_S9_S9_ffiiiiiiiiiiiii.kd
    .uniform_work_group_size: 1
    .uses_dynamic_stack: false
    .vgpr_count:     76
    .vgpr_spill_count: 0
    .wavefront_size: 64
  - .agpr_count:     0
    .args:
      - .actual_access:  write_only
        .address_space:  global
        .offset:         0
        .size:           8
        .value_kind:     global_buffer
      - .actual_access:  write_only
        .address_space:  global
        .offset:         8
        .size:           8
        .value_kind:     global_buffer
      - .actual_access:  write_only
        .address_space:  global
        .offset:         16
        .size:           8
        .value_kind:     global_buffer
      - .actual_access:  write_only
        .address_space:  global
        .offset:         24
        .size:           8
        .value_kind:     global_buffer
      - .actual_access:  write_only
        .address_space:  global
        .offset:         32
        .size:           8
        .value_kind:     global_buffer
      - .actual_access:  read_only
        .address_space:  global
        .offset:         40
        .size:           8
        .value_kind:     global_buffer
      - .actual_access:  read_only
        .address_space:  global
        .offset:         48
        .size:           8
        .value_kind:     global_buffer
      - .actual_access:  read_only
        .address_space:  global
        .offset:         56
        .size:           8
        .value_kind:     global_buffer
      - .actual_access:  read_only
        .address_space:  global
        .offset:         64
        .size:           8
        .value_kind:     global_buffer
      - .actual_access:  read_only
        .address_space:  global
        .offset:         72
        .size:           8
        .value_kind:     global_buffer
      - .offset:         80
        .size:           4
        .value_kind:     by_value
      - .offset:         84
        .size:           4
        .value_kind:     by_value
      - .offset:         88
        .size:           4
        .value_kind:     by_value
      - .offset:         92
        .size:           4
        .value_kind:     by_value
      - .offset:         96
        .size:           4
        .value_kind:     by_value
      - .offset:         100
        .size:           4
        .value_kind:     by_value
      - .offset:         104
        .size:           4
        .value_kind:     by_value
      - .offset:         108
        .size:           4
        .value_kind:     by_value
      - .offset:         112
        .size:           4
        .value_kind:     by_value
      - .offset:         116
        .size:           4
        .value_kind:     by_value
      - .offset:         120
        .size:           4
        .value_kind:     by_value
      - .offset:         124
        .size:           4
        .value_kind:     by_value
      - .offset:         128
        .size:           4
        .value_kind:     by_value
      - .offset:         132
        .size:           4
        .value_kind:     by_value
      - .offset:         136
        .size:           4
        .value_kind:     by_value
      - .offset:         144
        .size:           4
        .value_kind:     hidden_block_count_x
      - .offset:         148
        .size:           4
        .value_kind:     hidden_block_count_y
      - .offset:         152
        .size:           4
        .value_kind:     hidden_block_count_z
      - .offset:         156
        .size:           2
        .value_kind:     hidden_group_size_x
      - .offset:         158
        .size:           2
        .value_kind:     hidden_group_size_y
      - .offset:         160
        .size:           2
        .value_kind:     hidden_group_size_z
      - .offset:         162
        .size:           2
        .value_kind:     hidden_remainder_x
      - .offset:         164
        .size:           2
        .value_kind:     hidden_remainder_y
      - .offset:         166
        .size:           2
        .value_kind:     hidden_remainder_z
      - .offset:         184
        .size:           8
        .value_kind:     hidden_global_offset_x
      - .offset:         192
        .size:           8
        .value_kind:     hidden_global_offset_y
      - .offset:         200
        .size:           8
        .value_kind:     hidden_global_offset_z
      - .offset:         208
        .size:           2
        .value_kind:     hidden_grid_dims
    .group_segment_fixed_size: 32
    .kernarg_segment_align: 8
    .kernarg_segment_size: 400
    .language:       OpenCL C
    .language_version:
      - 2
      - 0
    .max_flat_workgroup_size: 1024
    .name:           _ZN5aiter35fused_qk_rmsnorm_group_quant_kernelIDF16_DB8_Li256ELi16ELi4ELb1ELb1ELb0ELb0ELb0ELb0EEEvPT0_PvPT_S6_S6_PKS5_S8_S8_S8_S8_ffiiiiiiiiiiiii
    .private_segment_fixed_size: 0
    .sgpr_count:     48
    .sgpr_spill_count: 0
    .symbol:         _ZN5aiter35fused_qk_rmsnorm_group_quant_kernelIDF16_DB8_Li256ELi16ELi4ELb1ELb1ELb0ELb0ELb0ELb0EEEvPT0_PvPT_S6_S6_PKS5_S8_S8_S8_S8_ffiiiiiiiiiiiii.kd
    .uniform_work_group_size: 1
    .uses_dynamic_stack: false
    .vgpr_count:     94
    .vgpr_spill_count: 0
    .wavefront_size: 64
  - .agpr_count:     0
    .args:
      - .actual_access:  write_only
        .address_space:  global
        .offset:         0
        .size:           8
        .value_kind:     global_buffer
      - .actual_access:  write_only
        .address_space:  global
        .offset:         8
        .size:           8
        .value_kind:     global_buffer
      - .actual_access:  write_only
        .address_space:  global
        .offset:         16
        .size:           8
        .value_kind:     global_buffer
      - .actual_access:  write_only
        .address_space:  global
        .offset:         24
        .size:           8
        .value_kind:     global_buffer
      - .actual_access:  write_only
        .address_space:  global
        .offset:         32
        .size:           8
        .value_kind:     global_buffer
      - .actual_access:  read_only
        .address_space:  global
        .offset:         40
        .size:           8
        .value_kind:     global_buffer
      - .actual_access:  read_only
        .address_space:  global
        .offset:         48
        .size:           8
        .value_kind:     global_buffer
      - .actual_access:  read_only
        .address_space:  global
        .offset:         56
        .size:           8
        .value_kind:     global_buffer
      - .actual_access:  read_only
        .address_space:  global
        .offset:         64
        .size:           8
        .value_kind:     global_buffer
      - .actual_access:  read_only
        .address_space:  global
        .offset:         72
        .size:           8
        .value_kind:     global_buffer
      - .offset:         80
        .size:           4
        .value_kind:     by_value
      - .offset:         84
        .size:           4
        .value_kind:     by_value
      - .offset:         88
        .size:           4
        .value_kind:     by_value
      - .offset:         92
        .size:           4
        .value_kind:     by_value
      - .offset:         96
        .size:           4
        .value_kind:     by_value
      - .offset:         100
        .size:           4
        .value_kind:     by_value
      - .offset:         104
        .size:           4
        .value_kind:     by_value
      - .offset:         108
        .size:           4
        .value_kind:     by_value
      - .offset:         112
        .size:           4
        .value_kind:     by_value
      - .offset:         116
        .size:           4
        .value_kind:     by_value
      - .offset:         120
        .size:           4
        .value_kind:     by_value
      - .offset:         124
        .size:           4
        .value_kind:     by_value
      - .offset:         128
        .size:           4
        .value_kind:     by_value
      - .offset:         132
        .size:           4
        .value_kind:     by_value
      - .offset:         136
        .size:           4
        .value_kind:     by_value
      - .offset:         144
        .size:           4
        .value_kind:     hidden_block_count_x
      - .offset:         148
        .size:           4
        .value_kind:     hidden_block_count_y
      - .offset:         152
        .size:           4
        .value_kind:     hidden_block_count_z
      - .offset:         156
        .size:           2
        .value_kind:     hidden_group_size_x
      - .offset:         158
        .size:           2
        .value_kind:     hidden_group_size_y
      - .offset:         160
        .size:           2
        .value_kind:     hidden_group_size_z
      - .offset:         162
        .size:           2
        .value_kind:     hidden_remainder_x
      - .offset:         164
        .size:           2
        .value_kind:     hidden_remainder_y
      - .offset:         166
        .size:           2
        .value_kind:     hidden_remainder_z
      - .offset:         184
        .size:           8
        .value_kind:     hidden_global_offset_x
      - .offset:         192
        .size:           8
        .value_kind:     hidden_global_offset_y
      - .offset:         200
        .size:           8
        .value_kind:     hidden_global_offset_z
      - .offset:         208
        .size:           2
        .value_kind:     hidden_grid_dims
    .group_segment_fixed_size: 32
    .kernarg_segment_align: 8
    .kernarg_segment_size: 400
    .language:       OpenCL C
    .language_version:
      - 2
      - 0
    .max_flat_workgroup_size: 1024
    .name:           _ZN5aiter35fused_qk_rmsnorm_group_quant_kernelItDB8_Li256ELi16ELi4ELb1ELb1ELb0ELb0ELb0ELb0EEEvPT0_PvPT_S6_S6_PKS5_S8_S8_S8_S8_ffiiiiiiiiiiiii
    .private_segment_fixed_size: 0
    .sgpr_count:     48
    .sgpr_spill_count: 0
    .symbol:         _ZN5aiter35fused_qk_rmsnorm_group_quant_kernelItDB8_Li256ELi16ELi4ELb1ELb1ELb0ELb0ELb0ELb0EEEvPT0_PvPT_S6_S6_PKS5_S8_S8_S8_S8_ffiiiiiiiiiiiii.kd
    .uniform_work_group_size: 1
    .uses_dynamic_stack: false
    .vgpr_count:     96
    .vgpr_spill_count: 0
    .wavefront_size: 64
  - .agpr_count:     0
    .args:
      - .actual_access:  write_only
        .address_space:  global
        .offset:         0
        .size:           8
        .value_kind:     global_buffer
      - .actual_access:  write_only
        .address_space:  global
        .offset:         8
        .size:           8
        .value_kind:     global_buffer
      - .actual_access:  write_only
        .address_space:  global
        .offset:         16
        .size:           8
        .value_kind:     global_buffer
      - .actual_access:  write_only
        .address_space:  global
        .offset:         24
        .size:           8
        .value_kind:     global_buffer
      - .actual_access:  write_only
        .address_space:  global
        .offset:         32
        .size:           8
        .value_kind:     global_buffer
      - .actual_access:  read_only
        .address_space:  global
        .offset:         40
        .size:           8
        .value_kind:     global_buffer
      - .actual_access:  read_only
        .address_space:  global
        .offset:         48
        .size:           8
        .value_kind:     global_buffer
      - .actual_access:  read_only
        .address_space:  global
        .offset:         56
        .size:           8
        .value_kind:     global_buffer
      - .actual_access:  read_only
        .address_space:  global
        .offset:         64
        .size:           8
        .value_kind:     global_buffer
      - .actual_access:  read_only
        .address_space:  global
        .offset:         72
        .size:           8
        .value_kind:     global_buffer
      - .offset:         80
        .size:           4
        .value_kind:     by_value
      - .offset:         84
        .size:           4
        .value_kind:     by_value
      - .offset:         88
        .size:           4
        .value_kind:     by_value
      - .offset:         92
        .size:           4
        .value_kind:     by_value
      - .offset:         96
        .size:           4
        .value_kind:     by_value
      - .offset:         100
        .size:           4
        .value_kind:     by_value
      - .offset:         104
        .size:           4
        .value_kind:     by_value
      - .offset:         108
        .size:           4
        .value_kind:     by_value
      - .offset:         112
        .size:           4
        .value_kind:     by_value
      - .offset:         116
        .size:           4
        .value_kind:     by_value
      - .offset:         120
        .size:           4
        .value_kind:     by_value
      - .offset:         124
        .size:           4
        .value_kind:     by_value
      - .offset:         128
        .size:           4
        .value_kind:     by_value
      - .offset:         132
        .size:           4
        .value_kind:     by_value
      - .offset:         136
        .size:           4
        .value_kind:     by_value
      - .offset:         144
        .size:           4
        .value_kind:     hidden_block_count_x
      - .offset:         148
        .size:           4
        .value_kind:     hidden_block_count_y
      - .offset:         152
        .size:           4
        .value_kind:     hidden_block_count_z
      - .offset:         156
        .size:           2
        .value_kind:     hidden_group_size_x
      - .offset:         158
        .size:           2
        .value_kind:     hidden_group_size_y
      - .offset:         160
        .size:           2
        .value_kind:     hidden_group_size_z
      - .offset:         162
        .size:           2
        .value_kind:     hidden_remainder_x
      - .offset:         164
        .size:           2
        .value_kind:     hidden_remainder_y
      - .offset:         166
        .size:           2
        .value_kind:     hidden_remainder_z
      - .offset:         184
        .size:           8
        .value_kind:     hidden_global_offset_x
      - .offset:         192
        .size:           8
        .value_kind:     hidden_global_offset_y
      - .offset:         200
        .size:           8
        .value_kind:     hidden_global_offset_z
      - .offset:         208
        .size:           2
        .value_kind:     hidden_grid_dims
    .group_segment_fixed_size: 32
    .kernarg_segment_align: 8
    .kernarg_segment_size: 400
    .language:       OpenCL C
    .language_version:
      - 2
      - 0
    .max_flat_workgroup_size: 1024
    .name:           _ZN5aiter35fused_qk_rmsnorm_group_quant_kernelIDF16_N4opus5fp4_tELi256ELi16ELi4ELb1ELb1ELb0ELb0ELb0ELb0EEEvPT0_PvPT_S7_S7_PKS6_S9_S9_S9_S9_ffiiiiiiiiiiiii
    .private_segment_fixed_size: 0
    .sgpr_count:     48
    .sgpr_spill_count: 0
    .symbol:         _ZN5aiter35fused_qk_rmsnorm_group_quant_kernelIDF16_N4opus5fp4_tELi256ELi16ELi4ELb1ELb1ELb0ELb0ELb0ELb0EEEvPT0_PvPT_S7_S7_PKS6_S9_S9_S9_S9_ffiiiiiiiiiiiii.kd
    .uniform_work_group_size: 1
    .uses_dynamic_stack: false
    .vgpr_count:     47
    .vgpr_spill_count: 0
    .wavefront_size: 64
  - .agpr_count:     0
    .args:
      - .actual_access:  write_only
        .address_space:  global
        .offset:         0
        .size:           8
        .value_kind:     global_buffer
      - .actual_access:  write_only
        .address_space:  global
        .offset:         8
        .size:           8
        .value_kind:     global_buffer
      - .actual_access:  write_only
        .address_space:  global
        .offset:         16
        .size:           8
        .value_kind:     global_buffer
      - .actual_access:  write_only
        .address_space:  global
        .offset:         24
        .size:           8
        .value_kind:     global_buffer
      - .actual_access:  write_only
        .address_space:  global
        .offset:         32
        .size:           8
        .value_kind:     global_buffer
      - .actual_access:  read_only
        .address_space:  global
        .offset:         40
        .size:           8
        .value_kind:     global_buffer
      - .actual_access:  read_only
        .address_space:  global
        .offset:         48
        .size:           8
        .value_kind:     global_buffer
      - .actual_access:  read_only
        .address_space:  global
        .offset:         56
        .size:           8
        .value_kind:     global_buffer
      - .actual_access:  read_only
        .address_space:  global
        .offset:         64
        .size:           8
        .value_kind:     global_buffer
      - .actual_access:  read_only
        .address_space:  global
        .offset:         72
        .size:           8
        .value_kind:     global_buffer
      - .offset:         80
        .size:           4
        .value_kind:     by_value
      - .offset:         84
        .size:           4
        .value_kind:     by_value
      - .offset:         88
        .size:           4
        .value_kind:     by_value
      - .offset:         92
        .size:           4
        .value_kind:     by_value
      - .offset:         96
        .size:           4
        .value_kind:     by_value
      - .offset:         100
        .size:           4
        .value_kind:     by_value
      - .offset:         104
        .size:           4
        .value_kind:     by_value
      - .offset:         108
        .size:           4
        .value_kind:     by_value
      - .offset:         112
        .size:           4
        .value_kind:     by_value
      - .offset:         116
        .size:           4
        .value_kind:     by_value
      - .offset:         120
        .size:           4
        .value_kind:     by_value
      - .offset:         124
        .size:           4
        .value_kind:     by_value
      - .offset:         128
        .size:           4
        .value_kind:     by_value
      - .offset:         132
        .size:           4
        .value_kind:     by_value
      - .offset:         136
        .size:           4
        .value_kind:     by_value
      - .offset:         144
        .size:           4
        .value_kind:     hidden_block_count_x
      - .offset:         148
        .size:           4
        .value_kind:     hidden_block_count_y
      - .offset:         152
        .size:           4
        .value_kind:     hidden_block_count_z
      - .offset:         156
        .size:           2
        .value_kind:     hidden_group_size_x
      - .offset:         158
        .size:           2
        .value_kind:     hidden_group_size_y
      - .offset:         160
        .size:           2
        .value_kind:     hidden_group_size_z
      - .offset:         162
        .size:           2
        .value_kind:     hidden_remainder_x
      - .offset:         164
        .size:           2
        .value_kind:     hidden_remainder_y
      - .offset:         166
        .size:           2
        .value_kind:     hidden_remainder_z
      - .offset:         184
        .size:           8
        .value_kind:     hidden_global_offset_x
      - .offset:         192
        .size:           8
        .value_kind:     hidden_global_offset_y
      - .offset:         200
        .size:           8
        .value_kind:     hidden_global_offset_z
      - .offset:         208
        .size:           2
        .value_kind:     hidden_grid_dims
    .group_segment_fixed_size: 32
    .kernarg_segment_align: 8
    .kernarg_segment_size: 400
    .language:       OpenCL C
    .language_version:
      - 2
      - 0
    .max_flat_workgroup_size: 1024
    .name:           _ZN5aiter35fused_qk_rmsnorm_group_quant_kernelItN4opus5fp4_tELi256ELi16ELi4ELb1ELb1ELb0ELb0ELb0ELb0EEEvPT0_PvPT_S7_S7_PKS6_S9_S9_S9_S9_ffiiiiiiiiiiiii
    .private_segment_fixed_size: 0
    .sgpr_count:     48
    .sgpr_spill_count: 0
    .symbol:         _ZN5aiter35fused_qk_rmsnorm_group_quant_kernelItN4opus5fp4_tELi256ELi16ELi4ELb1ELb1ELb0ELb0ELb0ELb0EEEvPT0_PvPT_S7_S7_PKS6_S9_S9_S9_S9_ffiiiiiiiiiiiii.kd
    .uniform_work_group_size: 1
    .uses_dynamic_stack: false
    .vgpr_count:     94
    .vgpr_spill_count: 0
    .wavefront_size: 64
  - .agpr_count:     0
    .args:
      - .actual_access:  write_only
        .address_space:  global
        .offset:         0
        .size:           8
        .value_kind:     global_buffer
      - .actual_access:  write_only
        .address_space:  global
        .offset:         8
        .size:           8
        .value_kind:     global_buffer
      - .actual_access:  read_only
        .address_space:  global
        .offset:         16
        .size:           8
        .value_kind:     global_buffer
      - .actual_access:  write_only
        .address_space:  global
        .offset:         24
        .size:           8
        .value_kind:     global_buffer
      - .actual_access:  write_only
        .address_space:  global
        .offset:         32
        .size:           8
        .value_kind:     global_buffer
      - .actual_access:  read_only
        .address_space:  global
        .offset:         40
        .size:           8
        .value_kind:     global_buffer
      - .actual_access:  read_only
        .address_space:  global
        .offset:         48
        .size:           8
        .value_kind:     global_buffer
      - .actual_access:  read_only
        .address_space:  global
        .offset:         56
        .size:           8
        .value_kind:     global_buffer
      - .actual_access:  read_only
        .address_space:  global
        .offset:         64
        .size:           8
        .value_kind:     global_buffer
      - .actual_access:  read_only
        .address_space:  global
        .offset:         72
        .size:           8
        .value_kind:     global_buffer
      - .offset:         80
        .size:           4
        .value_kind:     by_value
      - .offset:         84
        .size:           4
        .value_kind:     by_value
      - .offset:         88
        .size:           4
        .value_kind:     by_value
      - .offset:         92
        .size:           4
        .value_kind:     by_value
      - .offset:         96
        .size:           4
        .value_kind:     by_value
      - .offset:         100
        .size:           4
        .value_kind:     by_value
      - .offset:         104
        .size:           4
        .value_kind:     by_value
      - .offset:         108
        .size:           4
        .value_kind:     by_value
      - .offset:         112
        .size:           4
        .value_kind:     by_value
      - .offset:         116
        .size:           4
        .value_kind:     by_value
      - .offset:         120
        .size:           4
        .value_kind:     by_value
      - .offset:         124
        .size:           4
        .value_kind:     by_value
      - .offset:         128
        .size:           4
        .value_kind:     by_value
      - .offset:         132
        .size:           4
        .value_kind:     by_value
      - .offset:         136
        .size:           4
        .value_kind:     by_value
      - .offset:         144
        .size:           4
        .value_kind:     hidden_block_count_x
      - .offset:         148
        .size:           4
        .value_kind:     hidden_block_count_y
      - .offset:         152
        .size:           4
        .value_kind:     hidden_block_count_z
      - .offset:         156
        .size:           2
        .value_kind:     hidden_group_size_x
      - .offset:         158
        .size:           2
        .value_kind:     hidden_group_size_y
      - .offset:         160
        .size:           2
        .value_kind:     hidden_group_size_z
      - .offset:         162
        .size:           2
        .value_kind:     hidden_remainder_x
      - .offset:         164
        .size:           2
        .value_kind:     hidden_remainder_y
      - .offset:         166
        .size:           2
        .value_kind:     hidden_remainder_z
      - .offset:         184
        .size:           8
        .value_kind:     hidden_global_offset_x
      - .offset:         192
        .size:           8
        .value_kind:     hidden_global_offset_y
      - .offset:         200
        .size:           8
        .value_kind:     hidden_global_offset_z
      - .offset:         208
        .size:           2
        .value_kind:     hidden_grid_dims
    .group_segment_fixed_size: 32
    .kernarg_segment_align: 8
    .kernarg_segment_size: 400
    .language:       OpenCL C
    .language_version:
      - 2
      - 0
    .max_flat_workgroup_size: 1024
    .name:           _ZN5aiter35fused_qk_rmsnorm_group_quant_kernelIDF16_DB8_Li256ELi16ELi4ELb1ELb0ELb1ELb0ELb0ELb0EEEvPT0_PvPT_S6_S6_PKS5_S8_S8_S8_S8_ffiiiiiiiiiiiii
    .private_segment_fixed_size: 0
    .sgpr_count:     48
    .sgpr_spill_count: 0
    .symbol:         _ZN5aiter35fused_qk_rmsnorm_group_quant_kernelIDF16_DB8_Li256ELi16ELi4ELb1ELb0ELb1ELb0ELb0ELb0EEEvPT0_PvPT_S6_S6_PKS5_S8_S8_S8_S8_ffiiiiiiiiiiiii.kd
    .uniform_work_group_size: 1
    .uses_dynamic_stack: false
    .vgpr_count:     90
    .vgpr_spill_count: 0
    .wavefront_size: 64
  - .agpr_count:     0
    .args:
      - .actual_access:  write_only
        .address_space:  global
        .offset:         0
        .size:           8
        .value_kind:     global_buffer
      - .actual_access:  write_only
        .address_space:  global
        .offset:         8
        .size:           8
        .value_kind:     global_buffer
      - .actual_access:  read_only
        .address_space:  global
        .offset:         16
        .size:           8
        .value_kind:     global_buffer
      - .actual_access:  write_only
        .address_space:  global
        .offset:         24
        .size:           8
        .value_kind:     global_buffer
      - .actual_access:  write_only
        .address_space:  global
        .offset:         32
        .size:           8
        .value_kind:     global_buffer
      - .actual_access:  read_only
        .address_space:  global
        .offset:         40
        .size:           8
        .value_kind:     global_buffer
      - .actual_access:  read_only
        .address_space:  global
        .offset:         48
        .size:           8
        .value_kind:     global_buffer
      - .actual_access:  read_only
        .address_space:  global
        .offset:         56
        .size:           8
        .value_kind:     global_buffer
      - .actual_access:  read_only
        .address_space:  global
        .offset:         64
        .size:           8
        .value_kind:     global_buffer
      - .actual_access:  read_only
        .address_space:  global
        .offset:         72
        .size:           8
        .value_kind:     global_buffer
      - .offset:         80
        .size:           4
        .value_kind:     by_value
      - .offset:         84
        .size:           4
        .value_kind:     by_value
      - .offset:         88
        .size:           4
        .value_kind:     by_value
      - .offset:         92
        .size:           4
        .value_kind:     by_value
      - .offset:         96
        .size:           4
        .value_kind:     by_value
      - .offset:         100
        .size:           4
        .value_kind:     by_value
      - .offset:         104
        .size:           4
        .value_kind:     by_value
      - .offset:         108
        .size:           4
        .value_kind:     by_value
      - .offset:         112
        .size:           4
        .value_kind:     by_value
      - .offset:         116
        .size:           4
        .value_kind:     by_value
      - .offset:         120
        .size:           4
        .value_kind:     by_value
      - .offset:         124
        .size:           4
        .value_kind:     by_value
      - .offset:         128
        .size:           4
        .value_kind:     by_value
      - .offset:         132
        .size:           4
        .value_kind:     by_value
      - .offset:         136
        .size:           4
        .value_kind:     by_value
      - .offset:         144
        .size:           4
        .value_kind:     hidden_block_count_x
      - .offset:         148
        .size:           4
        .value_kind:     hidden_block_count_y
      - .offset:         152
        .size:           4
        .value_kind:     hidden_block_count_z
      - .offset:         156
        .size:           2
        .value_kind:     hidden_group_size_x
      - .offset:         158
        .size:           2
        .value_kind:     hidden_group_size_y
      - .offset:         160
        .size:           2
        .value_kind:     hidden_group_size_z
      - .offset:         162
        .size:           2
        .value_kind:     hidden_remainder_x
      - .offset:         164
        .size:           2
        .value_kind:     hidden_remainder_y
      - .offset:         166
        .size:           2
        .value_kind:     hidden_remainder_z
      - .offset:         184
        .size:           8
        .value_kind:     hidden_global_offset_x
      - .offset:         192
        .size:           8
        .value_kind:     hidden_global_offset_y
      - .offset:         200
        .size:           8
        .value_kind:     hidden_global_offset_z
      - .offset:         208
        .size:           2
        .value_kind:     hidden_grid_dims
    .group_segment_fixed_size: 32
    .kernarg_segment_align: 8
    .kernarg_segment_size: 400
    .language:       OpenCL C
    .language_version:
      - 2
      - 0
    .max_flat_workgroup_size: 1024
    .name:           _ZN5aiter35fused_qk_rmsnorm_group_quant_kernelItDB8_Li256ELi16ELi4ELb1ELb0ELb1ELb0ELb0ELb0EEEvPT0_PvPT_S6_S6_PKS5_S8_S8_S8_S8_ffiiiiiiiiiiiii
    .private_segment_fixed_size: 0
    .sgpr_count:     48
    .sgpr_spill_count: 0
    .symbol:         _ZN5aiter35fused_qk_rmsnorm_group_quant_kernelItDB8_Li256ELi16ELi4ELb1ELb0ELb1ELb0ELb0ELb0EEEvPT0_PvPT_S6_S6_PKS5_S8_S8_S8_S8_ffiiiiiiiiiiiii.kd
    .uniform_work_group_size: 1
    .uses_dynamic_stack: false
    .vgpr_count:     88
    .vgpr_spill_count: 0
    .wavefront_size: 64
  - .agpr_count:     0
    .args:
      - .actual_access:  write_only
        .address_space:  global
        .offset:         0
        .size:           8
        .value_kind:     global_buffer
      - .actual_access:  write_only
        .address_space:  global
        .offset:         8
        .size:           8
        .value_kind:     global_buffer
      - .actual_access:  read_only
        .address_space:  global
        .offset:         16
        .size:           8
        .value_kind:     global_buffer
      - .actual_access:  write_only
        .address_space:  global
        .offset:         24
        .size:           8
        .value_kind:     global_buffer
      - .actual_access:  write_only
        .address_space:  global
        .offset:         32
        .size:           8
        .value_kind:     global_buffer
      - .actual_access:  read_only
        .address_space:  global
        .offset:         40
        .size:           8
        .value_kind:     global_buffer
      - .actual_access:  read_only
        .address_space:  global
        .offset:         48
        .size:           8
        .value_kind:     global_buffer
      - .actual_access:  read_only
        .address_space:  global
        .offset:         56
        .size:           8
        .value_kind:     global_buffer
      - .actual_access:  read_only
        .address_space:  global
        .offset:         64
        .size:           8
        .value_kind:     global_buffer
      - .actual_access:  read_only
        .address_space:  global
        .offset:         72
        .size:           8
        .value_kind:     global_buffer
      - .offset:         80
        .size:           4
        .value_kind:     by_value
      - .offset:         84
        .size:           4
        .value_kind:     by_value
      - .offset:         88
        .size:           4
        .value_kind:     by_value
      - .offset:         92
        .size:           4
        .value_kind:     by_value
      - .offset:         96
        .size:           4
        .value_kind:     by_value
      - .offset:         100
        .size:           4
        .value_kind:     by_value
      - .offset:         104
        .size:           4
        .value_kind:     by_value
      - .offset:         108
        .size:           4
        .value_kind:     by_value
      - .offset:         112
        .size:           4
        .value_kind:     by_value
      - .offset:         116
        .size:           4
        .value_kind:     by_value
      - .offset:         120
        .size:           4
        .value_kind:     by_value
      - .offset:         124
        .size:           4
        .value_kind:     by_value
      - .offset:         128
        .size:           4
        .value_kind:     by_value
      - .offset:         132
        .size:           4
        .value_kind:     by_value
      - .offset:         136
        .size:           4
        .value_kind:     by_value
      - .offset:         144
        .size:           4
        .value_kind:     hidden_block_count_x
      - .offset:         148
        .size:           4
        .value_kind:     hidden_block_count_y
      - .offset:         152
        .size:           4
        .value_kind:     hidden_block_count_z
      - .offset:         156
        .size:           2
        .value_kind:     hidden_group_size_x
      - .offset:         158
        .size:           2
        .value_kind:     hidden_group_size_y
      - .offset:         160
        .size:           2
        .value_kind:     hidden_group_size_z
      - .offset:         162
        .size:           2
        .value_kind:     hidden_remainder_x
      - .offset:         164
        .size:           2
        .value_kind:     hidden_remainder_y
      - .offset:         166
        .size:           2
        .value_kind:     hidden_remainder_z
      - .offset:         184
        .size:           8
        .value_kind:     hidden_global_offset_x
      - .offset:         192
        .size:           8
        .value_kind:     hidden_global_offset_y
      - .offset:         200
        .size:           8
        .value_kind:     hidden_global_offset_z
      - .offset:         208
        .size:           2
        .value_kind:     hidden_grid_dims
    .group_segment_fixed_size: 32
    .kernarg_segment_align: 8
    .kernarg_segment_size: 400
    .language:       OpenCL C
    .language_version:
      - 2
      - 0
    .max_flat_workgroup_size: 1024
    .name:           _ZN5aiter35fused_qk_rmsnorm_group_quant_kernelIDF16_N4opus5fp4_tELi256ELi16ELi4ELb1ELb0ELb1ELb0ELb0ELb0EEEvPT0_PvPT_S7_S7_PKS6_S9_S9_S9_S9_ffiiiiiiiiiiiii
    .private_segment_fixed_size: 0
    .sgpr_count:     44
    .sgpr_spill_count: 0
    .symbol:         _ZN5aiter35fused_qk_rmsnorm_group_quant_kernelIDF16_N4opus5fp4_tELi256ELi16ELi4ELb1ELb0ELb1ELb0ELb0ELb0EEEvPT0_PvPT_S7_S7_PKS6_S9_S9_S9_S9_ffiiiiiiiiiiiii.kd
    .uniform_work_group_size: 1
    .uses_dynamic_stack: false
    .vgpr_count:     49
    .vgpr_spill_count: 0
    .wavefront_size: 64
  - .agpr_count:     0
    .args:
      - .actual_access:  write_only
        .address_space:  global
        .offset:         0
        .size:           8
        .value_kind:     global_buffer
      - .actual_access:  write_only
        .address_space:  global
        .offset:         8
        .size:           8
        .value_kind:     global_buffer
      - .actual_access:  read_only
        .address_space:  global
        .offset:         16
        .size:           8
        .value_kind:     global_buffer
      - .actual_access:  write_only
        .address_space:  global
        .offset:         24
        .size:           8
        .value_kind:     global_buffer
      - .actual_access:  write_only
        .address_space:  global
        .offset:         32
        .size:           8
        .value_kind:     global_buffer
      - .actual_access:  read_only
        .address_space:  global
        .offset:         40
        .size:           8
        .value_kind:     global_buffer
      - .actual_access:  read_only
        .address_space:  global
        .offset:         48
        .size:           8
        .value_kind:     global_buffer
      - .actual_access:  read_only
        .address_space:  global
        .offset:         56
        .size:           8
        .value_kind:     global_buffer
      - .actual_access:  read_only
        .address_space:  global
        .offset:         64
        .size:           8
        .value_kind:     global_buffer
      - .actual_access:  read_only
        .address_space:  global
        .offset:         72
        .size:           8
        .value_kind:     global_buffer
      - .offset:         80
        .size:           4
        .value_kind:     by_value
      - .offset:         84
        .size:           4
        .value_kind:     by_value
      - .offset:         88
        .size:           4
        .value_kind:     by_value
      - .offset:         92
        .size:           4
        .value_kind:     by_value
      - .offset:         96
        .size:           4
        .value_kind:     by_value
      - .offset:         100
        .size:           4
        .value_kind:     by_value
      - .offset:         104
        .size:           4
        .value_kind:     by_value
      - .offset:         108
        .size:           4
        .value_kind:     by_value
      - .offset:         112
        .size:           4
        .value_kind:     by_value
      - .offset:         116
        .size:           4
        .value_kind:     by_value
      - .offset:         120
        .size:           4
        .value_kind:     by_value
      - .offset:         124
        .size:           4
        .value_kind:     by_value
      - .offset:         128
        .size:           4
        .value_kind:     by_value
      - .offset:         132
        .size:           4
        .value_kind:     by_value
      - .offset:         136
        .size:           4
        .value_kind:     by_value
      - .offset:         144
        .size:           4
        .value_kind:     hidden_block_count_x
      - .offset:         148
        .size:           4
        .value_kind:     hidden_block_count_y
      - .offset:         152
        .size:           4
        .value_kind:     hidden_block_count_z
      - .offset:         156
        .size:           2
        .value_kind:     hidden_group_size_x
      - .offset:         158
        .size:           2
        .value_kind:     hidden_group_size_y
      - .offset:         160
        .size:           2
        .value_kind:     hidden_group_size_z
      - .offset:         162
        .size:           2
        .value_kind:     hidden_remainder_x
      - .offset:         164
        .size:           2
        .value_kind:     hidden_remainder_y
      - .offset:         166
        .size:           2
        .value_kind:     hidden_remainder_z
      - .offset:         184
        .size:           8
        .value_kind:     hidden_global_offset_x
      - .offset:         192
        .size:           8
        .value_kind:     hidden_global_offset_y
      - .offset:         200
        .size:           8
        .value_kind:     hidden_global_offset_z
      - .offset:         208
        .size:           2
        .value_kind:     hidden_grid_dims
    .group_segment_fixed_size: 32
    .kernarg_segment_align: 8
    .kernarg_segment_size: 400
    .language:       OpenCL C
    .language_version:
      - 2
      - 0
    .max_flat_workgroup_size: 1024
    .name:           _ZN5aiter35fused_qk_rmsnorm_group_quant_kernelItN4opus5fp4_tELi256ELi16ELi4ELb1ELb0ELb1ELb0ELb0ELb0EEEvPT0_PvPT_S7_S7_PKS6_S9_S9_S9_S9_ffiiiiiiiiiiiii
    .private_segment_fixed_size: 0
    .sgpr_count:     44
    .sgpr_spill_count: 0
    .symbol:         _ZN5aiter35fused_qk_rmsnorm_group_quant_kernelItN4opus5fp4_tELi256ELi16ELi4ELb1ELb0ELb1ELb0ELb0ELb0EEEvPT0_PvPT_S7_S7_PKS6_S9_S9_S9_S9_ffiiiiiiiiiiiii.kd
    .uniform_work_group_size: 1
    .uses_dynamic_stack: false
    .vgpr_count:     76
    .vgpr_spill_count: 0
    .wavefront_size: 64
  - .agpr_count:     0
    .args:
      - .actual_access:  write_only
        .address_space:  global
        .offset:         0
        .size:           8
        .value_kind:     global_buffer
      - .actual_access:  write_only
        .address_space:  global
        .offset:         8
        .size:           8
        .value_kind:     global_buffer
      - .actual_access:  read_only
        .address_space:  global
        .offset:         16
        .size:           8
        .value_kind:     global_buffer
      - .actual_access:  write_only
        .address_space:  global
        .offset:         24
        .size:           8
        .value_kind:     global_buffer
      - .actual_access:  write_only
        .address_space:  global
        .offset:         32
        .size:           8
        .value_kind:     global_buffer
      - .actual_access:  read_only
        .address_space:  global
        .offset:         40
        .size:           8
        .value_kind:     global_buffer
      - .actual_access:  read_only
        .address_space:  global
        .offset:         48
        .size:           8
        .value_kind:     global_buffer
      - .actual_access:  read_only
        .address_space:  global
        .offset:         56
        .size:           8
        .value_kind:     global_buffer
      - .actual_access:  read_only
        .address_space:  global
        .offset:         64
        .size:           8
        .value_kind:     global_buffer
      - .actual_access:  read_only
        .address_space:  global
        .offset:         72
        .size:           8
        .value_kind:     global_buffer
      - .offset:         80
        .size:           4
        .value_kind:     by_value
      - .offset:         84
        .size:           4
        .value_kind:     by_value
      - .offset:         88
        .size:           4
        .value_kind:     by_value
      - .offset:         92
        .size:           4
        .value_kind:     by_value
      - .offset:         96
        .size:           4
        .value_kind:     by_value
      - .offset:         100
        .size:           4
        .value_kind:     by_value
      - .offset:         104
        .size:           4
        .value_kind:     by_value
      - .offset:         108
        .size:           4
        .value_kind:     by_value
      - .offset:         112
        .size:           4
        .value_kind:     by_value
      - .offset:         116
        .size:           4
        .value_kind:     by_value
      - .offset:         120
        .size:           4
        .value_kind:     by_value
      - .offset:         124
        .size:           4
        .value_kind:     by_value
      - .offset:         128
        .size:           4
        .value_kind:     by_value
      - .offset:         132
        .size:           4
        .value_kind:     by_value
      - .offset:         136
        .size:           4
        .value_kind:     by_value
      - .offset:         144
        .size:           4
        .value_kind:     hidden_block_count_x
      - .offset:         148
        .size:           4
        .value_kind:     hidden_block_count_y
      - .offset:         152
        .size:           4
        .value_kind:     hidden_block_count_z
      - .offset:         156
        .size:           2
        .value_kind:     hidden_group_size_x
      - .offset:         158
        .size:           2
        .value_kind:     hidden_group_size_y
      - .offset:         160
        .size:           2
        .value_kind:     hidden_group_size_z
      - .offset:         162
        .size:           2
        .value_kind:     hidden_remainder_x
      - .offset:         164
        .size:           2
        .value_kind:     hidden_remainder_y
      - .offset:         166
        .size:           2
        .value_kind:     hidden_remainder_z
      - .offset:         184
        .size:           8
        .value_kind:     hidden_global_offset_x
      - .offset:         192
        .size:           8
        .value_kind:     hidden_global_offset_y
      - .offset:         200
        .size:           8
        .value_kind:     hidden_global_offset_z
      - .offset:         208
        .size:           2
        .value_kind:     hidden_grid_dims
    .group_segment_fixed_size: 32
    .kernarg_segment_align: 8
    .kernarg_segment_size: 400
    .language:       OpenCL C
    .language_version:
      - 2
      - 0
    .max_flat_workgroup_size: 1024
    .name:           _ZN5aiter35fused_qk_rmsnorm_group_quant_kernelIDF16_DB8_Li256ELi16ELi4ELb1ELb0ELb0ELb0ELb0ELb0EEEvPT0_PvPT_S6_S6_PKS5_S8_S8_S8_S8_ffiiiiiiiiiiiii
    .private_segment_fixed_size: 0
    .sgpr_count:     48
    .sgpr_spill_count: 0
    .symbol:         _ZN5aiter35fused_qk_rmsnorm_group_quant_kernelIDF16_DB8_Li256ELi16ELi4ELb1ELb0ELb0ELb0ELb0ELb0EEEvPT0_PvPT_S6_S6_PKS5_S8_S8_S8_S8_ffiiiiiiiiiiiii.kd
    .uniform_work_group_size: 1
    .uses_dynamic_stack: false
    .vgpr_count:     94
    .vgpr_spill_count: 0
    .wavefront_size: 64
  - .agpr_count:     0
    .args:
      - .actual_access:  write_only
        .address_space:  global
        .offset:         0
        .size:           8
        .value_kind:     global_buffer
      - .actual_access:  write_only
        .address_space:  global
        .offset:         8
        .size:           8
        .value_kind:     global_buffer
      - .actual_access:  read_only
        .address_space:  global
        .offset:         16
        .size:           8
        .value_kind:     global_buffer
      - .actual_access:  write_only
        .address_space:  global
        .offset:         24
        .size:           8
        .value_kind:     global_buffer
      - .actual_access:  write_only
        .address_space:  global
        .offset:         32
        .size:           8
        .value_kind:     global_buffer
      - .actual_access:  read_only
        .address_space:  global
        .offset:         40
        .size:           8
        .value_kind:     global_buffer
      - .actual_access:  read_only
        .address_space:  global
        .offset:         48
        .size:           8
        .value_kind:     global_buffer
      - .actual_access:  read_only
        .address_space:  global
        .offset:         56
        .size:           8
        .value_kind:     global_buffer
      - .actual_access:  read_only
        .address_space:  global
        .offset:         64
        .size:           8
        .value_kind:     global_buffer
      - .actual_access:  read_only
        .address_space:  global
        .offset:         72
        .size:           8
        .value_kind:     global_buffer
      - .offset:         80
        .size:           4
        .value_kind:     by_value
      - .offset:         84
        .size:           4
        .value_kind:     by_value
      - .offset:         88
        .size:           4
        .value_kind:     by_value
      - .offset:         92
        .size:           4
        .value_kind:     by_value
      - .offset:         96
        .size:           4
        .value_kind:     by_value
      - .offset:         100
        .size:           4
        .value_kind:     by_value
      - .offset:         104
        .size:           4
        .value_kind:     by_value
      - .offset:         108
        .size:           4
        .value_kind:     by_value
      - .offset:         112
        .size:           4
        .value_kind:     by_value
      - .offset:         116
        .size:           4
        .value_kind:     by_value
      - .offset:         120
        .size:           4
        .value_kind:     by_value
      - .offset:         124
        .size:           4
        .value_kind:     by_value
      - .offset:         128
        .size:           4
        .value_kind:     by_value
      - .offset:         132
        .size:           4
        .value_kind:     by_value
      - .offset:         136
        .size:           4
        .value_kind:     by_value
      - .offset:         144
        .size:           4
        .value_kind:     hidden_block_count_x
      - .offset:         148
        .size:           4
        .value_kind:     hidden_block_count_y
      - .offset:         152
        .size:           4
        .value_kind:     hidden_block_count_z
      - .offset:         156
        .size:           2
        .value_kind:     hidden_group_size_x
      - .offset:         158
        .size:           2
        .value_kind:     hidden_group_size_y
      - .offset:         160
        .size:           2
        .value_kind:     hidden_group_size_z
      - .offset:         162
        .size:           2
        .value_kind:     hidden_remainder_x
      - .offset:         164
        .size:           2
        .value_kind:     hidden_remainder_y
      - .offset:         166
        .size:           2
        .value_kind:     hidden_remainder_z
      - .offset:         184
        .size:           8
        .value_kind:     hidden_global_offset_x
      - .offset:         192
        .size:           8
        .value_kind:     hidden_global_offset_y
      - .offset:         200
        .size:           8
        .value_kind:     hidden_global_offset_z
      - .offset:         208
        .size:           2
        .value_kind:     hidden_grid_dims
    .group_segment_fixed_size: 32
    .kernarg_segment_align: 8
    .kernarg_segment_size: 400
    .language:       OpenCL C
    .language_version:
      - 2
      - 0
    .max_flat_workgroup_size: 1024
    .name:           _ZN5aiter35fused_qk_rmsnorm_group_quant_kernelItDB8_Li256ELi16ELi4ELb1ELb0ELb0ELb0ELb0ELb0EEEvPT0_PvPT_S6_S6_PKS5_S8_S8_S8_S8_ffiiiiiiiiiiiii
    .private_segment_fixed_size: 0
    .sgpr_count:     48
    .sgpr_spill_count: 0
    .symbol:         _ZN5aiter35fused_qk_rmsnorm_group_quant_kernelItDB8_Li256ELi16ELi4ELb1ELb0ELb0ELb0ELb0ELb0EEEvPT0_PvPT_S6_S6_PKS5_S8_S8_S8_S8_ffiiiiiiiiiiiii.kd
    .uniform_work_group_size: 1
    .uses_dynamic_stack: false
    .vgpr_count:     96
    .vgpr_spill_count: 0
    .wavefront_size: 64
  - .agpr_count:     0
    .args:
      - .actual_access:  write_only
        .address_space:  global
        .offset:         0
        .size:           8
        .value_kind:     global_buffer
      - .actual_access:  write_only
        .address_space:  global
        .offset:         8
        .size:           8
        .value_kind:     global_buffer
      - .actual_access:  read_only
        .address_space:  global
        .offset:         16
        .size:           8
        .value_kind:     global_buffer
      - .actual_access:  write_only
        .address_space:  global
        .offset:         24
        .size:           8
        .value_kind:     global_buffer
      - .actual_access:  write_only
        .address_space:  global
        .offset:         32
        .size:           8
        .value_kind:     global_buffer
      - .actual_access:  read_only
        .address_space:  global
        .offset:         40
        .size:           8
        .value_kind:     global_buffer
      - .actual_access:  read_only
        .address_space:  global
        .offset:         48
        .size:           8
        .value_kind:     global_buffer
      - .actual_access:  read_only
        .address_space:  global
        .offset:         56
        .size:           8
        .value_kind:     global_buffer
      - .actual_access:  read_only
        .address_space:  global
        .offset:         64
        .size:           8
        .value_kind:     global_buffer
      - .actual_access:  read_only
        .address_space:  global
        .offset:         72
        .size:           8
        .value_kind:     global_buffer
      - .offset:         80
        .size:           4
        .value_kind:     by_value
      - .offset:         84
        .size:           4
        .value_kind:     by_value
      - .offset:         88
        .size:           4
        .value_kind:     by_value
      - .offset:         92
        .size:           4
        .value_kind:     by_value
      - .offset:         96
        .size:           4
        .value_kind:     by_value
      - .offset:         100
        .size:           4
        .value_kind:     by_value
      - .offset:         104
        .size:           4
        .value_kind:     by_value
      - .offset:         108
        .size:           4
        .value_kind:     by_value
      - .offset:         112
        .size:           4
        .value_kind:     by_value
      - .offset:         116
        .size:           4
        .value_kind:     by_value
      - .offset:         120
        .size:           4
        .value_kind:     by_value
      - .offset:         124
        .size:           4
        .value_kind:     by_value
      - .offset:         128
        .size:           4
        .value_kind:     by_value
      - .offset:         132
        .size:           4
        .value_kind:     by_value
      - .offset:         136
        .size:           4
        .value_kind:     by_value
      - .offset:         144
        .size:           4
        .value_kind:     hidden_block_count_x
      - .offset:         148
        .size:           4
        .value_kind:     hidden_block_count_y
      - .offset:         152
        .size:           4
        .value_kind:     hidden_block_count_z
      - .offset:         156
        .size:           2
        .value_kind:     hidden_group_size_x
      - .offset:         158
        .size:           2
        .value_kind:     hidden_group_size_y
      - .offset:         160
        .size:           2
        .value_kind:     hidden_group_size_z
      - .offset:         162
        .size:           2
        .value_kind:     hidden_remainder_x
      - .offset:         164
        .size:           2
        .value_kind:     hidden_remainder_y
      - .offset:         166
        .size:           2
        .value_kind:     hidden_remainder_z
      - .offset:         184
        .size:           8
        .value_kind:     hidden_global_offset_x
      - .offset:         192
        .size:           8
        .value_kind:     hidden_global_offset_y
      - .offset:         200
        .size:           8
        .value_kind:     hidden_global_offset_z
      - .offset:         208
        .size:           2
        .value_kind:     hidden_grid_dims
    .group_segment_fixed_size: 32
    .kernarg_segment_align: 8
    .kernarg_segment_size: 400
    .language:       OpenCL C
    .language_version:
      - 2
      - 0
    .max_flat_workgroup_size: 1024
    .name:           _ZN5aiter35fused_qk_rmsnorm_group_quant_kernelIDF16_N4opus5fp4_tELi256ELi16ELi4ELb1ELb0ELb0ELb0ELb0ELb0EEEvPT0_PvPT_S7_S7_PKS6_S9_S9_S9_S9_ffiiiiiiiiiiiii
    .private_segment_fixed_size: 0
    .sgpr_count:     44
    .sgpr_spill_count: 0
    .symbol:         _ZN5aiter35fused_qk_rmsnorm_group_quant_kernelIDF16_N4opus5fp4_tELi256ELi16ELi4ELb1ELb0ELb0ELb0ELb0ELb0EEEvPT0_PvPT_S7_S7_PKS6_S9_S9_S9_S9_ffiiiiiiiiiiiii.kd
    .uniform_work_group_size: 1
    .uses_dynamic_stack: false
    .vgpr_count:     47
    .vgpr_spill_count: 0
    .wavefront_size: 64
  - .agpr_count:     0
    .args:
      - .actual_access:  write_only
        .address_space:  global
        .offset:         0
        .size:           8
        .value_kind:     global_buffer
      - .actual_access:  write_only
        .address_space:  global
        .offset:         8
        .size:           8
        .value_kind:     global_buffer
      - .actual_access:  read_only
        .address_space:  global
        .offset:         16
        .size:           8
        .value_kind:     global_buffer
      - .actual_access:  write_only
        .address_space:  global
        .offset:         24
        .size:           8
        .value_kind:     global_buffer
      - .actual_access:  write_only
        .address_space:  global
        .offset:         32
        .size:           8
        .value_kind:     global_buffer
      - .actual_access:  read_only
        .address_space:  global
        .offset:         40
        .size:           8
        .value_kind:     global_buffer
      - .actual_access:  read_only
        .address_space:  global
        .offset:         48
        .size:           8
        .value_kind:     global_buffer
      - .actual_access:  read_only
        .address_space:  global
        .offset:         56
        .size:           8
        .value_kind:     global_buffer
      - .actual_access:  read_only
        .address_space:  global
        .offset:         64
        .size:           8
        .value_kind:     global_buffer
      - .actual_access:  read_only
        .address_space:  global
        .offset:         72
        .size:           8
        .value_kind:     global_buffer
      - .offset:         80
        .size:           4
        .value_kind:     by_value
      - .offset:         84
        .size:           4
        .value_kind:     by_value
      - .offset:         88
        .size:           4
        .value_kind:     by_value
      - .offset:         92
        .size:           4
        .value_kind:     by_value
      - .offset:         96
        .size:           4
        .value_kind:     by_value
      - .offset:         100
        .size:           4
        .value_kind:     by_value
      - .offset:         104
        .size:           4
        .value_kind:     by_value
      - .offset:         108
        .size:           4
        .value_kind:     by_value
      - .offset:         112
        .size:           4
        .value_kind:     by_value
      - .offset:         116
        .size:           4
        .value_kind:     by_value
      - .offset:         120
        .size:           4
        .value_kind:     by_value
      - .offset:         124
        .size:           4
        .value_kind:     by_value
      - .offset:         128
        .size:           4
        .value_kind:     by_value
      - .offset:         132
        .size:           4
        .value_kind:     by_value
      - .offset:         136
        .size:           4
        .value_kind:     by_value
      - .offset:         144
        .size:           4
        .value_kind:     hidden_block_count_x
      - .offset:         148
        .size:           4
        .value_kind:     hidden_block_count_y
      - .offset:         152
        .size:           4
        .value_kind:     hidden_block_count_z
      - .offset:         156
        .size:           2
        .value_kind:     hidden_group_size_x
      - .offset:         158
        .size:           2
        .value_kind:     hidden_group_size_y
      - .offset:         160
        .size:           2
        .value_kind:     hidden_group_size_z
      - .offset:         162
        .size:           2
        .value_kind:     hidden_remainder_x
      - .offset:         164
        .size:           2
        .value_kind:     hidden_remainder_y
      - .offset:         166
        .size:           2
        .value_kind:     hidden_remainder_z
      - .offset:         184
        .size:           8
        .value_kind:     hidden_global_offset_x
      - .offset:         192
        .size:           8
        .value_kind:     hidden_global_offset_y
      - .offset:         200
        .size:           8
        .value_kind:     hidden_global_offset_z
      - .offset:         208
        .size:           2
        .value_kind:     hidden_grid_dims
    .group_segment_fixed_size: 32
    .kernarg_segment_align: 8
    .kernarg_segment_size: 400
    .language:       OpenCL C
    .language_version:
      - 2
      - 0
    .max_flat_workgroup_size: 1024
    .name:           _ZN5aiter35fused_qk_rmsnorm_group_quant_kernelItN4opus5fp4_tELi256ELi16ELi4ELb1ELb0ELb0ELb0ELb0ELb0EEEvPT0_PvPT_S7_S7_PKS6_S9_S9_S9_S9_ffiiiiiiiiiiiii
    .private_segment_fixed_size: 0
    .sgpr_count:     44
    .sgpr_spill_count: 0
    .symbol:         _ZN5aiter35fused_qk_rmsnorm_group_quant_kernelItN4opus5fp4_tELi256ELi16ELi4ELb1ELb0ELb0ELb0ELb0ELb0EEEvPT0_PvPT_S7_S7_PKS6_S9_S9_S9_S9_ffiiiiiiiiiiiii.kd
    .uniform_work_group_size: 1
    .uses_dynamic_stack: false
    .vgpr_count:     94
    .vgpr_spill_count: 0
    .wavefront_size: 64
  - .agpr_count:     0
    .args:
      - .actual_access:  write_only
        .address_space:  global
        .offset:         0
        .size:           8
        .value_kind:     global_buffer
      - .actual_access:  write_only
        .address_space:  global
        .offset:         8
        .size:           8
        .value_kind:     global_buffer
      - .actual_access:  write_only
        .address_space:  global
        .offset:         16
        .size:           8
        .value_kind:     global_buffer
      - .actual_access:  write_only
        .address_space:  global
        .offset:         24
        .size:           8
        .value_kind:     global_buffer
      - .actual_access:  read_only
        .address_space:  global
        .offset:         32
        .size:           8
        .value_kind:     global_buffer
      - .actual_access:  read_only
        .address_space:  global
        .offset:         40
        .size:           8
        .value_kind:     global_buffer
      - .actual_access:  read_only
        .address_space:  global
        .offset:         48
        .size:           8
        .value_kind:     global_buffer
      - .actual_access:  read_only
        .address_space:  global
        .offset:         56
        .size:           8
        .value_kind:     global_buffer
      - .actual_access:  read_only
        .address_space:  global
        .offset:         64
        .size:           8
        .value_kind:     global_buffer
      - .actual_access:  read_only
        .address_space:  global
        .offset:         72
        .size:           8
        .value_kind:     global_buffer
      - .offset:         80
        .size:           4
        .value_kind:     by_value
      - .offset:         84
        .size:           4
        .value_kind:     by_value
      - .offset:         88
        .size:           4
        .value_kind:     by_value
      - .offset:         92
        .size:           4
        .value_kind:     by_value
      - .offset:         96
        .size:           4
        .value_kind:     by_value
      - .offset:         100
        .size:           4
        .value_kind:     by_value
      - .offset:         104
        .size:           4
        .value_kind:     by_value
      - .offset:         108
        .size:           4
        .value_kind:     by_value
      - .offset:         112
        .size:           4
        .value_kind:     by_value
      - .offset:         116
        .size:           4
        .value_kind:     by_value
      - .offset:         120
        .size:           4
        .value_kind:     by_value
      - .offset:         124
        .size:           4
        .value_kind:     by_value
      - .offset:         128
        .size:           4
        .value_kind:     by_value
      - .offset:         132
        .size:           4
        .value_kind:     by_value
      - .offset:         136
        .size:           4
        .value_kind:     by_value
      - .offset:         144
        .size:           4
        .value_kind:     hidden_block_count_x
      - .offset:         148
        .size:           4
        .value_kind:     hidden_block_count_y
      - .offset:         152
        .size:           4
        .value_kind:     hidden_block_count_z
      - .offset:         156
        .size:           2
        .value_kind:     hidden_group_size_x
      - .offset:         158
        .size:           2
        .value_kind:     hidden_group_size_y
      - .offset:         160
        .size:           2
        .value_kind:     hidden_group_size_z
      - .offset:         162
        .size:           2
        .value_kind:     hidden_remainder_x
      - .offset:         164
        .size:           2
        .value_kind:     hidden_remainder_y
      - .offset:         166
        .size:           2
        .value_kind:     hidden_remainder_z
      - .offset:         184
        .size:           8
        .value_kind:     hidden_global_offset_x
      - .offset:         192
        .size:           8
        .value_kind:     hidden_global_offset_y
      - .offset:         200
        .size:           8
        .value_kind:     hidden_global_offset_z
      - .offset:         208
        .size:           2
        .value_kind:     hidden_grid_dims
    .group_segment_fixed_size: 32
    .kernarg_segment_align: 8
    .kernarg_segment_size: 400
    .language:       OpenCL C
    .language_version:
      - 2
      - 0
    .max_flat_workgroup_size: 1024
    .name:           _ZN5aiter35fused_qk_rmsnorm_group_quant_kernelIDF16_DB8_Li256ELi16ELi4ELb0ELb1ELb1ELb0ELb0ELb0EEEvPT0_PvPT_S6_S6_PKS5_S8_S8_S8_S8_ffiiiiiiiiiiiii
    .private_segment_fixed_size: 0
    .sgpr_count:     40
    .sgpr_spill_count: 0
    .symbol:         _ZN5aiter35fused_qk_rmsnorm_group_quant_kernelIDF16_DB8_Li256ELi16ELi4ELb0ELb1ELb1ELb0ELb0ELb0EEEvPT0_PvPT_S6_S6_PKS5_S8_S8_S8_S8_ffiiiiiiiiiiiii.kd
    .uniform_work_group_size: 1
    .uses_dynamic_stack: false
    .vgpr_count:     36
    .vgpr_spill_count: 0
    .wavefront_size: 64
  - .agpr_count:     0
    .args:
      - .actual_access:  write_only
        .address_space:  global
        .offset:         0
        .size:           8
        .value_kind:     global_buffer
      - .actual_access:  write_only
        .address_space:  global
        .offset:         8
        .size:           8
        .value_kind:     global_buffer
      - .actual_access:  write_only
        .address_space:  global
        .offset:         16
        .size:           8
        .value_kind:     global_buffer
      - .actual_access:  write_only
        .address_space:  global
        .offset:         24
        .size:           8
        .value_kind:     global_buffer
      - .actual_access:  read_only
        .address_space:  global
        .offset:         32
        .size:           8
        .value_kind:     global_buffer
      - .actual_access:  read_only
        .address_space:  global
        .offset:         40
        .size:           8
        .value_kind:     global_buffer
      - .actual_access:  read_only
        .address_space:  global
        .offset:         48
        .size:           8
        .value_kind:     global_buffer
      - .actual_access:  read_only
        .address_space:  global
        .offset:         56
        .size:           8
        .value_kind:     global_buffer
      - .actual_access:  read_only
        .address_space:  global
        .offset:         64
        .size:           8
        .value_kind:     global_buffer
      - .actual_access:  read_only
        .address_space:  global
        .offset:         72
        .size:           8
        .value_kind:     global_buffer
      - .offset:         80
        .size:           4
        .value_kind:     by_value
      - .offset:         84
        .size:           4
        .value_kind:     by_value
      - .offset:         88
        .size:           4
        .value_kind:     by_value
      - .offset:         92
        .size:           4
        .value_kind:     by_value
      - .offset:         96
        .size:           4
        .value_kind:     by_value
      - .offset:         100
        .size:           4
        .value_kind:     by_value
      - .offset:         104
        .size:           4
        .value_kind:     by_value
      - .offset:         108
        .size:           4
        .value_kind:     by_value
      - .offset:         112
        .size:           4
        .value_kind:     by_value
      - .offset:         116
        .size:           4
        .value_kind:     by_value
      - .offset:         120
        .size:           4
        .value_kind:     by_value
      - .offset:         124
        .size:           4
        .value_kind:     by_value
      - .offset:         128
        .size:           4
        .value_kind:     by_value
      - .offset:         132
        .size:           4
        .value_kind:     by_value
      - .offset:         136
        .size:           4
        .value_kind:     by_value
      - .offset:         144
        .size:           4
        .value_kind:     hidden_block_count_x
      - .offset:         148
        .size:           4
        .value_kind:     hidden_block_count_y
      - .offset:         152
        .size:           4
        .value_kind:     hidden_block_count_z
      - .offset:         156
        .size:           2
        .value_kind:     hidden_group_size_x
      - .offset:         158
        .size:           2
        .value_kind:     hidden_group_size_y
      - .offset:         160
        .size:           2
        .value_kind:     hidden_group_size_z
      - .offset:         162
        .size:           2
        .value_kind:     hidden_remainder_x
      - .offset:         164
        .size:           2
        .value_kind:     hidden_remainder_y
      - .offset:         166
        .size:           2
        .value_kind:     hidden_remainder_z
      - .offset:         184
        .size:           8
        .value_kind:     hidden_global_offset_x
      - .offset:         192
        .size:           8
        .value_kind:     hidden_global_offset_y
      - .offset:         200
        .size:           8
        .value_kind:     hidden_global_offset_z
      - .offset:         208
        .size:           2
        .value_kind:     hidden_grid_dims
    .group_segment_fixed_size: 32
    .kernarg_segment_align: 8
    .kernarg_segment_size: 400
    .language:       OpenCL C
    .language_version:
      - 2
      - 0
    .max_flat_workgroup_size: 1024
    .name:           _ZN5aiter35fused_qk_rmsnorm_group_quant_kernelItDB8_Li256ELi16ELi4ELb0ELb1ELb1ELb0ELb0ELb0EEEvPT0_PvPT_S6_S6_PKS5_S8_S8_S8_S8_ffiiiiiiiiiiiii
    .private_segment_fixed_size: 0
    .sgpr_count:     40
    .sgpr_spill_count: 0
    .symbol:         _ZN5aiter35fused_qk_rmsnorm_group_quant_kernelItDB8_Li256ELi16ELi4ELb0ELb1ELb1ELb0ELb0ELb0EEEvPT0_PvPT_S6_S6_PKS5_S8_S8_S8_S8_ffiiiiiiiiiiiii.kd
    .uniform_work_group_size: 1
    .uses_dynamic_stack: false
    .vgpr_count:     36
    .vgpr_spill_count: 0
    .wavefront_size: 64
  - .agpr_count:     0
    .args:
      - .actual_access:  write_only
        .address_space:  global
        .offset:         0
        .size:           8
        .value_kind:     global_buffer
      - .actual_access:  write_only
        .address_space:  global
        .offset:         8
        .size:           8
        .value_kind:     global_buffer
      - .actual_access:  write_only
        .address_space:  global
        .offset:         16
        .size:           8
        .value_kind:     global_buffer
      - .actual_access:  write_only
        .address_space:  global
        .offset:         24
        .size:           8
        .value_kind:     global_buffer
      - .actual_access:  read_only
        .address_space:  global
        .offset:         32
        .size:           8
        .value_kind:     global_buffer
      - .actual_access:  read_only
        .address_space:  global
        .offset:         40
        .size:           8
        .value_kind:     global_buffer
      - .actual_access:  read_only
        .address_space:  global
        .offset:         48
        .size:           8
        .value_kind:     global_buffer
      - .actual_access:  read_only
        .address_space:  global
        .offset:         56
        .size:           8
        .value_kind:     global_buffer
      - .actual_access:  read_only
        .address_space:  global
        .offset:         64
        .size:           8
        .value_kind:     global_buffer
      - .actual_access:  read_only
        .address_space:  global
        .offset:         72
        .size:           8
        .value_kind:     global_buffer
      - .offset:         80
        .size:           4
        .value_kind:     by_value
      - .offset:         84
        .size:           4
        .value_kind:     by_value
      - .offset:         88
        .size:           4
        .value_kind:     by_value
      - .offset:         92
        .size:           4
        .value_kind:     by_value
      - .offset:         96
        .size:           4
        .value_kind:     by_value
      - .offset:         100
        .size:           4
        .value_kind:     by_value
      - .offset:         104
        .size:           4
        .value_kind:     by_value
      - .offset:         108
        .size:           4
        .value_kind:     by_value
      - .offset:         112
        .size:           4
        .value_kind:     by_value
      - .offset:         116
        .size:           4
        .value_kind:     by_value
      - .offset:         120
        .size:           4
        .value_kind:     by_value
      - .offset:         124
        .size:           4
        .value_kind:     by_value
      - .offset:         128
        .size:           4
        .value_kind:     by_value
      - .offset:         132
        .size:           4
        .value_kind:     by_value
      - .offset:         136
        .size:           4
        .value_kind:     by_value
      - .offset:         144
        .size:           4
        .value_kind:     hidden_block_count_x
      - .offset:         148
        .size:           4
        .value_kind:     hidden_block_count_y
      - .offset:         152
        .size:           4
        .value_kind:     hidden_block_count_z
      - .offset:         156
        .size:           2
        .value_kind:     hidden_group_size_x
      - .offset:         158
        .size:           2
        .value_kind:     hidden_group_size_y
      - .offset:         160
        .size:           2
        .value_kind:     hidden_group_size_z
      - .offset:         162
        .size:           2
        .value_kind:     hidden_remainder_x
      - .offset:         164
        .size:           2
        .value_kind:     hidden_remainder_y
      - .offset:         166
        .size:           2
        .value_kind:     hidden_remainder_z
      - .offset:         184
        .size:           8
        .value_kind:     hidden_global_offset_x
      - .offset:         192
        .size:           8
        .value_kind:     hidden_global_offset_y
      - .offset:         200
        .size:           8
        .value_kind:     hidden_global_offset_z
      - .offset:         208
        .size:           2
        .value_kind:     hidden_grid_dims
    .group_segment_fixed_size: 32
    .kernarg_segment_align: 8
    .kernarg_segment_size: 400
    .language:       OpenCL C
    .language_version:
      - 2
      - 0
    .max_flat_workgroup_size: 1024
    .name:           _ZN5aiter35fused_qk_rmsnorm_group_quant_kernelIDF16_N4opus5fp4_tELi256ELi16ELi4ELb0ELb1ELb1ELb0ELb0ELb0EEEvPT0_PvPT_S7_S7_PKS6_S9_S9_S9_S9_ffiiiiiiiiiiiii
    .private_segment_fixed_size: 0
    .sgpr_count:     40
    .sgpr_spill_count: 0
    .symbol:         _ZN5aiter35fused_qk_rmsnorm_group_quant_kernelIDF16_N4opus5fp4_tELi256ELi16ELi4ELb0ELb1ELb1ELb0ELb0ELb0EEEvPT0_PvPT_S7_S7_PKS6_S9_S9_S9_S9_ffiiiiiiiiiiiii.kd
    .uniform_work_group_size: 1
    .uses_dynamic_stack: false
    .vgpr_count:     36
    .vgpr_spill_count: 0
    .wavefront_size: 64
  - .agpr_count:     0
    .args:
      - .actual_access:  write_only
        .address_space:  global
        .offset:         0
        .size:           8
        .value_kind:     global_buffer
      - .actual_access:  write_only
        .address_space:  global
        .offset:         8
        .size:           8
        .value_kind:     global_buffer
      - .actual_access:  write_only
        .address_space:  global
        .offset:         16
        .size:           8
        .value_kind:     global_buffer
      - .actual_access:  write_only
        .address_space:  global
        .offset:         24
        .size:           8
        .value_kind:     global_buffer
      - .actual_access:  read_only
        .address_space:  global
        .offset:         32
        .size:           8
        .value_kind:     global_buffer
      - .actual_access:  read_only
        .address_space:  global
        .offset:         40
        .size:           8
        .value_kind:     global_buffer
      - .actual_access:  read_only
        .address_space:  global
        .offset:         48
        .size:           8
        .value_kind:     global_buffer
      - .actual_access:  read_only
        .address_space:  global
        .offset:         56
        .size:           8
        .value_kind:     global_buffer
      - .actual_access:  read_only
        .address_space:  global
        .offset:         64
        .size:           8
        .value_kind:     global_buffer
      - .actual_access:  read_only
        .address_space:  global
        .offset:         72
        .size:           8
        .value_kind:     global_buffer
      - .offset:         80
        .size:           4
        .value_kind:     by_value
      - .offset:         84
        .size:           4
        .value_kind:     by_value
      - .offset:         88
        .size:           4
        .value_kind:     by_value
      - .offset:         92
        .size:           4
        .value_kind:     by_value
      - .offset:         96
        .size:           4
        .value_kind:     by_value
      - .offset:         100
        .size:           4
        .value_kind:     by_value
      - .offset:         104
        .size:           4
        .value_kind:     by_value
      - .offset:         108
        .size:           4
        .value_kind:     by_value
      - .offset:         112
        .size:           4
        .value_kind:     by_value
      - .offset:         116
        .size:           4
        .value_kind:     by_value
      - .offset:         120
        .size:           4
        .value_kind:     by_value
      - .offset:         124
        .size:           4
        .value_kind:     by_value
      - .offset:         128
        .size:           4
        .value_kind:     by_value
      - .offset:         132
        .size:           4
        .value_kind:     by_value
      - .offset:         136
        .size:           4
        .value_kind:     by_value
      - .offset:         144
        .size:           4
        .value_kind:     hidden_block_count_x
      - .offset:         148
        .size:           4
        .value_kind:     hidden_block_count_y
      - .offset:         152
        .size:           4
        .value_kind:     hidden_block_count_z
      - .offset:         156
        .size:           2
        .value_kind:     hidden_group_size_x
      - .offset:         158
        .size:           2
        .value_kind:     hidden_group_size_y
      - .offset:         160
        .size:           2
        .value_kind:     hidden_group_size_z
      - .offset:         162
        .size:           2
        .value_kind:     hidden_remainder_x
      - .offset:         164
        .size:           2
        .value_kind:     hidden_remainder_y
      - .offset:         166
        .size:           2
        .value_kind:     hidden_remainder_z
      - .offset:         184
        .size:           8
        .value_kind:     hidden_global_offset_x
      - .offset:         192
        .size:           8
        .value_kind:     hidden_global_offset_y
      - .offset:         200
        .size:           8
        .value_kind:     hidden_global_offset_z
      - .offset:         208
        .size:           2
        .value_kind:     hidden_grid_dims
    .group_segment_fixed_size: 32
    .kernarg_segment_align: 8
    .kernarg_segment_size: 400
    .language:       OpenCL C
    .language_version:
      - 2
      - 0
    .max_flat_workgroup_size: 1024
    .name:           _ZN5aiter35fused_qk_rmsnorm_group_quant_kernelItN4opus5fp4_tELi256ELi16ELi4ELb0ELb1ELb1ELb0ELb0ELb0EEEvPT0_PvPT_S7_S7_PKS6_S9_S9_S9_S9_ffiiiiiiiiiiiii
    .private_segment_fixed_size: 0
    .sgpr_count:     40
    .sgpr_spill_count: 0
    .symbol:         _ZN5aiter35fused_qk_rmsnorm_group_quant_kernelItN4opus5fp4_tELi256ELi16ELi4ELb0ELb1ELb1ELb0ELb0ELb0EEEvPT0_PvPT_S7_S7_PKS6_S9_S9_S9_S9_ffiiiiiiiiiiiii.kd
    .uniform_work_group_size: 1
    .uses_dynamic_stack: false
    .vgpr_count:     36
    .vgpr_spill_count: 0
    .wavefront_size: 64
  - .agpr_count:     0
    .args:
      - .actual_access:  write_only
        .address_space:  global
        .offset:         0
        .size:           8
        .value_kind:     global_buffer
      - .actual_access:  write_only
        .address_space:  global
        .offset:         8
        .size:           8
        .value_kind:     global_buffer
      - .actual_access:  write_only
        .address_space:  global
        .offset:         16
        .size:           8
        .value_kind:     global_buffer
      - .actual_access:  write_only
        .address_space:  global
        .offset:         24
        .size:           8
        .value_kind:     global_buffer
      - .actual_access:  read_only
        .address_space:  global
        .offset:         32
        .size:           8
        .value_kind:     global_buffer
      - .actual_access:  read_only
        .address_space:  global
        .offset:         40
        .size:           8
        .value_kind:     global_buffer
      - .actual_access:  read_only
        .address_space:  global
        .offset:         48
        .size:           8
        .value_kind:     global_buffer
      - .actual_access:  read_only
        .address_space:  global
        .offset:         56
        .size:           8
        .value_kind:     global_buffer
      - .actual_access:  read_only
        .address_space:  global
        .offset:         64
        .size:           8
        .value_kind:     global_buffer
      - .actual_access:  read_only
        .address_space:  global
        .offset:         72
        .size:           8
        .value_kind:     global_buffer
      - .offset:         80
        .size:           4
        .value_kind:     by_value
      - .offset:         84
        .size:           4
        .value_kind:     by_value
      - .offset:         88
        .size:           4
        .value_kind:     by_value
      - .offset:         92
        .size:           4
        .value_kind:     by_value
      - .offset:         96
        .size:           4
        .value_kind:     by_value
      - .offset:         100
        .size:           4
        .value_kind:     by_value
      - .offset:         104
        .size:           4
        .value_kind:     by_value
      - .offset:         108
        .size:           4
        .value_kind:     by_value
      - .offset:         112
        .size:           4
        .value_kind:     by_value
      - .offset:         116
        .size:           4
        .value_kind:     by_value
      - .offset:         120
        .size:           4
        .value_kind:     by_value
      - .offset:         124
        .size:           4
        .value_kind:     by_value
      - .offset:         128
        .size:           4
        .value_kind:     by_value
      - .offset:         132
        .size:           4
        .value_kind:     by_value
      - .offset:         136
        .size:           4
        .value_kind:     by_value
      - .offset:         144
        .size:           4
        .value_kind:     hidden_block_count_x
      - .offset:         148
        .size:           4
        .value_kind:     hidden_block_count_y
      - .offset:         152
        .size:           4
        .value_kind:     hidden_block_count_z
      - .offset:         156
        .size:           2
        .value_kind:     hidden_group_size_x
      - .offset:         158
        .size:           2
        .value_kind:     hidden_group_size_y
      - .offset:         160
        .size:           2
        .value_kind:     hidden_group_size_z
      - .offset:         162
        .size:           2
        .value_kind:     hidden_remainder_x
      - .offset:         164
        .size:           2
        .value_kind:     hidden_remainder_y
      - .offset:         166
        .size:           2
        .value_kind:     hidden_remainder_z
      - .offset:         184
        .size:           8
        .value_kind:     hidden_global_offset_x
      - .offset:         192
        .size:           8
        .value_kind:     hidden_global_offset_y
      - .offset:         200
        .size:           8
        .value_kind:     hidden_global_offset_z
      - .offset:         208
        .size:           2
        .value_kind:     hidden_grid_dims
    .group_segment_fixed_size: 32
    .kernarg_segment_align: 8
    .kernarg_segment_size: 400
    .language:       OpenCL C
    .language_version:
      - 2
      - 0
    .max_flat_workgroup_size: 1024
    .name:           _ZN5aiter35fused_qk_rmsnorm_group_quant_kernelIDF16_DB8_Li256ELi16ELi4ELb0ELb1ELb0ELb0ELb0ELb0EEEvPT0_PvPT_S6_S6_PKS5_S8_S8_S8_S8_ffiiiiiiiiiiiii
    .private_segment_fixed_size: 0
    .sgpr_count:     40
    .sgpr_spill_count: 0
    .symbol:         _ZN5aiter35fused_qk_rmsnorm_group_quant_kernelIDF16_DB8_Li256ELi16ELi4ELb0ELb1ELb0ELb0ELb0ELb0EEEvPT0_PvPT_S6_S6_PKS5_S8_S8_S8_S8_ffiiiiiiiiiiiii.kd
    .uniform_work_group_size: 1
    .uses_dynamic_stack: false
    .vgpr_count:     38
    .vgpr_spill_count: 0
    .wavefront_size: 64
  - .agpr_count:     0
    .args:
      - .actual_access:  write_only
        .address_space:  global
        .offset:         0
        .size:           8
        .value_kind:     global_buffer
      - .actual_access:  write_only
        .address_space:  global
        .offset:         8
        .size:           8
        .value_kind:     global_buffer
      - .actual_access:  write_only
        .address_space:  global
        .offset:         16
        .size:           8
        .value_kind:     global_buffer
      - .actual_access:  write_only
        .address_space:  global
        .offset:         24
        .size:           8
        .value_kind:     global_buffer
      - .actual_access:  read_only
        .address_space:  global
        .offset:         32
        .size:           8
        .value_kind:     global_buffer
      - .actual_access:  read_only
        .address_space:  global
        .offset:         40
        .size:           8
        .value_kind:     global_buffer
      - .actual_access:  read_only
        .address_space:  global
        .offset:         48
        .size:           8
        .value_kind:     global_buffer
      - .actual_access:  read_only
        .address_space:  global
        .offset:         56
        .size:           8
        .value_kind:     global_buffer
      - .actual_access:  read_only
        .address_space:  global
        .offset:         64
        .size:           8
        .value_kind:     global_buffer
      - .actual_access:  read_only
        .address_space:  global
        .offset:         72
        .size:           8
        .value_kind:     global_buffer
      - .offset:         80
        .size:           4
        .value_kind:     by_value
      - .offset:         84
        .size:           4
        .value_kind:     by_value
      - .offset:         88
        .size:           4
        .value_kind:     by_value
      - .offset:         92
        .size:           4
        .value_kind:     by_value
      - .offset:         96
        .size:           4
        .value_kind:     by_value
      - .offset:         100
        .size:           4
        .value_kind:     by_value
      - .offset:         104
        .size:           4
        .value_kind:     by_value
      - .offset:         108
        .size:           4
        .value_kind:     by_value
      - .offset:         112
        .size:           4
        .value_kind:     by_value
      - .offset:         116
        .size:           4
        .value_kind:     by_value
      - .offset:         120
        .size:           4
        .value_kind:     by_value
      - .offset:         124
        .size:           4
        .value_kind:     by_value
      - .offset:         128
        .size:           4
        .value_kind:     by_value
      - .offset:         132
        .size:           4
        .value_kind:     by_value
      - .offset:         136
        .size:           4
        .value_kind:     by_value
      - .offset:         144
        .size:           4
        .value_kind:     hidden_block_count_x
      - .offset:         148
        .size:           4
        .value_kind:     hidden_block_count_y
      - .offset:         152
        .size:           4
        .value_kind:     hidden_block_count_z
      - .offset:         156
        .size:           2
        .value_kind:     hidden_group_size_x
      - .offset:         158
        .size:           2
        .value_kind:     hidden_group_size_y
      - .offset:         160
        .size:           2
        .value_kind:     hidden_group_size_z
      - .offset:         162
        .size:           2
        .value_kind:     hidden_remainder_x
      - .offset:         164
        .size:           2
        .value_kind:     hidden_remainder_y
      - .offset:         166
        .size:           2
        .value_kind:     hidden_remainder_z
      - .offset:         184
        .size:           8
        .value_kind:     hidden_global_offset_x
      - .offset:         192
        .size:           8
        .value_kind:     hidden_global_offset_y
      - .offset:         200
        .size:           8
        .value_kind:     hidden_global_offset_z
      - .offset:         208
        .size:           2
        .value_kind:     hidden_grid_dims
    .group_segment_fixed_size: 32
    .kernarg_segment_align: 8
    .kernarg_segment_size: 400
    .language:       OpenCL C
    .language_version:
      - 2
      - 0
    .max_flat_workgroup_size: 1024
    .name:           _ZN5aiter35fused_qk_rmsnorm_group_quant_kernelItDB8_Li256ELi16ELi4ELb0ELb1ELb0ELb0ELb0ELb0EEEvPT0_PvPT_S6_S6_PKS5_S8_S8_S8_S8_ffiiiiiiiiiiiii
    .private_segment_fixed_size: 0
    .sgpr_count:     40
    .sgpr_spill_count: 0
    .symbol:         _ZN5aiter35fused_qk_rmsnorm_group_quant_kernelItDB8_Li256ELi16ELi4ELb0ELb1ELb0ELb0ELb0ELb0EEEvPT0_PvPT_S6_S6_PKS5_S8_S8_S8_S8_ffiiiiiiiiiiiii.kd
    .uniform_work_group_size: 1
    .uses_dynamic_stack: false
    .vgpr_count:     38
    .vgpr_spill_count: 0
    .wavefront_size: 64
  - .agpr_count:     0
    .args:
      - .actual_access:  write_only
        .address_space:  global
        .offset:         0
        .size:           8
        .value_kind:     global_buffer
      - .actual_access:  write_only
        .address_space:  global
        .offset:         8
        .size:           8
        .value_kind:     global_buffer
      - .actual_access:  write_only
        .address_space:  global
        .offset:         16
        .size:           8
        .value_kind:     global_buffer
      - .actual_access:  write_only
        .address_space:  global
        .offset:         24
        .size:           8
        .value_kind:     global_buffer
      - .actual_access:  read_only
        .address_space:  global
        .offset:         32
        .size:           8
        .value_kind:     global_buffer
      - .actual_access:  read_only
        .address_space:  global
        .offset:         40
        .size:           8
        .value_kind:     global_buffer
      - .actual_access:  read_only
        .address_space:  global
        .offset:         48
        .size:           8
        .value_kind:     global_buffer
      - .actual_access:  read_only
        .address_space:  global
        .offset:         56
        .size:           8
        .value_kind:     global_buffer
      - .actual_access:  read_only
        .address_space:  global
        .offset:         64
        .size:           8
        .value_kind:     global_buffer
      - .actual_access:  read_only
        .address_space:  global
        .offset:         72
        .size:           8
        .value_kind:     global_buffer
      - .offset:         80
        .size:           4
        .value_kind:     by_value
      - .offset:         84
        .size:           4
        .value_kind:     by_value
      - .offset:         88
        .size:           4
        .value_kind:     by_value
      - .offset:         92
        .size:           4
        .value_kind:     by_value
      - .offset:         96
        .size:           4
        .value_kind:     by_value
      - .offset:         100
        .size:           4
        .value_kind:     by_value
      - .offset:         104
        .size:           4
        .value_kind:     by_value
      - .offset:         108
        .size:           4
        .value_kind:     by_value
      - .offset:         112
        .size:           4
        .value_kind:     by_value
      - .offset:         116
        .size:           4
        .value_kind:     by_value
      - .offset:         120
        .size:           4
        .value_kind:     by_value
      - .offset:         124
        .size:           4
        .value_kind:     by_value
      - .offset:         128
        .size:           4
        .value_kind:     by_value
      - .offset:         132
        .size:           4
        .value_kind:     by_value
      - .offset:         136
        .size:           4
        .value_kind:     by_value
      - .offset:         144
        .size:           4
        .value_kind:     hidden_block_count_x
      - .offset:         148
        .size:           4
        .value_kind:     hidden_block_count_y
      - .offset:         152
        .size:           4
        .value_kind:     hidden_block_count_z
      - .offset:         156
        .size:           2
        .value_kind:     hidden_group_size_x
      - .offset:         158
        .size:           2
        .value_kind:     hidden_group_size_y
      - .offset:         160
        .size:           2
        .value_kind:     hidden_group_size_z
      - .offset:         162
        .size:           2
        .value_kind:     hidden_remainder_x
      - .offset:         164
        .size:           2
        .value_kind:     hidden_remainder_y
      - .offset:         166
        .size:           2
        .value_kind:     hidden_remainder_z
      - .offset:         184
        .size:           8
        .value_kind:     hidden_global_offset_x
      - .offset:         192
        .size:           8
        .value_kind:     hidden_global_offset_y
      - .offset:         200
        .size:           8
        .value_kind:     hidden_global_offset_z
      - .offset:         208
        .size:           2
        .value_kind:     hidden_grid_dims
    .group_segment_fixed_size: 32
    .kernarg_segment_align: 8
    .kernarg_segment_size: 400
    .language:       OpenCL C
    .language_version:
      - 2
      - 0
    .max_flat_workgroup_size: 1024
    .name:           _ZN5aiter35fused_qk_rmsnorm_group_quant_kernelIDF16_N4opus5fp4_tELi256ELi16ELi4ELb0ELb1ELb0ELb0ELb0ELb0EEEvPT0_PvPT_S7_S7_PKS6_S9_S9_S9_S9_ffiiiiiiiiiiiii
    .private_segment_fixed_size: 0
    .sgpr_count:     40
    .sgpr_spill_count: 0
    .symbol:         _ZN5aiter35fused_qk_rmsnorm_group_quant_kernelIDF16_N4opus5fp4_tELi256ELi16ELi4ELb0ELb1ELb0ELb0ELb0ELb0EEEvPT0_PvPT_S7_S7_PKS6_S9_S9_S9_S9_ffiiiiiiiiiiiii.kd
    .uniform_work_group_size: 1
    .uses_dynamic_stack: false
    .vgpr_count:     36
    .vgpr_spill_count: 0
    .wavefront_size: 64
  - .agpr_count:     0
    .args:
      - .actual_access:  write_only
        .address_space:  global
        .offset:         0
        .size:           8
        .value_kind:     global_buffer
      - .actual_access:  write_only
        .address_space:  global
        .offset:         8
        .size:           8
        .value_kind:     global_buffer
      - .actual_access:  write_only
        .address_space:  global
        .offset:         16
        .size:           8
        .value_kind:     global_buffer
      - .actual_access:  write_only
        .address_space:  global
        .offset:         24
        .size:           8
        .value_kind:     global_buffer
      - .actual_access:  read_only
        .address_space:  global
        .offset:         32
        .size:           8
        .value_kind:     global_buffer
      - .actual_access:  read_only
        .address_space:  global
        .offset:         40
        .size:           8
        .value_kind:     global_buffer
      - .actual_access:  read_only
        .address_space:  global
        .offset:         48
        .size:           8
        .value_kind:     global_buffer
      - .actual_access:  read_only
        .address_space:  global
        .offset:         56
        .size:           8
        .value_kind:     global_buffer
      - .actual_access:  read_only
        .address_space:  global
        .offset:         64
        .size:           8
        .value_kind:     global_buffer
      - .actual_access:  read_only
        .address_space:  global
        .offset:         72
        .size:           8
        .value_kind:     global_buffer
      - .offset:         80
        .size:           4
        .value_kind:     by_value
      - .offset:         84
        .size:           4
        .value_kind:     by_value
      - .offset:         88
        .size:           4
        .value_kind:     by_value
      - .offset:         92
        .size:           4
        .value_kind:     by_value
      - .offset:         96
        .size:           4
        .value_kind:     by_value
      - .offset:         100
        .size:           4
        .value_kind:     by_value
      - .offset:         104
        .size:           4
        .value_kind:     by_value
      - .offset:         108
        .size:           4
        .value_kind:     by_value
      - .offset:         112
        .size:           4
        .value_kind:     by_value
      - .offset:         116
        .size:           4
        .value_kind:     by_value
      - .offset:         120
        .size:           4
        .value_kind:     by_value
      - .offset:         124
        .size:           4
        .value_kind:     by_value
      - .offset:         128
        .size:           4
        .value_kind:     by_value
      - .offset:         132
        .size:           4
        .value_kind:     by_value
      - .offset:         136
        .size:           4
        .value_kind:     by_value
      - .offset:         144
        .size:           4
        .value_kind:     hidden_block_count_x
      - .offset:         148
        .size:           4
        .value_kind:     hidden_block_count_y
      - .offset:         152
        .size:           4
        .value_kind:     hidden_block_count_z
      - .offset:         156
        .size:           2
        .value_kind:     hidden_group_size_x
      - .offset:         158
        .size:           2
        .value_kind:     hidden_group_size_y
      - .offset:         160
        .size:           2
        .value_kind:     hidden_group_size_z
      - .offset:         162
        .size:           2
        .value_kind:     hidden_remainder_x
      - .offset:         164
        .size:           2
        .value_kind:     hidden_remainder_y
      - .offset:         166
        .size:           2
        .value_kind:     hidden_remainder_z
      - .offset:         184
        .size:           8
        .value_kind:     hidden_global_offset_x
      - .offset:         192
        .size:           8
        .value_kind:     hidden_global_offset_y
      - .offset:         200
        .size:           8
        .value_kind:     hidden_global_offset_z
      - .offset:         208
        .size:           2
        .value_kind:     hidden_grid_dims
    .group_segment_fixed_size: 32
    .kernarg_segment_align: 8
    .kernarg_segment_size: 400
    .language:       OpenCL C
    .language_version:
      - 2
      - 0
    .max_flat_workgroup_size: 1024
    .name:           _ZN5aiter35fused_qk_rmsnorm_group_quant_kernelItN4opus5fp4_tELi256ELi16ELi4ELb0ELb1ELb0ELb0ELb0ELb0EEEvPT0_PvPT_S7_S7_PKS6_S9_S9_S9_S9_ffiiiiiiiiiiiii
    .private_segment_fixed_size: 0
    .sgpr_count:     40
    .sgpr_spill_count: 0
    .symbol:         _ZN5aiter35fused_qk_rmsnorm_group_quant_kernelItN4opus5fp4_tELi256ELi16ELi4ELb0ELb1ELb0ELb0ELb0ELb0EEEvPT0_PvPT_S7_S7_PKS6_S9_S9_S9_S9_ffiiiiiiiiiiiii.kd
    .uniform_work_group_size: 1
    .uses_dynamic_stack: false
    .vgpr_count:     36
    .vgpr_spill_count: 0
    .wavefront_size: 64
  - .agpr_count:     0
    .args:
      - .actual_access:  write_only
        .address_space:  global
        .offset:         0
        .size:           8
        .value_kind:     global_buffer
      - .actual_access:  write_only
        .address_space:  global
        .offset:         8
        .size:           8
        .value_kind:     global_buffer
      - .actual_access:  read_only
        .address_space:  global
        .offset:         16
        .size:           8
        .value_kind:     global_buffer
      - .actual_access:  write_only
        .address_space:  global
        .offset:         24
        .size:           8
        .value_kind:     global_buffer
      - .actual_access:  read_only
        .address_space:  global
        .offset:         32
        .size:           8
        .value_kind:     global_buffer
      - .actual_access:  read_only
        .address_space:  global
        .offset:         40
        .size:           8
        .value_kind:     global_buffer
      - .actual_access:  read_only
        .address_space:  global
        .offset:         48
        .size:           8
        .value_kind:     global_buffer
      - .actual_access:  read_only
        .address_space:  global
        .offset:         56
        .size:           8
        .value_kind:     global_buffer
      - .actual_access:  read_only
        .address_space:  global
        .offset:         64
        .size:           8
        .value_kind:     global_buffer
      - .actual_access:  read_only
        .address_space:  global
        .offset:         72
        .size:           8
        .value_kind:     global_buffer
      - .offset:         80
        .size:           4
        .value_kind:     by_value
      - .offset:         84
        .size:           4
        .value_kind:     by_value
      - .offset:         88
        .size:           4
        .value_kind:     by_value
      - .offset:         92
        .size:           4
        .value_kind:     by_value
      - .offset:         96
        .size:           4
        .value_kind:     by_value
      - .offset:         100
        .size:           4
        .value_kind:     by_value
      - .offset:         104
        .size:           4
        .value_kind:     by_value
      - .offset:         108
        .size:           4
        .value_kind:     by_value
      - .offset:         112
        .size:           4
        .value_kind:     by_value
      - .offset:         116
        .size:           4
        .value_kind:     by_value
      - .offset:         120
        .size:           4
        .value_kind:     by_value
      - .offset:         124
        .size:           4
        .value_kind:     by_value
      - .offset:         128
        .size:           4
        .value_kind:     by_value
      - .offset:         132
        .size:           4
        .value_kind:     by_value
      - .offset:         136
        .size:           4
        .value_kind:     by_value
      - .offset:         144
        .size:           4
        .value_kind:     hidden_block_count_x
      - .offset:         148
        .size:           4
        .value_kind:     hidden_block_count_y
      - .offset:         152
        .size:           4
        .value_kind:     hidden_block_count_z
      - .offset:         156
        .size:           2
        .value_kind:     hidden_group_size_x
      - .offset:         158
        .size:           2
        .value_kind:     hidden_group_size_y
      - .offset:         160
        .size:           2
        .value_kind:     hidden_group_size_z
      - .offset:         162
        .size:           2
        .value_kind:     hidden_remainder_x
      - .offset:         164
        .size:           2
        .value_kind:     hidden_remainder_y
      - .offset:         166
        .size:           2
        .value_kind:     hidden_remainder_z
      - .offset:         184
        .size:           8
        .value_kind:     hidden_global_offset_x
      - .offset:         192
        .size:           8
        .value_kind:     hidden_global_offset_y
      - .offset:         200
        .size:           8
        .value_kind:     hidden_global_offset_z
      - .offset:         208
        .size:           2
        .value_kind:     hidden_grid_dims
    .group_segment_fixed_size: 32
    .kernarg_segment_align: 8
    .kernarg_segment_size: 400
    .language:       OpenCL C
    .language_version:
      - 2
      - 0
    .max_flat_workgroup_size: 1024
    .name:           _ZN5aiter35fused_qk_rmsnorm_group_quant_kernelIDF16_DB8_Li256ELi16ELi4ELb0ELb0ELb1ELb0ELb0ELb0EEEvPT0_PvPT_S6_S6_PKS5_S8_S8_S8_S8_ffiiiiiiiiiiiii
    .private_segment_fixed_size: 0
    .sgpr_count:     36
    .sgpr_spill_count: 0
    .symbol:         _ZN5aiter35fused_qk_rmsnorm_group_quant_kernelIDF16_DB8_Li256ELi16ELi4ELb0ELb0ELb1ELb0ELb0ELb0EEEvPT0_PvPT_S6_S6_PKS5_S8_S8_S8_S8_ffiiiiiiiiiiiii.kd
    .uniform_work_group_size: 1
    .uses_dynamic_stack: false
    .vgpr_count:     36
    .vgpr_spill_count: 0
    .wavefront_size: 64
  - .agpr_count:     0
    .args:
      - .actual_access:  write_only
        .address_space:  global
        .offset:         0
        .size:           8
        .value_kind:     global_buffer
      - .actual_access:  write_only
        .address_space:  global
        .offset:         8
        .size:           8
        .value_kind:     global_buffer
      - .actual_access:  read_only
        .address_space:  global
        .offset:         16
        .size:           8
        .value_kind:     global_buffer
      - .actual_access:  write_only
        .address_space:  global
        .offset:         24
        .size:           8
        .value_kind:     global_buffer
      - .actual_access:  read_only
        .address_space:  global
        .offset:         32
        .size:           8
        .value_kind:     global_buffer
      - .actual_access:  read_only
        .address_space:  global
        .offset:         40
        .size:           8
        .value_kind:     global_buffer
      - .actual_access:  read_only
        .address_space:  global
        .offset:         48
        .size:           8
        .value_kind:     global_buffer
      - .actual_access:  read_only
        .address_space:  global
        .offset:         56
        .size:           8
        .value_kind:     global_buffer
      - .actual_access:  read_only
        .address_space:  global
        .offset:         64
        .size:           8
        .value_kind:     global_buffer
      - .actual_access:  read_only
        .address_space:  global
        .offset:         72
        .size:           8
        .value_kind:     global_buffer
      - .offset:         80
        .size:           4
        .value_kind:     by_value
      - .offset:         84
        .size:           4
        .value_kind:     by_value
      - .offset:         88
        .size:           4
        .value_kind:     by_value
      - .offset:         92
        .size:           4
        .value_kind:     by_value
      - .offset:         96
        .size:           4
        .value_kind:     by_value
      - .offset:         100
        .size:           4
        .value_kind:     by_value
      - .offset:         104
        .size:           4
        .value_kind:     by_value
      - .offset:         108
        .size:           4
        .value_kind:     by_value
      - .offset:         112
        .size:           4
        .value_kind:     by_value
      - .offset:         116
        .size:           4
        .value_kind:     by_value
      - .offset:         120
        .size:           4
        .value_kind:     by_value
      - .offset:         124
        .size:           4
        .value_kind:     by_value
      - .offset:         128
        .size:           4
        .value_kind:     by_value
      - .offset:         132
        .size:           4
        .value_kind:     by_value
      - .offset:         136
        .size:           4
        .value_kind:     by_value
      - .offset:         144
        .size:           4
        .value_kind:     hidden_block_count_x
      - .offset:         148
        .size:           4
        .value_kind:     hidden_block_count_y
      - .offset:         152
        .size:           4
        .value_kind:     hidden_block_count_z
      - .offset:         156
        .size:           2
        .value_kind:     hidden_group_size_x
      - .offset:         158
        .size:           2
        .value_kind:     hidden_group_size_y
      - .offset:         160
        .size:           2
        .value_kind:     hidden_group_size_z
      - .offset:         162
        .size:           2
        .value_kind:     hidden_remainder_x
      - .offset:         164
        .size:           2
        .value_kind:     hidden_remainder_y
      - .offset:         166
        .size:           2
        .value_kind:     hidden_remainder_z
      - .offset:         184
        .size:           8
        .value_kind:     hidden_global_offset_x
      - .offset:         192
        .size:           8
        .value_kind:     hidden_global_offset_y
      - .offset:         200
        .size:           8
        .value_kind:     hidden_global_offset_z
      - .offset:         208
        .size:           2
        .value_kind:     hidden_grid_dims
    .group_segment_fixed_size: 32
    .kernarg_segment_align: 8
    .kernarg_segment_size: 400
    .language:       OpenCL C
    .language_version:
      - 2
      - 0
    .max_flat_workgroup_size: 1024
    .name:           _ZN5aiter35fused_qk_rmsnorm_group_quant_kernelItDB8_Li256ELi16ELi4ELb0ELb0ELb1ELb0ELb0ELb0EEEvPT0_PvPT_S6_S6_PKS5_S8_S8_S8_S8_ffiiiiiiiiiiiii
    .private_segment_fixed_size: 0
    .sgpr_count:     36
    .sgpr_spill_count: 0
    .symbol:         _ZN5aiter35fused_qk_rmsnorm_group_quant_kernelItDB8_Li256ELi16ELi4ELb0ELb0ELb1ELb0ELb0ELb0EEEvPT0_PvPT_S6_S6_PKS5_S8_S8_S8_S8_ffiiiiiiiiiiiii.kd
    .uniform_work_group_size: 1
    .uses_dynamic_stack: false
    .vgpr_count:     36
    .vgpr_spill_count: 0
    .wavefront_size: 64
  - .agpr_count:     0
    .args:
      - .actual_access:  write_only
        .address_space:  global
        .offset:         0
        .size:           8
        .value_kind:     global_buffer
      - .actual_access:  write_only
        .address_space:  global
        .offset:         8
        .size:           8
        .value_kind:     global_buffer
      - .actual_access:  read_only
        .address_space:  global
        .offset:         16
        .size:           8
        .value_kind:     global_buffer
      - .actual_access:  write_only
        .address_space:  global
        .offset:         24
        .size:           8
        .value_kind:     global_buffer
      - .actual_access:  read_only
        .address_space:  global
        .offset:         32
        .size:           8
        .value_kind:     global_buffer
      - .actual_access:  read_only
        .address_space:  global
        .offset:         40
        .size:           8
        .value_kind:     global_buffer
      - .actual_access:  read_only
        .address_space:  global
        .offset:         48
        .size:           8
        .value_kind:     global_buffer
      - .actual_access:  read_only
        .address_space:  global
        .offset:         56
        .size:           8
        .value_kind:     global_buffer
      - .actual_access:  read_only
        .address_space:  global
        .offset:         64
        .size:           8
        .value_kind:     global_buffer
      - .actual_access:  read_only
        .address_space:  global
        .offset:         72
        .size:           8
        .value_kind:     global_buffer
      - .offset:         80
        .size:           4
        .value_kind:     by_value
      - .offset:         84
        .size:           4
        .value_kind:     by_value
      - .offset:         88
        .size:           4
        .value_kind:     by_value
      - .offset:         92
        .size:           4
        .value_kind:     by_value
      - .offset:         96
        .size:           4
        .value_kind:     by_value
      - .offset:         100
        .size:           4
        .value_kind:     by_value
      - .offset:         104
        .size:           4
        .value_kind:     by_value
      - .offset:         108
        .size:           4
        .value_kind:     by_value
      - .offset:         112
        .size:           4
        .value_kind:     by_value
      - .offset:         116
        .size:           4
        .value_kind:     by_value
      - .offset:         120
        .size:           4
        .value_kind:     by_value
      - .offset:         124
        .size:           4
        .value_kind:     by_value
      - .offset:         128
        .size:           4
        .value_kind:     by_value
      - .offset:         132
        .size:           4
        .value_kind:     by_value
      - .offset:         136
        .size:           4
        .value_kind:     by_value
      - .offset:         144
        .size:           4
        .value_kind:     hidden_block_count_x
      - .offset:         148
        .size:           4
        .value_kind:     hidden_block_count_y
      - .offset:         152
        .size:           4
        .value_kind:     hidden_block_count_z
      - .offset:         156
        .size:           2
        .value_kind:     hidden_group_size_x
      - .offset:         158
        .size:           2
        .value_kind:     hidden_group_size_y
      - .offset:         160
        .size:           2
        .value_kind:     hidden_group_size_z
      - .offset:         162
        .size:           2
        .value_kind:     hidden_remainder_x
      - .offset:         164
        .size:           2
        .value_kind:     hidden_remainder_y
      - .offset:         166
        .size:           2
        .value_kind:     hidden_remainder_z
      - .offset:         184
        .size:           8
        .value_kind:     hidden_global_offset_x
      - .offset:         192
        .size:           8
        .value_kind:     hidden_global_offset_y
      - .offset:         200
        .size:           8
        .value_kind:     hidden_global_offset_z
      - .offset:         208
        .size:           2
        .value_kind:     hidden_grid_dims
    .group_segment_fixed_size: 32
    .kernarg_segment_align: 8
    .kernarg_segment_size: 400
    .language:       OpenCL C
    .language_version:
      - 2
      - 0
    .max_flat_workgroup_size: 1024
    .name:           _ZN5aiter35fused_qk_rmsnorm_group_quant_kernelIDF16_N4opus5fp4_tELi256ELi16ELi4ELb0ELb0ELb1ELb0ELb0ELb0EEEvPT0_PvPT_S7_S7_PKS6_S9_S9_S9_S9_ffiiiiiiiiiiiii
    .private_segment_fixed_size: 0
    .sgpr_count:     36
    .sgpr_spill_count: 0
    .symbol:         _ZN5aiter35fused_qk_rmsnorm_group_quant_kernelIDF16_N4opus5fp4_tELi256ELi16ELi4ELb0ELb0ELb1ELb0ELb0ELb0EEEvPT0_PvPT_S7_S7_PKS6_S9_S9_S9_S9_ffiiiiiiiiiiiii.kd
    .uniform_work_group_size: 1
    .uses_dynamic_stack: false
    .vgpr_count:     36
    .vgpr_spill_count: 0
    .wavefront_size: 64
  - .agpr_count:     0
    .args:
      - .actual_access:  write_only
        .address_space:  global
        .offset:         0
        .size:           8
        .value_kind:     global_buffer
      - .actual_access:  write_only
        .address_space:  global
        .offset:         8
        .size:           8
        .value_kind:     global_buffer
      - .actual_access:  read_only
        .address_space:  global
        .offset:         16
        .size:           8
        .value_kind:     global_buffer
      - .actual_access:  write_only
        .address_space:  global
        .offset:         24
        .size:           8
        .value_kind:     global_buffer
      - .actual_access:  read_only
        .address_space:  global
        .offset:         32
        .size:           8
        .value_kind:     global_buffer
      - .actual_access:  read_only
        .address_space:  global
        .offset:         40
        .size:           8
        .value_kind:     global_buffer
      - .actual_access:  read_only
        .address_space:  global
        .offset:         48
        .size:           8
        .value_kind:     global_buffer
      - .actual_access:  read_only
        .address_space:  global
        .offset:         56
        .size:           8
        .value_kind:     global_buffer
      - .actual_access:  read_only
        .address_space:  global
        .offset:         64
        .size:           8
        .value_kind:     global_buffer
      - .actual_access:  read_only
        .address_space:  global
        .offset:         72
        .size:           8
        .value_kind:     global_buffer
      - .offset:         80
        .size:           4
        .value_kind:     by_value
      - .offset:         84
        .size:           4
        .value_kind:     by_value
      - .offset:         88
        .size:           4
        .value_kind:     by_value
      - .offset:         92
        .size:           4
        .value_kind:     by_value
      - .offset:         96
        .size:           4
        .value_kind:     by_value
      - .offset:         100
        .size:           4
        .value_kind:     by_value
      - .offset:         104
        .size:           4
        .value_kind:     by_value
      - .offset:         108
        .size:           4
        .value_kind:     by_value
      - .offset:         112
        .size:           4
        .value_kind:     by_value
      - .offset:         116
        .size:           4
        .value_kind:     by_value
      - .offset:         120
        .size:           4
        .value_kind:     by_value
      - .offset:         124
        .size:           4
        .value_kind:     by_value
      - .offset:         128
        .size:           4
        .value_kind:     by_value
      - .offset:         132
        .size:           4
        .value_kind:     by_value
      - .offset:         136
        .size:           4
        .value_kind:     by_value
      - .offset:         144
        .size:           4
        .value_kind:     hidden_block_count_x
      - .offset:         148
        .size:           4
        .value_kind:     hidden_block_count_y
      - .offset:         152
        .size:           4
        .value_kind:     hidden_block_count_z
      - .offset:         156
        .size:           2
        .value_kind:     hidden_group_size_x
      - .offset:         158
        .size:           2
        .value_kind:     hidden_group_size_y
      - .offset:         160
        .size:           2
        .value_kind:     hidden_group_size_z
      - .offset:         162
        .size:           2
        .value_kind:     hidden_remainder_x
      - .offset:         164
        .size:           2
        .value_kind:     hidden_remainder_y
      - .offset:         166
        .size:           2
        .value_kind:     hidden_remainder_z
      - .offset:         184
        .size:           8
        .value_kind:     hidden_global_offset_x
      - .offset:         192
        .size:           8
        .value_kind:     hidden_global_offset_y
      - .offset:         200
        .size:           8
        .value_kind:     hidden_global_offset_z
      - .offset:         208
        .size:           2
        .value_kind:     hidden_grid_dims
    .group_segment_fixed_size: 32
    .kernarg_segment_align: 8
    .kernarg_segment_size: 400
    .language:       OpenCL C
    .language_version:
      - 2
      - 0
    .max_flat_workgroup_size: 1024
    .name:           _ZN5aiter35fused_qk_rmsnorm_group_quant_kernelItN4opus5fp4_tELi256ELi16ELi4ELb0ELb0ELb1ELb0ELb0ELb0EEEvPT0_PvPT_S7_S7_PKS6_S9_S9_S9_S9_ffiiiiiiiiiiiii
    .private_segment_fixed_size: 0
    .sgpr_count:     36
    .sgpr_spill_count: 0
    .symbol:         _ZN5aiter35fused_qk_rmsnorm_group_quant_kernelItN4opus5fp4_tELi256ELi16ELi4ELb0ELb0ELb1ELb0ELb0ELb0EEEvPT0_PvPT_S7_S7_PKS6_S9_S9_S9_S9_ffiiiiiiiiiiiii.kd
    .uniform_work_group_size: 1
    .uses_dynamic_stack: false
    .vgpr_count:     36
    .vgpr_spill_count: 0
    .wavefront_size: 64
  - .agpr_count:     0
    .args:
      - .actual_access:  write_only
        .address_space:  global
        .offset:         0
        .size:           8
        .value_kind:     global_buffer
      - .actual_access:  write_only
        .address_space:  global
        .offset:         8
        .size:           8
        .value_kind:     global_buffer
      - .actual_access:  read_only
        .address_space:  global
        .offset:         16
        .size:           8
        .value_kind:     global_buffer
      - .actual_access:  write_only
        .address_space:  global
        .offset:         24
        .size:           8
        .value_kind:     global_buffer
      - .actual_access:  read_only
        .address_space:  global
        .offset:         32
        .size:           8
        .value_kind:     global_buffer
      - .actual_access:  read_only
        .address_space:  global
        .offset:         40
        .size:           8
        .value_kind:     global_buffer
      - .actual_access:  read_only
        .address_space:  global
        .offset:         48
        .size:           8
        .value_kind:     global_buffer
      - .actual_access:  read_only
        .address_space:  global
        .offset:         56
        .size:           8
        .value_kind:     global_buffer
      - .actual_access:  read_only
        .address_space:  global
        .offset:         64
        .size:           8
        .value_kind:     global_buffer
      - .actual_access:  read_only
        .address_space:  global
        .offset:         72
        .size:           8
        .value_kind:     global_buffer
      - .offset:         80
        .size:           4
        .value_kind:     by_value
      - .offset:         84
        .size:           4
        .value_kind:     by_value
      - .offset:         88
        .size:           4
        .value_kind:     by_value
      - .offset:         92
        .size:           4
        .value_kind:     by_value
      - .offset:         96
        .size:           4
        .value_kind:     by_value
      - .offset:         100
        .size:           4
        .value_kind:     by_value
      - .offset:         104
        .size:           4
        .value_kind:     by_value
      - .offset:         108
        .size:           4
        .value_kind:     by_value
      - .offset:         112
        .size:           4
        .value_kind:     by_value
      - .offset:         116
        .size:           4
        .value_kind:     by_value
      - .offset:         120
        .size:           4
        .value_kind:     by_value
      - .offset:         124
        .size:           4
        .value_kind:     by_value
      - .offset:         128
        .size:           4
        .value_kind:     by_value
      - .offset:         132
        .size:           4
        .value_kind:     by_value
      - .offset:         136
        .size:           4
        .value_kind:     by_value
      - .offset:         144
        .size:           4
        .value_kind:     hidden_block_count_x
      - .offset:         148
        .size:           4
        .value_kind:     hidden_block_count_y
      - .offset:         152
        .size:           4
        .value_kind:     hidden_block_count_z
      - .offset:         156
        .size:           2
        .value_kind:     hidden_group_size_x
      - .offset:         158
        .size:           2
        .value_kind:     hidden_group_size_y
      - .offset:         160
        .size:           2
        .value_kind:     hidden_group_size_z
      - .offset:         162
        .size:           2
        .value_kind:     hidden_remainder_x
      - .offset:         164
        .size:           2
        .value_kind:     hidden_remainder_y
      - .offset:         166
        .size:           2
        .value_kind:     hidden_remainder_z
      - .offset:         184
        .size:           8
        .value_kind:     hidden_global_offset_x
      - .offset:         192
        .size:           8
        .value_kind:     hidden_global_offset_y
      - .offset:         200
        .size:           8
        .value_kind:     hidden_global_offset_z
      - .offset:         208
        .size:           2
        .value_kind:     hidden_grid_dims
    .group_segment_fixed_size: 32
    .kernarg_segment_align: 8
    .kernarg_segment_size: 400
    .language:       OpenCL C
    .language_version:
      - 2
      - 0
    .max_flat_workgroup_size: 1024
    .name:           _ZN5aiter35fused_qk_rmsnorm_group_quant_kernelIDF16_DB8_Li256ELi16ELi4ELb0ELb0ELb0ELb0ELb0ELb0EEEvPT0_PvPT_S6_S6_PKS5_S8_S8_S8_S8_ffiiiiiiiiiiiii
    .private_segment_fixed_size: 0
    .sgpr_count:     36
    .sgpr_spill_count: 0
    .symbol:         _ZN5aiter35fused_qk_rmsnorm_group_quant_kernelIDF16_DB8_Li256ELi16ELi4ELb0ELb0ELb0ELb0ELb0ELb0EEEvPT0_PvPT_S6_S6_PKS5_S8_S8_S8_S8_ffiiiiiiiiiiiii.kd
    .uniform_work_group_size: 1
    .uses_dynamic_stack: false
    .vgpr_count:     38
    .vgpr_spill_count: 0
    .wavefront_size: 64
  - .agpr_count:     0
    .args:
      - .actual_access:  write_only
        .address_space:  global
        .offset:         0
        .size:           8
        .value_kind:     global_buffer
      - .actual_access:  write_only
        .address_space:  global
        .offset:         8
        .size:           8
        .value_kind:     global_buffer
      - .actual_access:  read_only
        .address_space:  global
        .offset:         16
        .size:           8
        .value_kind:     global_buffer
      - .actual_access:  write_only
        .address_space:  global
        .offset:         24
        .size:           8
        .value_kind:     global_buffer
      - .actual_access:  read_only
        .address_space:  global
        .offset:         32
        .size:           8
        .value_kind:     global_buffer
      - .actual_access:  read_only
        .address_space:  global
        .offset:         40
        .size:           8
        .value_kind:     global_buffer
      - .actual_access:  read_only
        .address_space:  global
        .offset:         48
        .size:           8
        .value_kind:     global_buffer
      - .actual_access:  read_only
        .address_space:  global
        .offset:         56
        .size:           8
        .value_kind:     global_buffer
      - .actual_access:  read_only
        .address_space:  global
        .offset:         64
        .size:           8
        .value_kind:     global_buffer
      - .actual_access:  read_only
        .address_space:  global
        .offset:         72
        .size:           8
        .value_kind:     global_buffer
      - .offset:         80
        .size:           4
        .value_kind:     by_value
      - .offset:         84
        .size:           4
        .value_kind:     by_value
      - .offset:         88
        .size:           4
        .value_kind:     by_value
      - .offset:         92
        .size:           4
        .value_kind:     by_value
      - .offset:         96
        .size:           4
        .value_kind:     by_value
      - .offset:         100
        .size:           4
        .value_kind:     by_value
      - .offset:         104
        .size:           4
        .value_kind:     by_value
      - .offset:         108
        .size:           4
        .value_kind:     by_value
      - .offset:         112
        .size:           4
        .value_kind:     by_value
      - .offset:         116
        .size:           4
        .value_kind:     by_value
      - .offset:         120
        .size:           4
        .value_kind:     by_value
      - .offset:         124
        .size:           4
        .value_kind:     by_value
      - .offset:         128
        .size:           4
        .value_kind:     by_value
      - .offset:         132
        .size:           4
        .value_kind:     by_value
      - .offset:         136
        .size:           4
        .value_kind:     by_value
      - .offset:         144
        .size:           4
        .value_kind:     hidden_block_count_x
      - .offset:         148
        .size:           4
        .value_kind:     hidden_block_count_y
      - .offset:         152
        .size:           4
        .value_kind:     hidden_block_count_z
      - .offset:         156
        .size:           2
        .value_kind:     hidden_group_size_x
      - .offset:         158
        .size:           2
        .value_kind:     hidden_group_size_y
      - .offset:         160
        .size:           2
        .value_kind:     hidden_group_size_z
      - .offset:         162
        .size:           2
        .value_kind:     hidden_remainder_x
      - .offset:         164
        .size:           2
        .value_kind:     hidden_remainder_y
      - .offset:         166
        .size:           2
        .value_kind:     hidden_remainder_z
      - .offset:         184
        .size:           8
        .value_kind:     hidden_global_offset_x
      - .offset:         192
        .size:           8
        .value_kind:     hidden_global_offset_y
      - .offset:         200
        .size:           8
        .value_kind:     hidden_global_offset_z
      - .offset:         208
        .size:           2
        .value_kind:     hidden_grid_dims
    .group_segment_fixed_size: 32
    .kernarg_segment_align: 8
    .kernarg_segment_size: 400
    .language:       OpenCL C
    .language_version:
      - 2
      - 0
    .max_flat_workgroup_size: 1024
    .name:           _ZN5aiter35fused_qk_rmsnorm_group_quant_kernelItDB8_Li256ELi16ELi4ELb0ELb0ELb0ELb0ELb0ELb0EEEvPT0_PvPT_S6_S6_PKS5_S8_S8_S8_S8_ffiiiiiiiiiiiii
    .private_segment_fixed_size: 0
    .sgpr_count:     36
    .sgpr_spill_count: 0
    .symbol:         _ZN5aiter35fused_qk_rmsnorm_group_quant_kernelItDB8_Li256ELi16ELi4ELb0ELb0ELb0ELb0ELb0ELb0EEEvPT0_PvPT_S6_S6_PKS5_S8_S8_S8_S8_ffiiiiiiiiiiiii.kd
    .uniform_work_group_size: 1
    .uses_dynamic_stack: false
    .vgpr_count:     38
    .vgpr_spill_count: 0
    .wavefront_size: 64
  - .agpr_count:     0
    .args:
      - .actual_access:  write_only
        .address_space:  global
        .offset:         0
        .size:           8
        .value_kind:     global_buffer
      - .actual_access:  write_only
        .address_space:  global
        .offset:         8
        .size:           8
        .value_kind:     global_buffer
      - .actual_access:  read_only
        .address_space:  global
        .offset:         16
        .size:           8
        .value_kind:     global_buffer
      - .actual_access:  write_only
        .address_space:  global
        .offset:         24
        .size:           8
        .value_kind:     global_buffer
      - .actual_access:  read_only
        .address_space:  global
        .offset:         32
        .size:           8
        .value_kind:     global_buffer
      - .actual_access:  read_only
        .address_space:  global
        .offset:         40
        .size:           8
        .value_kind:     global_buffer
      - .actual_access:  read_only
        .address_space:  global
        .offset:         48
        .size:           8
        .value_kind:     global_buffer
      - .actual_access:  read_only
        .address_space:  global
        .offset:         56
        .size:           8
        .value_kind:     global_buffer
      - .actual_access:  read_only
        .address_space:  global
        .offset:         64
        .size:           8
        .value_kind:     global_buffer
      - .actual_access:  read_only
        .address_space:  global
        .offset:         72
        .size:           8
        .value_kind:     global_buffer
      - .offset:         80
        .size:           4
        .value_kind:     by_value
      - .offset:         84
        .size:           4
        .value_kind:     by_value
      - .offset:         88
        .size:           4
        .value_kind:     by_value
      - .offset:         92
        .size:           4
        .value_kind:     by_value
      - .offset:         96
        .size:           4
        .value_kind:     by_value
      - .offset:         100
        .size:           4
        .value_kind:     by_value
      - .offset:         104
        .size:           4
        .value_kind:     by_value
      - .offset:         108
        .size:           4
        .value_kind:     by_value
      - .offset:         112
        .size:           4
        .value_kind:     by_value
      - .offset:         116
        .size:           4
        .value_kind:     by_value
      - .offset:         120
        .size:           4
        .value_kind:     by_value
      - .offset:         124
        .size:           4
        .value_kind:     by_value
      - .offset:         128
        .size:           4
        .value_kind:     by_value
      - .offset:         132
        .size:           4
        .value_kind:     by_value
      - .offset:         136
        .size:           4
        .value_kind:     by_value
      - .offset:         144
        .size:           4
        .value_kind:     hidden_block_count_x
      - .offset:         148
        .size:           4
        .value_kind:     hidden_block_count_y
      - .offset:         152
        .size:           4
        .value_kind:     hidden_block_count_z
      - .offset:         156
        .size:           2
        .value_kind:     hidden_group_size_x
      - .offset:         158
        .size:           2
        .value_kind:     hidden_group_size_y
      - .offset:         160
        .size:           2
        .value_kind:     hidden_group_size_z
      - .offset:         162
        .size:           2
        .value_kind:     hidden_remainder_x
      - .offset:         164
        .size:           2
        .value_kind:     hidden_remainder_y
      - .offset:         166
        .size:           2
        .value_kind:     hidden_remainder_z
      - .offset:         184
        .size:           8
        .value_kind:     hidden_global_offset_x
      - .offset:         192
        .size:           8
        .value_kind:     hidden_global_offset_y
      - .offset:         200
        .size:           8
        .value_kind:     hidden_global_offset_z
      - .offset:         208
        .size:           2
        .value_kind:     hidden_grid_dims
    .group_segment_fixed_size: 32
    .kernarg_segment_align: 8
    .kernarg_segment_size: 400
    .language:       OpenCL C
    .language_version:
      - 2
      - 0
    .max_flat_workgroup_size: 1024
    .name:           _ZN5aiter35fused_qk_rmsnorm_group_quant_kernelIDF16_N4opus5fp4_tELi256ELi16ELi4ELb0ELb0ELb0ELb0ELb0ELb0EEEvPT0_PvPT_S7_S7_PKS6_S9_S9_S9_S9_ffiiiiiiiiiiiii
    .private_segment_fixed_size: 0
    .sgpr_count:     36
    .sgpr_spill_count: 0
    .symbol:         _ZN5aiter35fused_qk_rmsnorm_group_quant_kernelIDF16_N4opus5fp4_tELi256ELi16ELi4ELb0ELb0ELb0ELb0ELb0ELb0EEEvPT0_PvPT_S7_S7_PKS6_S9_S9_S9_S9_ffiiiiiiiiiiiii.kd
    .uniform_work_group_size: 1
    .uses_dynamic_stack: false
    .vgpr_count:     36
    .vgpr_spill_count: 0
    .wavefront_size: 64
  - .agpr_count:     0
    .args:
      - .actual_access:  write_only
        .address_space:  global
        .offset:         0
        .size:           8
        .value_kind:     global_buffer
      - .actual_access:  write_only
        .address_space:  global
        .offset:         8
        .size:           8
        .value_kind:     global_buffer
      - .actual_access:  read_only
        .address_space:  global
        .offset:         16
        .size:           8
        .value_kind:     global_buffer
      - .actual_access:  write_only
        .address_space:  global
        .offset:         24
        .size:           8
        .value_kind:     global_buffer
      - .actual_access:  read_only
        .address_space:  global
        .offset:         32
        .size:           8
        .value_kind:     global_buffer
      - .actual_access:  read_only
        .address_space:  global
        .offset:         40
        .size:           8
        .value_kind:     global_buffer
      - .actual_access:  read_only
        .address_space:  global
        .offset:         48
        .size:           8
        .value_kind:     global_buffer
      - .actual_access:  read_only
        .address_space:  global
        .offset:         56
        .size:           8
        .value_kind:     global_buffer
      - .actual_access:  read_only
        .address_space:  global
        .offset:         64
        .size:           8
        .value_kind:     global_buffer
      - .actual_access:  read_only
        .address_space:  global
        .offset:         72
        .size:           8
        .value_kind:     global_buffer
      - .offset:         80
        .size:           4
        .value_kind:     by_value
      - .offset:         84
        .size:           4
        .value_kind:     by_value
      - .offset:         88
        .size:           4
        .value_kind:     by_value
      - .offset:         92
        .size:           4
        .value_kind:     by_value
      - .offset:         96
        .size:           4
        .value_kind:     by_value
      - .offset:         100
        .size:           4
        .value_kind:     by_value
      - .offset:         104
        .size:           4
        .value_kind:     by_value
      - .offset:         108
        .size:           4
        .value_kind:     by_value
      - .offset:         112
        .size:           4
        .value_kind:     by_value
      - .offset:         116
        .size:           4
        .value_kind:     by_value
      - .offset:         120
        .size:           4
        .value_kind:     by_value
      - .offset:         124
        .size:           4
        .value_kind:     by_value
      - .offset:         128
        .size:           4
        .value_kind:     by_value
      - .offset:         132
        .size:           4
        .value_kind:     by_value
      - .offset:         136
        .size:           4
        .value_kind:     by_value
      - .offset:         144
        .size:           4
        .value_kind:     hidden_block_count_x
      - .offset:         148
        .size:           4
        .value_kind:     hidden_block_count_y
      - .offset:         152
        .size:           4
        .value_kind:     hidden_block_count_z
      - .offset:         156
        .size:           2
        .value_kind:     hidden_group_size_x
      - .offset:         158
        .size:           2
        .value_kind:     hidden_group_size_y
      - .offset:         160
        .size:           2
        .value_kind:     hidden_group_size_z
      - .offset:         162
        .size:           2
        .value_kind:     hidden_remainder_x
      - .offset:         164
        .size:           2
        .value_kind:     hidden_remainder_y
      - .offset:         166
        .size:           2
        .value_kind:     hidden_remainder_z
      - .offset:         184
        .size:           8
        .value_kind:     hidden_global_offset_x
      - .offset:         192
        .size:           8
        .value_kind:     hidden_global_offset_y
      - .offset:         200
        .size:           8
        .value_kind:     hidden_global_offset_z
      - .offset:         208
        .size:           2
        .value_kind:     hidden_grid_dims
    .group_segment_fixed_size: 32
    .kernarg_segment_align: 8
    .kernarg_segment_size: 400
    .language:       OpenCL C
    .language_version:
      - 2
      - 0
    .max_flat_workgroup_size: 1024
    .name:           _ZN5aiter35fused_qk_rmsnorm_group_quant_kernelItN4opus5fp4_tELi256ELi16ELi4ELb0ELb0ELb0ELb0ELb0ELb0EEEvPT0_PvPT_S7_S7_PKS6_S9_S9_S9_S9_ffiiiiiiiiiiiii
    .private_segment_fixed_size: 0
    .sgpr_count:     36
    .sgpr_spill_count: 0
    .symbol:         _ZN5aiter35fused_qk_rmsnorm_group_quant_kernelItN4opus5fp4_tELi256ELi16ELi4ELb0ELb0ELb0ELb0ELb0ELb0EEEvPT0_PvPT_S7_S7_PKS6_S9_S9_S9_S9_ffiiiiiiiiiiiii.kd
    .uniform_work_group_size: 1
    .uses_dynamic_stack: false
    .vgpr_count:     36
    .vgpr_spill_count: 0
    .wavefront_size: 64
  - .agpr_count:     0
    .args:
      - .actual_access:  read_only
        .address_space:  global
        .offset:         0
        .size:           8
        .value_kind:     global_buffer
      - .actual_access:  read_only
        .address_space:  global
        .offset:         8
        .size:           8
        .value_kind:     global_buffer
      - .actual_access:  write_only
        .address_space:  global
        .offset:         16
        .size:           8
        .value_kind:     global_buffer
      - .actual_access:  write_only
        .address_space:  global
        .offset:         24
        .size:           8
        .value_kind:     global_buffer
      - .actual_access:  write_only
        .address_space:  global
        .offset:         32
        .size:           8
        .value_kind:     global_buffer
      - .actual_access:  read_only
        .address_space:  global
        .offset:         40
        .size:           8
        .value_kind:     global_buffer
      - .actual_access:  read_only
        .address_space:  global
        .offset:         48
        .size:           8
        .value_kind:     global_buffer
      - .actual_access:  read_only
        .address_space:  global
        .offset:         56
        .size:           8
        .value_kind:     global_buffer
      - .actual_access:  read_only
        .address_space:  global
        .offset:         64
        .size:           8
        .value_kind:     global_buffer
      - .actual_access:  read_only
        .address_space:  global
        .offset:         72
        .size:           8
        .value_kind:     global_buffer
      - .offset:         80
        .size:           4
        .value_kind:     by_value
      - .offset:         84
        .size:           4
        .value_kind:     by_value
      - .offset:         88
        .size:           4
        .value_kind:     by_value
      - .offset:         92
        .size:           4
        .value_kind:     by_value
      - .offset:         96
        .size:           4
        .value_kind:     by_value
      - .offset:         100
        .size:           4
        .value_kind:     by_value
      - .offset:         104
        .size:           4
        .value_kind:     by_value
      - .offset:         108
        .size:           4
        .value_kind:     by_value
      - .offset:         112
        .size:           4
        .value_kind:     by_value
      - .offset:         116
        .size:           4
        .value_kind:     by_value
      - .offset:         120
        .size:           4
        .value_kind:     by_value
      - .offset:         124
        .size:           4
        .value_kind:     by_value
      - .offset:         128
        .size:           4
        .value_kind:     by_value
      - .offset:         132
        .size:           4
        .value_kind:     by_value
      - .offset:         136
        .size:           4
        .value_kind:     by_value
      - .offset:         144
        .size:           4
        .value_kind:     hidden_block_count_x
      - .offset:         148
        .size:           4
        .value_kind:     hidden_block_count_y
      - .offset:         152
        .size:           4
        .value_kind:     hidden_block_count_z
      - .offset:         156
        .size:           2
        .value_kind:     hidden_group_size_x
      - .offset:         158
        .size:           2
        .value_kind:     hidden_group_size_y
      - .offset:         160
        .size:           2
        .value_kind:     hidden_group_size_z
      - .offset:         162
        .size:           2
        .value_kind:     hidden_remainder_x
      - .offset:         164
        .size:           2
        .value_kind:     hidden_remainder_y
      - .offset:         166
        .size:           2
        .value_kind:     hidden_remainder_z
      - .offset:         184
        .size:           8
        .value_kind:     hidden_global_offset_x
      - .offset:         192
        .size:           8
        .value_kind:     hidden_global_offset_y
      - .offset:         200
        .size:           8
        .value_kind:     hidden_global_offset_z
      - .offset:         208
        .size:           2
        .value_kind:     hidden_grid_dims
    .group_segment_fixed_size: 32
    .kernarg_segment_align: 8
    .kernarg_segment_size: 400
    .language:       OpenCL C
    .language_version:
      - 2
      - 0
    .max_flat_workgroup_size: 1024
    .name:           _ZN5aiter35fused_qk_rmsnorm_group_quant_kernelIDF16_DB8_Li256ELi16ELi2ELb1ELb1ELb1ELb1ELb0ELb0EEEvPT0_PvPT_S6_S6_PKS5_S8_S8_S8_S8_ffiiiiiiiiiiiii
    .private_segment_fixed_size: 0
    .sgpr_count:     36
    .sgpr_spill_count: 0
    .symbol:         _ZN5aiter35fused_qk_rmsnorm_group_quant_kernelIDF16_DB8_Li256ELi16ELi2ELb1ELb1ELb1ELb1ELb0ELb0EEEvPT0_PvPT_S6_S6_PKS5_S8_S8_S8_S8_ffiiiiiiiiiiiii.kd
    .uniform_work_group_size: 1
    .uses_dynamic_stack: false
    .vgpr_count:     49
    .vgpr_spill_count: 0
    .wavefront_size: 64
  - .agpr_count:     0
    .args:
      - .actual_access:  read_only
        .address_space:  global
        .offset:         0
        .size:           8
        .value_kind:     global_buffer
      - .actual_access:  read_only
        .address_space:  global
        .offset:         8
        .size:           8
        .value_kind:     global_buffer
      - .actual_access:  write_only
        .address_space:  global
        .offset:         16
        .size:           8
        .value_kind:     global_buffer
      - .actual_access:  write_only
        .address_space:  global
        .offset:         24
        .size:           8
        .value_kind:     global_buffer
      - .actual_access:  write_only
        .address_space:  global
        .offset:         32
        .size:           8
        .value_kind:     global_buffer
      - .actual_access:  read_only
        .address_space:  global
        .offset:         40
        .size:           8
        .value_kind:     global_buffer
      - .actual_access:  read_only
        .address_space:  global
        .offset:         48
        .size:           8
        .value_kind:     global_buffer
      - .actual_access:  read_only
        .address_space:  global
        .offset:         56
        .size:           8
        .value_kind:     global_buffer
      - .actual_access:  read_only
        .address_space:  global
        .offset:         64
        .size:           8
        .value_kind:     global_buffer
      - .actual_access:  read_only
        .address_space:  global
        .offset:         72
        .size:           8
        .value_kind:     global_buffer
      - .offset:         80
        .size:           4
        .value_kind:     by_value
      - .offset:         84
        .size:           4
        .value_kind:     by_value
      - .offset:         88
        .size:           4
        .value_kind:     by_value
      - .offset:         92
        .size:           4
        .value_kind:     by_value
      - .offset:         96
        .size:           4
        .value_kind:     by_value
      - .offset:         100
        .size:           4
        .value_kind:     by_value
      - .offset:         104
        .size:           4
        .value_kind:     by_value
      - .offset:         108
        .size:           4
        .value_kind:     by_value
      - .offset:         112
        .size:           4
        .value_kind:     by_value
      - .offset:         116
        .size:           4
        .value_kind:     by_value
      - .offset:         120
        .size:           4
        .value_kind:     by_value
      - .offset:         124
        .size:           4
        .value_kind:     by_value
      - .offset:         128
        .size:           4
        .value_kind:     by_value
      - .offset:         132
        .size:           4
        .value_kind:     by_value
      - .offset:         136
        .size:           4
        .value_kind:     by_value
      - .offset:         144
        .size:           4
        .value_kind:     hidden_block_count_x
      - .offset:         148
        .size:           4
        .value_kind:     hidden_block_count_y
      - .offset:         152
        .size:           4
        .value_kind:     hidden_block_count_z
      - .offset:         156
        .size:           2
        .value_kind:     hidden_group_size_x
      - .offset:         158
        .size:           2
        .value_kind:     hidden_group_size_y
      - .offset:         160
        .size:           2
        .value_kind:     hidden_group_size_z
      - .offset:         162
        .size:           2
        .value_kind:     hidden_remainder_x
      - .offset:         164
        .size:           2
        .value_kind:     hidden_remainder_y
      - .offset:         166
        .size:           2
        .value_kind:     hidden_remainder_z
      - .offset:         184
        .size:           8
        .value_kind:     hidden_global_offset_x
      - .offset:         192
        .size:           8
        .value_kind:     hidden_global_offset_y
      - .offset:         200
        .size:           8
        .value_kind:     hidden_global_offset_z
      - .offset:         208
        .size:           2
        .value_kind:     hidden_grid_dims
    .group_segment_fixed_size: 32
    .kernarg_segment_align: 8
    .kernarg_segment_size: 400
    .language:       OpenCL C
    .language_version:
      - 2
      - 0
    .max_flat_workgroup_size: 1024
    .name:           _ZN5aiter35fused_qk_rmsnorm_group_quant_kernelItDB8_Li256ELi16ELi2ELb1ELb1ELb1ELb1ELb0ELb0EEEvPT0_PvPT_S6_S6_PKS5_S8_S8_S8_S8_ffiiiiiiiiiiiii
    .private_segment_fixed_size: 0
    .sgpr_count:     36
    .sgpr_spill_count: 0
    .symbol:         _ZN5aiter35fused_qk_rmsnorm_group_quant_kernelItDB8_Li256ELi16ELi2ELb1ELb1ELb1ELb1ELb0ELb0EEEvPT0_PvPT_S6_S6_PKS5_S8_S8_S8_S8_ffiiiiiiiiiiiii.kd
    .uniform_work_group_size: 1
    .uses_dynamic_stack: false
    .vgpr_count:     76
    .vgpr_spill_count: 0
    .wavefront_size: 64
  - .agpr_count:     0
    .args:
      - .actual_access:  read_only
        .address_space:  global
        .offset:         0
        .size:           8
        .value_kind:     global_buffer
      - .actual_access:  read_only
        .address_space:  global
        .offset:         8
        .size:           8
        .value_kind:     global_buffer
      - .actual_access:  write_only
        .address_space:  global
        .offset:         16
        .size:           8
        .value_kind:     global_buffer
      - .actual_access:  write_only
        .address_space:  global
        .offset:         24
        .size:           8
        .value_kind:     global_buffer
      - .actual_access:  write_only
        .address_space:  global
        .offset:         32
        .size:           8
        .value_kind:     global_buffer
      - .actual_access:  read_only
        .address_space:  global
        .offset:         40
        .size:           8
        .value_kind:     global_buffer
      - .actual_access:  read_only
        .address_space:  global
        .offset:         48
        .size:           8
        .value_kind:     global_buffer
      - .actual_access:  read_only
        .address_space:  global
        .offset:         56
        .size:           8
        .value_kind:     global_buffer
      - .actual_access:  read_only
        .address_space:  global
        .offset:         64
        .size:           8
        .value_kind:     global_buffer
      - .actual_access:  read_only
        .address_space:  global
        .offset:         72
        .size:           8
        .value_kind:     global_buffer
      - .offset:         80
        .size:           4
        .value_kind:     by_value
      - .offset:         84
        .size:           4
        .value_kind:     by_value
      - .offset:         88
        .size:           4
        .value_kind:     by_value
      - .offset:         92
        .size:           4
        .value_kind:     by_value
      - .offset:         96
        .size:           4
        .value_kind:     by_value
      - .offset:         100
        .size:           4
        .value_kind:     by_value
      - .offset:         104
        .size:           4
        .value_kind:     by_value
      - .offset:         108
        .size:           4
        .value_kind:     by_value
      - .offset:         112
        .size:           4
        .value_kind:     by_value
      - .offset:         116
        .size:           4
        .value_kind:     by_value
      - .offset:         120
        .size:           4
        .value_kind:     by_value
      - .offset:         124
        .size:           4
        .value_kind:     by_value
      - .offset:         128
        .size:           4
        .value_kind:     by_value
      - .offset:         132
        .size:           4
        .value_kind:     by_value
      - .offset:         136
        .size:           4
        .value_kind:     by_value
      - .offset:         144
        .size:           4
        .value_kind:     hidden_block_count_x
      - .offset:         148
        .size:           4
        .value_kind:     hidden_block_count_y
      - .offset:         152
        .size:           4
        .value_kind:     hidden_block_count_z
      - .offset:         156
        .size:           2
        .value_kind:     hidden_group_size_x
      - .offset:         158
        .size:           2
        .value_kind:     hidden_group_size_y
      - .offset:         160
        .size:           2
        .value_kind:     hidden_group_size_z
      - .offset:         162
        .size:           2
        .value_kind:     hidden_remainder_x
      - .offset:         164
        .size:           2
        .value_kind:     hidden_remainder_y
      - .offset:         166
        .size:           2
        .value_kind:     hidden_remainder_z
      - .offset:         184
        .size:           8
        .value_kind:     hidden_global_offset_x
      - .offset:         192
        .size:           8
        .value_kind:     hidden_global_offset_y
      - .offset:         200
        .size:           8
        .value_kind:     hidden_global_offset_z
      - .offset:         208
        .size:           2
        .value_kind:     hidden_grid_dims
    .group_segment_fixed_size: 32
    .kernarg_segment_align: 8
    .kernarg_segment_size: 400
    .language:       OpenCL C
    .language_version:
      - 2
      - 0
    .max_flat_workgroup_size: 1024
    .name:           _ZN5aiter35fused_qk_rmsnorm_group_quant_kernelIDF16_N4opus5fp4_tELi256ELi16ELi2ELb1ELb1ELb1ELb1ELb0ELb0EEEvPT0_PvPT_S7_S7_PKS6_S9_S9_S9_S9_ffiiiiiiiiiiiii
    .private_segment_fixed_size: 0
    .sgpr_count:     36
    .sgpr_spill_count: 0
    .symbol:         _ZN5aiter35fused_qk_rmsnorm_group_quant_kernelIDF16_N4opus5fp4_tELi256ELi16ELi2ELb1ELb1ELb1ELb1ELb0ELb0EEEvPT0_PvPT_S7_S7_PKS6_S9_S9_S9_S9_ffiiiiiiiiiiiii.kd
    .uniform_work_group_size: 1
    .uses_dynamic_stack: false
    .vgpr_count:     49
    .vgpr_spill_count: 0
    .wavefront_size: 64
  - .agpr_count:     0
    .args:
      - .actual_access:  read_only
        .address_space:  global
        .offset:         0
        .size:           8
        .value_kind:     global_buffer
      - .actual_access:  read_only
        .address_space:  global
        .offset:         8
        .size:           8
        .value_kind:     global_buffer
      - .actual_access:  write_only
        .address_space:  global
        .offset:         16
        .size:           8
        .value_kind:     global_buffer
      - .actual_access:  write_only
        .address_space:  global
        .offset:         24
        .size:           8
        .value_kind:     global_buffer
      - .actual_access:  write_only
        .address_space:  global
        .offset:         32
        .size:           8
        .value_kind:     global_buffer
      - .actual_access:  read_only
        .address_space:  global
        .offset:         40
        .size:           8
        .value_kind:     global_buffer
      - .actual_access:  read_only
        .address_space:  global
        .offset:         48
        .size:           8
        .value_kind:     global_buffer
      - .actual_access:  read_only
        .address_space:  global
        .offset:         56
        .size:           8
        .value_kind:     global_buffer
      - .actual_access:  read_only
        .address_space:  global
        .offset:         64
        .size:           8
        .value_kind:     global_buffer
      - .actual_access:  read_only
        .address_space:  global
        .offset:         72
        .size:           8
        .value_kind:     global_buffer
      - .offset:         80
        .size:           4
        .value_kind:     by_value
      - .offset:         84
        .size:           4
        .value_kind:     by_value
      - .offset:         88
        .size:           4
        .value_kind:     by_value
      - .offset:         92
        .size:           4
        .value_kind:     by_value
      - .offset:         96
        .size:           4
        .value_kind:     by_value
      - .offset:         100
        .size:           4
        .value_kind:     by_value
      - .offset:         104
        .size:           4
        .value_kind:     by_value
      - .offset:         108
        .size:           4
        .value_kind:     by_value
      - .offset:         112
        .size:           4
        .value_kind:     by_value
      - .offset:         116
        .size:           4
        .value_kind:     by_value
      - .offset:         120
        .size:           4
        .value_kind:     by_value
      - .offset:         124
        .size:           4
        .value_kind:     by_value
      - .offset:         128
        .size:           4
        .value_kind:     by_value
      - .offset:         132
        .size:           4
        .value_kind:     by_value
      - .offset:         136
        .size:           4
        .value_kind:     by_value
      - .offset:         144
        .size:           4
        .value_kind:     hidden_block_count_x
      - .offset:         148
        .size:           4
        .value_kind:     hidden_block_count_y
      - .offset:         152
        .size:           4
        .value_kind:     hidden_block_count_z
      - .offset:         156
        .size:           2
        .value_kind:     hidden_group_size_x
      - .offset:         158
        .size:           2
        .value_kind:     hidden_group_size_y
      - .offset:         160
        .size:           2
        .value_kind:     hidden_group_size_z
      - .offset:         162
        .size:           2
        .value_kind:     hidden_remainder_x
      - .offset:         164
        .size:           2
        .value_kind:     hidden_remainder_y
      - .offset:         166
        .size:           2
        .value_kind:     hidden_remainder_z
      - .offset:         184
        .size:           8
        .value_kind:     hidden_global_offset_x
      - .offset:         192
        .size:           8
        .value_kind:     hidden_global_offset_y
      - .offset:         200
        .size:           8
        .value_kind:     hidden_global_offset_z
      - .offset:         208
        .size:           2
        .value_kind:     hidden_grid_dims
    .group_segment_fixed_size: 32
    .kernarg_segment_align: 8
    .kernarg_segment_size: 400
    .language:       OpenCL C
    .language_version:
      - 2
      - 0
    .max_flat_workgroup_size: 1024
    .name:           _ZN5aiter35fused_qk_rmsnorm_group_quant_kernelItN4opus5fp4_tELi256ELi16ELi2ELb1ELb1ELb1ELb1ELb0ELb0EEEvPT0_PvPT_S7_S7_PKS6_S9_S9_S9_S9_ffiiiiiiiiiiiii
    .private_segment_fixed_size: 0
    .sgpr_count:     36
    .sgpr_spill_count: 0
    .symbol:         _ZN5aiter35fused_qk_rmsnorm_group_quant_kernelItN4opus5fp4_tELi256ELi16ELi2ELb1ELb1ELb1ELb1ELb0ELb0EEEvPT0_PvPT_S7_S7_PKS6_S9_S9_S9_S9_ffiiiiiiiiiiiii.kd
    .uniform_work_group_size: 1
    .uses_dynamic_stack: false
    .vgpr_count:     76
    .vgpr_spill_count: 0
    .wavefront_size: 64
  - .agpr_count:     0
    .args:
      - .actual_access:  read_only
        .address_space:  global
        .offset:         0
        .size:           8
        .value_kind:     global_buffer
      - .actual_access:  read_only
        .address_space:  global
        .offset:         8
        .size:           8
        .value_kind:     global_buffer
      - .actual_access:  write_only
        .address_space:  global
        .offset:         16
        .size:           8
        .value_kind:     global_buffer
      - .actual_access:  write_only
        .address_space:  global
        .offset:         24
        .size:           8
        .value_kind:     global_buffer
      - .actual_access:  write_only
        .address_space:  global
        .offset:         32
        .size:           8
        .value_kind:     global_buffer
      - .actual_access:  read_only
        .address_space:  global
        .offset:         40
        .size:           8
        .value_kind:     global_buffer
      - .actual_access:  read_only
        .address_space:  global
        .offset:         48
        .size:           8
        .value_kind:     global_buffer
      - .actual_access:  read_only
        .address_space:  global
        .offset:         56
        .size:           8
        .value_kind:     global_buffer
      - .actual_access:  read_only
        .address_space:  global
        .offset:         64
        .size:           8
        .value_kind:     global_buffer
      - .actual_access:  read_only
        .address_space:  global
        .offset:         72
        .size:           8
        .value_kind:     global_buffer
      - .offset:         80
        .size:           4
        .value_kind:     by_value
      - .offset:         84
        .size:           4
        .value_kind:     by_value
      - .offset:         88
        .size:           4
        .value_kind:     by_value
      - .offset:         92
        .size:           4
        .value_kind:     by_value
      - .offset:         96
        .size:           4
        .value_kind:     by_value
      - .offset:         100
        .size:           4
        .value_kind:     by_value
      - .offset:         104
        .size:           4
        .value_kind:     by_value
      - .offset:         108
        .size:           4
        .value_kind:     by_value
      - .offset:         112
        .size:           4
        .value_kind:     by_value
      - .offset:         116
        .size:           4
        .value_kind:     by_value
      - .offset:         120
        .size:           4
        .value_kind:     by_value
      - .offset:         124
        .size:           4
        .value_kind:     by_value
      - .offset:         128
        .size:           4
        .value_kind:     by_value
      - .offset:         132
        .size:           4
        .value_kind:     by_value
      - .offset:         136
        .size:           4
        .value_kind:     by_value
      - .offset:         144
        .size:           4
        .value_kind:     hidden_block_count_x
      - .offset:         148
        .size:           4
        .value_kind:     hidden_block_count_y
      - .offset:         152
        .size:           4
        .value_kind:     hidden_block_count_z
      - .offset:         156
        .size:           2
        .value_kind:     hidden_group_size_x
      - .offset:         158
        .size:           2
        .value_kind:     hidden_group_size_y
      - .offset:         160
        .size:           2
        .value_kind:     hidden_group_size_z
      - .offset:         162
        .size:           2
        .value_kind:     hidden_remainder_x
      - .offset:         164
        .size:           2
        .value_kind:     hidden_remainder_y
      - .offset:         166
        .size:           2
        .value_kind:     hidden_remainder_z
      - .offset:         184
        .size:           8
        .value_kind:     hidden_global_offset_x
      - .offset:         192
        .size:           8
        .value_kind:     hidden_global_offset_y
      - .offset:         200
        .size:           8
        .value_kind:     hidden_global_offset_z
      - .offset:         208
        .size:           2
        .value_kind:     hidden_grid_dims
    .group_segment_fixed_size: 32
    .kernarg_segment_align: 8
    .kernarg_segment_size: 400
    .language:       OpenCL C
    .language_version:
      - 2
      - 0
    .max_flat_workgroup_size: 1024
    .name:           _ZN5aiter35fused_qk_rmsnorm_group_quant_kernelIDF16_DB8_Li256ELi16ELi2ELb1ELb1ELb0ELb1ELb0ELb0EEEvPT0_PvPT_S6_S6_PKS5_S8_S8_S8_S8_ffiiiiiiiiiiiii
    .private_segment_fixed_size: 0
    .sgpr_count:     36
    .sgpr_spill_count: 0
    .symbol:         _ZN5aiter35fused_qk_rmsnorm_group_quant_kernelIDF16_DB8_Li256ELi16ELi2ELb1ELb1ELb0ELb1ELb0ELb0EEEvPT0_PvPT_S6_S6_PKS5_S8_S8_S8_S8_ffiiiiiiiiiiiii.kd
    .uniform_work_group_size: 1
    .uses_dynamic_stack: false
    .vgpr_count:     49
    .vgpr_spill_count: 0
    .wavefront_size: 64
  - .agpr_count:     0
    .args:
      - .actual_access:  read_only
        .address_space:  global
        .offset:         0
        .size:           8
        .value_kind:     global_buffer
      - .actual_access:  read_only
        .address_space:  global
        .offset:         8
        .size:           8
        .value_kind:     global_buffer
      - .actual_access:  write_only
        .address_space:  global
        .offset:         16
        .size:           8
        .value_kind:     global_buffer
      - .actual_access:  write_only
        .address_space:  global
        .offset:         24
        .size:           8
        .value_kind:     global_buffer
      - .actual_access:  write_only
        .address_space:  global
        .offset:         32
        .size:           8
        .value_kind:     global_buffer
      - .actual_access:  read_only
        .address_space:  global
        .offset:         40
        .size:           8
        .value_kind:     global_buffer
      - .actual_access:  read_only
        .address_space:  global
        .offset:         48
        .size:           8
        .value_kind:     global_buffer
      - .actual_access:  read_only
        .address_space:  global
        .offset:         56
        .size:           8
        .value_kind:     global_buffer
      - .actual_access:  read_only
        .address_space:  global
        .offset:         64
        .size:           8
        .value_kind:     global_buffer
      - .actual_access:  read_only
        .address_space:  global
        .offset:         72
        .size:           8
        .value_kind:     global_buffer
      - .offset:         80
        .size:           4
        .value_kind:     by_value
      - .offset:         84
        .size:           4
        .value_kind:     by_value
      - .offset:         88
        .size:           4
        .value_kind:     by_value
      - .offset:         92
        .size:           4
        .value_kind:     by_value
      - .offset:         96
        .size:           4
        .value_kind:     by_value
      - .offset:         100
        .size:           4
        .value_kind:     by_value
      - .offset:         104
        .size:           4
        .value_kind:     by_value
      - .offset:         108
        .size:           4
        .value_kind:     by_value
      - .offset:         112
        .size:           4
        .value_kind:     by_value
      - .offset:         116
        .size:           4
        .value_kind:     by_value
      - .offset:         120
        .size:           4
        .value_kind:     by_value
      - .offset:         124
        .size:           4
        .value_kind:     by_value
      - .offset:         128
        .size:           4
        .value_kind:     by_value
      - .offset:         132
        .size:           4
        .value_kind:     by_value
      - .offset:         136
        .size:           4
        .value_kind:     by_value
      - .offset:         144
        .size:           4
        .value_kind:     hidden_block_count_x
      - .offset:         148
        .size:           4
        .value_kind:     hidden_block_count_y
      - .offset:         152
        .size:           4
        .value_kind:     hidden_block_count_z
      - .offset:         156
        .size:           2
        .value_kind:     hidden_group_size_x
      - .offset:         158
        .size:           2
        .value_kind:     hidden_group_size_y
      - .offset:         160
        .size:           2
        .value_kind:     hidden_group_size_z
      - .offset:         162
        .size:           2
        .value_kind:     hidden_remainder_x
      - .offset:         164
        .size:           2
        .value_kind:     hidden_remainder_y
      - .offset:         166
        .size:           2
        .value_kind:     hidden_remainder_z
      - .offset:         184
        .size:           8
        .value_kind:     hidden_global_offset_x
      - .offset:         192
        .size:           8
        .value_kind:     hidden_global_offset_y
      - .offset:         200
        .size:           8
        .value_kind:     hidden_global_offset_z
      - .offset:         208
        .size:           2
        .value_kind:     hidden_grid_dims
    .group_segment_fixed_size: 32
    .kernarg_segment_align: 8
    .kernarg_segment_size: 400
    .language:       OpenCL C
    .language_version:
      - 2
      - 0
    .max_flat_workgroup_size: 1024
    .name:           _ZN5aiter35fused_qk_rmsnorm_group_quant_kernelItDB8_Li256ELi16ELi2ELb1ELb1ELb0ELb1ELb0ELb0EEEvPT0_PvPT_S6_S6_PKS5_S8_S8_S8_S8_ffiiiiiiiiiiiii
    .private_segment_fixed_size: 0
    .sgpr_count:     36
    .sgpr_spill_count: 0
    .symbol:         _ZN5aiter35fused_qk_rmsnorm_group_quant_kernelItDB8_Li256ELi16ELi2ELb1ELb1ELb0ELb1ELb0ELb0EEEvPT0_PvPT_S6_S6_PKS5_S8_S8_S8_S8_ffiiiiiiiiiiiii.kd
    .uniform_work_group_size: 1
    .uses_dynamic_stack: false
    .vgpr_count:     90
    .vgpr_spill_count: 0
    .wavefront_size: 64
  - .agpr_count:     0
    .args:
      - .actual_access:  read_only
        .address_space:  global
        .offset:         0
        .size:           8
        .value_kind:     global_buffer
      - .actual_access:  read_only
        .address_space:  global
        .offset:         8
        .size:           8
        .value_kind:     global_buffer
      - .actual_access:  write_only
        .address_space:  global
        .offset:         16
        .size:           8
        .value_kind:     global_buffer
      - .actual_access:  write_only
        .address_space:  global
        .offset:         24
        .size:           8
        .value_kind:     global_buffer
      - .actual_access:  write_only
        .address_space:  global
        .offset:         32
        .size:           8
        .value_kind:     global_buffer
      - .actual_access:  read_only
        .address_space:  global
        .offset:         40
        .size:           8
        .value_kind:     global_buffer
      - .actual_access:  read_only
        .address_space:  global
        .offset:         48
        .size:           8
        .value_kind:     global_buffer
      - .actual_access:  read_only
        .address_space:  global
        .offset:         56
        .size:           8
        .value_kind:     global_buffer
      - .actual_access:  read_only
        .address_space:  global
        .offset:         64
        .size:           8
        .value_kind:     global_buffer
      - .actual_access:  read_only
        .address_space:  global
        .offset:         72
        .size:           8
        .value_kind:     global_buffer
      - .offset:         80
        .size:           4
        .value_kind:     by_value
      - .offset:         84
        .size:           4
        .value_kind:     by_value
      - .offset:         88
        .size:           4
        .value_kind:     by_value
      - .offset:         92
        .size:           4
        .value_kind:     by_value
      - .offset:         96
        .size:           4
        .value_kind:     by_value
      - .offset:         100
        .size:           4
        .value_kind:     by_value
      - .offset:         104
        .size:           4
        .value_kind:     by_value
      - .offset:         108
        .size:           4
        .value_kind:     by_value
      - .offset:         112
        .size:           4
        .value_kind:     by_value
      - .offset:         116
        .size:           4
        .value_kind:     by_value
      - .offset:         120
        .size:           4
        .value_kind:     by_value
      - .offset:         124
        .size:           4
        .value_kind:     by_value
      - .offset:         128
        .size:           4
        .value_kind:     by_value
      - .offset:         132
        .size:           4
        .value_kind:     by_value
      - .offset:         136
        .size:           4
        .value_kind:     by_value
      - .offset:         144
        .size:           4
        .value_kind:     hidden_block_count_x
      - .offset:         148
        .size:           4
        .value_kind:     hidden_block_count_y
      - .offset:         152
        .size:           4
        .value_kind:     hidden_block_count_z
      - .offset:         156
        .size:           2
        .value_kind:     hidden_group_size_x
      - .offset:         158
        .size:           2
        .value_kind:     hidden_group_size_y
      - .offset:         160
        .size:           2
        .value_kind:     hidden_group_size_z
      - .offset:         162
        .size:           2
        .value_kind:     hidden_remainder_x
      - .offset:         164
        .size:           2
        .value_kind:     hidden_remainder_y
      - .offset:         166
        .size:           2
        .value_kind:     hidden_remainder_z
      - .offset:         184
        .size:           8
        .value_kind:     hidden_global_offset_x
      - .offset:         192
        .size:           8
        .value_kind:     hidden_global_offset_y
      - .offset:         200
        .size:           8
        .value_kind:     hidden_global_offset_z
      - .offset:         208
        .size:           2
        .value_kind:     hidden_grid_dims
    .group_segment_fixed_size: 32
    .kernarg_segment_align: 8
    .kernarg_segment_size: 400
    .language:       OpenCL C
    .language_version:
      - 2
      - 0
    .max_flat_workgroup_size: 1024
    .name:           _ZN5aiter35fused_qk_rmsnorm_group_quant_kernelIDF16_N4opus5fp4_tELi256ELi16ELi2ELb1ELb1ELb0ELb1ELb0ELb0EEEvPT0_PvPT_S7_S7_PKS6_S9_S9_S9_S9_ffiiiiiiiiiiiii
    .private_segment_fixed_size: 0
    .sgpr_count:     36
    .sgpr_spill_count: 0
    .symbol:         _ZN5aiter35fused_qk_rmsnorm_group_quant_kernelIDF16_N4opus5fp4_tELi256ELi16ELi2ELb1ELb1ELb0ELb1ELb0ELb0EEEvPT0_PvPT_S7_S7_PKS6_S9_S9_S9_S9_ffiiiiiiiiiiiii.kd
    .uniform_work_group_size: 1
    .uses_dynamic_stack: false
    .vgpr_count:     49
    .vgpr_spill_count: 0
    .wavefront_size: 64
  - .agpr_count:     0
    .args:
      - .actual_access:  read_only
        .address_space:  global
        .offset:         0
        .size:           8
        .value_kind:     global_buffer
      - .actual_access:  read_only
        .address_space:  global
        .offset:         8
        .size:           8
        .value_kind:     global_buffer
      - .actual_access:  write_only
        .address_space:  global
        .offset:         16
        .size:           8
        .value_kind:     global_buffer
      - .actual_access:  write_only
        .address_space:  global
        .offset:         24
        .size:           8
        .value_kind:     global_buffer
      - .actual_access:  write_only
        .address_space:  global
        .offset:         32
        .size:           8
        .value_kind:     global_buffer
      - .actual_access:  read_only
        .address_space:  global
        .offset:         40
        .size:           8
        .value_kind:     global_buffer
      - .actual_access:  read_only
        .address_space:  global
        .offset:         48
        .size:           8
        .value_kind:     global_buffer
      - .actual_access:  read_only
        .address_space:  global
        .offset:         56
        .size:           8
        .value_kind:     global_buffer
      - .actual_access:  read_only
        .address_space:  global
        .offset:         64
        .size:           8
        .value_kind:     global_buffer
      - .actual_access:  read_only
        .address_space:  global
        .offset:         72
        .size:           8
        .value_kind:     global_buffer
      - .offset:         80
        .size:           4
        .value_kind:     by_value
      - .offset:         84
        .size:           4
        .value_kind:     by_value
      - .offset:         88
        .size:           4
        .value_kind:     by_value
      - .offset:         92
        .size:           4
        .value_kind:     by_value
      - .offset:         96
        .size:           4
        .value_kind:     by_value
      - .offset:         100
        .size:           4
        .value_kind:     by_value
      - .offset:         104
        .size:           4
        .value_kind:     by_value
      - .offset:         108
        .size:           4
        .value_kind:     by_value
      - .offset:         112
        .size:           4
        .value_kind:     by_value
      - .offset:         116
        .size:           4
        .value_kind:     by_value
      - .offset:         120
        .size:           4
        .value_kind:     by_value
      - .offset:         124
        .size:           4
        .value_kind:     by_value
      - .offset:         128
        .size:           4
        .value_kind:     by_value
      - .offset:         132
        .size:           4
        .value_kind:     by_value
      - .offset:         136
        .size:           4
        .value_kind:     by_value
      - .offset:         144
        .size:           4
        .value_kind:     hidden_block_count_x
      - .offset:         148
        .size:           4
        .value_kind:     hidden_block_count_y
      - .offset:         152
        .size:           4
        .value_kind:     hidden_block_count_z
      - .offset:         156
        .size:           2
        .value_kind:     hidden_group_size_x
      - .offset:         158
        .size:           2
        .value_kind:     hidden_group_size_y
      - .offset:         160
        .size:           2
        .value_kind:     hidden_group_size_z
      - .offset:         162
        .size:           2
        .value_kind:     hidden_remainder_x
      - .offset:         164
        .size:           2
        .value_kind:     hidden_remainder_y
      - .offset:         166
        .size:           2
        .value_kind:     hidden_remainder_z
      - .offset:         184
        .size:           8
        .value_kind:     hidden_global_offset_x
      - .offset:         192
        .size:           8
        .value_kind:     hidden_global_offset_y
      - .offset:         200
        .size:           8
        .value_kind:     hidden_global_offset_z
      - .offset:         208
        .size:           2
        .value_kind:     hidden_grid_dims
    .group_segment_fixed_size: 32
    .kernarg_segment_align: 8
    .kernarg_segment_size: 400
    .language:       OpenCL C
    .language_version:
      - 2
      - 0
    .max_flat_workgroup_size: 1024
    .name:           _ZN5aiter35fused_qk_rmsnorm_group_quant_kernelItN4opus5fp4_tELi256ELi16ELi2ELb1ELb1ELb0ELb1ELb0ELb0EEEvPT0_PvPT_S7_S7_PKS6_S9_S9_S9_S9_ffiiiiiiiiiiiii
    .private_segment_fixed_size: 0
    .sgpr_count:     36
    .sgpr_spill_count: 0
    .symbol:         _ZN5aiter35fused_qk_rmsnorm_group_quant_kernelItN4opus5fp4_tELi256ELi16ELi2ELb1ELb1ELb0ELb1ELb0ELb0EEEvPT0_PvPT_S7_S7_PKS6_S9_S9_S9_S9_ffiiiiiiiiiiiii.kd
    .uniform_work_group_size: 1
    .uses_dynamic_stack: false
    .vgpr_count:     90
    .vgpr_spill_count: 0
    .wavefront_size: 64
  - .agpr_count:     0
    .args:
      - .actual_access:  read_only
        .address_space:  global
        .offset:         0
        .size:           8
        .value_kind:     global_buffer
      - .actual_access:  read_only
        .address_space:  global
        .offset:         8
        .size:           8
        .value_kind:     global_buffer
      - .actual_access:  write_only
        .address_space:  global
        .offset:         16
        .size:           8
        .value_kind:     global_buffer
      - .actual_access:  write_only
        .address_space:  global
        .offset:         24
        .size:           8
        .value_kind:     global_buffer
      - .actual_access:  read_only
        .address_space:  global
        .offset:         32
        .size:           8
        .value_kind:     global_buffer
      - .actual_access:  read_only
        .address_space:  global
        .offset:         40
        .size:           8
        .value_kind:     global_buffer
      - .actual_access:  read_only
        .address_space:  global
        .offset:         48
        .size:           8
        .value_kind:     global_buffer
      - .actual_access:  read_only
        .address_space:  global
        .offset:         56
        .size:           8
        .value_kind:     global_buffer
      - .actual_access:  read_only
        .address_space:  global
        .offset:         64
        .size:           8
        .value_kind:     global_buffer
      - .actual_access:  read_only
        .address_space:  global
        .offset:         72
        .size:           8
        .value_kind:     global_buffer
      - .offset:         80
        .size:           4
        .value_kind:     by_value
      - .offset:         84
        .size:           4
        .value_kind:     by_value
      - .offset:         88
        .size:           4
        .value_kind:     by_value
      - .offset:         92
        .size:           4
        .value_kind:     by_value
      - .offset:         96
        .size:           4
        .value_kind:     by_value
      - .offset:         100
        .size:           4
        .value_kind:     by_value
      - .offset:         104
        .size:           4
        .value_kind:     by_value
      - .offset:         108
        .size:           4
        .value_kind:     by_value
      - .offset:         112
        .size:           4
        .value_kind:     by_value
      - .offset:         116
        .size:           4
        .value_kind:     by_value
      - .offset:         120
        .size:           4
        .value_kind:     by_value
      - .offset:         124
        .size:           4
        .value_kind:     by_value
      - .offset:         128
        .size:           4
        .value_kind:     by_value
      - .offset:         132
        .size:           4
        .value_kind:     by_value
      - .offset:         136
        .size:           4
        .value_kind:     by_value
      - .offset:         144
        .size:           4
        .value_kind:     hidden_block_count_x
      - .offset:         148
        .size:           4
        .value_kind:     hidden_block_count_y
      - .offset:         152
        .size:           4
        .value_kind:     hidden_block_count_z
      - .offset:         156
        .size:           2
        .value_kind:     hidden_group_size_x
      - .offset:         158
        .size:           2
        .value_kind:     hidden_group_size_y
      - .offset:         160
        .size:           2
        .value_kind:     hidden_group_size_z
      - .offset:         162
        .size:           2
        .value_kind:     hidden_remainder_x
      - .offset:         164
        .size:           2
        .value_kind:     hidden_remainder_y
      - .offset:         166
        .size:           2
        .value_kind:     hidden_remainder_z
      - .offset:         184
        .size:           8
        .value_kind:     hidden_global_offset_x
      - .offset:         192
        .size:           8
        .value_kind:     hidden_global_offset_y
      - .offset:         200
        .size:           8
        .value_kind:     hidden_global_offset_z
      - .offset:         208
        .size:           2
        .value_kind:     hidden_grid_dims
    .group_segment_fixed_size: 32
    .kernarg_segment_align: 8
    .kernarg_segment_size: 400
    .language:       OpenCL C
    .language_version:
      - 2
      - 0
    .max_flat_workgroup_size: 1024
    .name:           _ZN5aiter35fused_qk_rmsnorm_group_quant_kernelIDF16_DB8_Li256ELi16ELi2ELb0ELb1ELb1ELb1ELb0ELb0EEEvPT0_PvPT_S6_S6_PKS5_S8_S8_S8_S8_ffiiiiiiiiiiiii
    .private_segment_fixed_size: 0
    .sgpr_count:     36
    .sgpr_spill_count: 0
    .symbol:         _ZN5aiter35fused_qk_rmsnorm_group_quant_kernelIDF16_DB8_Li256ELi16ELi2ELb0ELb1ELb1ELb1ELb0ELb0EEEvPT0_PvPT_S6_S6_PKS5_S8_S8_S8_S8_ffiiiiiiiiiiiii.kd
    .uniform_work_group_size: 1
    .uses_dynamic_stack: false
    .vgpr_count:     35
    .vgpr_spill_count: 0
    .wavefront_size: 64
  - .agpr_count:     0
    .args:
      - .actual_access:  read_only
        .address_space:  global
        .offset:         0
        .size:           8
        .value_kind:     global_buffer
      - .actual_access:  read_only
        .address_space:  global
        .offset:         8
        .size:           8
        .value_kind:     global_buffer
      - .actual_access:  write_only
        .address_space:  global
        .offset:         16
        .size:           8
        .value_kind:     global_buffer
      - .actual_access:  write_only
        .address_space:  global
        .offset:         24
        .size:           8
        .value_kind:     global_buffer
      - .actual_access:  read_only
        .address_space:  global
        .offset:         32
        .size:           8
        .value_kind:     global_buffer
      - .actual_access:  read_only
        .address_space:  global
        .offset:         40
        .size:           8
        .value_kind:     global_buffer
      - .actual_access:  read_only
        .address_space:  global
        .offset:         48
        .size:           8
        .value_kind:     global_buffer
      - .actual_access:  read_only
        .address_space:  global
        .offset:         56
        .size:           8
        .value_kind:     global_buffer
      - .actual_access:  read_only
        .address_space:  global
        .offset:         64
        .size:           8
        .value_kind:     global_buffer
      - .actual_access:  read_only
        .address_space:  global
        .offset:         72
        .size:           8
        .value_kind:     global_buffer
      - .offset:         80
        .size:           4
        .value_kind:     by_value
      - .offset:         84
        .size:           4
        .value_kind:     by_value
      - .offset:         88
        .size:           4
        .value_kind:     by_value
      - .offset:         92
        .size:           4
        .value_kind:     by_value
      - .offset:         96
        .size:           4
        .value_kind:     by_value
      - .offset:         100
        .size:           4
        .value_kind:     by_value
      - .offset:         104
        .size:           4
        .value_kind:     by_value
      - .offset:         108
        .size:           4
        .value_kind:     by_value
      - .offset:         112
        .size:           4
        .value_kind:     by_value
      - .offset:         116
        .size:           4
        .value_kind:     by_value
      - .offset:         120
        .size:           4
        .value_kind:     by_value
      - .offset:         124
        .size:           4
        .value_kind:     by_value
      - .offset:         128
        .size:           4
        .value_kind:     by_value
      - .offset:         132
        .size:           4
        .value_kind:     by_value
      - .offset:         136
        .size:           4
        .value_kind:     by_value
      - .offset:         144
        .size:           4
        .value_kind:     hidden_block_count_x
      - .offset:         148
        .size:           4
        .value_kind:     hidden_block_count_y
      - .offset:         152
        .size:           4
        .value_kind:     hidden_block_count_z
      - .offset:         156
        .size:           2
        .value_kind:     hidden_group_size_x
      - .offset:         158
        .size:           2
        .value_kind:     hidden_group_size_y
      - .offset:         160
        .size:           2
        .value_kind:     hidden_group_size_z
      - .offset:         162
        .size:           2
        .value_kind:     hidden_remainder_x
      - .offset:         164
        .size:           2
        .value_kind:     hidden_remainder_y
      - .offset:         166
        .size:           2
        .value_kind:     hidden_remainder_z
      - .offset:         184
        .size:           8
        .value_kind:     hidden_global_offset_x
      - .offset:         192
        .size:           8
        .value_kind:     hidden_global_offset_y
      - .offset:         200
        .size:           8
        .value_kind:     hidden_global_offset_z
      - .offset:         208
        .size:           2
        .value_kind:     hidden_grid_dims
    .group_segment_fixed_size: 32
    .kernarg_segment_align: 8
    .kernarg_segment_size: 400
    .language:       OpenCL C
    .language_version:
      - 2
      - 0
    .max_flat_workgroup_size: 1024
    .name:           _ZN5aiter35fused_qk_rmsnorm_group_quant_kernelItDB8_Li256ELi16ELi2ELb0ELb1ELb1ELb1ELb0ELb0EEEvPT0_PvPT_S6_S6_PKS5_S8_S8_S8_S8_ffiiiiiiiiiiiii
    .private_segment_fixed_size: 0
    .sgpr_count:     36
    .sgpr_spill_count: 0
    .symbol:         _ZN5aiter35fused_qk_rmsnorm_group_quant_kernelItDB8_Li256ELi16ELi2ELb0ELb1ELb1ELb1ELb0ELb0EEEvPT0_PvPT_S6_S6_PKS5_S8_S8_S8_S8_ffiiiiiiiiiiiii.kd
    .uniform_work_group_size: 1
    .uses_dynamic_stack: false
    .vgpr_count:     35
    .vgpr_spill_count: 0
    .wavefront_size: 64
  - .agpr_count:     0
    .args:
      - .actual_access:  read_only
        .address_space:  global
        .offset:         0
        .size:           8
        .value_kind:     global_buffer
      - .actual_access:  read_only
        .address_space:  global
        .offset:         8
        .size:           8
        .value_kind:     global_buffer
      - .actual_access:  write_only
        .address_space:  global
        .offset:         16
        .size:           8
        .value_kind:     global_buffer
      - .actual_access:  write_only
        .address_space:  global
        .offset:         24
        .size:           8
        .value_kind:     global_buffer
      - .actual_access:  read_only
        .address_space:  global
        .offset:         32
        .size:           8
        .value_kind:     global_buffer
      - .actual_access:  read_only
        .address_space:  global
        .offset:         40
        .size:           8
        .value_kind:     global_buffer
      - .actual_access:  read_only
        .address_space:  global
        .offset:         48
        .size:           8
        .value_kind:     global_buffer
      - .actual_access:  read_only
        .address_space:  global
        .offset:         56
        .size:           8
        .value_kind:     global_buffer
      - .actual_access:  read_only
        .address_space:  global
        .offset:         64
        .size:           8
        .value_kind:     global_buffer
      - .actual_access:  read_only
        .address_space:  global
        .offset:         72
        .size:           8
        .value_kind:     global_buffer
      - .offset:         80
        .size:           4
        .value_kind:     by_value
      - .offset:         84
        .size:           4
        .value_kind:     by_value
      - .offset:         88
        .size:           4
        .value_kind:     by_value
      - .offset:         92
        .size:           4
        .value_kind:     by_value
      - .offset:         96
        .size:           4
        .value_kind:     by_value
      - .offset:         100
        .size:           4
        .value_kind:     by_value
      - .offset:         104
        .size:           4
        .value_kind:     by_value
      - .offset:         108
        .size:           4
        .value_kind:     by_value
      - .offset:         112
        .size:           4
        .value_kind:     by_value
      - .offset:         116
        .size:           4
        .value_kind:     by_value
      - .offset:         120
        .size:           4
        .value_kind:     by_value
      - .offset:         124
        .size:           4
        .value_kind:     by_value
      - .offset:         128
        .size:           4
        .value_kind:     by_value
      - .offset:         132
        .size:           4
        .value_kind:     by_value
      - .offset:         136
        .size:           4
        .value_kind:     by_value
      - .offset:         144
        .size:           4
        .value_kind:     hidden_block_count_x
      - .offset:         148
        .size:           4
        .value_kind:     hidden_block_count_y
      - .offset:         152
        .size:           4
        .value_kind:     hidden_block_count_z
      - .offset:         156
        .size:           2
        .value_kind:     hidden_group_size_x
      - .offset:         158
        .size:           2
        .value_kind:     hidden_group_size_y
      - .offset:         160
        .size:           2
        .value_kind:     hidden_group_size_z
      - .offset:         162
        .size:           2
        .value_kind:     hidden_remainder_x
      - .offset:         164
        .size:           2
        .value_kind:     hidden_remainder_y
      - .offset:         166
        .size:           2
        .value_kind:     hidden_remainder_z
      - .offset:         184
        .size:           8
        .value_kind:     hidden_global_offset_x
      - .offset:         192
        .size:           8
        .value_kind:     hidden_global_offset_y
      - .offset:         200
        .size:           8
        .value_kind:     hidden_global_offset_z
      - .offset:         208
        .size:           2
        .value_kind:     hidden_grid_dims
    .group_segment_fixed_size: 32
    .kernarg_segment_align: 8
    .kernarg_segment_size: 400
    .language:       OpenCL C
    .language_version:
      - 2
      - 0
    .max_flat_workgroup_size: 1024
    .name:           _ZN5aiter35fused_qk_rmsnorm_group_quant_kernelIDF16_N4opus5fp4_tELi256ELi16ELi2ELb0ELb1ELb1ELb1ELb0ELb0EEEvPT0_PvPT_S7_S7_PKS6_S9_S9_S9_S9_ffiiiiiiiiiiiii
    .private_segment_fixed_size: 0
    .sgpr_count:     36
    .sgpr_spill_count: 0
    .symbol:         _ZN5aiter35fused_qk_rmsnorm_group_quant_kernelIDF16_N4opus5fp4_tELi256ELi16ELi2ELb0ELb1ELb1ELb1ELb0ELb0EEEvPT0_PvPT_S7_S7_PKS6_S9_S9_S9_S9_ffiiiiiiiiiiiii.kd
    .uniform_work_group_size: 1
    .uses_dynamic_stack: false
    .vgpr_count:     35
    .vgpr_spill_count: 0
    .wavefront_size: 64
  - .agpr_count:     0
    .args:
      - .actual_access:  read_only
        .address_space:  global
        .offset:         0
        .size:           8
        .value_kind:     global_buffer
      - .actual_access:  read_only
        .address_space:  global
        .offset:         8
        .size:           8
        .value_kind:     global_buffer
      - .actual_access:  write_only
        .address_space:  global
        .offset:         16
        .size:           8
        .value_kind:     global_buffer
      - .actual_access:  write_only
        .address_space:  global
        .offset:         24
        .size:           8
        .value_kind:     global_buffer
      - .actual_access:  read_only
        .address_space:  global
        .offset:         32
        .size:           8
        .value_kind:     global_buffer
      - .actual_access:  read_only
        .address_space:  global
        .offset:         40
        .size:           8
        .value_kind:     global_buffer
      - .actual_access:  read_only
        .address_space:  global
        .offset:         48
        .size:           8
        .value_kind:     global_buffer
      - .actual_access:  read_only
        .address_space:  global
        .offset:         56
        .size:           8
        .value_kind:     global_buffer
      - .actual_access:  read_only
        .address_space:  global
        .offset:         64
        .size:           8
        .value_kind:     global_buffer
      - .actual_access:  read_only
        .address_space:  global
        .offset:         72
        .size:           8
        .value_kind:     global_buffer
      - .offset:         80
        .size:           4
        .value_kind:     by_value
      - .offset:         84
        .size:           4
        .value_kind:     by_value
      - .offset:         88
        .size:           4
        .value_kind:     by_value
      - .offset:         92
        .size:           4
        .value_kind:     by_value
      - .offset:         96
        .size:           4
        .value_kind:     by_value
      - .offset:         100
        .size:           4
        .value_kind:     by_value
      - .offset:         104
        .size:           4
        .value_kind:     by_value
      - .offset:         108
        .size:           4
        .value_kind:     by_value
      - .offset:         112
        .size:           4
        .value_kind:     by_value
      - .offset:         116
        .size:           4
        .value_kind:     by_value
      - .offset:         120
        .size:           4
        .value_kind:     by_value
      - .offset:         124
        .size:           4
        .value_kind:     by_value
      - .offset:         128
        .size:           4
        .value_kind:     by_value
      - .offset:         132
        .size:           4
        .value_kind:     by_value
      - .offset:         136
        .size:           4
        .value_kind:     by_value
      - .offset:         144
        .size:           4
        .value_kind:     hidden_block_count_x
      - .offset:         148
        .size:           4
        .value_kind:     hidden_block_count_y
      - .offset:         152
        .size:           4
        .value_kind:     hidden_block_count_z
      - .offset:         156
        .size:           2
        .value_kind:     hidden_group_size_x
      - .offset:         158
        .size:           2
        .value_kind:     hidden_group_size_y
      - .offset:         160
        .size:           2
        .value_kind:     hidden_group_size_z
      - .offset:         162
        .size:           2
        .value_kind:     hidden_remainder_x
      - .offset:         164
        .size:           2
        .value_kind:     hidden_remainder_y
      - .offset:         166
        .size:           2
        .value_kind:     hidden_remainder_z
      - .offset:         184
        .size:           8
        .value_kind:     hidden_global_offset_x
      - .offset:         192
        .size:           8
        .value_kind:     hidden_global_offset_y
      - .offset:         200
        .size:           8
        .value_kind:     hidden_global_offset_z
      - .offset:         208
        .size:           2
        .value_kind:     hidden_grid_dims
    .group_segment_fixed_size: 32
    .kernarg_segment_align: 8
    .kernarg_segment_size: 400
    .language:       OpenCL C
    .language_version:
      - 2
      - 0
    .max_flat_workgroup_size: 1024
    .name:           _ZN5aiter35fused_qk_rmsnorm_group_quant_kernelItN4opus5fp4_tELi256ELi16ELi2ELb0ELb1ELb1ELb1ELb0ELb0EEEvPT0_PvPT_S7_S7_PKS6_S9_S9_S9_S9_ffiiiiiiiiiiiii
    .private_segment_fixed_size: 0
    .sgpr_count:     36
    .sgpr_spill_count: 0
    .symbol:         _ZN5aiter35fused_qk_rmsnorm_group_quant_kernelItN4opus5fp4_tELi256ELi16ELi2ELb0ELb1ELb1ELb1ELb0ELb0EEEvPT0_PvPT_S7_S7_PKS6_S9_S9_S9_S9_ffiiiiiiiiiiiii.kd
    .uniform_work_group_size: 1
    .uses_dynamic_stack: false
    .vgpr_count:     35
    .vgpr_spill_count: 0
    .wavefront_size: 64
  - .agpr_count:     0
    .args:
      - .actual_access:  read_only
        .address_space:  global
        .offset:         0
        .size:           8
        .value_kind:     global_buffer
      - .actual_access:  read_only
        .address_space:  global
        .offset:         8
        .size:           8
        .value_kind:     global_buffer
      - .actual_access:  write_only
        .address_space:  global
        .offset:         16
        .size:           8
        .value_kind:     global_buffer
      - .actual_access:  write_only
        .address_space:  global
        .offset:         24
        .size:           8
        .value_kind:     global_buffer
      - .actual_access:  read_only
        .address_space:  global
        .offset:         32
        .size:           8
        .value_kind:     global_buffer
      - .actual_access:  read_only
        .address_space:  global
        .offset:         40
        .size:           8
        .value_kind:     global_buffer
      - .actual_access:  read_only
        .address_space:  global
        .offset:         48
        .size:           8
        .value_kind:     global_buffer
      - .actual_access:  read_only
        .address_space:  global
        .offset:         56
        .size:           8
        .value_kind:     global_buffer
      - .actual_access:  read_only
        .address_space:  global
        .offset:         64
        .size:           8
        .value_kind:     global_buffer
      - .actual_access:  read_only
        .address_space:  global
        .offset:         72
        .size:           8
        .value_kind:     global_buffer
      - .offset:         80
        .size:           4
        .value_kind:     by_value
      - .offset:         84
        .size:           4
        .value_kind:     by_value
      - .offset:         88
        .size:           4
        .value_kind:     by_value
      - .offset:         92
        .size:           4
        .value_kind:     by_value
      - .offset:         96
        .size:           4
        .value_kind:     by_value
      - .offset:         100
        .size:           4
        .value_kind:     by_value
      - .offset:         104
        .size:           4
        .value_kind:     by_value
      - .offset:         108
        .size:           4
        .value_kind:     by_value
      - .offset:         112
        .size:           4
        .value_kind:     by_value
      - .offset:         116
        .size:           4
        .value_kind:     by_value
      - .offset:         120
        .size:           4
        .value_kind:     by_value
      - .offset:         124
        .size:           4
        .value_kind:     by_value
      - .offset:         128
        .size:           4
        .value_kind:     by_value
      - .offset:         132
        .size:           4
        .value_kind:     by_value
      - .offset:         136
        .size:           4
        .value_kind:     by_value
      - .offset:         144
        .size:           4
        .value_kind:     hidden_block_count_x
      - .offset:         148
        .size:           4
        .value_kind:     hidden_block_count_y
      - .offset:         152
        .size:           4
        .value_kind:     hidden_block_count_z
      - .offset:         156
        .size:           2
        .value_kind:     hidden_group_size_x
      - .offset:         158
        .size:           2
        .value_kind:     hidden_group_size_y
      - .offset:         160
        .size:           2
        .value_kind:     hidden_group_size_z
      - .offset:         162
        .size:           2
        .value_kind:     hidden_remainder_x
      - .offset:         164
        .size:           2
        .value_kind:     hidden_remainder_y
      - .offset:         166
        .size:           2
        .value_kind:     hidden_remainder_z
      - .offset:         184
        .size:           8
        .value_kind:     hidden_global_offset_x
      - .offset:         192
        .size:           8
        .value_kind:     hidden_global_offset_y
      - .offset:         200
        .size:           8
        .value_kind:     hidden_global_offset_z
      - .offset:         208
        .size:           2
        .value_kind:     hidden_grid_dims
    .group_segment_fixed_size: 32
    .kernarg_segment_align: 8
    .kernarg_segment_size: 400
    .language:       OpenCL C
    .language_version:
      - 2
      - 0
    .max_flat_workgroup_size: 1024
    .name:           _ZN5aiter35fused_qk_rmsnorm_group_quant_kernelIDF16_DB8_Li256ELi16ELi2ELb0ELb1ELb0ELb1ELb0ELb0EEEvPT0_PvPT_S6_S6_PKS5_S8_S8_S8_S8_ffiiiiiiiiiiiii
    .private_segment_fixed_size: 0
    .sgpr_count:     36
    .sgpr_spill_count: 0
    .symbol:         _ZN5aiter35fused_qk_rmsnorm_group_quant_kernelIDF16_DB8_Li256ELi16ELi2ELb0ELb1ELb0ELb1ELb0ELb0EEEvPT0_PvPT_S6_S6_PKS5_S8_S8_S8_S8_ffiiiiiiiiiiiii.kd
    .uniform_work_group_size: 1
    .uses_dynamic_stack: false
    .vgpr_count:     35
    .vgpr_spill_count: 0
    .wavefront_size: 64
  - .agpr_count:     0
    .args:
      - .actual_access:  read_only
        .address_space:  global
        .offset:         0
        .size:           8
        .value_kind:     global_buffer
      - .actual_access:  read_only
        .address_space:  global
        .offset:         8
        .size:           8
        .value_kind:     global_buffer
      - .actual_access:  write_only
        .address_space:  global
        .offset:         16
        .size:           8
        .value_kind:     global_buffer
      - .actual_access:  write_only
        .address_space:  global
        .offset:         24
        .size:           8
        .value_kind:     global_buffer
      - .actual_access:  read_only
        .address_space:  global
        .offset:         32
        .size:           8
        .value_kind:     global_buffer
      - .actual_access:  read_only
        .address_space:  global
        .offset:         40
        .size:           8
        .value_kind:     global_buffer
      - .actual_access:  read_only
        .address_space:  global
        .offset:         48
        .size:           8
        .value_kind:     global_buffer
      - .actual_access:  read_only
        .address_space:  global
        .offset:         56
        .size:           8
        .value_kind:     global_buffer
      - .actual_access:  read_only
        .address_space:  global
        .offset:         64
        .size:           8
        .value_kind:     global_buffer
      - .actual_access:  read_only
        .address_space:  global
        .offset:         72
        .size:           8
        .value_kind:     global_buffer
      - .offset:         80
        .size:           4
        .value_kind:     by_value
      - .offset:         84
        .size:           4
        .value_kind:     by_value
      - .offset:         88
        .size:           4
        .value_kind:     by_value
      - .offset:         92
        .size:           4
        .value_kind:     by_value
      - .offset:         96
        .size:           4
        .value_kind:     by_value
      - .offset:         100
        .size:           4
        .value_kind:     by_value
      - .offset:         104
        .size:           4
        .value_kind:     by_value
      - .offset:         108
        .size:           4
        .value_kind:     by_value
      - .offset:         112
        .size:           4
        .value_kind:     by_value
      - .offset:         116
        .size:           4
        .value_kind:     by_value
      - .offset:         120
        .size:           4
        .value_kind:     by_value
      - .offset:         124
        .size:           4
        .value_kind:     by_value
      - .offset:         128
        .size:           4
        .value_kind:     by_value
      - .offset:         132
        .size:           4
        .value_kind:     by_value
      - .offset:         136
        .size:           4
        .value_kind:     by_value
      - .offset:         144
        .size:           4
        .value_kind:     hidden_block_count_x
      - .offset:         148
        .size:           4
        .value_kind:     hidden_block_count_y
      - .offset:         152
        .size:           4
        .value_kind:     hidden_block_count_z
      - .offset:         156
        .size:           2
        .value_kind:     hidden_group_size_x
      - .offset:         158
        .size:           2
        .value_kind:     hidden_group_size_y
      - .offset:         160
        .size:           2
        .value_kind:     hidden_group_size_z
      - .offset:         162
        .size:           2
        .value_kind:     hidden_remainder_x
      - .offset:         164
        .size:           2
        .value_kind:     hidden_remainder_y
      - .offset:         166
        .size:           2
        .value_kind:     hidden_remainder_z
      - .offset:         184
        .size:           8
        .value_kind:     hidden_global_offset_x
      - .offset:         192
        .size:           8
        .value_kind:     hidden_global_offset_y
      - .offset:         200
        .size:           8
        .value_kind:     hidden_global_offset_z
      - .offset:         208
        .size:           2
        .value_kind:     hidden_grid_dims
    .group_segment_fixed_size: 32
    .kernarg_segment_align: 8
    .kernarg_segment_size: 400
    .language:       OpenCL C
    .language_version:
      - 2
      - 0
    .max_flat_workgroup_size: 1024
    .name:           _ZN5aiter35fused_qk_rmsnorm_group_quant_kernelItDB8_Li256ELi16ELi2ELb0ELb1ELb0ELb1ELb0ELb0EEEvPT0_PvPT_S6_S6_PKS5_S8_S8_S8_S8_ffiiiiiiiiiiiii
    .private_segment_fixed_size: 0
    .sgpr_count:     36
    .sgpr_spill_count: 0
    .symbol:         _ZN5aiter35fused_qk_rmsnorm_group_quant_kernelItDB8_Li256ELi16ELi2ELb0ELb1ELb0ELb1ELb0ELb0EEEvPT0_PvPT_S6_S6_PKS5_S8_S8_S8_S8_ffiiiiiiiiiiiii.kd
    .uniform_work_group_size: 1
    .uses_dynamic_stack: false
    .vgpr_count:     35
    .vgpr_spill_count: 0
    .wavefront_size: 64
  - .agpr_count:     0
    .args:
      - .actual_access:  read_only
        .address_space:  global
        .offset:         0
        .size:           8
        .value_kind:     global_buffer
      - .actual_access:  read_only
        .address_space:  global
        .offset:         8
        .size:           8
        .value_kind:     global_buffer
      - .actual_access:  write_only
        .address_space:  global
        .offset:         16
        .size:           8
        .value_kind:     global_buffer
      - .actual_access:  write_only
        .address_space:  global
        .offset:         24
        .size:           8
        .value_kind:     global_buffer
      - .actual_access:  read_only
        .address_space:  global
        .offset:         32
        .size:           8
        .value_kind:     global_buffer
      - .actual_access:  read_only
        .address_space:  global
        .offset:         40
        .size:           8
        .value_kind:     global_buffer
      - .actual_access:  read_only
        .address_space:  global
        .offset:         48
        .size:           8
        .value_kind:     global_buffer
      - .actual_access:  read_only
        .address_space:  global
        .offset:         56
        .size:           8
        .value_kind:     global_buffer
      - .actual_access:  read_only
        .address_space:  global
        .offset:         64
        .size:           8
        .value_kind:     global_buffer
      - .actual_access:  read_only
        .address_space:  global
        .offset:         72
        .size:           8
        .value_kind:     global_buffer
      - .offset:         80
        .size:           4
        .value_kind:     by_value
      - .offset:         84
        .size:           4
        .value_kind:     by_value
      - .offset:         88
        .size:           4
        .value_kind:     by_value
      - .offset:         92
        .size:           4
        .value_kind:     by_value
      - .offset:         96
        .size:           4
        .value_kind:     by_value
      - .offset:         100
        .size:           4
        .value_kind:     by_value
      - .offset:         104
        .size:           4
        .value_kind:     by_value
      - .offset:         108
        .size:           4
        .value_kind:     by_value
      - .offset:         112
        .size:           4
        .value_kind:     by_value
      - .offset:         116
        .size:           4
        .value_kind:     by_value
      - .offset:         120
        .size:           4
        .value_kind:     by_value
      - .offset:         124
        .size:           4
        .value_kind:     by_value
      - .offset:         128
        .size:           4
        .value_kind:     by_value
      - .offset:         132
        .size:           4
        .value_kind:     by_value
      - .offset:         136
        .size:           4
        .value_kind:     by_value
      - .offset:         144
        .size:           4
        .value_kind:     hidden_block_count_x
      - .offset:         148
        .size:           4
        .value_kind:     hidden_block_count_y
      - .offset:         152
        .size:           4
        .value_kind:     hidden_block_count_z
      - .offset:         156
        .size:           2
        .value_kind:     hidden_group_size_x
      - .offset:         158
        .size:           2
        .value_kind:     hidden_group_size_y
      - .offset:         160
        .size:           2
        .value_kind:     hidden_group_size_z
      - .offset:         162
        .size:           2
        .value_kind:     hidden_remainder_x
      - .offset:         164
        .size:           2
        .value_kind:     hidden_remainder_y
      - .offset:         166
        .size:           2
        .value_kind:     hidden_remainder_z
      - .offset:         184
        .size:           8
        .value_kind:     hidden_global_offset_x
      - .offset:         192
        .size:           8
        .value_kind:     hidden_global_offset_y
      - .offset:         200
        .size:           8
        .value_kind:     hidden_global_offset_z
      - .offset:         208
        .size:           2
        .value_kind:     hidden_grid_dims
    .group_segment_fixed_size: 32
    .kernarg_segment_align: 8
    .kernarg_segment_size: 400
    .language:       OpenCL C
    .language_version:
      - 2
      - 0
    .max_flat_workgroup_size: 1024
    .name:           _ZN5aiter35fused_qk_rmsnorm_group_quant_kernelIDF16_N4opus5fp4_tELi256ELi16ELi2ELb0ELb1ELb0ELb1ELb0ELb0EEEvPT0_PvPT_S7_S7_PKS6_S9_S9_S9_S9_ffiiiiiiiiiiiii
    .private_segment_fixed_size: 0
    .sgpr_count:     36
    .sgpr_spill_count: 0
    .symbol:         _ZN5aiter35fused_qk_rmsnorm_group_quant_kernelIDF16_N4opus5fp4_tELi256ELi16ELi2ELb0ELb1ELb0ELb1ELb0ELb0EEEvPT0_PvPT_S7_S7_PKS6_S9_S9_S9_S9_ffiiiiiiiiiiiii.kd
    .uniform_work_group_size: 1
    .uses_dynamic_stack: false
    .vgpr_count:     35
    .vgpr_spill_count: 0
    .wavefront_size: 64
  - .agpr_count:     0
    .args:
      - .actual_access:  read_only
        .address_space:  global
        .offset:         0
        .size:           8
        .value_kind:     global_buffer
      - .actual_access:  read_only
        .address_space:  global
        .offset:         8
        .size:           8
        .value_kind:     global_buffer
      - .actual_access:  write_only
        .address_space:  global
        .offset:         16
        .size:           8
        .value_kind:     global_buffer
      - .actual_access:  write_only
        .address_space:  global
        .offset:         24
        .size:           8
        .value_kind:     global_buffer
      - .actual_access:  read_only
        .address_space:  global
        .offset:         32
        .size:           8
        .value_kind:     global_buffer
      - .actual_access:  read_only
        .address_space:  global
        .offset:         40
        .size:           8
        .value_kind:     global_buffer
      - .actual_access:  read_only
        .address_space:  global
        .offset:         48
        .size:           8
        .value_kind:     global_buffer
      - .actual_access:  read_only
        .address_space:  global
        .offset:         56
        .size:           8
        .value_kind:     global_buffer
      - .actual_access:  read_only
        .address_space:  global
        .offset:         64
        .size:           8
        .value_kind:     global_buffer
      - .actual_access:  read_only
        .address_space:  global
        .offset:         72
        .size:           8
        .value_kind:     global_buffer
      - .offset:         80
        .size:           4
        .value_kind:     by_value
      - .offset:         84
        .size:           4
        .value_kind:     by_value
      - .offset:         88
        .size:           4
        .value_kind:     by_value
      - .offset:         92
        .size:           4
        .value_kind:     by_value
      - .offset:         96
        .size:           4
        .value_kind:     by_value
      - .offset:         100
        .size:           4
        .value_kind:     by_value
      - .offset:         104
        .size:           4
        .value_kind:     by_value
      - .offset:         108
        .size:           4
        .value_kind:     by_value
      - .offset:         112
        .size:           4
        .value_kind:     by_value
      - .offset:         116
        .size:           4
        .value_kind:     by_value
      - .offset:         120
        .size:           4
        .value_kind:     by_value
      - .offset:         124
        .size:           4
        .value_kind:     by_value
      - .offset:         128
        .size:           4
        .value_kind:     by_value
      - .offset:         132
        .size:           4
        .value_kind:     by_value
      - .offset:         136
        .size:           4
        .value_kind:     by_value
      - .offset:         144
        .size:           4
        .value_kind:     hidden_block_count_x
      - .offset:         148
        .size:           4
        .value_kind:     hidden_block_count_y
      - .offset:         152
        .size:           4
        .value_kind:     hidden_block_count_z
      - .offset:         156
        .size:           2
        .value_kind:     hidden_group_size_x
      - .offset:         158
        .size:           2
        .value_kind:     hidden_group_size_y
      - .offset:         160
        .size:           2
        .value_kind:     hidden_group_size_z
      - .offset:         162
        .size:           2
        .value_kind:     hidden_remainder_x
      - .offset:         164
        .size:           2
        .value_kind:     hidden_remainder_y
      - .offset:         166
        .size:           2
        .value_kind:     hidden_remainder_z
      - .offset:         184
        .size:           8
        .value_kind:     hidden_global_offset_x
      - .offset:         192
        .size:           8
        .value_kind:     hidden_global_offset_y
      - .offset:         200
        .size:           8
        .value_kind:     hidden_global_offset_z
      - .offset:         208
        .size:           2
        .value_kind:     hidden_grid_dims
    .group_segment_fixed_size: 32
    .kernarg_segment_align: 8
    .kernarg_segment_size: 400
    .language:       OpenCL C
    .language_version:
      - 2
      - 0
    .max_flat_workgroup_size: 1024
    .name:           _ZN5aiter35fused_qk_rmsnorm_group_quant_kernelItN4opus5fp4_tELi256ELi16ELi2ELb0ELb1ELb0ELb1ELb0ELb0EEEvPT0_PvPT_S7_S7_PKS6_S9_S9_S9_S9_ffiiiiiiiiiiiii
    .private_segment_fixed_size: 0
    .sgpr_count:     36
    .sgpr_spill_count: 0
    .symbol:         _ZN5aiter35fused_qk_rmsnorm_group_quant_kernelItN4opus5fp4_tELi256ELi16ELi2ELb0ELb1ELb0ELb1ELb0ELb0EEEvPT0_PvPT_S7_S7_PKS6_S9_S9_S9_S9_ffiiiiiiiiiiiii.kd
    .uniform_work_group_size: 1
    .uses_dynamic_stack: false
    .vgpr_count:     35
    .vgpr_spill_count: 0
    .wavefront_size: 64
  - .agpr_count:     0
    .args:
      - .actual_access:  write_only
        .address_space:  global
        .offset:         0
        .size:           8
        .value_kind:     global_buffer
      - .actual_access:  write_only
        .address_space:  global
        .offset:         8
        .size:           8
        .value_kind:     global_buffer
      - .actual_access:  write_only
        .address_space:  global
        .offset:         16
        .size:           8
        .value_kind:     global_buffer
      - .actual_access:  write_only
        .address_space:  global
        .offset:         24
        .size:           8
        .value_kind:     global_buffer
      - .actual_access:  write_only
        .address_space:  global
        .offset:         32
        .size:           8
        .value_kind:     global_buffer
      - .actual_access:  read_only
        .address_space:  global
        .offset:         40
        .size:           8
        .value_kind:     global_buffer
      - .actual_access:  read_only
        .address_space:  global
        .offset:         48
        .size:           8
        .value_kind:     global_buffer
      - .actual_access:  read_only
        .address_space:  global
        .offset:         56
        .size:           8
        .value_kind:     global_buffer
      - .actual_access:  read_only
        .address_space:  global
        .offset:         64
        .size:           8
        .value_kind:     global_buffer
      - .actual_access:  read_only
        .address_space:  global
        .offset:         72
        .size:           8
        .value_kind:     global_buffer
      - .offset:         80
        .size:           4
        .value_kind:     by_value
      - .offset:         84
        .size:           4
        .value_kind:     by_value
      - .offset:         88
        .size:           4
        .value_kind:     by_value
      - .offset:         92
        .size:           4
        .value_kind:     by_value
      - .offset:         96
        .size:           4
        .value_kind:     by_value
      - .offset:         100
        .size:           4
        .value_kind:     by_value
      - .offset:         104
        .size:           4
        .value_kind:     by_value
      - .offset:         108
        .size:           4
        .value_kind:     by_value
      - .offset:         112
        .size:           4
        .value_kind:     by_value
      - .offset:         116
        .size:           4
        .value_kind:     by_value
      - .offset:         120
        .size:           4
        .value_kind:     by_value
      - .offset:         124
        .size:           4
        .value_kind:     by_value
      - .offset:         128
        .size:           4
        .value_kind:     by_value
      - .offset:         132
        .size:           4
        .value_kind:     by_value
      - .offset:         136
        .size:           4
        .value_kind:     by_value
      - .offset:         144
        .size:           4
        .value_kind:     hidden_block_count_x
      - .offset:         148
        .size:           4
        .value_kind:     hidden_block_count_y
      - .offset:         152
        .size:           4
        .value_kind:     hidden_block_count_z
      - .offset:         156
        .size:           2
        .value_kind:     hidden_group_size_x
      - .offset:         158
        .size:           2
        .value_kind:     hidden_group_size_y
      - .offset:         160
        .size:           2
        .value_kind:     hidden_group_size_z
      - .offset:         162
        .size:           2
        .value_kind:     hidden_remainder_x
      - .offset:         164
        .size:           2
        .value_kind:     hidden_remainder_y
      - .offset:         166
        .size:           2
        .value_kind:     hidden_remainder_z
      - .offset:         184
        .size:           8
        .value_kind:     hidden_global_offset_x
      - .offset:         192
        .size:           8
        .value_kind:     hidden_global_offset_y
      - .offset:         200
        .size:           8
        .value_kind:     hidden_global_offset_z
      - .offset:         208
        .size:           2
        .value_kind:     hidden_grid_dims
    .group_segment_fixed_size: 32
    .kernarg_segment_align: 8
    .kernarg_segment_size: 400
    .language:       OpenCL C
    .language_version:
      - 2
      - 0
    .max_flat_workgroup_size: 1024
    .name:           _ZN5aiter35fused_qk_rmsnorm_group_quant_kernelIDF16_DB8_Li256ELi16ELi2ELb1ELb1ELb1ELb0ELb0ELb0EEEvPT0_PvPT_S6_S6_PKS5_S8_S8_S8_S8_ffiiiiiiiiiiiii
    .private_segment_fixed_size: 0
    .sgpr_count:     48
    .sgpr_spill_count: 0
    .symbol:         _ZN5aiter35fused_qk_rmsnorm_group_quant_kernelIDF16_DB8_Li256ELi16ELi2ELb1ELb1ELb1ELb0ELb0ELb0EEEvPT0_PvPT_S6_S6_PKS5_S8_S8_S8_S8_ffiiiiiiiiiiiii.kd
    .uniform_work_group_size: 1
    .uses_dynamic_stack: false
    .vgpr_count:     90
    .vgpr_spill_count: 0
    .wavefront_size: 64
  - .agpr_count:     0
    .args:
      - .actual_access:  write_only
        .address_space:  global
        .offset:         0
        .size:           8
        .value_kind:     global_buffer
      - .actual_access:  write_only
        .address_space:  global
        .offset:         8
        .size:           8
        .value_kind:     global_buffer
      - .actual_access:  write_only
        .address_space:  global
        .offset:         16
        .size:           8
        .value_kind:     global_buffer
      - .actual_access:  write_only
        .address_space:  global
        .offset:         24
        .size:           8
        .value_kind:     global_buffer
      - .actual_access:  write_only
        .address_space:  global
        .offset:         32
        .size:           8
        .value_kind:     global_buffer
      - .actual_access:  read_only
        .address_space:  global
        .offset:         40
        .size:           8
        .value_kind:     global_buffer
      - .actual_access:  read_only
        .address_space:  global
        .offset:         48
        .size:           8
        .value_kind:     global_buffer
      - .actual_access:  read_only
        .address_space:  global
        .offset:         56
        .size:           8
        .value_kind:     global_buffer
      - .actual_access:  read_only
        .address_space:  global
        .offset:         64
        .size:           8
        .value_kind:     global_buffer
      - .actual_access:  read_only
        .address_space:  global
        .offset:         72
        .size:           8
        .value_kind:     global_buffer
      - .offset:         80
        .size:           4
        .value_kind:     by_value
      - .offset:         84
        .size:           4
        .value_kind:     by_value
      - .offset:         88
        .size:           4
        .value_kind:     by_value
      - .offset:         92
        .size:           4
        .value_kind:     by_value
      - .offset:         96
        .size:           4
        .value_kind:     by_value
      - .offset:         100
        .size:           4
        .value_kind:     by_value
      - .offset:         104
        .size:           4
        .value_kind:     by_value
      - .offset:         108
        .size:           4
        .value_kind:     by_value
      - .offset:         112
        .size:           4
        .value_kind:     by_value
      - .offset:         116
        .size:           4
        .value_kind:     by_value
      - .offset:         120
        .size:           4
        .value_kind:     by_value
      - .offset:         124
        .size:           4
        .value_kind:     by_value
      - .offset:         128
        .size:           4
        .value_kind:     by_value
      - .offset:         132
        .size:           4
        .value_kind:     by_value
      - .offset:         136
        .size:           4
        .value_kind:     by_value
      - .offset:         144
        .size:           4
        .value_kind:     hidden_block_count_x
      - .offset:         148
        .size:           4
        .value_kind:     hidden_block_count_y
      - .offset:         152
        .size:           4
        .value_kind:     hidden_block_count_z
      - .offset:         156
        .size:           2
        .value_kind:     hidden_group_size_x
      - .offset:         158
        .size:           2
        .value_kind:     hidden_group_size_y
      - .offset:         160
        .size:           2
        .value_kind:     hidden_group_size_z
      - .offset:         162
        .size:           2
        .value_kind:     hidden_remainder_x
      - .offset:         164
        .size:           2
        .value_kind:     hidden_remainder_y
      - .offset:         166
        .size:           2
        .value_kind:     hidden_remainder_z
      - .offset:         184
        .size:           8
        .value_kind:     hidden_global_offset_x
      - .offset:         192
        .size:           8
        .value_kind:     hidden_global_offset_y
      - .offset:         200
        .size:           8
        .value_kind:     hidden_global_offset_z
      - .offset:         208
        .size:           2
        .value_kind:     hidden_grid_dims
    .group_segment_fixed_size: 32
    .kernarg_segment_align: 8
    .kernarg_segment_size: 400
    .language:       OpenCL C
    .language_version:
      - 2
      - 0
    .max_flat_workgroup_size: 1024
    .name:           _ZN5aiter35fused_qk_rmsnorm_group_quant_kernelItDB8_Li256ELi16ELi2ELb1ELb1ELb1ELb0ELb0ELb0EEEvPT0_PvPT_S6_S6_PKS5_S8_S8_S8_S8_ffiiiiiiiiiiiii
    .private_segment_fixed_size: 0
    .sgpr_count:     48
    .sgpr_spill_count: 0
    .symbol:         _ZN5aiter35fused_qk_rmsnorm_group_quant_kernelItDB8_Li256ELi16ELi2ELb1ELb1ELb1ELb0ELb0ELb0EEEvPT0_PvPT_S6_S6_PKS5_S8_S8_S8_S8_ffiiiiiiiiiiiii.kd
    .uniform_work_group_size: 1
    .uses_dynamic_stack: false
    .vgpr_count:     88
    .vgpr_spill_count: 0
    .wavefront_size: 64
  - .agpr_count:     0
    .args:
      - .actual_access:  write_only
        .address_space:  global
        .offset:         0
        .size:           8
        .value_kind:     global_buffer
      - .actual_access:  write_only
        .address_space:  global
        .offset:         8
        .size:           8
        .value_kind:     global_buffer
      - .actual_access:  write_only
        .address_space:  global
        .offset:         16
        .size:           8
        .value_kind:     global_buffer
      - .actual_access:  write_only
        .address_space:  global
        .offset:         24
        .size:           8
        .value_kind:     global_buffer
      - .actual_access:  write_only
        .address_space:  global
        .offset:         32
        .size:           8
        .value_kind:     global_buffer
      - .actual_access:  read_only
        .address_space:  global
        .offset:         40
        .size:           8
        .value_kind:     global_buffer
      - .actual_access:  read_only
        .address_space:  global
        .offset:         48
        .size:           8
        .value_kind:     global_buffer
      - .actual_access:  read_only
        .address_space:  global
        .offset:         56
        .size:           8
        .value_kind:     global_buffer
      - .actual_access:  read_only
        .address_space:  global
        .offset:         64
        .size:           8
        .value_kind:     global_buffer
      - .actual_access:  read_only
        .address_space:  global
        .offset:         72
        .size:           8
        .value_kind:     global_buffer
      - .offset:         80
        .size:           4
        .value_kind:     by_value
      - .offset:         84
        .size:           4
        .value_kind:     by_value
      - .offset:         88
        .size:           4
        .value_kind:     by_value
      - .offset:         92
        .size:           4
        .value_kind:     by_value
      - .offset:         96
        .size:           4
        .value_kind:     by_value
      - .offset:         100
        .size:           4
        .value_kind:     by_value
      - .offset:         104
        .size:           4
        .value_kind:     by_value
      - .offset:         108
        .size:           4
        .value_kind:     by_value
      - .offset:         112
        .size:           4
        .value_kind:     by_value
      - .offset:         116
        .size:           4
        .value_kind:     by_value
      - .offset:         120
        .size:           4
        .value_kind:     by_value
      - .offset:         124
        .size:           4
        .value_kind:     by_value
      - .offset:         128
        .size:           4
        .value_kind:     by_value
      - .offset:         132
        .size:           4
        .value_kind:     by_value
      - .offset:         136
        .size:           4
        .value_kind:     by_value
      - .offset:         144
        .size:           4
        .value_kind:     hidden_block_count_x
      - .offset:         148
        .size:           4
        .value_kind:     hidden_block_count_y
      - .offset:         152
        .size:           4
        .value_kind:     hidden_block_count_z
      - .offset:         156
        .size:           2
        .value_kind:     hidden_group_size_x
      - .offset:         158
        .size:           2
        .value_kind:     hidden_group_size_y
      - .offset:         160
        .size:           2
        .value_kind:     hidden_group_size_z
      - .offset:         162
        .size:           2
        .value_kind:     hidden_remainder_x
      - .offset:         164
        .size:           2
        .value_kind:     hidden_remainder_y
      - .offset:         166
        .size:           2
        .value_kind:     hidden_remainder_z
      - .offset:         184
        .size:           8
        .value_kind:     hidden_global_offset_x
      - .offset:         192
        .size:           8
        .value_kind:     hidden_global_offset_y
      - .offset:         200
        .size:           8
        .value_kind:     hidden_global_offset_z
      - .offset:         208
        .size:           2
        .value_kind:     hidden_grid_dims
    .group_segment_fixed_size: 32
    .kernarg_segment_align: 8
    .kernarg_segment_size: 400
    .language:       OpenCL C
    .language_version:
      - 2
      - 0
    .max_flat_workgroup_size: 1024
    .name:           _ZN5aiter35fused_qk_rmsnorm_group_quant_kernelIDF16_N4opus5fp4_tELi256ELi16ELi2ELb1ELb1ELb1ELb0ELb0ELb0EEEvPT0_PvPT_S7_S7_PKS6_S9_S9_S9_S9_ffiiiiiiiiiiiii
    .private_segment_fixed_size: 0
    .sgpr_count:     48
    .sgpr_spill_count: 0
    .symbol:         _ZN5aiter35fused_qk_rmsnorm_group_quant_kernelIDF16_N4opus5fp4_tELi256ELi16ELi2ELb1ELb1ELb1ELb0ELb0ELb0EEEvPT0_PvPT_S7_S7_PKS6_S9_S9_S9_S9_ffiiiiiiiiiiiii.kd
    .uniform_work_group_size: 1
    .uses_dynamic_stack: false
    .vgpr_count:     49
    .vgpr_spill_count: 0
    .wavefront_size: 64
  - .agpr_count:     0
    .args:
      - .actual_access:  write_only
        .address_space:  global
        .offset:         0
        .size:           8
        .value_kind:     global_buffer
      - .actual_access:  write_only
        .address_space:  global
        .offset:         8
        .size:           8
        .value_kind:     global_buffer
      - .actual_access:  write_only
        .address_space:  global
        .offset:         16
        .size:           8
        .value_kind:     global_buffer
      - .actual_access:  write_only
        .address_space:  global
        .offset:         24
        .size:           8
        .value_kind:     global_buffer
      - .actual_access:  write_only
        .address_space:  global
        .offset:         32
        .size:           8
        .value_kind:     global_buffer
      - .actual_access:  read_only
        .address_space:  global
        .offset:         40
        .size:           8
        .value_kind:     global_buffer
      - .actual_access:  read_only
        .address_space:  global
        .offset:         48
        .size:           8
        .value_kind:     global_buffer
      - .actual_access:  read_only
        .address_space:  global
        .offset:         56
        .size:           8
        .value_kind:     global_buffer
      - .actual_access:  read_only
        .address_space:  global
        .offset:         64
        .size:           8
        .value_kind:     global_buffer
      - .actual_access:  read_only
        .address_space:  global
        .offset:         72
        .size:           8
        .value_kind:     global_buffer
      - .offset:         80
        .size:           4
        .value_kind:     by_value
      - .offset:         84
        .size:           4
        .value_kind:     by_value
      - .offset:         88
        .size:           4
        .value_kind:     by_value
      - .offset:         92
        .size:           4
        .value_kind:     by_value
      - .offset:         96
        .size:           4
        .value_kind:     by_value
      - .offset:         100
        .size:           4
        .value_kind:     by_value
      - .offset:         104
        .size:           4
        .value_kind:     by_value
      - .offset:         108
        .size:           4
        .value_kind:     by_value
      - .offset:         112
        .size:           4
        .value_kind:     by_value
      - .offset:         116
        .size:           4
        .value_kind:     by_value
      - .offset:         120
        .size:           4
        .value_kind:     by_value
      - .offset:         124
        .size:           4
        .value_kind:     by_value
      - .offset:         128
        .size:           4
        .value_kind:     by_value
      - .offset:         132
        .size:           4
        .value_kind:     by_value
      - .offset:         136
        .size:           4
        .value_kind:     by_value
      - .offset:         144
        .size:           4
        .value_kind:     hidden_block_count_x
      - .offset:         148
        .size:           4
        .value_kind:     hidden_block_count_y
      - .offset:         152
        .size:           4
        .value_kind:     hidden_block_count_z
      - .offset:         156
        .size:           2
        .value_kind:     hidden_group_size_x
      - .offset:         158
        .size:           2
        .value_kind:     hidden_group_size_y
      - .offset:         160
        .size:           2
        .value_kind:     hidden_group_size_z
      - .offset:         162
        .size:           2
        .value_kind:     hidden_remainder_x
      - .offset:         164
        .size:           2
        .value_kind:     hidden_remainder_y
      - .offset:         166
        .size:           2
        .value_kind:     hidden_remainder_z
      - .offset:         184
        .size:           8
        .value_kind:     hidden_global_offset_x
      - .offset:         192
        .size:           8
        .value_kind:     hidden_global_offset_y
      - .offset:         200
        .size:           8
        .value_kind:     hidden_global_offset_z
      - .offset:         208
        .size:           2
        .value_kind:     hidden_grid_dims
    .group_segment_fixed_size: 32
    .kernarg_segment_align: 8
    .kernarg_segment_size: 400
    .language:       OpenCL C
    .language_version:
      - 2
      - 0
    .max_flat_workgroup_size: 1024
    .name:           _ZN5aiter35fused_qk_rmsnorm_group_quant_kernelItN4opus5fp4_tELi256ELi16ELi2ELb1ELb1ELb1ELb0ELb0ELb0EEEvPT0_PvPT_S7_S7_PKS6_S9_S9_S9_S9_ffiiiiiiiiiiiii
    .private_segment_fixed_size: 0
    .sgpr_count:     48
    .sgpr_spill_count: 0
    .symbol:         _ZN5aiter35fused_qk_rmsnorm_group_quant_kernelItN4opus5fp4_tELi256ELi16ELi2ELb1ELb1ELb1ELb0ELb0ELb0EEEvPT0_PvPT_S7_S7_PKS6_S9_S9_S9_S9_ffiiiiiiiiiiiii.kd
    .uniform_work_group_size: 1
    .uses_dynamic_stack: false
    .vgpr_count:     76
    .vgpr_spill_count: 0
    .wavefront_size: 64
  - .agpr_count:     0
    .args:
      - .actual_access:  write_only
        .address_space:  global
        .offset:         0
        .size:           8
        .value_kind:     global_buffer
      - .actual_access:  write_only
        .address_space:  global
        .offset:         8
        .size:           8
        .value_kind:     global_buffer
      - .actual_access:  write_only
        .address_space:  global
        .offset:         16
        .size:           8
        .value_kind:     global_buffer
      - .actual_access:  write_only
        .address_space:  global
        .offset:         24
        .size:           8
        .value_kind:     global_buffer
      - .actual_access:  write_only
        .address_space:  global
        .offset:         32
        .size:           8
        .value_kind:     global_buffer
      - .actual_access:  read_only
        .address_space:  global
        .offset:         40
        .size:           8
        .value_kind:     global_buffer
      - .actual_access:  read_only
        .address_space:  global
        .offset:         48
        .size:           8
        .value_kind:     global_buffer
      - .actual_access:  read_only
        .address_space:  global
        .offset:         56
        .size:           8
        .value_kind:     global_buffer
      - .actual_access:  read_only
        .address_space:  global
        .offset:         64
        .size:           8
        .value_kind:     global_buffer
      - .actual_access:  read_only
        .address_space:  global
        .offset:         72
        .size:           8
        .value_kind:     global_buffer
      - .offset:         80
        .size:           4
        .value_kind:     by_value
      - .offset:         84
        .size:           4
        .value_kind:     by_value
      - .offset:         88
        .size:           4
        .value_kind:     by_value
      - .offset:         92
        .size:           4
        .value_kind:     by_value
      - .offset:         96
        .size:           4
        .value_kind:     by_value
      - .offset:         100
        .size:           4
        .value_kind:     by_value
      - .offset:         104
        .size:           4
        .value_kind:     by_value
      - .offset:         108
        .size:           4
        .value_kind:     by_value
      - .offset:         112
        .size:           4
        .value_kind:     by_value
      - .offset:         116
        .size:           4
        .value_kind:     by_value
      - .offset:         120
        .size:           4
        .value_kind:     by_value
      - .offset:         124
        .size:           4
        .value_kind:     by_value
      - .offset:         128
        .size:           4
        .value_kind:     by_value
      - .offset:         132
        .size:           4
        .value_kind:     by_value
      - .offset:         136
        .size:           4
        .value_kind:     by_value
      - .offset:         144
        .size:           4
        .value_kind:     hidden_block_count_x
      - .offset:         148
        .size:           4
        .value_kind:     hidden_block_count_y
      - .offset:         152
        .size:           4
        .value_kind:     hidden_block_count_z
      - .offset:         156
        .size:           2
        .value_kind:     hidden_group_size_x
      - .offset:         158
        .size:           2
        .value_kind:     hidden_group_size_y
      - .offset:         160
        .size:           2
        .value_kind:     hidden_group_size_z
      - .offset:         162
        .size:           2
        .value_kind:     hidden_remainder_x
      - .offset:         164
        .size:           2
        .value_kind:     hidden_remainder_y
      - .offset:         166
        .size:           2
        .value_kind:     hidden_remainder_z
      - .offset:         184
        .size:           8
        .value_kind:     hidden_global_offset_x
      - .offset:         192
        .size:           8
        .value_kind:     hidden_global_offset_y
      - .offset:         200
        .size:           8
        .value_kind:     hidden_global_offset_z
      - .offset:         208
        .size:           2
        .value_kind:     hidden_grid_dims
    .group_segment_fixed_size: 32
    .kernarg_segment_align: 8
    .kernarg_segment_size: 400
    .language:       OpenCL C
    .language_version:
      - 2
      - 0
    .max_flat_workgroup_size: 1024
    .name:           _ZN5aiter35fused_qk_rmsnorm_group_quant_kernelIDF16_DB8_Li256ELi16ELi2ELb1ELb1ELb0ELb0ELb0ELb0EEEvPT0_PvPT_S6_S6_PKS5_S8_S8_S8_S8_ffiiiiiiiiiiiii
    .private_segment_fixed_size: 0
    .sgpr_count:     48
    .sgpr_spill_count: 0
    .symbol:         _ZN5aiter35fused_qk_rmsnorm_group_quant_kernelIDF16_DB8_Li256ELi16ELi2ELb1ELb1ELb0ELb0ELb0ELb0EEEvPT0_PvPT_S6_S6_PKS5_S8_S8_S8_S8_ffiiiiiiiiiiiii.kd
    .uniform_work_group_size: 1
    .uses_dynamic_stack: false
    .vgpr_count:     94
    .vgpr_spill_count: 0
    .wavefront_size: 64
  - .agpr_count:     0
    .args:
      - .actual_access:  write_only
        .address_space:  global
        .offset:         0
        .size:           8
        .value_kind:     global_buffer
      - .actual_access:  write_only
        .address_space:  global
        .offset:         8
        .size:           8
        .value_kind:     global_buffer
      - .actual_access:  write_only
        .address_space:  global
        .offset:         16
        .size:           8
        .value_kind:     global_buffer
      - .actual_access:  write_only
        .address_space:  global
        .offset:         24
        .size:           8
        .value_kind:     global_buffer
      - .actual_access:  write_only
        .address_space:  global
        .offset:         32
        .size:           8
        .value_kind:     global_buffer
      - .actual_access:  read_only
        .address_space:  global
        .offset:         40
        .size:           8
        .value_kind:     global_buffer
      - .actual_access:  read_only
        .address_space:  global
        .offset:         48
        .size:           8
        .value_kind:     global_buffer
      - .actual_access:  read_only
        .address_space:  global
        .offset:         56
        .size:           8
        .value_kind:     global_buffer
      - .actual_access:  read_only
        .address_space:  global
        .offset:         64
        .size:           8
        .value_kind:     global_buffer
      - .actual_access:  read_only
        .address_space:  global
        .offset:         72
        .size:           8
        .value_kind:     global_buffer
      - .offset:         80
        .size:           4
        .value_kind:     by_value
      - .offset:         84
        .size:           4
        .value_kind:     by_value
      - .offset:         88
        .size:           4
        .value_kind:     by_value
      - .offset:         92
        .size:           4
        .value_kind:     by_value
      - .offset:         96
        .size:           4
        .value_kind:     by_value
      - .offset:         100
        .size:           4
        .value_kind:     by_value
      - .offset:         104
        .size:           4
        .value_kind:     by_value
      - .offset:         108
        .size:           4
        .value_kind:     by_value
      - .offset:         112
        .size:           4
        .value_kind:     by_value
      - .offset:         116
        .size:           4
        .value_kind:     by_value
      - .offset:         120
        .size:           4
        .value_kind:     by_value
      - .offset:         124
        .size:           4
        .value_kind:     by_value
      - .offset:         128
        .size:           4
        .value_kind:     by_value
      - .offset:         132
        .size:           4
        .value_kind:     by_value
      - .offset:         136
        .size:           4
        .value_kind:     by_value
      - .offset:         144
        .size:           4
        .value_kind:     hidden_block_count_x
      - .offset:         148
        .size:           4
        .value_kind:     hidden_block_count_y
      - .offset:         152
        .size:           4
        .value_kind:     hidden_block_count_z
      - .offset:         156
        .size:           2
        .value_kind:     hidden_group_size_x
      - .offset:         158
        .size:           2
        .value_kind:     hidden_group_size_y
      - .offset:         160
        .size:           2
        .value_kind:     hidden_group_size_z
      - .offset:         162
        .size:           2
        .value_kind:     hidden_remainder_x
      - .offset:         164
        .size:           2
        .value_kind:     hidden_remainder_y
      - .offset:         166
        .size:           2
        .value_kind:     hidden_remainder_z
      - .offset:         184
        .size:           8
        .value_kind:     hidden_global_offset_x
      - .offset:         192
        .size:           8
        .value_kind:     hidden_global_offset_y
      - .offset:         200
        .size:           8
        .value_kind:     hidden_global_offset_z
      - .offset:         208
        .size:           2
        .value_kind:     hidden_grid_dims
    .group_segment_fixed_size: 32
    .kernarg_segment_align: 8
    .kernarg_segment_size: 400
    .language:       OpenCL C
    .language_version:
      - 2
      - 0
    .max_flat_workgroup_size: 1024
    .name:           _ZN5aiter35fused_qk_rmsnorm_group_quant_kernelItDB8_Li256ELi16ELi2ELb1ELb1ELb0ELb0ELb0ELb0EEEvPT0_PvPT_S6_S6_PKS5_S8_S8_S8_S8_ffiiiiiiiiiiiii
    .private_segment_fixed_size: 0
    .sgpr_count:     48
    .sgpr_spill_count: 0
    .symbol:         _ZN5aiter35fused_qk_rmsnorm_group_quant_kernelItDB8_Li256ELi16ELi2ELb1ELb1ELb0ELb0ELb0ELb0EEEvPT0_PvPT_S6_S6_PKS5_S8_S8_S8_S8_ffiiiiiiiiiiiii.kd
    .uniform_work_group_size: 1
    .uses_dynamic_stack: false
    .vgpr_count:     96
    .vgpr_spill_count: 0
    .wavefront_size: 64
  - .agpr_count:     0
    .args:
      - .actual_access:  write_only
        .address_space:  global
        .offset:         0
        .size:           8
        .value_kind:     global_buffer
      - .actual_access:  write_only
        .address_space:  global
        .offset:         8
        .size:           8
        .value_kind:     global_buffer
      - .actual_access:  write_only
        .address_space:  global
        .offset:         16
        .size:           8
        .value_kind:     global_buffer
      - .actual_access:  write_only
        .address_space:  global
        .offset:         24
        .size:           8
        .value_kind:     global_buffer
      - .actual_access:  write_only
        .address_space:  global
        .offset:         32
        .size:           8
        .value_kind:     global_buffer
      - .actual_access:  read_only
        .address_space:  global
        .offset:         40
        .size:           8
        .value_kind:     global_buffer
      - .actual_access:  read_only
        .address_space:  global
        .offset:         48
        .size:           8
        .value_kind:     global_buffer
      - .actual_access:  read_only
        .address_space:  global
        .offset:         56
        .size:           8
        .value_kind:     global_buffer
      - .actual_access:  read_only
        .address_space:  global
        .offset:         64
        .size:           8
        .value_kind:     global_buffer
      - .actual_access:  read_only
        .address_space:  global
        .offset:         72
        .size:           8
        .value_kind:     global_buffer
      - .offset:         80
        .size:           4
        .value_kind:     by_value
      - .offset:         84
        .size:           4
        .value_kind:     by_value
      - .offset:         88
        .size:           4
        .value_kind:     by_value
      - .offset:         92
        .size:           4
        .value_kind:     by_value
      - .offset:         96
        .size:           4
        .value_kind:     by_value
      - .offset:         100
        .size:           4
        .value_kind:     by_value
      - .offset:         104
        .size:           4
        .value_kind:     by_value
      - .offset:         108
        .size:           4
        .value_kind:     by_value
      - .offset:         112
        .size:           4
        .value_kind:     by_value
      - .offset:         116
        .size:           4
        .value_kind:     by_value
      - .offset:         120
        .size:           4
        .value_kind:     by_value
      - .offset:         124
        .size:           4
        .value_kind:     by_value
      - .offset:         128
        .size:           4
        .value_kind:     by_value
      - .offset:         132
        .size:           4
        .value_kind:     by_value
      - .offset:         136
        .size:           4
        .value_kind:     by_value
      - .offset:         144
        .size:           4
        .value_kind:     hidden_block_count_x
      - .offset:         148
        .size:           4
        .value_kind:     hidden_block_count_y
      - .offset:         152
        .size:           4
        .value_kind:     hidden_block_count_z
      - .offset:         156
        .size:           2
        .value_kind:     hidden_group_size_x
      - .offset:         158
        .size:           2
        .value_kind:     hidden_group_size_y
      - .offset:         160
        .size:           2
        .value_kind:     hidden_group_size_z
      - .offset:         162
        .size:           2
        .value_kind:     hidden_remainder_x
      - .offset:         164
        .size:           2
        .value_kind:     hidden_remainder_y
      - .offset:         166
        .size:           2
        .value_kind:     hidden_remainder_z
      - .offset:         184
        .size:           8
        .value_kind:     hidden_global_offset_x
      - .offset:         192
        .size:           8
        .value_kind:     hidden_global_offset_y
      - .offset:         200
        .size:           8
        .value_kind:     hidden_global_offset_z
      - .offset:         208
        .size:           2
        .value_kind:     hidden_grid_dims
    .group_segment_fixed_size: 32
    .kernarg_segment_align: 8
    .kernarg_segment_size: 400
    .language:       OpenCL C
    .language_version:
      - 2
      - 0
    .max_flat_workgroup_size: 1024
    .name:           _ZN5aiter35fused_qk_rmsnorm_group_quant_kernelIDF16_N4opus5fp4_tELi256ELi16ELi2ELb1ELb1ELb0ELb0ELb0ELb0EEEvPT0_PvPT_S7_S7_PKS6_S9_S9_S9_S9_ffiiiiiiiiiiiii
    .private_segment_fixed_size: 0
    .sgpr_count:     48
    .sgpr_spill_count: 0
    .symbol:         _ZN5aiter35fused_qk_rmsnorm_group_quant_kernelIDF16_N4opus5fp4_tELi256ELi16ELi2ELb1ELb1ELb0ELb0ELb0ELb0EEEvPT0_PvPT_S7_S7_PKS6_S9_S9_S9_S9_ffiiiiiiiiiiiii.kd
    .uniform_work_group_size: 1
    .uses_dynamic_stack: false
    .vgpr_count:     47
    .vgpr_spill_count: 0
    .wavefront_size: 64
  - .agpr_count:     0
    .args:
      - .actual_access:  write_only
        .address_space:  global
        .offset:         0
        .size:           8
        .value_kind:     global_buffer
      - .actual_access:  write_only
        .address_space:  global
        .offset:         8
        .size:           8
        .value_kind:     global_buffer
      - .actual_access:  write_only
        .address_space:  global
        .offset:         16
        .size:           8
        .value_kind:     global_buffer
      - .actual_access:  write_only
        .address_space:  global
        .offset:         24
        .size:           8
        .value_kind:     global_buffer
      - .actual_access:  write_only
        .address_space:  global
        .offset:         32
        .size:           8
        .value_kind:     global_buffer
      - .actual_access:  read_only
        .address_space:  global
        .offset:         40
        .size:           8
        .value_kind:     global_buffer
      - .actual_access:  read_only
        .address_space:  global
        .offset:         48
        .size:           8
        .value_kind:     global_buffer
      - .actual_access:  read_only
        .address_space:  global
        .offset:         56
        .size:           8
        .value_kind:     global_buffer
      - .actual_access:  read_only
        .address_space:  global
        .offset:         64
        .size:           8
        .value_kind:     global_buffer
      - .actual_access:  read_only
        .address_space:  global
        .offset:         72
        .size:           8
        .value_kind:     global_buffer
      - .offset:         80
        .size:           4
        .value_kind:     by_value
      - .offset:         84
        .size:           4
        .value_kind:     by_value
      - .offset:         88
        .size:           4
        .value_kind:     by_value
      - .offset:         92
        .size:           4
        .value_kind:     by_value
      - .offset:         96
        .size:           4
        .value_kind:     by_value
      - .offset:         100
        .size:           4
        .value_kind:     by_value
      - .offset:         104
        .size:           4
        .value_kind:     by_value
      - .offset:         108
        .size:           4
        .value_kind:     by_value
      - .offset:         112
        .size:           4
        .value_kind:     by_value
      - .offset:         116
        .size:           4
        .value_kind:     by_value
      - .offset:         120
        .size:           4
        .value_kind:     by_value
      - .offset:         124
        .size:           4
        .value_kind:     by_value
      - .offset:         128
        .size:           4
        .value_kind:     by_value
      - .offset:         132
        .size:           4
        .value_kind:     by_value
      - .offset:         136
        .size:           4
        .value_kind:     by_value
      - .offset:         144
        .size:           4
        .value_kind:     hidden_block_count_x
      - .offset:         148
        .size:           4
        .value_kind:     hidden_block_count_y
      - .offset:         152
        .size:           4
        .value_kind:     hidden_block_count_z
      - .offset:         156
        .size:           2
        .value_kind:     hidden_group_size_x
      - .offset:         158
        .size:           2
        .value_kind:     hidden_group_size_y
      - .offset:         160
        .size:           2
        .value_kind:     hidden_group_size_z
      - .offset:         162
        .size:           2
        .value_kind:     hidden_remainder_x
      - .offset:         164
        .size:           2
        .value_kind:     hidden_remainder_y
      - .offset:         166
        .size:           2
        .value_kind:     hidden_remainder_z
      - .offset:         184
        .size:           8
        .value_kind:     hidden_global_offset_x
      - .offset:         192
        .size:           8
        .value_kind:     hidden_global_offset_y
      - .offset:         200
        .size:           8
        .value_kind:     hidden_global_offset_z
      - .offset:         208
        .size:           2
        .value_kind:     hidden_grid_dims
    .group_segment_fixed_size: 32
    .kernarg_segment_align: 8
    .kernarg_segment_size: 400
    .language:       OpenCL C
    .language_version:
      - 2
      - 0
    .max_flat_workgroup_size: 1024
    .name:           _ZN5aiter35fused_qk_rmsnorm_group_quant_kernelItN4opus5fp4_tELi256ELi16ELi2ELb1ELb1ELb0ELb0ELb0ELb0EEEvPT0_PvPT_S7_S7_PKS6_S9_S9_S9_S9_ffiiiiiiiiiiiii
    .private_segment_fixed_size: 0
    .sgpr_count:     48
    .sgpr_spill_count: 0
    .symbol:         _ZN5aiter35fused_qk_rmsnorm_group_quant_kernelItN4opus5fp4_tELi256ELi16ELi2ELb1ELb1ELb0ELb0ELb0ELb0EEEvPT0_PvPT_S7_S7_PKS6_S9_S9_S9_S9_ffiiiiiiiiiiiii.kd
    .uniform_work_group_size: 1
    .uses_dynamic_stack: false
    .vgpr_count:     94
    .vgpr_spill_count: 0
    .wavefront_size: 64
  - .agpr_count:     0
    .args:
      - .actual_access:  write_only
        .address_space:  global
        .offset:         0
        .size:           8
        .value_kind:     global_buffer
      - .actual_access:  write_only
        .address_space:  global
        .offset:         8
        .size:           8
        .value_kind:     global_buffer
      - .actual_access:  read_only
        .address_space:  global
        .offset:         16
        .size:           8
        .value_kind:     global_buffer
      - .actual_access:  write_only
        .address_space:  global
        .offset:         24
        .size:           8
        .value_kind:     global_buffer
      - .actual_access:  write_only
        .address_space:  global
        .offset:         32
        .size:           8
        .value_kind:     global_buffer
      - .actual_access:  read_only
        .address_space:  global
        .offset:         40
        .size:           8
        .value_kind:     global_buffer
      - .actual_access:  read_only
        .address_space:  global
        .offset:         48
        .size:           8
        .value_kind:     global_buffer
      - .actual_access:  read_only
        .address_space:  global
        .offset:         56
        .size:           8
        .value_kind:     global_buffer
      - .actual_access:  read_only
        .address_space:  global
        .offset:         64
        .size:           8
        .value_kind:     global_buffer
      - .actual_access:  read_only
        .address_space:  global
        .offset:         72
        .size:           8
        .value_kind:     global_buffer
      - .offset:         80
        .size:           4
        .value_kind:     by_value
      - .offset:         84
        .size:           4
        .value_kind:     by_value
      - .offset:         88
        .size:           4
        .value_kind:     by_value
      - .offset:         92
        .size:           4
        .value_kind:     by_value
      - .offset:         96
        .size:           4
        .value_kind:     by_value
      - .offset:         100
        .size:           4
        .value_kind:     by_value
      - .offset:         104
        .size:           4
        .value_kind:     by_value
      - .offset:         108
        .size:           4
        .value_kind:     by_value
      - .offset:         112
        .size:           4
        .value_kind:     by_value
      - .offset:         116
        .size:           4
        .value_kind:     by_value
      - .offset:         120
        .size:           4
        .value_kind:     by_value
      - .offset:         124
        .size:           4
        .value_kind:     by_value
      - .offset:         128
        .size:           4
        .value_kind:     by_value
      - .offset:         132
        .size:           4
        .value_kind:     by_value
      - .offset:         136
        .size:           4
        .value_kind:     by_value
      - .offset:         144
        .size:           4
        .value_kind:     hidden_block_count_x
      - .offset:         148
        .size:           4
        .value_kind:     hidden_block_count_y
      - .offset:         152
        .size:           4
        .value_kind:     hidden_block_count_z
      - .offset:         156
        .size:           2
        .value_kind:     hidden_group_size_x
      - .offset:         158
        .size:           2
        .value_kind:     hidden_group_size_y
      - .offset:         160
        .size:           2
        .value_kind:     hidden_group_size_z
      - .offset:         162
        .size:           2
        .value_kind:     hidden_remainder_x
      - .offset:         164
        .size:           2
        .value_kind:     hidden_remainder_y
      - .offset:         166
        .size:           2
        .value_kind:     hidden_remainder_z
      - .offset:         184
        .size:           8
        .value_kind:     hidden_global_offset_x
      - .offset:         192
        .size:           8
        .value_kind:     hidden_global_offset_y
      - .offset:         200
        .size:           8
        .value_kind:     hidden_global_offset_z
      - .offset:         208
        .size:           2
        .value_kind:     hidden_grid_dims
    .group_segment_fixed_size: 32
    .kernarg_segment_align: 8
    .kernarg_segment_size: 400
    .language:       OpenCL C
    .language_version:
      - 2
      - 0
    .max_flat_workgroup_size: 1024
    .name:           _ZN5aiter35fused_qk_rmsnorm_group_quant_kernelIDF16_DB8_Li256ELi16ELi2ELb1ELb0ELb1ELb0ELb0ELb0EEEvPT0_PvPT_S6_S6_PKS5_S8_S8_S8_S8_ffiiiiiiiiiiiii
    .private_segment_fixed_size: 0
    .sgpr_count:     48
    .sgpr_spill_count: 0
    .symbol:         _ZN5aiter35fused_qk_rmsnorm_group_quant_kernelIDF16_DB8_Li256ELi16ELi2ELb1ELb0ELb1ELb0ELb0ELb0EEEvPT0_PvPT_S6_S6_PKS5_S8_S8_S8_S8_ffiiiiiiiiiiiii.kd
    .uniform_work_group_size: 1
    .uses_dynamic_stack: false
    .vgpr_count:     90
    .vgpr_spill_count: 0
    .wavefront_size: 64
  - .agpr_count:     0
    .args:
      - .actual_access:  write_only
        .address_space:  global
        .offset:         0
        .size:           8
        .value_kind:     global_buffer
      - .actual_access:  write_only
        .address_space:  global
        .offset:         8
        .size:           8
        .value_kind:     global_buffer
      - .actual_access:  read_only
        .address_space:  global
        .offset:         16
        .size:           8
        .value_kind:     global_buffer
      - .actual_access:  write_only
        .address_space:  global
        .offset:         24
        .size:           8
        .value_kind:     global_buffer
      - .actual_access:  write_only
        .address_space:  global
        .offset:         32
        .size:           8
        .value_kind:     global_buffer
      - .actual_access:  read_only
        .address_space:  global
        .offset:         40
        .size:           8
        .value_kind:     global_buffer
      - .actual_access:  read_only
        .address_space:  global
        .offset:         48
        .size:           8
        .value_kind:     global_buffer
      - .actual_access:  read_only
        .address_space:  global
        .offset:         56
        .size:           8
        .value_kind:     global_buffer
      - .actual_access:  read_only
        .address_space:  global
        .offset:         64
        .size:           8
        .value_kind:     global_buffer
      - .actual_access:  read_only
        .address_space:  global
        .offset:         72
        .size:           8
        .value_kind:     global_buffer
      - .offset:         80
        .size:           4
        .value_kind:     by_value
      - .offset:         84
        .size:           4
        .value_kind:     by_value
      - .offset:         88
        .size:           4
        .value_kind:     by_value
      - .offset:         92
        .size:           4
        .value_kind:     by_value
      - .offset:         96
        .size:           4
        .value_kind:     by_value
      - .offset:         100
        .size:           4
        .value_kind:     by_value
      - .offset:         104
        .size:           4
        .value_kind:     by_value
      - .offset:         108
        .size:           4
        .value_kind:     by_value
      - .offset:         112
        .size:           4
        .value_kind:     by_value
      - .offset:         116
        .size:           4
        .value_kind:     by_value
      - .offset:         120
        .size:           4
        .value_kind:     by_value
      - .offset:         124
        .size:           4
        .value_kind:     by_value
      - .offset:         128
        .size:           4
        .value_kind:     by_value
      - .offset:         132
        .size:           4
        .value_kind:     by_value
      - .offset:         136
        .size:           4
        .value_kind:     by_value
      - .offset:         144
        .size:           4
        .value_kind:     hidden_block_count_x
      - .offset:         148
        .size:           4
        .value_kind:     hidden_block_count_y
      - .offset:         152
        .size:           4
        .value_kind:     hidden_block_count_z
      - .offset:         156
        .size:           2
        .value_kind:     hidden_group_size_x
      - .offset:         158
        .size:           2
        .value_kind:     hidden_group_size_y
      - .offset:         160
        .size:           2
        .value_kind:     hidden_group_size_z
      - .offset:         162
        .size:           2
        .value_kind:     hidden_remainder_x
      - .offset:         164
        .size:           2
        .value_kind:     hidden_remainder_y
      - .offset:         166
        .size:           2
        .value_kind:     hidden_remainder_z
      - .offset:         184
        .size:           8
        .value_kind:     hidden_global_offset_x
      - .offset:         192
        .size:           8
        .value_kind:     hidden_global_offset_y
      - .offset:         200
        .size:           8
        .value_kind:     hidden_global_offset_z
      - .offset:         208
        .size:           2
        .value_kind:     hidden_grid_dims
    .group_segment_fixed_size: 32
    .kernarg_segment_align: 8
    .kernarg_segment_size: 400
    .language:       OpenCL C
    .language_version:
      - 2
      - 0
    .max_flat_workgroup_size: 1024
    .name:           _ZN5aiter35fused_qk_rmsnorm_group_quant_kernelItDB8_Li256ELi16ELi2ELb1ELb0ELb1ELb0ELb0ELb0EEEvPT0_PvPT_S6_S6_PKS5_S8_S8_S8_S8_ffiiiiiiiiiiiii
    .private_segment_fixed_size: 0
    .sgpr_count:     48
    .sgpr_spill_count: 0
    .symbol:         _ZN5aiter35fused_qk_rmsnorm_group_quant_kernelItDB8_Li256ELi16ELi2ELb1ELb0ELb1ELb0ELb0ELb0EEEvPT0_PvPT_S6_S6_PKS5_S8_S8_S8_S8_ffiiiiiiiiiiiii.kd
    .uniform_work_group_size: 1
    .uses_dynamic_stack: false
    .vgpr_count:     88
    .vgpr_spill_count: 0
    .wavefront_size: 64
  - .agpr_count:     0
    .args:
      - .actual_access:  write_only
        .address_space:  global
        .offset:         0
        .size:           8
        .value_kind:     global_buffer
      - .actual_access:  write_only
        .address_space:  global
        .offset:         8
        .size:           8
        .value_kind:     global_buffer
      - .actual_access:  read_only
        .address_space:  global
        .offset:         16
        .size:           8
        .value_kind:     global_buffer
      - .actual_access:  write_only
        .address_space:  global
        .offset:         24
        .size:           8
        .value_kind:     global_buffer
      - .actual_access:  write_only
        .address_space:  global
        .offset:         32
        .size:           8
        .value_kind:     global_buffer
      - .actual_access:  read_only
        .address_space:  global
        .offset:         40
        .size:           8
        .value_kind:     global_buffer
      - .actual_access:  read_only
        .address_space:  global
        .offset:         48
        .size:           8
        .value_kind:     global_buffer
      - .actual_access:  read_only
        .address_space:  global
        .offset:         56
        .size:           8
        .value_kind:     global_buffer
      - .actual_access:  read_only
        .address_space:  global
        .offset:         64
        .size:           8
        .value_kind:     global_buffer
      - .actual_access:  read_only
        .address_space:  global
        .offset:         72
        .size:           8
        .value_kind:     global_buffer
      - .offset:         80
        .size:           4
        .value_kind:     by_value
      - .offset:         84
        .size:           4
        .value_kind:     by_value
      - .offset:         88
        .size:           4
        .value_kind:     by_value
      - .offset:         92
        .size:           4
        .value_kind:     by_value
      - .offset:         96
        .size:           4
        .value_kind:     by_value
      - .offset:         100
        .size:           4
        .value_kind:     by_value
      - .offset:         104
        .size:           4
        .value_kind:     by_value
      - .offset:         108
        .size:           4
        .value_kind:     by_value
      - .offset:         112
        .size:           4
        .value_kind:     by_value
      - .offset:         116
        .size:           4
        .value_kind:     by_value
      - .offset:         120
        .size:           4
        .value_kind:     by_value
      - .offset:         124
        .size:           4
        .value_kind:     by_value
      - .offset:         128
        .size:           4
        .value_kind:     by_value
      - .offset:         132
        .size:           4
        .value_kind:     by_value
      - .offset:         136
        .size:           4
        .value_kind:     by_value
      - .offset:         144
        .size:           4
        .value_kind:     hidden_block_count_x
      - .offset:         148
        .size:           4
        .value_kind:     hidden_block_count_y
      - .offset:         152
        .size:           4
        .value_kind:     hidden_block_count_z
      - .offset:         156
        .size:           2
        .value_kind:     hidden_group_size_x
      - .offset:         158
        .size:           2
        .value_kind:     hidden_group_size_y
      - .offset:         160
        .size:           2
        .value_kind:     hidden_group_size_z
      - .offset:         162
        .size:           2
        .value_kind:     hidden_remainder_x
      - .offset:         164
        .size:           2
        .value_kind:     hidden_remainder_y
      - .offset:         166
        .size:           2
        .value_kind:     hidden_remainder_z
      - .offset:         184
        .size:           8
        .value_kind:     hidden_global_offset_x
      - .offset:         192
        .size:           8
        .value_kind:     hidden_global_offset_y
      - .offset:         200
        .size:           8
        .value_kind:     hidden_global_offset_z
      - .offset:         208
        .size:           2
        .value_kind:     hidden_grid_dims
    .group_segment_fixed_size: 32
    .kernarg_segment_align: 8
    .kernarg_segment_size: 400
    .language:       OpenCL C
    .language_version:
      - 2
      - 0
    .max_flat_workgroup_size: 1024
    .name:           _ZN5aiter35fused_qk_rmsnorm_group_quant_kernelIDF16_N4opus5fp4_tELi256ELi16ELi2ELb1ELb0ELb1ELb0ELb0ELb0EEEvPT0_PvPT_S7_S7_PKS6_S9_S9_S9_S9_ffiiiiiiiiiiiii
    .private_segment_fixed_size: 0
    .sgpr_count:     44
    .sgpr_spill_count: 0
    .symbol:         _ZN5aiter35fused_qk_rmsnorm_group_quant_kernelIDF16_N4opus5fp4_tELi256ELi16ELi2ELb1ELb0ELb1ELb0ELb0ELb0EEEvPT0_PvPT_S7_S7_PKS6_S9_S9_S9_S9_ffiiiiiiiiiiiii.kd
    .uniform_work_group_size: 1
    .uses_dynamic_stack: false
    .vgpr_count:     49
    .vgpr_spill_count: 0
    .wavefront_size: 64
  - .agpr_count:     0
    .args:
      - .actual_access:  write_only
        .address_space:  global
        .offset:         0
        .size:           8
        .value_kind:     global_buffer
      - .actual_access:  write_only
        .address_space:  global
        .offset:         8
        .size:           8
        .value_kind:     global_buffer
      - .actual_access:  read_only
        .address_space:  global
        .offset:         16
        .size:           8
        .value_kind:     global_buffer
      - .actual_access:  write_only
        .address_space:  global
        .offset:         24
        .size:           8
        .value_kind:     global_buffer
      - .actual_access:  write_only
        .address_space:  global
        .offset:         32
        .size:           8
        .value_kind:     global_buffer
      - .actual_access:  read_only
        .address_space:  global
        .offset:         40
        .size:           8
        .value_kind:     global_buffer
      - .actual_access:  read_only
        .address_space:  global
        .offset:         48
        .size:           8
        .value_kind:     global_buffer
      - .actual_access:  read_only
        .address_space:  global
        .offset:         56
        .size:           8
        .value_kind:     global_buffer
      - .actual_access:  read_only
        .address_space:  global
        .offset:         64
        .size:           8
        .value_kind:     global_buffer
      - .actual_access:  read_only
        .address_space:  global
        .offset:         72
        .size:           8
        .value_kind:     global_buffer
      - .offset:         80
        .size:           4
        .value_kind:     by_value
      - .offset:         84
        .size:           4
        .value_kind:     by_value
      - .offset:         88
        .size:           4
        .value_kind:     by_value
      - .offset:         92
        .size:           4
        .value_kind:     by_value
      - .offset:         96
        .size:           4
        .value_kind:     by_value
      - .offset:         100
        .size:           4
        .value_kind:     by_value
      - .offset:         104
        .size:           4
        .value_kind:     by_value
      - .offset:         108
        .size:           4
        .value_kind:     by_value
      - .offset:         112
        .size:           4
        .value_kind:     by_value
      - .offset:         116
        .size:           4
        .value_kind:     by_value
      - .offset:         120
        .size:           4
        .value_kind:     by_value
      - .offset:         124
        .size:           4
        .value_kind:     by_value
      - .offset:         128
        .size:           4
        .value_kind:     by_value
      - .offset:         132
        .size:           4
        .value_kind:     by_value
      - .offset:         136
        .size:           4
        .value_kind:     by_value
      - .offset:         144
        .size:           4
        .value_kind:     hidden_block_count_x
      - .offset:         148
        .size:           4
        .value_kind:     hidden_block_count_y
      - .offset:         152
        .size:           4
        .value_kind:     hidden_block_count_z
      - .offset:         156
        .size:           2
        .value_kind:     hidden_group_size_x
      - .offset:         158
        .size:           2
        .value_kind:     hidden_group_size_y
      - .offset:         160
        .size:           2
        .value_kind:     hidden_group_size_z
      - .offset:         162
        .size:           2
        .value_kind:     hidden_remainder_x
      - .offset:         164
        .size:           2
        .value_kind:     hidden_remainder_y
      - .offset:         166
        .size:           2
        .value_kind:     hidden_remainder_z
      - .offset:         184
        .size:           8
        .value_kind:     hidden_global_offset_x
      - .offset:         192
        .size:           8
        .value_kind:     hidden_global_offset_y
      - .offset:         200
        .size:           8
        .value_kind:     hidden_global_offset_z
      - .offset:         208
        .size:           2
        .value_kind:     hidden_grid_dims
    .group_segment_fixed_size: 32
    .kernarg_segment_align: 8
    .kernarg_segment_size: 400
    .language:       OpenCL C
    .language_version:
      - 2
      - 0
    .max_flat_workgroup_size: 1024
    .name:           _ZN5aiter35fused_qk_rmsnorm_group_quant_kernelItN4opus5fp4_tELi256ELi16ELi2ELb1ELb0ELb1ELb0ELb0ELb0EEEvPT0_PvPT_S7_S7_PKS6_S9_S9_S9_S9_ffiiiiiiiiiiiii
    .private_segment_fixed_size: 0
    .sgpr_count:     44
    .sgpr_spill_count: 0
    .symbol:         _ZN5aiter35fused_qk_rmsnorm_group_quant_kernelItN4opus5fp4_tELi256ELi16ELi2ELb1ELb0ELb1ELb0ELb0ELb0EEEvPT0_PvPT_S7_S7_PKS6_S9_S9_S9_S9_ffiiiiiiiiiiiii.kd
    .uniform_work_group_size: 1
    .uses_dynamic_stack: false
    .vgpr_count:     76
    .vgpr_spill_count: 0
    .wavefront_size: 64
  - .agpr_count:     0
    .args:
      - .actual_access:  write_only
        .address_space:  global
        .offset:         0
        .size:           8
        .value_kind:     global_buffer
      - .actual_access:  write_only
        .address_space:  global
        .offset:         8
        .size:           8
        .value_kind:     global_buffer
      - .actual_access:  read_only
        .address_space:  global
        .offset:         16
        .size:           8
        .value_kind:     global_buffer
      - .actual_access:  write_only
        .address_space:  global
        .offset:         24
        .size:           8
        .value_kind:     global_buffer
      - .actual_access:  write_only
        .address_space:  global
        .offset:         32
        .size:           8
        .value_kind:     global_buffer
      - .actual_access:  read_only
        .address_space:  global
        .offset:         40
        .size:           8
        .value_kind:     global_buffer
      - .actual_access:  read_only
        .address_space:  global
        .offset:         48
        .size:           8
        .value_kind:     global_buffer
      - .actual_access:  read_only
        .address_space:  global
        .offset:         56
        .size:           8
        .value_kind:     global_buffer
      - .actual_access:  read_only
        .address_space:  global
        .offset:         64
        .size:           8
        .value_kind:     global_buffer
      - .actual_access:  read_only
        .address_space:  global
        .offset:         72
        .size:           8
        .value_kind:     global_buffer
      - .offset:         80
        .size:           4
        .value_kind:     by_value
      - .offset:         84
        .size:           4
        .value_kind:     by_value
      - .offset:         88
        .size:           4
        .value_kind:     by_value
      - .offset:         92
        .size:           4
        .value_kind:     by_value
      - .offset:         96
        .size:           4
        .value_kind:     by_value
      - .offset:         100
        .size:           4
        .value_kind:     by_value
      - .offset:         104
        .size:           4
        .value_kind:     by_value
      - .offset:         108
        .size:           4
        .value_kind:     by_value
      - .offset:         112
        .size:           4
        .value_kind:     by_value
      - .offset:         116
        .size:           4
        .value_kind:     by_value
      - .offset:         120
        .size:           4
        .value_kind:     by_value
      - .offset:         124
        .size:           4
        .value_kind:     by_value
      - .offset:         128
        .size:           4
        .value_kind:     by_value
      - .offset:         132
        .size:           4
        .value_kind:     by_value
      - .offset:         136
        .size:           4
        .value_kind:     by_value
      - .offset:         144
        .size:           4
        .value_kind:     hidden_block_count_x
      - .offset:         148
        .size:           4
        .value_kind:     hidden_block_count_y
      - .offset:         152
        .size:           4
        .value_kind:     hidden_block_count_z
      - .offset:         156
        .size:           2
        .value_kind:     hidden_group_size_x
      - .offset:         158
        .size:           2
        .value_kind:     hidden_group_size_y
      - .offset:         160
        .size:           2
        .value_kind:     hidden_group_size_z
      - .offset:         162
        .size:           2
        .value_kind:     hidden_remainder_x
      - .offset:         164
        .size:           2
        .value_kind:     hidden_remainder_y
      - .offset:         166
        .size:           2
        .value_kind:     hidden_remainder_z
      - .offset:         184
        .size:           8
        .value_kind:     hidden_global_offset_x
      - .offset:         192
        .size:           8
        .value_kind:     hidden_global_offset_y
      - .offset:         200
        .size:           8
        .value_kind:     hidden_global_offset_z
      - .offset:         208
        .size:           2
        .value_kind:     hidden_grid_dims
    .group_segment_fixed_size: 32
    .kernarg_segment_align: 8
    .kernarg_segment_size: 400
    .language:       OpenCL C
    .language_version:
      - 2
      - 0
    .max_flat_workgroup_size: 1024
    .name:           _ZN5aiter35fused_qk_rmsnorm_group_quant_kernelIDF16_DB8_Li256ELi16ELi2ELb1ELb0ELb0ELb0ELb0ELb0EEEvPT0_PvPT_S6_S6_PKS5_S8_S8_S8_S8_ffiiiiiiiiiiiii
    .private_segment_fixed_size: 0
    .sgpr_count:     48
    .sgpr_spill_count: 0
    .symbol:         _ZN5aiter35fused_qk_rmsnorm_group_quant_kernelIDF16_DB8_Li256ELi16ELi2ELb1ELb0ELb0ELb0ELb0ELb0EEEvPT0_PvPT_S6_S6_PKS5_S8_S8_S8_S8_ffiiiiiiiiiiiii.kd
    .uniform_work_group_size: 1
    .uses_dynamic_stack: false
    .vgpr_count:     94
    .vgpr_spill_count: 0
    .wavefront_size: 64
  - .agpr_count:     0
    .args:
      - .actual_access:  write_only
        .address_space:  global
        .offset:         0
        .size:           8
        .value_kind:     global_buffer
      - .actual_access:  write_only
        .address_space:  global
        .offset:         8
        .size:           8
        .value_kind:     global_buffer
      - .actual_access:  read_only
        .address_space:  global
        .offset:         16
        .size:           8
        .value_kind:     global_buffer
      - .actual_access:  write_only
        .address_space:  global
        .offset:         24
        .size:           8
        .value_kind:     global_buffer
      - .actual_access:  write_only
        .address_space:  global
        .offset:         32
        .size:           8
        .value_kind:     global_buffer
      - .actual_access:  read_only
        .address_space:  global
        .offset:         40
        .size:           8
        .value_kind:     global_buffer
      - .actual_access:  read_only
        .address_space:  global
        .offset:         48
        .size:           8
        .value_kind:     global_buffer
      - .actual_access:  read_only
        .address_space:  global
        .offset:         56
        .size:           8
        .value_kind:     global_buffer
      - .actual_access:  read_only
        .address_space:  global
        .offset:         64
        .size:           8
        .value_kind:     global_buffer
      - .actual_access:  read_only
        .address_space:  global
        .offset:         72
        .size:           8
        .value_kind:     global_buffer
      - .offset:         80
        .size:           4
        .value_kind:     by_value
      - .offset:         84
        .size:           4
        .value_kind:     by_value
      - .offset:         88
        .size:           4
        .value_kind:     by_value
      - .offset:         92
        .size:           4
        .value_kind:     by_value
      - .offset:         96
        .size:           4
        .value_kind:     by_value
      - .offset:         100
        .size:           4
        .value_kind:     by_value
      - .offset:         104
        .size:           4
        .value_kind:     by_value
      - .offset:         108
        .size:           4
        .value_kind:     by_value
      - .offset:         112
        .size:           4
        .value_kind:     by_value
      - .offset:         116
        .size:           4
        .value_kind:     by_value
      - .offset:         120
        .size:           4
        .value_kind:     by_value
      - .offset:         124
        .size:           4
        .value_kind:     by_value
      - .offset:         128
        .size:           4
        .value_kind:     by_value
      - .offset:         132
        .size:           4
        .value_kind:     by_value
      - .offset:         136
        .size:           4
        .value_kind:     by_value
      - .offset:         144
        .size:           4
        .value_kind:     hidden_block_count_x
      - .offset:         148
        .size:           4
        .value_kind:     hidden_block_count_y
      - .offset:         152
        .size:           4
        .value_kind:     hidden_block_count_z
      - .offset:         156
        .size:           2
        .value_kind:     hidden_group_size_x
      - .offset:         158
        .size:           2
        .value_kind:     hidden_group_size_y
      - .offset:         160
        .size:           2
        .value_kind:     hidden_group_size_z
      - .offset:         162
        .size:           2
        .value_kind:     hidden_remainder_x
      - .offset:         164
        .size:           2
        .value_kind:     hidden_remainder_y
      - .offset:         166
        .size:           2
        .value_kind:     hidden_remainder_z
      - .offset:         184
        .size:           8
        .value_kind:     hidden_global_offset_x
      - .offset:         192
        .size:           8
        .value_kind:     hidden_global_offset_y
      - .offset:         200
        .size:           8
        .value_kind:     hidden_global_offset_z
      - .offset:         208
        .size:           2
        .value_kind:     hidden_grid_dims
    .group_segment_fixed_size: 32
    .kernarg_segment_align: 8
    .kernarg_segment_size: 400
    .language:       OpenCL C
    .language_version:
      - 2
      - 0
    .max_flat_workgroup_size: 1024
    .name:           _ZN5aiter35fused_qk_rmsnorm_group_quant_kernelItDB8_Li256ELi16ELi2ELb1ELb0ELb0ELb0ELb0ELb0EEEvPT0_PvPT_S6_S6_PKS5_S8_S8_S8_S8_ffiiiiiiiiiiiii
    .private_segment_fixed_size: 0
    .sgpr_count:     48
    .sgpr_spill_count: 0
    .symbol:         _ZN5aiter35fused_qk_rmsnorm_group_quant_kernelItDB8_Li256ELi16ELi2ELb1ELb0ELb0ELb0ELb0ELb0EEEvPT0_PvPT_S6_S6_PKS5_S8_S8_S8_S8_ffiiiiiiiiiiiii.kd
    .uniform_work_group_size: 1
    .uses_dynamic_stack: false
    .vgpr_count:     96
    .vgpr_spill_count: 0
    .wavefront_size: 64
  - .agpr_count:     0
    .args:
      - .actual_access:  write_only
        .address_space:  global
        .offset:         0
        .size:           8
        .value_kind:     global_buffer
      - .actual_access:  write_only
        .address_space:  global
        .offset:         8
        .size:           8
        .value_kind:     global_buffer
      - .actual_access:  read_only
        .address_space:  global
        .offset:         16
        .size:           8
        .value_kind:     global_buffer
      - .actual_access:  write_only
        .address_space:  global
        .offset:         24
        .size:           8
        .value_kind:     global_buffer
      - .actual_access:  write_only
        .address_space:  global
        .offset:         32
        .size:           8
        .value_kind:     global_buffer
      - .actual_access:  read_only
        .address_space:  global
        .offset:         40
        .size:           8
        .value_kind:     global_buffer
      - .actual_access:  read_only
        .address_space:  global
        .offset:         48
        .size:           8
        .value_kind:     global_buffer
      - .actual_access:  read_only
        .address_space:  global
        .offset:         56
        .size:           8
        .value_kind:     global_buffer
      - .actual_access:  read_only
        .address_space:  global
        .offset:         64
        .size:           8
        .value_kind:     global_buffer
      - .actual_access:  read_only
        .address_space:  global
        .offset:         72
        .size:           8
        .value_kind:     global_buffer
      - .offset:         80
        .size:           4
        .value_kind:     by_value
      - .offset:         84
        .size:           4
        .value_kind:     by_value
      - .offset:         88
        .size:           4
        .value_kind:     by_value
      - .offset:         92
        .size:           4
        .value_kind:     by_value
      - .offset:         96
        .size:           4
        .value_kind:     by_value
      - .offset:         100
        .size:           4
        .value_kind:     by_value
      - .offset:         104
        .size:           4
        .value_kind:     by_value
      - .offset:         108
        .size:           4
        .value_kind:     by_value
      - .offset:         112
        .size:           4
        .value_kind:     by_value
      - .offset:         116
        .size:           4
        .value_kind:     by_value
      - .offset:         120
        .size:           4
        .value_kind:     by_value
      - .offset:         124
        .size:           4
        .value_kind:     by_value
      - .offset:         128
        .size:           4
        .value_kind:     by_value
      - .offset:         132
        .size:           4
        .value_kind:     by_value
      - .offset:         136
        .size:           4
        .value_kind:     by_value
      - .offset:         144
        .size:           4
        .value_kind:     hidden_block_count_x
      - .offset:         148
        .size:           4
        .value_kind:     hidden_block_count_y
      - .offset:         152
        .size:           4
        .value_kind:     hidden_block_count_z
      - .offset:         156
        .size:           2
        .value_kind:     hidden_group_size_x
      - .offset:         158
        .size:           2
        .value_kind:     hidden_group_size_y
      - .offset:         160
        .size:           2
        .value_kind:     hidden_group_size_z
      - .offset:         162
        .size:           2
        .value_kind:     hidden_remainder_x
      - .offset:         164
        .size:           2
        .value_kind:     hidden_remainder_y
      - .offset:         166
        .size:           2
        .value_kind:     hidden_remainder_z
      - .offset:         184
        .size:           8
        .value_kind:     hidden_global_offset_x
      - .offset:         192
        .size:           8
        .value_kind:     hidden_global_offset_y
      - .offset:         200
        .size:           8
        .value_kind:     hidden_global_offset_z
      - .offset:         208
        .size:           2
        .value_kind:     hidden_grid_dims
    .group_segment_fixed_size: 32
    .kernarg_segment_align: 8
    .kernarg_segment_size: 400
    .language:       OpenCL C
    .language_version:
      - 2
      - 0
    .max_flat_workgroup_size: 1024
    .name:           _ZN5aiter35fused_qk_rmsnorm_group_quant_kernelIDF16_N4opus5fp4_tELi256ELi16ELi2ELb1ELb0ELb0ELb0ELb0ELb0EEEvPT0_PvPT_S7_S7_PKS6_S9_S9_S9_S9_ffiiiiiiiiiiiii
    .private_segment_fixed_size: 0
    .sgpr_count:     44
    .sgpr_spill_count: 0
    .symbol:         _ZN5aiter35fused_qk_rmsnorm_group_quant_kernelIDF16_N4opus5fp4_tELi256ELi16ELi2ELb1ELb0ELb0ELb0ELb0ELb0EEEvPT0_PvPT_S7_S7_PKS6_S9_S9_S9_S9_ffiiiiiiiiiiiii.kd
    .uniform_work_group_size: 1
    .uses_dynamic_stack: false
    .vgpr_count:     47
    .vgpr_spill_count: 0
    .wavefront_size: 64
  - .agpr_count:     0
    .args:
      - .actual_access:  write_only
        .address_space:  global
        .offset:         0
        .size:           8
        .value_kind:     global_buffer
      - .actual_access:  write_only
        .address_space:  global
        .offset:         8
        .size:           8
        .value_kind:     global_buffer
      - .actual_access:  read_only
        .address_space:  global
        .offset:         16
        .size:           8
        .value_kind:     global_buffer
      - .actual_access:  write_only
        .address_space:  global
        .offset:         24
        .size:           8
        .value_kind:     global_buffer
      - .actual_access:  write_only
        .address_space:  global
        .offset:         32
        .size:           8
        .value_kind:     global_buffer
      - .actual_access:  read_only
        .address_space:  global
        .offset:         40
        .size:           8
        .value_kind:     global_buffer
      - .actual_access:  read_only
        .address_space:  global
        .offset:         48
        .size:           8
        .value_kind:     global_buffer
      - .actual_access:  read_only
        .address_space:  global
        .offset:         56
        .size:           8
        .value_kind:     global_buffer
      - .actual_access:  read_only
        .address_space:  global
        .offset:         64
        .size:           8
        .value_kind:     global_buffer
      - .actual_access:  read_only
        .address_space:  global
        .offset:         72
        .size:           8
        .value_kind:     global_buffer
      - .offset:         80
        .size:           4
        .value_kind:     by_value
      - .offset:         84
        .size:           4
        .value_kind:     by_value
      - .offset:         88
        .size:           4
        .value_kind:     by_value
      - .offset:         92
        .size:           4
        .value_kind:     by_value
      - .offset:         96
        .size:           4
        .value_kind:     by_value
      - .offset:         100
        .size:           4
        .value_kind:     by_value
      - .offset:         104
        .size:           4
        .value_kind:     by_value
      - .offset:         108
        .size:           4
        .value_kind:     by_value
      - .offset:         112
        .size:           4
        .value_kind:     by_value
      - .offset:         116
        .size:           4
        .value_kind:     by_value
      - .offset:         120
        .size:           4
        .value_kind:     by_value
      - .offset:         124
        .size:           4
        .value_kind:     by_value
      - .offset:         128
        .size:           4
        .value_kind:     by_value
      - .offset:         132
        .size:           4
        .value_kind:     by_value
      - .offset:         136
        .size:           4
        .value_kind:     by_value
      - .offset:         144
        .size:           4
        .value_kind:     hidden_block_count_x
      - .offset:         148
        .size:           4
        .value_kind:     hidden_block_count_y
      - .offset:         152
        .size:           4
        .value_kind:     hidden_block_count_z
      - .offset:         156
        .size:           2
        .value_kind:     hidden_group_size_x
      - .offset:         158
        .size:           2
        .value_kind:     hidden_group_size_y
      - .offset:         160
        .size:           2
        .value_kind:     hidden_group_size_z
      - .offset:         162
        .size:           2
        .value_kind:     hidden_remainder_x
      - .offset:         164
        .size:           2
        .value_kind:     hidden_remainder_y
      - .offset:         166
        .size:           2
        .value_kind:     hidden_remainder_z
      - .offset:         184
        .size:           8
        .value_kind:     hidden_global_offset_x
      - .offset:         192
        .size:           8
        .value_kind:     hidden_global_offset_y
      - .offset:         200
        .size:           8
        .value_kind:     hidden_global_offset_z
      - .offset:         208
        .size:           2
        .value_kind:     hidden_grid_dims
    .group_segment_fixed_size: 32
    .kernarg_segment_align: 8
    .kernarg_segment_size: 400
    .language:       OpenCL C
    .language_version:
      - 2
      - 0
    .max_flat_workgroup_size: 1024
    .name:           _ZN5aiter35fused_qk_rmsnorm_group_quant_kernelItN4opus5fp4_tELi256ELi16ELi2ELb1ELb0ELb0ELb0ELb0ELb0EEEvPT0_PvPT_S7_S7_PKS6_S9_S9_S9_S9_ffiiiiiiiiiiiii
    .private_segment_fixed_size: 0
    .sgpr_count:     44
    .sgpr_spill_count: 0
    .symbol:         _ZN5aiter35fused_qk_rmsnorm_group_quant_kernelItN4opus5fp4_tELi256ELi16ELi2ELb1ELb0ELb0ELb0ELb0ELb0EEEvPT0_PvPT_S7_S7_PKS6_S9_S9_S9_S9_ffiiiiiiiiiiiii.kd
    .uniform_work_group_size: 1
    .uses_dynamic_stack: false
    .vgpr_count:     94
    .vgpr_spill_count: 0
    .wavefront_size: 64
  - .agpr_count:     0
    .args:
      - .actual_access:  write_only
        .address_space:  global
        .offset:         0
        .size:           8
        .value_kind:     global_buffer
      - .actual_access:  write_only
        .address_space:  global
        .offset:         8
        .size:           8
        .value_kind:     global_buffer
      - .actual_access:  write_only
        .address_space:  global
        .offset:         16
        .size:           8
        .value_kind:     global_buffer
      - .actual_access:  write_only
        .address_space:  global
        .offset:         24
        .size:           8
        .value_kind:     global_buffer
      - .actual_access:  read_only
        .address_space:  global
        .offset:         32
        .size:           8
        .value_kind:     global_buffer
      - .actual_access:  read_only
        .address_space:  global
        .offset:         40
        .size:           8
        .value_kind:     global_buffer
      - .actual_access:  read_only
        .address_space:  global
        .offset:         48
        .size:           8
        .value_kind:     global_buffer
      - .actual_access:  read_only
        .address_space:  global
        .offset:         56
        .size:           8
        .value_kind:     global_buffer
      - .actual_access:  read_only
        .address_space:  global
        .offset:         64
        .size:           8
        .value_kind:     global_buffer
      - .actual_access:  read_only
        .address_space:  global
        .offset:         72
        .size:           8
        .value_kind:     global_buffer
      - .offset:         80
        .size:           4
        .value_kind:     by_value
      - .offset:         84
        .size:           4
        .value_kind:     by_value
      - .offset:         88
        .size:           4
        .value_kind:     by_value
      - .offset:         92
        .size:           4
        .value_kind:     by_value
      - .offset:         96
        .size:           4
        .value_kind:     by_value
      - .offset:         100
        .size:           4
        .value_kind:     by_value
      - .offset:         104
        .size:           4
        .value_kind:     by_value
      - .offset:         108
        .size:           4
        .value_kind:     by_value
      - .offset:         112
        .size:           4
        .value_kind:     by_value
      - .offset:         116
        .size:           4
        .value_kind:     by_value
      - .offset:         120
        .size:           4
        .value_kind:     by_value
      - .offset:         124
        .size:           4
        .value_kind:     by_value
      - .offset:         128
        .size:           4
        .value_kind:     by_value
      - .offset:         132
        .size:           4
        .value_kind:     by_value
      - .offset:         136
        .size:           4
        .value_kind:     by_value
      - .offset:         144
        .size:           4
        .value_kind:     hidden_block_count_x
      - .offset:         148
        .size:           4
        .value_kind:     hidden_block_count_y
      - .offset:         152
        .size:           4
        .value_kind:     hidden_block_count_z
      - .offset:         156
        .size:           2
        .value_kind:     hidden_group_size_x
      - .offset:         158
        .size:           2
        .value_kind:     hidden_group_size_y
      - .offset:         160
        .size:           2
        .value_kind:     hidden_group_size_z
      - .offset:         162
        .size:           2
        .value_kind:     hidden_remainder_x
      - .offset:         164
        .size:           2
        .value_kind:     hidden_remainder_y
      - .offset:         166
        .size:           2
        .value_kind:     hidden_remainder_z
      - .offset:         184
        .size:           8
        .value_kind:     hidden_global_offset_x
      - .offset:         192
        .size:           8
        .value_kind:     hidden_global_offset_y
      - .offset:         200
        .size:           8
        .value_kind:     hidden_global_offset_z
      - .offset:         208
        .size:           2
        .value_kind:     hidden_grid_dims
    .group_segment_fixed_size: 32
    .kernarg_segment_align: 8
    .kernarg_segment_size: 400
    .language:       OpenCL C
    .language_version:
      - 2
      - 0
    .max_flat_workgroup_size: 1024
    .name:           _ZN5aiter35fused_qk_rmsnorm_group_quant_kernelIDF16_DB8_Li256ELi16ELi2ELb0ELb1ELb1ELb0ELb0ELb0EEEvPT0_PvPT_S6_S6_PKS5_S8_S8_S8_S8_ffiiiiiiiiiiiii
    .private_segment_fixed_size: 0
    .sgpr_count:     40
    .sgpr_spill_count: 0
    .symbol:         _ZN5aiter35fused_qk_rmsnorm_group_quant_kernelIDF16_DB8_Li256ELi16ELi2ELb0ELb1ELb1ELb0ELb0ELb0EEEvPT0_PvPT_S6_S6_PKS5_S8_S8_S8_S8_ffiiiiiiiiiiiii.kd
    .uniform_work_group_size: 1
    .uses_dynamic_stack: false
    .vgpr_count:     35
    .vgpr_spill_count: 0
    .wavefront_size: 64
  - .agpr_count:     0
    .args:
      - .actual_access:  write_only
        .address_space:  global
        .offset:         0
        .size:           8
        .value_kind:     global_buffer
      - .actual_access:  write_only
        .address_space:  global
        .offset:         8
        .size:           8
        .value_kind:     global_buffer
      - .actual_access:  write_only
        .address_space:  global
        .offset:         16
        .size:           8
        .value_kind:     global_buffer
      - .actual_access:  write_only
        .address_space:  global
        .offset:         24
        .size:           8
        .value_kind:     global_buffer
      - .actual_access:  read_only
        .address_space:  global
        .offset:         32
        .size:           8
        .value_kind:     global_buffer
      - .actual_access:  read_only
        .address_space:  global
        .offset:         40
        .size:           8
        .value_kind:     global_buffer
      - .actual_access:  read_only
        .address_space:  global
        .offset:         48
        .size:           8
        .value_kind:     global_buffer
      - .actual_access:  read_only
        .address_space:  global
        .offset:         56
        .size:           8
        .value_kind:     global_buffer
      - .actual_access:  read_only
        .address_space:  global
        .offset:         64
        .size:           8
        .value_kind:     global_buffer
      - .actual_access:  read_only
        .address_space:  global
        .offset:         72
        .size:           8
        .value_kind:     global_buffer
      - .offset:         80
        .size:           4
        .value_kind:     by_value
      - .offset:         84
        .size:           4
        .value_kind:     by_value
      - .offset:         88
        .size:           4
        .value_kind:     by_value
      - .offset:         92
        .size:           4
        .value_kind:     by_value
      - .offset:         96
        .size:           4
        .value_kind:     by_value
      - .offset:         100
        .size:           4
        .value_kind:     by_value
      - .offset:         104
        .size:           4
        .value_kind:     by_value
      - .offset:         108
        .size:           4
        .value_kind:     by_value
      - .offset:         112
        .size:           4
        .value_kind:     by_value
      - .offset:         116
        .size:           4
        .value_kind:     by_value
      - .offset:         120
        .size:           4
        .value_kind:     by_value
      - .offset:         124
        .size:           4
        .value_kind:     by_value
      - .offset:         128
        .size:           4
        .value_kind:     by_value
      - .offset:         132
        .size:           4
        .value_kind:     by_value
      - .offset:         136
        .size:           4
        .value_kind:     by_value
      - .offset:         144
        .size:           4
        .value_kind:     hidden_block_count_x
      - .offset:         148
        .size:           4
        .value_kind:     hidden_block_count_y
      - .offset:         152
        .size:           4
        .value_kind:     hidden_block_count_z
      - .offset:         156
        .size:           2
        .value_kind:     hidden_group_size_x
      - .offset:         158
        .size:           2
        .value_kind:     hidden_group_size_y
      - .offset:         160
        .size:           2
        .value_kind:     hidden_group_size_z
      - .offset:         162
        .size:           2
        .value_kind:     hidden_remainder_x
      - .offset:         164
        .size:           2
        .value_kind:     hidden_remainder_y
      - .offset:         166
        .size:           2
        .value_kind:     hidden_remainder_z
      - .offset:         184
        .size:           8
        .value_kind:     hidden_global_offset_x
      - .offset:         192
        .size:           8
        .value_kind:     hidden_global_offset_y
      - .offset:         200
        .size:           8
        .value_kind:     hidden_global_offset_z
      - .offset:         208
        .size:           2
        .value_kind:     hidden_grid_dims
    .group_segment_fixed_size: 32
    .kernarg_segment_align: 8
    .kernarg_segment_size: 400
    .language:       OpenCL C
    .language_version:
      - 2
      - 0
    .max_flat_workgroup_size: 1024
    .name:           _ZN5aiter35fused_qk_rmsnorm_group_quant_kernelItDB8_Li256ELi16ELi2ELb0ELb1ELb1ELb0ELb0ELb0EEEvPT0_PvPT_S6_S6_PKS5_S8_S8_S8_S8_ffiiiiiiiiiiiii
    .private_segment_fixed_size: 0
    .sgpr_count:     40
    .sgpr_spill_count: 0
    .symbol:         _ZN5aiter35fused_qk_rmsnorm_group_quant_kernelItDB8_Li256ELi16ELi2ELb0ELb1ELb1ELb0ELb0ELb0EEEvPT0_PvPT_S6_S6_PKS5_S8_S8_S8_S8_ffiiiiiiiiiiiii.kd
    .uniform_work_group_size: 1
    .uses_dynamic_stack: false
    .vgpr_count:     35
    .vgpr_spill_count: 0
    .wavefront_size: 64
  - .agpr_count:     0
    .args:
      - .actual_access:  write_only
        .address_space:  global
        .offset:         0
        .size:           8
        .value_kind:     global_buffer
      - .actual_access:  write_only
        .address_space:  global
        .offset:         8
        .size:           8
        .value_kind:     global_buffer
      - .actual_access:  write_only
        .address_space:  global
        .offset:         16
        .size:           8
        .value_kind:     global_buffer
      - .actual_access:  write_only
        .address_space:  global
        .offset:         24
        .size:           8
        .value_kind:     global_buffer
      - .actual_access:  read_only
        .address_space:  global
        .offset:         32
        .size:           8
        .value_kind:     global_buffer
      - .actual_access:  read_only
        .address_space:  global
        .offset:         40
        .size:           8
        .value_kind:     global_buffer
      - .actual_access:  read_only
        .address_space:  global
        .offset:         48
        .size:           8
        .value_kind:     global_buffer
      - .actual_access:  read_only
        .address_space:  global
        .offset:         56
        .size:           8
        .value_kind:     global_buffer
      - .actual_access:  read_only
        .address_space:  global
        .offset:         64
        .size:           8
        .value_kind:     global_buffer
      - .actual_access:  read_only
        .address_space:  global
        .offset:         72
        .size:           8
        .value_kind:     global_buffer
      - .offset:         80
        .size:           4
        .value_kind:     by_value
      - .offset:         84
        .size:           4
        .value_kind:     by_value
      - .offset:         88
        .size:           4
        .value_kind:     by_value
      - .offset:         92
        .size:           4
        .value_kind:     by_value
      - .offset:         96
        .size:           4
        .value_kind:     by_value
      - .offset:         100
        .size:           4
        .value_kind:     by_value
      - .offset:         104
        .size:           4
        .value_kind:     by_value
      - .offset:         108
        .size:           4
        .value_kind:     by_value
      - .offset:         112
        .size:           4
        .value_kind:     by_value
      - .offset:         116
        .size:           4
        .value_kind:     by_value
      - .offset:         120
        .size:           4
        .value_kind:     by_value
      - .offset:         124
        .size:           4
        .value_kind:     by_value
      - .offset:         128
        .size:           4
        .value_kind:     by_value
      - .offset:         132
        .size:           4
        .value_kind:     by_value
      - .offset:         136
        .size:           4
        .value_kind:     by_value
      - .offset:         144
        .size:           4
        .value_kind:     hidden_block_count_x
      - .offset:         148
        .size:           4
        .value_kind:     hidden_block_count_y
      - .offset:         152
        .size:           4
        .value_kind:     hidden_block_count_z
      - .offset:         156
        .size:           2
        .value_kind:     hidden_group_size_x
      - .offset:         158
        .size:           2
        .value_kind:     hidden_group_size_y
      - .offset:         160
        .size:           2
        .value_kind:     hidden_group_size_z
      - .offset:         162
        .size:           2
        .value_kind:     hidden_remainder_x
      - .offset:         164
        .size:           2
        .value_kind:     hidden_remainder_y
      - .offset:         166
        .size:           2
        .value_kind:     hidden_remainder_z
      - .offset:         184
        .size:           8
        .value_kind:     hidden_global_offset_x
      - .offset:         192
        .size:           8
        .value_kind:     hidden_global_offset_y
      - .offset:         200
        .size:           8
        .value_kind:     hidden_global_offset_z
      - .offset:         208
        .size:           2
        .value_kind:     hidden_grid_dims
    .group_segment_fixed_size: 32
    .kernarg_segment_align: 8
    .kernarg_segment_size: 400
    .language:       OpenCL C
    .language_version:
      - 2
      - 0
    .max_flat_workgroup_size: 1024
    .name:           _ZN5aiter35fused_qk_rmsnorm_group_quant_kernelIDF16_N4opus5fp4_tELi256ELi16ELi2ELb0ELb1ELb1ELb0ELb0ELb0EEEvPT0_PvPT_S7_S7_PKS6_S9_S9_S9_S9_ffiiiiiiiiiiiii
    .private_segment_fixed_size: 0
    .sgpr_count:     40
    .sgpr_spill_count: 0
    .symbol:         _ZN5aiter35fused_qk_rmsnorm_group_quant_kernelIDF16_N4opus5fp4_tELi256ELi16ELi2ELb0ELb1ELb1ELb0ELb0ELb0EEEvPT0_PvPT_S7_S7_PKS6_S9_S9_S9_S9_ffiiiiiiiiiiiii.kd
    .uniform_work_group_size: 1
    .uses_dynamic_stack: false
    .vgpr_count:     35
    .vgpr_spill_count: 0
    .wavefront_size: 64
  - .agpr_count:     0
    .args:
      - .actual_access:  write_only
        .address_space:  global
        .offset:         0
        .size:           8
        .value_kind:     global_buffer
      - .actual_access:  write_only
        .address_space:  global
        .offset:         8
        .size:           8
        .value_kind:     global_buffer
      - .actual_access:  write_only
        .address_space:  global
        .offset:         16
        .size:           8
        .value_kind:     global_buffer
      - .actual_access:  write_only
        .address_space:  global
        .offset:         24
        .size:           8
        .value_kind:     global_buffer
      - .actual_access:  read_only
        .address_space:  global
        .offset:         32
        .size:           8
        .value_kind:     global_buffer
      - .actual_access:  read_only
        .address_space:  global
        .offset:         40
        .size:           8
        .value_kind:     global_buffer
      - .actual_access:  read_only
        .address_space:  global
        .offset:         48
        .size:           8
        .value_kind:     global_buffer
      - .actual_access:  read_only
        .address_space:  global
        .offset:         56
        .size:           8
        .value_kind:     global_buffer
      - .actual_access:  read_only
        .address_space:  global
        .offset:         64
        .size:           8
        .value_kind:     global_buffer
      - .actual_access:  read_only
        .address_space:  global
        .offset:         72
        .size:           8
        .value_kind:     global_buffer
      - .offset:         80
        .size:           4
        .value_kind:     by_value
      - .offset:         84
        .size:           4
        .value_kind:     by_value
      - .offset:         88
        .size:           4
        .value_kind:     by_value
      - .offset:         92
        .size:           4
        .value_kind:     by_value
      - .offset:         96
        .size:           4
        .value_kind:     by_value
      - .offset:         100
        .size:           4
        .value_kind:     by_value
      - .offset:         104
        .size:           4
        .value_kind:     by_value
      - .offset:         108
        .size:           4
        .value_kind:     by_value
      - .offset:         112
        .size:           4
        .value_kind:     by_value
      - .offset:         116
        .size:           4
        .value_kind:     by_value
      - .offset:         120
        .size:           4
        .value_kind:     by_value
      - .offset:         124
        .size:           4
        .value_kind:     by_value
      - .offset:         128
        .size:           4
        .value_kind:     by_value
      - .offset:         132
        .size:           4
        .value_kind:     by_value
      - .offset:         136
        .size:           4
        .value_kind:     by_value
      - .offset:         144
        .size:           4
        .value_kind:     hidden_block_count_x
      - .offset:         148
        .size:           4
        .value_kind:     hidden_block_count_y
      - .offset:         152
        .size:           4
        .value_kind:     hidden_block_count_z
      - .offset:         156
        .size:           2
        .value_kind:     hidden_group_size_x
      - .offset:         158
        .size:           2
        .value_kind:     hidden_group_size_y
      - .offset:         160
        .size:           2
        .value_kind:     hidden_group_size_z
      - .offset:         162
        .size:           2
        .value_kind:     hidden_remainder_x
      - .offset:         164
        .size:           2
        .value_kind:     hidden_remainder_y
      - .offset:         166
        .size:           2
        .value_kind:     hidden_remainder_z
      - .offset:         184
        .size:           8
        .value_kind:     hidden_global_offset_x
      - .offset:         192
        .size:           8
        .value_kind:     hidden_global_offset_y
      - .offset:         200
        .size:           8
        .value_kind:     hidden_global_offset_z
      - .offset:         208
        .size:           2
        .value_kind:     hidden_grid_dims
    .group_segment_fixed_size: 32
    .kernarg_segment_align: 8
    .kernarg_segment_size: 400
    .language:       OpenCL C
    .language_version:
      - 2
      - 0
    .max_flat_workgroup_size: 1024
    .name:           _ZN5aiter35fused_qk_rmsnorm_group_quant_kernelItN4opus5fp4_tELi256ELi16ELi2ELb0ELb1ELb1ELb0ELb0ELb0EEEvPT0_PvPT_S7_S7_PKS6_S9_S9_S9_S9_ffiiiiiiiiiiiii
    .private_segment_fixed_size: 0
    .sgpr_count:     40
    .sgpr_spill_count: 0
    .symbol:         _ZN5aiter35fused_qk_rmsnorm_group_quant_kernelItN4opus5fp4_tELi256ELi16ELi2ELb0ELb1ELb1ELb0ELb0ELb0EEEvPT0_PvPT_S7_S7_PKS6_S9_S9_S9_S9_ffiiiiiiiiiiiii.kd
    .uniform_work_group_size: 1
    .uses_dynamic_stack: false
    .vgpr_count:     35
    .vgpr_spill_count: 0
    .wavefront_size: 64
  - .agpr_count:     0
    .args:
      - .actual_access:  write_only
        .address_space:  global
        .offset:         0
        .size:           8
        .value_kind:     global_buffer
      - .actual_access:  write_only
        .address_space:  global
        .offset:         8
        .size:           8
        .value_kind:     global_buffer
      - .actual_access:  write_only
        .address_space:  global
        .offset:         16
        .size:           8
        .value_kind:     global_buffer
      - .actual_access:  write_only
        .address_space:  global
        .offset:         24
        .size:           8
        .value_kind:     global_buffer
      - .actual_access:  read_only
        .address_space:  global
        .offset:         32
        .size:           8
        .value_kind:     global_buffer
      - .actual_access:  read_only
        .address_space:  global
        .offset:         40
        .size:           8
        .value_kind:     global_buffer
      - .actual_access:  read_only
        .address_space:  global
        .offset:         48
        .size:           8
        .value_kind:     global_buffer
      - .actual_access:  read_only
        .address_space:  global
        .offset:         56
        .size:           8
        .value_kind:     global_buffer
      - .actual_access:  read_only
        .address_space:  global
        .offset:         64
        .size:           8
        .value_kind:     global_buffer
      - .actual_access:  read_only
        .address_space:  global
        .offset:         72
        .size:           8
        .value_kind:     global_buffer
      - .offset:         80
        .size:           4
        .value_kind:     by_value
      - .offset:         84
        .size:           4
        .value_kind:     by_value
      - .offset:         88
        .size:           4
        .value_kind:     by_value
      - .offset:         92
        .size:           4
        .value_kind:     by_value
      - .offset:         96
        .size:           4
        .value_kind:     by_value
      - .offset:         100
        .size:           4
        .value_kind:     by_value
      - .offset:         104
        .size:           4
        .value_kind:     by_value
      - .offset:         108
        .size:           4
        .value_kind:     by_value
      - .offset:         112
        .size:           4
        .value_kind:     by_value
      - .offset:         116
        .size:           4
        .value_kind:     by_value
      - .offset:         120
        .size:           4
        .value_kind:     by_value
      - .offset:         124
        .size:           4
        .value_kind:     by_value
      - .offset:         128
        .size:           4
        .value_kind:     by_value
      - .offset:         132
        .size:           4
        .value_kind:     by_value
      - .offset:         136
        .size:           4
        .value_kind:     by_value
      - .offset:         144
        .size:           4
        .value_kind:     hidden_block_count_x
      - .offset:         148
        .size:           4
        .value_kind:     hidden_block_count_y
      - .offset:         152
        .size:           4
        .value_kind:     hidden_block_count_z
      - .offset:         156
        .size:           2
        .value_kind:     hidden_group_size_x
      - .offset:         158
        .size:           2
        .value_kind:     hidden_group_size_y
      - .offset:         160
        .size:           2
        .value_kind:     hidden_group_size_z
      - .offset:         162
        .size:           2
        .value_kind:     hidden_remainder_x
      - .offset:         164
        .size:           2
        .value_kind:     hidden_remainder_y
      - .offset:         166
        .size:           2
        .value_kind:     hidden_remainder_z
      - .offset:         184
        .size:           8
        .value_kind:     hidden_global_offset_x
      - .offset:         192
        .size:           8
        .value_kind:     hidden_global_offset_y
      - .offset:         200
        .size:           8
        .value_kind:     hidden_global_offset_z
      - .offset:         208
        .size:           2
        .value_kind:     hidden_grid_dims
    .group_segment_fixed_size: 32
    .kernarg_segment_align: 8
    .kernarg_segment_size: 400
    .language:       OpenCL C
    .language_version:
      - 2
      - 0
    .max_flat_workgroup_size: 1024
    .name:           _ZN5aiter35fused_qk_rmsnorm_group_quant_kernelIDF16_DB8_Li256ELi16ELi2ELb0ELb1ELb0ELb0ELb0ELb0EEEvPT0_PvPT_S6_S6_PKS5_S8_S8_S8_S8_ffiiiiiiiiiiiii
    .private_segment_fixed_size: 0
    .sgpr_count:     40
    .sgpr_spill_count: 0
    .symbol:         _ZN5aiter35fused_qk_rmsnorm_group_quant_kernelIDF16_DB8_Li256ELi16ELi2ELb0ELb1ELb0ELb0ELb0ELb0EEEvPT0_PvPT_S6_S6_PKS5_S8_S8_S8_S8_ffiiiiiiiiiiiii.kd
    .uniform_work_group_size: 1
    .uses_dynamic_stack: false
    .vgpr_count:     38
    .vgpr_spill_count: 0
    .wavefront_size: 64
  - .agpr_count:     0
    .args:
      - .actual_access:  write_only
        .address_space:  global
        .offset:         0
        .size:           8
        .value_kind:     global_buffer
      - .actual_access:  write_only
        .address_space:  global
        .offset:         8
        .size:           8
        .value_kind:     global_buffer
      - .actual_access:  write_only
        .address_space:  global
        .offset:         16
        .size:           8
        .value_kind:     global_buffer
      - .actual_access:  write_only
        .address_space:  global
        .offset:         24
        .size:           8
        .value_kind:     global_buffer
      - .actual_access:  read_only
        .address_space:  global
        .offset:         32
        .size:           8
        .value_kind:     global_buffer
      - .actual_access:  read_only
        .address_space:  global
        .offset:         40
        .size:           8
        .value_kind:     global_buffer
      - .actual_access:  read_only
        .address_space:  global
        .offset:         48
        .size:           8
        .value_kind:     global_buffer
      - .actual_access:  read_only
        .address_space:  global
        .offset:         56
        .size:           8
        .value_kind:     global_buffer
      - .actual_access:  read_only
        .address_space:  global
        .offset:         64
        .size:           8
        .value_kind:     global_buffer
      - .actual_access:  read_only
        .address_space:  global
        .offset:         72
        .size:           8
        .value_kind:     global_buffer
      - .offset:         80
        .size:           4
        .value_kind:     by_value
      - .offset:         84
        .size:           4
        .value_kind:     by_value
      - .offset:         88
        .size:           4
        .value_kind:     by_value
      - .offset:         92
        .size:           4
        .value_kind:     by_value
      - .offset:         96
        .size:           4
        .value_kind:     by_value
      - .offset:         100
        .size:           4
        .value_kind:     by_value
      - .offset:         104
        .size:           4
        .value_kind:     by_value
      - .offset:         108
        .size:           4
        .value_kind:     by_value
      - .offset:         112
        .size:           4
        .value_kind:     by_value
      - .offset:         116
        .size:           4
        .value_kind:     by_value
      - .offset:         120
        .size:           4
        .value_kind:     by_value
      - .offset:         124
        .size:           4
        .value_kind:     by_value
      - .offset:         128
        .size:           4
        .value_kind:     by_value
      - .offset:         132
        .size:           4
        .value_kind:     by_value
      - .offset:         136
        .size:           4
        .value_kind:     by_value
      - .offset:         144
        .size:           4
        .value_kind:     hidden_block_count_x
      - .offset:         148
        .size:           4
        .value_kind:     hidden_block_count_y
      - .offset:         152
        .size:           4
        .value_kind:     hidden_block_count_z
      - .offset:         156
        .size:           2
        .value_kind:     hidden_group_size_x
      - .offset:         158
        .size:           2
        .value_kind:     hidden_group_size_y
      - .offset:         160
        .size:           2
        .value_kind:     hidden_group_size_z
      - .offset:         162
        .size:           2
        .value_kind:     hidden_remainder_x
      - .offset:         164
        .size:           2
        .value_kind:     hidden_remainder_y
      - .offset:         166
        .size:           2
        .value_kind:     hidden_remainder_z
      - .offset:         184
        .size:           8
        .value_kind:     hidden_global_offset_x
      - .offset:         192
        .size:           8
        .value_kind:     hidden_global_offset_y
      - .offset:         200
        .size:           8
        .value_kind:     hidden_global_offset_z
      - .offset:         208
        .size:           2
        .value_kind:     hidden_grid_dims
    .group_segment_fixed_size: 32
    .kernarg_segment_align: 8
    .kernarg_segment_size: 400
    .language:       OpenCL C
    .language_version:
      - 2
      - 0
    .max_flat_workgroup_size: 1024
    .name:           _ZN5aiter35fused_qk_rmsnorm_group_quant_kernelItDB8_Li256ELi16ELi2ELb0ELb1ELb0ELb0ELb0ELb0EEEvPT0_PvPT_S6_S6_PKS5_S8_S8_S8_S8_ffiiiiiiiiiiiii
    .private_segment_fixed_size: 0
    .sgpr_count:     40
    .sgpr_spill_count: 0
    .symbol:         _ZN5aiter35fused_qk_rmsnorm_group_quant_kernelItDB8_Li256ELi16ELi2ELb0ELb1ELb0ELb0ELb0ELb0EEEvPT0_PvPT_S6_S6_PKS5_S8_S8_S8_S8_ffiiiiiiiiiiiii.kd
    .uniform_work_group_size: 1
    .uses_dynamic_stack: false
    .vgpr_count:     38
    .vgpr_spill_count: 0
    .wavefront_size: 64
  - .agpr_count:     0
    .args:
      - .actual_access:  write_only
        .address_space:  global
        .offset:         0
        .size:           8
        .value_kind:     global_buffer
      - .actual_access:  write_only
        .address_space:  global
        .offset:         8
        .size:           8
        .value_kind:     global_buffer
      - .actual_access:  write_only
        .address_space:  global
        .offset:         16
        .size:           8
        .value_kind:     global_buffer
      - .actual_access:  write_only
        .address_space:  global
        .offset:         24
        .size:           8
        .value_kind:     global_buffer
      - .actual_access:  read_only
        .address_space:  global
        .offset:         32
        .size:           8
        .value_kind:     global_buffer
      - .actual_access:  read_only
        .address_space:  global
        .offset:         40
        .size:           8
        .value_kind:     global_buffer
      - .actual_access:  read_only
        .address_space:  global
        .offset:         48
        .size:           8
        .value_kind:     global_buffer
      - .actual_access:  read_only
        .address_space:  global
        .offset:         56
        .size:           8
        .value_kind:     global_buffer
      - .actual_access:  read_only
        .address_space:  global
        .offset:         64
        .size:           8
        .value_kind:     global_buffer
      - .actual_access:  read_only
        .address_space:  global
        .offset:         72
        .size:           8
        .value_kind:     global_buffer
      - .offset:         80
        .size:           4
        .value_kind:     by_value
      - .offset:         84
        .size:           4
        .value_kind:     by_value
      - .offset:         88
        .size:           4
        .value_kind:     by_value
      - .offset:         92
        .size:           4
        .value_kind:     by_value
      - .offset:         96
        .size:           4
        .value_kind:     by_value
      - .offset:         100
        .size:           4
        .value_kind:     by_value
      - .offset:         104
        .size:           4
        .value_kind:     by_value
      - .offset:         108
        .size:           4
        .value_kind:     by_value
      - .offset:         112
        .size:           4
        .value_kind:     by_value
      - .offset:         116
        .size:           4
        .value_kind:     by_value
      - .offset:         120
        .size:           4
        .value_kind:     by_value
      - .offset:         124
        .size:           4
        .value_kind:     by_value
      - .offset:         128
        .size:           4
        .value_kind:     by_value
      - .offset:         132
        .size:           4
        .value_kind:     by_value
      - .offset:         136
        .size:           4
        .value_kind:     by_value
      - .offset:         144
        .size:           4
        .value_kind:     hidden_block_count_x
      - .offset:         148
        .size:           4
        .value_kind:     hidden_block_count_y
      - .offset:         152
        .size:           4
        .value_kind:     hidden_block_count_z
      - .offset:         156
        .size:           2
        .value_kind:     hidden_group_size_x
      - .offset:         158
        .size:           2
        .value_kind:     hidden_group_size_y
      - .offset:         160
        .size:           2
        .value_kind:     hidden_group_size_z
      - .offset:         162
        .size:           2
        .value_kind:     hidden_remainder_x
      - .offset:         164
        .size:           2
        .value_kind:     hidden_remainder_y
      - .offset:         166
        .size:           2
        .value_kind:     hidden_remainder_z
      - .offset:         184
        .size:           8
        .value_kind:     hidden_global_offset_x
      - .offset:         192
        .size:           8
        .value_kind:     hidden_global_offset_y
      - .offset:         200
        .size:           8
        .value_kind:     hidden_global_offset_z
      - .offset:         208
        .size:           2
        .value_kind:     hidden_grid_dims
    .group_segment_fixed_size: 32
    .kernarg_segment_align: 8
    .kernarg_segment_size: 400
    .language:       OpenCL C
    .language_version:
      - 2
      - 0
    .max_flat_workgroup_size: 1024
    .name:           _ZN5aiter35fused_qk_rmsnorm_group_quant_kernelIDF16_N4opus5fp4_tELi256ELi16ELi2ELb0ELb1ELb0ELb0ELb0ELb0EEEvPT0_PvPT_S7_S7_PKS6_S9_S9_S9_S9_ffiiiiiiiiiiiii
    .private_segment_fixed_size: 0
    .sgpr_count:     40
    .sgpr_spill_count: 0
    .symbol:         _ZN5aiter35fused_qk_rmsnorm_group_quant_kernelIDF16_N4opus5fp4_tELi256ELi16ELi2ELb0ELb1ELb0ELb0ELb0ELb0EEEvPT0_PvPT_S7_S7_PKS6_S9_S9_S9_S9_ffiiiiiiiiiiiii.kd
    .uniform_work_group_size: 1
    .uses_dynamic_stack: false
    .vgpr_count:     35
    .vgpr_spill_count: 0
    .wavefront_size: 64
  - .agpr_count:     0
    .args:
      - .actual_access:  write_only
        .address_space:  global
        .offset:         0
        .size:           8
        .value_kind:     global_buffer
      - .actual_access:  write_only
        .address_space:  global
        .offset:         8
        .size:           8
        .value_kind:     global_buffer
      - .actual_access:  write_only
        .address_space:  global
        .offset:         16
        .size:           8
        .value_kind:     global_buffer
      - .actual_access:  write_only
        .address_space:  global
        .offset:         24
        .size:           8
        .value_kind:     global_buffer
      - .actual_access:  read_only
        .address_space:  global
        .offset:         32
        .size:           8
        .value_kind:     global_buffer
      - .actual_access:  read_only
        .address_space:  global
        .offset:         40
        .size:           8
        .value_kind:     global_buffer
      - .actual_access:  read_only
        .address_space:  global
        .offset:         48
        .size:           8
        .value_kind:     global_buffer
      - .actual_access:  read_only
        .address_space:  global
        .offset:         56
        .size:           8
        .value_kind:     global_buffer
      - .actual_access:  read_only
        .address_space:  global
        .offset:         64
        .size:           8
        .value_kind:     global_buffer
      - .actual_access:  read_only
        .address_space:  global
        .offset:         72
        .size:           8
        .value_kind:     global_buffer
      - .offset:         80
        .size:           4
        .value_kind:     by_value
      - .offset:         84
        .size:           4
        .value_kind:     by_value
      - .offset:         88
        .size:           4
        .value_kind:     by_value
      - .offset:         92
        .size:           4
        .value_kind:     by_value
      - .offset:         96
        .size:           4
        .value_kind:     by_value
      - .offset:         100
        .size:           4
        .value_kind:     by_value
      - .offset:         104
        .size:           4
        .value_kind:     by_value
      - .offset:         108
        .size:           4
        .value_kind:     by_value
      - .offset:         112
        .size:           4
        .value_kind:     by_value
      - .offset:         116
        .size:           4
        .value_kind:     by_value
      - .offset:         120
        .size:           4
        .value_kind:     by_value
      - .offset:         124
        .size:           4
        .value_kind:     by_value
      - .offset:         128
        .size:           4
        .value_kind:     by_value
      - .offset:         132
        .size:           4
        .value_kind:     by_value
      - .offset:         136
        .size:           4
        .value_kind:     by_value
      - .offset:         144
        .size:           4
        .value_kind:     hidden_block_count_x
      - .offset:         148
        .size:           4
        .value_kind:     hidden_block_count_y
      - .offset:         152
        .size:           4
        .value_kind:     hidden_block_count_z
      - .offset:         156
        .size:           2
        .value_kind:     hidden_group_size_x
      - .offset:         158
        .size:           2
        .value_kind:     hidden_group_size_y
      - .offset:         160
        .size:           2
        .value_kind:     hidden_group_size_z
      - .offset:         162
        .size:           2
        .value_kind:     hidden_remainder_x
      - .offset:         164
        .size:           2
        .value_kind:     hidden_remainder_y
      - .offset:         166
        .size:           2
        .value_kind:     hidden_remainder_z
      - .offset:         184
        .size:           8
        .value_kind:     hidden_global_offset_x
      - .offset:         192
        .size:           8
        .value_kind:     hidden_global_offset_y
      - .offset:         200
        .size:           8
        .value_kind:     hidden_global_offset_z
      - .offset:         208
        .size:           2
        .value_kind:     hidden_grid_dims
    .group_segment_fixed_size: 32
    .kernarg_segment_align: 8
    .kernarg_segment_size: 400
    .language:       OpenCL C
    .language_version:
      - 2
      - 0
    .max_flat_workgroup_size: 1024
    .name:           _ZN5aiter35fused_qk_rmsnorm_group_quant_kernelItN4opus5fp4_tELi256ELi16ELi2ELb0ELb1ELb0ELb0ELb0ELb0EEEvPT0_PvPT_S7_S7_PKS6_S9_S9_S9_S9_ffiiiiiiiiiiiii
    .private_segment_fixed_size: 0
    .sgpr_count:     40
    .sgpr_spill_count: 0
    .symbol:         _ZN5aiter35fused_qk_rmsnorm_group_quant_kernelItN4opus5fp4_tELi256ELi16ELi2ELb0ELb1ELb0ELb0ELb0ELb0EEEvPT0_PvPT_S7_S7_PKS6_S9_S9_S9_S9_ffiiiiiiiiiiiii.kd
    .uniform_work_group_size: 1
    .uses_dynamic_stack: false
    .vgpr_count:     35
    .vgpr_spill_count: 0
    .wavefront_size: 64
  - .agpr_count:     0
    .args:
      - .actual_access:  write_only
        .address_space:  global
        .offset:         0
        .size:           8
        .value_kind:     global_buffer
      - .actual_access:  write_only
        .address_space:  global
        .offset:         8
        .size:           8
        .value_kind:     global_buffer
      - .actual_access:  read_only
        .address_space:  global
        .offset:         16
        .size:           8
        .value_kind:     global_buffer
      - .actual_access:  write_only
        .address_space:  global
        .offset:         24
        .size:           8
        .value_kind:     global_buffer
      - .actual_access:  read_only
        .address_space:  global
        .offset:         32
        .size:           8
        .value_kind:     global_buffer
      - .actual_access:  read_only
        .address_space:  global
        .offset:         40
        .size:           8
        .value_kind:     global_buffer
      - .actual_access:  read_only
        .address_space:  global
        .offset:         48
        .size:           8
        .value_kind:     global_buffer
      - .actual_access:  read_only
        .address_space:  global
        .offset:         56
        .size:           8
        .value_kind:     global_buffer
      - .actual_access:  read_only
        .address_space:  global
        .offset:         64
        .size:           8
        .value_kind:     global_buffer
      - .actual_access:  read_only
        .address_space:  global
        .offset:         72
        .size:           8
        .value_kind:     global_buffer
      - .offset:         80
        .size:           4
        .value_kind:     by_value
      - .offset:         84
        .size:           4
        .value_kind:     by_value
      - .offset:         88
        .size:           4
        .value_kind:     by_value
      - .offset:         92
        .size:           4
        .value_kind:     by_value
      - .offset:         96
        .size:           4
        .value_kind:     by_value
      - .offset:         100
        .size:           4
        .value_kind:     by_value
      - .offset:         104
        .size:           4
        .value_kind:     by_value
      - .offset:         108
        .size:           4
        .value_kind:     by_value
      - .offset:         112
        .size:           4
        .value_kind:     by_value
      - .offset:         116
        .size:           4
        .value_kind:     by_value
      - .offset:         120
        .size:           4
        .value_kind:     by_value
      - .offset:         124
        .size:           4
        .value_kind:     by_value
      - .offset:         128
        .size:           4
        .value_kind:     by_value
      - .offset:         132
        .size:           4
        .value_kind:     by_value
      - .offset:         136
        .size:           4
        .value_kind:     by_value
      - .offset:         144
        .size:           4
        .value_kind:     hidden_block_count_x
      - .offset:         148
        .size:           4
        .value_kind:     hidden_block_count_y
      - .offset:         152
        .size:           4
        .value_kind:     hidden_block_count_z
      - .offset:         156
        .size:           2
        .value_kind:     hidden_group_size_x
      - .offset:         158
        .size:           2
        .value_kind:     hidden_group_size_y
      - .offset:         160
        .size:           2
        .value_kind:     hidden_group_size_z
      - .offset:         162
        .size:           2
        .value_kind:     hidden_remainder_x
      - .offset:         164
        .size:           2
        .value_kind:     hidden_remainder_y
      - .offset:         166
        .size:           2
        .value_kind:     hidden_remainder_z
      - .offset:         184
        .size:           8
        .value_kind:     hidden_global_offset_x
      - .offset:         192
        .size:           8
        .value_kind:     hidden_global_offset_y
      - .offset:         200
        .size:           8
        .value_kind:     hidden_global_offset_z
      - .offset:         208
        .size:           2
        .value_kind:     hidden_grid_dims
    .group_segment_fixed_size: 32
    .kernarg_segment_align: 8
    .kernarg_segment_size: 400
    .language:       OpenCL C
    .language_version:
      - 2
      - 0
    .max_flat_workgroup_size: 1024
    .name:           _ZN5aiter35fused_qk_rmsnorm_group_quant_kernelIDF16_DB8_Li256ELi16ELi2ELb0ELb0ELb1ELb0ELb0ELb0EEEvPT0_PvPT_S6_S6_PKS5_S8_S8_S8_S8_ffiiiiiiiiiiiii
    .private_segment_fixed_size: 0
    .sgpr_count:     36
    .sgpr_spill_count: 0
    .symbol:         _ZN5aiter35fused_qk_rmsnorm_group_quant_kernelIDF16_DB8_Li256ELi16ELi2ELb0ELb0ELb1ELb0ELb0ELb0EEEvPT0_PvPT_S6_S6_PKS5_S8_S8_S8_S8_ffiiiiiiiiiiiii.kd
    .uniform_work_group_size: 1
    .uses_dynamic_stack: false
    .vgpr_count:     35
    .vgpr_spill_count: 0
    .wavefront_size: 64
  - .agpr_count:     0
    .args:
      - .actual_access:  write_only
        .address_space:  global
        .offset:         0
        .size:           8
        .value_kind:     global_buffer
      - .actual_access:  write_only
        .address_space:  global
        .offset:         8
        .size:           8
        .value_kind:     global_buffer
      - .actual_access:  read_only
        .address_space:  global
        .offset:         16
        .size:           8
        .value_kind:     global_buffer
      - .actual_access:  write_only
        .address_space:  global
        .offset:         24
        .size:           8
        .value_kind:     global_buffer
      - .actual_access:  read_only
        .address_space:  global
        .offset:         32
        .size:           8
        .value_kind:     global_buffer
      - .actual_access:  read_only
        .address_space:  global
        .offset:         40
        .size:           8
        .value_kind:     global_buffer
      - .actual_access:  read_only
        .address_space:  global
        .offset:         48
        .size:           8
        .value_kind:     global_buffer
      - .actual_access:  read_only
        .address_space:  global
        .offset:         56
        .size:           8
        .value_kind:     global_buffer
      - .actual_access:  read_only
        .address_space:  global
        .offset:         64
        .size:           8
        .value_kind:     global_buffer
      - .actual_access:  read_only
        .address_space:  global
        .offset:         72
        .size:           8
        .value_kind:     global_buffer
      - .offset:         80
        .size:           4
        .value_kind:     by_value
      - .offset:         84
        .size:           4
        .value_kind:     by_value
      - .offset:         88
        .size:           4
        .value_kind:     by_value
      - .offset:         92
        .size:           4
        .value_kind:     by_value
      - .offset:         96
        .size:           4
        .value_kind:     by_value
      - .offset:         100
        .size:           4
        .value_kind:     by_value
      - .offset:         104
        .size:           4
        .value_kind:     by_value
      - .offset:         108
        .size:           4
        .value_kind:     by_value
      - .offset:         112
        .size:           4
        .value_kind:     by_value
      - .offset:         116
        .size:           4
        .value_kind:     by_value
      - .offset:         120
        .size:           4
        .value_kind:     by_value
      - .offset:         124
        .size:           4
        .value_kind:     by_value
      - .offset:         128
        .size:           4
        .value_kind:     by_value
      - .offset:         132
        .size:           4
        .value_kind:     by_value
      - .offset:         136
        .size:           4
        .value_kind:     by_value
      - .offset:         144
        .size:           4
        .value_kind:     hidden_block_count_x
      - .offset:         148
        .size:           4
        .value_kind:     hidden_block_count_y
      - .offset:         152
        .size:           4
        .value_kind:     hidden_block_count_z
      - .offset:         156
        .size:           2
        .value_kind:     hidden_group_size_x
      - .offset:         158
        .size:           2
        .value_kind:     hidden_group_size_y
      - .offset:         160
        .size:           2
        .value_kind:     hidden_group_size_z
      - .offset:         162
        .size:           2
        .value_kind:     hidden_remainder_x
      - .offset:         164
        .size:           2
        .value_kind:     hidden_remainder_y
      - .offset:         166
        .size:           2
        .value_kind:     hidden_remainder_z
      - .offset:         184
        .size:           8
        .value_kind:     hidden_global_offset_x
      - .offset:         192
        .size:           8
        .value_kind:     hidden_global_offset_y
      - .offset:         200
        .size:           8
        .value_kind:     hidden_global_offset_z
      - .offset:         208
        .size:           2
        .value_kind:     hidden_grid_dims
    .group_segment_fixed_size: 32
    .kernarg_segment_align: 8
    .kernarg_segment_size: 400
    .language:       OpenCL C
    .language_version:
      - 2
      - 0
    .max_flat_workgroup_size: 1024
    .name:           _ZN5aiter35fused_qk_rmsnorm_group_quant_kernelItDB8_Li256ELi16ELi2ELb0ELb0ELb1ELb0ELb0ELb0EEEvPT0_PvPT_S6_S6_PKS5_S8_S8_S8_S8_ffiiiiiiiiiiiii
    .private_segment_fixed_size: 0
    .sgpr_count:     36
    .sgpr_spill_count: 0
    .symbol:         _ZN5aiter35fused_qk_rmsnorm_group_quant_kernelItDB8_Li256ELi16ELi2ELb0ELb0ELb1ELb0ELb0ELb0EEEvPT0_PvPT_S6_S6_PKS5_S8_S8_S8_S8_ffiiiiiiiiiiiii.kd
    .uniform_work_group_size: 1
    .uses_dynamic_stack: false
    .vgpr_count:     35
    .vgpr_spill_count: 0
    .wavefront_size: 64
  - .agpr_count:     0
    .args:
      - .actual_access:  write_only
        .address_space:  global
        .offset:         0
        .size:           8
        .value_kind:     global_buffer
      - .actual_access:  write_only
        .address_space:  global
        .offset:         8
        .size:           8
        .value_kind:     global_buffer
      - .actual_access:  read_only
        .address_space:  global
        .offset:         16
        .size:           8
        .value_kind:     global_buffer
      - .actual_access:  write_only
        .address_space:  global
        .offset:         24
        .size:           8
        .value_kind:     global_buffer
      - .actual_access:  read_only
        .address_space:  global
        .offset:         32
        .size:           8
        .value_kind:     global_buffer
      - .actual_access:  read_only
        .address_space:  global
        .offset:         40
        .size:           8
        .value_kind:     global_buffer
      - .actual_access:  read_only
        .address_space:  global
        .offset:         48
        .size:           8
        .value_kind:     global_buffer
      - .actual_access:  read_only
        .address_space:  global
        .offset:         56
        .size:           8
        .value_kind:     global_buffer
      - .actual_access:  read_only
        .address_space:  global
        .offset:         64
        .size:           8
        .value_kind:     global_buffer
      - .actual_access:  read_only
        .address_space:  global
        .offset:         72
        .size:           8
        .value_kind:     global_buffer
      - .offset:         80
        .size:           4
        .value_kind:     by_value
      - .offset:         84
        .size:           4
        .value_kind:     by_value
      - .offset:         88
        .size:           4
        .value_kind:     by_value
      - .offset:         92
        .size:           4
        .value_kind:     by_value
      - .offset:         96
        .size:           4
        .value_kind:     by_value
      - .offset:         100
        .size:           4
        .value_kind:     by_value
      - .offset:         104
        .size:           4
        .value_kind:     by_value
      - .offset:         108
        .size:           4
        .value_kind:     by_value
      - .offset:         112
        .size:           4
        .value_kind:     by_value
      - .offset:         116
        .size:           4
        .value_kind:     by_value
      - .offset:         120
        .size:           4
        .value_kind:     by_value
      - .offset:         124
        .size:           4
        .value_kind:     by_value
      - .offset:         128
        .size:           4
        .value_kind:     by_value
      - .offset:         132
        .size:           4
        .value_kind:     by_value
      - .offset:         136
        .size:           4
        .value_kind:     by_value
      - .offset:         144
        .size:           4
        .value_kind:     hidden_block_count_x
      - .offset:         148
        .size:           4
        .value_kind:     hidden_block_count_y
      - .offset:         152
        .size:           4
        .value_kind:     hidden_block_count_z
      - .offset:         156
        .size:           2
        .value_kind:     hidden_group_size_x
      - .offset:         158
        .size:           2
        .value_kind:     hidden_group_size_y
      - .offset:         160
        .size:           2
        .value_kind:     hidden_group_size_z
      - .offset:         162
        .size:           2
        .value_kind:     hidden_remainder_x
      - .offset:         164
        .size:           2
        .value_kind:     hidden_remainder_y
      - .offset:         166
        .size:           2
        .value_kind:     hidden_remainder_z
      - .offset:         184
        .size:           8
        .value_kind:     hidden_global_offset_x
      - .offset:         192
        .size:           8
        .value_kind:     hidden_global_offset_y
      - .offset:         200
        .size:           8
        .value_kind:     hidden_global_offset_z
      - .offset:         208
        .size:           2
        .value_kind:     hidden_grid_dims
    .group_segment_fixed_size: 32
    .kernarg_segment_align: 8
    .kernarg_segment_size: 400
    .language:       OpenCL C
    .language_version:
      - 2
      - 0
    .max_flat_workgroup_size: 1024
    .name:           _ZN5aiter35fused_qk_rmsnorm_group_quant_kernelIDF16_N4opus5fp4_tELi256ELi16ELi2ELb0ELb0ELb1ELb0ELb0ELb0EEEvPT0_PvPT_S7_S7_PKS6_S9_S9_S9_S9_ffiiiiiiiiiiiii
    .private_segment_fixed_size: 0
    .sgpr_count:     36
    .sgpr_spill_count: 0
    .symbol:         _ZN5aiter35fused_qk_rmsnorm_group_quant_kernelIDF16_N4opus5fp4_tELi256ELi16ELi2ELb0ELb0ELb1ELb0ELb0ELb0EEEvPT0_PvPT_S7_S7_PKS6_S9_S9_S9_S9_ffiiiiiiiiiiiii.kd
    .uniform_work_group_size: 1
    .uses_dynamic_stack: false
    .vgpr_count:     35
    .vgpr_spill_count: 0
    .wavefront_size: 64
  - .agpr_count:     0
    .args:
      - .actual_access:  write_only
        .address_space:  global
        .offset:         0
        .size:           8
        .value_kind:     global_buffer
      - .actual_access:  write_only
        .address_space:  global
        .offset:         8
        .size:           8
        .value_kind:     global_buffer
      - .actual_access:  read_only
        .address_space:  global
        .offset:         16
        .size:           8
        .value_kind:     global_buffer
      - .actual_access:  write_only
        .address_space:  global
        .offset:         24
        .size:           8
        .value_kind:     global_buffer
      - .actual_access:  read_only
        .address_space:  global
        .offset:         32
        .size:           8
        .value_kind:     global_buffer
      - .actual_access:  read_only
        .address_space:  global
        .offset:         40
        .size:           8
        .value_kind:     global_buffer
      - .actual_access:  read_only
        .address_space:  global
        .offset:         48
        .size:           8
        .value_kind:     global_buffer
      - .actual_access:  read_only
        .address_space:  global
        .offset:         56
        .size:           8
        .value_kind:     global_buffer
      - .actual_access:  read_only
        .address_space:  global
        .offset:         64
        .size:           8
        .value_kind:     global_buffer
      - .actual_access:  read_only
        .address_space:  global
        .offset:         72
        .size:           8
        .value_kind:     global_buffer
      - .offset:         80
        .size:           4
        .value_kind:     by_value
      - .offset:         84
        .size:           4
        .value_kind:     by_value
      - .offset:         88
        .size:           4
        .value_kind:     by_value
      - .offset:         92
        .size:           4
        .value_kind:     by_value
      - .offset:         96
        .size:           4
        .value_kind:     by_value
      - .offset:         100
        .size:           4
        .value_kind:     by_value
      - .offset:         104
        .size:           4
        .value_kind:     by_value
      - .offset:         108
        .size:           4
        .value_kind:     by_value
      - .offset:         112
        .size:           4
        .value_kind:     by_value
      - .offset:         116
        .size:           4
        .value_kind:     by_value
      - .offset:         120
        .size:           4
        .value_kind:     by_value
      - .offset:         124
        .size:           4
        .value_kind:     by_value
      - .offset:         128
        .size:           4
        .value_kind:     by_value
      - .offset:         132
        .size:           4
        .value_kind:     by_value
      - .offset:         136
        .size:           4
        .value_kind:     by_value
      - .offset:         144
        .size:           4
        .value_kind:     hidden_block_count_x
      - .offset:         148
        .size:           4
        .value_kind:     hidden_block_count_y
      - .offset:         152
        .size:           4
        .value_kind:     hidden_block_count_z
      - .offset:         156
        .size:           2
        .value_kind:     hidden_group_size_x
      - .offset:         158
        .size:           2
        .value_kind:     hidden_group_size_y
      - .offset:         160
        .size:           2
        .value_kind:     hidden_group_size_z
      - .offset:         162
        .size:           2
        .value_kind:     hidden_remainder_x
      - .offset:         164
        .size:           2
        .value_kind:     hidden_remainder_y
      - .offset:         166
        .size:           2
        .value_kind:     hidden_remainder_z
      - .offset:         184
        .size:           8
        .value_kind:     hidden_global_offset_x
      - .offset:         192
        .size:           8
        .value_kind:     hidden_global_offset_y
      - .offset:         200
        .size:           8
        .value_kind:     hidden_global_offset_z
      - .offset:         208
        .size:           2
        .value_kind:     hidden_grid_dims
    .group_segment_fixed_size: 32
    .kernarg_segment_align: 8
    .kernarg_segment_size: 400
    .language:       OpenCL C
    .language_version:
      - 2
      - 0
    .max_flat_workgroup_size: 1024
    .name:           _ZN5aiter35fused_qk_rmsnorm_group_quant_kernelItN4opus5fp4_tELi256ELi16ELi2ELb0ELb0ELb1ELb0ELb0ELb0EEEvPT0_PvPT_S7_S7_PKS6_S9_S9_S9_S9_ffiiiiiiiiiiiii
    .private_segment_fixed_size: 0
    .sgpr_count:     36
    .sgpr_spill_count: 0
    .symbol:         _ZN5aiter35fused_qk_rmsnorm_group_quant_kernelItN4opus5fp4_tELi256ELi16ELi2ELb0ELb0ELb1ELb0ELb0ELb0EEEvPT0_PvPT_S7_S7_PKS6_S9_S9_S9_S9_ffiiiiiiiiiiiii.kd
    .uniform_work_group_size: 1
    .uses_dynamic_stack: false
    .vgpr_count:     35
    .vgpr_spill_count: 0
    .wavefront_size: 64
  - .agpr_count:     0
    .args:
      - .actual_access:  write_only
        .address_space:  global
        .offset:         0
        .size:           8
        .value_kind:     global_buffer
      - .actual_access:  write_only
        .address_space:  global
        .offset:         8
        .size:           8
        .value_kind:     global_buffer
      - .actual_access:  read_only
        .address_space:  global
        .offset:         16
        .size:           8
        .value_kind:     global_buffer
      - .actual_access:  write_only
        .address_space:  global
        .offset:         24
        .size:           8
        .value_kind:     global_buffer
      - .actual_access:  read_only
        .address_space:  global
        .offset:         32
        .size:           8
        .value_kind:     global_buffer
      - .actual_access:  read_only
        .address_space:  global
        .offset:         40
        .size:           8
        .value_kind:     global_buffer
      - .actual_access:  read_only
        .address_space:  global
        .offset:         48
        .size:           8
        .value_kind:     global_buffer
      - .actual_access:  read_only
        .address_space:  global
        .offset:         56
        .size:           8
        .value_kind:     global_buffer
      - .actual_access:  read_only
        .address_space:  global
        .offset:         64
        .size:           8
        .value_kind:     global_buffer
      - .actual_access:  read_only
        .address_space:  global
        .offset:         72
        .size:           8
        .value_kind:     global_buffer
      - .offset:         80
        .size:           4
        .value_kind:     by_value
      - .offset:         84
        .size:           4
        .value_kind:     by_value
      - .offset:         88
        .size:           4
        .value_kind:     by_value
      - .offset:         92
        .size:           4
        .value_kind:     by_value
      - .offset:         96
        .size:           4
        .value_kind:     by_value
      - .offset:         100
        .size:           4
        .value_kind:     by_value
      - .offset:         104
        .size:           4
        .value_kind:     by_value
      - .offset:         108
        .size:           4
        .value_kind:     by_value
      - .offset:         112
        .size:           4
        .value_kind:     by_value
      - .offset:         116
        .size:           4
        .value_kind:     by_value
      - .offset:         120
        .size:           4
        .value_kind:     by_value
      - .offset:         124
        .size:           4
        .value_kind:     by_value
      - .offset:         128
        .size:           4
        .value_kind:     by_value
      - .offset:         132
        .size:           4
        .value_kind:     by_value
      - .offset:         136
        .size:           4
        .value_kind:     by_value
      - .offset:         144
        .size:           4
        .value_kind:     hidden_block_count_x
      - .offset:         148
        .size:           4
        .value_kind:     hidden_block_count_y
      - .offset:         152
        .size:           4
        .value_kind:     hidden_block_count_z
      - .offset:         156
        .size:           2
        .value_kind:     hidden_group_size_x
      - .offset:         158
        .size:           2
        .value_kind:     hidden_group_size_y
      - .offset:         160
        .size:           2
        .value_kind:     hidden_group_size_z
      - .offset:         162
        .size:           2
        .value_kind:     hidden_remainder_x
      - .offset:         164
        .size:           2
        .value_kind:     hidden_remainder_y
      - .offset:         166
        .size:           2
        .value_kind:     hidden_remainder_z
      - .offset:         184
        .size:           8
        .value_kind:     hidden_global_offset_x
      - .offset:         192
        .size:           8
        .value_kind:     hidden_global_offset_y
      - .offset:         200
        .size:           8
        .value_kind:     hidden_global_offset_z
      - .offset:         208
        .size:           2
        .value_kind:     hidden_grid_dims
    .group_segment_fixed_size: 32
    .kernarg_segment_align: 8
    .kernarg_segment_size: 400
    .language:       OpenCL C
    .language_version:
      - 2
      - 0
    .max_flat_workgroup_size: 1024
    .name:           _ZN5aiter35fused_qk_rmsnorm_group_quant_kernelIDF16_DB8_Li256ELi16ELi2ELb0ELb0ELb0ELb0ELb0ELb0EEEvPT0_PvPT_S6_S6_PKS5_S8_S8_S8_S8_ffiiiiiiiiiiiii
    .private_segment_fixed_size: 0
    .sgpr_count:     36
    .sgpr_spill_count: 0
    .symbol:         _ZN5aiter35fused_qk_rmsnorm_group_quant_kernelIDF16_DB8_Li256ELi16ELi2ELb0ELb0ELb0ELb0ELb0ELb0EEEvPT0_PvPT_S6_S6_PKS5_S8_S8_S8_S8_ffiiiiiiiiiiiii.kd
    .uniform_work_group_size: 1
    .uses_dynamic_stack: false
    .vgpr_count:     38
    .vgpr_spill_count: 0
    .wavefront_size: 64
  - .agpr_count:     0
    .args:
      - .actual_access:  write_only
        .address_space:  global
        .offset:         0
        .size:           8
        .value_kind:     global_buffer
      - .actual_access:  write_only
        .address_space:  global
        .offset:         8
        .size:           8
        .value_kind:     global_buffer
      - .actual_access:  read_only
        .address_space:  global
        .offset:         16
        .size:           8
        .value_kind:     global_buffer
      - .actual_access:  write_only
        .address_space:  global
        .offset:         24
        .size:           8
        .value_kind:     global_buffer
      - .actual_access:  read_only
        .address_space:  global
        .offset:         32
        .size:           8
        .value_kind:     global_buffer
      - .actual_access:  read_only
        .address_space:  global
        .offset:         40
        .size:           8
        .value_kind:     global_buffer
      - .actual_access:  read_only
        .address_space:  global
        .offset:         48
        .size:           8
        .value_kind:     global_buffer
      - .actual_access:  read_only
        .address_space:  global
        .offset:         56
        .size:           8
        .value_kind:     global_buffer
      - .actual_access:  read_only
        .address_space:  global
        .offset:         64
        .size:           8
        .value_kind:     global_buffer
      - .actual_access:  read_only
        .address_space:  global
        .offset:         72
        .size:           8
        .value_kind:     global_buffer
      - .offset:         80
        .size:           4
        .value_kind:     by_value
      - .offset:         84
        .size:           4
        .value_kind:     by_value
      - .offset:         88
        .size:           4
        .value_kind:     by_value
      - .offset:         92
        .size:           4
        .value_kind:     by_value
      - .offset:         96
        .size:           4
        .value_kind:     by_value
      - .offset:         100
        .size:           4
        .value_kind:     by_value
      - .offset:         104
        .size:           4
        .value_kind:     by_value
      - .offset:         108
        .size:           4
        .value_kind:     by_value
      - .offset:         112
        .size:           4
        .value_kind:     by_value
      - .offset:         116
        .size:           4
        .value_kind:     by_value
      - .offset:         120
        .size:           4
        .value_kind:     by_value
      - .offset:         124
        .size:           4
        .value_kind:     by_value
      - .offset:         128
        .size:           4
        .value_kind:     by_value
      - .offset:         132
        .size:           4
        .value_kind:     by_value
      - .offset:         136
        .size:           4
        .value_kind:     by_value
      - .offset:         144
        .size:           4
        .value_kind:     hidden_block_count_x
      - .offset:         148
        .size:           4
        .value_kind:     hidden_block_count_y
      - .offset:         152
        .size:           4
        .value_kind:     hidden_block_count_z
      - .offset:         156
        .size:           2
        .value_kind:     hidden_group_size_x
      - .offset:         158
        .size:           2
        .value_kind:     hidden_group_size_y
      - .offset:         160
        .size:           2
        .value_kind:     hidden_group_size_z
      - .offset:         162
        .size:           2
        .value_kind:     hidden_remainder_x
      - .offset:         164
        .size:           2
        .value_kind:     hidden_remainder_y
      - .offset:         166
        .size:           2
        .value_kind:     hidden_remainder_z
      - .offset:         184
        .size:           8
        .value_kind:     hidden_global_offset_x
      - .offset:         192
        .size:           8
        .value_kind:     hidden_global_offset_y
      - .offset:         200
        .size:           8
        .value_kind:     hidden_global_offset_z
      - .offset:         208
        .size:           2
        .value_kind:     hidden_grid_dims
    .group_segment_fixed_size: 32
    .kernarg_segment_align: 8
    .kernarg_segment_size: 400
    .language:       OpenCL C
    .language_version:
      - 2
      - 0
    .max_flat_workgroup_size: 1024
    .name:           _ZN5aiter35fused_qk_rmsnorm_group_quant_kernelItDB8_Li256ELi16ELi2ELb0ELb0ELb0ELb0ELb0ELb0EEEvPT0_PvPT_S6_S6_PKS5_S8_S8_S8_S8_ffiiiiiiiiiiiii
    .private_segment_fixed_size: 0
    .sgpr_count:     36
    .sgpr_spill_count: 0
    .symbol:         _ZN5aiter35fused_qk_rmsnorm_group_quant_kernelItDB8_Li256ELi16ELi2ELb0ELb0ELb0ELb0ELb0ELb0EEEvPT0_PvPT_S6_S6_PKS5_S8_S8_S8_S8_ffiiiiiiiiiiiii.kd
    .uniform_work_group_size: 1
    .uses_dynamic_stack: false
    .vgpr_count:     38
    .vgpr_spill_count: 0
    .wavefront_size: 64
  - .agpr_count:     0
    .args:
      - .actual_access:  write_only
        .address_space:  global
        .offset:         0
        .size:           8
        .value_kind:     global_buffer
      - .actual_access:  write_only
        .address_space:  global
        .offset:         8
        .size:           8
        .value_kind:     global_buffer
      - .actual_access:  read_only
        .address_space:  global
        .offset:         16
        .size:           8
        .value_kind:     global_buffer
      - .actual_access:  write_only
        .address_space:  global
        .offset:         24
        .size:           8
        .value_kind:     global_buffer
      - .actual_access:  read_only
        .address_space:  global
        .offset:         32
        .size:           8
        .value_kind:     global_buffer
      - .actual_access:  read_only
        .address_space:  global
        .offset:         40
        .size:           8
        .value_kind:     global_buffer
      - .actual_access:  read_only
        .address_space:  global
        .offset:         48
        .size:           8
        .value_kind:     global_buffer
      - .actual_access:  read_only
        .address_space:  global
        .offset:         56
        .size:           8
        .value_kind:     global_buffer
      - .actual_access:  read_only
        .address_space:  global
        .offset:         64
        .size:           8
        .value_kind:     global_buffer
      - .actual_access:  read_only
        .address_space:  global
        .offset:         72
        .size:           8
        .value_kind:     global_buffer
      - .offset:         80
        .size:           4
        .value_kind:     by_value
      - .offset:         84
        .size:           4
        .value_kind:     by_value
      - .offset:         88
        .size:           4
        .value_kind:     by_value
      - .offset:         92
        .size:           4
        .value_kind:     by_value
      - .offset:         96
        .size:           4
        .value_kind:     by_value
      - .offset:         100
        .size:           4
        .value_kind:     by_value
      - .offset:         104
        .size:           4
        .value_kind:     by_value
      - .offset:         108
        .size:           4
        .value_kind:     by_value
      - .offset:         112
        .size:           4
        .value_kind:     by_value
      - .offset:         116
        .size:           4
        .value_kind:     by_value
      - .offset:         120
        .size:           4
        .value_kind:     by_value
      - .offset:         124
        .size:           4
        .value_kind:     by_value
      - .offset:         128
        .size:           4
        .value_kind:     by_value
      - .offset:         132
        .size:           4
        .value_kind:     by_value
      - .offset:         136
        .size:           4
        .value_kind:     by_value
      - .offset:         144
        .size:           4
        .value_kind:     hidden_block_count_x
      - .offset:         148
        .size:           4
        .value_kind:     hidden_block_count_y
      - .offset:         152
        .size:           4
        .value_kind:     hidden_block_count_z
      - .offset:         156
        .size:           2
        .value_kind:     hidden_group_size_x
      - .offset:         158
        .size:           2
        .value_kind:     hidden_group_size_y
      - .offset:         160
        .size:           2
        .value_kind:     hidden_group_size_z
      - .offset:         162
        .size:           2
        .value_kind:     hidden_remainder_x
      - .offset:         164
        .size:           2
        .value_kind:     hidden_remainder_y
      - .offset:         166
        .size:           2
        .value_kind:     hidden_remainder_z
      - .offset:         184
        .size:           8
        .value_kind:     hidden_global_offset_x
      - .offset:         192
        .size:           8
        .value_kind:     hidden_global_offset_y
      - .offset:         200
        .size:           8
        .value_kind:     hidden_global_offset_z
      - .offset:         208
        .size:           2
        .value_kind:     hidden_grid_dims
    .group_segment_fixed_size: 32
    .kernarg_segment_align: 8
    .kernarg_segment_size: 400
    .language:       OpenCL C
    .language_version:
      - 2
      - 0
    .max_flat_workgroup_size: 1024
    .name:           _ZN5aiter35fused_qk_rmsnorm_group_quant_kernelIDF16_N4opus5fp4_tELi256ELi16ELi2ELb0ELb0ELb0ELb0ELb0ELb0EEEvPT0_PvPT_S7_S7_PKS6_S9_S9_S9_S9_ffiiiiiiiiiiiii
    .private_segment_fixed_size: 0
    .sgpr_count:     36
    .sgpr_spill_count: 0
    .symbol:         _ZN5aiter35fused_qk_rmsnorm_group_quant_kernelIDF16_N4opus5fp4_tELi256ELi16ELi2ELb0ELb0ELb0ELb0ELb0ELb0EEEvPT0_PvPT_S7_S7_PKS6_S9_S9_S9_S9_ffiiiiiiiiiiiii.kd
    .uniform_work_group_size: 1
    .uses_dynamic_stack: false
    .vgpr_count:     35
    .vgpr_spill_count: 0
    .wavefront_size: 64
  - .agpr_count:     0
    .args:
      - .actual_access:  write_only
        .address_space:  global
        .offset:         0
        .size:           8
        .value_kind:     global_buffer
      - .actual_access:  write_only
        .address_space:  global
        .offset:         8
        .size:           8
        .value_kind:     global_buffer
      - .actual_access:  read_only
        .address_space:  global
        .offset:         16
        .size:           8
        .value_kind:     global_buffer
      - .actual_access:  write_only
        .address_space:  global
        .offset:         24
        .size:           8
        .value_kind:     global_buffer
      - .actual_access:  read_only
        .address_space:  global
        .offset:         32
        .size:           8
        .value_kind:     global_buffer
      - .actual_access:  read_only
        .address_space:  global
        .offset:         40
        .size:           8
        .value_kind:     global_buffer
      - .actual_access:  read_only
        .address_space:  global
        .offset:         48
        .size:           8
        .value_kind:     global_buffer
      - .actual_access:  read_only
        .address_space:  global
        .offset:         56
        .size:           8
        .value_kind:     global_buffer
      - .actual_access:  read_only
        .address_space:  global
        .offset:         64
        .size:           8
        .value_kind:     global_buffer
      - .actual_access:  read_only
        .address_space:  global
        .offset:         72
        .size:           8
        .value_kind:     global_buffer
      - .offset:         80
        .size:           4
        .value_kind:     by_value
      - .offset:         84
        .size:           4
        .value_kind:     by_value
      - .offset:         88
        .size:           4
        .value_kind:     by_value
      - .offset:         92
        .size:           4
        .value_kind:     by_value
      - .offset:         96
        .size:           4
        .value_kind:     by_value
      - .offset:         100
        .size:           4
        .value_kind:     by_value
      - .offset:         104
        .size:           4
        .value_kind:     by_value
      - .offset:         108
        .size:           4
        .value_kind:     by_value
      - .offset:         112
        .size:           4
        .value_kind:     by_value
      - .offset:         116
        .size:           4
        .value_kind:     by_value
      - .offset:         120
        .size:           4
        .value_kind:     by_value
      - .offset:         124
        .size:           4
        .value_kind:     by_value
      - .offset:         128
        .size:           4
        .value_kind:     by_value
      - .offset:         132
        .size:           4
        .value_kind:     by_value
      - .offset:         136
        .size:           4
        .value_kind:     by_value
      - .offset:         144
        .size:           4
        .value_kind:     hidden_block_count_x
      - .offset:         148
        .size:           4
        .value_kind:     hidden_block_count_y
      - .offset:         152
        .size:           4
        .value_kind:     hidden_block_count_z
      - .offset:         156
        .size:           2
        .value_kind:     hidden_group_size_x
      - .offset:         158
        .size:           2
        .value_kind:     hidden_group_size_y
      - .offset:         160
        .size:           2
        .value_kind:     hidden_group_size_z
      - .offset:         162
        .size:           2
        .value_kind:     hidden_remainder_x
      - .offset:         164
        .size:           2
        .value_kind:     hidden_remainder_y
      - .offset:         166
        .size:           2
        .value_kind:     hidden_remainder_z
      - .offset:         184
        .size:           8
        .value_kind:     hidden_global_offset_x
      - .offset:         192
        .size:           8
        .value_kind:     hidden_global_offset_y
      - .offset:         200
        .size:           8
        .value_kind:     hidden_global_offset_z
      - .offset:         208
        .size:           2
        .value_kind:     hidden_grid_dims
    .group_segment_fixed_size: 32
    .kernarg_segment_align: 8
    .kernarg_segment_size: 400
    .language:       OpenCL C
    .language_version:
      - 2
      - 0
    .max_flat_workgroup_size: 1024
    .name:           _ZN5aiter35fused_qk_rmsnorm_group_quant_kernelItN4opus5fp4_tELi256ELi16ELi2ELb0ELb0ELb0ELb0ELb0ELb0EEEvPT0_PvPT_S7_S7_PKS6_S9_S9_S9_S9_ffiiiiiiiiiiiii
    .private_segment_fixed_size: 0
    .sgpr_count:     36
    .sgpr_spill_count: 0
    .symbol:         _ZN5aiter35fused_qk_rmsnorm_group_quant_kernelItN4opus5fp4_tELi256ELi16ELi2ELb0ELb0ELb0ELb0ELb0ELb0EEEvPT0_PvPT_S7_S7_PKS6_S9_S9_S9_S9_ffiiiiiiiiiiiii.kd
    .uniform_work_group_size: 1
    .uses_dynamic_stack: false
    .vgpr_count:     35
    .vgpr_spill_count: 0
    .wavefront_size: 64
  - .agpr_count:     0
    .args:
      - .actual_access:  read_only
        .address_space:  global
        .offset:         0
        .size:           8
        .value_kind:     global_buffer
      - .actual_access:  read_only
        .address_space:  global
        .offset:         8
        .size:           8
        .value_kind:     global_buffer
      - .actual_access:  write_only
        .address_space:  global
        .offset:         16
        .size:           8
        .value_kind:     global_buffer
      - .actual_access:  write_only
        .address_space:  global
        .offset:         24
        .size:           8
        .value_kind:     global_buffer
      - .actual_access:  write_only
        .address_space:  global
        .offset:         32
        .size:           8
        .value_kind:     global_buffer
      - .actual_access:  read_only
        .address_space:  global
        .offset:         40
        .size:           8
        .value_kind:     global_buffer
      - .actual_access:  read_only
        .address_space:  global
        .offset:         48
        .size:           8
        .value_kind:     global_buffer
      - .actual_access:  read_only
        .address_space:  global
        .offset:         56
        .size:           8
        .value_kind:     global_buffer
      - .actual_access:  read_only
        .address_space:  global
        .offset:         64
        .size:           8
        .value_kind:     global_buffer
      - .actual_access:  read_only
        .address_space:  global
        .offset:         72
        .size:           8
        .value_kind:     global_buffer
      - .offset:         80
        .size:           4
        .value_kind:     by_value
      - .offset:         84
        .size:           4
        .value_kind:     by_value
      - .offset:         88
        .size:           4
        .value_kind:     by_value
      - .offset:         92
        .size:           4
        .value_kind:     by_value
      - .offset:         96
        .size:           4
        .value_kind:     by_value
      - .offset:         100
        .size:           4
        .value_kind:     by_value
      - .offset:         104
        .size:           4
        .value_kind:     by_value
      - .offset:         108
        .size:           4
        .value_kind:     by_value
      - .offset:         112
        .size:           4
        .value_kind:     by_value
      - .offset:         116
        .size:           4
        .value_kind:     by_value
      - .offset:         120
        .size:           4
        .value_kind:     by_value
      - .offset:         124
        .size:           4
        .value_kind:     by_value
      - .offset:         128
        .size:           4
        .value_kind:     by_value
      - .offset:         132
        .size:           4
        .value_kind:     by_value
      - .offset:         136
        .size:           4
        .value_kind:     by_value
      - .offset:         144
        .size:           4
        .value_kind:     hidden_block_count_x
      - .offset:         148
        .size:           4
        .value_kind:     hidden_block_count_y
      - .offset:         152
        .size:           4
        .value_kind:     hidden_block_count_z
      - .offset:         156
        .size:           2
        .value_kind:     hidden_group_size_x
      - .offset:         158
        .size:           2
        .value_kind:     hidden_group_size_y
      - .offset:         160
        .size:           2
        .value_kind:     hidden_group_size_z
      - .offset:         162
        .size:           2
        .value_kind:     hidden_remainder_x
      - .offset:         164
        .size:           2
        .value_kind:     hidden_remainder_y
      - .offset:         166
        .size:           2
        .value_kind:     hidden_remainder_z
      - .offset:         184
        .size:           8
        .value_kind:     hidden_global_offset_x
      - .offset:         192
        .size:           8
        .value_kind:     hidden_global_offset_y
      - .offset:         200
        .size:           8
        .value_kind:     hidden_global_offset_z
      - .offset:         208
        .size:           2
        .value_kind:     hidden_grid_dims
    .group_segment_fixed_size: 64
    .kernarg_segment_align: 8
    .kernarg_segment_size: 400
    .language:       OpenCL C
    .language_version:
      - 2
      - 0
    .max_flat_workgroup_size: 1024
    .name:           _ZN5aiter35fused_qk_rmsnorm_group_quant_kernelIDF16_DB8_Li512ELi16ELi8ELb1ELb1ELb1ELb1ELb0ELb0EEEvPT0_PvPT_S6_S6_PKS5_S8_S8_S8_S8_ffiiiiiiiiiiiii
    .private_segment_fixed_size: 0
    .sgpr_count:     36
    .sgpr_spill_count: 0
    .symbol:         _ZN5aiter35fused_qk_rmsnorm_group_quant_kernelIDF16_DB8_Li512ELi16ELi8ELb1ELb1ELb1ELb1ELb0ELb0EEEvPT0_PvPT_S6_S6_PKS5_S8_S8_S8_S8_ffiiiiiiiiiiiii.kd
    .uniform_work_group_size: 1
    .uses_dynamic_stack: false
    .vgpr_count:     49
    .vgpr_spill_count: 0
    .wavefront_size: 64
  - .agpr_count:     0
    .args:
      - .actual_access:  read_only
        .address_space:  global
        .offset:         0
        .size:           8
        .value_kind:     global_buffer
      - .actual_access:  read_only
        .address_space:  global
        .offset:         8
        .size:           8
        .value_kind:     global_buffer
      - .actual_access:  write_only
        .address_space:  global
        .offset:         16
        .size:           8
        .value_kind:     global_buffer
      - .actual_access:  write_only
        .address_space:  global
        .offset:         24
        .size:           8
        .value_kind:     global_buffer
      - .actual_access:  write_only
        .address_space:  global
        .offset:         32
        .size:           8
        .value_kind:     global_buffer
      - .actual_access:  read_only
        .address_space:  global
        .offset:         40
        .size:           8
        .value_kind:     global_buffer
      - .actual_access:  read_only
        .address_space:  global
        .offset:         48
        .size:           8
        .value_kind:     global_buffer
      - .actual_access:  read_only
        .address_space:  global
        .offset:         56
        .size:           8
        .value_kind:     global_buffer
      - .actual_access:  read_only
        .address_space:  global
        .offset:         64
        .size:           8
        .value_kind:     global_buffer
      - .actual_access:  read_only
        .address_space:  global
        .offset:         72
        .size:           8
        .value_kind:     global_buffer
      - .offset:         80
        .size:           4
        .value_kind:     by_value
      - .offset:         84
        .size:           4
        .value_kind:     by_value
      - .offset:         88
        .size:           4
        .value_kind:     by_value
      - .offset:         92
        .size:           4
        .value_kind:     by_value
      - .offset:         96
        .size:           4
        .value_kind:     by_value
      - .offset:         100
        .size:           4
        .value_kind:     by_value
      - .offset:         104
        .size:           4
        .value_kind:     by_value
      - .offset:         108
        .size:           4
        .value_kind:     by_value
      - .offset:         112
        .size:           4
        .value_kind:     by_value
      - .offset:         116
        .size:           4
        .value_kind:     by_value
      - .offset:         120
        .size:           4
        .value_kind:     by_value
      - .offset:         124
        .size:           4
        .value_kind:     by_value
      - .offset:         128
        .size:           4
        .value_kind:     by_value
      - .offset:         132
        .size:           4
        .value_kind:     by_value
      - .offset:         136
        .size:           4
        .value_kind:     by_value
      - .offset:         144
        .size:           4
        .value_kind:     hidden_block_count_x
      - .offset:         148
        .size:           4
        .value_kind:     hidden_block_count_y
      - .offset:         152
        .size:           4
        .value_kind:     hidden_block_count_z
      - .offset:         156
        .size:           2
        .value_kind:     hidden_group_size_x
      - .offset:         158
        .size:           2
        .value_kind:     hidden_group_size_y
      - .offset:         160
        .size:           2
        .value_kind:     hidden_group_size_z
      - .offset:         162
        .size:           2
        .value_kind:     hidden_remainder_x
      - .offset:         164
        .size:           2
        .value_kind:     hidden_remainder_y
      - .offset:         166
        .size:           2
        .value_kind:     hidden_remainder_z
      - .offset:         184
        .size:           8
        .value_kind:     hidden_global_offset_x
      - .offset:         192
        .size:           8
        .value_kind:     hidden_global_offset_y
      - .offset:         200
        .size:           8
        .value_kind:     hidden_global_offset_z
      - .offset:         208
        .size:           2
        .value_kind:     hidden_grid_dims
    .group_segment_fixed_size: 64
    .kernarg_segment_align: 8
    .kernarg_segment_size: 400
    .language:       OpenCL C
    .language_version:
      - 2
      - 0
    .max_flat_workgroup_size: 1024
    .name:           _ZN5aiter35fused_qk_rmsnorm_group_quant_kernelItDB8_Li512ELi16ELi8ELb1ELb1ELb1ELb1ELb0ELb0EEEvPT0_PvPT_S6_S6_PKS5_S8_S8_S8_S8_ffiiiiiiiiiiiii
    .private_segment_fixed_size: 0
    .sgpr_count:     36
    .sgpr_spill_count: 0
    .symbol:         _ZN5aiter35fused_qk_rmsnorm_group_quant_kernelItDB8_Li512ELi16ELi8ELb1ELb1ELb1ELb1ELb0ELb0EEEvPT0_PvPT_S6_S6_PKS5_S8_S8_S8_S8_ffiiiiiiiiiiiii.kd
    .uniform_work_group_size: 1
    .uses_dynamic_stack: false
    .vgpr_count:     76
    .vgpr_spill_count: 0
    .wavefront_size: 64
  - .agpr_count:     0
    .args:
      - .actual_access:  read_only
        .address_space:  global
        .offset:         0
        .size:           8
        .value_kind:     global_buffer
      - .actual_access:  read_only
        .address_space:  global
        .offset:         8
        .size:           8
        .value_kind:     global_buffer
      - .actual_access:  write_only
        .address_space:  global
        .offset:         16
        .size:           8
        .value_kind:     global_buffer
      - .actual_access:  write_only
        .address_space:  global
        .offset:         24
        .size:           8
        .value_kind:     global_buffer
      - .actual_access:  write_only
        .address_space:  global
        .offset:         32
        .size:           8
        .value_kind:     global_buffer
      - .actual_access:  read_only
        .address_space:  global
        .offset:         40
        .size:           8
        .value_kind:     global_buffer
      - .actual_access:  read_only
        .address_space:  global
        .offset:         48
        .size:           8
        .value_kind:     global_buffer
      - .actual_access:  read_only
        .address_space:  global
        .offset:         56
        .size:           8
        .value_kind:     global_buffer
      - .actual_access:  read_only
        .address_space:  global
        .offset:         64
        .size:           8
        .value_kind:     global_buffer
      - .actual_access:  read_only
        .address_space:  global
        .offset:         72
        .size:           8
        .value_kind:     global_buffer
      - .offset:         80
        .size:           4
        .value_kind:     by_value
      - .offset:         84
        .size:           4
        .value_kind:     by_value
      - .offset:         88
        .size:           4
        .value_kind:     by_value
      - .offset:         92
        .size:           4
        .value_kind:     by_value
      - .offset:         96
        .size:           4
        .value_kind:     by_value
      - .offset:         100
        .size:           4
        .value_kind:     by_value
      - .offset:         104
        .size:           4
        .value_kind:     by_value
      - .offset:         108
        .size:           4
        .value_kind:     by_value
      - .offset:         112
        .size:           4
        .value_kind:     by_value
      - .offset:         116
        .size:           4
        .value_kind:     by_value
      - .offset:         120
        .size:           4
        .value_kind:     by_value
      - .offset:         124
        .size:           4
        .value_kind:     by_value
      - .offset:         128
        .size:           4
        .value_kind:     by_value
      - .offset:         132
        .size:           4
        .value_kind:     by_value
      - .offset:         136
        .size:           4
        .value_kind:     by_value
      - .offset:         144
        .size:           4
        .value_kind:     hidden_block_count_x
      - .offset:         148
        .size:           4
        .value_kind:     hidden_block_count_y
      - .offset:         152
        .size:           4
        .value_kind:     hidden_block_count_z
      - .offset:         156
        .size:           2
        .value_kind:     hidden_group_size_x
      - .offset:         158
        .size:           2
        .value_kind:     hidden_group_size_y
      - .offset:         160
        .size:           2
        .value_kind:     hidden_group_size_z
      - .offset:         162
        .size:           2
        .value_kind:     hidden_remainder_x
      - .offset:         164
        .size:           2
        .value_kind:     hidden_remainder_y
      - .offset:         166
        .size:           2
        .value_kind:     hidden_remainder_z
      - .offset:         184
        .size:           8
        .value_kind:     hidden_global_offset_x
      - .offset:         192
        .size:           8
        .value_kind:     hidden_global_offset_y
      - .offset:         200
        .size:           8
        .value_kind:     hidden_global_offset_z
      - .offset:         208
        .size:           2
        .value_kind:     hidden_grid_dims
    .group_segment_fixed_size: 64
    .kernarg_segment_align: 8
    .kernarg_segment_size: 400
    .language:       OpenCL C
    .language_version:
      - 2
      - 0
    .max_flat_workgroup_size: 1024
    .name:           _ZN5aiter35fused_qk_rmsnorm_group_quant_kernelIDF16_N4opus5fp4_tELi512ELi16ELi8ELb1ELb1ELb1ELb1ELb0ELb0EEEvPT0_PvPT_S7_S7_PKS6_S9_S9_S9_S9_ffiiiiiiiiiiiii
    .private_segment_fixed_size: 0
    .sgpr_count:     36
    .sgpr_spill_count: 0
    .symbol:         _ZN5aiter35fused_qk_rmsnorm_group_quant_kernelIDF16_N4opus5fp4_tELi512ELi16ELi8ELb1ELb1ELb1ELb1ELb0ELb0EEEvPT0_PvPT_S7_S7_PKS6_S9_S9_S9_S9_ffiiiiiiiiiiiii.kd
    .uniform_work_group_size: 1
    .uses_dynamic_stack: false
    .vgpr_count:     49
    .vgpr_spill_count: 0
    .wavefront_size: 64
  - .agpr_count:     0
    .args:
      - .actual_access:  read_only
        .address_space:  global
        .offset:         0
        .size:           8
        .value_kind:     global_buffer
      - .actual_access:  read_only
        .address_space:  global
        .offset:         8
        .size:           8
        .value_kind:     global_buffer
      - .actual_access:  write_only
        .address_space:  global
        .offset:         16
        .size:           8
        .value_kind:     global_buffer
      - .actual_access:  write_only
        .address_space:  global
        .offset:         24
        .size:           8
        .value_kind:     global_buffer
      - .actual_access:  write_only
        .address_space:  global
        .offset:         32
        .size:           8
        .value_kind:     global_buffer
      - .actual_access:  read_only
        .address_space:  global
        .offset:         40
        .size:           8
        .value_kind:     global_buffer
      - .actual_access:  read_only
        .address_space:  global
        .offset:         48
        .size:           8
        .value_kind:     global_buffer
      - .actual_access:  read_only
        .address_space:  global
        .offset:         56
        .size:           8
        .value_kind:     global_buffer
      - .actual_access:  read_only
        .address_space:  global
        .offset:         64
        .size:           8
        .value_kind:     global_buffer
      - .actual_access:  read_only
        .address_space:  global
        .offset:         72
        .size:           8
        .value_kind:     global_buffer
      - .offset:         80
        .size:           4
        .value_kind:     by_value
      - .offset:         84
        .size:           4
        .value_kind:     by_value
      - .offset:         88
        .size:           4
        .value_kind:     by_value
      - .offset:         92
        .size:           4
        .value_kind:     by_value
      - .offset:         96
        .size:           4
        .value_kind:     by_value
      - .offset:         100
        .size:           4
        .value_kind:     by_value
      - .offset:         104
        .size:           4
        .value_kind:     by_value
      - .offset:         108
        .size:           4
        .value_kind:     by_value
      - .offset:         112
        .size:           4
        .value_kind:     by_value
      - .offset:         116
        .size:           4
        .value_kind:     by_value
      - .offset:         120
        .size:           4
        .value_kind:     by_value
      - .offset:         124
        .size:           4
        .value_kind:     by_value
      - .offset:         128
        .size:           4
        .value_kind:     by_value
      - .offset:         132
        .size:           4
        .value_kind:     by_value
      - .offset:         136
        .size:           4
        .value_kind:     by_value
      - .offset:         144
        .size:           4
        .value_kind:     hidden_block_count_x
      - .offset:         148
        .size:           4
        .value_kind:     hidden_block_count_y
      - .offset:         152
        .size:           4
        .value_kind:     hidden_block_count_z
      - .offset:         156
        .size:           2
        .value_kind:     hidden_group_size_x
      - .offset:         158
        .size:           2
        .value_kind:     hidden_group_size_y
      - .offset:         160
        .size:           2
        .value_kind:     hidden_group_size_z
      - .offset:         162
        .size:           2
        .value_kind:     hidden_remainder_x
      - .offset:         164
        .size:           2
        .value_kind:     hidden_remainder_y
      - .offset:         166
        .size:           2
        .value_kind:     hidden_remainder_z
      - .offset:         184
        .size:           8
        .value_kind:     hidden_global_offset_x
      - .offset:         192
        .size:           8
        .value_kind:     hidden_global_offset_y
      - .offset:         200
        .size:           8
        .value_kind:     hidden_global_offset_z
      - .offset:         208
        .size:           2
        .value_kind:     hidden_grid_dims
    .group_segment_fixed_size: 64
    .kernarg_segment_align: 8
    .kernarg_segment_size: 400
    .language:       OpenCL C
    .language_version:
      - 2
      - 0
    .max_flat_workgroup_size: 1024
    .name:           _ZN5aiter35fused_qk_rmsnorm_group_quant_kernelItN4opus5fp4_tELi512ELi16ELi8ELb1ELb1ELb1ELb1ELb0ELb0EEEvPT0_PvPT_S7_S7_PKS6_S9_S9_S9_S9_ffiiiiiiiiiiiii
    .private_segment_fixed_size: 0
    .sgpr_count:     36
    .sgpr_spill_count: 0
    .symbol:         _ZN5aiter35fused_qk_rmsnorm_group_quant_kernelItN4opus5fp4_tELi512ELi16ELi8ELb1ELb1ELb1ELb1ELb0ELb0EEEvPT0_PvPT_S7_S7_PKS6_S9_S9_S9_S9_ffiiiiiiiiiiiii.kd
    .uniform_work_group_size: 1
    .uses_dynamic_stack: false
    .vgpr_count:     76
    .vgpr_spill_count: 0
    .wavefront_size: 64
  - .agpr_count:     0
    .args:
      - .actual_access:  read_only
        .address_space:  global
        .offset:         0
        .size:           8
        .value_kind:     global_buffer
      - .actual_access:  read_only
        .address_space:  global
        .offset:         8
        .size:           8
        .value_kind:     global_buffer
      - .actual_access:  write_only
        .address_space:  global
        .offset:         16
        .size:           8
        .value_kind:     global_buffer
      - .actual_access:  write_only
        .address_space:  global
        .offset:         24
        .size:           8
        .value_kind:     global_buffer
      - .actual_access:  write_only
        .address_space:  global
        .offset:         32
        .size:           8
        .value_kind:     global_buffer
      - .actual_access:  read_only
        .address_space:  global
        .offset:         40
        .size:           8
        .value_kind:     global_buffer
      - .actual_access:  read_only
        .address_space:  global
        .offset:         48
        .size:           8
        .value_kind:     global_buffer
      - .actual_access:  read_only
        .address_space:  global
        .offset:         56
        .size:           8
        .value_kind:     global_buffer
      - .actual_access:  read_only
        .address_space:  global
        .offset:         64
        .size:           8
        .value_kind:     global_buffer
      - .actual_access:  read_only
        .address_space:  global
        .offset:         72
        .size:           8
        .value_kind:     global_buffer
      - .offset:         80
        .size:           4
        .value_kind:     by_value
      - .offset:         84
        .size:           4
        .value_kind:     by_value
      - .offset:         88
        .size:           4
        .value_kind:     by_value
      - .offset:         92
        .size:           4
        .value_kind:     by_value
      - .offset:         96
        .size:           4
        .value_kind:     by_value
      - .offset:         100
        .size:           4
        .value_kind:     by_value
      - .offset:         104
        .size:           4
        .value_kind:     by_value
      - .offset:         108
        .size:           4
        .value_kind:     by_value
      - .offset:         112
        .size:           4
        .value_kind:     by_value
      - .offset:         116
        .size:           4
        .value_kind:     by_value
      - .offset:         120
        .size:           4
        .value_kind:     by_value
      - .offset:         124
        .size:           4
        .value_kind:     by_value
      - .offset:         128
        .size:           4
        .value_kind:     by_value
      - .offset:         132
        .size:           4
        .value_kind:     by_value
      - .offset:         136
        .size:           4
        .value_kind:     by_value
      - .offset:         144
        .size:           4
        .value_kind:     hidden_block_count_x
      - .offset:         148
        .size:           4
        .value_kind:     hidden_block_count_y
      - .offset:         152
        .size:           4
        .value_kind:     hidden_block_count_z
      - .offset:         156
        .size:           2
        .value_kind:     hidden_group_size_x
      - .offset:         158
        .size:           2
        .value_kind:     hidden_group_size_y
      - .offset:         160
        .size:           2
        .value_kind:     hidden_group_size_z
      - .offset:         162
        .size:           2
        .value_kind:     hidden_remainder_x
      - .offset:         164
        .size:           2
        .value_kind:     hidden_remainder_y
      - .offset:         166
        .size:           2
        .value_kind:     hidden_remainder_z
      - .offset:         184
        .size:           8
        .value_kind:     hidden_global_offset_x
      - .offset:         192
        .size:           8
        .value_kind:     hidden_global_offset_y
      - .offset:         200
        .size:           8
        .value_kind:     hidden_global_offset_z
      - .offset:         208
        .size:           2
        .value_kind:     hidden_grid_dims
    .group_segment_fixed_size: 64
    .kernarg_segment_align: 8
    .kernarg_segment_size: 400
    .language:       OpenCL C
    .language_version:
      - 2
      - 0
    .max_flat_workgroup_size: 1024
    .name:           _ZN5aiter35fused_qk_rmsnorm_group_quant_kernelIDF16_DB8_Li512ELi16ELi8ELb1ELb1ELb0ELb1ELb0ELb0EEEvPT0_PvPT_S6_S6_PKS5_S8_S8_S8_S8_ffiiiiiiiiiiiii
    .private_segment_fixed_size: 0
    .sgpr_count:     36
    .sgpr_spill_count: 0
    .symbol:         _ZN5aiter35fused_qk_rmsnorm_group_quant_kernelIDF16_DB8_Li512ELi16ELi8ELb1ELb1ELb0ELb1ELb0ELb0EEEvPT0_PvPT_S6_S6_PKS5_S8_S8_S8_S8_ffiiiiiiiiiiiii.kd
    .uniform_work_group_size: 1
    .uses_dynamic_stack: false
    .vgpr_count:     49
    .vgpr_spill_count: 0
    .wavefront_size: 64
  - .agpr_count:     0
    .args:
      - .actual_access:  read_only
        .address_space:  global
        .offset:         0
        .size:           8
        .value_kind:     global_buffer
      - .actual_access:  read_only
        .address_space:  global
        .offset:         8
        .size:           8
        .value_kind:     global_buffer
      - .actual_access:  write_only
        .address_space:  global
        .offset:         16
        .size:           8
        .value_kind:     global_buffer
      - .actual_access:  write_only
        .address_space:  global
        .offset:         24
        .size:           8
        .value_kind:     global_buffer
      - .actual_access:  write_only
        .address_space:  global
        .offset:         32
        .size:           8
        .value_kind:     global_buffer
      - .actual_access:  read_only
        .address_space:  global
        .offset:         40
        .size:           8
        .value_kind:     global_buffer
      - .actual_access:  read_only
        .address_space:  global
        .offset:         48
        .size:           8
        .value_kind:     global_buffer
      - .actual_access:  read_only
        .address_space:  global
        .offset:         56
        .size:           8
        .value_kind:     global_buffer
      - .actual_access:  read_only
        .address_space:  global
        .offset:         64
        .size:           8
        .value_kind:     global_buffer
      - .actual_access:  read_only
        .address_space:  global
        .offset:         72
        .size:           8
        .value_kind:     global_buffer
      - .offset:         80
        .size:           4
        .value_kind:     by_value
      - .offset:         84
        .size:           4
        .value_kind:     by_value
      - .offset:         88
        .size:           4
        .value_kind:     by_value
      - .offset:         92
        .size:           4
        .value_kind:     by_value
      - .offset:         96
        .size:           4
        .value_kind:     by_value
      - .offset:         100
        .size:           4
        .value_kind:     by_value
      - .offset:         104
        .size:           4
        .value_kind:     by_value
      - .offset:         108
        .size:           4
        .value_kind:     by_value
      - .offset:         112
        .size:           4
        .value_kind:     by_value
      - .offset:         116
        .size:           4
        .value_kind:     by_value
      - .offset:         120
        .size:           4
        .value_kind:     by_value
      - .offset:         124
        .size:           4
        .value_kind:     by_value
      - .offset:         128
        .size:           4
        .value_kind:     by_value
      - .offset:         132
        .size:           4
        .value_kind:     by_value
      - .offset:         136
        .size:           4
        .value_kind:     by_value
      - .offset:         144
        .size:           4
        .value_kind:     hidden_block_count_x
      - .offset:         148
        .size:           4
        .value_kind:     hidden_block_count_y
      - .offset:         152
        .size:           4
        .value_kind:     hidden_block_count_z
      - .offset:         156
        .size:           2
        .value_kind:     hidden_group_size_x
      - .offset:         158
        .size:           2
        .value_kind:     hidden_group_size_y
      - .offset:         160
        .size:           2
        .value_kind:     hidden_group_size_z
      - .offset:         162
        .size:           2
        .value_kind:     hidden_remainder_x
      - .offset:         164
        .size:           2
        .value_kind:     hidden_remainder_y
      - .offset:         166
        .size:           2
        .value_kind:     hidden_remainder_z
      - .offset:         184
        .size:           8
        .value_kind:     hidden_global_offset_x
      - .offset:         192
        .size:           8
        .value_kind:     hidden_global_offset_y
      - .offset:         200
        .size:           8
        .value_kind:     hidden_global_offset_z
      - .offset:         208
        .size:           2
        .value_kind:     hidden_grid_dims
    .group_segment_fixed_size: 64
    .kernarg_segment_align: 8
    .kernarg_segment_size: 400
    .language:       OpenCL C
    .language_version:
      - 2
      - 0
    .max_flat_workgroup_size: 1024
    .name:           _ZN5aiter35fused_qk_rmsnorm_group_quant_kernelItDB8_Li512ELi16ELi8ELb1ELb1ELb0ELb1ELb0ELb0EEEvPT0_PvPT_S6_S6_PKS5_S8_S8_S8_S8_ffiiiiiiiiiiiii
    .private_segment_fixed_size: 0
    .sgpr_count:     36
    .sgpr_spill_count: 0
    .symbol:         _ZN5aiter35fused_qk_rmsnorm_group_quant_kernelItDB8_Li512ELi16ELi8ELb1ELb1ELb0ELb1ELb0ELb0EEEvPT0_PvPT_S6_S6_PKS5_S8_S8_S8_S8_ffiiiiiiiiiiiii.kd
    .uniform_work_group_size: 1
    .uses_dynamic_stack: false
    .vgpr_count:     90
    .vgpr_spill_count: 0
    .wavefront_size: 64
  - .agpr_count:     0
    .args:
      - .actual_access:  read_only
        .address_space:  global
        .offset:         0
        .size:           8
        .value_kind:     global_buffer
      - .actual_access:  read_only
        .address_space:  global
        .offset:         8
        .size:           8
        .value_kind:     global_buffer
      - .actual_access:  write_only
        .address_space:  global
        .offset:         16
        .size:           8
        .value_kind:     global_buffer
      - .actual_access:  write_only
        .address_space:  global
        .offset:         24
        .size:           8
        .value_kind:     global_buffer
      - .actual_access:  write_only
        .address_space:  global
        .offset:         32
        .size:           8
        .value_kind:     global_buffer
      - .actual_access:  read_only
        .address_space:  global
        .offset:         40
        .size:           8
        .value_kind:     global_buffer
      - .actual_access:  read_only
        .address_space:  global
        .offset:         48
        .size:           8
        .value_kind:     global_buffer
      - .actual_access:  read_only
        .address_space:  global
        .offset:         56
        .size:           8
        .value_kind:     global_buffer
      - .actual_access:  read_only
        .address_space:  global
        .offset:         64
        .size:           8
        .value_kind:     global_buffer
      - .actual_access:  read_only
        .address_space:  global
        .offset:         72
        .size:           8
        .value_kind:     global_buffer
      - .offset:         80
        .size:           4
        .value_kind:     by_value
      - .offset:         84
        .size:           4
        .value_kind:     by_value
      - .offset:         88
        .size:           4
        .value_kind:     by_value
      - .offset:         92
        .size:           4
        .value_kind:     by_value
      - .offset:         96
        .size:           4
        .value_kind:     by_value
      - .offset:         100
        .size:           4
        .value_kind:     by_value
      - .offset:         104
        .size:           4
        .value_kind:     by_value
      - .offset:         108
        .size:           4
        .value_kind:     by_value
      - .offset:         112
        .size:           4
        .value_kind:     by_value
      - .offset:         116
        .size:           4
        .value_kind:     by_value
      - .offset:         120
        .size:           4
        .value_kind:     by_value
      - .offset:         124
        .size:           4
        .value_kind:     by_value
      - .offset:         128
        .size:           4
        .value_kind:     by_value
      - .offset:         132
        .size:           4
        .value_kind:     by_value
      - .offset:         136
        .size:           4
        .value_kind:     by_value
      - .offset:         144
        .size:           4
        .value_kind:     hidden_block_count_x
      - .offset:         148
        .size:           4
        .value_kind:     hidden_block_count_y
      - .offset:         152
        .size:           4
        .value_kind:     hidden_block_count_z
      - .offset:         156
        .size:           2
        .value_kind:     hidden_group_size_x
      - .offset:         158
        .size:           2
        .value_kind:     hidden_group_size_y
      - .offset:         160
        .size:           2
        .value_kind:     hidden_group_size_z
      - .offset:         162
        .size:           2
        .value_kind:     hidden_remainder_x
      - .offset:         164
        .size:           2
        .value_kind:     hidden_remainder_y
      - .offset:         166
        .size:           2
        .value_kind:     hidden_remainder_z
      - .offset:         184
        .size:           8
        .value_kind:     hidden_global_offset_x
      - .offset:         192
        .size:           8
        .value_kind:     hidden_global_offset_y
      - .offset:         200
        .size:           8
        .value_kind:     hidden_global_offset_z
      - .offset:         208
        .size:           2
        .value_kind:     hidden_grid_dims
    .group_segment_fixed_size: 64
    .kernarg_segment_align: 8
    .kernarg_segment_size: 400
    .language:       OpenCL C
    .language_version:
      - 2
      - 0
    .max_flat_workgroup_size: 1024
    .name:           _ZN5aiter35fused_qk_rmsnorm_group_quant_kernelIDF16_N4opus5fp4_tELi512ELi16ELi8ELb1ELb1ELb0ELb1ELb0ELb0EEEvPT0_PvPT_S7_S7_PKS6_S9_S9_S9_S9_ffiiiiiiiiiiiii
    .private_segment_fixed_size: 0
    .sgpr_count:     36
    .sgpr_spill_count: 0
    .symbol:         _ZN5aiter35fused_qk_rmsnorm_group_quant_kernelIDF16_N4opus5fp4_tELi512ELi16ELi8ELb1ELb1ELb0ELb1ELb0ELb0EEEvPT0_PvPT_S7_S7_PKS6_S9_S9_S9_S9_ffiiiiiiiiiiiii.kd
    .uniform_work_group_size: 1
    .uses_dynamic_stack: false
    .vgpr_count:     49
    .vgpr_spill_count: 0
    .wavefront_size: 64
  - .agpr_count:     0
    .args:
      - .actual_access:  read_only
        .address_space:  global
        .offset:         0
        .size:           8
        .value_kind:     global_buffer
      - .actual_access:  read_only
        .address_space:  global
        .offset:         8
        .size:           8
        .value_kind:     global_buffer
      - .actual_access:  write_only
        .address_space:  global
        .offset:         16
        .size:           8
        .value_kind:     global_buffer
      - .actual_access:  write_only
        .address_space:  global
        .offset:         24
        .size:           8
        .value_kind:     global_buffer
      - .actual_access:  write_only
        .address_space:  global
        .offset:         32
        .size:           8
        .value_kind:     global_buffer
      - .actual_access:  read_only
        .address_space:  global
        .offset:         40
        .size:           8
        .value_kind:     global_buffer
      - .actual_access:  read_only
        .address_space:  global
        .offset:         48
        .size:           8
        .value_kind:     global_buffer
      - .actual_access:  read_only
        .address_space:  global
        .offset:         56
        .size:           8
        .value_kind:     global_buffer
      - .actual_access:  read_only
        .address_space:  global
        .offset:         64
        .size:           8
        .value_kind:     global_buffer
      - .actual_access:  read_only
        .address_space:  global
        .offset:         72
        .size:           8
        .value_kind:     global_buffer
      - .offset:         80
        .size:           4
        .value_kind:     by_value
      - .offset:         84
        .size:           4
        .value_kind:     by_value
      - .offset:         88
        .size:           4
        .value_kind:     by_value
      - .offset:         92
        .size:           4
        .value_kind:     by_value
      - .offset:         96
        .size:           4
        .value_kind:     by_value
      - .offset:         100
        .size:           4
        .value_kind:     by_value
      - .offset:         104
        .size:           4
        .value_kind:     by_value
      - .offset:         108
        .size:           4
        .value_kind:     by_value
      - .offset:         112
        .size:           4
        .value_kind:     by_value
      - .offset:         116
        .size:           4
        .value_kind:     by_value
      - .offset:         120
        .size:           4
        .value_kind:     by_value
      - .offset:         124
        .size:           4
        .value_kind:     by_value
      - .offset:         128
        .size:           4
        .value_kind:     by_value
      - .offset:         132
        .size:           4
        .value_kind:     by_value
      - .offset:         136
        .size:           4
        .value_kind:     by_value
      - .offset:         144
        .size:           4
        .value_kind:     hidden_block_count_x
      - .offset:         148
        .size:           4
        .value_kind:     hidden_block_count_y
      - .offset:         152
        .size:           4
        .value_kind:     hidden_block_count_z
      - .offset:         156
        .size:           2
        .value_kind:     hidden_group_size_x
      - .offset:         158
        .size:           2
        .value_kind:     hidden_group_size_y
      - .offset:         160
        .size:           2
        .value_kind:     hidden_group_size_z
      - .offset:         162
        .size:           2
        .value_kind:     hidden_remainder_x
      - .offset:         164
        .size:           2
        .value_kind:     hidden_remainder_y
      - .offset:         166
        .size:           2
        .value_kind:     hidden_remainder_z
      - .offset:         184
        .size:           8
        .value_kind:     hidden_global_offset_x
      - .offset:         192
        .size:           8
        .value_kind:     hidden_global_offset_y
      - .offset:         200
        .size:           8
        .value_kind:     hidden_global_offset_z
      - .offset:         208
        .size:           2
        .value_kind:     hidden_grid_dims
    .group_segment_fixed_size: 64
    .kernarg_segment_align: 8
    .kernarg_segment_size: 400
    .language:       OpenCL C
    .language_version:
      - 2
      - 0
    .max_flat_workgroup_size: 1024
    .name:           _ZN5aiter35fused_qk_rmsnorm_group_quant_kernelItN4opus5fp4_tELi512ELi16ELi8ELb1ELb1ELb0ELb1ELb0ELb0EEEvPT0_PvPT_S7_S7_PKS6_S9_S9_S9_S9_ffiiiiiiiiiiiii
    .private_segment_fixed_size: 0
    .sgpr_count:     36
    .sgpr_spill_count: 0
    .symbol:         _ZN5aiter35fused_qk_rmsnorm_group_quant_kernelItN4opus5fp4_tELi512ELi16ELi8ELb1ELb1ELb0ELb1ELb0ELb0EEEvPT0_PvPT_S7_S7_PKS6_S9_S9_S9_S9_ffiiiiiiiiiiiii.kd
    .uniform_work_group_size: 1
    .uses_dynamic_stack: false
    .vgpr_count:     90
    .vgpr_spill_count: 0
    .wavefront_size: 64
  - .agpr_count:     0
    .args:
      - .actual_access:  read_only
        .address_space:  global
        .offset:         0
        .size:           8
        .value_kind:     global_buffer
      - .actual_access:  read_only
        .address_space:  global
        .offset:         8
        .size:           8
        .value_kind:     global_buffer
      - .actual_access:  write_only
        .address_space:  global
        .offset:         16
        .size:           8
        .value_kind:     global_buffer
      - .actual_access:  write_only
        .address_space:  global
        .offset:         24
        .size:           8
        .value_kind:     global_buffer
      - .actual_access:  read_only
        .address_space:  global
        .offset:         32
        .size:           8
        .value_kind:     global_buffer
      - .actual_access:  read_only
        .address_space:  global
        .offset:         40
        .size:           8
        .value_kind:     global_buffer
      - .actual_access:  read_only
        .address_space:  global
        .offset:         48
        .size:           8
        .value_kind:     global_buffer
      - .actual_access:  read_only
        .address_space:  global
        .offset:         56
        .size:           8
        .value_kind:     global_buffer
      - .actual_access:  read_only
        .address_space:  global
        .offset:         64
        .size:           8
        .value_kind:     global_buffer
      - .actual_access:  read_only
        .address_space:  global
        .offset:         72
        .size:           8
        .value_kind:     global_buffer
      - .offset:         80
        .size:           4
        .value_kind:     by_value
      - .offset:         84
        .size:           4
        .value_kind:     by_value
      - .offset:         88
        .size:           4
        .value_kind:     by_value
      - .offset:         92
        .size:           4
        .value_kind:     by_value
      - .offset:         96
        .size:           4
        .value_kind:     by_value
      - .offset:         100
        .size:           4
        .value_kind:     by_value
      - .offset:         104
        .size:           4
        .value_kind:     by_value
      - .offset:         108
        .size:           4
        .value_kind:     by_value
      - .offset:         112
        .size:           4
        .value_kind:     by_value
      - .offset:         116
        .size:           4
        .value_kind:     by_value
      - .offset:         120
        .size:           4
        .value_kind:     by_value
      - .offset:         124
        .size:           4
        .value_kind:     by_value
      - .offset:         128
        .size:           4
        .value_kind:     by_value
      - .offset:         132
        .size:           4
        .value_kind:     by_value
      - .offset:         136
        .size:           4
        .value_kind:     by_value
      - .offset:         144
        .size:           4
        .value_kind:     hidden_block_count_x
      - .offset:         148
        .size:           4
        .value_kind:     hidden_block_count_y
      - .offset:         152
        .size:           4
        .value_kind:     hidden_block_count_z
      - .offset:         156
        .size:           2
        .value_kind:     hidden_group_size_x
      - .offset:         158
        .size:           2
        .value_kind:     hidden_group_size_y
      - .offset:         160
        .size:           2
        .value_kind:     hidden_group_size_z
      - .offset:         162
        .size:           2
        .value_kind:     hidden_remainder_x
      - .offset:         164
        .size:           2
        .value_kind:     hidden_remainder_y
      - .offset:         166
        .size:           2
        .value_kind:     hidden_remainder_z
      - .offset:         184
        .size:           8
        .value_kind:     hidden_global_offset_x
      - .offset:         192
        .size:           8
        .value_kind:     hidden_global_offset_y
      - .offset:         200
        .size:           8
        .value_kind:     hidden_global_offset_z
      - .offset:         208
        .size:           2
        .value_kind:     hidden_grid_dims
    .group_segment_fixed_size: 64
    .kernarg_segment_align: 8
    .kernarg_segment_size: 400
    .language:       OpenCL C
    .language_version:
      - 2
      - 0
    .max_flat_workgroup_size: 1024
    .name:           _ZN5aiter35fused_qk_rmsnorm_group_quant_kernelIDF16_DB8_Li512ELi16ELi8ELb0ELb1ELb1ELb1ELb0ELb0EEEvPT0_PvPT_S6_S6_PKS5_S8_S8_S8_S8_ffiiiiiiiiiiiii
    .private_segment_fixed_size: 0
    .sgpr_count:     36
    .sgpr_spill_count: 0
    .symbol:         _ZN5aiter35fused_qk_rmsnorm_group_quant_kernelIDF16_DB8_Li512ELi16ELi8ELb0ELb1ELb1ELb1ELb0ELb0EEEvPT0_PvPT_S6_S6_PKS5_S8_S8_S8_S8_ffiiiiiiiiiiiii.kd
    .uniform_work_group_size: 1
    .uses_dynamic_stack: false
    .vgpr_count:     35
    .vgpr_spill_count: 0
    .wavefront_size: 64
  - .agpr_count:     0
    .args:
      - .actual_access:  read_only
        .address_space:  global
        .offset:         0
        .size:           8
        .value_kind:     global_buffer
      - .actual_access:  read_only
        .address_space:  global
        .offset:         8
        .size:           8
        .value_kind:     global_buffer
      - .actual_access:  write_only
        .address_space:  global
        .offset:         16
        .size:           8
        .value_kind:     global_buffer
      - .actual_access:  write_only
        .address_space:  global
        .offset:         24
        .size:           8
        .value_kind:     global_buffer
      - .actual_access:  read_only
        .address_space:  global
        .offset:         32
        .size:           8
        .value_kind:     global_buffer
      - .actual_access:  read_only
        .address_space:  global
        .offset:         40
        .size:           8
        .value_kind:     global_buffer
      - .actual_access:  read_only
        .address_space:  global
        .offset:         48
        .size:           8
        .value_kind:     global_buffer
      - .actual_access:  read_only
        .address_space:  global
        .offset:         56
        .size:           8
        .value_kind:     global_buffer
      - .actual_access:  read_only
        .address_space:  global
        .offset:         64
        .size:           8
        .value_kind:     global_buffer
      - .actual_access:  read_only
        .address_space:  global
        .offset:         72
        .size:           8
        .value_kind:     global_buffer
      - .offset:         80
        .size:           4
        .value_kind:     by_value
      - .offset:         84
        .size:           4
        .value_kind:     by_value
      - .offset:         88
        .size:           4
        .value_kind:     by_value
      - .offset:         92
        .size:           4
        .value_kind:     by_value
      - .offset:         96
        .size:           4
        .value_kind:     by_value
      - .offset:         100
        .size:           4
        .value_kind:     by_value
      - .offset:         104
        .size:           4
        .value_kind:     by_value
      - .offset:         108
        .size:           4
        .value_kind:     by_value
      - .offset:         112
        .size:           4
        .value_kind:     by_value
      - .offset:         116
        .size:           4
        .value_kind:     by_value
      - .offset:         120
        .size:           4
        .value_kind:     by_value
      - .offset:         124
        .size:           4
        .value_kind:     by_value
      - .offset:         128
        .size:           4
        .value_kind:     by_value
      - .offset:         132
        .size:           4
        .value_kind:     by_value
      - .offset:         136
        .size:           4
        .value_kind:     by_value
      - .offset:         144
        .size:           4
        .value_kind:     hidden_block_count_x
      - .offset:         148
        .size:           4
        .value_kind:     hidden_block_count_y
      - .offset:         152
        .size:           4
        .value_kind:     hidden_block_count_z
      - .offset:         156
        .size:           2
        .value_kind:     hidden_group_size_x
      - .offset:         158
        .size:           2
        .value_kind:     hidden_group_size_y
      - .offset:         160
        .size:           2
        .value_kind:     hidden_group_size_z
      - .offset:         162
        .size:           2
        .value_kind:     hidden_remainder_x
      - .offset:         164
        .size:           2
        .value_kind:     hidden_remainder_y
      - .offset:         166
        .size:           2
        .value_kind:     hidden_remainder_z
      - .offset:         184
        .size:           8
        .value_kind:     hidden_global_offset_x
      - .offset:         192
        .size:           8
        .value_kind:     hidden_global_offset_y
      - .offset:         200
        .size:           8
        .value_kind:     hidden_global_offset_z
      - .offset:         208
        .size:           2
        .value_kind:     hidden_grid_dims
    .group_segment_fixed_size: 64
    .kernarg_segment_align: 8
    .kernarg_segment_size: 400
    .language:       OpenCL C
    .language_version:
      - 2
      - 0
    .max_flat_workgroup_size: 1024
    .name:           _ZN5aiter35fused_qk_rmsnorm_group_quant_kernelItDB8_Li512ELi16ELi8ELb0ELb1ELb1ELb1ELb0ELb0EEEvPT0_PvPT_S6_S6_PKS5_S8_S8_S8_S8_ffiiiiiiiiiiiii
    .private_segment_fixed_size: 0
    .sgpr_count:     36
    .sgpr_spill_count: 0
    .symbol:         _ZN5aiter35fused_qk_rmsnorm_group_quant_kernelItDB8_Li512ELi16ELi8ELb0ELb1ELb1ELb1ELb0ELb0EEEvPT0_PvPT_S6_S6_PKS5_S8_S8_S8_S8_ffiiiiiiiiiiiii.kd
    .uniform_work_group_size: 1
    .uses_dynamic_stack: false
    .vgpr_count:     35
    .vgpr_spill_count: 0
    .wavefront_size: 64
  - .agpr_count:     0
    .args:
      - .actual_access:  read_only
        .address_space:  global
        .offset:         0
        .size:           8
        .value_kind:     global_buffer
      - .actual_access:  read_only
        .address_space:  global
        .offset:         8
        .size:           8
        .value_kind:     global_buffer
      - .actual_access:  write_only
        .address_space:  global
        .offset:         16
        .size:           8
        .value_kind:     global_buffer
      - .actual_access:  write_only
        .address_space:  global
        .offset:         24
        .size:           8
        .value_kind:     global_buffer
      - .actual_access:  read_only
        .address_space:  global
        .offset:         32
        .size:           8
        .value_kind:     global_buffer
      - .actual_access:  read_only
        .address_space:  global
        .offset:         40
        .size:           8
        .value_kind:     global_buffer
      - .actual_access:  read_only
        .address_space:  global
        .offset:         48
        .size:           8
        .value_kind:     global_buffer
      - .actual_access:  read_only
        .address_space:  global
        .offset:         56
        .size:           8
        .value_kind:     global_buffer
      - .actual_access:  read_only
        .address_space:  global
        .offset:         64
        .size:           8
        .value_kind:     global_buffer
      - .actual_access:  read_only
        .address_space:  global
        .offset:         72
        .size:           8
        .value_kind:     global_buffer
      - .offset:         80
        .size:           4
        .value_kind:     by_value
      - .offset:         84
        .size:           4
        .value_kind:     by_value
      - .offset:         88
        .size:           4
        .value_kind:     by_value
      - .offset:         92
        .size:           4
        .value_kind:     by_value
      - .offset:         96
        .size:           4
        .value_kind:     by_value
      - .offset:         100
        .size:           4
        .value_kind:     by_value
      - .offset:         104
        .size:           4
        .value_kind:     by_value
      - .offset:         108
        .size:           4
        .value_kind:     by_value
      - .offset:         112
        .size:           4
        .value_kind:     by_value
      - .offset:         116
        .size:           4
        .value_kind:     by_value
      - .offset:         120
        .size:           4
        .value_kind:     by_value
      - .offset:         124
        .size:           4
        .value_kind:     by_value
      - .offset:         128
        .size:           4
        .value_kind:     by_value
      - .offset:         132
        .size:           4
        .value_kind:     by_value
      - .offset:         136
        .size:           4
        .value_kind:     by_value
      - .offset:         144
        .size:           4
        .value_kind:     hidden_block_count_x
      - .offset:         148
        .size:           4
        .value_kind:     hidden_block_count_y
      - .offset:         152
        .size:           4
        .value_kind:     hidden_block_count_z
      - .offset:         156
        .size:           2
        .value_kind:     hidden_group_size_x
      - .offset:         158
        .size:           2
        .value_kind:     hidden_group_size_y
      - .offset:         160
        .size:           2
        .value_kind:     hidden_group_size_z
      - .offset:         162
        .size:           2
        .value_kind:     hidden_remainder_x
      - .offset:         164
        .size:           2
        .value_kind:     hidden_remainder_y
      - .offset:         166
        .size:           2
        .value_kind:     hidden_remainder_z
      - .offset:         184
        .size:           8
        .value_kind:     hidden_global_offset_x
      - .offset:         192
        .size:           8
        .value_kind:     hidden_global_offset_y
      - .offset:         200
        .size:           8
        .value_kind:     hidden_global_offset_z
      - .offset:         208
        .size:           2
        .value_kind:     hidden_grid_dims
    .group_segment_fixed_size: 64
    .kernarg_segment_align: 8
    .kernarg_segment_size: 400
    .language:       OpenCL C
    .language_version:
      - 2
      - 0
    .max_flat_workgroup_size: 1024
    .name:           _ZN5aiter35fused_qk_rmsnorm_group_quant_kernelIDF16_N4opus5fp4_tELi512ELi16ELi8ELb0ELb1ELb1ELb1ELb0ELb0EEEvPT0_PvPT_S7_S7_PKS6_S9_S9_S9_S9_ffiiiiiiiiiiiii
    .private_segment_fixed_size: 0
    .sgpr_count:     36
    .sgpr_spill_count: 0
    .symbol:         _ZN5aiter35fused_qk_rmsnorm_group_quant_kernelIDF16_N4opus5fp4_tELi512ELi16ELi8ELb0ELb1ELb1ELb1ELb0ELb0EEEvPT0_PvPT_S7_S7_PKS6_S9_S9_S9_S9_ffiiiiiiiiiiiii.kd
    .uniform_work_group_size: 1
    .uses_dynamic_stack: false
    .vgpr_count:     35
    .vgpr_spill_count: 0
    .wavefront_size: 64
  - .agpr_count:     0
    .args:
      - .actual_access:  read_only
        .address_space:  global
        .offset:         0
        .size:           8
        .value_kind:     global_buffer
      - .actual_access:  read_only
        .address_space:  global
        .offset:         8
        .size:           8
        .value_kind:     global_buffer
      - .actual_access:  write_only
        .address_space:  global
        .offset:         16
        .size:           8
        .value_kind:     global_buffer
      - .actual_access:  write_only
        .address_space:  global
        .offset:         24
        .size:           8
        .value_kind:     global_buffer
      - .actual_access:  read_only
        .address_space:  global
        .offset:         32
        .size:           8
        .value_kind:     global_buffer
      - .actual_access:  read_only
        .address_space:  global
        .offset:         40
        .size:           8
        .value_kind:     global_buffer
      - .actual_access:  read_only
        .address_space:  global
        .offset:         48
        .size:           8
        .value_kind:     global_buffer
      - .actual_access:  read_only
        .address_space:  global
        .offset:         56
        .size:           8
        .value_kind:     global_buffer
      - .actual_access:  read_only
        .address_space:  global
        .offset:         64
        .size:           8
        .value_kind:     global_buffer
      - .actual_access:  read_only
        .address_space:  global
        .offset:         72
        .size:           8
        .value_kind:     global_buffer
      - .offset:         80
        .size:           4
        .value_kind:     by_value
      - .offset:         84
        .size:           4
        .value_kind:     by_value
      - .offset:         88
        .size:           4
        .value_kind:     by_value
      - .offset:         92
        .size:           4
        .value_kind:     by_value
      - .offset:         96
        .size:           4
        .value_kind:     by_value
      - .offset:         100
        .size:           4
        .value_kind:     by_value
      - .offset:         104
        .size:           4
        .value_kind:     by_value
      - .offset:         108
        .size:           4
        .value_kind:     by_value
      - .offset:         112
        .size:           4
        .value_kind:     by_value
      - .offset:         116
        .size:           4
        .value_kind:     by_value
      - .offset:         120
        .size:           4
        .value_kind:     by_value
      - .offset:         124
        .size:           4
        .value_kind:     by_value
      - .offset:         128
        .size:           4
        .value_kind:     by_value
      - .offset:         132
        .size:           4
        .value_kind:     by_value
      - .offset:         136
        .size:           4
        .value_kind:     by_value
      - .offset:         144
        .size:           4
        .value_kind:     hidden_block_count_x
      - .offset:         148
        .size:           4
        .value_kind:     hidden_block_count_y
      - .offset:         152
        .size:           4
        .value_kind:     hidden_block_count_z
      - .offset:         156
        .size:           2
        .value_kind:     hidden_group_size_x
      - .offset:         158
        .size:           2
        .value_kind:     hidden_group_size_y
      - .offset:         160
        .size:           2
        .value_kind:     hidden_group_size_z
      - .offset:         162
        .size:           2
        .value_kind:     hidden_remainder_x
      - .offset:         164
        .size:           2
        .value_kind:     hidden_remainder_y
      - .offset:         166
        .size:           2
        .value_kind:     hidden_remainder_z
      - .offset:         184
        .size:           8
        .value_kind:     hidden_global_offset_x
      - .offset:         192
        .size:           8
        .value_kind:     hidden_global_offset_y
      - .offset:         200
        .size:           8
        .value_kind:     hidden_global_offset_z
      - .offset:         208
        .size:           2
        .value_kind:     hidden_grid_dims
    .group_segment_fixed_size: 64
    .kernarg_segment_align: 8
    .kernarg_segment_size: 400
    .language:       OpenCL C
    .language_version:
      - 2
      - 0
    .max_flat_workgroup_size: 1024
    .name:           _ZN5aiter35fused_qk_rmsnorm_group_quant_kernelItN4opus5fp4_tELi512ELi16ELi8ELb0ELb1ELb1ELb1ELb0ELb0EEEvPT0_PvPT_S7_S7_PKS6_S9_S9_S9_S9_ffiiiiiiiiiiiii
    .private_segment_fixed_size: 0
    .sgpr_count:     36
    .sgpr_spill_count: 0
    .symbol:         _ZN5aiter35fused_qk_rmsnorm_group_quant_kernelItN4opus5fp4_tELi512ELi16ELi8ELb0ELb1ELb1ELb1ELb0ELb0EEEvPT0_PvPT_S7_S7_PKS6_S9_S9_S9_S9_ffiiiiiiiiiiiii.kd
    .uniform_work_group_size: 1
    .uses_dynamic_stack: false
    .vgpr_count:     35
    .vgpr_spill_count: 0
    .wavefront_size: 64
  - .agpr_count:     0
    .args:
      - .actual_access:  read_only
        .address_space:  global
        .offset:         0
        .size:           8
        .value_kind:     global_buffer
      - .actual_access:  read_only
        .address_space:  global
        .offset:         8
        .size:           8
        .value_kind:     global_buffer
      - .actual_access:  write_only
        .address_space:  global
        .offset:         16
        .size:           8
        .value_kind:     global_buffer
      - .actual_access:  write_only
        .address_space:  global
        .offset:         24
        .size:           8
        .value_kind:     global_buffer
      - .actual_access:  read_only
        .address_space:  global
        .offset:         32
        .size:           8
        .value_kind:     global_buffer
      - .actual_access:  read_only
        .address_space:  global
        .offset:         40
        .size:           8
        .value_kind:     global_buffer
      - .actual_access:  read_only
        .address_space:  global
        .offset:         48
        .size:           8
        .value_kind:     global_buffer
      - .actual_access:  read_only
        .address_space:  global
        .offset:         56
        .size:           8
        .value_kind:     global_buffer
      - .actual_access:  read_only
        .address_space:  global
        .offset:         64
        .size:           8
        .value_kind:     global_buffer
      - .actual_access:  read_only
        .address_space:  global
        .offset:         72
        .size:           8
        .value_kind:     global_buffer
      - .offset:         80
        .size:           4
        .value_kind:     by_value
      - .offset:         84
        .size:           4
        .value_kind:     by_value
      - .offset:         88
        .size:           4
        .value_kind:     by_value
      - .offset:         92
        .size:           4
        .value_kind:     by_value
      - .offset:         96
        .size:           4
        .value_kind:     by_value
      - .offset:         100
        .size:           4
        .value_kind:     by_value
      - .offset:         104
        .size:           4
        .value_kind:     by_value
      - .offset:         108
        .size:           4
        .value_kind:     by_value
      - .offset:         112
        .size:           4
        .value_kind:     by_value
      - .offset:         116
        .size:           4
        .value_kind:     by_value
      - .offset:         120
        .size:           4
        .value_kind:     by_value
      - .offset:         124
        .size:           4
        .value_kind:     by_value
      - .offset:         128
        .size:           4
        .value_kind:     by_value
      - .offset:         132
        .size:           4
        .value_kind:     by_value
      - .offset:         136
        .size:           4
        .value_kind:     by_value
      - .offset:         144
        .size:           4
        .value_kind:     hidden_block_count_x
      - .offset:         148
        .size:           4
        .value_kind:     hidden_block_count_y
      - .offset:         152
        .size:           4
        .value_kind:     hidden_block_count_z
      - .offset:         156
        .size:           2
        .value_kind:     hidden_group_size_x
      - .offset:         158
        .size:           2
        .value_kind:     hidden_group_size_y
      - .offset:         160
        .size:           2
        .value_kind:     hidden_group_size_z
      - .offset:         162
        .size:           2
        .value_kind:     hidden_remainder_x
      - .offset:         164
        .size:           2
        .value_kind:     hidden_remainder_y
      - .offset:         166
        .size:           2
        .value_kind:     hidden_remainder_z
      - .offset:         184
        .size:           8
        .value_kind:     hidden_global_offset_x
      - .offset:         192
        .size:           8
        .value_kind:     hidden_global_offset_y
      - .offset:         200
        .size:           8
        .value_kind:     hidden_global_offset_z
      - .offset:         208
        .size:           2
        .value_kind:     hidden_grid_dims
    .group_segment_fixed_size: 64
    .kernarg_segment_align: 8
    .kernarg_segment_size: 400
    .language:       OpenCL C
    .language_version:
      - 2
      - 0
    .max_flat_workgroup_size: 1024
    .name:           _ZN5aiter35fused_qk_rmsnorm_group_quant_kernelIDF16_DB8_Li512ELi16ELi8ELb0ELb1ELb0ELb1ELb0ELb0EEEvPT0_PvPT_S6_S6_PKS5_S8_S8_S8_S8_ffiiiiiiiiiiiii
    .private_segment_fixed_size: 0
    .sgpr_count:     36
    .sgpr_spill_count: 0
    .symbol:         _ZN5aiter35fused_qk_rmsnorm_group_quant_kernelIDF16_DB8_Li512ELi16ELi8ELb0ELb1ELb0ELb1ELb0ELb0EEEvPT0_PvPT_S6_S6_PKS5_S8_S8_S8_S8_ffiiiiiiiiiiiii.kd
    .uniform_work_group_size: 1
    .uses_dynamic_stack: false
    .vgpr_count:     35
    .vgpr_spill_count: 0
    .wavefront_size: 64
  - .agpr_count:     0
    .args:
      - .actual_access:  read_only
        .address_space:  global
        .offset:         0
        .size:           8
        .value_kind:     global_buffer
      - .actual_access:  read_only
        .address_space:  global
        .offset:         8
        .size:           8
        .value_kind:     global_buffer
      - .actual_access:  write_only
        .address_space:  global
        .offset:         16
        .size:           8
        .value_kind:     global_buffer
      - .actual_access:  write_only
        .address_space:  global
        .offset:         24
        .size:           8
        .value_kind:     global_buffer
      - .actual_access:  read_only
        .address_space:  global
        .offset:         32
        .size:           8
        .value_kind:     global_buffer
      - .actual_access:  read_only
        .address_space:  global
        .offset:         40
        .size:           8
        .value_kind:     global_buffer
      - .actual_access:  read_only
        .address_space:  global
        .offset:         48
        .size:           8
        .value_kind:     global_buffer
      - .actual_access:  read_only
        .address_space:  global
        .offset:         56
        .size:           8
        .value_kind:     global_buffer
      - .actual_access:  read_only
        .address_space:  global
        .offset:         64
        .size:           8
        .value_kind:     global_buffer
      - .actual_access:  read_only
        .address_space:  global
        .offset:         72
        .size:           8
        .value_kind:     global_buffer
      - .offset:         80
        .size:           4
        .value_kind:     by_value
      - .offset:         84
        .size:           4
        .value_kind:     by_value
      - .offset:         88
        .size:           4
        .value_kind:     by_value
      - .offset:         92
        .size:           4
        .value_kind:     by_value
      - .offset:         96
        .size:           4
        .value_kind:     by_value
      - .offset:         100
        .size:           4
        .value_kind:     by_value
      - .offset:         104
        .size:           4
        .value_kind:     by_value
      - .offset:         108
        .size:           4
        .value_kind:     by_value
      - .offset:         112
        .size:           4
        .value_kind:     by_value
      - .offset:         116
        .size:           4
        .value_kind:     by_value
      - .offset:         120
        .size:           4
        .value_kind:     by_value
      - .offset:         124
        .size:           4
        .value_kind:     by_value
      - .offset:         128
        .size:           4
        .value_kind:     by_value
      - .offset:         132
        .size:           4
        .value_kind:     by_value
      - .offset:         136
        .size:           4
        .value_kind:     by_value
      - .offset:         144
        .size:           4
        .value_kind:     hidden_block_count_x
      - .offset:         148
        .size:           4
        .value_kind:     hidden_block_count_y
      - .offset:         152
        .size:           4
        .value_kind:     hidden_block_count_z
      - .offset:         156
        .size:           2
        .value_kind:     hidden_group_size_x
      - .offset:         158
        .size:           2
        .value_kind:     hidden_group_size_y
      - .offset:         160
        .size:           2
        .value_kind:     hidden_group_size_z
      - .offset:         162
        .size:           2
        .value_kind:     hidden_remainder_x
      - .offset:         164
        .size:           2
        .value_kind:     hidden_remainder_y
      - .offset:         166
        .size:           2
        .value_kind:     hidden_remainder_z
      - .offset:         184
        .size:           8
        .value_kind:     hidden_global_offset_x
      - .offset:         192
        .size:           8
        .value_kind:     hidden_global_offset_y
      - .offset:         200
        .size:           8
        .value_kind:     hidden_global_offset_z
      - .offset:         208
        .size:           2
        .value_kind:     hidden_grid_dims
    .group_segment_fixed_size: 64
    .kernarg_segment_align: 8
    .kernarg_segment_size: 400
    .language:       OpenCL C
    .language_version:
      - 2
      - 0
    .max_flat_workgroup_size: 1024
    .name:           _ZN5aiter35fused_qk_rmsnorm_group_quant_kernelItDB8_Li512ELi16ELi8ELb0ELb1ELb0ELb1ELb0ELb0EEEvPT0_PvPT_S6_S6_PKS5_S8_S8_S8_S8_ffiiiiiiiiiiiii
    .private_segment_fixed_size: 0
    .sgpr_count:     36
    .sgpr_spill_count: 0
    .symbol:         _ZN5aiter35fused_qk_rmsnorm_group_quant_kernelItDB8_Li512ELi16ELi8ELb0ELb1ELb0ELb1ELb0ELb0EEEvPT0_PvPT_S6_S6_PKS5_S8_S8_S8_S8_ffiiiiiiiiiiiii.kd
    .uniform_work_group_size: 1
    .uses_dynamic_stack: false
    .vgpr_count:     35
    .vgpr_spill_count: 0
    .wavefront_size: 64
  - .agpr_count:     0
    .args:
      - .actual_access:  read_only
        .address_space:  global
        .offset:         0
        .size:           8
        .value_kind:     global_buffer
      - .actual_access:  read_only
        .address_space:  global
        .offset:         8
        .size:           8
        .value_kind:     global_buffer
      - .actual_access:  write_only
        .address_space:  global
        .offset:         16
        .size:           8
        .value_kind:     global_buffer
      - .actual_access:  write_only
        .address_space:  global
        .offset:         24
        .size:           8
        .value_kind:     global_buffer
      - .actual_access:  read_only
        .address_space:  global
        .offset:         32
        .size:           8
        .value_kind:     global_buffer
      - .actual_access:  read_only
        .address_space:  global
        .offset:         40
        .size:           8
        .value_kind:     global_buffer
      - .actual_access:  read_only
        .address_space:  global
        .offset:         48
        .size:           8
        .value_kind:     global_buffer
      - .actual_access:  read_only
        .address_space:  global
        .offset:         56
        .size:           8
        .value_kind:     global_buffer
      - .actual_access:  read_only
        .address_space:  global
        .offset:         64
        .size:           8
        .value_kind:     global_buffer
      - .actual_access:  read_only
        .address_space:  global
        .offset:         72
        .size:           8
        .value_kind:     global_buffer
      - .offset:         80
        .size:           4
        .value_kind:     by_value
      - .offset:         84
        .size:           4
        .value_kind:     by_value
      - .offset:         88
        .size:           4
        .value_kind:     by_value
      - .offset:         92
        .size:           4
        .value_kind:     by_value
      - .offset:         96
        .size:           4
        .value_kind:     by_value
      - .offset:         100
        .size:           4
        .value_kind:     by_value
      - .offset:         104
        .size:           4
        .value_kind:     by_value
      - .offset:         108
        .size:           4
        .value_kind:     by_value
      - .offset:         112
        .size:           4
        .value_kind:     by_value
      - .offset:         116
        .size:           4
        .value_kind:     by_value
      - .offset:         120
        .size:           4
        .value_kind:     by_value
      - .offset:         124
        .size:           4
        .value_kind:     by_value
      - .offset:         128
        .size:           4
        .value_kind:     by_value
      - .offset:         132
        .size:           4
        .value_kind:     by_value
      - .offset:         136
        .size:           4
        .value_kind:     by_value
      - .offset:         144
        .size:           4
        .value_kind:     hidden_block_count_x
      - .offset:         148
        .size:           4
        .value_kind:     hidden_block_count_y
      - .offset:         152
        .size:           4
        .value_kind:     hidden_block_count_z
      - .offset:         156
        .size:           2
        .value_kind:     hidden_group_size_x
      - .offset:         158
        .size:           2
        .value_kind:     hidden_group_size_y
      - .offset:         160
        .size:           2
        .value_kind:     hidden_group_size_z
      - .offset:         162
        .size:           2
        .value_kind:     hidden_remainder_x
      - .offset:         164
        .size:           2
        .value_kind:     hidden_remainder_y
      - .offset:         166
        .size:           2
        .value_kind:     hidden_remainder_z
      - .offset:         184
        .size:           8
        .value_kind:     hidden_global_offset_x
      - .offset:         192
        .size:           8
        .value_kind:     hidden_global_offset_y
      - .offset:         200
        .size:           8
        .value_kind:     hidden_global_offset_z
      - .offset:         208
        .size:           2
        .value_kind:     hidden_grid_dims
    .group_segment_fixed_size: 64
    .kernarg_segment_align: 8
    .kernarg_segment_size: 400
    .language:       OpenCL C
    .language_version:
      - 2
      - 0
    .max_flat_workgroup_size: 1024
    .name:           _ZN5aiter35fused_qk_rmsnorm_group_quant_kernelIDF16_N4opus5fp4_tELi512ELi16ELi8ELb0ELb1ELb0ELb1ELb0ELb0EEEvPT0_PvPT_S7_S7_PKS6_S9_S9_S9_S9_ffiiiiiiiiiiiii
    .private_segment_fixed_size: 0
    .sgpr_count:     36
    .sgpr_spill_count: 0
    .symbol:         _ZN5aiter35fused_qk_rmsnorm_group_quant_kernelIDF16_N4opus5fp4_tELi512ELi16ELi8ELb0ELb1ELb0ELb1ELb0ELb0EEEvPT0_PvPT_S7_S7_PKS6_S9_S9_S9_S9_ffiiiiiiiiiiiii.kd
    .uniform_work_group_size: 1
    .uses_dynamic_stack: false
    .vgpr_count:     35
    .vgpr_spill_count: 0
    .wavefront_size: 64
  - .agpr_count:     0
    .args:
      - .actual_access:  read_only
        .address_space:  global
        .offset:         0
        .size:           8
        .value_kind:     global_buffer
      - .actual_access:  read_only
        .address_space:  global
        .offset:         8
        .size:           8
        .value_kind:     global_buffer
      - .actual_access:  write_only
        .address_space:  global
        .offset:         16
        .size:           8
        .value_kind:     global_buffer
      - .actual_access:  write_only
        .address_space:  global
        .offset:         24
        .size:           8
        .value_kind:     global_buffer
      - .actual_access:  read_only
        .address_space:  global
        .offset:         32
        .size:           8
        .value_kind:     global_buffer
      - .actual_access:  read_only
        .address_space:  global
        .offset:         40
        .size:           8
        .value_kind:     global_buffer
      - .actual_access:  read_only
        .address_space:  global
        .offset:         48
        .size:           8
        .value_kind:     global_buffer
      - .actual_access:  read_only
        .address_space:  global
        .offset:         56
        .size:           8
        .value_kind:     global_buffer
      - .actual_access:  read_only
        .address_space:  global
        .offset:         64
        .size:           8
        .value_kind:     global_buffer
      - .actual_access:  read_only
        .address_space:  global
        .offset:         72
        .size:           8
        .value_kind:     global_buffer
      - .offset:         80
        .size:           4
        .value_kind:     by_value
      - .offset:         84
        .size:           4
        .value_kind:     by_value
      - .offset:         88
        .size:           4
        .value_kind:     by_value
      - .offset:         92
        .size:           4
        .value_kind:     by_value
      - .offset:         96
        .size:           4
        .value_kind:     by_value
      - .offset:         100
        .size:           4
        .value_kind:     by_value
      - .offset:         104
        .size:           4
        .value_kind:     by_value
      - .offset:         108
        .size:           4
        .value_kind:     by_value
      - .offset:         112
        .size:           4
        .value_kind:     by_value
      - .offset:         116
        .size:           4
        .value_kind:     by_value
      - .offset:         120
        .size:           4
        .value_kind:     by_value
      - .offset:         124
        .size:           4
        .value_kind:     by_value
      - .offset:         128
        .size:           4
        .value_kind:     by_value
      - .offset:         132
        .size:           4
        .value_kind:     by_value
      - .offset:         136
        .size:           4
        .value_kind:     by_value
      - .offset:         144
        .size:           4
        .value_kind:     hidden_block_count_x
      - .offset:         148
        .size:           4
        .value_kind:     hidden_block_count_y
      - .offset:         152
        .size:           4
        .value_kind:     hidden_block_count_z
      - .offset:         156
        .size:           2
        .value_kind:     hidden_group_size_x
      - .offset:         158
        .size:           2
        .value_kind:     hidden_group_size_y
      - .offset:         160
        .size:           2
        .value_kind:     hidden_group_size_z
      - .offset:         162
        .size:           2
        .value_kind:     hidden_remainder_x
      - .offset:         164
        .size:           2
        .value_kind:     hidden_remainder_y
      - .offset:         166
        .size:           2
        .value_kind:     hidden_remainder_z
      - .offset:         184
        .size:           8
        .value_kind:     hidden_global_offset_x
      - .offset:         192
        .size:           8
        .value_kind:     hidden_global_offset_y
      - .offset:         200
        .size:           8
        .value_kind:     hidden_global_offset_z
      - .offset:         208
        .size:           2
        .value_kind:     hidden_grid_dims
    .group_segment_fixed_size: 64
    .kernarg_segment_align: 8
    .kernarg_segment_size: 400
    .language:       OpenCL C
    .language_version:
      - 2
      - 0
    .max_flat_workgroup_size: 1024
    .name:           _ZN5aiter35fused_qk_rmsnorm_group_quant_kernelItN4opus5fp4_tELi512ELi16ELi8ELb0ELb1ELb0ELb1ELb0ELb0EEEvPT0_PvPT_S7_S7_PKS6_S9_S9_S9_S9_ffiiiiiiiiiiiii
    .private_segment_fixed_size: 0
    .sgpr_count:     36
    .sgpr_spill_count: 0
    .symbol:         _ZN5aiter35fused_qk_rmsnorm_group_quant_kernelItN4opus5fp4_tELi512ELi16ELi8ELb0ELb1ELb0ELb1ELb0ELb0EEEvPT0_PvPT_S7_S7_PKS6_S9_S9_S9_S9_ffiiiiiiiiiiiii.kd
    .uniform_work_group_size: 1
    .uses_dynamic_stack: false
    .vgpr_count:     35
    .vgpr_spill_count: 0
    .wavefront_size: 64
  - .agpr_count:     0
    .args:
      - .actual_access:  write_only
        .address_space:  global
        .offset:         0
        .size:           8
        .value_kind:     global_buffer
      - .actual_access:  write_only
        .address_space:  global
        .offset:         8
        .size:           8
        .value_kind:     global_buffer
      - .actual_access:  write_only
        .address_space:  global
        .offset:         16
        .size:           8
        .value_kind:     global_buffer
      - .actual_access:  write_only
        .address_space:  global
        .offset:         24
        .size:           8
        .value_kind:     global_buffer
      - .actual_access:  write_only
        .address_space:  global
        .offset:         32
        .size:           8
        .value_kind:     global_buffer
      - .actual_access:  read_only
        .address_space:  global
        .offset:         40
        .size:           8
        .value_kind:     global_buffer
      - .actual_access:  read_only
        .address_space:  global
        .offset:         48
        .size:           8
        .value_kind:     global_buffer
      - .actual_access:  read_only
        .address_space:  global
        .offset:         56
        .size:           8
        .value_kind:     global_buffer
      - .actual_access:  read_only
        .address_space:  global
        .offset:         64
        .size:           8
        .value_kind:     global_buffer
      - .actual_access:  read_only
        .address_space:  global
        .offset:         72
        .size:           8
        .value_kind:     global_buffer
      - .offset:         80
        .size:           4
        .value_kind:     by_value
      - .offset:         84
        .size:           4
        .value_kind:     by_value
      - .offset:         88
        .size:           4
        .value_kind:     by_value
      - .offset:         92
        .size:           4
        .value_kind:     by_value
      - .offset:         96
        .size:           4
        .value_kind:     by_value
      - .offset:         100
        .size:           4
        .value_kind:     by_value
      - .offset:         104
        .size:           4
        .value_kind:     by_value
      - .offset:         108
        .size:           4
        .value_kind:     by_value
      - .offset:         112
        .size:           4
        .value_kind:     by_value
      - .offset:         116
        .size:           4
        .value_kind:     by_value
      - .offset:         120
        .size:           4
        .value_kind:     by_value
      - .offset:         124
        .size:           4
        .value_kind:     by_value
      - .offset:         128
        .size:           4
        .value_kind:     by_value
      - .offset:         132
        .size:           4
        .value_kind:     by_value
      - .offset:         136
        .size:           4
        .value_kind:     by_value
      - .offset:         144
        .size:           4
        .value_kind:     hidden_block_count_x
      - .offset:         148
        .size:           4
        .value_kind:     hidden_block_count_y
      - .offset:         152
        .size:           4
        .value_kind:     hidden_block_count_z
      - .offset:         156
        .size:           2
        .value_kind:     hidden_group_size_x
      - .offset:         158
        .size:           2
        .value_kind:     hidden_group_size_y
      - .offset:         160
        .size:           2
        .value_kind:     hidden_group_size_z
      - .offset:         162
        .size:           2
        .value_kind:     hidden_remainder_x
      - .offset:         164
        .size:           2
        .value_kind:     hidden_remainder_y
      - .offset:         166
        .size:           2
        .value_kind:     hidden_remainder_z
      - .offset:         184
        .size:           8
        .value_kind:     hidden_global_offset_x
      - .offset:         192
        .size:           8
        .value_kind:     hidden_global_offset_y
      - .offset:         200
        .size:           8
        .value_kind:     hidden_global_offset_z
      - .offset:         208
        .size:           2
        .value_kind:     hidden_grid_dims
    .group_segment_fixed_size: 64
    .kernarg_segment_align: 8
    .kernarg_segment_size: 400
    .language:       OpenCL C
    .language_version:
      - 2
      - 0
    .max_flat_workgroup_size: 1024
    .name:           _ZN5aiter35fused_qk_rmsnorm_group_quant_kernelIDF16_DB8_Li512ELi16ELi8ELb1ELb1ELb1ELb0ELb0ELb0EEEvPT0_PvPT_S6_S6_PKS5_S8_S8_S8_S8_ffiiiiiiiiiiiii
    .private_segment_fixed_size: 0
    .sgpr_count:     48
    .sgpr_spill_count: 0
    .symbol:         _ZN5aiter35fused_qk_rmsnorm_group_quant_kernelIDF16_DB8_Li512ELi16ELi8ELb1ELb1ELb1ELb0ELb0ELb0EEEvPT0_PvPT_S6_S6_PKS5_S8_S8_S8_S8_ffiiiiiiiiiiiii.kd
    .uniform_work_group_size: 1
    .uses_dynamic_stack: false
    .vgpr_count:     90
    .vgpr_spill_count: 0
    .wavefront_size: 64
  - .agpr_count:     0
    .args:
      - .actual_access:  write_only
        .address_space:  global
        .offset:         0
        .size:           8
        .value_kind:     global_buffer
      - .actual_access:  write_only
        .address_space:  global
        .offset:         8
        .size:           8
        .value_kind:     global_buffer
      - .actual_access:  write_only
        .address_space:  global
        .offset:         16
        .size:           8
        .value_kind:     global_buffer
      - .actual_access:  write_only
        .address_space:  global
        .offset:         24
        .size:           8
        .value_kind:     global_buffer
      - .actual_access:  write_only
        .address_space:  global
        .offset:         32
        .size:           8
        .value_kind:     global_buffer
      - .actual_access:  read_only
        .address_space:  global
        .offset:         40
        .size:           8
        .value_kind:     global_buffer
      - .actual_access:  read_only
        .address_space:  global
        .offset:         48
        .size:           8
        .value_kind:     global_buffer
      - .actual_access:  read_only
        .address_space:  global
        .offset:         56
        .size:           8
        .value_kind:     global_buffer
      - .actual_access:  read_only
        .address_space:  global
        .offset:         64
        .size:           8
        .value_kind:     global_buffer
      - .actual_access:  read_only
        .address_space:  global
        .offset:         72
        .size:           8
        .value_kind:     global_buffer
      - .offset:         80
        .size:           4
        .value_kind:     by_value
      - .offset:         84
        .size:           4
        .value_kind:     by_value
      - .offset:         88
        .size:           4
        .value_kind:     by_value
      - .offset:         92
        .size:           4
        .value_kind:     by_value
      - .offset:         96
        .size:           4
        .value_kind:     by_value
      - .offset:         100
        .size:           4
        .value_kind:     by_value
      - .offset:         104
        .size:           4
        .value_kind:     by_value
      - .offset:         108
        .size:           4
        .value_kind:     by_value
      - .offset:         112
        .size:           4
        .value_kind:     by_value
      - .offset:         116
        .size:           4
        .value_kind:     by_value
      - .offset:         120
        .size:           4
        .value_kind:     by_value
      - .offset:         124
        .size:           4
        .value_kind:     by_value
      - .offset:         128
        .size:           4
        .value_kind:     by_value
      - .offset:         132
        .size:           4
        .value_kind:     by_value
      - .offset:         136
        .size:           4
        .value_kind:     by_value
      - .offset:         144
        .size:           4
        .value_kind:     hidden_block_count_x
      - .offset:         148
        .size:           4
        .value_kind:     hidden_block_count_y
      - .offset:         152
        .size:           4
        .value_kind:     hidden_block_count_z
      - .offset:         156
        .size:           2
        .value_kind:     hidden_group_size_x
      - .offset:         158
        .size:           2
        .value_kind:     hidden_group_size_y
      - .offset:         160
        .size:           2
        .value_kind:     hidden_group_size_z
      - .offset:         162
        .size:           2
        .value_kind:     hidden_remainder_x
      - .offset:         164
        .size:           2
        .value_kind:     hidden_remainder_y
      - .offset:         166
        .size:           2
        .value_kind:     hidden_remainder_z
      - .offset:         184
        .size:           8
        .value_kind:     hidden_global_offset_x
      - .offset:         192
        .size:           8
        .value_kind:     hidden_global_offset_y
      - .offset:         200
        .size:           8
        .value_kind:     hidden_global_offset_z
      - .offset:         208
        .size:           2
        .value_kind:     hidden_grid_dims
    .group_segment_fixed_size: 64
    .kernarg_segment_align: 8
    .kernarg_segment_size: 400
    .language:       OpenCL C
    .language_version:
      - 2
      - 0
    .max_flat_workgroup_size: 1024
    .name:           _ZN5aiter35fused_qk_rmsnorm_group_quant_kernelItDB8_Li512ELi16ELi8ELb1ELb1ELb1ELb0ELb0ELb0EEEvPT0_PvPT_S6_S6_PKS5_S8_S8_S8_S8_ffiiiiiiiiiiiii
    .private_segment_fixed_size: 0
    .sgpr_count:     48
    .sgpr_spill_count: 0
    .symbol:         _ZN5aiter35fused_qk_rmsnorm_group_quant_kernelItDB8_Li512ELi16ELi8ELb1ELb1ELb1ELb0ELb0ELb0EEEvPT0_PvPT_S6_S6_PKS5_S8_S8_S8_S8_ffiiiiiiiiiiiii.kd
    .uniform_work_group_size: 1
    .uses_dynamic_stack: false
    .vgpr_count:     88
    .vgpr_spill_count: 0
    .wavefront_size: 64
  - .agpr_count:     0
    .args:
      - .actual_access:  write_only
        .address_space:  global
        .offset:         0
        .size:           8
        .value_kind:     global_buffer
      - .actual_access:  write_only
        .address_space:  global
        .offset:         8
        .size:           8
        .value_kind:     global_buffer
      - .actual_access:  write_only
        .address_space:  global
        .offset:         16
        .size:           8
        .value_kind:     global_buffer
      - .actual_access:  write_only
        .address_space:  global
        .offset:         24
        .size:           8
        .value_kind:     global_buffer
      - .actual_access:  write_only
        .address_space:  global
        .offset:         32
        .size:           8
        .value_kind:     global_buffer
      - .actual_access:  read_only
        .address_space:  global
        .offset:         40
        .size:           8
        .value_kind:     global_buffer
      - .actual_access:  read_only
        .address_space:  global
        .offset:         48
        .size:           8
        .value_kind:     global_buffer
      - .actual_access:  read_only
        .address_space:  global
        .offset:         56
        .size:           8
        .value_kind:     global_buffer
      - .actual_access:  read_only
        .address_space:  global
        .offset:         64
        .size:           8
        .value_kind:     global_buffer
      - .actual_access:  read_only
        .address_space:  global
        .offset:         72
        .size:           8
        .value_kind:     global_buffer
      - .offset:         80
        .size:           4
        .value_kind:     by_value
      - .offset:         84
        .size:           4
        .value_kind:     by_value
      - .offset:         88
        .size:           4
        .value_kind:     by_value
      - .offset:         92
        .size:           4
        .value_kind:     by_value
      - .offset:         96
        .size:           4
        .value_kind:     by_value
      - .offset:         100
        .size:           4
        .value_kind:     by_value
      - .offset:         104
        .size:           4
        .value_kind:     by_value
      - .offset:         108
        .size:           4
        .value_kind:     by_value
      - .offset:         112
        .size:           4
        .value_kind:     by_value
      - .offset:         116
        .size:           4
        .value_kind:     by_value
      - .offset:         120
        .size:           4
        .value_kind:     by_value
      - .offset:         124
        .size:           4
        .value_kind:     by_value
      - .offset:         128
        .size:           4
        .value_kind:     by_value
      - .offset:         132
        .size:           4
        .value_kind:     by_value
      - .offset:         136
        .size:           4
        .value_kind:     by_value
      - .offset:         144
        .size:           4
        .value_kind:     hidden_block_count_x
      - .offset:         148
        .size:           4
        .value_kind:     hidden_block_count_y
      - .offset:         152
        .size:           4
        .value_kind:     hidden_block_count_z
      - .offset:         156
        .size:           2
        .value_kind:     hidden_group_size_x
      - .offset:         158
        .size:           2
        .value_kind:     hidden_group_size_y
      - .offset:         160
        .size:           2
        .value_kind:     hidden_group_size_z
      - .offset:         162
        .size:           2
        .value_kind:     hidden_remainder_x
      - .offset:         164
        .size:           2
        .value_kind:     hidden_remainder_y
      - .offset:         166
        .size:           2
        .value_kind:     hidden_remainder_z
      - .offset:         184
        .size:           8
        .value_kind:     hidden_global_offset_x
      - .offset:         192
        .size:           8
        .value_kind:     hidden_global_offset_y
      - .offset:         200
        .size:           8
        .value_kind:     hidden_global_offset_z
      - .offset:         208
        .size:           2
        .value_kind:     hidden_grid_dims
    .group_segment_fixed_size: 64
    .kernarg_segment_align: 8
    .kernarg_segment_size: 400
    .language:       OpenCL C
    .language_version:
      - 2
      - 0
    .max_flat_workgroup_size: 1024
    .name:           _ZN5aiter35fused_qk_rmsnorm_group_quant_kernelIDF16_N4opus5fp4_tELi512ELi16ELi8ELb1ELb1ELb1ELb0ELb0ELb0EEEvPT0_PvPT_S7_S7_PKS6_S9_S9_S9_S9_ffiiiiiiiiiiiii
    .private_segment_fixed_size: 0
    .sgpr_count:     48
    .sgpr_spill_count: 0
    .symbol:         _ZN5aiter35fused_qk_rmsnorm_group_quant_kernelIDF16_N4opus5fp4_tELi512ELi16ELi8ELb1ELb1ELb1ELb0ELb0ELb0EEEvPT0_PvPT_S7_S7_PKS6_S9_S9_S9_S9_ffiiiiiiiiiiiii.kd
    .uniform_work_group_size: 1
    .uses_dynamic_stack: false
    .vgpr_count:     49
    .vgpr_spill_count: 0
    .wavefront_size: 64
  - .agpr_count:     0
    .args:
      - .actual_access:  write_only
        .address_space:  global
        .offset:         0
        .size:           8
        .value_kind:     global_buffer
      - .actual_access:  write_only
        .address_space:  global
        .offset:         8
        .size:           8
        .value_kind:     global_buffer
      - .actual_access:  write_only
        .address_space:  global
        .offset:         16
        .size:           8
        .value_kind:     global_buffer
      - .actual_access:  write_only
        .address_space:  global
        .offset:         24
        .size:           8
        .value_kind:     global_buffer
      - .actual_access:  write_only
        .address_space:  global
        .offset:         32
        .size:           8
        .value_kind:     global_buffer
      - .actual_access:  read_only
        .address_space:  global
        .offset:         40
        .size:           8
        .value_kind:     global_buffer
      - .actual_access:  read_only
        .address_space:  global
        .offset:         48
        .size:           8
        .value_kind:     global_buffer
      - .actual_access:  read_only
        .address_space:  global
        .offset:         56
        .size:           8
        .value_kind:     global_buffer
      - .actual_access:  read_only
        .address_space:  global
        .offset:         64
        .size:           8
        .value_kind:     global_buffer
      - .actual_access:  read_only
        .address_space:  global
        .offset:         72
        .size:           8
        .value_kind:     global_buffer
      - .offset:         80
        .size:           4
        .value_kind:     by_value
      - .offset:         84
        .size:           4
        .value_kind:     by_value
      - .offset:         88
        .size:           4
        .value_kind:     by_value
      - .offset:         92
        .size:           4
        .value_kind:     by_value
      - .offset:         96
        .size:           4
        .value_kind:     by_value
      - .offset:         100
        .size:           4
        .value_kind:     by_value
      - .offset:         104
        .size:           4
        .value_kind:     by_value
      - .offset:         108
        .size:           4
        .value_kind:     by_value
      - .offset:         112
        .size:           4
        .value_kind:     by_value
      - .offset:         116
        .size:           4
        .value_kind:     by_value
      - .offset:         120
        .size:           4
        .value_kind:     by_value
      - .offset:         124
        .size:           4
        .value_kind:     by_value
      - .offset:         128
        .size:           4
        .value_kind:     by_value
      - .offset:         132
        .size:           4
        .value_kind:     by_value
      - .offset:         136
        .size:           4
        .value_kind:     by_value
      - .offset:         144
        .size:           4
        .value_kind:     hidden_block_count_x
      - .offset:         148
        .size:           4
        .value_kind:     hidden_block_count_y
      - .offset:         152
        .size:           4
        .value_kind:     hidden_block_count_z
      - .offset:         156
        .size:           2
        .value_kind:     hidden_group_size_x
      - .offset:         158
        .size:           2
        .value_kind:     hidden_group_size_y
      - .offset:         160
        .size:           2
        .value_kind:     hidden_group_size_z
      - .offset:         162
        .size:           2
        .value_kind:     hidden_remainder_x
      - .offset:         164
        .size:           2
        .value_kind:     hidden_remainder_y
      - .offset:         166
        .size:           2
        .value_kind:     hidden_remainder_z
      - .offset:         184
        .size:           8
        .value_kind:     hidden_global_offset_x
      - .offset:         192
        .size:           8
        .value_kind:     hidden_global_offset_y
      - .offset:         200
        .size:           8
        .value_kind:     hidden_global_offset_z
      - .offset:         208
        .size:           2
        .value_kind:     hidden_grid_dims
    .group_segment_fixed_size: 64
    .kernarg_segment_align: 8
    .kernarg_segment_size: 400
    .language:       OpenCL C
    .language_version:
      - 2
      - 0
    .max_flat_workgroup_size: 1024
    .name:           _ZN5aiter35fused_qk_rmsnorm_group_quant_kernelItN4opus5fp4_tELi512ELi16ELi8ELb1ELb1ELb1ELb0ELb0ELb0EEEvPT0_PvPT_S7_S7_PKS6_S9_S9_S9_S9_ffiiiiiiiiiiiii
    .private_segment_fixed_size: 0
    .sgpr_count:     48
    .sgpr_spill_count: 0
    .symbol:         _ZN5aiter35fused_qk_rmsnorm_group_quant_kernelItN4opus5fp4_tELi512ELi16ELi8ELb1ELb1ELb1ELb0ELb0ELb0EEEvPT0_PvPT_S7_S7_PKS6_S9_S9_S9_S9_ffiiiiiiiiiiiii.kd
    .uniform_work_group_size: 1
    .uses_dynamic_stack: false
    .vgpr_count:     76
    .vgpr_spill_count: 0
    .wavefront_size: 64
  - .agpr_count:     0
    .args:
      - .actual_access:  write_only
        .address_space:  global
        .offset:         0
        .size:           8
        .value_kind:     global_buffer
      - .actual_access:  write_only
        .address_space:  global
        .offset:         8
        .size:           8
        .value_kind:     global_buffer
      - .actual_access:  write_only
        .address_space:  global
        .offset:         16
        .size:           8
        .value_kind:     global_buffer
      - .actual_access:  write_only
        .address_space:  global
        .offset:         24
        .size:           8
        .value_kind:     global_buffer
      - .actual_access:  write_only
        .address_space:  global
        .offset:         32
        .size:           8
        .value_kind:     global_buffer
      - .actual_access:  read_only
        .address_space:  global
        .offset:         40
        .size:           8
        .value_kind:     global_buffer
      - .actual_access:  read_only
        .address_space:  global
        .offset:         48
        .size:           8
        .value_kind:     global_buffer
      - .actual_access:  read_only
        .address_space:  global
        .offset:         56
        .size:           8
        .value_kind:     global_buffer
      - .actual_access:  read_only
        .address_space:  global
        .offset:         64
        .size:           8
        .value_kind:     global_buffer
      - .actual_access:  read_only
        .address_space:  global
        .offset:         72
        .size:           8
        .value_kind:     global_buffer
      - .offset:         80
        .size:           4
        .value_kind:     by_value
      - .offset:         84
        .size:           4
        .value_kind:     by_value
      - .offset:         88
        .size:           4
        .value_kind:     by_value
      - .offset:         92
        .size:           4
        .value_kind:     by_value
      - .offset:         96
        .size:           4
        .value_kind:     by_value
      - .offset:         100
        .size:           4
        .value_kind:     by_value
      - .offset:         104
        .size:           4
        .value_kind:     by_value
      - .offset:         108
        .size:           4
        .value_kind:     by_value
      - .offset:         112
        .size:           4
        .value_kind:     by_value
      - .offset:         116
        .size:           4
        .value_kind:     by_value
      - .offset:         120
        .size:           4
        .value_kind:     by_value
      - .offset:         124
        .size:           4
        .value_kind:     by_value
      - .offset:         128
        .size:           4
        .value_kind:     by_value
      - .offset:         132
        .size:           4
        .value_kind:     by_value
      - .offset:         136
        .size:           4
        .value_kind:     by_value
      - .offset:         144
        .size:           4
        .value_kind:     hidden_block_count_x
      - .offset:         148
        .size:           4
        .value_kind:     hidden_block_count_y
      - .offset:         152
        .size:           4
        .value_kind:     hidden_block_count_z
      - .offset:         156
        .size:           2
        .value_kind:     hidden_group_size_x
      - .offset:         158
        .size:           2
        .value_kind:     hidden_group_size_y
      - .offset:         160
        .size:           2
        .value_kind:     hidden_group_size_z
      - .offset:         162
        .size:           2
        .value_kind:     hidden_remainder_x
      - .offset:         164
        .size:           2
        .value_kind:     hidden_remainder_y
      - .offset:         166
        .size:           2
        .value_kind:     hidden_remainder_z
      - .offset:         184
        .size:           8
        .value_kind:     hidden_global_offset_x
      - .offset:         192
        .size:           8
        .value_kind:     hidden_global_offset_y
      - .offset:         200
        .size:           8
        .value_kind:     hidden_global_offset_z
      - .offset:         208
        .size:           2
        .value_kind:     hidden_grid_dims
    .group_segment_fixed_size: 64
    .kernarg_segment_align: 8
    .kernarg_segment_size: 400
    .language:       OpenCL C
    .language_version:
      - 2
      - 0
    .max_flat_workgroup_size: 1024
    .name:           _ZN5aiter35fused_qk_rmsnorm_group_quant_kernelIDF16_DB8_Li512ELi16ELi8ELb1ELb1ELb0ELb0ELb0ELb0EEEvPT0_PvPT_S6_S6_PKS5_S8_S8_S8_S8_ffiiiiiiiiiiiii
    .private_segment_fixed_size: 0
    .sgpr_count:     48
    .sgpr_spill_count: 0
    .symbol:         _ZN5aiter35fused_qk_rmsnorm_group_quant_kernelIDF16_DB8_Li512ELi16ELi8ELb1ELb1ELb0ELb0ELb0ELb0EEEvPT0_PvPT_S6_S6_PKS5_S8_S8_S8_S8_ffiiiiiiiiiiiii.kd
    .uniform_work_group_size: 1
    .uses_dynamic_stack: false
    .vgpr_count:     94
    .vgpr_spill_count: 0
    .wavefront_size: 64
  - .agpr_count:     0
    .args:
      - .actual_access:  write_only
        .address_space:  global
        .offset:         0
        .size:           8
        .value_kind:     global_buffer
      - .actual_access:  write_only
        .address_space:  global
        .offset:         8
        .size:           8
        .value_kind:     global_buffer
      - .actual_access:  write_only
        .address_space:  global
        .offset:         16
        .size:           8
        .value_kind:     global_buffer
      - .actual_access:  write_only
        .address_space:  global
        .offset:         24
        .size:           8
        .value_kind:     global_buffer
      - .actual_access:  write_only
        .address_space:  global
        .offset:         32
        .size:           8
        .value_kind:     global_buffer
      - .actual_access:  read_only
        .address_space:  global
        .offset:         40
        .size:           8
        .value_kind:     global_buffer
      - .actual_access:  read_only
        .address_space:  global
        .offset:         48
        .size:           8
        .value_kind:     global_buffer
      - .actual_access:  read_only
        .address_space:  global
        .offset:         56
        .size:           8
        .value_kind:     global_buffer
      - .actual_access:  read_only
        .address_space:  global
        .offset:         64
        .size:           8
        .value_kind:     global_buffer
      - .actual_access:  read_only
        .address_space:  global
        .offset:         72
        .size:           8
        .value_kind:     global_buffer
      - .offset:         80
        .size:           4
        .value_kind:     by_value
      - .offset:         84
        .size:           4
        .value_kind:     by_value
      - .offset:         88
        .size:           4
        .value_kind:     by_value
      - .offset:         92
        .size:           4
        .value_kind:     by_value
      - .offset:         96
        .size:           4
        .value_kind:     by_value
      - .offset:         100
        .size:           4
        .value_kind:     by_value
      - .offset:         104
        .size:           4
        .value_kind:     by_value
      - .offset:         108
        .size:           4
        .value_kind:     by_value
      - .offset:         112
        .size:           4
        .value_kind:     by_value
      - .offset:         116
        .size:           4
        .value_kind:     by_value
      - .offset:         120
        .size:           4
        .value_kind:     by_value
      - .offset:         124
        .size:           4
        .value_kind:     by_value
      - .offset:         128
        .size:           4
        .value_kind:     by_value
      - .offset:         132
        .size:           4
        .value_kind:     by_value
      - .offset:         136
        .size:           4
        .value_kind:     by_value
      - .offset:         144
        .size:           4
        .value_kind:     hidden_block_count_x
      - .offset:         148
        .size:           4
        .value_kind:     hidden_block_count_y
      - .offset:         152
        .size:           4
        .value_kind:     hidden_block_count_z
      - .offset:         156
        .size:           2
        .value_kind:     hidden_group_size_x
      - .offset:         158
        .size:           2
        .value_kind:     hidden_group_size_y
      - .offset:         160
        .size:           2
        .value_kind:     hidden_group_size_z
      - .offset:         162
        .size:           2
        .value_kind:     hidden_remainder_x
      - .offset:         164
        .size:           2
        .value_kind:     hidden_remainder_y
      - .offset:         166
        .size:           2
        .value_kind:     hidden_remainder_z
      - .offset:         184
        .size:           8
        .value_kind:     hidden_global_offset_x
      - .offset:         192
        .size:           8
        .value_kind:     hidden_global_offset_y
      - .offset:         200
        .size:           8
        .value_kind:     hidden_global_offset_z
      - .offset:         208
        .size:           2
        .value_kind:     hidden_grid_dims
    .group_segment_fixed_size: 64
    .kernarg_segment_align: 8
    .kernarg_segment_size: 400
    .language:       OpenCL C
    .language_version:
      - 2
      - 0
    .max_flat_workgroup_size: 1024
    .name:           _ZN5aiter35fused_qk_rmsnorm_group_quant_kernelItDB8_Li512ELi16ELi8ELb1ELb1ELb0ELb0ELb0ELb0EEEvPT0_PvPT_S6_S6_PKS5_S8_S8_S8_S8_ffiiiiiiiiiiiii
    .private_segment_fixed_size: 0
    .sgpr_count:     48
    .sgpr_spill_count: 0
    .symbol:         _ZN5aiter35fused_qk_rmsnorm_group_quant_kernelItDB8_Li512ELi16ELi8ELb1ELb1ELb0ELb0ELb0ELb0EEEvPT0_PvPT_S6_S6_PKS5_S8_S8_S8_S8_ffiiiiiiiiiiiii.kd
    .uniform_work_group_size: 1
    .uses_dynamic_stack: false
    .vgpr_count:     96
    .vgpr_spill_count: 0
    .wavefront_size: 64
  - .agpr_count:     0
    .args:
      - .actual_access:  write_only
        .address_space:  global
        .offset:         0
        .size:           8
        .value_kind:     global_buffer
      - .actual_access:  write_only
        .address_space:  global
        .offset:         8
        .size:           8
        .value_kind:     global_buffer
      - .actual_access:  write_only
        .address_space:  global
        .offset:         16
        .size:           8
        .value_kind:     global_buffer
      - .actual_access:  write_only
        .address_space:  global
        .offset:         24
        .size:           8
        .value_kind:     global_buffer
      - .actual_access:  write_only
        .address_space:  global
        .offset:         32
        .size:           8
        .value_kind:     global_buffer
      - .actual_access:  read_only
        .address_space:  global
        .offset:         40
        .size:           8
        .value_kind:     global_buffer
      - .actual_access:  read_only
        .address_space:  global
        .offset:         48
        .size:           8
        .value_kind:     global_buffer
      - .actual_access:  read_only
        .address_space:  global
        .offset:         56
        .size:           8
        .value_kind:     global_buffer
      - .actual_access:  read_only
        .address_space:  global
        .offset:         64
        .size:           8
        .value_kind:     global_buffer
      - .actual_access:  read_only
        .address_space:  global
        .offset:         72
        .size:           8
        .value_kind:     global_buffer
      - .offset:         80
        .size:           4
        .value_kind:     by_value
      - .offset:         84
        .size:           4
        .value_kind:     by_value
      - .offset:         88
        .size:           4
        .value_kind:     by_value
      - .offset:         92
        .size:           4
        .value_kind:     by_value
      - .offset:         96
        .size:           4
        .value_kind:     by_value
      - .offset:         100
        .size:           4
        .value_kind:     by_value
      - .offset:         104
        .size:           4
        .value_kind:     by_value
      - .offset:         108
        .size:           4
        .value_kind:     by_value
      - .offset:         112
        .size:           4
        .value_kind:     by_value
      - .offset:         116
        .size:           4
        .value_kind:     by_value
      - .offset:         120
        .size:           4
        .value_kind:     by_value
      - .offset:         124
        .size:           4
        .value_kind:     by_value
      - .offset:         128
        .size:           4
        .value_kind:     by_value
      - .offset:         132
        .size:           4
        .value_kind:     by_value
      - .offset:         136
        .size:           4
        .value_kind:     by_value
      - .offset:         144
        .size:           4
        .value_kind:     hidden_block_count_x
      - .offset:         148
        .size:           4
        .value_kind:     hidden_block_count_y
      - .offset:         152
        .size:           4
        .value_kind:     hidden_block_count_z
      - .offset:         156
        .size:           2
        .value_kind:     hidden_group_size_x
      - .offset:         158
        .size:           2
        .value_kind:     hidden_group_size_y
      - .offset:         160
        .size:           2
        .value_kind:     hidden_group_size_z
      - .offset:         162
        .size:           2
        .value_kind:     hidden_remainder_x
      - .offset:         164
        .size:           2
        .value_kind:     hidden_remainder_y
      - .offset:         166
        .size:           2
        .value_kind:     hidden_remainder_z
      - .offset:         184
        .size:           8
        .value_kind:     hidden_global_offset_x
      - .offset:         192
        .size:           8
        .value_kind:     hidden_global_offset_y
      - .offset:         200
        .size:           8
        .value_kind:     hidden_global_offset_z
      - .offset:         208
        .size:           2
        .value_kind:     hidden_grid_dims
    .group_segment_fixed_size: 64
    .kernarg_segment_align: 8
    .kernarg_segment_size: 400
    .language:       OpenCL C
    .language_version:
      - 2
      - 0
    .max_flat_workgroup_size: 1024
    .name:           _ZN5aiter35fused_qk_rmsnorm_group_quant_kernelIDF16_N4opus5fp4_tELi512ELi16ELi8ELb1ELb1ELb0ELb0ELb0ELb0EEEvPT0_PvPT_S7_S7_PKS6_S9_S9_S9_S9_ffiiiiiiiiiiiii
    .private_segment_fixed_size: 0
    .sgpr_count:     48
    .sgpr_spill_count: 0
    .symbol:         _ZN5aiter35fused_qk_rmsnorm_group_quant_kernelIDF16_N4opus5fp4_tELi512ELi16ELi8ELb1ELb1ELb0ELb0ELb0ELb0EEEvPT0_PvPT_S7_S7_PKS6_S9_S9_S9_S9_ffiiiiiiiiiiiii.kd
    .uniform_work_group_size: 1
    .uses_dynamic_stack: false
    .vgpr_count:     47
    .vgpr_spill_count: 0
    .wavefront_size: 64
  - .agpr_count:     0
    .args:
      - .actual_access:  write_only
        .address_space:  global
        .offset:         0
        .size:           8
        .value_kind:     global_buffer
      - .actual_access:  write_only
        .address_space:  global
        .offset:         8
        .size:           8
        .value_kind:     global_buffer
      - .actual_access:  write_only
        .address_space:  global
        .offset:         16
        .size:           8
        .value_kind:     global_buffer
      - .actual_access:  write_only
        .address_space:  global
        .offset:         24
        .size:           8
        .value_kind:     global_buffer
      - .actual_access:  write_only
        .address_space:  global
        .offset:         32
        .size:           8
        .value_kind:     global_buffer
      - .actual_access:  read_only
        .address_space:  global
        .offset:         40
        .size:           8
        .value_kind:     global_buffer
      - .actual_access:  read_only
        .address_space:  global
        .offset:         48
        .size:           8
        .value_kind:     global_buffer
      - .actual_access:  read_only
        .address_space:  global
        .offset:         56
        .size:           8
        .value_kind:     global_buffer
      - .actual_access:  read_only
        .address_space:  global
        .offset:         64
        .size:           8
        .value_kind:     global_buffer
      - .actual_access:  read_only
        .address_space:  global
        .offset:         72
        .size:           8
        .value_kind:     global_buffer
      - .offset:         80
        .size:           4
        .value_kind:     by_value
      - .offset:         84
        .size:           4
        .value_kind:     by_value
      - .offset:         88
        .size:           4
        .value_kind:     by_value
      - .offset:         92
        .size:           4
        .value_kind:     by_value
      - .offset:         96
        .size:           4
        .value_kind:     by_value
      - .offset:         100
        .size:           4
        .value_kind:     by_value
      - .offset:         104
        .size:           4
        .value_kind:     by_value
      - .offset:         108
        .size:           4
        .value_kind:     by_value
      - .offset:         112
        .size:           4
        .value_kind:     by_value
      - .offset:         116
        .size:           4
        .value_kind:     by_value
      - .offset:         120
        .size:           4
        .value_kind:     by_value
      - .offset:         124
        .size:           4
        .value_kind:     by_value
      - .offset:         128
        .size:           4
        .value_kind:     by_value
      - .offset:         132
        .size:           4
        .value_kind:     by_value
      - .offset:         136
        .size:           4
        .value_kind:     by_value
      - .offset:         144
        .size:           4
        .value_kind:     hidden_block_count_x
      - .offset:         148
        .size:           4
        .value_kind:     hidden_block_count_y
      - .offset:         152
        .size:           4
        .value_kind:     hidden_block_count_z
      - .offset:         156
        .size:           2
        .value_kind:     hidden_group_size_x
      - .offset:         158
        .size:           2
        .value_kind:     hidden_group_size_y
      - .offset:         160
        .size:           2
        .value_kind:     hidden_group_size_z
      - .offset:         162
        .size:           2
        .value_kind:     hidden_remainder_x
      - .offset:         164
        .size:           2
        .value_kind:     hidden_remainder_y
      - .offset:         166
        .size:           2
        .value_kind:     hidden_remainder_z
      - .offset:         184
        .size:           8
        .value_kind:     hidden_global_offset_x
      - .offset:         192
        .size:           8
        .value_kind:     hidden_global_offset_y
      - .offset:         200
        .size:           8
        .value_kind:     hidden_global_offset_z
      - .offset:         208
        .size:           2
        .value_kind:     hidden_grid_dims
    .group_segment_fixed_size: 64
    .kernarg_segment_align: 8
    .kernarg_segment_size: 400
    .language:       OpenCL C
    .language_version:
      - 2
      - 0
    .max_flat_workgroup_size: 1024
    .name:           _ZN5aiter35fused_qk_rmsnorm_group_quant_kernelItN4opus5fp4_tELi512ELi16ELi8ELb1ELb1ELb0ELb0ELb0ELb0EEEvPT0_PvPT_S7_S7_PKS6_S9_S9_S9_S9_ffiiiiiiiiiiiii
    .private_segment_fixed_size: 0
    .sgpr_count:     48
    .sgpr_spill_count: 0
    .symbol:         _ZN5aiter35fused_qk_rmsnorm_group_quant_kernelItN4opus5fp4_tELi512ELi16ELi8ELb1ELb1ELb0ELb0ELb0ELb0EEEvPT0_PvPT_S7_S7_PKS6_S9_S9_S9_S9_ffiiiiiiiiiiiii.kd
    .uniform_work_group_size: 1
    .uses_dynamic_stack: false
    .vgpr_count:     94
    .vgpr_spill_count: 0
    .wavefront_size: 64
  - .agpr_count:     0
    .args:
      - .actual_access:  write_only
        .address_space:  global
        .offset:         0
        .size:           8
        .value_kind:     global_buffer
      - .actual_access:  write_only
        .address_space:  global
        .offset:         8
        .size:           8
        .value_kind:     global_buffer
      - .actual_access:  read_only
        .address_space:  global
        .offset:         16
        .size:           8
        .value_kind:     global_buffer
      - .actual_access:  write_only
        .address_space:  global
        .offset:         24
        .size:           8
        .value_kind:     global_buffer
      - .actual_access:  write_only
        .address_space:  global
        .offset:         32
        .size:           8
        .value_kind:     global_buffer
      - .actual_access:  read_only
        .address_space:  global
        .offset:         40
        .size:           8
        .value_kind:     global_buffer
      - .actual_access:  read_only
        .address_space:  global
        .offset:         48
        .size:           8
        .value_kind:     global_buffer
      - .actual_access:  read_only
        .address_space:  global
        .offset:         56
        .size:           8
        .value_kind:     global_buffer
      - .actual_access:  read_only
        .address_space:  global
        .offset:         64
        .size:           8
        .value_kind:     global_buffer
      - .actual_access:  read_only
        .address_space:  global
        .offset:         72
        .size:           8
        .value_kind:     global_buffer
      - .offset:         80
        .size:           4
        .value_kind:     by_value
      - .offset:         84
        .size:           4
        .value_kind:     by_value
      - .offset:         88
        .size:           4
        .value_kind:     by_value
      - .offset:         92
        .size:           4
        .value_kind:     by_value
      - .offset:         96
        .size:           4
        .value_kind:     by_value
      - .offset:         100
        .size:           4
        .value_kind:     by_value
      - .offset:         104
        .size:           4
        .value_kind:     by_value
      - .offset:         108
        .size:           4
        .value_kind:     by_value
      - .offset:         112
        .size:           4
        .value_kind:     by_value
      - .offset:         116
        .size:           4
        .value_kind:     by_value
      - .offset:         120
        .size:           4
        .value_kind:     by_value
      - .offset:         124
        .size:           4
        .value_kind:     by_value
      - .offset:         128
        .size:           4
        .value_kind:     by_value
      - .offset:         132
        .size:           4
        .value_kind:     by_value
      - .offset:         136
        .size:           4
        .value_kind:     by_value
      - .offset:         144
        .size:           4
        .value_kind:     hidden_block_count_x
      - .offset:         148
        .size:           4
        .value_kind:     hidden_block_count_y
      - .offset:         152
        .size:           4
        .value_kind:     hidden_block_count_z
      - .offset:         156
        .size:           2
        .value_kind:     hidden_group_size_x
      - .offset:         158
        .size:           2
        .value_kind:     hidden_group_size_y
      - .offset:         160
        .size:           2
        .value_kind:     hidden_group_size_z
      - .offset:         162
        .size:           2
        .value_kind:     hidden_remainder_x
      - .offset:         164
        .size:           2
        .value_kind:     hidden_remainder_y
      - .offset:         166
        .size:           2
        .value_kind:     hidden_remainder_z
      - .offset:         184
        .size:           8
        .value_kind:     hidden_global_offset_x
      - .offset:         192
        .size:           8
        .value_kind:     hidden_global_offset_y
      - .offset:         200
        .size:           8
        .value_kind:     hidden_global_offset_z
      - .offset:         208
        .size:           2
        .value_kind:     hidden_grid_dims
    .group_segment_fixed_size: 64
    .kernarg_segment_align: 8
    .kernarg_segment_size: 400
    .language:       OpenCL C
    .language_version:
      - 2
      - 0
    .max_flat_workgroup_size: 1024
    .name:           _ZN5aiter35fused_qk_rmsnorm_group_quant_kernelIDF16_DB8_Li512ELi16ELi8ELb1ELb0ELb1ELb0ELb0ELb0EEEvPT0_PvPT_S6_S6_PKS5_S8_S8_S8_S8_ffiiiiiiiiiiiii
    .private_segment_fixed_size: 0
    .sgpr_count:     48
    .sgpr_spill_count: 0
    .symbol:         _ZN5aiter35fused_qk_rmsnorm_group_quant_kernelIDF16_DB8_Li512ELi16ELi8ELb1ELb0ELb1ELb0ELb0ELb0EEEvPT0_PvPT_S6_S6_PKS5_S8_S8_S8_S8_ffiiiiiiiiiiiii.kd
    .uniform_work_group_size: 1
    .uses_dynamic_stack: false
    .vgpr_count:     90
    .vgpr_spill_count: 0
    .wavefront_size: 64
  - .agpr_count:     0
    .args:
      - .actual_access:  write_only
        .address_space:  global
        .offset:         0
        .size:           8
        .value_kind:     global_buffer
      - .actual_access:  write_only
        .address_space:  global
        .offset:         8
        .size:           8
        .value_kind:     global_buffer
      - .actual_access:  read_only
        .address_space:  global
        .offset:         16
        .size:           8
        .value_kind:     global_buffer
      - .actual_access:  write_only
        .address_space:  global
        .offset:         24
        .size:           8
        .value_kind:     global_buffer
      - .actual_access:  write_only
        .address_space:  global
        .offset:         32
        .size:           8
        .value_kind:     global_buffer
      - .actual_access:  read_only
        .address_space:  global
        .offset:         40
        .size:           8
        .value_kind:     global_buffer
      - .actual_access:  read_only
        .address_space:  global
        .offset:         48
        .size:           8
        .value_kind:     global_buffer
      - .actual_access:  read_only
        .address_space:  global
        .offset:         56
        .size:           8
        .value_kind:     global_buffer
      - .actual_access:  read_only
        .address_space:  global
        .offset:         64
        .size:           8
        .value_kind:     global_buffer
      - .actual_access:  read_only
        .address_space:  global
        .offset:         72
        .size:           8
        .value_kind:     global_buffer
      - .offset:         80
        .size:           4
        .value_kind:     by_value
      - .offset:         84
        .size:           4
        .value_kind:     by_value
      - .offset:         88
        .size:           4
        .value_kind:     by_value
      - .offset:         92
        .size:           4
        .value_kind:     by_value
      - .offset:         96
        .size:           4
        .value_kind:     by_value
      - .offset:         100
        .size:           4
        .value_kind:     by_value
      - .offset:         104
        .size:           4
        .value_kind:     by_value
      - .offset:         108
        .size:           4
        .value_kind:     by_value
      - .offset:         112
        .size:           4
        .value_kind:     by_value
      - .offset:         116
        .size:           4
        .value_kind:     by_value
      - .offset:         120
        .size:           4
        .value_kind:     by_value
      - .offset:         124
        .size:           4
        .value_kind:     by_value
      - .offset:         128
        .size:           4
        .value_kind:     by_value
      - .offset:         132
        .size:           4
        .value_kind:     by_value
      - .offset:         136
        .size:           4
        .value_kind:     by_value
      - .offset:         144
        .size:           4
        .value_kind:     hidden_block_count_x
      - .offset:         148
        .size:           4
        .value_kind:     hidden_block_count_y
      - .offset:         152
        .size:           4
        .value_kind:     hidden_block_count_z
      - .offset:         156
        .size:           2
        .value_kind:     hidden_group_size_x
      - .offset:         158
        .size:           2
        .value_kind:     hidden_group_size_y
      - .offset:         160
        .size:           2
        .value_kind:     hidden_group_size_z
      - .offset:         162
        .size:           2
        .value_kind:     hidden_remainder_x
      - .offset:         164
        .size:           2
        .value_kind:     hidden_remainder_y
      - .offset:         166
        .size:           2
        .value_kind:     hidden_remainder_z
      - .offset:         184
        .size:           8
        .value_kind:     hidden_global_offset_x
      - .offset:         192
        .size:           8
        .value_kind:     hidden_global_offset_y
      - .offset:         200
        .size:           8
        .value_kind:     hidden_global_offset_z
      - .offset:         208
        .size:           2
        .value_kind:     hidden_grid_dims
    .group_segment_fixed_size: 64
    .kernarg_segment_align: 8
    .kernarg_segment_size: 400
    .language:       OpenCL C
    .language_version:
      - 2
      - 0
    .max_flat_workgroup_size: 1024
    .name:           _ZN5aiter35fused_qk_rmsnorm_group_quant_kernelItDB8_Li512ELi16ELi8ELb1ELb0ELb1ELb0ELb0ELb0EEEvPT0_PvPT_S6_S6_PKS5_S8_S8_S8_S8_ffiiiiiiiiiiiii
    .private_segment_fixed_size: 0
    .sgpr_count:     48
    .sgpr_spill_count: 0
    .symbol:         _ZN5aiter35fused_qk_rmsnorm_group_quant_kernelItDB8_Li512ELi16ELi8ELb1ELb0ELb1ELb0ELb0ELb0EEEvPT0_PvPT_S6_S6_PKS5_S8_S8_S8_S8_ffiiiiiiiiiiiii.kd
    .uniform_work_group_size: 1
    .uses_dynamic_stack: false
    .vgpr_count:     88
    .vgpr_spill_count: 0
    .wavefront_size: 64
  - .agpr_count:     0
    .args:
      - .actual_access:  write_only
        .address_space:  global
        .offset:         0
        .size:           8
        .value_kind:     global_buffer
      - .actual_access:  write_only
        .address_space:  global
        .offset:         8
        .size:           8
        .value_kind:     global_buffer
      - .actual_access:  read_only
        .address_space:  global
        .offset:         16
        .size:           8
        .value_kind:     global_buffer
      - .actual_access:  write_only
        .address_space:  global
        .offset:         24
        .size:           8
        .value_kind:     global_buffer
      - .actual_access:  write_only
        .address_space:  global
        .offset:         32
        .size:           8
        .value_kind:     global_buffer
      - .actual_access:  read_only
        .address_space:  global
        .offset:         40
        .size:           8
        .value_kind:     global_buffer
      - .actual_access:  read_only
        .address_space:  global
        .offset:         48
        .size:           8
        .value_kind:     global_buffer
      - .actual_access:  read_only
        .address_space:  global
        .offset:         56
        .size:           8
        .value_kind:     global_buffer
      - .actual_access:  read_only
        .address_space:  global
        .offset:         64
        .size:           8
        .value_kind:     global_buffer
      - .actual_access:  read_only
        .address_space:  global
        .offset:         72
        .size:           8
        .value_kind:     global_buffer
      - .offset:         80
        .size:           4
        .value_kind:     by_value
      - .offset:         84
        .size:           4
        .value_kind:     by_value
      - .offset:         88
        .size:           4
        .value_kind:     by_value
      - .offset:         92
        .size:           4
        .value_kind:     by_value
      - .offset:         96
        .size:           4
        .value_kind:     by_value
      - .offset:         100
        .size:           4
        .value_kind:     by_value
      - .offset:         104
        .size:           4
        .value_kind:     by_value
      - .offset:         108
        .size:           4
        .value_kind:     by_value
      - .offset:         112
        .size:           4
        .value_kind:     by_value
      - .offset:         116
        .size:           4
        .value_kind:     by_value
      - .offset:         120
        .size:           4
        .value_kind:     by_value
      - .offset:         124
        .size:           4
        .value_kind:     by_value
      - .offset:         128
        .size:           4
        .value_kind:     by_value
      - .offset:         132
        .size:           4
        .value_kind:     by_value
      - .offset:         136
        .size:           4
        .value_kind:     by_value
      - .offset:         144
        .size:           4
        .value_kind:     hidden_block_count_x
      - .offset:         148
        .size:           4
        .value_kind:     hidden_block_count_y
      - .offset:         152
        .size:           4
        .value_kind:     hidden_block_count_z
      - .offset:         156
        .size:           2
        .value_kind:     hidden_group_size_x
      - .offset:         158
        .size:           2
        .value_kind:     hidden_group_size_y
      - .offset:         160
        .size:           2
        .value_kind:     hidden_group_size_z
      - .offset:         162
        .size:           2
        .value_kind:     hidden_remainder_x
      - .offset:         164
        .size:           2
        .value_kind:     hidden_remainder_y
      - .offset:         166
        .size:           2
        .value_kind:     hidden_remainder_z
      - .offset:         184
        .size:           8
        .value_kind:     hidden_global_offset_x
      - .offset:         192
        .size:           8
        .value_kind:     hidden_global_offset_y
      - .offset:         200
        .size:           8
        .value_kind:     hidden_global_offset_z
      - .offset:         208
        .size:           2
        .value_kind:     hidden_grid_dims
    .group_segment_fixed_size: 64
    .kernarg_segment_align: 8
    .kernarg_segment_size: 400
    .language:       OpenCL C
    .language_version:
      - 2
      - 0
    .max_flat_workgroup_size: 1024
    .name:           _ZN5aiter35fused_qk_rmsnorm_group_quant_kernelIDF16_N4opus5fp4_tELi512ELi16ELi8ELb1ELb0ELb1ELb0ELb0ELb0EEEvPT0_PvPT_S7_S7_PKS6_S9_S9_S9_S9_ffiiiiiiiiiiiii
    .private_segment_fixed_size: 0
    .sgpr_count:     44
    .sgpr_spill_count: 0
    .symbol:         _ZN5aiter35fused_qk_rmsnorm_group_quant_kernelIDF16_N4opus5fp4_tELi512ELi16ELi8ELb1ELb0ELb1ELb0ELb0ELb0EEEvPT0_PvPT_S7_S7_PKS6_S9_S9_S9_S9_ffiiiiiiiiiiiii.kd
    .uniform_work_group_size: 1
    .uses_dynamic_stack: false
    .vgpr_count:     49
    .vgpr_spill_count: 0
    .wavefront_size: 64
  - .agpr_count:     0
    .args:
      - .actual_access:  write_only
        .address_space:  global
        .offset:         0
        .size:           8
        .value_kind:     global_buffer
      - .actual_access:  write_only
        .address_space:  global
        .offset:         8
        .size:           8
        .value_kind:     global_buffer
      - .actual_access:  read_only
        .address_space:  global
        .offset:         16
        .size:           8
        .value_kind:     global_buffer
      - .actual_access:  write_only
        .address_space:  global
        .offset:         24
        .size:           8
        .value_kind:     global_buffer
      - .actual_access:  write_only
        .address_space:  global
        .offset:         32
        .size:           8
        .value_kind:     global_buffer
      - .actual_access:  read_only
        .address_space:  global
        .offset:         40
        .size:           8
        .value_kind:     global_buffer
      - .actual_access:  read_only
        .address_space:  global
        .offset:         48
        .size:           8
        .value_kind:     global_buffer
      - .actual_access:  read_only
        .address_space:  global
        .offset:         56
        .size:           8
        .value_kind:     global_buffer
      - .actual_access:  read_only
        .address_space:  global
        .offset:         64
        .size:           8
        .value_kind:     global_buffer
      - .actual_access:  read_only
        .address_space:  global
        .offset:         72
        .size:           8
        .value_kind:     global_buffer
      - .offset:         80
        .size:           4
        .value_kind:     by_value
      - .offset:         84
        .size:           4
        .value_kind:     by_value
      - .offset:         88
        .size:           4
        .value_kind:     by_value
      - .offset:         92
        .size:           4
        .value_kind:     by_value
      - .offset:         96
        .size:           4
        .value_kind:     by_value
      - .offset:         100
        .size:           4
        .value_kind:     by_value
      - .offset:         104
        .size:           4
        .value_kind:     by_value
      - .offset:         108
        .size:           4
        .value_kind:     by_value
      - .offset:         112
        .size:           4
        .value_kind:     by_value
      - .offset:         116
        .size:           4
        .value_kind:     by_value
      - .offset:         120
        .size:           4
        .value_kind:     by_value
      - .offset:         124
        .size:           4
        .value_kind:     by_value
      - .offset:         128
        .size:           4
        .value_kind:     by_value
      - .offset:         132
        .size:           4
        .value_kind:     by_value
      - .offset:         136
        .size:           4
        .value_kind:     by_value
      - .offset:         144
        .size:           4
        .value_kind:     hidden_block_count_x
      - .offset:         148
        .size:           4
        .value_kind:     hidden_block_count_y
      - .offset:         152
        .size:           4
        .value_kind:     hidden_block_count_z
      - .offset:         156
        .size:           2
        .value_kind:     hidden_group_size_x
      - .offset:         158
        .size:           2
        .value_kind:     hidden_group_size_y
      - .offset:         160
        .size:           2
        .value_kind:     hidden_group_size_z
      - .offset:         162
        .size:           2
        .value_kind:     hidden_remainder_x
      - .offset:         164
        .size:           2
        .value_kind:     hidden_remainder_y
      - .offset:         166
        .size:           2
        .value_kind:     hidden_remainder_z
      - .offset:         184
        .size:           8
        .value_kind:     hidden_global_offset_x
      - .offset:         192
        .size:           8
        .value_kind:     hidden_global_offset_y
      - .offset:         200
        .size:           8
        .value_kind:     hidden_global_offset_z
      - .offset:         208
        .size:           2
        .value_kind:     hidden_grid_dims
    .group_segment_fixed_size: 64
    .kernarg_segment_align: 8
    .kernarg_segment_size: 400
    .language:       OpenCL C
    .language_version:
      - 2
      - 0
    .max_flat_workgroup_size: 1024
    .name:           _ZN5aiter35fused_qk_rmsnorm_group_quant_kernelItN4opus5fp4_tELi512ELi16ELi8ELb1ELb0ELb1ELb0ELb0ELb0EEEvPT0_PvPT_S7_S7_PKS6_S9_S9_S9_S9_ffiiiiiiiiiiiii
    .private_segment_fixed_size: 0
    .sgpr_count:     44
    .sgpr_spill_count: 0
    .symbol:         _ZN5aiter35fused_qk_rmsnorm_group_quant_kernelItN4opus5fp4_tELi512ELi16ELi8ELb1ELb0ELb1ELb0ELb0ELb0EEEvPT0_PvPT_S7_S7_PKS6_S9_S9_S9_S9_ffiiiiiiiiiiiii.kd
    .uniform_work_group_size: 1
    .uses_dynamic_stack: false
    .vgpr_count:     76
    .vgpr_spill_count: 0
    .wavefront_size: 64
  - .agpr_count:     0
    .args:
      - .actual_access:  write_only
        .address_space:  global
        .offset:         0
        .size:           8
        .value_kind:     global_buffer
      - .actual_access:  write_only
        .address_space:  global
        .offset:         8
        .size:           8
        .value_kind:     global_buffer
      - .actual_access:  read_only
        .address_space:  global
        .offset:         16
        .size:           8
        .value_kind:     global_buffer
      - .actual_access:  write_only
        .address_space:  global
        .offset:         24
        .size:           8
        .value_kind:     global_buffer
      - .actual_access:  write_only
        .address_space:  global
        .offset:         32
        .size:           8
        .value_kind:     global_buffer
      - .actual_access:  read_only
        .address_space:  global
        .offset:         40
        .size:           8
        .value_kind:     global_buffer
      - .actual_access:  read_only
        .address_space:  global
        .offset:         48
        .size:           8
        .value_kind:     global_buffer
      - .actual_access:  read_only
        .address_space:  global
        .offset:         56
        .size:           8
        .value_kind:     global_buffer
      - .actual_access:  read_only
        .address_space:  global
        .offset:         64
        .size:           8
        .value_kind:     global_buffer
      - .actual_access:  read_only
        .address_space:  global
        .offset:         72
        .size:           8
        .value_kind:     global_buffer
      - .offset:         80
        .size:           4
        .value_kind:     by_value
      - .offset:         84
        .size:           4
        .value_kind:     by_value
      - .offset:         88
        .size:           4
        .value_kind:     by_value
      - .offset:         92
        .size:           4
        .value_kind:     by_value
      - .offset:         96
        .size:           4
        .value_kind:     by_value
      - .offset:         100
        .size:           4
        .value_kind:     by_value
      - .offset:         104
        .size:           4
        .value_kind:     by_value
      - .offset:         108
        .size:           4
        .value_kind:     by_value
      - .offset:         112
        .size:           4
        .value_kind:     by_value
      - .offset:         116
        .size:           4
        .value_kind:     by_value
      - .offset:         120
        .size:           4
        .value_kind:     by_value
      - .offset:         124
        .size:           4
        .value_kind:     by_value
      - .offset:         128
        .size:           4
        .value_kind:     by_value
      - .offset:         132
        .size:           4
        .value_kind:     by_value
      - .offset:         136
        .size:           4
        .value_kind:     by_value
      - .offset:         144
        .size:           4
        .value_kind:     hidden_block_count_x
      - .offset:         148
        .size:           4
        .value_kind:     hidden_block_count_y
      - .offset:         152
        .size:           4
        .value_kind:     hidden_block_count_z
      - .offset:         156
        .size:           2
        .value_kind:     hidden_group_size_x
      - .offset:         158
        .size:           2
        .value_kind:     hidden_group_size_y
      - .offset:         160
        .size:           2
        .value_kind:     hidden_group_size_z
      - .offset:         162
        .size:           2
        .value_kind:     hidden_remainder_x
      - .offset:         164
        .size:           2
        .value_kind:     hidden_remainder_y
      - .offset:         166
        .size:           2
        .value_kind:     hidden_remainder_z
      - .offset:         184
        .size:           8
        .value_kind:     hidden_global_offset_x
      - .offset:         192
        .size:           8
        .value_kind:     hidden_global_offset_y
      - .offset:         200
        .size:           8
        .value_kind:     hidden_global_offset_z
      - .offset:         208
        .size:           2
        .value_kind:     hidden_grid_dims
    .group_segment_fixed_size: 64
    .kernarg_segment_align: 8
    .kernarg_segment_size: 400
    .language:       OpenCL C
    .language_version:
      - 2
      - 0
    .max_flat_workgroup_size: 1024
    .name:           _ZN5aiter35fused_qk_rmsnorm_group_quant_kernelIDF16_DB8_Li512ELi16ELi8ELb1ELb0ELb0ELb0ELb0ELb0EEEvPT0_PvPT_S6_S6_PKS5_S8_S8_S8_S8_ffiiiiiiiiiiiii
    .private_segment_fixed_size: 0
    .sgpr_count:     48
    .sgpr_spill_count: 0
    .symbol:         _ZN5aiter35fused_qk_rmsnorm_group_quant_kernelIDF16_DB8_Li512ELi16ELi8ELb1ELb0ELb0ELb0ELb0ELb0EEEvPT0_PvPT_S6_S6_PKS5_S8_S8_S8_S8_ffiiiiiiiiiiiii.kd
    .uniform_work_group_size: 1
    .uses_dynamic_stack: false
    .vgpr_count:     94
    .vgpr_spill_count: 0
    .wavefront_size: 64
  - .agpr_count:     0
    .args:
      - .actual_access:  write_only
        .address_space:  global
        .offset:         0
        .size:           8
        .value_kind:     global_buffer
      - .actual_access:  write_only
        .address_space:  global
        .offset:         8
        .size:           8
        .value_kind:     global_buffer
      - .actual_access:  read_only
        .address_space:  global
        .offset:         16
        .size:           8
        .value_kind:     global_buffer
      - .actual_access:  write_only
        .address_space:  global
        .offset:         24
        .size:           8
        .value_kind:     global_buffer
      - .actual_access:  write_only
        .address_space:  global
        .offset:         32
        .size:           8
        .value_kind:     global_buffer
      - .actual_access:  read_only
        .address_space:  global
        .offset:         40
        .size:           8
        .value_kind:     global_buffer
      - .actual_access:  read_only
        .address_space:  global
        .offset:         48
        .size:           8
        .value_kind:     global_buffer
      - .actual_access:  read_only
        .address_space:  global
        .offset:         56
        .size:           8
        .value_kind:     global_buffer
      - .actual_access:  read_only
        .address_space:  global
        .offset:         64
        .size:           8
        .value_kind:     global_buffer
      - .actual_access:  read_only
        .address_space:  global
        .offset:         72
        .size:           8
        .value_kind:     global_buffer
      - .offset:         80
        .size:           4
        .value_kind:     by_value
      - .offset:         84
        .size:           4
        .value_kind:     by_value
      - .offset:         88
        .size:           4
        .value_kind:     by_value
      - .offset:         92
        .size:           4
        .value_kind:     by_value
      - .offset:         96
        .size:           4
        .value_kind:     by_value
      - .offset:         100
        .size:           4
        .value_kind:     by_value
      - .offset:         104
        .size:           4
        .value_kind:     by_value
      - .offset:         108
        .size:           4
        .value_kind:     by_value
      - .offset:         112
        .size:           4
        .value_kind:     by_value
      - .offset:         116
        .size:           4
        .value_kind:     by_value
      - .offset:         120
        .size:           4
        .value_kind:     by_value
      - .offset:         124
        .size:           4
        .value_kind:     by_value
      - .offset:         128
        .size:           4
        .value_kind:     by_value
      - .offset:         132
        .size:           4
        .value_kind:     by_value
      - .offset:         136
        .size:           4
        .value_kind:     by_value
      - .offset:         144
        .size:           4
        .value_kind:     hidden_block_count_x
      - .offset:         148
        .size:           4
        .value_kind:     hidden_block_count_y
      - .offset:         152
        .size:           4
        .value_kind:     hidden_block_count_z
      - .offset:         156
        .size:           2
        .value_kind:     hidden_group_size_x
      - .offset:         158
        .size:           2
        .value_kind:     hidden_group_size_y
      - .offset:         160
        .size:           2
        .value_kind:     hidden_group_size_z
      - .offset:         162
        .size:           2
        .value_kind:     hidden_remainder_x
      - .offset:         164
        .size:           2
        .value_kind:     hidden_remainder_y
      - .offset:         166
        .size:           2
        .value_kind:     hidden_remainder_z
      - .offset:         184
        .size:           8
        .value_kind:     hidden_global_offset_x
      - .offset:         192
        .size:           8
        .value_kind:     hidden_global_offset_y
      - .offset:         200
        .size:           8
        .value_kind:     hidden_global_offset_z
      - .offset:         208
        .size:           2
        .value_kind:     hidden_grid_dims
    .group_segment_fixed_size: 64
    .kernarg_segment_align: 8
    .kernarg_segment_size: 400
    .language:       OpenCL C
    .language_version:
      - 2
      - 0
    .max_flat_workgroup_size: 1024
    .name:           _ZN5aiter35fused_qk_rmsnorm_group_quant_kernelItDB8_Li512ELi16ELi8ELb1ELb0ELb0ELb0ELb0ELb0EEEvPT0_PvPT_S6_S6_PKS5_S8_S8_S8_S8_ffiiiiiiiiiiiii
    .private_segment_fixed_size: 0
    .sgpr_count:     48
    .sgpr_spill_count: 0
    .symbol:         _ZN5aiter35fused_qk_rmsnorm_group_quant_kernelItDB8_Li512ELi16ELi8ELb1ELb0ELb0ELb0ELb0ELb0EEEvPT0_PvPT_S6_S6_PKS5_S8_S8_S8_S8_ffiiiiiiiiiiiii.kd
    .uniform_work_group_size: 1
    .uses_dynamic_stack: false
    .vgpr_count:     96
    .vgpr_spill_count: 0
    .wavefront_size: 64
  - .agpr_count:     0
    .args:
      - .actual_access:  write_only
        .address_space:  global
        .offset:         0
        .size:           8
        .value_kind:     global_buffer
      - .actual_access:  write_only
        .address_space:  global
        .offset:         8
        .size:           8
        .value_kind:     global_buffer
      - .actual_access:  read_only
        .address_space:  global
        .offset:         16
        .size:           8
        .value_kind:     global_buffer
      - .actual_access:  write_only
        .address_space:  global
        .offset:         24
        .size:           8
        .value_kind:     global_buffer
      - .actual_access:  write_only
        .address_space:  global
        .offset:         32
        .size:           8
        .value_kind:     global_buffer
      - .actual_access:  read_only
        .address_space:  global
        .offset:         40
        .size:           8
        .value_kind:     global_buffer
      - .actual_access:  read_only
        .address_space:  global
        .offset:         48
        .size:           8
        .value_kind:     global_buffer
      - .actual_access:  read_only
        .address_space:  global
        .offset:         56
        .size:           8
        .value_kind:     global_buffer
      - .actual_access:  read_only
        .address_space:  global
        .offset:         64
        .size:           8
        .value_kind:     global_buffer
      - .actual_access:  read_only
        .address_space:  global
        .offset:         72
        .size:           8
        .value_kind:     global_buffer
      - .offset:         80
        .size:           4
        .value_kind:     by_value
      - .offset:         84
        .size:           4
        .value_kind:     by_value
      - .offset:         88
        .size:           4
        .value_kind:     by_value
      - .offset:         92
        .size:           4
        .value_kind:     by_value
      - .offset:         96
        .size:           4
        .value_kind:     by_value
      - .offset:         100
        .size:           4
        .value_kind:     by_value
      - .offset:         104
        .size:           4
        .value_kind:     by_value
      - .offset:         108
        .size:           4
        .value_kind:     by_value
      - .offset:         112
        .size:           4
        .value_kind:     by_value
      - .offset:         116
        .size:           4
        .value_kind:     by_value
      - .offset:         120
        .size:           4
        .value_kind:     by_value
      - .offset:         124
        .size:           4
        .value_kind:     by_value
      - .offset:         128
        .size:           4
        .value_kind:     by_value
      - .offset:         132
        .size:           4
        .value_kind:     by_value
      - .offset:         136
        .size:           4
        .value_kind:     by_value
      - .offset:         144
        .size:           4
        .value_kind:     hidden_block_count_x
      - .offset:         148
        .size:           4
        .value_kind:     hidden_block_count_y
      - .offset:         152
        .size:           4
        .value_kind:     hidden_block_count_z
      - .offset:         156
        .size:           2
        .value_kind:     hidden_group_size_x
      - .offset:         158
        .size:           2
        .value_kind:     hidden_group_size_y
      - .offset:         160
        .size:           2
        .value_kind:     hidden_group_size_z
      - .offset:         162
        .size:           2
        .value_kind:     hidden_remainder_x
      - .offset:         164
        .size:           2
        .value_kind:     hidden_remainder_y
      - .offset:         166
        .size:           2
        .value_kind:     hidden_remainder_z
      - .offset:         184
        .size:           8
        .value_kind:     hidden_global_offset_x
      - .offset:         192
        .size:           8
        .value_kind:     hidden_global_offset_y
      - .offset:         200
        .size:           8
        .value_kind:     hidden_global_offset_z
      - .offset:         208
        .size:           2
        .value_kind:     hidden_grid_dims
    .group_segment_fixed_size: 64
    .kernarg_segment_align: 8
    .kernarg_segment_size: 400
    .language:       OpenCL C
    .language_version:
      - 2
      - 0
    .max_flat_workgroup_size: 1024
    .name:           _ZN5aiter35fused_qk_rmsnorm_group_quant_kernelIDF16_N4opus5fp4_tELi512ELi16ELi8ELb1ELb0ELb0ELb0ELb0ELb0EEEvPT0_PvPT_S7_S7_PKS6_S9_S9_S9_S9_ffiiiiiiiiiiiii
    .private_segment_fixed_size: 0
    .sgpr_count:     44
    .sgpr_spill_count: 0
    .symbol:         _ZN5aiter35fused_qk_rmsnorm_group_quant_kernelIDF16_N4opus5fp4_tELi512ELi16ELi8ELb1ELb0ELb0ELb0ELb0ELb0EEEvPT0_PvPT_S7_S7_PKS6_S9_S9_S9_S9_ffiiiiiiiiiiiii.kd
    .uniform_work_group_size: 1
    .uses_dynamic_stack: false
    .vgpr_count:     47
    .vgpr_spill_count: 0
    .wavefront_size: 64
  - .agpr_count:     0
    .args:
      - .actual_access:  write_only
        .address_space:  global
        .offset:         0
        .size:           8
        .value_kind:     global_buffer
      - .actual_access:  write_only
        .address_space:  global
        .offset:         8
        .size:           8
        .value_kind:     global_buffer
      - .actual_access:  read_only
        .address_space:  global
        .offset:         16
        .size:           8
        .value_kind:     global_buffer
      - .actual_access:  write_only
        .address_space:  global
        .offset:         24
        .size:           8
        .value_kind:     global_buffer
      - .actual_access:  write_only
        .address_space:  global
        .offset:         32
        .size:           8
        .value_kind:     global_buffer
      - .actual_access:  read_only
        .address_space:  global
        .offset:         40
        .size:           8
        .value_kind:     global_buffer
      - .actual_access:  read_only
        .address_space:  global
        .offset:         48
        .size:           8
        .value_kind:     global_buffer
      - .actual_access:  read_only
        .address_space:  global
        .offset:         56
        .size:           8
        .value_kind:     global_buffer
      - .actual_access:  read_only
        .address_space:  global
        .offset:         64
        .size:           8
        .value_kind:     global_buffer
      - .actual_access:  read_only
        .address_space:  global
        .offset:         72
        .size:           8
        .value_kind:     global_buffer
      - .offset:         80
        .size:           4
        .value_kind:     by_value
      - .offset:         84
        .size:           4
        .value_kind:     by_value
      - .offset:         88
        .size:           4
        .value_kind:     by_value
      - .offset:         92
        .size:           4
        .value_kind:     by_value
      - .offset:         96
        .size:           4
        .value_kind:     by_value
      - .offset:         100
        .size:           4
        .value_kind:     by_value
      - .offset:         104
        .size:           4
        .value_kind:     by_value
      - .offset:         108
        .size:           4
        .value_kind:     by_value
      - .offset:         112
        .size:           4
        .value_kind:     by_value
      - .offset:         116
        .size:           4
        .value_kind:     by_value
      - .offset:         120
        .size:           4
        .value_kind:     by_value
      - .offset:         124
        .size:           4
        .value_kind:     by_value
      - .offset:         128
        .size:           4
        .value_kind:     by_value
      - .offset:         132
        .size:           4
        .value_kind:     by_value
      - .offset:         136
        .size:           4
        .value_kind:     by_value
      - .offset:         144
        .size:           4
        .value_kind:     hidden_block_count_x
      - .offset:         148
        .size:           4
        .value_kind:     hidden_block_count_y
      - .offset:         152
        .size:           4
        .value_kind:     hidden_block_count_z
      - .offset:         156
        .size:           2
        .value_kind:     hidden_group_size_x
      - .offset:         158
        .size:           2
        .value_kind:     hidden_group_size_y
      - .offset:         160
        .size:           2
        .value_kind:     hidden_group_size_z
      - .offset:         162
        .size:           2
        .value_kind:     hidden_remainder_x
      - .offset:         164
        .size:           2
        .value_kind:     hidden_remainder_y
      - .offset:         166
        .size:           2
        .value_kind:     hidden_remainder_z
      - .offset:         184
        .size:           8
        .value_kind:     hidden_global_offset_x
      - .offset:         192
        .size:           8
        .value_kind:     hidden_global_offset_y
      - .offset:         200
        .size:           8
        .value_kind:     hidden_global_offset_z
      - .offset:         208
        .size:           2
        .value_kind:     hidden_grid_dims
    .group_segment_fixed_size: 64
    .kernarg_segment_align: 8
    .kernarg_segment_size: 400
    .language:       OpenCL C
    .language_version:
      - 2
      - 0
    .max_flat_workgroup_size: 1024
    .name:           _ZN5aiter35fused_qk_rmsnorm_group_quant_kernelItN4opus5fp4_tELi512ELi16ELi8ELb1ELb0ELb0ELb0ELb0ELb0EEEvPT0_PvPT_S7_S7_PKS6_S9_S9_S9_S9_ffiiiiiiiiiiiii
    .private_segment_fixed_size: 0
    .sgpr_count:     44
    .sgpr_spill_count: 0
    .symbol:         _ZN5aiter35fused_qk_rmsnorm_group_quant_kernelItN4opus5fp4_tELi512ELi16ELi8ELb1ELb0ELb0ELb0ELb0ELb0EEEvPT0_PvPT_S7_S7_PKS6_S9_S9_S9_S9_ffiiiiiiiiiiiii.kd
    .uniform_work_group_size: 1
    .uses_dynamic_stack: false
    .vgpr_count:     94
    .vgpr_spill_count: 0
    .wavefront_size: 64
  - .agpr_count:     0
    .args:
      - .actual_access:  write_only
        .address_space:  global
        .offset:         0
        .size:           8
        .value_kind:     global_buffer
      - .actual_access:  write_only
        .address_space:  global
        .offset:         8
        .size:           8
        .value_kind:     global_buffer
      - .actual_access:  write_only
        .address_space:  global
        .offset:         16
        .size:           8
        .value_kind:     global_buffer
      - .actual_access:  write_only
        .address_space:  global
        .offset:         24
        .size:           8
        .value_kind:     global_buffer
      - .actual_access:  read_only
        .address_space:  global
        .offset:         32
        .size:           8
        .value_kind:     global_buffer
      - .actual_access:  read_only
        .address_space:  global
        .offset:         40
        .size:           8
        .value_kind:     global_buffer
      - .actual_access:  read_only
        .address_space:  global
        .offset:         48
        .size:           8
        .value_kind:     global_buffer
      - .actual_access:  read_only
        .address_space:  global
        .offset:         56
        .size:           8
        .value_kind:     global_buffer
      - .actual_access:  read_only
        .address_space:  global
        .offset:         64
        .size:           8
        .value_kind:     global_buffer
      - .actual_access:  read_only
        .address_space:  global
        .offset:         72
        .size:           8
        .value_kind:     global_buffer
      - .offset:         80
        .size:           4
        .value_kind:     by_value
      - .offset:         84
        .size:           4
        .value_kind:     by_value
      - .offset:         88
        .size:           4
        .value_kind:     by_value
      - .offset:         92
        .size:           4
        .value_kind:     by_value
      - .offset:         96
        .size:           4
        .value_kind:     by_value
      - .offset:         100
        .size:           4
        .value_kind:     by_value
      - .offset:         104
        .size:           4
        .value_kind:     by_value
      - .offset:         108
        .size:           4
        .value_kind:     by_value
      - .offset:         112
        .size:           4
        .value_kind:     by_value
      - .offset:         116
        .size:           4
        .value_kind:     by_value
      - .offset:         120
        .size:           4
        .value_kind:     by_value
      - .offset:         124
        .size:           4
        .value_kind:     by_value
      - .offset:         128
        .size:           4
        .value_kind:     by_value
      - .offset:         132
        .size:           4
        .value_kind:     by_value
      - .offset:         136
        .size:           4
        .value_kind:     by_value
      - .offset:         144
        .size:           4
        .value_kind:     hidden_block_count_x
      - .offset:         148
        .size:           4
        .value_kind:     hidden_block_count_y
      - .offset:         152
        .size:           4
        .value_kind:     hidden_block_count_z
      - .offset:         156
        .size:           2
        .value_kind:     hidden_group_size_x
      - .offset:         158
        .size:           2
        .value_kind:     hidden_group_size_y
      - .offset:         160
        .size:           2
        .value_kind:     hidden_group_size_z
      - .offset:         162
        .size:           2
        .value_kind:     hidden_remainder_x
      - .offset:         164
        .size:           2
        .value_kind:     hidden_remainder_y
      - .offset:         166
        .size:           2
        .value_kind:     hidden_remainder_z
      - .offset:         184
        .size:           8
        .value_kind:     hidden_global_offset_x
      - .offset:         192
        .size:           8
        .value_kind:     hidden_global_offset_y
      - .offset:         200
        .size:           8
        .value_kind:     hidden_global_offset_z
      - .offset:         208
        .size:           2
        .value_kind:     hidden_grid_dims
    .group_segment_fixed_size: 64
    .kernarg_segment_align: 8
    .kernarg_segment_size: 400
    .language:       OpenCL C
    .language_version:
      - 2
      - 0
    .max_flat_workgroup_size: 1024
    .name:           _ZN5aiter35fused_qk_rmsnorm_group_quant_kernelIDF16_DB8_Li512ELi16ELi8ELb0ELb1ELb1ELb0ELb0ELb0EEEvPT0_PvPT_S6_S6_PKS5_S8_S8_S8_S8_ffiiiiiiiiiiiii
    .private_segment_fixed_size: 0
    .sgpr_count:     40
    .sgpr_spill_count: 0
    .symbol:         _ZN5aiter35fused_qk_rmsnorm_group_quant_kernelIDF16_DB8_Li512ELi16ELi8ELb0ELb1ELb1ELb0ELb0ELb0EEEvPT0_PvPT_S6_S6_PKS5_S8_S8_S8_S8_ffiiiiiiiiiiiii.kd
    .uniform_work_group_size: 1
    .uses_dynamic_stack: false
    .vgpr_count:     36
    .vgpr_spill_count: 0
    .wavefront_size: 64
  - .agpr_count:     0
    .args:
      - .actual_access:  write_only
        .address_space:  global
        .offset:         0
        .size:           8
        .value_kind:     global_buffer
      - .actual_access:  write_only
        .address_space:  global
        .offset:         8
        .size:           8
        .value_kind:     global_buffer
      - .actual_access:  write_only
        .address_space:  global
        .offset:         16
        .size:           8
        .value_kind:     global_buffer
      - .actual_access:  write_only
        .address_space:  global
        .offset:         24
        .size:           8
        .value_kind:     global_buffer
      - .actual_access:  read_only
        .address_space:  global
        .offset:         32
        .size:           8
        .value_kind:     global_buffer
      - .actual_access:  read_only
        .address_space:  global
        .offset:         40
        .size:           8
        .value_kind:     global_buffer
      - .actual_access:  read_only
        .address_space:  global
        .offset:         48
        .size:           8
        .value_kind:     global_buffer
      - .actual_access:  read_only
        .address_space:  global
        .offset:         56
        .size:           8
        .value_kind:     global_buffer
      - .actual_access:  read_only
        .address_space:  global
        .offset:         64
        .size:           8
        .value_kind:     global_buffer
      - .actual_access:  read_only
        .address_space:  global
        .offset:         72
        .size:           8
        .value_kind:     global_buffer
      - .offset:         80
        .size:           4
        .value_kind:     by_value
      - .offset:         84
        .size:           4
        .value_kind:     by_value
      - .offset:         88
        .size:           4
        .value_kind:     by_value
      - .offset:         92
        .size:           4
        .value_kind:     by_value
      - .offset:         96
        .size:           4
        .value_kind:     by_value
      - .offset:         100
        .size:           4
        .value_kind:     by_value
      - .offset:         104
        .size:           4
        .value_kind:     by_value
      - .offset:         108
        .size:           4
        .value_kind:     by_value
      - .offset:         112
        .size:           4
        .value_kind:     by_value
      - .offset:         116
        .size:           4
        .value_kind:     by_value
      - .offset:         120
        .size:           4
        .value_kind:     by_value
      - .offset:         124
        .size:           4
        .value_kind:     by_value
      - .offset:         128
        .size:           4
        .value_kind:     by_value
      - .offset:         132
        .size:           4
        .value_kind:     by_value
      - .offset:         136
        .size:           4
        .value_kind:     by_value
      - .offset:         144
        .size:           4
        .value_kind:     hidden_block_count_x
      - .offset:         148
        .size:           4
        .value_kind:     hidden_block_count_y
      - .offset:         152
        .size:           4
        .value_kind:     hidden_block_count_z
      - .offset:         156
        .size:           2
        .value_kind:     hidden_group_size_x
      - .offset:         158
        .size:           2
        .value_kind:     hidden_group_size_y
      - .offset:         160
        .size:           2
        .value_kind:     hidden_group_size_z
      - .offset:         162
        .size:           2
        .value_kind:     hidden_remainder_x
      - .offset:         164
        .size:           2
        .value_kind:     hidden_remainder_y
      - .offset:         166
        .size:           2
        .value_kind:     hidden_remainder_z
      - .offset:         184
        .size:           8
        .value_kind:     hidden_global_offset_x
      - .offset:         192
        .size:           8
        .value_kind:     hidden_global_offset_y
      - .offset:         200
        .size:           8
        .value_kind:     hidden_global_offset_z
      - .offset:         208
        .size:           2
        .value_kind:     hidden_grid_dims
    .group_segment_fixed_size: 64
    .kernarg_segment_align: 8
    .kernarg_segment_size: 400
    .language:       OpenCL C
    .language_version:
      - 2
      - 0
    .max_flat_workgroup_size: 1024
    .name:           _ZN5aiter35fused_qk_rmsnorm_group_quant_kernelItDB8_Li512ELi16ELi8ELb0ELb1ELb1ELb0ELb0ELb0EEEvPT0_PvPT_S6_S6_PKS5_S8_S8_S8_S8_ffiiiiiiiiiiiii
    .private_segment_fixed_size: 0
    .sgpr_count:     40
    .sgpr_spill_count: 0
    .symbol:         _ZN5aiter35fused_qk_rmsnorm_group_quant_kernelItDB8_Li512ELi16ELi8ELb0ELb1ELb1ELb0ELb0ELb0EEEvPT0_PvPT_S6_S6_PKS5_S8_S8_S8_S8_ffiiiiiiiiiiiii.kd
    .uniform_work_group_size: 1
    .uses_dynamic_stack: false
    .vgpr_count:     36
    .vgpr_spill_count: 0
    .wavefront_size: 64
  - .agpr_count:     0
    .args:
      - .actual_access:  write_only
        .address_space:  global
        .offset:         0
        .size:           8
        .value_kind:     global_buffer
      - .actual_access:  write_only
        .address_space:  global
        .offset:         8
        .size:           8
        .value_kind:     global_buffer
      - .actual_access:  write_only
        .address_space:  global
        .offset:         16
        .size:           8
        .value_kind:     global_buffer
      - .actual_access:  write_only
        .address_space:  global
        .offset:         24
        .size:           8
        .value_kind:     global_buffer
      - .actual_access:  read_only
        .address_space:  global
        .offset:         32
        .size:           8
        .value_kind:     global_buffer
      - .actual_access:  read_only
        .address_space:  global
        .offset:         40
        .size:           8
        .value_kind:     global_buffer
      - .actual_access:  read_only
        .address_space:  global
        .offset:         48
        .size:           8
        .value_kind:     global_buffer
      - .actual_access:  read_only
        .address_space:  global
        .offset:         56
        .size:           8
        .value_kind:     global_buffer
      - .actual_access:  read_only
        .address_space:  global
        .offset:         64
        .size:           8
        .value_kind:     global_buffer
      - .actual_access:  read_only
        .address_space:  global
        .offset:         72
        .size:           8
        .value_kind:     global_buffer
      - .offset:         80
        .size:           4
        .value_kind:     by_value
      - .offset:         84
        .size:           4
        .value_kind:     by_value
      - .offset:         88
        .size:           4
        .value_kind:     by_value
      - .offset:         92
        .size:           4
        .value_kind:     by_value
      - .offset:         96
        .size:           4
        .value_kind:     by_value
      - .offset:         100
        .size:           4
        .value_kind:     by_value
      - .offset:         104
        .size:           4
        .value_kind:     by_value
      - .offset:         108
        .size:           4
        .value_kind:     by_value
      - .offset:         112
        .size:           4
        .value_kind:     by_value
      - .offset:         116
        .size:           4
        .value_kind:     by_value
      - .offset:         120
        .size:           4
        .value_kind:     by_value
      - .offset:         124
        .size:           4
        .value_kind:     by_value
      - .offset:         128
        .size:           4
        .value_kind:     by_value
      - .offset:         132
        .size:           4
        .value_kind:     by_value
      - .offset:         136
        .size:           4
        .value_kind:     by_value
      - .offset:         144
        .size:           4
        .value_kind:     hidden_block_count_x
      - .offset:         148
        .size:           4
        .value_kind:     hidden_block_count_y
      - .offset:         152
        .size:           4
        .value_kind:     hidden_block_count_z
      - .offset:         156
        .size:           2
        .value_kind:     hidden_group_size_x
      - .offset:         158
        .size:           2
        .value_kind:     hidden_group_size_y
      - .offset:         160
        .size:           2
        .value_kind:     hidden_group_size_z
      - .offset:         162
        .size:           2
        .value_kind:     hidden_remainder_x
      - .offset:         164
        .size:           2
        .value_kind:     hidden_remainder_y
      - .offset:         166
        .size:           2
        .value_kind:     hidden_remainder_z
      - .offset:         184
        .size:           8
        .value_kind:     hidden_global_offset_x
      - .offset:         192
        .size:           8
        .value_kind:     hidden_global_offset_y
      - .offset:         200
        .size:           8
        .value_kind:     hidden_global_offset_z
      - .offset:         208
        .size:           2
        .value_kind:     hidden_grid_dims
    .group_segment_fixed_size: 64
    .kernarg_segment_align: 8
    .kernarg_segment_size: 400
    .language:       OpenCL C
    .language_version:
      - 2
      - 0
    .max_flat_workgroup_size: 1024
    .name:           _ZN5aiter35fused_qk_rmsnorm_group_quant_kernelIDF16_N4opus5fp4_tELi512ELi16ELi8ELb0ELb1ELb1ELb0ELb0ELb0EEEvPT0_PvPT_S7_S7_PKS6_S9_S9_S9_S9_ffiiiiiiiiiiiii
    .private_segment_fixed_size: 0
    .sgpr_count:     40
    .sgpr_spill_count: 0
    .symbol:         _ZN5aiter35fused_qk_rmsnorm_group_quant_kernelIDF16_N4opus5fp4_tELi512ELi16ELi8ELb0ELb1ELb1ELb0ELb0ELb0EEEvPT0_PvPT_S7_S7_PKS6_S9_S9_S9_S9_ffiiiiiiiiiiiii.kd
    .uniform_work_group_size: 1
    .uses_dynamic_stack: false
    .vgpr_count:     36
    .vgpr_spill_count: 0
    .wavefront_size: 64
  - .agpr_count:     0
    .args:
      - .actual_access:  write_only
        .address_space:  global
        .offset:         0
        .size:           8
        .value_kind:     global_buffer
      - .actual_access:  write_only
        .address_space:  global
        .offset:         8
        .size:           8
        .value_kind:     global_buffer
      - .actual_access:  write_only
        .address_space:  global
        .offset:         16
        .size:           8
        .value_kind:     global_buffer
      - .actual_access:  write_only
        .address_space:  global
        .offset:         24
        .size:           8
        .value_kind:     global_buffer
      - .actual_access:  read_only
        .address_space:  global
        .offset:         32
        .size:           8
        .value_kind:     global_buffer
      - .actual_access:  read_only
        .address_space:  global
        .offset:         40
        .size:           8
        .value_kind:     global_buffer
      - .actual_access:  read_only
        .address_space:  global
        .offset:         48
        .size:           8
        .value_kind:     global_buffer
      - .actual_access:  read_only
        .address_space:  global
        .offset:         56
        .size:           8
        .value_kind:     global_buffer
      - .actual_access:  read_only
        .address_space:  global
        .offset:         64
        .size:           8
        .value_kind:     global_buffer
      - .actual_access:  read_only
        .address_space:  global
        .offset:         72
        .size:           8
        .value_kind:     global_buffer
      - .offset:         80
        .size:           4
        .value_kind:     by_value
      - .offset:         84
        .size:           4
        .value_kind:     by_value
      - .offset:         88
        .size:           4
        .value_kind:     by_value
      - .offset:         92
        .size:           4
        .value_kind:     by_value
      - .offset:         96
        .size:           4
        .value_kind:     by_value
      - .offset:         100
        .size:           4
        .value_kind:     by_value
      - .offset:         104
        .size:           4
        .value_kind:     by_value
      - .offset:         108
        .size:           4
        .value_kind:     by_value
      - .offset:         112
        .size:           4
        .value_kind:     by_value
      - .offset:         116
        .size:           4
        .value_kind:     by_value
      - .offset:         120
        .size:           4
        .value_kind:     by_value
      - .offset:         124
        .size:           4
        .value_kind:     by_value
      - .offset:         128
        .size:           4
        .value_kind:     by_value
      - .offset:         132
        .size:           4
        .value_kind:     by_value
      - .offset:         136
        .size:           4
        .value_kind:     by_value
      - .offset:         144
        .size:           4
        .value_kind:     hidden_block_count_x
      - .offset:         148
        .size:           4
        .value_kind:     hidden_block_count_y
      - .offset:         152
        .size:           4
        .value_kind:     hidden_block_count_z
      - .offset:         156
        .size:           2
        .value_kind:     hidden_group_size_x
      - .offset:         158
        .size:           2
        .value_kind:     hidden_group_size_y
      - .offset:         160
        .size:           2
        .value_kind:     hidden_group_size_z
      - .offset:         162
        .size:           2
        .value_kind:     hidden_remainder_x
      - .offset:         164
        .size:           2
        .value_kind:     hidden_remainder_y
      - .offset:         166
        .size:           2
        .value_kind:     hidden_remainder_z
      - .offset:         184
        .size:           8
        .value_kind:     hidden_global_offset_x
      - .offset:         192
        .size:           8
        .value_kind:     hidden_global_offset_y
      - .offset:         200
        .size:           8
        .value_kind:     hidden_global_offset_z
      - .offset:         208
        .size:           2
        .value_kind:     hidden_grid_dims
    .group_segment_fixed_size: 64
    .kernarg_segment_align: 8
    .kernarg_segment_size: 400
    .language:       OpenCL C
    .language_version:
      - 2
      - 0
    .max_flat_workgroup_size: 1024
    .name:           _ZN5aiter35fused_qk_rmsnorm_group_quant_kernelItN4opus5fp4_tELi512ELi16ELi8ELb0ELb1ELb1ELb0ELb0ELb0EEEvPT0_PvPT_S7_S7_PKS6_S9_S9_S9_S9_ffiiiiiiiiiiiii
    .private_segment_fixed_size: 0
    .sgpr_count:     40
    .sgpr_spill_count: 0
    .symbol:         _ZN5aiter35fused_qk_rmsnorm_group_quant_kernelItN4opus5fp4_tELi512ELi16ELi8ELb0ELb1ELb1ELb0ELb0ELb0EEEvPT0_PvPT_S7_S7_PKS6_S9_S9_S9_S9_ffiiiiiiiiiiiii.kd
    .uniform_work_group_size: 1
    .uses_dynamic_stack: false
    .vgpr_count:     36
    .vgpr_spill_count: 0
    .wavefront_size: 64
  - .agpr_count:     0
    .args:
      - .actual_access:  write_only
        .address_space:  global
        .offset:         0
        .size:           8
        .value_kind:     global_buffer
      - .actual_access:  write_only
        .address_space:  global
        .offset:         8
        .size:           8
        .value_kind:     global_buffer
      - .actual_access:  write_only
        .address_space:  global
        .offset:         16
        .size:           8
        .value_kind:     global_buffer
      - .actual_access:  write_only
        .address_space:  global
        .offset:         24
        .size:           8
        .value_kind:     global_buffer
      - .actual_access:  read_only
        .address_space:  global
        .offset:         32
        .size:           8
        .value_kind:     global_buffer
      - .actual_access:  read_only
        .address_space:  global
        .offset:         40
        .size:           8
        .value_kind:     global_buffer
      - .actual_access:  read_only
        .address_space:  global
        .offset:         48
        .size:           8
        .value_kind:     global_buffer
      - .actual_access:  read_only
        .address_space:  global
        .offset:         56
        .size:           8
        .value_kind:     global_buffer
      - .actual_access:  read_only
        .address_space:  global
        .offset:         64
        .size:           8
        .value_kind:     global_buffer
      - .actual_access:  read_only
        .address_space:  global
        .offset:         72
        .size:           8
        .value_kind:     global_buffer
      - .offset:         80
        .size:           4
        .value_kind:     by_value
      - .offset:         84
        .size:           4
        .value_kind:     by_value
      - .offset:         88
        .size:           4
        .value_kind:     by_value
      - .offset:         92
        .size:           4
        .value_kind:     by_value
      - .offset:         96
        .size:           4
        .value_kind:     by_value
      - .offset:         100
        .size:           4
        .value_kind:     by_value
      - .offset:         104
        .size:           4
        .value_kind:     by_value
      - .offset:         108
        .size:           4
        .value_kind:     by_value
      - .offset:         112
        .size:           4
        .value_kind:     by_value
      - .offset:         116
        .size:           4
        .value_kind:     by_value
      - .offset:         120
        .size:           4
        .value_kind:     by_value
      - .offset:         124
        .size:           4
        .value_kind:     by_value
      - .offset:         128
        .size:           4
        .value_kind:     by_value
      - .offset:         132
        .size:           4
        .value_kind:     by_value
      - .offset:         136
        .size:           4
        .value_kind:     by_value
      - .offset:         144
        .size:           4
        .value_kind:     hidden_block_count_x
      - .offset:         148
        .size:           4
        .value_kind:     hidden_block_count_y
      - .offset:         152
        .size:           4
        .value_kind:     hidden_block_count_z
      - .offset:         156
        .size:           2
        .value_kind:     hidden_group_size_x
      - .offset:         158
        .size:           2
        .value_kind:     hidden_group_size_y
      - .offset:         160
        .size:           2
        .value_kind:     hidden_group_size_z
      - .offset:         162
        .size:           2
        .value_kind:     hidden_remainder_x
      - .offset:         164
        .size:           2
        .value_kind:     hidden_remainder_y
      - .offset:         166
        .size:           2
        .value_kind:     hidden_remainder_z
      - .offset:         184
        .size:           8
        .value_kind:     hidden_global_offset_x
      - .offset:         192
        .size:           8
        .value_kind:     hidden_global_offset_y
      - .offset:         200
        .size:           8
        .value_kind:     hidden_global_offset_z
      - .offset:         208
        .size:           2
        .value_kind:     hidden_grid_dims
    .group_segment_fixed_size: 64
    .kernarg_segment_align: 8
    .kernarg_segment_size: 400
    .language:       OpenCL C
    .language_version:
      - 2
      - 0
    .max_flat_workgroup_size: 1024
    .name:           _ZN5aiter35fused_qk_rmsnorm_group_quant_kernelIDF16_DB8_Li512ELi16ELi8ELb0ELb1ELb0ELb0ELb0ELb0EEEvPT0_PvPT_S6_S6_PKS5_S8_S8_S8_S8_ffiiiiiiiiiiiii
    .private_segment_fixed_size: 0
    .sgpr_count:     40
    .sgpr_spill_count: 0
    .symbol:         _ZN5aiter35fused_qk_rmsnorm_group_quant_kernelIDF16_DB8_Li512ELi16ELi8ELb0ELb1ELb0ELb0ELb0ELb0EEEvPT0_PvPT_S6_S6_PKS5_S8_S8_S8_S8_ffiiiiiiiiiiiii.kd
    .uniform_work_group_size: 1
    .uses_dynamic_stack: false
    .vgpr_count:     38
    .vgpr_spill_count: 0
    .wavefront_size: 64
  - .agpr_count:     0
    .args:
      - .actual_access:  write_only
        .address_space:  global
        .offset:         0
        .size:           8
        .value_kind:     global_buffer
      - .actual_access:  write_only
        .address_space:  global
        .offset:         8
        .size:           8
        .value_kind:     global_buffer
      - .actual_access:  write_only
        .address_space:  global
        .offset:         16
        .size:           8
        .value_kind:     global_buffer
      - .actual_access:  write_only
        .address_space:  global
        .offset:         24
        .size:           8
        .value_kind:     global_buffer
      - .actual_access:  read_only
        .address_space:  global
        .offset:         32
        .size:           8
        .value_kind:     global_buffer
      - .actual_access:  read_only
        .address_space:  global
        .offset:         40
        .size:           8
        .value_kind:     global_buffer
      - .actual_access:  read_only
        .address_space:  global
        .offset:         48
        .size:           8
        .value_kind:     global_buffer
      - .actual_access:  read_only
        .address_space:  global
        .offset:         56
        .size:           8
        .value_kind:     global_buffer
      - .actual_access:  read_only
        .address_space:  global
        .offset:         64
        .size:           8
        .value_kind:     global_buffer
      - .actual_access:  read_only
        .address_space:  global
        .offset:         72
        .size:           8
        .value_kind:     global_buffer
      - .offset:         80
        .size:           4
        .value_kind:     by_value
      - .offset:         84
        .size:           4
        .value_kind:     by_value
      - .offset:         88
        .size:           4
        .value_kind:     by_value
      - .offset:         92
        .size:           4
        .value_kind:     by_value
      - .offset:         96
        .size:           4
        .value_kind:     by_value
      - .offset:         100
        .size:           4
        .value_kind:     by_value
      - .offset:         104
        .size:           4
        .value_kind:     by_value
      - .offset:         108
        .size:           4
        .value_kind:     by_value
      - .offset:         112
        .size:           4
        .value_kind:     by_value
      - .offset:         116
        .size:           4
        .value_kind:     by_value
      - .offset:         120
        .size:           4
        .value_kind:     by_value
      - .offset:         124
        .size:           4
        .value_kind:     by_value
      - .offset:         128
        .size:           4
        .value_kind:     by_value
      - .offset:         132
        .size:           4
        .value_kind:     by_value
      - .offset:         136
        .size:           4
        .value_kind:     by_value
      - .offset:         144
        .size:           4
        .value_kind:     hidden_block_count_x
      - .offset:         148
        .size:           4
        .value_kind:     hidden_block_count_y
      - .offset:         152
        .size:           4
        .value_kind:     hidden_block_count_z
      - .offset:         156
        .size:           2
        .value_kind:     hidden_group_size_x
      - .offset:         158
        .size:           2
        .value_kind:     hidden_group_size_y
      - .offset:         160
        .size:           2
        .value_kind:     hidden_group_size_z
      - .offset:         162
        .size:           2
        .value_kind:     hidden_remainder_x
      - .offset:         164
        .size:           2
        .value_kind:     hidden_remainder_y
      - .offset:         166
        .size:           2
        .value_kind:     hidden_remainder_z
      - .offset:         184
        .size:           8
        .value_kind:     hidden_global_offset_x
      - .offset:         192
        .size:           8
        .value_kind:     hidden_global_offset_y
      - .offset:         200
        .size:           8
        .value_kind:     hidden_global_offset_z
      - .offset:         208
        .size:           2
        .value_kind:     hidden_grid_dims
    .group_segment_fixed_size: 64
    .kernarg_segment_align: 8
    .kernarg_segment_size: 400
    .language:       OpenCL C
    .language_version:
      - 2
      - 0
    .max_flat_workgroup_size: 1024
    .name:           _ZN5aiter35fused_qk_rmsnorm_group_quant_kernelItDB8_Li512ELi16ELi8ELb0ELb1ELb0ELb0ELb0ELb0EEEvPT0_PvPT_S6_S6_PKS5_S8_S8_S8_S8_ffiiiiiiiiiiiii
    .private_segment_fixed_size: 0
    .sgpr_count:     40
    .sgpr_spill_count: 0
    .symbol:         _ZN5aiter35fused_qk_rmsnorm_group_quant_kernelItDB8_Li512ELi16ELi8ELb0ELb1ELb0ELb0ELb0ELb0EEEvPT0_PvPT_S6_S6_PKS5_S8_S8_S8_S8_ffiiiiiiiiiiiii.kd
    .uniform_work_group_size: 1
    .uses_dynamic_stack: false
    .vgpr_count:     38
    .vgpr_spill_count: 0
    .wavefront_size: 64
  - .agpr_count:     0
    .args:
      - .actual_access:  write_only
        .address_space:  global
        .offset:         0
        .size:           8
        .value_kind:     global_buffer
      - .actual_access:  write_only
        .address_space:  global
        .offset:         8
        .size:           8
        .value_kind:     global_buffer
      - .actual_access:  write_only
        .address_space:  global
        .offset:         16
        .size:           8
        .value_kind:     global_buffer
      - .actual_access:  write_only
        .address_space:  global
        .offset:         24
        .size:           8
        .value_kind:     global_buffer
      - .actual_access:  read_only
        .address_space:  global
        .offset:         32
        .size:           8
        .value_kind:     global_buffer
      - .actual_access:  read_only
        .address_space:  global
        .offset:         40
        .size:           8
        .value_kind:     global_buffer
      - .actual_access:  read_only
        .address_space:  global
        .offset:         48
        .size:           8
        .value_kind:     global_buffer
      - .actual_access:  read_only
        .address_space:  global
        .offset:         56
        .size:           8
        .value_kind:     global_buffer
      - .actual_access:  read_only
        .address_space:  global
        .offset:         64
        .size:           8
        .value_kind:     global_buffer
      - .actual_access:  read_only
        .address_space:  global
        .offset:         72
        .size:           8
        .value_kind:     global_buffer
      - .offset:         80
        .size:           4
        .value_kind:     by_value
      - .offset:         84
        .size:           4
        .value_kind:     by_value
      - .offset:         88
        .size:           4
        .value_kind:     by_value
      - .offset:         92
        .size:           4
        .value_kind:     by_value
      - .offset:         96
        .size:           4
        .value_kind:     by_value
      - .offset:         100
        .size:           4
        .value_kind:     by_value
      - .offset:         104
        .size:           4
        .value_kind:     by_value
      - .offset:         108
        .size:           4
        .value_kind:     by_value
      - .offset:         112
        .size:           4
        .value_kind:     by_value
      - .offset:         116
        .size:           4
        .value_kind:     by_value
      - .offset:         120
        .size:           4
        .value_kind:     by_value
      - .offset:         124
        .size:           4
        .value_kind:     by_value
      - .offset:         128
        .size:           4
        .value_kind:     by_value
      - .offset:         132
        .size:           4
        .value_kind:     by_value
      - .offset:         136
        .size:           4
        .value_kind:     by_value
      - .offset:         144
        .size:           4
        .value_kind:     hidden_block_count_x
      - .offset:         148
        .size:           4
        .value_kind:     hidden_block_count_y
      - .offset:         152
        .size:           4
        .value_kind:     hidden_block_count_z
      - .offset:         156
        .size:           2
        .value_kind:     hidden_group_size_x
      - .offset:         158
        .size:           2
        .value_kind:     hidden_group_size_y
      - .offset:         160
        .size:           2
        .value_kind:     hidden_group_size_z
      - .offset:         162
        .size:           2
        .value_kind:     hidden_remainder_x
      - .offset:         164
        .size:           2
        .value_kind:     hidden_remainder_y
      - .offset:         166
        .size:           2
        .value_kind:     hidden_remainder_z
      - .offset:         184
        .size:           8
        .value_kind:     hidden_global_offset_x
      - .offset:         192
        .size:           8
        .value_kind:     hidden_global_offset_y
      - .offset:         200
        .size:           8
        .value_kind:     hidden_global_offset_z
      - .offset:         208
        .size:           2
        .value_kind:     hidden_grid_dims
    .group_segment_fixed_size: 64
    .kernarg_segment_align: 8
    .kernarg_segment_size: 400
    .language:       OpenCL C
    .language_version:
      - 2
      - 0
    .max_flat_workgroup_size: 1024
    .name:           _ZN5aiter35fused_qk_rmsnorm_group_quant_kernelIDF16_N4opus5fp4_tELi512ELi16ELi8ELb0ELb1ELb0ELb0ELb0ELb0EEEvPT0_PvPT_S7_S7_PKS6_S9_S9_S9_S9_ffiiiiiiiiiiiii
    .private_segment_fixed_size: 0
    .sgpr_count:     40
    .sgpr_spill_count: 0
    .symbol:         _ZN5aiter35fused_qk_rmsnorm_group_quant_kernelIDF16_N4opus5fp4_tELi512ELi16ELi8ELb0ELb1ELb0ELb0ELb0ELb0EEEvPT0_PvPT_S7_S7_PKS6_S9_S9_S9_S9_ffiiiiiiiiiiiii.kd
    .uniform_work_group_size: 1
    .uses_dynamic_stack: false
    .vgpr_count:     36
    .vgpr_spill_count: 0
    .wavefront_size: 64
  - .agpr_count:     0
    .args:
      - .actual_access:  write_only
        .address_space:  global
        .offset:         0
        .size:           8
        .value_kind:     global_buffer
      - .actual_access:  write_only
        .address_space:  global
        .offset:         8
        .size:           8
        .value_kind:     global_buffer
      - .actual_access:  write_only
        .address_space:  global
        .offset:         16
        .size:           8
        .value_kind:     global_buffer
      - .actual_access:  write_only
        .address_space:  global
        .offset:         24
        .size:           8
        .value_kind:     global_buffer
      - .actual_access:  read_only
        .address_space:  global
        .offset:         32
        .size:           8
        .value_kind:     global_buffer
      - .actual_access:  read_only
        .address_space:  global
        .offset:         40
        .size:           8
        .value_kind:     global_buffer
      - .actual_access:  read_only
        .address_space:  global
        .offset:         48
        .size:           8
        .value_kind:     global_buffer
      - .actual_access:  read_only
        .address_space:  global
        .offset:         56
        .size:           8
        .value_kind:     global_buffer
      - .actual_access:  read_only
        .address_space:  global
        .offset:         64
        .size:           8
        .value_kind:     global_buffer
      - .actual_access:  read_only
        .address_space:  global
        .offset:         72
        .size:           8
        .value_kind:     global_buffer
      - .offset:         80
        .size:           4
        .value_kind:     by_value
      - .offset:         84
        .size:           4
        .value_kind:     by_value
      - .offset:         88
        .size:           4
        .value_kind:     by_value
      - .offset:         92
        .size:           4
        .value_kind:     by_value
      - .offset:         96
        .size:           4
        .value_kind:     by_value
      - .offset:         100
        .size:           4
        .value_kind:     by_value
      - .offset:         104
        .size:           4
        .value_kind:     by_value
      - .offset:         108
        .size:           4
        .value_kind:     by_value
      - .offset:         112
        .size:           4
        .value_kind:     by_value
      - .offset:         116
        .size:           4
        .value_kind:     by_value
      - .offset:         120
        .size:           4
        .value_kind:     by_value
      - .offset:         124
        .size:           4
        .value_kind:     by_value
      - .offset:         128
        .size:           4
        .value_kind:     by_value
      - .offset:         132
        .size:           4
        .value_kind:     by_value
      - .offset:         136
        .size:           4
        .value_kind:     by_value
      - .offset:         144
        .size:           4
        .value_kind:     hidden_block_count_x
      - .offset:         148
        .size:           4
        .value_kind:     hidden_block_count_y
      - .offset:         152
        .size:           4
        .value_kind:     hidden_block_count_z
      - .offset:         156
        .size:           2
        .value_kind:     hidden_group_size_x
      - .offset:         158
        .size:           2
        .value_kind:     hidden_group_size_y
      - .offset:         160
        .size:           2
        .value_kind:     hidden_group_size_z
      - .offset:         162
        .size:           2
        .value_kind:     hidden_remainder_x
      - .offset:         164
        .size:           2
        .value_kind:     hidden_remainder_y
      - .offset:         166
        .size:           2
        .value_kind:     hidden_remainder_z
      - .offset:         184
        .size:           8
        .value_kind:     hidden_global_offset_x
      - .offset:         192
        .size:           8
        .value_kind:     hidden_global_offset_y
      - .offset:         200
        .size:           8
        .value_kind:     hidden_global_offset_z
      - .offset:         208
        .size:           2
        .value_kind:     hidden_grid_dims
    .group_segment_fixed_size: 64
    .kernarg_segment_align: 8
    .kernarg_segment_size: 400
    .language:       OpenCL C
    .language_version:
      - 2
      - 0
    .max_flat_workgroup_size: 1024
    .name:           _ZN5aiter35fused_qk_rmsnorm_group_quant_kernelItN4opus5fp4_tELi512ELi16ELi8ELb0ELb1ELb0ELb0ELb0ELb0EEEvPT0_PvPT_S7_S7_PKS6_S9_S9_S9_S9_ffiiiiiiiiiiiii
    .private_segment_fixed_size: 0
    .sgpr_count:     40
    .sgpr_spill_count: 0
    .symbol:         _ZN5aiter35fused_qk_rmsnorm_group_quant_kernelItN4opus5fp4_tELi512ELi16ELi8ELb0ELb1ELb0ELb0ELb0ELb0EEEvPT0_PvPT_S7_S7_PKS6_S9_S9_S9_S9_ffiiiiiiiiiiiii.kd
    .uniform_work_group_size: 1
    .uses_dynamic_stack: false
    .vgpr_count:     36
    .vgpr_spill_count: 0
    .wavefront_size: 64
  - .agpr_count:     0
    .args:
      - .actual_access:  write_only
        .address_space:  global
        .offset:         0
        .size:           8
        .value_kind:     global_buffer
      - .actual_access:  write_only
        .address_space:  global
        .offset:         8
        .size:           8
        .value_kind:     global_buffer
      - .actual_access:  read_only
        .address_space:  global
        .offset:         16
        .size:           8
        .value_kind:     global_buffer
      - .actual_access:  write_only
        .address_space:  global
        .offset:         24
        .size:           8
        .value_kind:     global_buffer
      - .actual_access:  read_only
        .address_space:  global
        .offset:         32
        .size:           8
        .value_kind:     global_buffer
      - .actual_access:  read_only
        .address_space:  global
        .offset:         40
        .size:           8
        .value_kind:     global_buffer
      - .actual_access:  read_only
        .address_space:  global
        .offset:         48
        .size:           8
        .value_kind:     global_buffer
      - .actual_access:  read_only
        .address_space:  global
        .offset:         56
        .size:           8
        .value_kind:     global_buffer
      - .actual_access:  read_only
        .address_space:  global
        .offset:         64
        .size:           8
        .value_kind:     global_buffer
      - .actual_access:  read_only
        .address_space:  global
        .offset:         72
        .size:           8
        .value_kind:     global_buffer
      - .offset:         80
        .size:           4
        .value_kind:     by_value
      - .offset:         84
        .size:           4
        .value_kind:     by_value
      - .offset:         88
        .size:           4
        .value_kind:     by_value
      - .offset:         92
        .size:           4
        .value_kind:     by_value
      - .offset:         96
        .size:           4
        .value_kind:     by_value
      - .offset:         100
        .size:           4
        .value_kind:     by_value
      - .offset:         104
        .size:           4
        .value_kind:     by_value
      - .offset:         108
        .size:           4
        .value_kind:     by_value
      - .offset:         112
        .size:           4
        .value_kind:     by_value
      - .offset:         116
        .size:           4
        .value_kind:     by_value
      - .offset:         120
        .size:           4
        .value_kind:     by_value
      - .offset:         124
        .size:           4
        .value_kind:     by_value
      - .offset:         128
        .size:           4
        .value_kind:     by_value
      - .offset:         132
        .size:           4
        .value_kind:     by_value
      - .offset:         136
        .size:           4
        .value_kind:     by_value
      - .offset:         144
        .size:           4
        .value_kind:     hidden_block_count_x
      - .offset:         148
        .size:           4
        .value_kind:     hidden_block_count_y
      - .offset:         152
        .size:           4
        .value_kind:     hidden_block_count_z
      - .offset:         156
        .size:           2
        .value_kind:     hidden_group_size_x
      - .offset:         158
        .size:           2
        .value_kind:     hidden_group_size_y
      - .offset:         160
        .size:           2
        .value_kind:     hidden_group_size_z
      - .offset:         162
        .size:           2
        .value_kind:     hidden_remainder_x
      - .offset:         164
        .size:           2
        .value_kind:     hidden_remainder_y
      - .offset:         166
        .size:           2
        .value_kind:     hidden_remainder_z
      - .offset:         184
        .size:           8
        .value_kind:     hidden_global_offset_x
      - .offset:         192
        .size:           8
        .value_kind:     hidden_global_offset_y
      - .offset:         200
        .size:           8
        .value_kind:     hidden_global_offset_z
      - .offset:         208
        .size:           2
        .value_kind:     hidden_grid_dims
    .group_segment_fixed_size: 64
    .kernarg_segment_align: 8
    .kernarg_segment_size: 400
    .language:       OpenCL C
    .language_version:
      - 2
      - 0
    .max_flat_workgroup_size: 1024
    .name:           _ZN5aiter35fused_qk_rmsnorm_group_quant_kernelIDF16_DB8_Li512ELi16ELi8ELb0ELb0ELb1ELb0ELb0ELb0EEEvPT0_PvPT_S6_S6_PKS5_S8_S8_S8_S8_ffiiiiiiiiiiiii
    .private_segment_fixed_size: 0
    .sgpr_count:     36
    .sgpr_spill_count: 0
    .symbol:         _ZN5aiter35fused_qk_rmsnorm_group_quant_kernelIDF16_DB8_Li512ELi16ELi8ELb0ELb0ELb1ELb0ELb0ELb0EEEvPT0_PvPT_S6_S6_PKS5_S8_S8_S8_S8_ffiiiiiiiiiiiii.kd
    .uniform_work_group_size: 1
    .uses_dynamic_stack: false
    .vgpr_count:     36
    .vgpr_spill_count: 0
    .wavefront_size: 64
  - .agpr_count:     0
    .args:
      - .actual_access:  write_only
        .address_space:  global
        .offset:         0
        .size:           8
        .value_kind:     global_buffer
      - .actual_access:  write_only
        .address_space:  global
        .offset:         8
        .size:           8
        .value_kind:     global_buffer
      - .actual_access:  read_only
        .address_space:  global
        .offset:         16
        .size:           8
        .value_kind:     global_buffer
      - .actual_access:  write_only
        .address_space:  global
        .offset:         24
        .size:           8
        .value_kind:     global_buffer
      - .actual_access:  read_only
        .address_space:  global
        .offset:         32
        .size:           8
        .value_kind:     global_buffer
      - .actual_access:  read_only
        .address_space:  global
        .offset:         40
        .size:           8
        .value_kind:     global_buffer
      - .actual_access:  read_only
        .address_space:  global
        .offset:         48
        .size:           8
        .value_kind:     global_buffer
      - .actual_access:  read_only
        .address_space:  global
        .offset:         56
        .size:           8
        .value_kind:     global_buffer
      - .actual_access:  read_only
        .address_space:  global
        .offset:         64
        .size:           8
        .value_kind:     global_buffer
      - .actual_access:  read_only
        .address_space:  global
        .offset:         72
        .size:           8
        .value_kind:     global_buffer
      - .offset:         80
        .size:           4
        .value_kind:     by_value
      - .offset:         84
        .size:           4
        .value_kind:     by_value
      - .offset:         88
        .size:           4
        .value_kind:     by_value
      - .offset:         92
        .size:           4
        .value_kind:     by_value
      - .offset:         96
        .size:           4
        .value_kind:     by_value
      - .offset:         100
        .size:           4
        .value_kind:     by_value
      - .offset:         104
        .size:           4
        .value_kind:     by_value
      - .offset:         108
        .size:           4
        .value_kind:     by_value
      - .offset:         112
        .size:           4
        .value_kind:     by_value
      - .offset:         116
        .size:           4
        .value_kind:     by_value
      - .offset:         120
        .size:           4
        .value_kind:     by_value
      - .offset:         124
        .size:           4
        .value_kind:     by_value
      - .offset:         128
        .size:           4
        .value_kind:     by_value
      - .offset:         132
        .size:           4
        .value_kind:     by_value
      - .offset:         136
        .size:           4
        .value_kind:     by_value
      - .offset:         144
        .size:           4
        .value_kind:     hidden_block_count_x
      - .offset:         148
        .size:           4
        .value_kind:     hidden_block_count_y
      - .offset:         152
        .size:           4
        .value_kind:     hidden_block_count_z
      - .offset:         156
        .size:           2
        .value_kind:     hidden_group_size_x
      - .offset:         158
        .size:           2
        .value_kind:     hidden_group_size_y
      - .offset:         160
        .size:           2
        .value_kind:     hidden_group_size_z
      - .offset:         162
        .size:           2
        .value_kind:     hidden_remainder_x
      - .offset:         164
        .size:           2
        .value_kind:     hidden_remainder_y
      - .offset:         166
        .size:           2
        .value_kind:     hidden_remainder_z
      - .offset:         184
        .size:           8
        .value_kind:     hidden_global_offset_x
      - .offset:         192
        .size:           8
        .value_kind:     hidden_global_offset_y
      - .offset:         200
        .size:           8
        .value_kind:     hidden_global_offset_z
      - .offset:         208
        .size:           2
        .value_kind:     hidden_grid_dims
    .group_segment_fixed_size: 64
    .kernarg_segment_align: 8
    .kernarg_segment_size: 400
    .language:       OpenCL C
    .language_version:
      - 2
      - 0
    .max_flat_workgroup_size: 1024
    .name:           _ZN5aiter35fused_qk_rmsnorm_group_quant_kernelItDB8_Li512ELi16ELi8ELb0ELb0ELb1ELb0ELb0ELb0EEEvPT0_PvPT_S6_S6_PKS5_S8_S8_S8_S8_ffiiiiiiiiiiiii
    .private_segment_fixed_size: 0
    .sgpr_count:     36
    .sgpr_spill_count: 0
    .symbol:         _ZN5aiter35fused_qk_rmsnorm_group_quant_kernelItDB8_Li512ELi16ELi8ELb0ELb0ELb1ELb0ELb0ELb0EEEvPT0_PvPT_S6_S6_PKS5_S8_S8_S8_S8_ffiiiiiiiiiiiii.kd
    .uniform_work_group_size: 1
    .uses_dynamic_stack: false
    .vgpr_count:     36
    .vgpr_spill_count: 0
    .wavefront_size: 64
  - .agpr_count:     0
    .args:
      - .actual_access:  write_only
        .address_space:  global
        .offset:         0
        .size:           8
        .value_kind:     global_buffer
      - .actual_access:  write_only
        .address_space:  global
        .offset:         8
        .size:           8
        .value_kind:     global_buffer
      - .actual_access:  read_only
        .address_space:  global
        .offset:         16
        .size:           8
        .value_kind:     global_buffer
      - .actual_access:  write_only
        .address_space:  global
        .offset:         24
        .size:           8
        .value_kind:     global_buffer
      - .actual_access:  read_only
        .address_space:  global
        .offset:         32
        .size:           8
        .value_kind:     global_buffer
      - .actual_access:  read_only
        .address_space:  global
        .offset:         40
        .size:           8
        .value_kind:     global_buffer
      - .actual_access:  read_only
        .address_space:  global
        .offset:         48
        .size:           8
        .value_kind:     global_buffer
      - .actual_access:  read_only
        .address_space:  global
        .offset:         56
        .size:           8
        .value_kind:     global_buffer
      - .actual_access:  read_only
        .address_space:  global
        .offset:         64
        .size:           8
        .value_kind:     global_buffer
      - .actual_access:  read_only
        .address_space:  global
        .offset:         72
        .size:           8
        .value_kind:     global_buffer
      - .offset:         80
        .size:           4
        .value_kind:     by_value
      - .offset:         84
        .size:           4
        .value_kind:     by_value
      - .offset:         88
        .size:           4
        .value_kind:     by_value
      - .offset:         92
        .size:           4
        .value_kind:     by_value
      - .offset:         96
        .size:           4
        .value_kind:     by_value
      - .offset:         100
        .size:           4
        .value_kind:     by_value
      - .offset:         104
        .size:           4
        .value_kind:     by_value
      - .offset:         108
        .size:           4
        .value_kind:     by_value
      - .offset:         112
        .size:           4
        .value_kind:     by_value
      - .offset:         116
        .size:           4
        .value_kind:     by_value
      - .offset:         120
        .size:           4
        .value_kind:     by_value
      - .offset:         124
        .size:           4
        .value_kind:     by_value
      - .offset:         128
        .size:           4
        .value_kind:     by_value
      - .offset:         132
        .size:           4
        .value_kind:     by_value
      - .offset:         136
        .size:           4
        .value_kind:     by_value
      - .offset:         144
        .size:           4
        .value_kind:     hidden_block_count_x
      - .offset:         148
        .size:           4
        .value_kind:     hidden_block_count_y
      - .offset:         152
        .size:           4
        .value_kind:     hidden_block_count_z
      - .offset:         156
        .size:           2
        .value_kind:     hidden_group_size_x
      - .offset:         158
        .size:           2
        .value_kind:     hidden_group_size_y
      - .offset:         160
        .size:           2
        .value_kind:     hidden_group_size_z
      - .offset:         162
        .size:           2
        .value_kind:     hidden_remainder_x
      - .offset:         164
        .size:           2
        .value_kind:     hidden_remainder_y
      - .offset:         166
        .size:           2
        .value_kind:     hidden_remainder_z
      - .offset:         184
        .size:           8
        .value_kind:     hidden_global_offset_x
      - .offset:         192
        .size:           8
        .value_kind:     hidden_global_offset_y
      - .offset:         200
        .size:           8
        .value_kind:     hidden_global_offset_z
      - .offset:         208
        .size:           2
        .value_kind:     hidden_grid_dims
    .group_segment_fixed_size: 64
    .kernarg_segment_align: 8
    .kernarg_segment_size: 400
    .language:       OpenCL C
    .language_version:
      - 2
      - 0
    .max_flat_workgroup_size: 1024
    .name:           _ZN5aiter35fused_qk_rmsnorm_group_quant_kernelIDF16_N4opus5fp4_tELi512ELi16ELi8ELb0ELb0ELb1ELb0ELb0ELb0EEEvPT0_PvPT_S7_S7_PKS6_S9_S9_S9_S9_ffiiiiiiiiiiiii
    .private_segment_fixed_size: 0
    .sgpr_count:     36
    .sgpr_spill_count: 0
    .symbol:         _ZN5aiter35fused_qk_rmsnorm_group_quant_kernelIDF16_N4opus5fp4_tELi512ELi16ELi8ELb0ELb0ELb1ELb0ELb0ELb0EEEvPT0_PvPT_S7_S7_PKS6_S9_S9_S9_S9_ffiiiiiiiiiiiii.kd
    .uniform_work_group_size: 1
    .uses_dynamic_stack: false
    .vgpr_count:     36
    .vgpr_spill_count: 0
    .wavefront_size: 64
  - .agpr_count:     0
    .args:
      - .actual_access:  write_only
        .address_space:  global
        .offset:         0
        .size:           8
        .value_kind:     global_buffer
      - .actual_access:  write_only
        .address_space:  global
        .offset:         8
        .size:           8
        .value_kind:     global_buffer
      - .actual_access:  read_only
        .address_space:  global
        .offset:         16
        .size:           8
        .value_kind:     global_buffer
      - .actual_access:  write_only
        .address_space:  global
        .offset:         24
        .size:           8
        .value_kind:     global_buffer
      - .actual_access:  read_only
        .address_space:  global
        .offset:         32
        .size:           8
        .value_kind:     global_buffer
      - .actual_access:  read_only
        .address_space:  global
        .offset:         40
        .size:           8
        .value_kind:     global_buffer
      - .actual_access:  read_only
        .address_space:  global
        .offset:         48
        .size:           8
        .value_kind:     global_buffer
      - .actual_access:  read_only
        .address_space:  global
        .offset:         56
        .size:           8
        .value_kind:     global_buffer
      - .actual_access:  read_only
        .address_space:  global
        .offset:         64
        .size:           8
        .value_kind:     global_buffer
      - .actual_access:  read_only
        .address_space:  global
        .offset:         72
        .size:           8
        .value_kind:     global_buffer
      - .offset:         80
        .size:           4
        .value_kind:     by_value
      - .offset:         84
        .size:           4
        .value_kind:     by_value
      - .offset:         88
        .size:           4
        .value_kind:     by_value
      - .offset:         92
        .size:           4
        .value_kind:     by_value
      - .offset:         96
        .size:           4
        .value_kind:     by_value
      - .offset:         100
        .size:           4
        .value_kind:     by_value
      - .offset:         104
        .size:           4
        .value_kind:     by_value
      - .offset:         108
        .size:           4
        .value_kind:     by_value
      - .offset:         112
        .size:           4
        .value_kind:     by_value
      - .offset:         116
        .size:           4
        .value_kind:     by_value
      - .offset:         120
        .size:           4
        .value_kind:     by_value
      - .offset:         124
        .size:           4
        .value_kind:     by_value
      - .offset:         128
        .size:           4
        .value_kind:     by_value
      - .offset:         132
        .size:           4
        .value_kind:     by_value
      - .offset:         136
        .size:           4
        .value_kind:     by_value
      - .offset:         144
        .size:           4
        .value_kind:     hidden_block_count_x
      - .offset:         148
        .size:           4
        .value_kind:     hidden_block_count_y
      - .offset:         152
        .size:           4
        .value_kind:     hidden_block_count_z
      - .offset:         156
        .size:           2
        .value_kind:     hidden_group_size_x
      - .offset:         158
        .size:           2
        .value_kind:     hidden_group_size_y
      - .offset:         160
        .size:           2
        .value_kind:     hidden_group_size_z
      - .offset:         162
        .size:           2
        .value_kind:     hidden_remainder_x
      - .offset:         164
        .size:           2
        .value_kind:     hidden_remainder_y
      - .offset:         166
        .size:           2
        .value_kind:     hidden_remainder_z
      - .offset:         184
        .size:           8
        .value_kind:     hidden_global_offset_x
      - .offset:         192
        .size:           8
        .value_kind:     hidden_global_offset_y
      - .offset:         200
        .size:           8
        .value_kind:     hidden_global_offset_z
      - .offset:         208
        .size:           2
        .value_kind:     hidden_grid_dims
    .group_segment_fixed_size: 64
    .kernarg_segment_align: 8
    .kernarg_segment_size: 400
    .language:       OpenCL C
    .language_version:
      - 2
      - 0
    .max_flat_workgroup_size: 1024
    .name:           _ZN5aiter35fused_qk_rmsnorm_group_quant_kernelItN4opus5fp4_tELi512ELi16ELi8ELb0ELb0ELb1ELb0ELb0ELb0EEEvPT0_PvPT_S7_S7_PKS6_S9_S9_S9_S9_ffiiiiiiiiiiiii
    .private_segment_fixed_size: 0
    .sgpr_count:     36
    .sgpr_spill_count: 0
    .symbol:         _ZN5aiter35fused_qk_rmsnorm_group_quant_kernelItN4opus5fp4_tELi512ELi16ELi8ELb0ELb0ELb1ELb0ELb0ELb0EEEvPT0_PvPT_S7_S7_PKS6_S9_S9_S9_S9_ffiiiiiiiiiiiii.kd
    .uniform_work_group_size: 1
    .uses_dynamic_stack: false
    .vgpr_count:     36
    .vgpr_spill_count: 0
    .wavefront_size: 64
  - .agpr_count:     0
    .args:
      - .actual_access:  write_only
        .address_space:  global
        .offset:         0
        .size:           8
        .value_kind:     global_buffer
      - .actual_access:  write_only
        .address_space:  global
        .offset:         8
        .size:           8
        .value_kind:     global_buffer
      - .actual_access:  read_only
        .address_space:  global
        .offset:         16
        .size:           8
        .value_kind:     global_buffer
      - .actual_access:  write_only
        .address_space:  global
        .offset:         24
        .size:           8
        .value_kind:     global_buffer
      - .actual_access:  read_only
        .address_space:  global
        .offset:         32
        .size:           8
        .value_kind:     global_buffer
      - .actual_access:  read_only
        .address_space:  global
        .offset:         40
        .size:           8
        .value_kind:     global_buffer
      - .actual_access:  read_only
        .address_space:  global
        .offset:         48
        .size:           8
        .value_kind:     global_buffer
      - .actual_access:  read_only
        .address_space:  global
        .offset:         56
        .size:           8
        .value_kind:     global_buffer
      - .actual_access:  read_only
        .address_space:  global
        .offset:         64
        .size:           8
        .value_kind:     global_buffer
      - .actual_access:  read_only
        .address_space:  global
        .offset:         72
        .size:           8
        .value_kind:     global_buffer
      - .offset:         80
        .size:           4
        .value_kind:     by_value
      - .offset:         84
        .size:           4
        .value_kind:     by_value
      - .offset:         88
        .size:           4
        .value_kind:     by_value
      - .offset:         92
        .size:           4
        .value_kind:     by_value
      - .offset:         96
        .size:           4
        .value_kind:     by_value
      - .offset:         100
        .size:           4
        .value_kind:     by_value
      - .offset:         104
        .size:           4
        .value_kind:     by_value
      - .offset:         108
        .size:           4
        .value_kind:     by_value
      - .offset:         112
        .size:           4
        .value_kind:     by_value
      - .offset:         116
        .size:           4
        .value_kind:     by_value
      - .offset:         120
        .size:           4
        .value_kind:     by_value
      - .offset:         124
        .size:           4
        .value_kind:     by_value
      - .offset:         128
        .size:           4
        .value_kind:     by_value
      - .offset:         132
        .size:           4
        .value_kind:     by_value
      - .offset:         136
        .size:           4
        .value_kind:     by_value
      - .offset:         144
        .size:           4
        .value_kind:     hidden_block_count_x
      - .offset:         148
        .size:           4
        .value_kind:     hidden_block_count_y
      - .offset:         152
        .size:           4
        .value_kind:     hidden_block_count_z
      - .offset:         156
        .size:           2
        .value_kind:     hidden_group_size_x
      - .offset:         158
        .size:           2
        .value_kind:     hidden_group_size_y
      - .offset:         160
        .size:           2
        .value_kind:     hidden_group_size_z
      - .offset:         162
        .size:           2
        .value_kind:     hidden_remainder_x
      - .offset:         164
        .size:           2
        .value_kind:     hidden_remainder_y
      - .offset:         166
        .size:           2
        .value_kind:     hidden_remainder_z
      - .offset:         184
        .size:           8
        .value_kind:     hidden_global_offset_x
      - .offset:         192
        .size:           8
        .value_kind:     hidden_global_offset_y
      - .offset:         200
        .size:           8
        .value_kind:     hidden_global_offset_z
      - .offset:         208
        .size:           2
        .value_kind:     hidden_grid_dims
    .group_segment_fixed_size: 64
    .kernarg_segment_align: 8
    .kernarg_segment_size: 400
    .language:       OpenCL C
    .language_version:
      - 2
      - 0
    .max_flat_workgroup_size: 1024
    .name:           _ZN5aiter35fused_qk_rmsnorm_group_quant_kernelIDF16_DB8_Li512ELi16ELi8ELb0ELb0ELb0ELb0ELb0ELb0EEEvPT0_PvPT_S6_S6_PKS5_S8_S8_S8_S8_ffiiiiiiiiiiiii
    .private_segment_fixed_size: 0
    .sgpr_count:     36
    .sgpr_spill_count: 0
    .symbol:         _ZN5aiter35fused_qk_rmsnorm_group_quant_kernelIDF16_DB8_Li512ELi16ELi8ELb0ELb0ELb0ELb0ELb0ELb0EEEvPT0_PvPT_S6_S6_PKS5_S8_S8_S8_S8_ffiiiiiiiiiiiii.kd
    .uniform_work_group_size: 1
    .uses_dynamic_stack: false
    .vgpr_count:     38
    .vgpr_spill_count: 0
    .wavefront_size: 64
  - .agpr_count:     0
    .args:
      - .actual_access:  write_only
        .address_space:  global
        .offset:         0
        .size:           8
        .value_kind:     global_buffer
      - .actual_access:  write_only
        .address_space:  global
        .offset:         8
        .size:           8
        .value_kind:     global_buffer
      - .actual_access:  read_only
        .address_space:  global
        .offset:         16
        .size:           8
        .value_kind:     global_buffer
      - .actual_access:  write_only
        .address_space:  global
        .offset:         24
        .size:           8
        .value_kind:     global_buffer
      - .actual_access:  read_only
        .address_space:  global
        .offset:         32
        .size:           8
        .value_kind:     global_buffer
      - .actual_access:  read_only
        .address_space:  global
        .offset:         40
        .size:           8
        .value_kind:     global_buffer
      - .actual_access:  read_only
        .address_space:  global
        .offset:         48
        .size:           8
        .value_kind:     global_buffer
      - .actual_access:  read_only
        .address_space:  global
        .offset:         56
        .size:           8
        .value_kind:     global_buffer
      - .actual_access:  read_only
        .address_space:  global
        .offset:         64
        .size:           8
        .value_kind:     global_buffer
      - .actual_access:  read_only
        .address_space:  global
        .offset:         72
        .size:           8
        .value_kind:     global_buffer
      - .offset:         80
        .size:           4
        .value_kind:     by_value
      - .offset:         84
        .size:           4
        .value_kind:     by_value
      - .offset:         88
        .size:           4
        .value_kind:     by_value
      - .offset:         92
        .size:           4
        .value_kind:     by_value
      - .offset:         96
        .size:           4
        .value_kind:     by_value
      - .offset:         100
        .size:           4
        .value_kind:     by_value
      - .offset:         104
        .size:           4
        .value_kind:     by_value
      - .offset:         108
        .size:           4
        .value_kind:     by_value
      - .offset:         112
        .size:           4
        .value_kind:     by_value
      - .offset:         116
        .size:           4
        .value_kind:     by_value
      - .offset:         120
        .size:           4
        .value_kind:     by_value
      - .offset:         124
        .size:           4
        .value_kind:     by_value
      - .offset:         128
        .size:           4
        .value_kind:     by_value
      - .offset:         132
        .size:           4
        .value_kind:     by_value
      - .offset:         136
        .size:           4
        .value_kind:     by_value
      - .offset:         144
        .size:           4
        .value_kind:     hidden_block_count_x
      - .offset:         148
        .size:           4
        .value_kind:     hidden_block_count_y
      - .offset:         152
        .size:           4
        .value_kind:     hidden_block_count_z
      - .offset:         156
        .size:           2
        .value_kind:     hidden_group_size_x
      - .offset:         158
        .size:           2
        .value_kind:     hidden_group_size_y
      - .offset:         160
        .size:           2
        .value_kind:     hidden_group_size_z
      - .offset:         162
        .size:           2
        .value_kind:     hidden_remainder_x
      - .offset:         164
        .size:           2
        .value_kind:     hidden_remainder_y
      - .offset:         166
        .size:           2
        .value_kind:     hidden_remainder_z
      - .offset:         184
        .size:           8
        .value_kind:     hidden_global_offset_x
      - .offset:         192
        .size:           8
        .value_kind:     hidden_global_offset_y
      - .offset:         200
        .size:           8
        .value_kind:     hidden_global_offset_z
      - .offset:         208
        .size:           2
        .value_kind:     hidden_grid_dims
    .group_segment_fixed_size: 64
    .kernarg_segment_align: 8
    .kernarg_segment_size: 400
    .language:       OpenCL C
    .language_version:
      - 2
      - 0
    .max_flat_workgroup_size: 1024
    .name:           _ZN5aiter35fused_qk_rmsnorm_group_quant_kernelItDB8_Li512ELi16ELi8ELb0ELb0ELb0ELb0ELb0ELb0EEEvPT0_PvPT_S6_S6_PKS5_S8_S8_S8_S8_ffiiiiiiiiiiiii
    .private_segment_fixed_size: 0
    .sgpr_count:     36
    .sgpr_spill_count: 0
    .symbol:         _ZN5aiter35fused_qk_rmsnorm_group_quant_kernelItDB8_Li512ELi16ELi8ELb0ELb0ELb0ELb0ELb0ELb0EEEvPT0_PvPT_S6_S6_PKS5_S8_S8_S8_S8_ffiiiiiiiiiiiii.kd
    .uniform_work_group_size: 1
    .uses_dynamic_stack: false
    .vgpr_count:     38
    .vgpr_spill_count: 0
    .wavefront_size: 64
  - .agpr_count:     0
    .args:
      - .actual_access:  write_only
        .address_space:  global
        .offset:         0
        .size:           8
        .value_kind:     global_buffer
      - .actual_access:  write_only
        .address_space:  global
        .offset:         8
        .size:           8
        .value_kind:     global_buffer
      - .actual_access:  read_only
        .address_space:  global
        .offset:         16
        .size:           8
        .value_kind:     global_buffer
      - .actual_access:  write_only
        .address_space:  global
        .offset:         24
        .size:           8
        .value_kind:     global_buffer
      - .actual_access:  read_only
        .address_space:  global
        .offset:         32
        .size:           8
        .value_kind:     global_buffer
      - .actual_access:  read_only
        .address_space:  global
        .offset:         40
        .size:           8
        .value_kind:     global_buffer
      - .actual_access:  read_only
        .address_space:  global
        .offset:         48
        .size:           8
        .value_kind:     global_buffer
      - .actual_access:  read_only
        .address_space:  global
        .offset:         56
        .size:           8
        .value_kind:     global_buffer
      - .actual_access:  read_only
        .address_space:  global
        .offset:         64
        .size:           8
        .value_kind:     global_buffer
      - .actual_access:  read_only
        .address_space:  global
        .offset:         72
        .size:           8
        .value_kind:     global_buffer
      - .offset:         80
        .size:           4
        .value_kind:     by_value
      - .offset:         84
        .size:           4
        .value_kind:     by_value
      - .offset:         88
        .size:           4
        .value_kind:     by_value
      - .offset:         92
        .size:           4
        .value_kind:     by_value
      - .offset:         96
        .size:           4
        .value_kind:     by_value
      - .offset:         100
        .size:           4
        .value_kind:     by_value
      - .offset:         104
        .size:           4
        .value_kind:     by_value
      - .offset:         108
        .size:           4
        .value_kind:     by_value
      - .offset:         112
        .size:           4
        .value_kind:     by_value
      - .offset:         116
        .size:           4
        .value_kind:     by_value
      - .offset:         120
        .size:           4
        .value_kind:     by_value
      - .offset:         124
        .size:           4
        .value_kind:     by_value
      - .offset:         128
        .size:           4
        .value_kind:     by_value
      - .offset:         132
        .size:           4
        .value_kind:     by_value
      - .offset:         136
        .size:           4
        .value_kind:     by_value
      - .offset:         144
        .size:           4
        .value_kind:     hidden_block_count_x
      - .offset:         148
        .size:           4
        .value_kind:     hidden_block_count_y
      - .offset:         152
        .size:           4
        .value_kind:     hidden_block_count_z
      - .offset:         156
        .size:           2
        .value_kind:     hidden_group_size_x
      - .offset:         158
        .size:           2
        .value_kind:     hidden_group_size_y
      - .offset:         160
        .size:           2
        .value_kind:     hidden_group_size_z
      - .offset:         162
        .size:           2
        .value_kind:     hidden_remainder_x
      - .offset:         164
        .size:           2
        .value_kind:     hidden_remainder_y
      - .offset:         166
        .size:           2
        .value_kind:     hidden_remainder_z
      - .offset:         184
        .size:           8
        .value_kind:     hidden_global_offset_x
      - .offset:         192
        .size:           8
        .value_kind:     hidden_global_offset_y
      - .offset:         200
        .size:           8
        .value_kind:     hidden_global_offset_z
      - .offset:         208
        .size:           2
        .value_kind:     hidden_grid_dims
    .group_segment_fixed_size: 64
    .kernarg_segment_align: 8
    .kernarg_segment_size: 400
    .language:       OpenCL C
    .language_version:
      - 2
      - 0
    .max_flat_workgroup_size: 1024
    .name:           _ZN5aiter35fused_qk_rmsnorm_group_quant_kernelIDF16_N4opus5fp4_tELi512ELi16ELi8ELb0ELb0ELb0ELb0ELb0ELb0EEEvPT0_PvPT_S7_S7_PKS6_S9_S9_S9_S9_ffiiiiiiiiiiiii
    .private_segment_fixed_size: 0
    .sgpr_count:     36
    .sgpr_spill_count: 0
    .symbol:         _ZN5aiter35fused_qk_rmsnorm_group_quant_kernelIDF16_N4opus5fp4_tELi512ELi16ELi8ELb0ELb0ELb0ELb0ELb0ELb0EEEvPT0_PvPT_S7_S7_PKS6_S9_S9_S9_S9_ffiiiiiiiiiiiii.kd
    .uniform_work_group_size: 1
    .uses_dynamic_stack: false
    .vgpr_count:     36
    .vgpr_spill_count: 0
    .wavefront_size: 64
  - .agpr_count:     0
    .args:
      - .actual_access:  write_only
        .address_space:  global
        .offset:         0
        .size:           8
        .value_kind:     global_buffer
      - .actual_access:  write_only
        .address_space:  global
        .offset:         8
        .size:           8
        .value_kind:     global_buffer
      - .actual_access:  read_only
        .address_space:  global
        .offset:         16
        .size:           8
        .value_kind:     global_buffer
      - .actual_access:  write_only
        .address_space:  global
        .offset:         24
        .size:           8
        .value_kind:     global_buffer
      - .actual_access:  read_only
        .address_space:  global
        .offset:         32
        .size:           8
        .value_kind:     global_buffer
      - .actual_access:  read_only
        .address_space:  global
        .offset:         40
        .size:           8
        .value_kind:     global_buffer
      - .actual_access:  read_only
        .address_space:  global
        .offset:         48
        .size:           8
        .value_kind:     global_buffer
      - .actual_access:  read_only
        .address_space:  global
        .offset:         56
        .size:           8
        .value_kind:     global_buffer
      - .actual_access:  read_only
        .address_space:  global
        .offset:         64
        .size:           8
        .value_kind:     global_buffer
      - .actual_access:  read_only
        .address_space:  global
        .offset:         72
        .size:           8
        .value_kind:     global_buffer
      - .offset:         80
        .size:           4
        .value_kind:     by_value
      - .offset:         84
        .size:           4
        .value_kind:     by_value
      - .offset:         88
        .size:           4
        .value_kind:     by_value
      - .offset:         92
        .size:           4
        .value_kind:     by_value
      - .offset:         96
        .size:           4
        .value_kind:     by_value
      - .offset:         100
        .size:           4
        .value_kind:     by_value
      - .offset:         104
        .size:           4
        .value_kind:     by_value
      - .offset:         108
        .size:           4
        .value_kind:     by_value
      - .offset:         112
        .size:           4
        .value_kind:     by_value
      - .offset:         116
        .size:           4
        .value_kind:     by_value
      - .offset:         120
        .size:           4
        .value_kind:     by_value
      - .offset:         124
        .size:           4
        .value_kind:     by_value
      - .offset:         128
        .size:           4
        .value_kind:     by_value
      - .offset:         132
        .size:           4
        .value_kind:     by_value
      - .offset:         136
        .size:           4
        .value_kind:     by_value
      - .offset:         144
        .size:           4
        .value_kind:     hidden_block_count_x
      - .offset:         148
        .size:           4
        .value_kind:     hidden_block_count_y
      - .offset:         152
        .size:           4
        .value_kind:     hidden_block_count_z
      - .offset:         156
        .size:           2
        .value_kind:     hidden_group_size_x
      - .offset:         158
        .size:           2
        .value_kind:     hidden_group_size_y
      - .offset:         160
        .size:           2
        .value_kind:     hidden_group_size_z
      - .offset:         162
        .size:           2
        .value_kind:     hidden_remainder_x
      - .offset:         164
        .size:           2
        .value_kind:     hidden_remainder_y
      - .offset:         166
        .size:           2
        .value_kind:     hidden_remainder_z
      - .offset:         184
        .size:           8
        .value_kind:     hidden_global_offset_x
      - .offset:         192
        .size:           8
        .value_kind:     hidden_global_offset_y
      - .offset:         200
        .size:           8
        .value_kind:     hidden_global_offset_z
      - .offset:         208
        .size:           2
        .value_kind:     hidden_grid_dims
    .group_segment_fixed_size: 64
    .kernarg_segment_align: 8
    .kernarg_segment_size: 400
    .language:       OpenCL C
    .language_version:
      - 2
      - 0
    .max_flat_workgroup_size: 1024
    .name:           _ZN5aiter35fused_qk_rmsnorm_group_quant_kernelItN4opus5fp4_tELi512ELi16ELi8ELb0ELb0ELb0ELb0ELb0ELb0EEEvPT0_PvPT_S7_S7_PKS6_S9_S9_S9_S9_ffiiiiiiiiiiiii
    .private_segment_fixed_size: 0
    .sgpr_count:     36
    .sgpr_spill_count: 0
    .symbol:         _ZN5aiter35fused_qk_rmsnorm_group_quant_kernelItN4opus5fp4_tELi512ELi16ELi8ELb0ELb0ELb0ELb0ELb0ELb0EEEvPT0_PvPT_S7_S7_PKS6_S9_S9_S9_S9_ffiiiiiiiiiiiii.kd
    .uniform_work_group_size: 1
    .uses_dynamic_stack: false
    .vgpr_count:     36
    .vgpr_spill_count: 0
    .wavefront_size: 64
  - .agpr_count:     0
    .args:
      - .actual_access:  read_only
        .address_space:  global
        .offset:         0
        .size:           8
        .value_kind:     global_buffer
      - .actual_access:  read_only
        .address_space:  global
        .offset:         8
        .size:           8
        .value_kind:     global_buffer
      - .actual_access:  write_only
        .address_space:  global
        .offset:         16
        .size:           8
        .value_kind:     global_buffer
      - .actual_access:  write_only
        .address_space:  global
        .offset:         24
        .size:           8
        .value_kind:     global_buffer
      - .actual_access:  write_only
        .address_space:  global
        .offset:         32
        .size:           8
        .value_kind:     global_buffer
      - .actual_access:  read_only
        .address_space:  global
        .offset:         40
        .size:           8
        .value_kind:     global_buffer
      - .actual_access:  read_only
        .address_space:  global
        .offset:         48
        .size:           8
        .value_kind:     global_buffer
      - .actual_access:  read_only
        .address_space:  global
        .offset:         56
        .size:           8
        .value_kind:     global_buffer
      - .actual_access:  read_only
        .address_space:  global
        .offset:         64
        .size:           8
        .value_kind:     global_buffer
      - .actual_access:  read_only
        .address_space:  global
        .offset:         72
        .size:           8
        .value_kind:     global_buffer
      - .offset:         80
        .size:           4
        .value_kind:     by_value
      - .offset:         84
        .size:           4
        .value_kind:     by_value
      - .offset:         88
        .size:           4
        .value_kind:     by_value
      - .offset:         92
        .size:           4
        .value_kind:     by_value
      - .offset:         96
        .size:           4
        .value_kind:     by_value
      - .offset:         100
        .size:           4
        .value_kind:     by_value
      - .offset:         104
        .size:           4
        .value_kind:     by_value
      - .offset:         108
        .size:           4
        .value_kind:     by_value
      - .offset:         112
        .size:           4
        .value_kind:     by_value
      - .offset:         116
        .size:           4
        .value_kind:     by_value
      - .offset:         120
        .size:           4
        .value_kind:     by_value
      - .offset:         124
        .size:           4
        .value_kind:     by_value
      - .offset:         128
        .size:           4
        .value_kind:     by_value
      - .offset:         132
        .size:           4
        .value_kind:     by_value
      - .offset:         136
        .size:           4
        .value_kind:     by_value
      - .offset:         144
        .size:           4
        .value_kind:     hidden_block_count_x
      - .offset:         148
        .size:           4
        .value_kind:     hidden_block_count_y
      - .offset:         152
        .size:           4
        .value_kind:     hidden_block_count_z
      - .offset:         156
        .size:           2
        .value_kind:     hidden_group_size_x
      - .offset:         158
        .size:           2
        .value_kind:     hidden_group_size_y
      - .offset:         160
        .size:           2
        .value_kind:     hidden_group_size_z
      - .offset:         162
        .size:           2
        .value_kind:     hidden_remainder_x
      - .offset:         164
        .size:           2
        .value_kind:     hidden_remainder_y
      - .offset:         166
        .size:           2
        .value_kind:     hidden_remainder_z
      - .offset:         184
        .size:           8
        .value_kind:     hidden_global_offset_x
      - .offset:         192
        .size:           8
        .value_kind:     hidden_global_offset_y
      - .offset:         200
        .size:           8
        .value_kind:     hidden_global_offset_z
      - .offset:         208
        .size:           2
        .value_kind:     hidden_grid_dims
    .group_segment_fixed_size: 64
    .kernarg_segment_align: 8
    .kernarg_segment_size: 400
    .language:       OpenCL C
    .language_version:
      - 2
      - 0
    .max_flat_workgroup_size: 1024
    .name:           _ZN5aiter35fused_qk_rmsnorm_group_quant_kernelIDF16_DB8_Li512ELi16ELi4ELb1ELb1ELb1ELb1ELb0ELb0EEEvPT0_PvPT_S6_S6_PKS5_S8_S8_S8_S8_ffiiiiiiiiiiiii
    .private_segment_fixed_size: 0
    .sgpr_count:     36
    .sgpr_spill_count: 0
    .symbol:         _ZN5aiter35fused_qk_rmsnorm_group_quant_kernelIDF16_DB8_Li512ELi16ELi4ELb1ELb1ELb1ELb1ELb0ELb0EEEvPT0_PvPT_S6_S6_PKS5_S8_S8_S8_S8_ffiiiiiiiiiiiii.kd
    .uniform_work_group_size: 1
    .uses_dynamic_stack: false
    .vgpr_count:     49
    .vgpr_spill_count: 0
    .wavefront_size: 64
  - .agpr_count:     0
    .args:
      - .actual_access:  read_only
        .address_space:  global
        .offset:         0
        .size:           8
        .value_kind:     global_buffer
      - .actual_access:  read_only
        .address_space:  global
        .offset:         8
        .size:           8
        .value_kind:     global_buffer
      - .actual_access:  write_only
        .address_space:  global
        .offset:         16
        .size:           8
        .value_kind:     global_buffer
      - .actual_access:  write_only
        .address_space:  global
        .offset:         24
        .size:           8
        .value_kind:     global_buffer
      - .actual_access:  write_only
        .address_space:  global
        .offset:         32
        .size:           8
        .value_kind:     global_buffer
      - .actual_access:  read_only
        .address_space:  global
        .offset:         40
        .size:           8
        .value_kind:     global_buffer
      - .actual_access:  read_only
        .address_space:  global
        .offset:         48
        .size:           8
        .value_kind:     global_buffer
      - .actual_access:  read_only
        .address_space:  global
        .offset:         56
        .size:           8
        .value_kind:     global_buffer
      - .actual_access:  read_only
        .address_space:  global
        .offset:         64
        .size:           8
        .value_kind:     global_buffer
      - .actual_access:  read_only
        .address_space:  global
        .offset:         72
        .size:           8
        .value_kind:     global_buffer
      - .offset:         80
        .size:           4
        .value_kind:     by_value
      - .offset:         84
        .size:           4
        .value_kind:     by_value
      - .offset:         88
        .size:           4
        .value_kind:     by_value
      - .offset:         92
        .size:           4
        .value_kind:     by_value
      - .offset:         96
        .size:           4
        .value_kind:     by_value
      - .offset:         100
        .size:           4
        .value_kind:     by_value
      - .offset:         104
        .size:           4
        .value_kind:     by_value
      - .offset:         108
        .size:           4
        .value_kind:     by_value
      - .offset:         112
        .size:           4
        .value_kind:     by_value
      - .offset:         116
        .size:           4
        .value_kind:     by_value
      - .offset:         120
        .size:           4
        .value_kind:     by_value
      - .offset:         124
        .size:           4
        .value_kind:     by_value
      - .offset:         128
        .size:           4
        .value_kind:     by_value
      - .offset:         132
        .size:           4
        .value_kind:     by_value
      - .offset:         136
        .size:           4
        .value_kind:     by_value
      - .offset:         144
        .size:           4
        .value_kind:     hidden_block_count_x
      - .offset:         148
        .size:           4
        .value_kind:     hidden_block_count_y
      - .offset:         152
        .size:           4
        .value_kind:     hidden_block_count_z
      - .offset:         156
        .size:           2
        .value_kind:     hidden_group_size_x
      - .offset:         158
        .size:           2
        .value_kind:     hidden_group_size_y
      - .offset:         160
        .size:           2
        .value_kind:     hidden_group_size_z
      - .offset:         162
        .size:           2
        .value_kind:     hidden_remainder_x
      - .offset:         164
        .size:           2
        .value_kind:     hidden_remainder_y
      - .offset:         166
        .size:           2
        .value_kind:     hidden_remainder_z
      - .offset:         184
        .size:           8
        .value_kind:     hidden_global_offset_x
      - .offset:         192
        .size:           8
        .value_kind:     hidden_global_offset_y
      - .offset:         200
        .size:           8
        .value_kind:     hidden_global_offset_z
      - .offset:         208
        .size:           2
        .value_kind:     hidden_grid_dims
    .group_segment_fixed_size: 64
    .kernarg_segment_align: 8
    .kernarg_segment_size: 400
    .language:       OpenCL C
    .language_version:
      - 2
      - 0
    .max_flat_workgroup_size: 1024
    .name:           _ZN5aiter35fused_qk_rmsnorm_group_quant_kernelItDB8_Li512ELi16ELi4ELb1ELb1ELb1ELb1ELb0ELb0EEEvPT0_PvPT_S6_S6_PKS5_S8_S8_S8_S8_ffiiiiiiiiiiiii
    .private_segment_fixed_size: 0
    .sgpr_count:     36
    .sgpr_spill_count: 0
    .symbol:         _ZN5aiter35fused_qk_rmsnorm_group_quant_kernelItDB8_Li512ELi16ELi4ELb1ELb1ELb1ELb1ELb0ELb0EEEvPT0_PvPT_S6_S6_PKS5_S8_S8_S8_S8_ffiiiiiiiiiiiii.kd
    .uniform_work_group_size: 1
    .uses_dynamic_stack: false
    .vgpr_count:     76
    .vgpr_spill_count: 0
    .wavefront_size: 64
  - .agpr_count:     0
    .args:
      - .actual_access:  read_only
        .address_space:  global
        .offset:         0
        .size:           8
        .value_kind:     global_buffer
      - .actual_access:  read_only
        .address_space:  global
        .offset:         8
        .size:           8
        .value_kind:     global_buffer
      - .actual_access:  write_only
        .address_space:  global
        .offset:         16
        .size:           8
        .value_kind:     global_buffer
      - .actual_access:  write_only
        .address_space:  global
        .offset:         24
        .size:           8
        .value_kind:     global_buffer
      - .actual_access:  write_only
        .address_space:  global
        .offset:         32
        .size:           8
        .value_kind:     global_buffer
      - .actual_access:  read_only
        .address_space:  global
        .offset:         40
        .size:           8
        .value_kind:     global_buffer
      - .actual_access:  read_only
        .address_space:  global
        .offset:         48
        .size:           8
        .value_kind:     global_buffer
      - .actual_access:  read_only
        .address_space:  global
        .offset:         56
        .size:           8
        .value_kind:     global_buffer
      - .actual_access:  read_only
        .address_space:  global
        .offset:         64
        .size:           8
        .value_kind:     global_buffer
      - .actual_access:  read_only
        .address_space:  global
        .offset:         72
        .size:           8
        .value_kind:     global_buffer
      - .offset:         80
        .size:           4
        .value_kind:     by_value
      - .offset:         84
        .size:           4
        .value_kind:     by_value
      - .offset:         88
        .size:           4
        .value_kind:     by_value
      - .offset:         92
        .size:           4
        .value_kind:     by_value
      - .offset:         96
        .size:           4
        .value_kind:     by_value
      - .offset:         100
        .size:           4
        .value_kind:     by_value
      - .offset:         104
        .size:           4
        .value_kind:     by_value
      - .offset:         108
        .size:           4
        .value_kind:     by_value
      - .offset:         112
        .size:           4
        .value_kind:     by_value
      - .offset:         116
        .size:           4
        .value_kind:     by_value
      - .offset:         120
        .size:           4
        .value_kind:     by_value
      - .offset:         124
        .size:           4
        .value_kind:     by_value
      - .offset:         128
        .size:           4
        .value_kind:     by_value
      - .offset:         132
        .size:           4
        .value_kind:     by_value
      - .offset:         136
        .size:           4
        .value_kind:     by_value
      - .offset:         144
        .size:           4
        .value_kind:     hidden_block_count_x
      - .offset:         148
        .size:           4
        .value_kind:     hidden_block_count_y
      - .offset:         152
        .size:           4
        .value_kind:     hidden_block_count_z
      - .offset:         156
        .size:           2
        .value_kind:     hidden_group_size_x
      - .offset:         158
        .size:           2
        .value_kind:     hidden_group_size_y
      - .offset:         160
        .size:           2
        .value_kind:     hidden_group_size_z
      - .offset:         162
        .size:           2
        .value_kind:     hidden_remainder_x
      - .offset:         164
        .size:           2
        .value_kind:     hidden_remainder_y
      - .offset:         166
        .size:           2
        .value_kind:     hidden_remainder_z
      - .offset:         184
        .size:           8
        .value_kind:     hidden_global_offset_x
      - .offset:         192
        .size:           8
        .value_kind:     hidden_global_offset_y
      - .offset:         200
        .size:           8
        .value_kind:     hidden_global_offset_z
      - .offset:         208
        .size:           2
        .value_kind:     hidden_grid_dims
    .group_segment_fixed_size: 64
    .kernarg_segment_align: 8
    .kernarg_segment_size: 400
    .language:       OpenCL C
    .language_version:
      - 2
      - 0
    .max_flat_workgroup_size: 1024
    .name:           _ZN5aiter35fused_qk_rmsnorm_group_quant_kernelIDF16_N4opus5fp4_tELi512ELi16ELi4ELb1ELb1ELb1ELb1ELb0ELb0EEEvPT0_PvPT_S7_S7_PKS6_S9_S9_S9_S9_ffiiiiiiiiiiiii
    .private_segment_fixed_size: 0
    .sgpr_count:     36
    .sgpr_spill_count: 0
    .symbol:         _ZN5aiter35fused_qk_rmsnorm_group_quant_kernelIDF16_N4opus5fp4_tELi512ELi16ELi4ELb1ELb1ELb1ELb1ELb0ELb0EEEvPT0_PvPT_S7_S7_PKS6_S9_S9_S9_S9_ffiiiiiiiiiiiii.kd
    .uniform_work_group_size: 1
    .uses_dynamic_stack: false
    .vgpr_count:     49
    .vgpr_spill_count: 0
    .wavefront_size: 64
  - .agpr_count:     0
    .args:
      - .actual_access:  read_only
        .address_space:  global
        .offset:         0
        .size:           8
        .value_kind:     global_buffer
      - .actual_access:  read_only
        .address_space:  global
        .offset:         8
        .size:           8
        .value_kind:     global_buffer
      - .actual_access:  write_only
        .address_space:  global
        .offset:         16
        .size:           8
        .value_kind:     global_buffer
      - .actual_access:  write_only
        .address_space:  global
        .offset:         24
        .size:           8
        .value_kind:     global_buffer
      - .actual_access:  write_only
        .address_space:  global
        .offset:         32
        .size:           8
        .value_kind:     global_buffer
      - .actual_access:  read_only
        .address_space:  global
        .offset:         40
        .size:           8
        .value_kind:     global_buffer
      - .actual_access:  read_only
        .address_space:  global
        .offset:         48
        .size:           8
        .value_kind:     global_buffer
      - .actual_access:  read_only
        .address_space:  global
        .offset:         56
        .size:           8
        .value_kind:     global_buffer
      - .actual_access:  read_only
        .address_space:  global
        .offset:         64
        .size:           8
        .value_kind:     global_buffer
      - .actual_access:  read_only
        .address_space:  global
        .offset:         72
        .size:           8
        .value_kind:     global_buffer
      - .offset:         80
        .size:           4
        .value_kind:     by_value
      - .offset:         84
        .size:           4
        .value_kind:     by_value
      - .offset:         88
        .size:           4
        .value_kind:     by_value
      - .offset:         92
        .size:           4
        .value_kind:     by_value
      - .offset:         96
        .size:           4
        .value_kind:     by_value
      - .offset:         100
        .size:           4
        .value_kind:     by_value
      - .offset:         104
        .size:           4
        .value_kind:     by_value
      - .offset:         108
        .size:           4
        .value_kind:     by_value
      - .offset:         112
        .size:           4
        .value_kind:     by_value
      - .offset:         116
        .size:           4
        .value_kind:     by_value
      - .offset:         120
        .size:           4
        .value_kind:     by_value
      - .offset:         124
        .size:           4
        .value_kind:     by_value
      - .offset:         128
        .size:           4
        .value_kind:     by_value
      - .offset:         132
        .size:           4
        .value_kind:     by_value
      - .offset:         136
        .size:           4
        .value_kind:     by_value
      - .offset:         144
        .size:           4
        .value_kind:     hidden_block_count_x
      - .offset:         148
        .size:           4
        .value_kind:     hidden_block_count_y
      - .offset:         152
        .size:           4
        .value_kind:     hidden_block_count_z
      - .offset:         156
        .size:           2
        .value_kind:     hidden_group_size_x
      - .offset:         158
        .size:           2
        .value_kind:     hidden_group_size_y
      - .offset:         160
        .size:           2
        .value_kind:     hidden_group_size_z
      - .offset:         162
        .size:           2
        .value_kind:     hidden_remainder_x
      - .offset:         164
        .size:           2
        .value_kind:     hidden_remainder_y
      - .offset:         166
        .size:           2
        .value_kind:     hidden_remainder_z
      - .offset:         184
        .size:           8
        .value_kind:     hidden_global_offset_x
      - .offset:         192
        .size:           8
        .value_kind:     hidden_global_offset_y
      - .offset:         200
        .size:           8
        .value_kind:     hidden_global_offset_z
      - .offset:         208
        .size:           2
        .value_kind:     hidden_grid_dims
    .group_segment_fixed_size: 64
    .kernarg_segment_align: 8
    .kernarg_segment_size: 400
    .language:       OpenCL C
    .language_version:
      - 2
      - 0
    .max_flat_workgroup_size: 1024
    .name:           _ZN5aiter35fused_qk_rmsnorm_group_quant_kernelItN4opus5fp4_tELi512ELi16ELi4ELb1ELb1ELb1ELb1ELb0ELb0EEEvPT0_PvPT_S7_S7_PKS6_S9_S9_S9_S9_ffiiiiiiiiiiiii
    .private_segment_fixed_size: 0
    .sgpr_count:     36
    .sgpr_spill_count: 0
    .symbol:         _ZN5aiter35fused_qk_rmsnorm_group_quant_kernelItN4opus5fp4_tELi512ELi16ELi4ELb1ELb1ELb1ELb1ELb0ELb0EEEvPT0_PvPT_S7_S7_PKS6_S9_S9_S9_S9_ffiiiiiiiiiiiii.kd
    .uniform_work_group_size: 1
    .uses_dynamic_stack: false
    .vgpr_count:     76
    .vgpr_spill_count: 0
    .wavefront_size: 64
  - .agpr_count:     0
    .args:
      - .actual_access:  read_only
        .address_space:  global
        .offset:         0
        .size:           8
        .value_kind:     global_buffer
      - .actual_access:  read_only
        .address_space:  global
        .offset:         8
        .size:           8
        .value_kind:     global_buffer
      - .actual_access:  write_only
        .address_space:  global
        .offset:         16
        .size:           8
        .value_kind:     global_buffer
      - .actual_access:  write_only
        .address_space:  global
        .offset:         24
        .size:           8
        .value_kind:     global_buffer
      - .actual_access:  write_only
        .address_space:  global
        .offset:         32
        .size:           8
        .value_kind:     global_buffer
      - .actual_access:  read_only
        .address_space:  global
        .offset:         40
        .size:           8
        .value_kind:     global_buffer
      - .actual_access:  read_only
        .address_space:  global
        .offset:         48
        .size:           8
        .value_kind:     global_buffer
      - .actual_access:  read_only
        .address_space:  global
        .offset:         56
        .size:           8
        .value_kind:     global_buffer
      - .actual_access:  read_only
        .address_space:  global
        .offset:         64
        .size:           8
        .value_kind:     global_buffer
      - .actual_access:  read_only
        .address_space:  global
        .offset:         72
        .size:           8
        .value_kind:     global_buffer
      - .offset:         80
        .size:           4
        .value_kind:     by_value
      - .offset:         84
        .size:           4
        .value_kind:     by_value
      - .offset:         88
        .size:           4
        .value_kind:     by_value
      - .offset:         92
        .size:           4
        .value_kind:     by_value
      - .offset:         96
        .size:           4
        .value_kind:     by_value
      - .offset:         100
        .size:           4
        .value_kind:     by_value
      - .offset:         104
        .size:           4
        .value_kind:     by_value
      - .offset:         108
        .size:           4
        .value_kind:     by_value
      - .offset:         112
        .size:           4
        .value_kind:     by_value
      - .offset:         116
        .size:           4
        .value_kind:     by_value
      - .offset:         120
        .size:           4
        .value_kind:     by_value
      - .offset:         124
        .size:           4
        .value_kind:     by_value
      - .offset:         128
        .size:           4
        .value_kind:     by_value
      - .offset:         132
        .size:           4
        .value_kind:     by_value
      - .offset:         136
        .size:           4
        .value_kind:     by_value
      - .offset:         144
        .size:           4
        .value_kind:     hidden_block_count_x
      - .offset:         148
        .size:           4
        .value_kind:     hidden_block_count_y
      - .offset:         152
        .size:           4
        .value_kind:     hidden_block_count_z
      - .offset:         156
        .size:           2
        .value_kind:     hidden_group_size_x
      - .offset:         158
        .size:           2
        .value_kind:     hidden_group_size_y
      - .offset:         160
        .size:           2
        .value_kind:     hidden_group_size_z
      - .offset:         162
        .size:           2
        .value_kind:     hidden_remainder_x
      - .offset:         164
        .size:           2
        .value_kind:     hidden_remainder_y
      - .offset:         166
        .size:           2
        .value_kind:     hidden_remainder_z
      - .offset:         184
        .size:           8
        .value_kind:     hidden_global_offset_x
      - .offset:         192
        .size:           8
        .value_kind:     hidden_global_offset_y
      - .offset:         200
        .size:           8
        .value_kind:     hidden_global_offset_z
      - .offset:         208
        .size:           2
        .value_kind:     hidden_grid_dims
    .group_segment_fixed_size: 64
    .kernarg_segment_align: 8
    .kernarg_segment_size: 400
    .language:       OpenCL C
    .language_version:
      - 2
      - 0
    .max_flat_workgroup_size: 1024
    .name:           _ZN5aiter35fused_qk_rmsnorm_group_quant_kernelIDF16_DB8_Li512ELi16ELi4ELb1ELb1ELb0ELb1ELb0ELb0EEEvPT0_PvPT_S6_S6_PKS5_S8_S8_S8_S8_ffiiiiiiiiiiiii
    .private_segment_fixed_size: 0
    .sgpr_count:     36
    .sgpr_spill_count: 0
    .symbol:         _ZN5aiter35fused_qk_rmsnorm_group_quant_kernelIDF16_DB8_Li512ELi16ELi4ELb1ELb1ELb0ELb1ELb0ELb0EEEvPT0_PvPT_S6_S6_PKS5_S8_S8_S8_S8_ffiiiiiiiiiiiii.kd
    .uniform_work_group_size: 1
    .uses_dynamic_stack: false
    .vgpr_count:     49
    .vgpr_spill_count: 0
    .wavefront_size: 64
  - .agpr_count:     0
    .args:
      - .actual_access:  read_only
        .address_space:  global
        .offset:         0
        .size:           8
        .value_kind:     global_buffer
      - .actual_access:  read_only
        .address_space:  global
        .offset:         8
        .size:           8
        .value_kind:     global_buffer
      - .actual_access:  write_only
        .address_space:  global
        .offset:         16
        .size:           8
        .value_kind:     global_buffer
      - .actual_access:  write_only
        .address_space:  global
        .offset:         24
        .size:           8
        .value_kind:     global_buffer
      - .actual_access:  write_only
        .address_space:  global
        .offset:         32
        .size:           8
        .value_kind:     global_buffer
      - .actual_access:  read_only
        .address_space:  global
        .offset:         40
        .size:           8
        .value_kind:     global_buffer
      - .actual_access:  read_only
        .address_space:  global
        .offset:         48
        .size:           8
        .value_kind:     global_buffer
      - .actual_access:  read_only
        .address_space:  global
        .offset:         56
        .size:           8
        .value_kind:     global_buffer
      - .actual_access:  read_only
        .address_space:  global
        .offset:         64
        .size:           8
        .value_kind:     global_buffer
      - .actual_access:  read_only
        .address_space:  global
        .offset:         72
        .size:           8
        .value_kind:     global_buffer
      - .offset:         80
        .size:           4
        .value_kind:     by_value
      - .offset:         84
        .size:           4
        .value_kind:     by_value
      - .offset:         88
        .size:           4
        .value_kind:     by_value
      - .offset:         92
        .size:           4
        .value_kind:     by_value
      - .offset:         96
        .size:           4
        .value_kind:     by_value
      - .offset:         100
        .size:           4
        .value_kind:     by_value
      - .offset:         104
        .size:           4
        .value_kind:     by_value
      - .offset:         108
        .size:           4
        .value_kind:     by_value
      - .offset:         112
        .size:           4
        .value_kind:     by_value
      - .offset:         116
        .size:           4
        .value_kind:     by_value
      - .offset:         120
        .size:           4
        .value_kind:     by_value
      - .offset:         124
        .size:           4
        .value_kind:     by_value
      - .offset:         128
        .size:           4
        .value_kind:     by_value
      - .offset:         132
        .size:           4
        .value_kind:     by_value
      - .offset:         136
        .size:           4
        .value_kind:     by_value
      - .offset:         144
        .size:           4
        .value_kind:     hidden_block_count_x
      - .offset:         148
        .size:           4
        .value_kind:     hidden_block_count_y
      - .offset:         152
        .size:           4
        .value_kind:     hidden_block_count_z
      - .offset:         156
        .size:           2
        .value_kind:     hidden_group_size_x
      - .offset:         158
        .size:           2
        .value_kind:     hidden_group_size_y
      - .offset:         160
        .size:           2
        .value_kind:     hidden_group_size_z
      - .offset:         162
        .size:           2
        .value_kind:     hidden_remainder_x
      - .offset:         164
        .size:           2
        .value_kind:     hidden_remainder_y
      - .offset:         166
        .size:           2
        .value_kind:     hidden_remainder_z
      - .offset:         184
        .size:           8
        .value_kind:     hidden_global_offset_x
      - .offset:         192
        .size:           8
        .value_kind:     hidden_global_offset_y
      - .offset:         200
        .size:           8
        .value_kind:     hidden_global_offset_z
      - .offset:         208
        .size:           2
        .value_kind:     hidden_grid_dims
    .group_segment_fixed_size: 64
    .kernarg_segment_align: 8
    .kernarg_segment_size: 400
    .language:       OpenCL C
    .language_version:
      - 2
      - 0
    .max_flat_workgroup_size: 1024
    .name:           _ZN5aiter35fused_qk_rmsnorm_group_quant_kernelItDB8_Li512ELi16ELi4ELb1ELb1ELb0ELb1ELb0ELb0EEEvPT0_PvPT_S6_S6_PKS5_S8_S8_S8_S8_ffiiiiiiiiiiiii
    .private_segment_fixed_size: 0
    .sgpr_count:     36
    .sgpr_spill_count: 0
    .symbol:         _ZN5aiter35fused_qk_rmsnorm_group_quant_kernelItDB8_Li512ELi16ELi4ELb1ELb1ELb0ELb1ELb0ELb0EEEvPT0_PvPT_S6_S6_PKS5_S8_S8_S8_S8_ffiiiiiiiiiiiii.kd
    .uniform_work_group_size: 1
    .uses_dynamic_stack: false
    .vgpr_count:     90
    .vgpr_spill_count: 0
    .wavefront_size: 64
  - .agpr_count:     0
    .args:
      - .actual_access:  read_only
        .address_space:  global
        .offset:         0
        .size:           8
        .value_kind:     global_buffer
      - .actual_access:  read_only
        .address_space:  global
        .offset:         8
        .size:           8
        .value_kind:     global_buffer
      - .actual_access:  write_only
        .address_space:  global
        .offset:         16
        .size:           8
        .value_kind:     global_buffer
      - .actual_access:  write_only
        .address_space:  global
        .offset:         24
        .size:           8
        .value_kind:     global_buffer
      - .actual_access:  write_only
        .address_space:  global
        .offset:         32
        .size:           8
        .value_kind:     global_buffer
      - .actual_access:  read_only
        .address_space:  global
        .offset:         40
        .size:           8
        .value_kind:     global_buffer
      - .actual_access:  read_only
        .address_space:  global
        .offset:         48
        .size:           8
        .value_kind:     global_buffer
      - .actual_access:  read_only
        .address_space:  global
        .offset:         56
        .size:           8
        .value_kind:     global_buffer
      - .actual_access:  read_only
        .address_space:  global
        .offset:         64
        .size:           8
        .value_kind:     global_buffer
      - .actual_access:  read_only
        .address_space:  global
        .offset:         72
        .size:           8
        .value_kind:     global_buffer
      - .offset:         80
        .size:           4
        .value_kind:     by_value
      - .offset:         84
        .size:           4
        .value_kind:     by_value
      - .offset:         88
        .size:           4
        .value_kind:     by_value
      - .offset:         92
        .size:           4
        .value_kind:     by_value
      - .offset:         96
        .size:           4
        .value_kind:     by_value
      - .offset:         100
        .size:           4
        .value_kind:     by_value
      - .offset:         104
        .size:           4
        .value_kind:     by_value
      - .offset:         108
        .size:           4
        .value_kind:     by_value
      - .offset:         112
        .size:           4
        .value_kind:     by_value
      - .offset:         116
        .size:           4
        .value_kind:     by_value
      - .offset:         120
        .size:           4
        .value_kind:     by_value
      - .offset:         124
        .size:           4
        .value_kind:     by_value
      - .offset:         128
        .size:           4
        .value_kind:     by_value
      - .offset:         132
        .size:           4
        .value_kind:     by_value
      - .offset:         136
        .size:           4
        .value_kind:     by_value
      - .offset:         144
        .size:           4
        .value_kind:     hidden_block_count_x
      - .offset:         148
        .size:           4
        .value_kind:     hidden_block_count_y
      - .offset:         152
        .size:           4
        .value_kind:     hidden_block_count_z
      - .offset:         156
        .size:           2
        .value_kind:     hidden_group_size_x
      - .offset:         158
        .size:           2
        .value_kind:     hidden_group_size_y
      - .offset:         160
        .size:           2
        .value_kind:     hidden_group_size_z
      - .offset:         162
        .size:           2
        .value_kind:     hidden_remainder_x
      - .offset:         164
        .size:           2
        .value_kind:     hidden_remainder_y
      - .offset:         166
        .size:           2
        .value_kind:     hidden_remainder_z
      - .offset:         184
        .size:           8
        .value_kind:     hidden_global_offset_x
      - .offset:         192
        .size:           8
        .value_kind:     hidden_global_offset_y
      - .offset:         200
        .size:           8
        .value_kind:     hidden_global_offset_z
      - .offset:         208
        .size:           2
        .value_kind:     hidden_grid_dims
    .group_segment_fixed_size: 64
    .kernarg_segment_align: 8
    .kernarg_segment_size: 400
    .language:       OpenCL C
    .language_version:
      - 2
      - 0
    .max_flat_workgroup_size: 1024
    .name:           _ZN5aiter35fused_qk_rmsnorm_group_quant_kernelIDF16_N4opus5fp4_tELi512ELi16ELi4ELb1ELb1ELb0ELb1ELb0ELb0EEEvPT0_PvPT_S7_S7_PKS6_S9_S9_S9_S9_ffiiiiiiiiiiiii
    .private_segment_fixed_size: 0
    .sgpr_count:     36
    .sgpr_spill_count: 0
    .symbol:         _ZN5aiter35fused_qk_rmsnorm_group_quant_kernelIDF16_N4opus5fp4_tELi512ELi16ELi4ELb1ELb1ELb0ELb1ELb0ELb0EEEvPT0_PvPT_S7_S7_PKS6_S9_S9_S9_S9_ffiiiiiiiiiiiii.kd
    .uniform_work_group_size: 1
    .uses_dynamic_stack: false
    .vgpr_count:     49
    .vgpr_spill_count: 0
    .wavefront_size: 64
  - .agpr_count:     0
    .args:
      - .actual_access:  read_only
        .address_space:  global
        .offset:         0
        .size:           8
        .value_kind:     global_buffer
      - .actual_access:  read_only
        .address_space:  global
        .offset:         8
        .size:           8
        .value_kind:     global_buffer
      - .actual_access:  write_only
        .address_space:  global
        .offset:         16
        .size:           8
        .value_kind:     global_buffer
      - .actual_access:  write_only
        .address_space:  global
        .offset:         24
        .size:           8
        .value_kind:     global_buffer
      - .actual_access:  write_only
        .address_space:  global
        .offset:         32
        .size:           8
        .value_kind:     global_buffer
      - .actual_access:  read_only
        .address_space:  global
        .offset:         40
        .size:           8
        .value_kind:     global_buffer
      - .actual_access:  read_only
        .address_space:  global
        .offset:         48
        .size:           8
        .value_kind:     global_buffer
      - .actual_access:  read_only
        .address_space:  global
        .offset:         56
        .size:           8
        .value_kind:     global_buffer
      - .actual_access:  read_only
        .address_space:  global
        .offset:         64
        .size:           8
        .value_kind:     global_buffer
      - .actual_access:  read_only
        .address_space:  global
        .offset:         72
        .size:           8
        .value_kind:     global_buffer
      - .offset:         80
        .size:           4
        .value_kind:     by_value
      - .offset:         84
        .size:           4
        .value_kind:     by_value
      - .offset:         88
        .size:           4
        .value_kind:     by_value
      - .offset:         92
        .size:           4
        .value_kind:     by_value
      - .offset:         96
        .size:           4
        .value_kind:     by_value
      - .offset:         100
        .size:           4
        .value_kind:     by_value
      - .offset:         104
        .size:           4
        .value_kind:     by_value
      - .offset:         108
        .size:           4
        .value_kind:     by_value
      - .offset:         112
        .size:           4
        .value_kind:     by_value
      - .offset:         116
        .size:           4
        .value_kind:     by_value
      - .offset:         120
        .size:           4
        .value_kind:     by_value
      - .offset:         124
        .size:           4
        .value_kind:     by_value
      - .offset:         128
        .size:           4
        .value_kind:     by_value
      - .offset:         132
        .size:           4
        .value_kind:     by_value
      - .offset:         136
        .size:           4
        .value_kind:     by_value
      - .offset:         144
        .size:           4
        .value_kind:     hidden_block_count_x
      - .offset:         148
        .size:           4
        .value_kind:     hidden_block_count_y
      - .offset:         152
        .size:           4
        .value_kind:     hidden_block_count_z
      - .offset:         156
        .size:           2
        .value_kind:     hidden_group_size_x
      - .offset:         158
        .size:           2
        .value_kind:     hidden_group_size_y
      - .offset:         160
        .size:           2
        .value_kind:     hidden_group_size_z
      - .offset:         162
        .size:           2
        .value_kind:     hidden_remainder_x
      - .offset:         164
        .size:           2
        .value_kind:     hidden_remainder_y
      - .offset:         166
        .size:           2
        .value_kind:     hidden_remainder_z
      - .offset:         184
        .size:           8
        .value_kind:     hidden_global_offset_x
      - .offset:         192
        .size:           8
        .value_kind:     hidden_global_offset_y
      - .offset:         200
        .size:           8
        .value_kind:     hidden_global_offset_z
      - .offset:         208
        .size:           2
        .value_kind:     hidden_grid_dims
    .group_segment_fixed_size: 64
    .kernarg_segment_align: 8
    .kernarg_segment_size: 400
    .language:       OpenCL C
    .language_version:
      - 2
      - 0
    .max_flat_workgroup_size: 1024
    .name:           _ZN5aiter35fused_qk_rmsnorm_group_quant_kernelItN4opus5fp4_tELi512ELi16ELi4ELb1ELb1ELb0ELb1ELb0ELb0EEEvPT0_PvPT_S7_S7_PKS6_S9_S9_S9_S9_ffiiiiiiiiiiiii
    .private_segment_fixed_size: 0
    .sgpr_count:     36
    .sgpr_spill_count: 0
    .symbol:         _ZN5aiter35fused_qk_rmsnorm_group_quant_kernelItN4opus5fp4_tELi512ELi16ELi4ELb1ELb1ELb0ELb1ELb0ELb0EEEvPT0_PvPT_S7_S7_PKS6_S9_S9_S9_S9_ffiiiiiiiiiiiii.kd
    .uniform_work_group_size: 1
    .uses_dynamic_stack: false
    .vgpr_count:     90
    .vgpr_spill_count: 0
    .wavefront_size: 64
  - .agpr_count:     0
    .args:
      - .actual_access:  read_only
        .address_space:  global
        .offset:         0
        .size:           8
        .value_kind:     global_buffer
      - .actual_access:  read_only
        .address_space:  global
        .offset:         8
        .size:           8
        .value_kind:     global_buffer
      - .actual_access:  write_only
        .address_space:  global
        .offset:         16
        .size:           8
        .value_kind:     global_buffer
      - .actual_access:  write_only
        .address_space:  global
        .offset:         24
        .size:           8
        .value_kind:     global_buffer
      - .actual_access:  read_only
        .address_space:  global
        .offset:         32
        .size:           8
        .value_kind:     global_buffer
      - .actual_access:  read_only
        .address_space:  global
        .offset:         40
        .size:           8
        .value_kind:     global_buffer
      - .actual_access:  read_only
        .address_space:  global
        .offset:         48
        .size:           8
        .value_kind:     global_buffer
      - .actual_access:  read_only
        .address_space:  global
        .offset:         56
        .size:           8
        .value_kind:     global_buffer
      - .actual_access:  read_only
        .address_space:  global
        .offset:         64
        .size:           8
        .value_kind:     global_buffer
      - .actual_access:  read_only
        .address_space:  global
        .offset:         72
        .size:           8
        .value_kind:     global_buffer
      - .offset:         80
        .size:           4
        .value_kind:     by_value
      - .offset:         84
        .size:           4
        .value_kind:     by_value
      - .offset:         88
        .size:           4
        .value_kind:     by_value
      - .offset:         92
        .size:           4
        .value_kind:     by_value
      - .offset:         96
        .size:           4
        .value_kind:     by_value
      - .offset:         100
        .size:           4
        .value_kind:     by_value
      - .offset:         104
        .size:           4
        .value_kind:     by_value
      - .offset:         108
        .size:           4
        .value_kind:     by_value
      - .offset:         112
        .size:           4
        .value_kind:     by_value
      - .offset:         116
        .size:           4
        .value_kind:     by_value
      - .offset:         120
        .size:           4
        .value_kind:     by_value
      - .offset:         124
        .size:           4
        .value_kind:     by_value
      - .offset:         128
        .size:           4
        .value_kind:     by_value
      - .offset:         132
        .size:           4
        .value_kind:     by_value
      - .offset:         136
        .size:           4
        .value_kind:     by_value
      - .offset:         144
        .size:           4
        .value_kind:     hidden_block_count_x
      - .offset:         148
        .size:           4
        .value_kind:     hidden_block_count_y
      - .offset:         152
        .size:           4
        .value_kind:     hidden_block_count_z
      - .offset:         156
        .size:           2
        .value_kind:     hidden_group_size_x
      - .offset:         158
        .size:           2
        .value_kind:     hidden_group_size_y
      - .offset:         160
        .size:           2
        .value_kind:     hidden_group_size_z
      - .offset:         162
        .size:           2
        .value_kind:     hidden_remainder_x
      - .offset:         164
        .size:           2
        .value_kind:     hidden_remainder_y
      - .offset:         166
        .size:           2
        .value_kind:     hidden_remainder_z
      - .offset:         184
        .size:           8
        .value_kind:     hidden_global_offset_x
      - .offset:         192
        .size:           8
        .value_kind:     hidden_global_offset_y
      - .offset:         200
        .size:           8
        .value_kind:     hidden_global_offset_z
      - .offset:         208
        .size:           2
        .value_kind:     hidden_grid_dims
    .group_segment_fixed_size: 64
    .kernarg_segment_align: 8
    .kernarg_segment_size: 400
    .language:       OpenCL C
    .language_version:
      - 2
      - 0
    .max_flat_workgroup_size: 1024
    .name:           _ZN5aiter35fused_qk_rmsnorm_group_quant_kernelIDF16_DB8_Li512ELi16ELi4ELb0ELb1ELb1ELb1ELb0ELb0EEEvPT0_PvPT_S6_S6_PKS5_S8_S8_S8_S8_ffiiiiiiiiiiiii
    .private_segment_fixed_size: 0
    .sgpr_count:     36
    .sgpr_spill_count: 0
    .symbol:         _ZN5aiter35fused_qk_rmsnorm_group_quant_kernelIDF16_DB8_Li512ELi16ELi4ELb0ELb1ELb1ELb1ELb0ELb0EEEvPT0_PvPT_S6_S6_PKS5_S8_S8_S8_S8_ffiiiiiiiiiiiii.kd
    .uniform_work_group_size: 1
    .uses_dynamic_stack: false
    .vgpr_count:     35
    .vgpr_spill_count: 0
    .wavefront_size: 64
  - .agpr_count:     0
    .args:
      - .actual_access:  read_only
        .address_space:  global
        .offset:         0
        .size:           8
        .value_kind:     global_buffer
      - .actual_access:  read_only
        .address_space:  global
        .offset:         8
        .size:           8
        .value_kind:     global_buffer
      - .actual_access:  write_only
        .address_space:  global
        .offset:         16
        .size:           8
        .value_kind:     global_buffer
      - .actual_access:  write_only
        .address_space:  global
        .offset:         24
        .size:           8
        .value_kind:     global_buffer
      - .actual_access:  read_only
        .address_space:  global
        .offset:         32
        .size:           8
        .value_kind:     global_buffer
      - .actual_access:  read_only
        .address_space:  global
        .offset:         40
        .size:           8
        .value_kind:     global_buffer
      - .actual_access:  read_only
        .address_space:  global
        .offset:         48
        .size:           8
        .value_kind:     global_buffer
      - .actual_access:  read_only
        .address_space:  global
        .offset:         56
        .size:           8
        .value_kind:     global_buffer
      - .actual_access:  read_only
        .address_space:  global
        .offset:         64
        .size:           8
        .value_kind:     global_buffer
      - .actual_access:  read_only
        .address_space:  global
        .offset:         72
        .size:           8
        .value_kind:     global_buffer
      - .offset:         80
        .size:           4
        .value_kind:     by_value
      - .offset:         84
        .size:           4
        .value_kind:     by_value
      - .offset:         88
        .size:           4
        .value_kind:     by_value
      - .offset:         92
        .size:           4
        .value_kind:     by_value
      - .offset:         96
        .size:           4
        .value_kind:     by_value
      - .offset:         100
        .size:           4
        .value_kind:     by_value
      - .offset:         104
        .size:           4
        .value_kind:     by_value
      - .offset:         108
        .size:           4
        .value_kind:     by_value
      - .offset:         112
        .size:           4
        .value_kind:     by_value
      - .offset:         116
        .size:           4
        .value_kind:     by_value
      - .offset:         120
        .size:           4
        .value_kind:     by_value
      - .offset:         124
        .size:           4
        .value_kind:     by_value
      - .offset:         128
        .size:           4
        .value_kind:     by_value
      - .offset:         132
        .size:           4
        .value_kind:     by_value
      - .offset:         136
        .size:           4
        .value_kind:     by_value
      - .offset:         144
        .size:           4
        .value_kind:     hidden_block_count_x
      - .offset:         148
        .size:           4
        .value_kind:     hidden_block_count_y
      - .offset:         152
        .size:           4
        .value_kind:     hidden_block_count_z
      - .offset:         156
        .size:           2
        .value_kind:     hidden_group_size_x
      - .offset:         158
        .size:           2
        .value_kind:     hidden_group_size_y
      - .offset:         160
        .size:           2
        .value_kind:     hidden_group_size_z
      - .offset:         162
        .size:           2
        .value_kind:     hidden_remainder_x
      - .offset:         164
        .size:           2
        .value_kind:     hidden_remainder_y
      - .offset:         166
        .size:           2
        .value_kind:     hidden_remainder_z
      - .offset:         184
        .size:           8
        .value_kind:     hidden_global_offset_x
      - .offset:         192
        .size:           8
        .value_kind:     hidden_global_offset_y
      - .offset:         200
        .size:           8
        .value_kind:     hidden_global_offset_z
      - .offset:         208
        .size:           2
        .value_kind:     hidden_grid_dims
    .group_segment_fixed_size: 64
    .kernarg_segment_align: 8
    .kernarg_segment_size: 400
    .language:       OpenCL C
    .language_version:
      - 2
      - 0
    .max_flat_workgroup_size: 1024
    .name:           _ZN5aiter35fused_qk_rmsnorm_group_quant_kernelItDB8_Li512ELi16ELi4ELb0ELb1ELb1ELb1ELb0ELb0EEEvPT0_PvPT_S6_S6_PKS5_S8_S8_S8_S8_ffiiiiiiiiiiiii
    .private_segment_fixed_size: 0
    .sgpr_count:     36
    .sgpr_spill_count: 0
    .symbol:         _ZN5aiter35fused_qk_rmsnorm_group_quant_kernelItDB8_Li512ELi16ELi4ELb0ELb1ELb1ELb1ELb0ELb0EEEvPT0_PvPT_S6_S6_PKS5_S8_S8_S8_S8_ffiiiiiiiiiiiii.kd
    .uniform_work_group_size: 1
    .uses_dynamic_stack: false
    .vgpr_count:     35
    .vgpr_spill_count: 0
    .wavefront_size: 64
  - .agpr_count:     0
    .args:
      - .actual_access:  read_only
        .address_space:  global
        .offset:         0
        .size:           8
        .value_kind:     global_buffer
      - .actual_access:  read_only
        .address_space:  global
        .offset:         8
        .size:           8
        .value_kind:     global_buffer
      - .actual_access:  write_only
        .address_space:  global
        .offset:         16
        .size:           8
        .value_kind:     global_buffer
      - .actual_access:  write_only
        .address_space:  global
        .offset:         24
        .size:           8
        .value_kind:     global_buffer
      - .actual_access:  read_only
        .address_space:  global
        .offset:         32
        .size:           8
        .value_kind:     global_buffer
      - .actual_access:  read_only
        .address_space:  global
        .offset:         40
        .size:           8
        .value_kind:     global_buffer
      - .actual_access:  read_only
        .address_space:  global
        .offset:         48
        .size:           8
        .value_kind:     global_buffer
      - .actual_access:  read_only
        .address_space:  global
        .offset:         56
        .size:           8
        .value_kind:     global_buffer
      - .actual_access:  read_only
        .address_space:  global
        .offset:         64
        .size:           8
        .value_kind:     global_buffer
      - .actual_access:  read_only
        .address_space:  global
        .offset:         72
        .size:           8
        .value_kind:     global_buffer
      - .offset:         80
        .size:           4
        .value_kind:     by_value
      - .offset:         84
        .size:           4
        .value_kind:     by_value
      - .offset:         88
        .size:           4
        .value_kind:     by_value
      - .offset:         92
        .size:           4
        .value_kind:     by_value
      - .offset:         96
        .size:           4
        .value_kind:     by_value
      - .offset:         100
        .size:           4
        .value_kind:     by_value
      - .offset:         104
        .size:           4
        .value_kind:     by_value
      - .offset:         108
        .size:           4
        .value_kind:     by_value
      - .offset:         112
        .size:           4
        .value_kind:     by_value
      - .offset:         116
        .size:           4
        .value_kind:     by_value
      - .offset:         120
        .size:           4
        .value_kind:     by_value
      - .offset:         124
        .size:           4
        .value_kind:     by_value
      - .offset:         128
        .size:           4
        .value_kind:     by_value
      - .offset:         132
        .size:           4
        .value_kind:     by_value
      - .offset:         136
        .size:           4
        .value_kind:     by_value
      - .offset:         144
        .size:           4
        .value_kind:     hidden_block_count_x
      - .offset:         148
        .size:           4
        .value_kind:     hidden_block_count_y
      - .offset:         152
        .size:           4
        .value_kind:     hidden_block_count_z
      - .offset:         156
        .size:           2
        .value_kind:     hidden_group_size_x
      - .offset:         158
        .size:           2
        .value_kind:     hidden_group_size_y
      - .offset:         160
        .size:           2
        .value_kind:     hidden_group_size_z
      - .offset:         162
        .size:           2
        .value_kind:     hidden_remainder_x
      - .offset:         164
        .size:           2
        .value_kind:     hidden_remainder_y
      - .offset:         166
        .size:           2
        .value_kind:     hidden_remainder_z
      - .offset:         184
        .size:           8
        .value_kind:     hidden_global_offset_x
      - .offset:         192
        .size:           8
        .value_kind:     hidden_global_offset_y
      - .offset:         200
        .size:           8
        .value_kind:     hidden_global_offset_z
      - .offset:         208
        .size:           2
        .value_kind:     hidden_grid_dims
    .group_segment_fixed_size: 64
    .kernarg_segment_align: 8
    .kernarg_segment_size: 400
    .language:       OpenCL C
    .language_version:
      - 2
      - 0
    .max_flat_workgroup_size: 1024
    .name:           _ZN5aiter35fused_qk_rmsnorm_group_quant_kernelIDF16_N4opus5fp4_tELi512ELi16ELi4ELb0ELb1ELb1ELb1ELb0ELb0EEEvPT0_PvPT_S7_S7_PKS6_S9_S9_S9_S9_ffiiiiiiiiiiiii
    .private_segment_fixed_size: 0
    .sgpr_count:     36
    .sgpr_spill_count: 0
    .symbol:         _ZN5aiter35fused_qk_rmsnorm_group_quant_kernelIDF16_N4opus5fp4_tELi512ELi16ELi4ELb0ELb1ELb1ELb1ELb0ELb0EEEvPT0_PvPT_S7_S7_PKS6_S9_S9_S9_S9_ffiiiiiiiiiiiii.kd
    .uniform_work_group_size: 1
    .uses_dynamic_stack: false
    .vgpr_count:     35
    .vgpr_spill_count: 0
    .wavefront_size: 64
  - .agpr_count:     0
    .args:
      - .actual_access:  read_only
        .address_space:  global
        .offset:         0
        .size:           8
        .value_kind:     global_buffer
      - .actual_access:  read_only
        .address_space:  global
        .offset:         8
        .size:           8
        .value_kind:     global_buffer
      - .actual_access:  write_only
        .address_space:  global
        .offset:         16
        .size:           8
        .value_kind:     global_buffer
      - .actual_access:  write_only
        .address_space:  global
        .offset:         24
        .size:           8
        .value_kind:     global_buffer
      - .actual_access:  read_only
        .address_space:  global
        .offset:         32
        .size:           8
        .value_kind:     global_buffer
      - .actual_access:  read_only
        .address_space:  global
        .offset:         40
        .size:           8
        .value_kind:     global_buffer
      - .actual_access:  read_only
        .address_space:  global
        .offset:         48
        .size:           8
        .value_kind:     global_buffer
      - .actual_access:  read_only
        .address_space:  global
        .offset:         56
        .size:           8
        .value_kind:     global_buffer
      - .actual_access:  read_only
        .address_space:  global
        .offset:         64
        .size:           8
        .value_kind:     global_buffer
      - .actual_access:  read_only
        .address_space:  global
        .offset:         72
        .size:           8
        .value_kind:     global_buffer
      - .offset:         80
        .size:           4
        .value_kind:     by_value
      - .offset:         84
        .size:           4
        .value_kind:     by_value
      - .offset:         88
        .size:           4
        .value_kind:     by_value
      - .offset:         92
        .size:           4
        .value_kind:     by_value
      - .offset:         96
        .size:           4
        .value_kind:     by_value
      - .offset:         100
        .size:           4
        .value_kind:     by_value
      - .offset:         104
        .size:           4
        .value_kind:     by_value
      - .offset:         108
        .size:           4
        .value_kind:     by_value
      - .offset:         112
        .size:           4
        .value_kind:     by_value
      - .offset:         116
        .size:           4
        .value_kind:     by_value
      - .offset:         120
        .size:           4
        .value_kind:     by_value
      - .offset:         124
        .size:           4
        .value_kind:     by_value
      - .offset:         128
        .size:           4
        .value_kind:     by_value
      - .offset:         132
        .size:           4
        .value_kind:     by_value
      - .offset:         136
        .size:           4
        .value_kind:     by_value
      - .offset:         144
        .size:           4
        .value_kind:     hidden_block_count_x
      - .offset:         148
        .size:           4
        .value_kind:     hidden_block_count_y
      - .offset:         152
        .size:           4
        .value_kind:     hidden_block_count_z
      - .offset:         156
        .size:           2
        .value_kind:     hidden_group_size_x
      - .offset:         158
        .size:           2
        .value_kind:     hidden_group_size_y
      - .offset:         160
        .size:           2
        .value_kind:     hidden_group_size_z
      - .offset:         162
        .size:           2
        .value_kind:     hidden_remainder_x
      - .offset:         164
        .size:           2
        .value_kind:     hidden_remainder_y
      - .offset:         166
        .size:           2
        .value_kind:     hidden_remainder_z
      - .offset:         184
        .size:           8
        .value_kind:     hidden_global_offset_x
      - .offset:         192
        .size:           8
        .value_kind:     hidden_global_offset_y
      - .offset:         200
        .size:           8
        .value_kind:     hidden_global_offset_z
      - .offset:         208
        .size:           2
        .value_kind:     hidden_grid_dims
    .group_segment_fixed_size: 64
    .kernarg_segment_align: 8
    .kernarg_segment_size: 400
    .language:       OpenCL C
    .language_version:
      - 2
      - 0
    .max_flat_workgroup_size: 1024
    .name:           _ZN5aiter35fused_qk_rmsnorm_group_quant_kernelItN4opus5fp4_tELi512ELi16ELi4ELb0ELb1ELb1ELb1ELb0ELb0EEEvPT0_PvPT_S7_S7_PKS6_S9_S9_S9_S9_ffiiiiiiiiiiiii
    .private_segment_fixed_size: 0
    .sgpr_count:     36
    .sgpr_spill_count: 0
    .symbol:         _ZN5aiter35fused_qk_rmsnorm_group_quant_kernelItN4opus5fp4_tELi512ELi16ELi4ELb0ELb1ELb1ELb1ELb0ELb0EEEvPT0_PvPT_S7_S7_PKS6_S9_S9_S9_S9_ffiiiiiiiiiiiii.kd
    .uniform_work_group_size: 1
    .uses_dynamic_stack: false
    .vgpr_count:     35
    .vgpr_spill_count: 0
    .wavefront_size: 64
  - .agpr_count:     0
    .args:
      - .actual_access:  read_only
        .address_space:  global
        .offset:         0
        .size:           8
        .value_kind:     global_buffer
      - .actual_access:  read_only
        .address_space:  global
        .offset:         8
        .size:           8
        .value_kind:     global_buffer
      - .actual_access:  write_only
        .address_space:  global
        .offset:         16
        .size:           8
        .value_kind:     global_buffer
      - .actual_access:  write_only
        .address_space:  global
        .offset:         24
        .size:           8
        .value_kind:     global_buffer
      - .actual_access:  read_only
        .address_space:  global
        .offset:         32
        .size:           8
        .value_kind:     global_buffer
      - .actual_access:  read_only
        .address_space:  global
        .offset:         40
        .size:           8
        .value_kind:     global_buffer
      - .actual_access:  read_only
        .address_space:  global
        .offset:         48
        .size:           8
        .value_kind:     global_buffer
      - .actual_access:  read_only
        .address_space:  global
        .offset:         56
        .size:           8
        .value_kind:     global_buffer
      - .actual_access:  read_only
        .address_space:  global
        .offset:         64
        .size:           8
        .value_kind:     global_buffer
      - .actual_access:  read_only
        .address_space:  global
        .offset:         72
        .size:           8
        .value_kind:     global_buffer
      - .offset:         80
        .size:           4
        .value_kind:     by_value
      - .offset:         84
        .size:           4
        .value_kind:     by_value
      - .offset:         88
        .size:           4
        .value_kind:     by_value
      - .offset:         92
        .size:           4
        .value_kind:     by_value
      - .offset:         96
        .size:           4
        .value_kind:     by_value
      - .offset:         100
        .size:           4
        .value_kind:     by_value
      - .offset:         104
        .size:           4
        .value_kind:     by_value
      - .offset:         108
        .size:           4
        .value_kind:     by_value
      - .offset:         112
        .size:           4
        .value_kind:     by_value
      - .offset:         116
        .size:           4
        .value_kind:     by_value
      - .offset:         120
        .size:           4
        .value_kind:     by_value
      - .offset:         124
        .size:           4
        .value_kind:     by_value
      - .offset:         128
        .size:           4
        .value_kind:     by_value
      - .offset:         132
        .size:           4
        .value_kind:     by_value
      - .offset:         136
        .size:           4
        .value_kind:     by_value
      - .offset:         144
        .size:           4
        .value_kind:     hidden_block_count_x
      - .offset:         148
        .size:           4
        .value_kind:     hidden_block_count_y
      - .offset:         152
        .size:           4
        .value_kind:     hidden_block_count_z
      - .offset:         156
        .size:           2
        .value_kind:     hidden_group_size_x
      - .offset:         158
        .size:           2
        .value_kind:     hidden_group_size_y
      - .offset:         160
        .size:           2
        .value_kind:     hidden_group_size_z
      - .offset:         162
        .size:           2
        .value_kind:     hidden_remainder_x
      - .offset:         164
        .size:           2
        .value_kind:     hidden_remainder_y
      - .offset:         166
        .size:           2
        .value_kind:     hidden_remainder_z
      - .offset:         184
        .size:           8
        .value_kind:     hidden_global_offset_x
      - .offset:         192
        .size:           8
        .value_kind:     hidden_global_offset_y
      - .offset:         200
        .size:           8
        .value_kind:     hidden_global_offset_z
      - .offset:         208
        .size:           2
        .value_kind:     hidden_grid_dims
    .group_segment_fixed_size: 64
    .kernarg_segment_align: 8
    .kernarg_segment_size: 400
    .language:       OpenCL C
    .language_version:
      - 2
      - 0
    .max_flat_workgroup_size: 1024
    .name:           _ZN5aiter35fused_qk_rmsnorm_group_quant_kernelIDF16_DB8_Li512ELi16ELi4ELb0ELb1ELb0ELb1ELb0ELb0EEEvPT0_PvPT_S6_S6_PKS5_S8_S8_S8_S8_ffiiiiiiiiiiiii
    .private_segment_fixed_size: 0
    .sgpr_count:     36
    .sgpr_spill_count: 0
    .symbol:         _ZN5aiter35fused_qk_rmsnorm_group_quant_kernelIDF16_DB8_Li512ELi16ELi4ELb0ELb1ELb0ELb1ELb0ELb0EEEvPT0_PvPT_S6_S6_PKS5_S8_S8_S8_S8_ffiiiiiiiiiiiii.kd
    .uniform_work_group_size: 1
    .uses_dynamic_stack: false
    .vgpr_count:     35
    .vgpr_spill_count: 0
    .wavefront_size: 64
  - .agpr_count:     0
    .args:
      - .actual_access:  read_only
        .address_space:  global
        .offset:         0
        .size:           8
        .value_kind:     global_buffer
      - .actual_access:  read_only
        .address_space:  global
        .offset:         8
        .size:           8
        .value_kind:     global_buffer
      - .actual_access:  write_only
        .address_space:  global
        .offset:         16
        .size:           8
        .value_kind:     global_buffer
      - .actual_access:  write_only
        .address_space:  global
        .offset:         24
        .size:           8
        .value_kind:     global_buffer
      - .actual_access:  read_only
        .address_space:  global
        .offset:         32
        .size:           8
        .value_kind:     global_buffer
      - .actual_access:  read_only
        .address_space:  global
        .offset:         40
        .size:           8
        .value_kind:     global_buffer
      - .actual_access:  read_only
        .address_space:  global
        .offset:         48
        .size:           8
        .value_kind:     global_buffer
      - .actual_access:  read_only
        .address_space:  global
        .offset:         56
        .size:           8
        .value_kind:     global_buffer
      - .actual_access:  read_only
        .address_space:  global
        .offset:         64
        .size:           8
        .value_kind:     global_buffer
      - .actual_access:  read_only
        .address_space:  global
        .offset:         72
        .size:           8
        .value_kind:     global_buffer
      - .offset:         80
        .size:           4
        .value_kind:     by_value
      - .offset:         84
        .size:           4
        .value_kind:     by_value
      - .offset:         88
        .size:           4
        .value_kind:     by_value
      - .offset:         92
        .size:           4
        .value_kind:     by_value
      - .offset:         96
        .size:           4
        .value_kind:     by_value
      - .offset:         100
        .size:           4
        .value_kind:     by_value
      - .offset:         104
        .size:           4
        .value_kind:     by_value
      - .offset:         108
        .size:           4
        .value_kind:     by_value
      - .offset:         112
        .size:           4
        .value_kind:     by_value
      - .offset:         116
        .size:           4
        .value_kind:     by_value
      - .offset:         120
        .size:           4
        .value_kind:     by_value
      - .offset:         124
        .size:           4
        .value_kind:     by_value
      - .offset:         128
        .size:           4
        .value_kind:     by_value
      - .offset:         132
        .size:           4
        .value_kind:     by_value
      - .offset:         136
        .size:           4
        .value_kind:     by_value
      - .offset:         144
        .size:           4
        .value_kind:     hidden_block_count_x
      - .offset:         148
        .size:           4
        .value_kind:     hidden_block_count_y
      - .offset:         152
        .size:           4
        .value_kind:     hidden_block_count_z
      - .offset:         156
        .size:           2
        .value_kind:     hidden_group_size_x
      - .offset:         158
        .size:           2
        .value_kind:     hidden_group_size_y
      - .offset:         160
        .size:           2
        .value_kind:     hidden_group_size_z
      - .offset:         162
        .size:           2
        .value_kind:     hidden_remainder_x
      - .offset:         164
        .size:           2
        .value_kind:     hidden_remainder_y
      - .offset:         166
        .size:           2
        .value_kind:     hidden_remainder_z
      - .offset:         184
        .size:           8
        .value_kind:     hidden_global_offset_x
      - .offset:         192
        .size:           8
        .value_kind:     hidden_global_offset_y
      - .offset:         200
        .size:           8
        .value_kind:     hidden_global_offset_z
      - .offset:         208
        .size:           2
        .value_kind:     hidden_grid_dims
    .group_segment_fixed_size: 64
    .kernarg_segment_align: 8
    .kernarg_segment_size: 400
    .language:       OpenCL C
    .language_version:
      - 2
      - 0
    .max_flat_workgroup_size: 1024
    .name:           _ZN5aiter35fused_qk_rmsnorm_group_quant_kernelItDB8_Li512ELi16ELi4ELb0ELb1ELb0ELb1ELb0ELb0EEEvPT0_PvPT_S6_S6_PKS5_S8_S8_S8_S8_ffiiiiiiiiiiiii
    .private_segment_fixed_size: 0
    .sgpr_count:     36
    .sgpr_spill_count: 0
    .symbol:         _ZN5aiter35fused_qk_rmsnorm_group_quant_kernelItDB8_Li512ELi16ELi4ELb0ELb1ELb0ELb1ELb0ELb0EEEvPT0_PvPT_S6_S6_PKS5_S8_S8_S8_S8_ffiiiiiiiiiiiii.kd
    .uniform_work_group_size: 1
    .uses_dynamic_stack: false
    .vgpr_count:     35
    .vgpr_spill_count: 0
    .wavefront_size: 64
  - .agpr_count:     0
    .args:
      - .actual_access:  read_only
        .address_space:  global
        .offset:         0
        .size:           8
        .value_kind:     global_buffer
      - .actual_access:  read_only
        .address_space:  global
        .offset:         8
        .size:           8
        .value_kind:     global_buffer
      - .actual_access:  write_only
        .address_space:  global
        .offset:         16
        .size:           8
        .value_kind:     global_buffer
      - .actual_access:  write_only
        .address_space:  global
        .offset:         24
        .size:           8
        .value_kind:     global_buffer
      - .actual_access:  read_only
        .address_space:  global
        .offset:         32
        .size:           8
        .value_kind:     global_buffer
      - .actual_access:  read_only
        .address_space:  global
        .offset:         40
        .size:           8
        .value_kind:     global_buffer
      - .actual_access:  read_only
        .address_space:  global
        .offset:         48
        .size:           8
        .value_kind:     global_buffer
      - .actual_access:  read_only
        .address_space:  global
        .offset:         56
        .size:           8
        .value_kind:     global_buffer
      - .actual_access:  read_only
        .address_space:  global
        .offset:         64
        .size:           8
        .value_kind:     global_buffer
      - .actual_access:  read_only
        .address_space:  global
        .offset:         72
        .size:           8
        .value_kind:     global_buffer
      - .offset:         80
        .size:           4
        .value_kind:     by_value
      - .offset:         84
        .size:           4
        .value_kind:     by_value
      - .offset:         88
        .size:           4
        .value_kind:     by_value
      - .offset:         92
        .size:           4
        .value_kind:     by_value
      - .offset:         96
        .size:           4
        .value_kind:     by_value
      - .offset:         100
        .size:           4
        .value_kind:     by_value
      - .offset:         104
        .size:           4
        .value_kind:     by_value
      - .offset:         108
        .size:           4
        .value_kind:     by_value
      - .offset:         112
        .size:           4
        .value_kind:     by_value
      - .offset:         116
        .size:           4
        .value_kind:     by_value
      - .offset:         120
        .size:           4
        .value_kind:     by_value
      - .offset:         124
        .size:           4
        .value_kind:     by_value
      - .offset:         128
        .size:           4
        .value_kind:     by_value
      - .offset:         132
        .size:           4
        .value_kind:     by_value
      - .offset:         136
        .size:           4
        .value_kind:     by_value
      - .offset:         144
        .size:           4
        .value_kind:     hidden_block_count_x
      - .offset:         148
        .size:           4
        .value_kind:     hidden_block_count_y
      - .offset:         152
        .size:           4
        .value_kind:     hidden_block_count_z
      - .offset:         156
        .size:           2
        .value_kind:     hidden_group_size_x
      - .offset:         158
        .size:           2
        .value_kind:     hidden_group_size_y
      - .offset:         160
        .size:           2
        .value_kind:     hidden_group_size_z
      - .offset:         162
        .size:           2
        .value_kind:     hidden_remainder_x
      - .offset:         164
        .size:           2
        .value_kind:     hidden_remainder_y
      - .offset:         166
        .size:           2
        .value_kind:     hidden_remainder_z
      - .offset:         184
        .size:           8
        .value_kind:     hidden_global_offset_x
      - .offset:         192
        .size:           8
        .value_kind:     hidden_global_offset_y
      - .offset:         200
        .size:           8
        .value_kind:     hidden_global_offset_z
      - .offset:         208
        .size:           2
        .value_kind:     hidden_grid_dims
    .group_segment_fixed_size: 64
    .kernarg_segment_align: 8
    .kernarg_segment_size: 400
    .language:       OpenCL C
    .language_version:
      - 2
      - 0
    .max_flat_workgroup_size: 1024
    .name:           _ZN5aiter35fused_qk_rmsnorm_group_quant_kernelIDF16_N4opus5fp4_tELi512ELi16ELi4ELb0ELb1ELb0ELb1ELb0ELb0EEEvPT0_PvPT_S7_S7_PKS6_S9_S9_S9_S9_ffiiiiiiiiiiiii
    .private_segment_fixed_size: 0
    .sgpr_count:     36
    .sgpr_spill_count: 0
    .symbol:         _ZN5aiter35fused_qk_rmsnorm_group_quant_kernelIDF16_N4opus5fp4_tELi512ELi16ELi4ELb0ELb1ELb0ELb1ELb0ELb0EEEvPT0_PvPT_S7_S7_PKS6_S9_S9_S9_S9_ffiiiiiiiiiiiii.kd
    .uniform_work_group_size: 1
    .uses_dynamic_stack: false
    .vgpr_count:     35
    .vgpr_spill_count: 0
    .wavefront_size: 64
  - .agpr_count:     0
    .args:
      - .actual_access:  read_only
        .address_space:  global
        .offset:         0
        .size:           8
        .value_kind:     global_buffer
      - .actual_access:  read_only
        .address_space:  global
        .offset:         8
        .size:           8
        .value_kind:     global_buffer
      - .actual_access:  write_only
        .address_space:  global
        .offset:         16
        .size:           8
        .value_kind:     global_buffer
      - .actual_access:  write_only
        .address_space:  global
        .offset:         24
        .size:           8
        .value_kind:     global_buffer
      - .actual_access:  read_only
        .address_space:  global
        .offset:         32
        .size:           8
        .value_kind:     global_buffer
      - .actual_access:  read_only
        .address_space:  global
        .offset:         40
        .size:           8
        .value_kind:     global_buffer
      - .actual_access:  read_only
        .address_space:  global
        .offset:         48
        .size:           8
        .value_kind:     global_buffer
      - .actual_access:  read_only
        .address_space:  global
        .offset:         56
        .size:           8
        .value_kind:     global_buffer
      - .actual_access:  read_only
        .address_space:  global
        .offset:         64
        .size:           8
        .value_kind:     global_buffer
      - .actual_access:  read_only
        .address_space:  global
        .offset:         72
        .size:           8
        .value_kind:     global_buffer
      - .offset:         80
        .size:           4
        .value_kind:     by_value
      - .offset:         84
        .size:           4
        .value_kind:     by_value
      - .offset:         88
        .size:           4
        .value_kind:     by_value
      - .offset:         92
        .size:           4
        .value_kind:     by_value
      - .offset:         96
        .size:           4
        .value_kind:     by_value
      - .offset:         100
        .size:           4
        .value_kind:     by_value
      - .offset:         104
        .size:           4
        .value_kind:     by_value
      - .offset:         108
        .size:           4
        .value_kind:     by_value
      - .offset:         112
        .size:           4
        .value_kind:     by_value
      - .offset:         116
        .size:           4
        .value_kind:     by_value
      - .offset:         120
        .size:           4
        .value_kind:     by_value
      - .offset:         124
        .size:           4
        .value_kind:     by_value
      - .offset:         128
        .size:           4
        .value_kind:     by_value
      - .offset:         132
        .size:           4
        .value_kind:     by_value
      - .offset:         136
        .size:           4
        .value_kind:     by_value
      - .offset:         144
        .size:           4
        .value_kind:     hidden_block_count_x
      - .offset:         148
        .size:           4
        .value_kind:     hidden_block_count_y
      - .offset:         152
        .size:           4
        .value_kind:     hidden_block_count_z
      - .offset:         156
        .size:           2
        .value_kind:     hidden_group_size_x
      - .offset:         158
        .size:           2
        .value_kind:     hidden_group_size_y
      - .offset:         160
        .size:           2
        .value_kind:     hidden_group_size_z
      - .offset:         162
        .size:           2
        .value_kind:     hidden_remainder_x
      - .offset:         164
        .size:           2
        .value_kind:     hidden_remainder_y
      - .offset:         166
        .size:           2
        .value_kind:     hidden_remainder_z
      - .offset:         184
        .size:           8
        .value_kind:     hidden_global_offset_x
      - .offset:         192
        .size:           8
        .value_kind:     hidden_global_offset_y
      - .offset:         200
        .size:           8
        .value_kind:     hidden_global_offset_z
      - .offset:         208
        .size:           2
        .value_kind:     hidden_grid_dims
    .group_segment_fixed_size: 64
    .kernarg_segment_align: 8
    .kernarg_segment_size: 400
    .language:       OpenCL C
    .language_version:
      - 2
      - 0
    .max_flat_workgroup_size: 1024
    .name:           _ZN5aiter35fused_qk_rmsnorm_group_quant_kernelItN4opus5fp4_tELi512ELi16ELi4ELb0ELb1ELb0ELb1ELb0ELb0EEEvPT0_PvPT_S7_S7_PKS6_S9_S9_S9_S9_ffiiiiiiiiiiiii
    .private_segment_fixed_size: 0
    .sgpr_count:     36
    .sgpr_spill_count: 0
    .symbol:         _ZN5aiter35fused_qk_rmsnorm_group_quant_kernelItN4opus5fp4_tELi512ELi16ELi4ELb0ELb1ELb0ELb1ELb0ELb0EEEvPT0_PvPT_S7_S7_PKS6_S9_S9_S9_S9_ffiiiiiiiiiiiii.kd
    .uniform_work_group_size: 1
    .uses_dynamic_stack: false
    .vgpr_count:     35
    .vgpr_spill_count: 0
    .wavefront_size: 64
  - .agpr_count:     0
    .args:
      - .actual_access:  write_only
        .address_space:  global
        .offset:         0
        .size:           8
        .value_kind:     global_buffer
      - .actual_access:  write_only
        .address_space:  global
        .offset:         8
        .size:           8
        .value_kind:     global_buffer
      - .actual_access:  write_only
        .address_space:  global
        .offset:         16
        .size:           8
        .value_kind:     global_buffer
      - .actual_access:  write_only
        .address_space:  global
        .offset:         24
        .size:           8
        .value_kind:     global_buffer
      - .actual_access:  write_only
        .address_space:  global
        .offset:         32
        .size:           8
        .value_kind:     global_buffer
      - .actual_access:  read_only
        .address_space:  global
        .offset:         40
        .size:           8
        .value_kind:     global_buffer
      - .actual_access:  read_only
        .address_space:  global
        .offset:         48
        .size:           8
        .value_kind:     global_buffer
      - .actual_access:  read_only
        .address_space:  global
        .offset:         56
        .size:           8
        .value_kind:     global_buffer
      - .actual_access:  read_only
        .address_space:  global
        .offset:         64
        .size:           8
        .value_kind:     global_buffer
      - .actual_access:  read_only
        .address_space:  global
        .offset:         72
        .size:           8
        .value_kind:     global_buffer
      - .offset:         80
        .size:           4
        .value_kind:     by_value
      - .offset:         84
        .size:           4
        .value_kind:     by_value
      - .offset:         88
        .size:           4
        .value_kind:     by_value
      - .offset:         92
        .size:           4
        .value_kind:     by_value
      - .offset:         96
        .size:           4
        .value_kind:     by_value
      - .offset:         100
        .size:           4
        .value_kind:     by_value
      - .offset:         104
        .size:           4
        .value_kind:     by_value
      - .offset:         108
        .size:           4
        .value_kind:     by_value
      - .offset:         112
        .size:           4
        .value_kind:     by_value
      - .offset:         116
        .size:           4
        .value_kind:     by_value
      - .offset:         120
        .size:           4
        .value_kind:     by_value
      - .offset:         124
        .size:           4
        .value_kind:     by_value
      - .offset:         128
        .size:           4
        .value_kind:     by_value
      - .offset:         132
        .size:           4
        .value_kind:     by_value
      - .offset:         136
        .size:           4
        .value_kind:     by_value
      - .offset:         144
        .size:           4
        .value_kind:     hidden_block_count_x
      - .offset:         148
        .size:           4
        .value_kind:     hidden_block_count_y
      - .offset:         152
        .size:           4
        .value_kind:     hidden_block_count_z
      - .offset:         156
        .size:           2
        .value_kind:     hidden_group_size_x
      - .offset:         158
        .size:           2
        .value_kind:     hidden_group_size_y
      - .offset:         160
        .size:           2
        .value_kind:     hidden_group_size_z
      - .offset:         162
        .size:           2
        .value_kind:     hidden_remainder_x
      - .offset:         164
        .size:           2
        .value_kind:     hidden_remainder_y
      - .offset:         166
        .size:           2
        .value_kind:     hidden_remainder_z
      - .offset:         184
        .size:           8
        .value_kind:     hidden_global_offset_x
      - .offset:         192
        .size:           8
        .value_kind:     hidden_global_offset_y
      - .offset:         200
        .size:           8
        .value_kind:     hidden_global_offset_z
      - .offset:         208
        .size:           2
        .value_kind:     hidden_grid_dims
    .group_segment_fixed_size: 64
    .kernarg_segment_align: 8
    .kernarg_segment_size: 400
    .language:       OpenCL C
    .language_version:
      - 2
      - 0
    .max_flat_workgroup_size: 1024
    .name:           _ZN5aiter35fused_qk_rmsnorm_group_quant_kernelIDF16_DB8_Li512ELi16ELi4ELb1ELb1ELb1ELb0ELb0ELb0EEEvPT0_PvPT_S6_S6_PKS5_S8_S8_S8_S8_ffiiiiiiiiiiiii
    .private_segment_fixed_size: 0
    .sgpr_count:     48
    .sgpr_spill_count: 0
    .symbol:         _ZN5aiter35fused_qk_rmsnorm_group_quant_kernelIDF16_DB8_Li512ELi16ELi4ELb1ELb1ELb1ELb0ELb0ELb0EEEvPT0_PvPT_S6_S6_PKS5_S8_S8_S8_S8_ffiiiiiiiiiiiii.kd
    .uniform_work_group_size: 1
    .uses_dynamic_stack: false
    .vgpr_count:     90
    .vgpr_spill_count: 0
    .wavefront_size: 64
  - .agpr_count:     0
    .args:
      - .actual_access:  write_only
        .address_space:  global
        .offset:         0
        .size:           8
        .value_kind:     global_buffer
      - .actual_access:  write_only
        .address_space:  global
        .offset:         8
        .size:           8
        .value_kind:     global_buffer
      - .actual_access:  write_only
        .address_space:  global
        .offset:         16
        .size:           8
        .value_kind:     global_buffer
      - .actual_access:  write_only
        .address_space:  global
        .offset:         24
        .size:           8
        .value_kind:     global_buffer
      - .actual_access:  write_only
        .address_space:  global
        .offset:         32
        .size:           8
        .value_kind:     global_buffer
      - .actual_access:  read_only
        .address_space:  global
        .offset:         40
        .size:           8
        .value_kind:     global_buffer
      - .actual_access:  read_only
        .address_space:  global
        .offset:         48
        .size:           8
        .value_kind:     global_buffer
      - .actual_access:  read_only
        .address_space:  global
        .offset:         56
        .size:           8
        .value_kind:     global_buffer
      - .actual_access:  read_only
        .address_space:  global
        .offset:         64
        .size:           8
        .value_kind:     global_buffer
      - .actual_access:  read_only
        .address_space:  global
        .offset:         72
        .size:           8
        .value_kind:     global_buffer
      - .offset:         80
        .size:           4
        .value_kind:     by_value
      - .offset:         84
        .size:           4
        .value_kind:     by_value
      - .offset:         88
        .size:           4
        .value_kind:     by_value
      - .offset:         92
        .size:           4
        .value_kind:     by_value
      - .offset:         96
        .size:           4
        .value_kind:     by_value
      - .offset:         100
        .size:           4
        .value_kind:     by_value
      - .offset:         104
        .size:           4
        .value_kind:     by_value
      - .offset:         108
        .size:           4
        .value_kind:     by_value
      - .offset:         112
        .size:           4
        .value_kind:     by_value
      - .offset:         116
        .size:           4
        .value_kind:     by_value
      - .offset:         120
        .size:           4
        .value_kind:     by_value
      - .offset:         124
        .size:           4
        .value_kind:     by_value
      - .offset:         128
        .size:           4
        .value_kind:     by_value
      - .offset:         132
        .size:           4
        .value_kind:     by_value
      - .offset:         136
        .size:           4
        .value_kind:     by_value
      - .offset:         144
        .size:           4
        .value_kind:     hidden_block_count_x
      - .offset:         148
        .size:           4
        .value_kind:     hidden_block_count_y
      - .offset:         152
        .size:           4
        .value_kind:     hidden_block_count_z
      - .offset:         156
        .size:           2
        .value_kind:     hidden_group_size_x
      - .offset:         158
        .size:           2
        .value_kind:     hidden_group_size_y
      - .offset:         160
        .size:           2
        .value_kind:     hidden_group_size_z
      - .offset:         162
        .size:           2
        .value_kind:     hidden_remainder_x
      - .offset:         164
        .size:           2
        .value_kind:     hidden_remainder_y
      - .offset:         166
        .size:           2
        .value_kind:     hidden_remainder_z
      - .offset:         184
        .size:           8
        .value_kind:     hidden_global_offset_x
      - .offset:         192
        .size:           8
        .value_kind:     hidden_global_offset_y
      - .offset:         200
        .size:           8
        .value_kind:     hidden_global_offset_z
      - .offset:         208
        .size:           2
        .value_kind:     hidden_grid_dims
    .group_segment_fixed_size: 64
    .kernarg_segment_align: 8
    .kernarg_segment_size: 400
    .language:       OpenCL C
    .language_version:
      - 2
      - 0
    .max_flat_workgroup_size: 1024
    .name:           _ZN5aiter35fused_qk_rmsnorm_group_quant_kernelItDB8_Li512ELi16ELi4ELb1ELb1ELb1ELb0ELb0ELb0EEEvPT0_PvPT_S6_S6_PKS5_S8_S8_S8_S8_ffiiiiiiiiiiiii
    .private_segment_fixed_size: 0
    .sgpr_count:     48
    .sgpr_spill_count: 0
    .symbol:         _ZN5aiter35fused_qk_rmsnorm_group_quant_kernelItDB8_Li512ELi16ELi4ELb1ELb1ELb1ELb0ELb0ELb0EEEvPT0_PvPT_S6_S6_PKS5_S8_S8_S8_S8_ffiiiiiiiiiiiii.kd
    .uniform_work_group_size: 1
    .uses_dynamic_stack: false
    .vgpr_count:     88
    .vgpr_spill_count: 0
    .wavefront_size: 64
  - .agpr_count:     0
    .args:
      - .actual_access:  write_only
        .address_space:  global
        .offset:         0
        .size:           8
        .value_kind:     global_buffer
      - .actual_access:  write_only
        .address_space:  global
        .offset:         8
        .size:           8
        .value_kind:     global_buffer
      - .actual_access:  write_only
        .address_space:  global
        .offset:         16
        .size:           8
        .value_kind:     global_buffer
      - .actual_access:  write_only
        .address_space:  global
        .offset:         24
        .size:           8
        .value_kind:     global_buffer
      - .actual_access:  write_only
        .address_space:  global
        .offset:         32
        .size:           8
        .value_kind:     global_buffer
      - .actual_access:  read_only
        .address_space:  global
        .offset:         40
        .size:           8
        .value_kind:     global_buffer
      - .actual_access:  read_only
        .address_space:  global
        .offset:         48
        .size:           8
        .value_kind:     global_buffer
      - .actual_access:  read_only
        .address_space:  global
        .offset:         56
        .size:           8
        .value_kind:     global_buffer
      - .actual_access:  read_only
        .address_space:  global
        .offset:         64
        .size:           8
        .value_kind:     global_buffer
      - .actual_access:  read_only
        .address_space:  global
        .offset:         72
        .size:           8
        .value_kind:     global_buffer
      - .offset:         80
        .size:           4
        .value_kind:     by_value
      - .offset:         84
        .size:           4
        .value_kind:     by_value
      - .offset:         88
        .size:           4
        .value_kind:     by_value
      - .offset:         92
        .size:           4
        .value_kind:     by_value
      - .offset:         96
        .size:           4
        .value_kind:     by_value
      - .offset:         100
        .size:           4
        .value_kind:     by_value
      - .offset:         104
        .size:           4
        .value_kind:     by_value
      - .offset:         108
        .size:           4
        .value_kind:     by_value
      - .offset:         112
        .size:           4
        .value_kind:     by_value
      - .offset:         116
        .size:           4
        .value_kind:     by_value
      - .offset:         120
        .size:           4
        .value_kind:     by_value
      - .offset:         124
        .size:           4
        .value_kind:     by_value
      - .offset:         128
        .size:           4
        .value_kind:     by_value
      - .offset:         132
        .size:           4
        .value_kind:     by_value
      - .offset:         136
        .size:           4
        .value_kind:     by_value
      - .offset:         144
        .size:           4
        .value_kind:     hidden_block_count_x
      - .offset:         148
        .size:           4
        .value_kind:     hidden_block_count_y
      - .offset:         152
        .size:           4
        .value_kind:     hidden_block_count_z
      - .offset:         156
        .size:           2
        .value_kind:     hidden_group_size_x
      - .offset:         158
        .size:           2
        .value_kind:     hidden_group_size_y
      - .offset:         160
        .size:           2
        .value_kind:     hidden_group_size_z
      - .offset:         162
        .size:           2
        .value_kind:     hidden_remainder_x
      - .offset:         164
        .size:           2
        .value_kind:     hidden_remainder_y
      - .offset:         166
        .size:           2
        .value_kind:     hidden_remainder_z
      - .offset:         184
        .size:           8
        .value_kind:     hidden_global_offset_x
      - .offset:         192
        .size:           8
        .value_kind:     hidden_global_offset_y
      - .offset:         200
        .size:           8
        .value_kind:     hidden_global_offset_z
      - .offset:         208
        .size:           2
        .value_kind:     hidden_grid_dims
    .group_segment_fixed_size: 64
    .kernarg_segment_align: 8
    .kernarg_segment_size: 400
    .language:       OpenCL C
    .language_version:
      - 2
      - 0
    .max_flat_workgroup_size: 1024
    .name:           _ZN5aiter35fused_qk_rmsnorm_group_quant_kernelIDF16_N4opus5fp4_tELi512ELi16ELi4ELb1ELb1ELb1ELb0ELb0ELb0EEEvPT0_PvPT_S7_S7_PKS6_S9_S9_S9_S9_ffiiiiiiiiiiiii
    .private_segment_fixed_size: 0
    .sgpr_count:     48
    .sgpr_spill_count: 0
    .symbol:         _ZN5aiter35fused_qk_rmsnorm_group_quant_kernelIDF16_N4opus5fp4_tELi512ELi16ELi4ELb1ELb1ELb1ELb0ELb0ELb0EEEvPT0_PvPT_S7_S7_PKS6_S9_S9_S9_S9_ffiiiiiiiiiiiii.kd
    .uniform_work_group_size: 1
    .uses_dynamic_stack: false
    .vgpr_count:     49
    .vgpr_spill_count: 0
    .wavefront_size: 64
  - .agpr_count:     0
    .args:
      - .actual_access:  write_only
        .address_space:  global
        .offset:         0
        .size:           8
        .value_kind:     global_buffer
      - .actual_access:  write_only
        .address_space:  global
        .offset:         8
        .size:           8
        .value_kind:     global_buffer
      - .actual_access:  write_only
        .address_space:  global
        .offset:         16
        .size:           8
        .value_kind:     global_buffer
      - .actual_access:  write_only
        .address_space:  global
        .offset:         24
        .size:           8
        .value_kind:     global_buffer
      - .actual_access:  write_only
        .address_space:  global
        .offset:         32
        .size:           8
        .value_kind:     global_buffer
      - .actual_access:  read_only
        .address_space:  global
        .offset:         40
        .size:           8
        .value_kind:     global_buffer
      - .actual_access:  read_only
        .address_space:  global
        .offset:         48
        .size:           8
        .value_kind:     global_buffer
      - .actual_access:  read_only
        .address_space:  global
        .offset:         56
        .size:           8
        .value_kind:     global_buffer
      - .actual_access:  read_only
        .address_space:  global
        .offset:         64
        .size:           8
        .value_kind:     global_buffer
      - .actual_access:  read_only
        .address_space:  global
        .offset:         72
        .size:           8
        .value_kind:     global_buffer
      - .offset:         80
        .size:           4
        .value_kind:     by_value
      - .offset:         84
        .size:           4
        .value_kind:     by_value
      - .offset:         88
        .size:           4
        .value_kind:     by_value
      - .offset:         92
        .size:           4
        .value_kind:     by_value
      - .offset:         96
        .size:           4
        .value_kind:     by_value
      - .offset:         100
        .size:           4
        .value_kind:     by_value
      - .offset:         104
        .size:           4
        .value_kind:     by_value
      - .offset:         108
        .size:           4
        .value_kind:     by_value
      - .offset:         112
        .size:           4
        .value_kind:     by_value
      - .offset:         116
        .size:           4
        .value_kind:     by_value
      - .offset:         120
        .size:           4
        .value_kind:     by_value
      - .offset:         124
        .size:           4
        .value_kind:     by_value
      - .offset:         128
        .size:           4
        .value_kind:     by_value
      - .offset:         132
        .size:           4
        .value_kind:     by_value
      - .offset:         136
        .size:           4
        .value_kind:     by_value
      - .offset:         144
        .size:           4
        .value_kind:     hidden_block_count_x
      - .offset:         148
        .size:           4
        .value_kind:     hidden_block_count_y
      - .offset:         152
        .size:           4
        .value_kind:     hidden_block_count_z
      - .offset:         156
        .size:           2
        .value_kind:     hidden_group_size_x
      - .offset:         158
        .size:           2
        .value_kind:     hidden_group_size_y
      - .offset:         160
        .size:           2
        .value_kind:     hidden_group_size_z
      - .offset:         162
        .size:           2
        .value_kind:     hidden_remainder_x
      - .offset:         164
        .size:           2
        .value_kind:     hidden_remainder_y
      - .offset:         166
        .size:           2
        .value_kind:     hidden_remainder_z
      - .offset:         184
        .size:           8
        .value_kind:     hidden_global_offset_x
      - .offset:         192
        .size:           8
        .value_kind:     hidden_global_offset_y
      - .offset:         200
        .size:           8
        .value_kind:     hidden_global_offset_z
      - .offset:         208
        .size:           2
        .value_kind:     hidden_grid_dims
    .group_segment_fixed_size: 64
    .kernarg_segment_align: 8
    .kernarg_segment_size: 400
    .language:       OpenCL C
    .language_version:
      - 2
      - 0
    .max_flat_workgroup_size: 1024
    .name:           _ZN5aiter35fused_qk_rmsnorm_group_quant_kernelItN4opus5fp4_tELi512ELi16ELi4ELb1ELb1ELb1ELb0ELb0ELb0EEEvPT0_PvPT_S7_S7_PKS6_S9_S9_S9_S9_ffiiiiiiiiiiiii
    .private_segment_fixed_size: 0
    .sgpr_count:     48
    .sgpr_spill_count: 0
    .symbol:         _ZN5aiter35fused_qk_rmsnorm_group_quant_kernelItN4opus5fp4_tELi512ELi16ELi4ELb1ELb1ELb1ELb0ELb0ELb0EEEvPT0_PvPT_S7_S7_PKS6_S9_S9_S9_S9_ffiiiiiiiiiiiii.kd
    .uniform_work_group_size: 1
    .uses_dynamic_stack: false
    .vgpr_count:     76
    .vgpr_spill_count: 0
    .wavefront_size: 64
  - .agpr_count:     0
    .args:
      - .actual_access:  write_only
        .address_space:  global
        .offset:         0
        .size:           8
        .value_kind:     global_buffer
      - .actual_access:  write_only
        .address_space:  global
        .offset:         8
        .size:           8
        .value_kind:     global_buffer
      - .actual_access:  write_only
        .address_space:  global
        .offset:         16
        .size:           8
        .value_kind:     global_buffer
      - .actual_access:  write_only
        .address_space:  global
        .offset:         24
        .size:           8
        .value_kind:     global_buffer
      - .actual_access:  write_only
        .address_space:  global
        .offset:         32
        .size:           8
        .value_kind:     global_buffer
      - .actual_access:  read_only
        .address_space:  global
        .offset:         40
        .size:           8
        .value_kind:     global_buffer
      - .actual_access:  read_only
        .address_space:  global
        .offset:         48
        .size:           8
        .value_kind:     global_buffer
      - .actual_access:  read_only
        .address_space:  global
        .offset:         56
        .size:           8
        .value_kind:     global_buffer
      - .actual_access:  read_only
        .address_space:  global
        .offset:         64
        .size:           8
        .value_kind:     global_buffer
      - .actual_access:  read_only
        .address_space:  global
        .offset:         72
        .size:           8
        .value_kind:     global_buffer
      - .offset:         80
        .size:           4
        .value_kind:     by_value
      - .offset:         84
        .size:           4
        .value_kind:     by_value
      - .offset:         88
        .size:           4
        .value_kind:     by_value
      - .offset:         92
        .size:           4
        .value_kind:     by_value
      - .offset:         96
        .size:           4
        .value_kind:     by_value
      - .offset:         100
        .size:           4
        .value_kind:     by_value
      - .offset:         104
        .size:           4
        .value_kind:     by_value
      - .offset:         108
        .size:           4
        .value_kind:     by_value
      - .offset:         112
        .size:           4
        .value_kind:     by_value
      - .offset:         116
        .size:           4
        .value_kind:     by_value
      - .offset:         120
        .size:           4
        .value_kind:     by_value
      - .offset:         124
        .size:           4
        .value_kind:     by_value
      - .offset:         128
        .size:           4
        .value_kind:     by_value
      - .offset:         132
        .size:           4
        .value_kind:     by_value
      - .offset:         136
        .size:           4
        .value_kind:     by_value
      - .offset:         144
        .size:           4
        .value_kind:     hidden_block_count_x
      - .offset:         148
        .size:           4
        .value_kind:     hidden_block_count_y
      - .offset:         152
        .size:           4
        .value_kind:     hidden_block_count_z
      - .offset:         156
        .size:           2
        .value_kind:     hidden_group_size_x
      - .offset:         158
        .size:           2
        .value_kind:     hidden_group_size_y
      - .offset:         160
        .size:           2
        .value_kind:     hidden_group_size_z
      - .offset:         162
        .size:           2
        .value_kind:     hidden_remainder_x
      - .offset:         164
        .size:           2
        .value_kind:     hidden_remainder_y
      - .offset:         166
        .size:           2
        .value_kind:     hidden_remainder_z
      - .offset:         184
        .size:           8
        .value_kind:     hidden_global_offset_x
      - .offset:         192
        .size:           8
        .value_kind:     hidden_global_offset_y
      - .offset:         200
        .size:           8
        .value_kind:     hidden_global_offset_z
      - .offset:         208
        .size:           2
        .value_kind:     hidden_grid_dims
    .group_segment_fixed_size: 64
    .kernarg_segment_align: 8
    .kernarg_segment_size: 400
    .language:       OpenCL C
    .language_version:
      - 2
      - 0
    .max_flat_workgroup_size: 1024
    .name:           _ZN5aiter35fused_qk_rmsnorm_group_quant_kernelIDF16_DB8_Li512ELi16ELi4ELb1ELb1ELb0ELb0ELb0ELb0EEEvPT0_PvPT_S6_S6_PKS5_S8_S8_S8_S8_ffiiiiiiiiiiiii
    .private_segment_fixed_size: 0
    .sgpr_count:     48
    .sgpr_spill_count: 0
    .symbol:         _ZN5aiter35fused_qk_rmsnorm_group_quant_kernelIDF16_DB8_Li512ELi16ELi4ELb1ELb1ELb0ELb0ELb0ELb0EEEvPT0_PvPT_S6_S6_PKS5_S8_S8_S8_S8_ffiiiiiiiiiiiii.kd
    .uniform_work_group_size: 1
    .uses_dynamic_stack: false
    .vgpr_count:     94
    .vgpr_spill_count: 0
    .wavefront_size: 64
  - .agpr_count:     0
    .args:
      - .actual_access:  write_only
        .address_space:  global
        .offset:         0
        .size:           8
        .value_kind:     global_buffer
      - .actual_access:  write_only
        .address_space:  global
        .offset:         8
        .size:           8
        .value_kind:     global_buffer
      - .actual_access:  write_only
        .address_space:  global
        .offset:         16
        .size:           8
        .value_kind:     global_buffer
      - .actual_access:  write_only
        .address_space:  global
        .offset:         24
        .size:           8
        .value_kind:     global_buffer
      - .actual_access:  write_only
        .address_space:  global
        .offset:         32
        .size:           8
        .value_kind:     global_buffer
      - .actual_access:  read_only
        .address_space:  global
        .offset:         40
        .size:           8
        .value_kind:     global_buffer
      - .actual_access:  read_only
        .address_space:  global
        .offset:         48
        .size:           8
        .value_kind:     global_buffer
      - .actual_access:  read_only
        .address_space:  global
        .offset:         56
        .size:           8
        .value_kind:     global_buffer
      - .actual_access:  read_only
        .address_space:  global
        .offset:         64
        .size:           8
        .value_kind:     global_buffer
      - .actual_access:  read_only
        .address_space:  global
        .offset:         72
        .size:           8
        .value_kind:     global_buffer
      - .offset:         80
        .size:           4
        .value_kind:     by_value
      - .offset:         84
        .size:           4
        .value_kind:     by_value
      - .offset:         88
        .size:           4
        .value_kind:     by_value
      - .offset:         92
        .size:           4
        .value_kind:     by_value
      - .offset:         96
        .size:           4
        .value_kind:     by_value
      - .offset:         100
        .size:           4
        .value_kind:     by_value
      - .offset:         104
        .size:           4
        .value_kind:     by_value
      - .offset:         108
        .size:           4
        .value_kind:     by_value
      - .offset:         112
        .size:           4
        .value_kind:     by_value
      - .offset:         116
        .size:           4
        .value_kind:     by_value
      - .offset:         120
        .size:           4
        .value_kind:     by_value
      - .offset:         124
        .size:           4
        .value_kind:     by_value
      - .offset:         128
        .size:           4
        .value_kind:     by_value
      - .offset:         132
        .size:           4
        .value_kind:     by_value
      - .offset:         136
        .size:           4
        .value_kind:     by_value
      - .offset:         144
        .size:           4
        .value_kind:     hidden_block_count_x
      - .offset:         148
        .size:           4
        .value_kind:     hidden_block_count_y
      - .offset:         152
        .size:           4
        .value_kind:     hidden_block_count_z
      - .offset:         156
        .size:           2
        .value_kind:     hidden_group_size_x
      - .offset:         158
        .size:           2
        .value_kind:     hidden_group_size_y
      - .offset:         160
        .size:           2
        .value_kind:     hidden_group_size_z
      - .offset:         162
        .size:           2
        .value_kind:     hidden_remainder_x
      - .offset:         164
        .size:           2
        .value_kind:     hidden_remainder_y
      - .offset:         166
        .size:           2
        .value_kind:     hidden_remainder_z
      - .offset:         184
        .size:           8
        .value_kind:     hidden_global_offset_x
      - .offset:         192
        .size:           8
        .value_kind:     hidden_global_offset_y
      - .offset:         200
        .size:           8
        .value_kind:     hidden_global_offset_z
      - .offset:         208
        .size:           2
        .value_kind:     hidden_grid_dims
    .group_segment_fixed_size: 64
    .kernarg_segment_align: 8
    .kernarg_segment_size: 400
    .language:       OpenCL C
    .language_version:
      - 2
      - 0
    .max_flat_workgroup_size: 1024
    .name:           _ZN5aiter35fused_qk_rmsnorm_group_quant_kernelItDB8_Li512ELi16ELi4ELb1ELb1ELb0ELb0ELb0ELb0EEEvPT0_PvPT_S6_S6_PKS5_S8_S8_S8_S8_ffiiiiiiiiiiiii
    .private_segment_fixed_size: 0
    .sgpr_count:     48
    .sgpr_spill_count: 0
    .symbol:         _ZN5aiter35fused_qk_rmsnorm_group_quant_kernelItDB8_Li512ELi16ELi4ELb1ELb1ELb0ELb0ELb0ELb0EEEvPT0_PvPT_S6_S6_PKS5_S8_S8_S8_S8_ffiiiiiiiiiiiii.kd
    .uniform_work_group_size: 1
    .uses_dynamic_stack: false
    .vgpr_count:     96
    .vgpr_spill_count: 0
    .wavefront_size: 64
  - .agpr_count:     0
    .args:
      - .actual_access:  write_only
        .address_space:  global
        .offset:         0
        .size:           8
        .value_kind:     global_buffer
      - .actual_access:  write_only
        .address_space:  global
        .offset:         8
        .size:           8
        .value_kind:     global_buffer
      - .actual_access:  write_only
        .address_space:  global
        .offset:         16
        .size:           8
        .value_kind:     global_buffer
      - .actual_access:  write_only
        .address_space:  global
        .offset:         24
        .size:           8
        .value_kind:     global_buffer
      - .actual_access:  write_only
        .address_space:  global
        .offset:         32
        .size:           8
        .value_kind:     global_buffer
      - .actual_access:  read_only
        .address_space:  global
        .offset:         40
        .size:           8
        .value_kind:     global_buffer
      - .actual_access:  read_only
        .address_space:  global
        .offset:         48
        .size:           8
        .value_kind:     global_buffer
      - .actual_access:  read_only
        .address_space:  global
        .offset:         56
        .size:           8
        .value_kind:     global_buffer
      - .actual_access:  read_only
        .address_space:  global
        .offset:         64
        .size:           8
        .value_kind:     global_buffer
      - .actual_access:  read_only
        .address_space:  global
        .offset:         72
        .size:           8
        .value_kind:     global_buffer
      - .offset:         80
        .size:           4
        .value_kind:     by_value
      - .offset:         84
        .size:           4
        .value_kind:     by_value
      - .offset:         88
        .size:           4
        .value_kind:     by_value
      - .offset:         92
        .size:           4
        .value_kind:     by_value
      - .offset:         96
        .size:           4
        .value_kind:     by_value
      - .offset:         100
        .size:           4
        .value_kind:     by_value
      - .offset:         104
        .size:           4
        .value_kind:     by_value
      - .offset:         108
        .size:           4
        .value_kind:     by_value
      - .offset:         112
        .size:           4
        .value_kind:     by_value
      - .offset:         116
        .size:           4
        .value_kind:     by_value
      - .offset:         120
        .size:           4
        .value_kind:     by_value
      - .offset:         124
        .size:           4
        .value_kind:     by_value
      - .offset:         128
        .size:           4
        .value_kind:     by_value
      - .offset:         132
        .size:           4
        .value_kind:     by_value
      - .offset:         136
        .size:           4
        .value_kind:     by_value
      - .offset:         144
        .size:           4
        .value_kind:     hidden_block_count_x
      - .offset:         148
        .size:           4
        .value_kind:     hidden_block_count_y
      - .offset:         152
        .size:           4
        .value_kind:     hidden_block_count_z
      - .offset:         156
        .size:           2
        .value_kind:     hidden_group_size_x
      - .offset:         158
        .size:           2
        .value_kind:     hidden_group_size_y
      - .offset:         160
        .size:           2
        .value_kind:     hidden_group_size_z
      - .offset:         162
        .size:           2
        .value_kind:     hidden_remainder_x
      - .offset:         164
        .size:           2
        .value_kind:     hidden_remainder_y
      - .offset:         166
        .size:           2
        .value_kind:     hidden_remainder_z
      - .offset:         184
        .size:           8
        .value_kind:     hidden_global_offset_x
      - .offset:         192
        .size:           8
        .value_kind:     hidden_global_offset_y
      - .offset:         200
        .size:           8
        .value_kind:     hidden_global_offset_z
      - .offset:         208
        .size:           2
        .value_kind:     hidden_grid_dims
    .group_segment_fixed_size: 64
    .kernarg_segment_align: 8
    .kernarg_segment_size: 400
    .language:       OpenCL C
    .language_version:
      - 2
      - 0
    .max_flat_workgroup_size: 1024
    .name:           _ZN5aiter35fused_qk_rmsnorm_group_quant_kernelIDF16_N4opus5fp4_tELi512ELi16ELi4ELb1ELb1ELb0ELb0ELb0ELb0EEEvPT0_PvPT_S7_S7_PKS6_S9_S9_S9_S9_ffiiiiiiiiiiiii
    .private_segment_fixed_size: 0
    .sgpr_count:     48
    .sgpr_spill_count: 0
    .symbol:         _ZN5aiter35fused_qk_rmsnorm_group_quant_kernelIDF16_N4opus5fp4_tELi512ELi16ELi4ELb1ELb1ELb0ELb0ELb0ELb0EEEvPT0_PvPT_S7_S7_PKS6_S9_S9_S9_S9_ffiiiiiiiiiiiii.kd
    .uniform_work_group_size: 1
    .uses_dynamic_stack: false
    .vgpr_count:     47
    .vgpr_spill_count: 0
    .wavefront_size: 64
  - .agpr_count:     0
    .args:
      - .actual_access:  write_only
        .address_space:  global
        .offset:         0
        .size:           8
        .value_kind:     global_buffer
      - .actual_access:  write_only
        .address_space:  global
        .offset:         8
        .size:           8
        .value_kind:     global_buffer
      - .actual_access:  write_only
        .address_space:  global
        .offset:         16
        .size:           8
        .value_kind:     global_buffer
      - .actual_access:  write_only
        .address_space:  global
        .offset:         24
        .size:           8
        .value_kind:     global_buffer
      - .actual_access:  write_only
        .address_space:  global
        .offset:         32
        .size:           8
        .value_kind:     global_buffer
      - .actual_access:  read_only
        .address_space:  global
        .offset:         40
        .size:           8
        .value_kind:     global_buffer
      - .actual_access:  read_only
        .address_space:  global
        .offset:         48
        .size:           8
        .value_kind:     global_buffer
      - .actual_access:  read_only
        .address_space:  global
        .offset:         56
        .size:           8
        .value_kind:     global_buffer
      - .actual_access:  read_only
        .address_space:  global
        .offset:         64
        .size:           8
        .value_kind:     global_buffer
      - .actual_access:  read_only
        .address_space:  global
        .offset:         72
        .size:           8
        .value_kind:     global_buffer
      - .offset:         80
        .size:           4
        .value_kind:     by_value
      - .offset:         84
        .size:           4
        .value_kind:     by_value
      - .offset:         88
        .size:           4
        .value_kind:     by_value
      - .offset:         92
        .size:           4
        .value_kind:     by_value
      - .offset:         96
        .size:           4
        .value_kind:     by_value
      - .offset:         100
        .size:           4
        .value_kind:     by_value
      - .offset:         104
        .size:           4
        .value_kind:     by_value
      - .offset:         108
        .size:           4
        .value_kind:     by_value
      - .offset:         112
        .size:           4
        .value_kind:     by_value
      - .offset:         116
        .size:           4
        .value_kind:     by_value
      - .offset:         120
        .size:           4
        .value_kind:     by_value
      - .offset:         124
        .size:           4
        .value_kind:     by_value
      - .offset:         128
        .size:           4
        .value_kind:     by_value
      - .offset:         132
        .size:           4
        .value_kind:     by_value
      - .offset:         136
        .size:           4
        .value_kind:     by_value
      - .offset:         144
        .size:           4
        .value_kind:     hidden_block_count_x
      - .offset:         148
        .size:           4
        .value_kind:     hidden_block_count_y
      - .offset:         152
        .size:           4
        .value_kind:     hidden_block_count_z
      - .offset:         156
        .size:           2
        .value_kind:     hidden_group_size_x
      - .offset:         158
        .size:           2
        .value_kind:     hidden_group_size_y
      - .offset:         160
        .size:           2
        .value_kind:     hidden_group_size_z
      - .offset:         162
        .size:           2
        .value_kind:     hidden_remainder_x
      - .offset:         164
        .size:           2
        .value_kind:     hidden_remainder_y
      - .offset:         166
        .size:           2
        .value_kind:     hidden_remainder_z
      - .offset:         184
        .size:           8
        .value_kind:     hidden_global_offset_x
      - .offset:         192
        .size:           8
        .value_kind:     hidden_global_offset_y
      - .offset:         200
        .size:           8
        .value_kind:     hidden_global_offset_z
      - .offset:         208
        .size:           2
        .value_kind:     hidden_grid_dims
    .group_segment_fixed_size: 64
    .kernarg_segment_align: 8
    .kernarg_segment_size: 400
    .language:       OpenCL C
    .language_version:
      - 2
      - 0
    .max_flat_workgroup_size: 1024
    .name:           _ZN5aiter35fused_qk_rmsnorm_group_quant_kernelItN4opus5fp4_tELi512ELi16ELi4ELb1ELb1ELb0ELb0ELb0ELb0EEEvPT0_PvPT_S7_S7_PKS6_S9_S9_S9_S9_ffiiiiiiiiiiiii
    .private_segment_fixed_size: 0
    .sgpr_count:     48
    .sgpr_spill_count: 0
    .symbol:         _ZN5aiter35fused_qk_rmsnorm_group_quant_kernelItN4opus5fp4_tELi512ELi16ELi4ELb1ELb1ELb0ELb0ELb0ELb0EEEvPT0_PvPT_S7_S7_PKS6_S9_S9_S9_S9_ffiiiiiiiiiiiii.kd
    .uniform_work_group_size: 1
    .uses_dynamic_stack: false
    .vgpr_count:     94
    .vgpr_spill_count: 0
    .wavefront_size: 64
  - .agpr_count:     0
    .args:
      - .actual_access:  write_only
        .address_space:  global
        .offset:         0
        .size:           8
        .value_kind:     global_buffer
      - .actual_access:  write_only
        .address_space:  global
        .offset:         8
        .size:           8
        .value_kind:     global_buffer
      - .actual_access:  read_only
        .address_space:  global
        .offset:         16
        .size:           8
        .value_kind:     global_buffer
      - .actual_access:  write_only
        .address_space:  global
        .offset:         24
        .size:           8
        .value_kind:     global_buffer
      - .actual_access:  write_only
        .address_space:  global
        .offset:         32
        .size:           8
        .value_kind:     global_buffer
      - .actual_access:  read_only
        .address_space:  global
        .offset:         40
        .size:           8
        .value_kind:     global_buffer
      - .actual_access:  read_only
        .address_space:  global
        .offset:         48
        .size:           8
        .value_kind:     global_buffer
      - .actual_access:  read_only
        .address_space:  global
        .offset:         56
        .size:           8
        .value_kind:     global_buffer
      - .actual_access:  read_only
        .address_space:  global
        .offset:         64
        .size:           8
        .value_kind:     global_buffer
      - .actual_access:  read_only
        .address_space:  global
        .offset:         72
        .size:           8
        .value_kind:     global_buffer
      - .offset:         80
        .size:           4
        .value_kind:     by_value
      - .offset:         84
        .size:           4
        .value_kind:     by_value
      - .offset:         88
        .size:           4
        .value_kind:     by_value
      - .offset:         92
        .size:           4
        .value_kind:     by_value
      - .offset:         96
        .size:           4
        .value_kind:     by_value
      - .offset:         100
        .size:           4
        .value_kind:     by_value
      - .offset:         104
        .size:           4
        .value_kind:     by_value
      - .offset:         108
        .size:           4
        .value_kind:     by_value
      - .offset:         112
        .size:           4
        .value_kind:     by_value
      - .offset:         116
        .size:           4
        .value_kind:     by_value
      - .offset:         120
        .size:           4
        .value_kind:     by_value
      - .offset:         124
        .size:           4
        .value_kind:     by_value
      - .offset:         128
        .size:           4
        .value_kind:     by_value
      - .offset:         132
        .size:           4
        .value_kind:     by_value
      - .offset:         136
        .size:           4
        .value_kind:     by_value
      - .offset:         144
        .size:           4
        .value_kind:     hidden_block_count_x
      - .offset:         148
        .size:           4
        .value_kind:     hidden_block_count_y
      - .offset:         152
        .size:           4
        .value_kind:     hidden_block_count_z
      - .offset:         156
        .size:           2
        .value_kind:     hidden_group_size_x
      - .offset:         158
        .size:           2
        .value_kind:     hidden_group_size_y
      - .offset:         160
        .size:           2
        .value_kind:     hidden_group_size_z
      - .offset:         162
        .size:           2
        .value_kind:     hidden_remainder_x
      - .offset:         164
        .size:           2
        .value_kind:     hidden_remainder_y
      - .offset:         166
        .size:           2
        .value_kind:     hidden_remainder_z
      - .offset:         184
        .size:           8
        .value_kind:     hidden_global_offset_x
      - .offset:         192
        .size:           8
        .value_kind:     hidden_global_offset_y
      - .offset:         200
        .size:           8
        .value_kind:     hidden_global_offset_z
      - .offset:         208
        .size:           2
        .value_kind:     hidden_grid_dims
    .group_segment_fixed_size: 64
    .kernarg_segment_align: 8
    .kernarg_segment_size: 400
    .language:       OpenCL C
    .language_version:
      - 2
      - 0
    .max_flat_workgroup_size: 1024
    .name:           _ZN5aiter35fused_qk_rmsnorm_group_quant_kernelIDF16_DB8_Li512ELi16ELi4ELb1ELb0ELb1ELb0ELb0ELb0EEEvPT0_PvPT_S6_S6_PKS5_S8_S8_S8_S8_ffiiiiiiiiiiiii
    .private_segment_fixed_size: 0
    .sgpr_count:     48
    .sgpr_spill_count: 0
    .symbol:         _ZN5aiter35fused_qk_rmsnorm_group_quant_kernelIDF16_DB8_Li512ELi16ELi4ELb1ELb0ELb1ELb0ELb0ELb0EEEvPT0_PvPT_S6_S6_PKS5_S8_S8_S8_S8_ffiiiiiiiiiiiii.kd
    .uniform_work_group_size: 1
    .uses_dynamic_stack: false
    .vgpr_count:     90
    .vgpr_spill_count: 0
    .wavefront_size: 64
  - .agpr_count:     0
    .args:
      - .actual_access:  write_only
        .address_space:  global
        .offset:         0
        .size:           8
        .value_kind:     global_buffer
      - .actual_access:  write_only
        .address_space:  global
        .offset:         8
        .size:           8
        .value_kind:     global_buffer
      - .actual_access:  read_only
        .address_space:  global
        .offset:         16
        .size:           8
        .value_kind:     global_buffer
      - .actual_access:  write_only
        .address_space:  global
        .offset:         24
        .size:           8
        .value_kind:     global_buffer
      - .actual_access:  write_only
        .address_space:  global
        .offset:         32
        .size:           8
        .value_kind:     global_buffer
      - .actual_access:  read_only
        .address_space:  global
        .offset:         40
        .size:           8
        .value_kind:     global_buffer
      - .actual_access:  read_only
        .address_space:  global
        .offset:         48
        .size:           8
        .value_kind:     global_buffer
      - .actual_access:  read_only
        .address_space:  global
        .offset:         56
        .size:           8
        .value_kind:     global_buffer
      - .actual_access:  read_only
        .address_space:  global
        .offset:         64
        .size:           8
        .value_kind:     global_buffer
      - .actual_access:  read_only
        .address_space:  global
        .offset:         72
        .size:           8
        .value_kind:     global_buffer
      - .offset:         80
        .size:           4
        .value_kind:     by_value
      - .offset:         84
        .size:           4
        .value_kind:     by_value
      - .offset:         88
        .size:           4
        .value_kind:     by_value
      - .offset:         92
        .size:           4
        .value_kind:     by_value
      - .offset:         96
        .size:           4
        .value_kind:     by_value
      - .offset:         100
        .size:           4
        .value_kind:     by_value
      - .offset:         104
        .size:           4
        .value_kind:     by_value
      - .offset:         108
        .size:           4
        .value_kind:     by_value
      - .offset:         112
        .size:           4
        .value_kind:     by_value
      - .offset:         116
        .size:           4
        .value_kind:     by_value
      - .offset:         120
        .size:           4
        .value_kind:     by_value
      - .offset:         124
        .size:           4
        .value_kind:     by_value
      - .offset:         128
        .size:           4
        .value_kind:     by_value
      - .offset:         132
        .size:           4
        .value_kind:     by_value
      - .offset:         136
        .size:           4
        .value_kind:     by_value
      - .offset:         144
        .size:           4
        .value_kind:     hidden_block_count_x
      - .offset:         148
        .size:           4
        .value_kind:     hidden_block_count_y
      - .offset:         152
        .size:           4
        .value_kind:     hidden_block_count_z
      - .offset:         156
        .size:           2
        .value_kind:     hidden_group_size_x
      - .offset:         158
        .size:           2
        .value_kind:     hidden_group_size_y
      - .offset:         160
        .size:           2
        .value_kind:     hidden_group_size_z
      - .offset:         162
        .size:           2
        .value_kind:     hidden_remainder_x
      - .offset:         164
        .size:           2
        .value_kind:     hidden_remainder_y
      - .offset:         166
        .size:           2
        .value_kind:     hidden_remainder_z
      - .offset:         184
        .size:           8
        .value_kind:     hidden_global_offset_x
      - .offset:         192
        .size:           8
        .value_kind:     hidden_global_offset_y
      - .offset:         200
        .size:           8
        .value_kind:     hidden_global_offset_z
      - .offset:         208
        .size:           2
        .value_kind:     hidden_grid_dims
    .group_segment_fixed_size: 64
    .kernarg_segment_align: 8
    .kernarg_segment_size: 400
    .language:       OpenCL C
    .language_version:
      - 2
      - 0
    .max_flat_workgroup_size: 1024
    .name:           _ZN5aiter35fused_qk_rmsnorm_group_quant_kernelItDB8_Li512ELi16ELi4ELb1ELb0ELb1ELb0ELb0ELb0EEEvPT0_PvPT_S6_S6_PKS5_S8_S8_S8_S8_ffiiiiiiiiiiiii
    .private_segment_fixed_size: 0
    .sgpr_count:     48
    .sgpr_spill_count: 0
    .symbol:         _ZN5aiter35fused_qk_rmsnorm_group_quant_kernelItDB8_Li512ELi16ELi4ELb1ELb0ELb1ELb0ELb0ELb0EEEvPT0_PvPT_S6_S6_PKS5_S8_S8_S8_S8_ffiiiiiiiiiiiii.kd
    .uniform_work_group_size: 1
    .uses_dynamic_stack: false
    .vgpr_count:     88
    .vgpr_spill_count: 0
    .wavefront_size: 64
  - .agpr_count:     0
    .args:
      - .actual_access:  write_only
        .address_space:  global
        .offset:         0
        .size:           8
        .value_kind:     global_buffer
      - .actual_access:  write_only
        .address_space:  global
        .offset:         8
        .size:           8
        .value_kind:     global_buffer
      - .actual_access:  read_only
        .address_space:  global
        .offset:         16
        .size:           8
        .value_kind:     global_buffer
      - .actual_access:  write_only
        .address_space:  global
        .offset:         24
        .size:           8
        .value_kind:     global_buffer
      - .actual_access:  write_only
        .address_space:  global
        .offset:         32
        .size:           8
        .value_kind:     global_buffer
      - .actual_access:  read_only
        .address_space:  global
        .offset:         40
        .size:           8
        .value_kind:     global_buffer
      - .actual_access:  read_only
        .address_space:  global
        .offset:         48
        .size:           8
        .value_kind:     global_buffer
      - .actual_access:  read_only
        .address_space:  global
        .offset:         56
        .size:           8
        .value_kind:     global_buffer
      - .actual_access:  read_only
        .address_space:  global
        .offset:         64
        .size:           8
        .value_kind:     global_buffer
      - .actual_access:  read_only
        .address_space:  global
        .offset:         72
        .size:           8
        .value_kind:     global_buffer
      - .offset:         80
        .size:           4
        .value_kind:     by_value
      - .offset:         84
        .size:           4
        .value_kind:     by_value
      - .offset:         88
        .size:           4
        .value_kind:     by_value
      - .offset:         92
        .size:           4
        .value_kind:     by_value
      - .offset:         96
        .size:           4
        .value_kind:     by_value
      - .offset:         100
        .size:           4
        .value_kind:     by_value
      - .offset:         104
        .size:           4
        .value_kind:     by_value
      - .offset:         108
        .size:           4
        .value_kind:     by_value
      - .offset:         112
        .size:           4
        .value_kind:     by_value
      - .offset:         116
        .size:           4
        .value_kind:     by_value
      - .offset:         120
        .size:           4
        .value_kind:     by_value
      - .offset:         124
        .size:           4
        .value_kind:     by_value
      - .offset:         128
        .size:           4
        .value_kind:     by_value
      - .offset:         132
        .size:           4
        .value_kind:     by_value
      - .offset:         136
        .size:           4
        .value_kind:     by_value
      - .offset:         144
        .size:           4
        .value_kind:     hidden_block_count_x
      - .offset:         148
        .size:           4
        .value_kind:     hidden_block_count_y
      - .offset:         152
        .size:           4
        .value_kind:     hidden_block_count_z
      - .offset:         156
        .size:           2
        .value_kind:     hidden_group_size_x
      - .offset:         158
        .size:           2
        .value_kind:     hidden_group_size_y
      - .offset:         160
        .size:           2
        .value_kind:     hidden_group_size_z
      - .offset:         162
        .size:           2
        .value_kind:     hidden_remainder_x
      - .offset:         164
        .size:           2
        .value_kind:     hidden_remainder_y
      - .offset:         166
        .size:           2
        .value_kind:     hidden_remainder_z
      - .offset:         184
        .size:           8
        .value_kind:     hidden_global_offset_x
      - .offset:         192
        .size:           8
        .value_kind:     hidden_global_offset_y
      - .offset:         200
        .size:           8
        .value_kind:     hidden_global_offset_z
      - .offset:         208
        .size:           2
        .value_kind:     hidden_grid_dims
    .group_segment_fixed_size: 64
    .kernarg_segment_align: 8
    .kernarg_segment_size: 400
    .language:       OpenCL C
    .language_version:
      - 2
      - 0
    .max_flat_workgroup_size: 1024
    .name:           _ZN5aiter35fused_qk_rmsnorm_group_quant_kernelIDF16_N4opus5fp4_tELi512ELi16ELi4ELb1ELb0ELb1ELb0ELb0ELb0EEEvPT0_PvPT_S7_S7_PKS6_S9_S9_S9_S9_ffiiiiiiiiiiiii
    .private_segment_fixed_size: 0
    .sgpr_count:     44
    .sgpr_spill_count: 0
    .symbol:         _ZN5aiter35fused_qk_rmsnorm_group_quant_kernelIDF16_N4opus5fp4_tELi512ELi16ELi4ELb1ELb0ELb1ELb0ELb0ELb0EEEvPT0_PvPT_S7_S7_PKS6_S9_S9_S9_S9_ffiiiiiiiiiiiii.kd
    .uniform_work_group_size: 1
    .uses_dynamic_stack: false
    .vgpr_count:     49
    .vgpr_spill_count: 0
    .wavefront_size: 64
  - .agpr_count:     0
    .args:
      - .actual_access:  write_only
        .address_space:  global
        .offset:         0
        .size:           8
        .value_kind:     global_buffer
      - .actual_access:  write_only
        .address_space:  global
        .offset:         8
        .size:           8
        .value_kind:     global_buffer
      - .actual_access:  read_only
        .address_space:  global
        .offset:         16
        .size:           8
        .value_kind:     global_buffer
      - .actual_access:  write_only
        .address_space:  global
        .offset:         24
        .size:           8
        .value_kind:     global_buffer
      - .actual_access:  write_only
        .address_space:  global
        .offset:         32
        .size:           8
        .value_kind:     global_buffer
      - .actual_access:  read_only
        .address_space:  global
        .offset:         40
        .size:           8
        .value_kind:     global_buffer
      - .actual_access:  read_only
        .address_space:  global
        .offset:         48
        .size:           8
        .value_kind:     global_buffer
      - .actual_access:  read_only
        .address_space:  global
        .offset:         56
        .size:           8
        .value_kind:     global_buffer
      - .actual_access:  read_only
        .address_space:  global
        .offset:         64
        .size:           8
        .value_kind:     global_buffer
      - .actual_access:  read_only
        .address_space:  global
        .offset:         72
        .size:           8
        .value_kind:     global_buffer
      - .offset:         80
        .size:           4
        .value_kind:     by_value
      - .offset:         84
        .size:           4
        .value_kind:     by_value
      - .offset:         88
        .size:           4
        .value_kind:     by_value
      - .offset:         92
        .size:           4
        .value_kind:     by_value
      - .offset:         96
        .size:           4
        .value_kind:     by_value
      - .offset:         100
        .size:           4
        .value_kind:     by_value
      - .offset:         104
        .size:           4
        .value_kind:     by_value
      - .offset:         108
        .size:           4
        .value_kind:     by_value
      - .offset:         112
        .size:           4
        .value_kind:     by_value
      - .offset:         116
        .size:           4
        .value_kind:     by_value
      - .offset:         120
        .size:           4
        .value_kind:     by_value
      - .offset:         124
        .size:           4
        .value_kind:     by_value
      - .offset:         128
        .size:           4
        .value_kind:     by_value
      - .offset:         132
        .size:           4
        .value_kind:     by_value
      - .offset:         136
        .size:           4
        .value_kind:     by_value
      - .offset:         144
        .size:           4
        .value_kind:     hidden_block_count_x
      - .offset:         148
        .size:           4
        .value_kind:     hidden_block_count_y
      - .offset:         152
        .size:           4
        .value_kind:     hidden_block_count_z
      - .offset:         156
        .size:           2
        .value_kind:     hidden_group_size_x
      - .offset:         158
        .size:           2
        .value_kind:     hidden_group_size_y
      - .offset:         160
        .size:           2
        .value_kind:     hidden_group_size_z
      - .offset:         162
        .size:           2
        .value_kind:     hidden_remainder_x
      - .offset:         164
        .size:           2
        .value_kind:     hidden_remainder_y
      - .offset:         166
        .size:           2
        .value_kind:     hidden_remainder_z
      - .offset:         184
        .size:           8
        .value_kind:     hidden_global_offset_x
      - .offset:         192
        .size:           8
        .value_kind:     hidden_global_offset_y
      - .offset:         200
        .size:           8
        .value_kind:     hidden_global_offset_z
      - .offset:         208
        .size:           2
        .value_kind:     hidden_grid_dims
    .group_segment_fixed_size: 64
    .kernarg_segment_align: 8
    .kernarg_segment_size: 400
    .language:       OpenCL C
    .language_version:
      - 2
      - 0
    .max_flat_workgroup_size: 1024
    .name:           _ZN5aiter35fused_qk_rmsnorm_group_quant_kernelItN4opus5fp4_tELi512ELi16ELi4ELb1ELb0ELb1ELb0ELb0ELb0EEEvPT0_PvPT_S7_S7_PKS6_S9_S9_S9_S9_ffiiiiiiiiiiiii
    .private_segment_fixed_size: 0
    .sgpr_count:     44
    .sgpr_spill_count: 0
    .symbol:         _ZN5aiter35fused_qk_rmsnorm_group_quant_kernelItN4opus5fp4_tELi512ELi16ELi4ELb1ELb0ELb1ELb0ELb0ELb0EEEvPT0_PvPT_S7_S7_PKS6_S9_S9_S9_S9_ffiiiiiiiiiiiii.kd
    .uniform_work_group_size: 1
    .uses_dynamic_stack: false
    .vgpr_count:     76
    .vgpr_spill_count: 0
    .wavefront_size: 64
  - .agpr_count:     0
    .args:
      - .actual_access:  write_only
        .address_space:  global
        .offset:         0
        .size:           8
        .value_kind:     global_buffer
      - .actual_access:  write_only
        .address_space:  global
        .offset:         8
        .size:           8
        .value_kind:     global_buffer
      - .actual_access:  read_only
        .address_space:  global
        .offset:         16
        .size:           8
        .value_kind:     global_buffer
      - .actual_access:  write_only
        .address_space:  global
        .offset:         24
        .size:           8
        .value_kind:     global_buffer
      - .actual_access:  write_only
        .address_space:  global
        .offset:         32
        .size:           8
        .value_kind:     global_buffer
      - .actual_access:  read_only
        .address_space:  global
        .offset:         40
        .size:           8
        .value_kind:     global_buffer
      - .actual_access:  read_only
        .address_space:  global
        .offset:         48
        .size:           8
        .value_kind:     global_buffer
      - .actual_access:  read_only
        .address_space:  global
        .offset:         56
        .size:           8
        .value_kind:     global_buffer
      - .actual_access:  read_only
        .address_space:  global
        .offset:         64
        .size:           8
        .value_kind:     global_buffer
      - .actual_access:  read_only
        .address_space:  global
        .offset:         72
        .size:           8
        .value_kind:     global_buffer
      - .offset:         80
        .size:           4
        .value_kind:     by_value
      - .offset:         84
        .size:           4
        .value_kind:     by_value
      - .offset:         88
        .size:           4
        .value_kind:     by_value
      - .offset:         92
        .size:           4
        .value_kind:     by_value
      - .offset:         96
        .size:           4
        .value_kind:     by_value
      - .offset:         100
        .size:           4
        .value_kind:     by_value
      - .offset:         104
        .size:           4
        .value_kind:     by_value
      - .offset:         108
        .size:           4
        .value_kind:     by_value
      - .offset:         112
        .size:           4
        .value_kind:     by_value
      - .offset:         116
        .size:           4
        .value_kind:     by_value
      - .offset:         120
        .size:           4
        .value_kind:     by_value
      - .offset:         124
        .size:           4
        .value_kind:     by_value
      - .offset:         128
        .size:           4
        .value_kind:     by_value
      - .offset:         132
        .size:           4
        .value_kind:     by_value
      - .offset:         136
        .size:           4
        .value_kind:     by_value
      - .offset:         144
        .size:           4
        .value_kind:     hidden_block_count_x
      - .offset:         148
        .size:           4
        .value_kind:     hidden_block_count_y
      - .offset:         152
        .size:           4
        .value_kind:     hidden_block_count_z
      - .offset:         156
        .size:           2
        .value_kind:     hidden_group_size_x
      - .offset:         158
        .size:           2
        .value_kind:     hidden_group_size_y
      - .offset:         160
        .size:           2
        .value_kind:     hidden_group_size_z
      - .offset:         162
        .size:           2
        .value_kind:     hidden_remainder_x
      - .offset:         164
        .size:           2
        .value_kind:     hidden_remainder_y
      - .offset:         166
        .size:           2
        .value_kind:     hidden_remainder_z
      - .offset:         184
        .size:           8
        .value_kind:     hidden_global_offset_x
      - .offset:         192
        .size:           8
        .value_kind:     hidden_global_offset_y
      - .offset:         200
        .size:           8
        .value_kind:     hidden_global_offset_z
      - .offset:         208
        .size:           2
        .value_kind:     hidden_grid_dims
    .group_segment_fixed_size: 64
    .kernarg_segment_align: 8
    .kernarg_segment_size: 400
    .language:       OpenCL C
    .language_version:
      - 2
      - 0
    .max_flat_workgroup_size: 1024
    .name:           _ZN5aiter35fused_qk_rmsnorm_group_quant_kernelIDF16_DB8_Li512ELi16ELi4ELb1ELb0ELb0ELb0ELb0ELb0EEEvPT0_PvPT_S6_S6_PKS5_S8_S8_S8_S8_ffiiiiiiiiiiiii
    .private_segment_fixed_size: 0
    .sgpr_count:     48
    .sgpr_spill_count: 0
    .symbol:         _ZN5aiter35fused_qk_rmsnorm_group_quant_kernelIDF16_DB8_Li512ELi16ELi4ELb1ELb0ELb0ELb0ELb0ELb0EEEvPT0_PvPT_S6_S6_PKS5_S8_S8_S8_S8_ffiiiiiiiiiiiii.kd
    .uniform_work_group_size: 1
    .uses_dynamic_stack: false
    .vgpr_count:     94
    .vgpr_spill_count: 0
    .wavefront_size: 64
  - .agpr_count:     0
    .args:
      - .actual_access:  write_only
        .address_space:  global
        .offset:         0
        .size:           8
        .value_kind:     global_buffer
      - .actual_access:  write_only
        .address_space:  global
        .offset:         8
        .size:           8
        .value_kind:     global_buffer
      - .actual_access:  read_only
        .address_space:  global
        .offset:         16
        .size:           8
        .value_kind:     global_buffer
      - .actual_access:  write_only
        .address_space:  global
        .offset:         24
        .size:           8
        .value_kind:     global_buffer
      - .actual_access:  write_only
        .address_space:  global
        .offset:         32
        .size:           8
        .value_kind:     global_buffer
      - .actual_access:  read_only
        .address_space:  global
        .offset:         40
        .size:           8
        .value_kind:     global_buffer
      - .actual_access:  read_only
        .address_space:  global
        .offset:         48
        .size:           8
        .value_kind:     global_buffer
      - .actual_access:  read_only
        .address_space:  global
        .offset:         56
        .size:           8
        .value_kind:     global_buffer
      - .actual_access:  read_only
        .address_space:  global
        .offset:         64
        .size:           8
        .value_kind:     global_buffer
      - .actual_access:  read_only
        .address_space:  global
        .offset:         72
        .size:           8
        .value_kind:     global_buffer
      - .offset:         80
        .size:           4
        .value_kind:     by_value
      - .offset:         84
        .size:           4
        .value_kind:     by_value
      - .offset:         88
        .size:           4
        .value_kind:     by_value
      - .offset:         92
        .size:           4
        .value_kind:     by_value
      - .offset:         96
        .size:           4
        .value_kind:     by_value
      - .offset:         100
        .size:           4
        .value_kind:     by_value
      - .offset:         104
        .size:           4
        .value_kind:     by_value
      - .offset:         108
        .size:           4
        .value_kind:     by_value
      - .offset:         112
        .size:           4
        .value_kind:     by_value
      - .offset:         116
        .size:           4
        .value_kind:     by_value
      - .offset:         120
        .size:           4
        .value_kind:     by_value
      - .offset:         124
        .size:           4
        .value_kind:     by_value
      - .offset:         128
        .size:           4
        .value_kind:     by_value
      - .offset:         132
        .size:           4
        .value_kind:     by_value
      - .offset:         136
        .size:           4
        .value_kind:     by_value
      - .offset:         144
        .size:           4
        .value_kind:     hidden_block_count_x
      - .offset:         148
        .size:           4
        .value_kind:     hidden_block_count_y
      - .offset:         152
        .size:           4
        .value_kind:     hidden_block_count_z
      - .offset:         156
        .size:           2
        .value_kind:     hidden_group_size_x
      - .offset:         158
        .size:           2
        .value_kind:     hidden_group_size_y
      - .offset:         160
        .size:           2
        .value_kind:     hidden_group_size_z
      - .offset:         162
        .size:           2
        .value_kind:     hidden_remainder_x
      - .offset:         164
        .size:           2
        .value_kind:     hidden_remainder_y
      - .offset:         166
        .size:           2
        .value_kind:     hidden_remainder_z
      - .offset:         184
        .size:           8
        .value_kind:     hidden_global_offset_x
      - .offset:         192
        .size:           8
        .value_kind:     hidden_global_offset_y
      - .offset:         200
        .size:           8
        .value_kind:     hidden_global_offset_z
      - .offset:         208
        .size:           2
        .value_kind:     hidden_grid_dims
    .group_segment_fixed_size: 64
    .kernarg_segment_align: 8
    .kernarg_segment_size: 400
    .language:       OpenCL C
    .language_version:
      - 2
      - 0
    .max_flat_workgroup_size: 1024
    .name:           _ZN5aiter35fused_qk_rmsnorm_group_quant_kernelItDB8_Li512ELi16ELi4ELb1ELb0ELb0ELb0ELb0ELb0EEEvPT0_PvPT_S6_S6_PKS5_S8_S8_S8_S8_ffiiiiiiiiiiiii
    .private_segment_fixed_size: 0
    .sgpr_count:     48
    .sgpr_spill_count: 0
    .symbol:         _ZN5aiter35fused_qk_rmsnorm_group_quant_kernelItDB8_Li512ELi16ELi4ELb1ELb0ELb0ELb0ELb0ELb0EEEvPT0_PvPT_S6_S6_PKS5_S8_S8_S8_S8_ffiiiiiiiiiiiii.kd
    .uniform_work_group_size: 1
    .uses_dynamic_stack: false
    .vgpr_count:     96
    .vgpr_spill_count: 0
    .wavefront_size: 64
  - .agpr_count:     0
    .args:
      - .actual_access:  write_only
        .address_space:  global
        .offset:         0
        .size:           8
        .value_kind:     global_buffer
      - .actual_access:  write_only
        .address_space:  global
        .offset:         8
        .size:           8
        .value_kind:     global_buffer
      - .actual_access:  read_only
        .address_space:  global
        .offset:         16
        .size:           8
        .value_kind:     global_buffer
      - .actual_access:  write_only
        .address_space:  global
        .offset:         24
        .size:           8
        .value_kind:     global_buffer
      - .actual_access:  write_only
        .address_space:  global
        .offset:         32
        .size:           8
        .value_kind:     global_buffer
      - .actual_access:  read_only
        .address_space:  global
        .offset:         40
        .size:           8
        .value_kind:     global_buffer
      - .actual_access:  read_only
        .address_space:  global
        .offset:         48
        .size:           8
        .value_kind:     global_buffer
      - .actual_access:  read_only
        .address_space:  global
        .offset:         56
        .size:           8
        .value_kind:     global_buffer
      - .actual_access:  read_only
        .address_space:  global
        .offset:         64
        .size:           8
        .value_kind:     global_buffer
      - .actual_access:  read_only
        .address_space:  global
        .offset:         72
        .size:           8
        .value_kind:     global_buffer
      - .offset:         80
        .size:           4
        .value_kind:     by_value
      - .offset:         84
        .size:           4
        .value_kind:     by_value
      - .offset:         88
        .size:           4
        .value_kind:     by_value
      - .offset:         92
        .size:           4
        .value_kind:     by_value
      - .offset:         96
        .size:           4
        .value_kind:     by_value
      - .offset:         100
        .size:           4
        .value_kind:     by_value
      - .offset:         104
        .size:           4
        .value_kind:     by_value
      - .offset:         108
        .size:           4
        .value_kind:     by_value
      - .offset:         112
        .size:           4
        .value_kind:     by_value
      - .offset:         116
        .size:           4
        .value_kind:     by_value
      - .offset:         120
        .size:           4
        .value_kind:     by_value
      - .offset:         124
        .size:           4
        .value_kind:     by_value
      - .offset:         128
        .size:           4
        .value_kind:     by_value
      - .offset:         132
        .size:           4
        .value_kind:     by_value
      - .offset:         136
        .size:           4
        .value_kind:     by_value
      - .offset:         144
        .size:           4
        .value_kind:     hidden_block_count_x
      - .offset:         148
        .size:           4
        .value_kind:     hidden_block_count_y
      - .offset:         152
        .size:           4
        .value_kind:     hidden_block_count_z
      - .offset:         156
        .size:           2
        .value_kind:     hidden_group_size_x
      - .offset:         158
        .size:           2
        .value_kind:     hidden_group_size_y
      - .offset:         160
        .size:           2
        .value_kind:     hidden_group_size_z
      - .offset:         162
        .size:           2
        .value_kind:     hidden_remainder_x
      - .offset:         164
        .size:           2
        .value_kind:     hidden_remainder_y
      - .offset:         166
        .size:           2
        .value_kind:     hidden_remainder_z
      - .offset:         184
        .size:           8
        .value_kind:     hidden_global_offset_x
      - .offset:         192
        .size:           8
        .value_kind:     hidden_global_offset_y
      - .offset:         200
        .size:           8
        .value_kind:     hidden_global_offset_z
      - .offset:         208
        .size:           2
        .value_kind:     hidden_grid_dims
    .group_segment_fixed_size: 64
    .kernarg_segment_align: 8
    .kernarg_segment_size: 400
    .language:       OpenCL C
    .language_version:
      - 2
      - 0
    .max_flat_workgroup_size: 1024
    .name:           _ZN5aiter35fused_qk_rmsnorm_group_quant_kernelIDF16_N4opus5fp4_tELi512ELi16ELi4ELb1ELb0ELb0ELb0ELb0ELb0EEEvPT0_PvPT_S7_S7_PKS6_S9_S9_S9_S9_ffiiiiiiiiiiiii
    .private_segment_fixed_size: 0
    .sgpr_count:     44
    .sgpr_spill_count: 0
    .symbol:         _ZN5aiter35fused_qk_rmsnorm_group_quant_kernelIDF16_N4opus5fp4_tELi512ELi16ELi4ELb1ELb0ELb0ELb0ELb0ELb0EEEvPT0_PvPT_S7_S7_PKS6_S9_S9_S9_S9_ffiiiiiiiiiiiii.kd
    .uniform_work_group_size: 1
    .uses_dynamic_stack: false
    .vgpr_count:     47
    .vgpr_spill_count: 0
    .wavefront_size: 64
  - .agpr_count:     0
    .args:
      - .actual_access:  write_only
        .address_space:  global
        .offset:         0
        .size:           8
        .value_kind:     global_buffer
      - .actual_access:  write_only
        .address_space:  global
        .offset:         8
        .size:           8
        .value_kind:     global_buffer
      - .actual_access:  read_only
        .address_space:  global
        .offset:         16
        .size:           8
        .value_kind:     global_buffer
      - .actual_access:  write_only
        .address_space:  global
        .offset:         24
        .size:           8
        .value_kind:     global_buffer
      - .actual_access:  write_only
        .address_space:  global
        .offset:         32
        .size:           8
        .value_kind:     global_buffer
      - .actual_access:  read_only
        .address_space:  global
        .offset:         40
        .size:           8
        .value_kind:     global_buffer
      - .actual_access:  read_only
        .address_space:  global
        .offset:         48
        .size:           8
        .value_kind:     global_buffer
      - .actual_access:  read_only
        .address_space:  global
        .offset:         56
        .size:           8
        .value_kind:     global_buffer
      - .actual_access:  read_only
        .address_space:  global
        .offset:         64
        .size:           8
        .value_kind:     global_buffer
      - .actual_access:  read_only
        .address_space:  global
        .offset:         72
        .size:           8
        .value_kind:     global_buffer
      - .offset:         80
        .size:           4
        .value_kind:     by_value
      - .offset:         84
        .size:           4
        .value_kind:     by_value
      - .offset:         88
        .size:           4
        .value_kind:     by_value
      - .offset:         92
        .size:           4
        .value_kind:     by_value
      - .offset:         96
        .size:           4
        .value_kind:     by_value
      - .offset:         100
        .size:           4
        .value_kind:     by_value
      - .offset:         104
        .size:           4
        .value_kind:     by_value
      - .offset:         108
        .size:           4
        .value_kind:     by_value
      - .offset:         112
        .size:           4
        .value_kind:     by_value
      - .offset:         116
        .size:           4
        .value_kind:     by_value
      - .offset:         120
        .size:           4
        .value_kind:     by_value
      - .offset:         124
        .size:           4
        .value_kind:     by_value
      - .offset:         128
        .size:           4
        .value_kind:     by_value
      - .offset:         132
        .size:           4
        .value_kind:     by_value
      - .offset:         136
        .size:           4
        .value_kind:     by_value
      - .offset:         144
        .size:           4
        .value_kind:     hidden_block_count_x
      - .offset:         148
        .size:           4
        .value_kind:     hidden_block_count_y
      - .offset:         152
        .size:           4
        .value_kind:     hidden_block_count_z
      - .offset:         156
        .size:           2
        .value_kind:     hidden_group_size_x
      - .offset:         158
        .size:           2
        .value_kind:     hidden_group_size_y
      - .offset:         160
        .size:           2
        .value_kind:     hidden_group_size_z
      - .offset:         162
        .size:           2
        .value_kind:     hidden_remainder_x
      - .offset:         164
        .size:           2
        .value_kind:     hidden_remainder_y
      - .offset:         166
        .size:           2
        .value_kind:     hidden_remainder_z
      - .offset:         184
        .size:           8
        .value_kind:     hidden_global_offset_x
      - .offset:         192
        .size:           8
        .value_kind:     hidden_global_offset_y
      - .offset:         200
        .size:           8
        .value_kind:     hidden_global_offset_z
      - .offset:         208
        .size:           2
        .value_kind:     hidden_grid_dims
    .group_segment_fixed_size: 64
    .kernarg_segment_align: 8
    .kernarg_segment_size: 400
    .language:       OpenCL C
    .language_version:
      - 2
      - 0
    .max_flat_workgroup_size: 1024
    .name:           _ZN5aiter35fused_qk_rmsnorm_group_quant_kernelItN4opus5fp4_tELi512ELi16ELi4ELb1ELb0ELb0ELb0ELb0ELb0EEEvPT0_PvPT_S7_S7_PKS6_S9_S9_S9_S9_ffiiiiiiiiiiiii
    .private_segment_fixed_size: 0
    .sgpr_count:     44
    .sgpr_spill_count: 0
    .symbol:         _ZN5aiter35fused_qk_rmsnorm_group_quant_kernelItN4opus5fp4_tELi512ELi16ELi4ELb1ELb0ELb0ELb0ELb0ELb0EEEvPT0_PvPT_S7_S7_PKS6_S9_S9_S9_S9_ffiiiiiiiiiiiii.kd
    .uniform_work_group_size: 1
    .uses_dynamic_stack: false
    .vgpr_count:     94
    .vgpr_spill_count: 0
    .wavefront_size: 64
  - .agpr_count:     0
    .args:
      - .actual_access:  write_only
        .address_space:  global
        .offset:         0
        .size:           8
        .value_kind:     global_buffer
      - .actual_access:  write_only
        .address_space:  global
        .offset:         8
        .size:           8
        .value_kind:     global_buffer
      - .actual_access:  write_only
        .address_space:  global
        .offset:         16
        .size:           8
        .value_kind:     global_buffer
      - .actual_access:  write_only
        .address_space:  global
        .offset:         24
        .size:           8
        .value_kind:     global_buffer
      - .actual_access:  read_only
        .address_space:  global
        .offset:         32
        .size:           8
        .value_kind:     global_buffer
      - .actual_access:  read_only
        .address_space:  global
        .offset:         40
        .size:           8
        .value_kind:     global_buffer
      - .actual_access:  read_only
        .address_space:  global
        .offset:         48
        .size:           8
        .value_kind:     global_buffer
      - .actual_access:  read_only
        .address_space:  global
        .offset:         56
        .size:           8
        .value_kind:     global_buffer
      - .actual_access:  read_only
        .address_space:  global
        .offset:         64
        .size:           8
        .value_kind:     global_buffer
      - .actual_access:  read_only
        .address_space:  global
        .offset:         72
        .size:           8
        .value_kind:     global_buffer
      - .offset:         80
        .size:           4
        .value_kind:     by_value
      - .offset:         84
        .size:           4
        .value_kind:     by_value
      - .offset:         88
        .size:           4
        .value_kind:     by_value
      - .offset:         92
        .size:           4
        .value_kind:     by_value
      - .offset:         96
        .size:           4
        .value_kind:     by_value
      - .offset:         100
        .size:           4
        .value_kind:     by_value
      - .offset:         104
        .size:           4
        .value_kind:     by_value
      - .offset:         108
        .size:           4
        .value_kind:     by_value
      - .offset:         112
        .size:           4
        .value_kind:     by_value
      - .offset:         116
        .size:           4
        .value_kind:     by_value
      - .offset:         120
        .size:           4
        .value_kind:     by_value
      - .offset:         124
        .size:           4
        .value_kind:     by_value
      - .offset:         128
        .size:           4
        .value_kind:     by_value
      - .offset:         132
        .size:           4
        .value_kind:     by_value
      - .offset:         136
        .size:           4
        .value_kind:     by_value
      - .offset:         144
        .size:           4
        .value_kind:     hidden_block_count_x
      - .offset:         148
        .size:           4
        .value_kind:     hidden_block_count_y
      - .offset:         152
        .size:           4
        .value_kind:     hidden_block_count_z
      - .offset:         156
        .size:           2
        .value_kind:     hidden_group_size_x
      - .offset:         158
        .size:           2
        .value_kind:     hidden_group_size_y
      - .offset:         160
        .size:           2
        .value_kind:     hidden_group_size_z
      - .offset:         162
        .size:           2
        .value_kind:     hidden_remainder_x
      - .offset:         164
        .size:           2
        .value_kind:     hidden_remainder_y
      - .offset:         166
        .size:           2
        .value_kind:     hidden_remainder_z
      - .offset:         184
        .size:           8
        .value_kind:     hidden_global_offset_x
      - .offset:         192
        .size:           8
        .value_kind:     hidden_global_offset_y
      - .offset:         200
        .size:           8
        .value_kind:     hidden_global_offset_z
      - .offset:         208
        .size:           2
        .value_kind:     hidden_grid_dims
    .group_segment_fixed_size: 64
    .kernarg_segment_align: 8
    .kernarg_segment_size: 400
    .language:       OpenCL C
    .language_version:
      - 2
      - 0
    .max_flat_workgroup_size: 1024
    .name:           _ZN5aiter35fused_qk_rmsnorm_group_quant_kernelIDF16_DB8_Li512ELi16ELi4ELb0ELb1ELb1ELb0ELb0ELb0EEEvPT0_PvPT_S6_S6_PKS5_S8_S8_S8_S8_ffiiiiiiiiiiiii
    .private_segment_fixed_size: 0
    .sgpr_count:     40
    .sgpr_spill_count: 0
    .symbol:         _ZN5aiter35fused_qk_rmsnorm_group_quant_kernelIDF16_DB8_Li512ELi16ELi4ELb0ELb1ELb1ELb0ELb0ELb0EEEvPT0_PvPT_S6_S6_PKS5_S8_S8_S8_S8_ffiiiiiiiiiiiii.kd
    .uniform_work_group_size: 1
    .uses_dynamic_stack: false
    .vgpr_count:     35
    .vgpr_spill_count: 0
    .wavefront_size: 64
  - .agpr_count:     0
    .args:
      - .actual_access:  write_only
        .address_space:  global
        .offset:         0
        .size:           8
        .value_kind:     global_buffer
      - .actual_access:  write_only
        .address_space:  global
        .offset:         8
        .size:           8
        .value_kind:     global_buffer
      - .actual_access:  write_only
        .address_space:  global
        .offset:         16
        .size:           8
        .value_kind:     global_buffer
      - .actual_access:  write_only
        .address_space:  global
        .offset:         24
        .size:           8
        .value_kind:     global_buffer
      - .actual_access:  read_only
        .address_space:  global
        .offset:         32
        .size:           8
        .value_kind:     global_buffer
      - .actual_access:  read_only
        .address_space:  global
        .offset:         40
        .size:           8
        .value_kind:     global_buffer
      - .actual_access:  read_only
        .address_space:  global
        .offset:         48
        .size:           8
        .value_kind:     global_buffer
      - .actual_access:  read_only
        .address_space:  global
        .offset:         56
        .size:           8
        .value_kind:     global_buffer
      - .actual_access:  read_only
        .address_space:  global
        .offset:         64
        .size:           8
        .value_kind:     global_buffer
      - .actual_access:  read_only
        .address_space:  global
        .offset:         72
        .size:           8
        .value_kind:     global_buffer
      - .offset:         80
        .size:           4
        .value_kind:     by_value
      - .offset:         84
        .size:           4
        .value_kind:     by_value
      - .offset:         88
        .size:           4
        .value_kind:     by_value
      - .offset:         92
        .size:           4
        .value_kind:     by_value
      - .offset:         96
        .size:           4
        .value_kind:     by_value
      - .offset:         100
        .size:           4
        .value_kind:     by_value
      - .offset:         104
        .size:           4
        .value_kind:     by_value
      - .offset:         108
        .size:           4
        .value_kind:     by_value
      - .offset:         112
        .size:           4
        .value_kind:     by_value
      - .offset:         116
        .size:           4
        .value_kind:     by_value
      - .offset:         120
        .size:           4
        .value_kind:     by_value
      - .offset:         124
        .size:           4
        .value_kind:     by_value
      - .offset:         128
        .size:           4
        .value_kind:     by_value
      - .offset:         132
        .size:           4
        .value_kind:     by_value
      - .offset:         136
        .size:           4
        .value_kind:     by_value
      - .offset:         144
        .size:           4
        .value_kind:     hidden_block_count_x
      - .offset:         148
        .size:           4
        .value_kind:     hidden_block_count_y
      - .offset:         152
        .size:           4
        .value_kind:     hidden_block_count_z
      - .offset:         156
        .size:           2
        .value_kind:     hidden_group_size_x
      - .offset:         158
        .size:           2
        .value_kind:     hidden_group_size_y
      - .offset:         160
        .size:           2
        .value_kind:     hidden_group_size_z
      - .offset:         162
        .size:           2
        .value_kind:     hidden_remainder_x
      - .offset:         164
        .size:           2
        .value_kind:     hidden_remainder_y
      - .offset:         166
        .size:           2
        .value_kind:     hidden_remainder_z
      - .offset:         184
        .size:           8
        .value_kind:     hidden_global_offset_x
      - .offset:         192
        .size:           8
        .value_kind:     hidden_global_offset_y
      - .offset:         200
        .size:           8
        .value_kind:     hidden_global_offset_z
      - .offset:         208
        .size:           2
        .value_kind:     hidden_grid_dims
    .group_segment_fixed_size: 64
    .kernarg_segment_align: 8
    .kernarg_segment_size: 400
    .language:       OpenCL C
    .language_version:
      - 2
      - 0
    .max_flat_workgroup_size: 1024
    .name:           _ZN5aiter35fused_qk_rmsnorm_group_quant_kernelItDB8_Li512ELi16ELi4ELb0ELb1ELb1ELb0ELb0ELb0EEEvPT0_PvPT_S6_S6_PKS5_S8_S8_S8_S8_ffiiiiiiiiiiiii
    .private_segment_fixed_size: 0
    .sgpr_count:     40
    .sgpr_spill_count: 0
    .symbol:         _ZN5aiter35fused_qk_rmsnorm_group_quant_kernelItDB8_Li512ELi16ELi4ELb0ELb1ELb1ELb0ELb0ELb0EEEvPT0_PvPT_S6_S6_PKS5_S8_S8_S8_S8_ffiiiiiiiiiiiii.kd
    .uniform_work_group_size: 1
    .uses_dynamic_stack: false
    .vgpr_count:     35
    .vgpr_spill_count: 0
    .wavefront_size: 64
  - .agpr_count:     0
    .args:
      - .actual_access:  write_only
        .address_space:  global
        .offset:         0
        .size:           8
        .value_kind:     global_buffer
      - .actual_access:  write_only
        .address_space:  global
        .offset:         8
        .size:           8
        .value_kind:     global_buffer
      - .actual_access:  write_only
        .address_space:  global
        .offset:         16
        .size:           8
        .value_kind:     global_buffer
      - .actual_access:  write_only
        .address_space:  global
        .offset:         24
        .size:           8
        .value_kind:     global_buffer
      - .actual_access:  read_only
        .address_space:  global
        .offset:         32
        .size:           8
        .value_kind:     global_buffer
      - .actual_access:  read_only
        .address_space:  global
        .offset:         40
        .size:           8
        .value_kind:     global_buffer
      - .actual_access:  read_only
        .address_space:  global
        .offset:         48
        .size:           8
        .value_kind:     global_buffer
      - .actual_access:  read_only
        .address_space:  global
        .offset:         56
        .size:           8
        .value_kind:     global_buffer
      - .actual_access:  read_only
        .address_space:  global
        .offset:         64
        .size:           8
        .value_kind:     global_buffer
      - .actual_access:  read_only
        .address_space:  global
        .offset:         72
        .size:           8
        .value_kind:     global_buffer
      - .offset:         80
        .size:           4
        .value_kind:     by_value
      - .offset:         84
        .size:           4
        .value_kind:     by_value
      - .offset:         88
        .size:           4
        .value_kind:     by_value
      - .offset:         92
        .size:           4
        .value_kind:     by_value
      - .offset:         96
        .size:           4
        .value_kind:     by_value
      - .offset:         100
        .size:           4
        .value_kind:     by_value
      - .offset:         104
        .size:           4
        .value_kind:     by_value
      - .offset:         108
        .size:           4
        .value_kind:     by_value
      - .offset:         112
        .size:           4
        .value_kind:     by_value
      - .offset:         116
        .size:           4
        .value_kind:     by_value
      - .offset:         120
        .size:           4
        .value_kind:     by_value
      - .offset:         124
        .size:           4
        .value_kind:     by_value
      - .offset:         128
        .size:           4
        .value_kind:     by_value
      - .offset:         132
        .size:           4
        .value_kind:     by_value
      - .offset:         136
        .size:           4
        .value_kind:     by_value
      - .offset:         144
        .size:           4
        .value_kind:     hidden_block_count_x
      - .offset:         148
        .size:           4
        .value_kind:     hidden_block_count_y
      - .offset:         152
        .size:           4
        .value_kind:     hidden_block_count_z
      - .offset:         156
        .size:           2
        .value_kind:     hidden_group_size_x
      - .offset:         158
        .size:           2
        .value_kind:     hidden_group_size_y
      - .offset:         160
        .size:           2
        .value_kind:     hidden_group_size_z
      - .offset:         162
        .size:           2
        .value_kind:     hidden_remainder_x
      - .offset:         164
        .size:           2
        .value_kind:     hidden_remainder_y
      - .offset:         166
        .size:           2
        .value_kind:     hidden_remainder_z
      - .offset:         184
        .size:           8
        .value_kind:     hidden_global_offset_x
      - .offset:         192
        .size:           8
        .value_kind:     hidden_global_offset_y
      - .offset:         200
        .size:           8
        .value_kind:     hidden_global_offset_z
      - .offset:         208
        .size:           2
        .value_kind:     hidden_grid_dims
    .group_segment_fixed_size: 64
    .kernarg_segment_align: 8
    .kernarg_segment_size: 400
    .language:       OpenCL C
    .language_version:
      - 2
      - 0
    .max_flat_workgroup_size: 1024
    .name:           _ZN5aiter35fused_qk_rmsnorm_group_quant_kernelIDF16_N4opus5fp4_tELi512ELi16ELi4ELb0ELb1ELb1ELb0ELb0ELb0EEEvPT0_PvPT_S7_S7_PKS6_S9_S9_S9_S9_ffiiiiiiiiiiiii
    .private_segment_fixed_size: 0
    .sgpr_count:     40
    .sgpr_spill_count: 0
    .symbol:         _ZN5aiter35fused_qk_rmsnorm_group_quant_kernelIDF16_N4opus5fp4_tELi512ELi16ELi4ELb0ELb1ELb1ELb0ELb0ELb0EEEvPT0_PvPT_S7_S7_PKS6_S9_S9_S9_S9_ffiiiiiiiiiiiii.kd
    .uniform_work_group_size: 1
    .uses_dynamic_stack: false
    .vgpr_count:     35
    .vgpr_spill_count: 0
    .wavefront_size: 64
  - .agpr_count:     0
    .args:
      - .actual_access:  write_only
        .address_space:  global
        .offset:         0
        .size:           8
        .value_kind:     global_buffer
      - .actual_access:  write_only
        .address_space:  global
        .offset:         8
        .size:           8
        .value_kind:     global_buffer
      - .actual_access:  write_only
        .address_space:  global
        .offset:         16
        .size:           8
        .value_kind:     global_buffer
      - .actual_access:  write_only
        .address_space:  global
        .offset:         24
        .size:           8
        .value_kind:     global_buffer
      - .actual_access:  read_only
        .address_space:  global
        .offset:         32
        .size:           8
        .value_kind:     global_buffer
      - .actual_access:  read_only
        .address_space:  global
        .offset:         40
        .size:           8
        .value_kind:     global_buffer
      - .actual_access:  read_only
        .address_space:  global
        .offset:         48
        .size:           8
        .value_kind:     global_buffer
      - .actual_access:  read_only
        .address_space:  global
        .offset:         56
        .size:           8
        .value_kind:     global_buffer
      - .actual_access:  read_only
        .address_space:  global
        .offset:         64
        .size:           8
        .value_kind:     global_buffer
      - .actual_access:  read_only
        .address_space:  global
        .offset:         72
        .size:           8
        .value_kind:     global_buffer
      - .offset:         80
        .size:           4
        .value_kind:     by_value
      - .offset:         84
        .size:           4
        .value_kind:     by_value
      - .offset:         88
        .size:           4
        .value_kind:     by_value
      - .offset:         92
        .size:           4
        .value_kind:     by_value
      - .offset:         96
        .size:           4
        .value_kind:     by_value
      - .offset:         100
        .size:           4
        .value_kind:     by_value
      - .offset:         104
        .size:           4
        .value_kind:     by_value
      - .offset:         108
        .size:           4
        .value_kind:     by_value
      - .offset:         112
        .size:           4
        .value_kind:     by_value
      - .offset:         116
        .size:           4
        .value_kind:     by_value
      - .offset:         120
        .size:           4
        .value_kind:     by_value
      - .offset:         124
        .size:           4
        .value_kind:     by_value
      - .offset:         128
        .size:           4
        .value_kind:     by_value
      - .offset:         132
        .size:           4
        .value_kind:     by_value
      - .offset:         136
        .size:           4
        .value_kind:     by_value
      - .offset:         144
        .size:           4
        .value_kind:     hidden_block_count_x
      - .offset:         148
        .size:           4
        .value_kind:     hidden_block_count_y
      - .offset:         152
        .size:           4
        .value_kind:     hidden_block_count_z
      - .offset:         156
        .size:           2
        .value_kind:     hidden_group_size_x
      - .offset:         158
        .size:           2
        .value_kind:     hidden_group_size_y
      - .offset:         160
        .size:           2
        .value_kind:     hidden_group_size_z
      - .offset:         162
        .size:           2
        .value_kind:     hidden_remainder_x
      - .offset:         164
        .size:           2
        .value_kind:     hidden_remainder_y
      - .offset:         166
        .size:           2
        .value_kind:     hidden_remainder_z
      - .offset:         184
        .size:           8
        .value_kind:     hidden_global_offset_x
      - .offset:         192
        .size:           8
        .value_kind:     hidden_global_offset_y
      - .offset:         200
        .size:           8
        .value_kind:     hidden_global_offset_z
      - .offset:         208
        .size:           2
        .value_kind:     hidden_grid_dims
    .group_segment_fixed_size: 64
    .kernarg_segment_align: 8
    .kernarg_segment_size: 400
    .language:       OpenCL C
    .language_version:
      - 2
      - 0
    .max_flat_workgroup_size: 1024
    .name:           _ZN5aiter35fused_qk_rmsnorm_group_quant_kernelItN4opus5fp4_tELi512ELi16ELi4ELb0ELb1ELb1ELb0ELb0ELb0EEEvPT0_PvPT_S7_S7_PKS6_S9_S9_S9_S9_ffiiiiiiiiiiiii
    .private_segment_fixed_size: 0
    .sgpr_count:     40
    .sgpr_spill_count: 0
    .symbol:         _ZN5aiter35fused_qk_rmsnorm_group_quant_kernelItN4opus5fp4_tELi512ELi16ELi4ELb0ELb1ELb1ELb0ELb0ELb0EEEvPT0_PvPT_S7_S7_PKS6_S9_S9_S9_S9_ffiiiiiiiiiiiii.kd
    .uniform_work_group_size: 1
    .uses_dynamic_stack: false
    .vgpr_count:     35
    .vgpr_spill_count: 0
    .wavefront_size: 64
  - .agpr_count:     0
    .args:
      - .actual_access:  write_only
        .address_space:  global
        .offset:         0
        .size:           8
        .value_kind:     global_buffer
      - .actual_access:  write_only
        .address_space:  global
        .offset:         8
        .size:           8
        .value_kind:     global_buffer
      - .actual_access:  write_only
        .address_space:  global
        .offset:         16
        .size:           8
        .value_kind:     global_buffer
      - .actual_access:  write_only
        .address_space:  global
        .offset:         24
        .size:           8
        .value_kind:     global_buffer
      - .actual_access:  read_only
        .address_space:  global
        .offset:         32
        .size:           8
        .value_kind:     global_buffer
      - .actual_access:  read_only
        .address_space:  global
        .offset:         40
        .size:           8
        .value_kind:     global_buffer
      - .actual_access:  read_only
        .address_space:  global
        .offset:         48
        .size:           8
        .value_kind:     global_buffer
      - .actual_access:  read_only
        .address_space:  global
        .offset:         56
        .size:           8
        .value_kind:     global_buffer
      - .actual_access:  read_only
        .address_space:  global
        .offset:         64
        .size:           8
        .value_kind:     global_buffer
      - .actual_access:  read_only
        .address_space:  global
        .offset:         72
        .size:           8
        .value_kind:     global_buffer
      - .offset:         80
        .size:           4
        .value_kind:     by_value
      - .offset:         84
        .size:           4
        .value_kind:     by_value
      - .offset:         88
        .size:           4
        .value_kind:     by_value
      - .offset:         92
        .size:           4
        .value_kind:     by_value
      - .offset:         96
        .size:           4
        .value_kind:     by_value
      - .offset:         100
        .size:           4
        .value_kind:     by_value
      - .offset:         104
        .size:           4
        .value_kind:     by_value
      - .offset:         108
        .size:           4
        .value_kind:     by_value
      - .offset:         112
        .size:           4
        .value_kind:     by_value
      - .offset:         116
        .size:           4
        .value_kind:     by_value
      - .offset:         120
        .size:           4
        .value_kind:     by_value
      - .offset:         124
        .size:           4
        .value_kind:     by_value
      - .offset:         128
        .size:           4
        .value_kind:     by_value
      - .offset:         132
        .size:           4
        .value_kind:     by_value
      - .offset:         136
        .size:           4
        .value_kind:     by_value
      - .offset:         144
        .size:           4
        .value_kind:     hidden_block_count_x
      - .offset:         148
        .size:           4
        .value_kind:     hidden_block_count_y
      - .offset:         152
        .size:           4
        .value_kind:     hidden_block_count_z
      - .offset:         156
        .size:           2
        .value_kind:     hidden_group_size_x
      - .offset:         158
        .size:           2
        .value_kind:     hidden_group_size_y
      - .offset:         160
        .size:           2
        .value_kind:     hidden_group_size_z
      - .offset:         162
        .size:           2
        .value_kind:     hidden_remainder_x
      - .offset:         164
        .size:           2
        .value_kind:     hidden_remainder_y
      - .offset:         166
        .size:           2
        .value_kind:     hidden_remainder_z
      - .offset:         184
        .size:           8
        .value_kind:     hidden_global_offset_x
      - .offset:         192
        .size:           8
        .value_kind:     hidden_global_offset_y
      - .offset:         200
        .size:           8
        .value_kind:     hidden_global_offset_z
      - .offset:         208
        .size:           2
        .value_kind:     hidden_grid_dims
    .group_segment_fixed_size: 64
    .kernarg_segment_align: 8
    .kernarg_segment_size: 400
    .language:       OpenCL C
    .language_version:
      - 2
      - 0
    .max_flat_workgroup_size: 1024
    .name:           _ZN5aiter35fused_qk_rmsnorm_group_quant_kernelIDF16_DB8_Li512ELi16ELi4ELb0ELb1ELb0ELb0ELb0ELb0EEEvPT0_PvPT_S6_S6_PKS5_S8_S8_S8_S8_ffiiiiiiiiiiiii
    .private_segment_fixed_size: 0
    .sgpr_count:     40
    .sgpr_spill_count: 0
    .symbol:         _ZN5aiter35fused_qk_rmsnorm_group_quant_kernelIDF16_DB8_Li512ELi16ELi4ELb0ELb1ELb0ELb0ELb0ELb0EEEvPT0_PvPT_S6_S6_PKS5_S8_S8_S8_S8_ffiiiiiiiiiiiii.kd
    .uniform_work_group_size: 1
    .uses_dynamic_stack: false
    .vgpr_count:     38
    .vgpr_spill_count: 0
    .wavefront_size: 64
  - .agpr_count:     0
    .args:
      - .actual_access:  write_only
        .address_space:  global
        .offset:         0
        .size:           8
        .value_kind:     global_buffer
      - .actual_access:  write_only
        .address_space:  global
        .offset:         8
        .size:           8
        .value_kind:     global_buffer
      - .actual_access:  write_only
        .address_space:  global
        .offset:         16
        .size:           8
        .value_kind:     global_buffer
      - .actual_access:  write_only
        .address_space:  global
        .offset:         24
        .size:           8
        .value_kind:     global_buffer
      - .actual_access:  read_only
        .address_space:  global
        .offset:         32
        .size:           8
        .value_kind:     global_buffer
      - .actual_access:  read_only
        .address_space:  global
        .offset:         40
        .size:           8
        .value_kind:     global_buffer
      - .actual_access:  read_only
        .address_space:  global
        .offset:         48
        .size:           8
        .value_kind:     global_buffer
      - .actual_access:  read_only
        .address_space:  global
        .offset:         56
        .size:           8
        .value_kind:     global_buffer
      - .actual_access:  read_only
        .address_space:  global
        .offset:         64
        .size:           8
        .value_kind:     global_buffer
      - .actual_access:  read_only
        .address_space:  global
        .offset:         72
        .size:           8
        .value_kind:     global_buffer
      - .offset:         80
        .size:           4
        .value_kind:     by_value
      - .offset:         84
        .size:           4
        .value_kind:     by_value
      - .offset:         88
        .size:           4
        .value_kind:     by_value
      - .offset:         92
        .size:           4
        .value_kind:     by_value
      - .offset:         96
        .size:           4
        .value_kind:     by_value
      - .offset:         100
        .size:           4
        .value_kind:     by_value
      - .offset:         104
        .size:           4
        .value_kind:     by_value
      - .offset:         108
        .size:           4
        .value_kind:     by_value
      - .offset:         112
        .size:           4
        .value_kind:     by_value
      - .offset:         116
        .size:           4
        .value_kind:     by_value
      - .offset:         120
        .size:           4
        .value_kind:     by_value
      - .offset:         124
        .size:           4
        .value_kind:     by_value
      - .offset:         128
        .size:           4
        .value_kind:     by_value
      - .offset:         132
        .size:           4
        .value_kind:     by_value
      - .offset:         136
        .size:           4
        .value_kind:     by_value
      - .offset:         144
        .size:           4
        .value_kind:     hidden_block_count_x
      - .offset:         148
        .size:           4
        .value_kind:     hidden_block_count_y
      - .offset:         152
        .size:           4
        .value_kind:     hidden_block_count_z
      - .offset:         156
        .size:           2
        .value_kind:     hidden_group_size_x
      - .offset:         158
        .size:           2
        .value_kind:     hidden_group_size_y
      - .offset:         160
        .size:           2
        .value_kind:     hidden_group_size_z
      - .offset:         162
        .size:           2
        .value_kind:     hidden_remainder_x
      - .offset:         164
        .size:           2
        .value_kind:     hidden_remainder_y
      - .offset:         166
        .size:           2
        .value_kind:     hidden_remainder_z
      - .offset:         184
        .size:           8
        .value_kind:     hidden_global_offset_x
      - .offset:         192
        .size:           8
        .value_kind:     hidden_global_offset_y
      - .offset:         200
        .size:           8
        .value_kind:     hidden_global_offset_z
      - .offset:         208
        .size:           2
        .value_kind:     hidden_grid_dims
    .group_segment_fixed_size: 64
    .kernarg_segment_align: 8
    .kernarg_segment_size: 400
    .language:       OpenCL C
    .language_version:
      - 2
      - 0
    .max_flat_workgroup_size: 1024
    .name:           _ZN5aiter35fused_qk_rmsnorm_group_quant_kernelItDB8_Li512ELi16ELi4ELb0ELb1ELb0ELb0ELb0ELb0EEEvPT0_PvPT_S6_S6_PKS5_S8_S8_S8_S8_ffiiiiiiiiiiiii
    .private_segment_fixed_size: 0
    .sgpr_count:     40
    .sgpr_spill_count: 0
    .symbol:         _ZN5aiter35fused_qk_rmsnorm_group_quant_kernelItDB8_Li512ELi16ELi4ELb0ELb1ELb0ELb0ELb0ELb0EEEvPT0_PvPT_S6_S6_PKS5_S8_S8_S8_S8_ffiiiiiiiiiiiii.kd
    .uniform_work_group_size: 1
    .uses_dynamic_stack: false
    .vgpr_count:     38
    .vgpr_spill_count: 0
    .wavefront_size: 64
  - .agpr_count:     0
    .args:
      - .actual_access:  write_only
        .address_space:  global
        .offset:         0
        .size:           8
        .value_kind:     global_buffer
      - .actual_access:  write_only
        .address_space:  global
        .offset:         8
        .size:           8
        .value_kind:     global_buffer
      - .actual_access:  write_only
        .address_space:  global
        .offset:         16
        .size:           8
        .value_kind:     global_buffer
      - .actual_access:  write_only
        .address_space:  global
        .offset:         24
        .size:           8
        .value_kind:     global_buffer
      - .actual_access:  read_only
        .address_space:  global
        .offset:         32
        .size:           8
        .value_kind:     global_buffer
      - .actual_access:  read_only
        .address_space:  global
        .offset:         40
        .size:           8
        .value_kind:     global_buffer
      - .actual_access:  read_only
        .address_space:  global
        .offset:         48
        .size:           8
        .value_kind:     global_buffer
      - .actual_access:  read_only
        .address_space:  global
        .offset:         56
        .size:           8
        .value_kind:     global_buffer
      - .actual_access:  read_only
        .address_space:  global
        .offset:         64
        .size:           8
        .value_kind:     global_buffer
      - .actual_access:  read_only
        .address_space:  global
        .offset:         72
        .size:           8
        .value_kind:     global_buffer
      - .offset:         80
        .size:           4
        .value_kind:     by_value
      - .offset:         84
        .size:           4
        .value_kind:     by_value
      - .offset:         88
        .size:           4
        .value_kind:     by_value
      - .offset:         92
        .size:           4
        .value_kind:     by_value
      - .offset:         96
        .size:           4
        .value_kind:     by_value
      - .offset:         100
        .size:           4
        .value_kind:     by_value
      - .offset:         104
        .size:           4
        .value_kind:     by_value
      - .offset:         108
        .size:           4
        .value_kind:     by_value
      - .offset:         112
        .size:           4
        .value_kind:     by_value
      - .offset:         116
        .size:           4
        .value_kind:     by_value
      - .offset:         120
        .size:           4
        .value_kind:     by_value
      - .offset:         124
        .size:           4
        .value_kind:     by_value
      - .offset:         128
        .size:           4
        .value_kind:     by_value
      - .offset:         132
        .size:           4
        .value_kind:     by_value
      - .offset:         136
        .size:           4
        .value_kind:     by_value
      - .offset:         144
        .size:           4
        .value_kind:     hidden_block_count_x
      - .offset:         148
        .size:           4
        .value_kind:     hidden_block_count_y
      - .offset:         152
        .size:           4
        .value_kind:     hidden_block_count_z
      - .offset:         156
        .size:           2
        .value_kind:     hidden_group_size_x
      - .offset:         158
        .size:           2
        .value_kind:     hidden_group_size_y
      - .offset:         160
        .size:           2
        .value_kind:     hidden_group_size_z
      - .offset:         162
        .size:           2
        .value_kind:     hidden_remainder_x
      - .offset:         164
        .size:           2
        .value_kind:     hidden_remainder_y
      - .offset:         166
        .size:           2
        .value_kind:     hidden_remainder_z
      - .offset:         184
        .size:           8
        .value_kind:     hidden_global_offset_x
      - .offset:         192
        .size:           8
        .value_kind:     hidden_global_offset_y
      - .offset:         200
        .size:           8
        .value_kind:     hidden_global_offset_z
      - .offset:         208
        .size:           2
        .value_kind:     hidden_grid_dims
    .group_segment_fixed_size: 64
    .kernarg_segment_align: 8
    .kernarg_segment_size: 400
    .language:       OpenCL C
    .language_version:
      - 2
      - 0
    .max_flat_workgroup_size: 1024
    .name:           _ZN5aiter35fused_qk_rmsnorm_group_quant_kernelIDF16_N4opus5fp4_tELi512ELi16ELi4ELb0ELb1ELb0ELb0ELb0ELb0EEEvPT0_PvPT_S7_S7_PKS6_S9_S9_S9_S9_ffiiiiiiiiiiiii
    .private_segment_fixed_size: 0
    .sgpr_count:     40
    .sgpr_spill_count: 0
    .symbol:         _ZN5aiter35fused_qk_rmsnorm_group_quant_kernelIDF16_N4opus5fp4_tELi512ELi16ELi4ELb0ELb1ELb0ELb0ELb0ELb0EEEvPT0_PvPT_S7_S7_PKS6_S9_S9_S9_S9_ffiiiiiiiiiiiii.kd
    .uniform_work_group_size: 1
    .uses_dynamic_stack: false
    .vgpr_count:     35
    .vgpr_spill_count: 0
    .wavefront_size: 64
  - .agpr_count:     0
    .args:
      - .actual_access:  write_only
        .address_space:  global
        .offset:         0
        .size:           8
        .value_kind:     global_buffer
      - .actual_access:  write_only
        .address_space:  global
        .offset:         8
        .size:           8
        .value_kind:     global_buffer
      - .actual_access:  write_only
        .address_space:  global
        .offset:         16
        .size:           8
        .value_kind:     global_buffer
      - .actual_access:  write_only
        .address_space:  global
        .offset:         24
        .size:           8
        .value_kind:     global_buffer
      - .actual_access:  read_only
        .address_space:  global
        .offset:         32
        .size:           8
        .value_kind:     global_buffer
      - .actual_access:  read_only
        .address_space:  global
        .offset:         40
        .size:           8
        .value_kind:     global_buffer
      - .actual_access:  read_only
        .address_space:  global
        .offset:         48
        .size:           8
        .value_kind:     global_buffer
      - .actual_access:  read_only
        .address_space:  global
        .offset:         56
        .size:           8
        .value_kind:     global_buffer
      - .actual_access:  read_only
        .address_space:  global
        .offset:         64
        .size:           8
        .value_kind:     global_buffer
      - .actual_access:  read_only
        .address_space:  global
        .offset:         72
        .size:           8
        .value_kind:     global_buffer
      - .offset:         80
        .size:           4
        .value_kind:     by_value
      - .offset:         84
        .size:           4
        .value_kind:     by_value
      - .offset:         88
        .size:           4
        .value_kind:     by_value
      - .offset:         92
        .size:           4
        .value_kind:     by_value
      - .offset:         96
        .size:           4
        .value_kind:     by_value
      - .offset:         100
        .size:           4
        .value_kind:     by_value
      - .offset:         104
        .size:           4
        .value_kind:     by_value
      - .offset:         108
        .size:           4
        .value_kind:     by_value
      - .offset:         112
        .size:           4
        .value_kind:     by_value
      - .offset:         116
        .size:           4
        .value_kind:     by_value
      - .offset:         120
        .size:           4
        .value_kind:     by_value
      - .offset:         124
        .size:           4
        .value_kind:     by_value
      - .offset:         128
        .size:           4
        .value_kind:     by_value
      - .offset:         132
        .size:           4
        .value_kind:     by_value
      - .offset:         136
        .size:           4
        .value_kind:     by_value
      - .offset:         144
        .size:           4
        .value_kind:     hidden_block_count_x
      - .offset:         148
        .size:           4
        .value_kind:     hidden_block_count_y
      - .offset:         152
        .size:           4
        .value_kind:     hidden_block_count_z
      - .offset:         156
        .size:           2
        .value_kind:     hidden_group_size_x
      - .offset:         158
        .size:           2
        .value_kind:     hidden_group_size_y
      - .offset:         160
        .size:           2
        .value_kind:     hidden_group_size_z
      - .offset:         162
        .size:           2
        .value_kind:     hidden_remainder_x
      - .offset:         164
        .size:           2
        .value_kind:     hidden_remainder_y
      - .offset:         166
        .size:           2
        .value_kind:     hidden_remainder_z
      - .offset:         184
        .size:           8
        .value_kind:     hidden_global_offset_x
      - .offset:         192
        .size:           8
        .value_kind:     hidden_global_offset_y
      - .offset:         200
        .size:           8
        .value_kind:     hidden_global_offset_z
      - .offset:         208
        .size:           2
        .value_kind:     hidden_grid_dims
    .group_segment_fixed_size: 64
    .kernarg_segment_align: 8
    .kernarg_segment_size: 400
    .language:       OpenCL C
    .language_version:
      - 2
      - 0
    .max_flat_workgroup_size: 1024
    .name:           _ZN5aiter35fused_qk_rmsnorm_group_quant_kernelItN4opus5fp4_tELi512ELi16ELi4ELb0ELb1ELb0ELb0ELb0ELb0EEEvPT0_PvPT_S7_S7_PKS6_S9_S9_S9_S9_ffiiiiiiiiiiiii
    .private_segment_fixed_size: 0
    .sgpr_count:     40
    .sgpr_spill_count: 0
    .symbol:         _ZN5aiter35fused_qk_rmsnorm_group_quant_kernelItN4opus5fp4_tELi512ELi16ELi4ELb0ELb1ELb0ELb0ELb0ELb0EEEvPT0_PvPT_S7_S7_PKS6_S9_S9_S9_S9_ffiiiiiiiiiiiii.kd
    .uniform_work_group_size: 1
    .uses_dynamic_stack: false
    .vgpr_count:     35
    .vgpr_spill_count: 0
    .wavefront_size: 64
  - .agpr_count:     0
    .args:
      - .actual_access:  write_only
        .address_space:  global
        .offset:         0
        .size:           8
        .value_kind:     global_buffer
      - .actual_access:  write_only
        .address_space:  global
        .offset:         8
        .size:           8
        .value_kind:     global_buffer
      - .actual_access:  read_only
        .address_space:  global
        .offset:         16
        .size:           8
        .value_kind:     global_buffer
      - .actual_access:  write_only
        .address_space:  global
        .offset:         24
        .size:           8
        .value_kind:     global_buffer
      - .actual_access:  read_only
        .address_space:  global
        .offset:         32
        .size:           8
        .value_kind:     global_buffer
      - .actual_access:  read_only
        .address_space:  global
        .offset:         40
        .size:           8
        .value_kind:     global_buffer
      - .actual_access:  read_only
        .address_space:  global
        .offset:         48
        .size:           8
        .value_kind:     global_buffer
      - .actual_access:  read_only
        .address_space:  global
        .offset:         56
        .size:           8
        .value_kind:     global_buffer
      - .actual_access:  read_only
        .address_space:  global
        .offset:         64
        .size:           8
        .value_kind:     global_buffer
      - .actual_access:  read_only
        .address_space:  global
        .offset:         72
        .size:           8
        .value_kind:     global_buffer
      - .offset:         80
        .size:           4
        .value_kind:     by_value
      - .offset:         84
        .size:           4
        .value_kind:     by_value
      - .offset:         88
        .size:           4
        .value_kind:     by_value
      - .offset:         92
        .size:           4
        .value_kind:     by_value
      - .offset:         96
        .size:           4
        .value_kind:     by_value
      - .offset:         100
        .size:           4
        .value_kind:     by_value
      - .offset:         104
        .size:           4
        .value_kind:     by_value
      - .offset:         108
        .size:           4
        .value_kind:     by_value
      - .offset:         112
        .size:           4
        .value_kind:     by_value
      - .offset:         116
        .size:           4
        .value_kind:     by_value
      - .offset:         120
        .size:           4
        .value_kind:     by_value
      - .offset:         124
        .size:           4
        .value_kind:     by_value
      - .offset:         128
        .size:           4
        .value_kind:     by_value
      - .offset:         132
        .size:           4
        .value_kind:     by_value
      - .offset:         136
        .size:           4
        .value_kind:     by_value
      - .offset:         144
        .size:           4
        .value_kind:     hidden_block_count_x
      - .offset:         148
        .size:           4
        .value_kind:     hidden_block_count_y
      - .offset:         152
        .size:           4
        .value_kind:     hidden_block_count_z
      - .offset:         156
        .size:           2
        .value_kind:     hidden_group_size_x
      - .offset:         158
        .size:           2
        .value_kind:     hidden_group_size_y
      - .offset:         160
        .size:           2
        .value_kind:     hidden_group_size_z
      - .offset:         162
        .size:           2
        .value_kind:     hidden_remainder_x
      - .offset:         164
        .size:           2
        .value_kind:     hidden_remainder_y
      - .offset:         166
        .size:           2
        .value_kind:     hidden_remainder_z
      - .offset:         184
        .size:           8
        .value_kind:     hidden_global_offset_x
      - .offset:         192
        .size:           8
        .value_kind:     hidden_global_offset_y
      - .offset:         200
        .size:           8
        .value_kind:     hidden_global_offset_z
      - .offset:         208
        .size:           2
        .value_kind:     hidden_grid_dims
    .group_segment_fixed_size: 64
    .kernarg_segment_align: 8
    .kernarg_segment_size: 400
    .language:       OpenCL C
    .language_version:
      - 2
      - 0
    .max_flat_workgroup_size: 1024
    .name:           _ZN5aiter35fused_qk_rmsnorm_group_quant_kernelIDF16_DB8_Li512ELi16ELi4ELb0ELb0ELb1ELb0ELb0ELb0EEEvPT0_PvPT_S6_S6_PKS5_S8_S8_S8_S8_ffiiiiiiiiiiiii
    .private_segment_fixed_size: 0
    .sgpr_count:     36
    .sgpr_spill_count: 0
    .symbol:         _ZN5aiter35fused_qk_rmsnorm_group_quant_kernelIDF16_DB8_Li512ELi16ELi4ELb0ELb0ELb1ELb0ELb0ELb0EEEvPT0_PvPT_S6_S6_PKS5_S8_S8_S8_S8_ffiiiiiiiiiiiii.kd
    .uniform_work_group_size: 1
    .uses_dynamic_stack: false
    .vgpr_count:     35
    .vgpr_spill_count: 0
    .wavefront_size: 64
  - .agpr_count:     0
    .args:
      - .actual_access:  write_only
        .address_space:  global
        .offset:         0
        .size:           8
        .value_kind:     global_buffer
      - .actual_access:  write_only
        .address_space:  global
        .offset:         8
        .size:           8
        .value_kind:     global_buffer
      - .actual_access:  read_only
        .address_space:  global
        .offset:         16
        .size:           8
        .value_kind:     global_buffer
      - .actual_access:  write_only
        .address_space:  global
        .offset:         24
        .size:           8
        .value_kind:     global_buffer
      - .actual_access:  read_only
        .address_space:  global
        .offset:         32
        .size:           8
        .value_kind:     global_buffer
      - .actual_access:  read_only
        .address_space:  global
        .offset:         40
        .size:           8
        .value_kind:     global_buffer
      - .actual_access:  read_only
        .address_space:  global
        .offset:         48
        .size:           8
        .value_kind:     global_buffer
      - .actual_access:  read_only
        .address_space:  global
        .offset:         56
        .size:           8
        .value_kind:     global_buffer
      - .actual_access:  read_only
        .address_space:  global
        .offset:         64
        .size:           8
        .value_kind:     global_buffer
      - .actual_access:  read_only
        .address_space:  global
        .offset:         72
        .size:           8
        .value_kind:     global_buffer
      - .offset:         80
        .size:           4
        .value_kind:     by_value
      - .offset:         84
        .size:           4
        .value_kind:     by_value
      - .offset:         88
        .size:           4
        .value_kind:     by_value
      - .offset:         92
        .size:           4
        .value_kind:     by_value
      - .offset:         96
        .size:           4
        .value_kind:     by_value
      - .offset:         100
        .size:           4
        .value_kind:     by_value
      - .offset:         104
        .size:           4
        .value_kind:     by_value
      - .offset:         108
        .size:           4
        .value_kind:     by_value
      - .offset:         112
        .size:           4
        .value_kind:     by_value
      - .offset:         116
        .size:           4
        .value_kind:     by_value
      - .offset:         120
        .size:           4
        .value_kind:     by_value
      - .offset:         124
        .size:           4
        .value_kind:     by_value
      - .offset:         128
        .size:           4
        .value_kind:     by_value
      - .offset:         132
        .size:           4
        .value_kind:     by_value
      - .offset:         136
        .size:           4
        .value_kind:     by_value
      - .offset:         144
        .size:           4
        .value_kind:     hidden_block_count_x
      - .offset:         148
        .size:           4
        .value_kind:     hidden_block_count_y
      - .offset:         152
        .size:           4
        .value_kind:     hidden_block_count_z
      - .offset:         156
        .size:           2
        .value_kind:     hidden_group_size_x
      - .offset:         158
        .size:           2
        .value_kind:     hidden_group_size_y
      - .offset:         160
        .size:           2
        .value_kind:     hidden_group_size_z
      - .offset:         162
        .size:           2
        .value_kind:     hidden_remainder_x
      - .offset:         164
        .size:           2
        .value_kind:     hidden_remainder_y
      - .offset:         166
        .size:           2
        .value_kind:     hidden_remainder_z
      - .offset:         184
        .size:           8
        .value_kind:     hidden_global_offset_x
      - .offset:         192
        .size:           8
        .value_kind:     hidden_global_offset_y
      - .offset:         200
        .size:           8
        .value_kind:     hidden_global_offset_z
      - .offset:         208
        .size:           2
        .value_kind:     hidden_grid_dims
    .group_segment_fixed_size: 64
    .kernarg_segment_align: 8
    .kernarg_segment_size: 400
    .language:       OpenCL C
    .language_version:
      - 2
      - 0
    .max_flat_workgroup_size: 1024
    .name:           _ZN5aiter35fused_qk_rmsnorm_group_quant_kernelItDB8_Li512ELi16ELi4ELb0ELb0ELb1ELb0ELb0ELb0EEEvPT0_PvPT_S6_S6_PKS5_S8_S8_S8_S8_ffiiiiiiiiiiiii
    .private_segment_fixed_size: 0
    .sgpr_count:     36
    .sgpr_spill_count: 0
    .symbol:         _ZN5aiter35fused_qk_rmsnorm_group_quant_kernelItDB8_Li512ELi16ELi4ELb0ELb0ELb1ELb0ELb0ELb0EEEvPT0_PvPT_S6_S6_PKS5_S8_S8_S8_S8_ffiiiiiiiiiiiii.kd
    .uniform_work_group_size: 1
    .uses_dynamic_stack: false
    .vgpr_count:     35
    .vgpr_spill_count: 0
    .wavefront_size: 64
  - .agpr_count:     0
    .args:
      - .actual_access:  write_only
        .address_space:  global
        .offset:         0
        .size:           8
        .value_kind:     global_buffer
      - .actual_access:  write_only
        .address_space:  global
        .offset:         8
        .size:           8
        .value_kind:     global_buffer
      - .actual_access:  read_only
        .address_space:  global
        .offset:         16
        .size:           8
        .value_kind:     global_buffer
      - .actual_access:  write_only
        .address_space:  global
        .offset:         24
        .size:           8
        .value_kind:     global_buffer
      - .actual_access:  read_only
        .address_space:  global
        .offset:         32
        .size:           8
        .value_kind:     global_buffer
      - .actual_access:  read_only
        .address_space:  global
        .offset:         40
        .size:           8
        .value_kind:     global_buffer
      - .actual_access:  read_only
        .address_space:  global
        .offset:         48
        .size:           8
        .value_kind:     global_buffer
      - .actual_access:  read_only
        .address_space:  global
        .offset:         56
        .size:           8
        .value_kind:     global_buffer
      - .actual_access:  read_only
        .address_space:  global
        .offset:         64
        .size:           8
        .value_kind:     global_buffer
      - .actual_access:  read_only
        .address_space:  global
        .offset:         72
        .size:           8
        .value_kind:     global_buffer
      - .offset:         80
        .size:           4
        .value_kind:     by_value
      - .offset:         84
        .size:           4
        .value_kind:     by_value
      - .offset:         88
        .size:           4
        .value_kind:     by_value
      - .offset:         92
        .size:           4
        .value_kind:     by_value
      - .offset:         96
        .size:           4
        .value_kind:     by_value
      - .offset:         100
        .size:           4
        .value_kind:     by_value
      - .offset:         104
        .size:           4
        .value_kind:     by_value
      - .offset:         108
        .size:           4
        .value_kind:     by_value
      - .offset:         112
        .size:           4
        .value_kind:     by_value
      - .offset:         116
        .size:           4
        .value_kind:     by_value
      - .offset:         120
        .size:           4
        .value_kind:     by_value
      - .offset:         124
        .size:           4
        .value_kind:     by_value
      - .offset:         128
        .size:           4
        .value_kind:     by_value
      - .offset:         132
        .size:           4
        .value_kind:     by_value
      - .offset:         136
        .size:           4
        .value_kind:     by_value
      - .offset:         144
        .size:           4
        .value_kind:     hidden_block_count_x
      - .offset:         148
        .size:           4
        .value_kind:     hidden_block_count_y
      - .offset:         152
        .size:           4
        .value_kind:     hidden_block_count_z
      - .offset:         156
        .size:           2
        .value_kind:     hidden_group_size_x
      - .offset:         158
        .size:           2
        .value_kind:     hidden_group_size_y
      - .offset:         160
        .size:           2
        .value_kind:     hidden_group_size_z
      - .offset:         162
        .size:           2
        .value_kind:     hidden_remainder_x
      - .offset:         164
        .size:           2
        .value_kind:     hidden_remainder_y
      - .offset:         166
        .size:           2
        .value_kind:     hidden_remainder_z
      - .offset:         184
        .size:           8
        .value_kind:     hidden_global_offset_x
      - .offset:         192
        .size:           8
        .value_kind:     hidden_global_offset_y
      - .offset:         200
        .size:           8
        .value_kind:     hidden_global_offset_z
      - .offset:         208
        .size:           2
        .value_kind:     hidden_grid_dims
    .group_segment_fixed_size: 64
    .kernarg_segment_align: 8
    .kernarg_segment_size: 400
    .language:       OpenCL C
    .language_version:
      - 2
      - 0
    .max_flat_workgroup_size: 1024
    .name:           _ZN5aiter35fused_qk_rmsnorm_group_quant_kernelIDF16_N4opus5fp4_tELi512ELi16ELi4ELb0ELb0ELb1ELb0ELb0ELb0EEEvPT0_PvPT_S7_S7_PKS6_S9_S9_S9_S9_ffiiiiiiiiiiiii
    .private_segment_fixed_size: 0
    .sgpr_count:     36
    .sgpr_spill_count: 0
    .symbol:         _ZN5aiter35fused_qk_rmsnorm_group_quant_kernelIDF16_N4opus5fp4_tELi512ELi16ELi4ELb0ELb0ELb1ELb0ELb0ELb0EEEvPT0_PvPT_S7_S7_PKS6_S9_S9_S9_S9_ffiiiiiiiiiiiii.kd
    .uniform_work_group_size: 1
    .uses_dynamic_stack: false
    .vgpr_count:     35
    .vgpr_spill_count: 0
    .wavefront_size: 64
  - .agpr_count:     0
    .args:
      - .actual_access:  write_only
        .address_space:  global
        .offset:         0
        .size:           8
        .value_kind:     global_buffer
      - .actual_access:  write_only
        .address_space:  global
        .offset:         8
        .size:           8
        .value_kind:     global_buffer
      - .actual_access:  read_only
        .address_space:  global
        .offset:         16
        .size:           8
        .value_kind:     global_buffer
      - .actual_access:  write_only
        .address_space:  global
        .offset:         24
        .size:           8
        .value_kind:     global_buffer
      - .actual_access:  read_only
        .address_space:  global
        .offset:         32
        .size:           8
        .value_kind:     global_buffer
      - .actual_access:  read_only
        .address_space:  global
        .offset:         40
        .size:           8
        .value_kind:     global_buffer
      - .actual_access:  read_only
        .address_space:  global
        .offset:         48
        .size:           8
        .value_kind:     global_buffer
      - .actual_access:  read_only
        .address_space:  global
        .offset:         56
        .size:           8
        .value_kind:     global_buffer
      - .actual_access:  read_only
        .address_space:  global
        .offset:         64
        .size:           8
        .value_kind:     global_buffer
      - .actual_access:  read_only
        .address_space:  global
        .offset:         72
        .size:           8
        .value_kind:     global_buffer
      - .offset:         80
        .size:           4
        .value_kind:     by_value
      - .offset:         84
        .size:           4
        .value_kind:     by_value
      - .offset:         88
        .size:           4
        .value_kind:     by_value
      - .offset:         92
        .size:           4
        .value_kind:     by_value
      - .offset:         96
        .size:           4
        .value_kind:     by_value
      - .offset:         100
        .size:           4
        .value_kind:     by_value
      - .offset:         104
        .size:           4
        .value_kind:     by_value
      - .offset:         108
        .size:           4
        .value_kind:     by_value
      - .offset:         112
        .size:           4
        .value_kind:     by_value
      - .offset:         116
        .size:           4
        .value_kind:     by_value
      - .offset:         120
        .size:           4
        .value_kind:     by_value
      - .offset:         124
        .size:           4
        .value_kind:     by_value
      - .offset:         128
        .size:           4
        .value_kind:     by_value
      - .offset:         132
        .size:           4
        .value_kind:     by_value
      - .offset:         136
        .size:           4
        .value_kind:     by_value
      - .offset:         144
        .size:           4
        .value_kind:     hidden_block_count_x
      - .offset:         148
        .size:           4
        .value_kind:     hidden_block_count_y
      - .offset:         152
        .size:           4
        .value_kind:     hidden_block_count_z
      - .offset:         156
        .size:           2
        .value_kind:     hidden_group_size_x
      - .offset:         158
        .size:           2
        .value_kind:     hidden_group_size_y
      - .offset:         160
        .size:           2
        .value_kind:     hidden_group_size_z
      - .offset:         162
        .size:           2
        .value_kind:     hidden_remainder_x
      - .offset:         164
        .size:           2
        .value_kind:     hidden_remainder_y
      - .offset:         166
        .size:           2
        .value_kind:     hidden_remainder_z
      - .offset:         184
        .size:           8
        .value_kind:     hidden_global_offset_x
      - .offset:         192
        .size:           8
        .value_kind:     hidden_global_offset_y
      - .offset:         200
        .size:           8
        .value_kind:     hidden_global_offset_z
      - .offset:         208
        .size:           2
        .value_kind:     hidden_grid_dims
    .group_segment_fixed_size: 64
    .kernarg_segment_align: 8
    .kernarg_segment_size: 400
    .language:       OpenCL C
    .language_version:
      - 2
      - 0
    .max_flat_workgroup_size: 1024
    .name:           _ZN5aiter35fused_qk_rmsnorm_group_quant_kernelItN4opus5fp4_tELi512ELi16ELi4ELb0ELb0ELb1ELb0ELb0ELb0EEEvPT0_PvPT_S7_S7_PKS6_S9_S9_S9_S9_ffiiiiiiiiiiiii
    .private_segment_fixed_size: 0
    .sgpr_count:     36
    .sgpr_spill_count: 0
    .symbol:         _ZN5aiter35fused_qk_rmsnorm_group_quant_kernelItN4opus5fp4_tELi512ELi16ELi4ELb0ELb0ELb1ELb0ELb0ELb0EEEvPT0_PvPT_S7_S7_PKS6_S9_S9_S9_S9_ffiiiiiiiiiiiii.kd
    .uniform_work_group_size: 1
    .uses_dynamic_stack: false
    .vgpr_count:     35
    .vgpr_spill_count: 0
    .wavefront_size: 64
  - .agpr_count:     0
    .args:
      - .actual_access:  write_only
        .address_space:  global
        .offset:         0
        .size:           8
        .value_kind:     global_buffer
      - .actual_access:  write_only
        .address_space:  global
        .offset:         8
        .size:           8
        .value_kind:     global_buffer
      - .actual_access:  read_only
        .address_space:  global
        .offset:         16
        .size:           8
        .value_kind:     global_buffer
      - .actual_access:  write_only
        .address_space:  global
        .offset:         24
        .size:           8
        .value_kind:     global_buffer
      - .actual_access:  read_only
        .address_space:  global
        .offset:         32
        .size:           8
        .value_kind:     global_buffer
      - .actual_access:  read_only
        .address_space:  global
        .offset:         40
        .size:           8
        .value_kind:     global_buffer
      - .actual_access:  read_only
        .address_space:  global
        .offset:         48
        .size:           8
        .value_kind:     global_buffer
      - .actual_access:  read_only
        .address_space:  global
        .offset:         56
        .size:           8
        .value_kind:     global_buffer
      - .actual_access:  read_only
        .address_space:  global
        .offset:         64
        .size:           8
        .value_kind:     global_buffer
      - .actual_access:  read_only
        .address_space:  global
        .offset:         72
        .size:           8
        .value_kind:     global_buffer
      - .offset:         80
        .size:           4
        .value_kind:     by_value
      - .offset:         84
        .size:           4
        .value_kind:     by_value
      - .offset:         88
        .size:           4
        .value_kind:     by_value
      - .offset:         92
        .size:           4
        .value_kind:     by_value
      - .offset:         96
        .size:           4
        .value_kind:     by_value
      - .offset:         100
        .size:           4
        .value_kind:     by_value
      - .offset:         104
        .size:           4
        .value_kind:     by_value
      - .offset:         108
        .size:           4
        .value_kind:     by_value
      - .offset:         112
        .size:           4
        .value_kind:     by_value
      - .offset:         116
        .size:           4
        .value_kind:     by_value
      - .offset:         120
        .size:           4
        .value_kind:     by_value
      - .offset:         124
        .size:           4
        .value_kind:     by_value
      - .offset:         128
        .size:           4
        .value_kind:     by_value
      - .offset:         132
        .size:           4
        .value_kind:     by_value
      - .offset:         136
        .size:           4
        .value_kind:     by_value
      - .offset:         144
        .size:           4
        .value_kind:     hidden_block_count_x
      - .offset:         148
        .size:           4
        .value_kind:     hidden_block_count_y
      - .offset:         152
        .size:           4
        .value_kind:     hidden_block_count_z
      - .offset:         156
        .size:           2
        .value_kind:     hidden_group_size_x
      - .offset:         158
        .size:           2
        .value_kind:     hidden_group_size_y
      - .offset:         160
        .size:           2
        .value_kind:     hidden_group_size_z
      - .offset:         162
        .size:           2
        .value_kind:     hidden_remainder_x
      - .offset:         164
        .size:           2
        .value_kind:     hidden_remainder_y
      - .offset:         166
        .size:           2
        .value_kind:     hidden_remainder_z
      - .offset:         184
        .size:           8
        .value_kind:     hidden_global_offset_x
      - .offset:         192
        .size:           8
        .value_kind:     hidden_global_offset_y
      - .offset:         200
        .size:           8
        .value_kind:     hidden_global_offset_z
      - .offset:         208
        .size:           2
        .value_kind:     hidden_grid_dims
    .group_segment_fixed_size: 64
    .kernarg_segment_align: 8
    .kernarg_segment_size: 400
    .language:       OpenCL C
    .language_version:
      - 2
      - 0
    .max_flat_workgroup_size: 1024
    .name:           _ZN5aiter35fused_qk_rmsnorm_group_quant_kernelIDF16_DB8_Li512ELi16ELi4ELb0ELb0ELb0ELb0ELb0ELb0EEEvPT0_PvPT_S6_S6_PKS5_S8_S8_S8_S8_ffiiiiiiiiiiiii
    .private_segment_fixed_size: 0
    .sgpr_count:     36
    .sgpr_spill_count: 0
    .symbol:         _ZN5aiter35fused_qk_rmsnorm_group_quant_kernelIDF16_DB8_Li512ELi16ELi4ELb0ELb0ELb0ELb0ELb0ELb0EEEvPT0_PvPT_S6_S6_PKS5_S8_S8_S8_S8_ffiiiiiiiiiiiii.kd
    .uniform_work_group_size: 1
    .uses_dynamic_stack: false
    .vgpr_count:     38
    .vgpr_spill_count: 0
    .wavefront_size: 64
  - .agpr_count:     0
    .args:
      - .actual_access:  write_only
        .address_space:  global
        .offset:         0
        .size:           8
        .value_kind:     global_buffer
      - .actual_access:  write_only
        .address_space:  global
        .offset:         8
        .size:           8
        .value_kind:     global_buffer
      - .actual_access:  read_only
        .address_space:  global
        .offset:         16
        .size:           8
        .value_kind:     global_buffer
      - .actual_access:  write_only
        .address_space:  global
        .offset:         24
        .size:           8
        .value_kind:     global_buffer
      - .actual_access:  read_only
        .address_space:  global
        .offset:         32
        .size:           8
        .value_kind:     global_buffer
      - .actual_access:  read_only
        .address_space:  global
        .offset:         40
        .size:           8
        .value_kind:     global_buffer
      - .actual_access:  read_only
        .address_space:  global
        .offset:         48
        .size:           8
        .value_kind:     global_buffer
      - .actual_access:  read_only
        .address_space:  global
        .offset:         56
        .size:           8
        .value_kind:     global_buffer
      - .actual_access:  read_only
        .address_space:  global
        .offset:         64
        .size:           8
        .value_kind:     global_buffer
      - .actual_access:  read_only
        .address_space:  global
        .offset:         72
        .size:           8
        .value_kind:     global_buffer
      - .offset:         80
        .size:           4
        .value_kind:     by_value
      - .offset:         84
        .size:           4
        .value_kind:     by_value
      - .offset:         88
        .size:           4
        .value_kind:     by_value
      - .offset:         92
        .size:           4
        .value_kind:     by_value
      - .offset:         96
        .size:           4
        .value_kind:     by_value
      - .offset:         100
        .size:           4
        .value_kind:     by_value
      - .offset:         104
        .size:           4
        .value_kind:     by_value
      - .offset:         108
        .size:           4
        .value_kind:     by_value
      - .offset:         112
        .size:           4
        .value_kind:     by_value
      - .offset:         116
        .size:           4
        .value_kind:     by_value
      - .offset:         120
        .size:           4
        .value_kind:     by_value
      - .offset:         124
        .size:           4
        .value_kind:     by_value
      - .offset:         128
        .size:           4
        .value_kind:     by_value
      - .offset:         132
        .size:           4
        .value_kind:     by_value
      - .offset:         136
        .size:           4
        .value_kind:     by_value
      - .offset:         144
        .size:           4
        .value_kind:     hidden_block_count_x
      - .offset:         148
        .size:           4
        .value_kind:     hidden_block_count_y
      - .offset:         152
        .size:           4
        .value_kind:     hidden_block_count_z
      - .offset:         156
        .size:           2
        .value_kind:     hidden_group_size_x
      - .offset:         158
        .size:           2
        .value_kind:     hidden_group_size_y
      - .offset:         160
        .size:           2
        .value_kind:     hidden_group_size_z
      - .offset:         162
        .size:           2
        .value_kind:     hidden_remainder_x
      - .offset:         164
        .size:           2
        .value_kind:     hidden_remainder_y
      - .offset:         166
        .size:           2
        .value_kind:     hidden_remainder_z
      - .offset:         184
        .size:           8
        .value_kind:     hidden_global_offset_x
      - .offset:         192
        .size:           8
        .value_kind:     hidden_global_offset_y
      - .offset:         200
        .size:           8
        .value_kind:     hidden_global_offset_z
      - .offset:         208
        .size:           2
        .value_kind:     hidden_grid_dims
    .group_segment_fixed_size: 64
    .kernarg_segment_align: 8
    .kernarg_segment_size: 400
    .language:       OpenCL C
    .language_version:
      - 2
      - 0
    .max_flat_workgroup_size: 1024
    .name:           _ZN5aiter35fused_qk_rmsnorm_group_quant_kernelItDB8_Li512ELi16ELi4ELb0ELb0ELb0ELb0ELb0ELb0EEEvPT0_PvPT_S6_S6_PKS5_S8_S8_S8_S8_ffiiiiiiiiiiiii
    .private_segment_fixed_size: 0
    .sgpr_count:     36
    .sgpr_spill_count: 0
    .symbol:         _ZN5aiter35fused_qk_rmsnorm_group_quant_kernelItDB8_Li512ELi16ELi4ELb0ELb0ELb0ELb0ELb0ELb0EEEvPT0_PvPT_S6_S6_PKS5_S8_S8_S8_S8_ffiiiiiiiiiiiii.kd
    .uniform_work_group_size: 1
    .uses_dynamic_stack: false
    .vgpr_count:     38
    .vgpr_spill_count: 0
    .wavefront_size: 64
  - .agpr_count:     0
    .args:
      - .actual_access:  write_only
        .address_space:  global
        .offset:         0
        .size:           8
        .value_kind:     global_buffer
      - .actual_access:  write_only
        .address_space:  global
        .offset:         8
        .size:           8
        .value_kind:     global_buffer
      - .actual_access:  read_only
        .address_space:  global
        .offset:         16
        .size:           8
        .value_kind:     global_buffer
      - .actual_access:  write_only
        .address_space:  global
        .offset:         24
        .size:           8
        .value_kind:     global_buffer
      - .actual_access:  read_only
        .address_space:  global
        .offset:         32
        .size:           8
        .value_kind:     global_buffer
      - .actual_access:  read_only
        .address_space:  global
        .offset:         40
        .size:           8
        .value_kind:     global_buffer
      - .actual_access:  read_only
        .address_space:  global
        .offset:         48
        .size:           8
        .value_kind:     global_buffer
      - .actual_access:  read_only
        .address_space:  global
        .offset:         56
        .size:           8
        .value_kind:     global_buffer
      - .actual_access:  read_only
        .address_space:  global
        .offset:         64
        .size:           8
        .value_kind:     global_buffer
      - .actual_access:  read_only
        .address_space:  global
        .offset:         72
        .size:           8
        .value_kind:     global_buffer
      - .offset:         80
        .size:           4
        .value_kind:     by_value
      - .offset:         84
        .size:           4
        .value_kind:     by_value
      - .offset:         88
        .size:           4
        .value_kind:     by_value
      - .offset:         92
        .size:           4
        .value_kind:     by_value
      - .offset:         96
        .size:           4
        .value_kind:     by_value
      - .offset:         100
        .size:           4
        .value_kind:     by_value
      - .offset:         104
        .size:           4
        .value_kind:     by_value
      - .offset:         108
        .size:           4
        .value_kind:     by_value
      - .offset:         112
        .size:           4
        .value_kind:     by_value
      - .offset:         116
        .size:           4
        .value_kind:     by_value
      - .offset:         120
        .size:           4
        .value_kind:     by_value
      - .offset:         124
        .size:           4
        .value_kind:     by_value
      - .offset:         128
        .size:           4
        .value_kind:     by_value
      - .offset:         132
        .size:           4
        .value_kind:     by_value
      - .offset:         136
        .size:           4
        .value_kind:     by_value
      - .offset:         144
        .size:           4
        .value_kind:     hidden_block_count_x
      - .offset:         148
        .size:           4
        .value_kind:     hidden_block_count_y
      - .offset:         152
        .size:           4
        .value_kind:     hidden_block_count_z
      - .offset:         156
        .size:           2
        .value_kind:     hidden_group_size_x
      - .offset:         158
        .size:           2
        .value_kind:     hidden_group_size_y
      - .offset:         160
        .size:           2
        .value_kind:     hidden_group_size_z
      - .offset:         162
        .size:           2
        .value_kind:     hidden_remainder_x
      - .offset:         164
        .size:           2
        .value_kind:     hidden_remainder_y
      - .offset:         166
        .size:           2
        .value_kind:     hidden_remainder_z
      - .offset:         184
        .size:           8
        .value_kind:     hidden_global_offset_x
      - .offset:         192
        .size:           8
        .value_kind:     hidden_global_offset_y
      - .offset:         200
        .size:           8
        .value_kind:     hidden_global_offset_z
      - .offset:         208
        .size:           2
        .value_kind:     hidden_grid_dims
    .group_segment_fixed_size: 64
    .kernarg_segment_align: 8
    .kernarg_segment_size: 400
    .language:       OpenCL C
    .language_version:
      - 2
      - 0
    .max_flat_workgroup_size: 1024
    .name:           _ZN5aiter35fused_qk_rmsnorm_group_quant_kernelIDF16_N4opus5fp4_tELi512ELi16ELi4ELb0ELb0ELb0ELb0ELb0ELb0EEEvPT0_PvPT_S7_S7_PKS6_S9_S9_S9_S9_ffiiiiiiiiiiiii
    .private_segment_fixed_size: 0
    .sgpr_count:     36
    .sgpr_spill_count: 0
    .symbol:         _ZN5aiter35fused_qk_rmsnorm_group_quant_kernelIDF16_N4opus5fp4_tELi512ELi16ELi4ELb0ELb0ELb0ELb0ELb0ELb0EEEvPT0_PvPT_S7_S7_PKS6_S9_S9_S9_S9_ffiiiiiiiiiiiii.kd
    .uniform_work_group_size: 1
    .uses_dynamic_stack: false
    .vgpr_count:     35
    .vgpr_spill_count: 0
    .wavefront_size: 64
  - .agpr_count:     0
    .args:
      - .actual_access:  write_only
        .address_space:  global
        .offset:         0
        .size:           8
        .value_kind:     global_buffer
      - .actual_access:  write_only
        .address_space:  global
        .offset:         8
        .size:           8
        .value_kind:     global_buffer
      - .actual_access:  read_only
        .address_space:  global
        .offset:         16
        .size:           8
        .value_kind:     global_buffer
      - .actual_access:  write_only
        .address_space:  global
        .offset:         24
        .size:           8
        .value_kind:     global_buffer
      - .actual_access:  read_only
        .address_space:  global
        .offset:         32
        .size:           8
        .value_kind:     global_buffer
      - .actual_access:  read_only
        .address_space:  global
        .offset:         40
        .size:           8
        .value_kind:     global_buffer
      - .actual_access:  read_only
        .address_space:  global
        .offset:         48
        .size:           8
        .value_kind:     global_buffer
      - .actual_access:  read_only
        .address_space:  global
        .offset:         56
        .size:           8
        .value_kind:     global_buffer
      - .actual_access:  read_only
        .address_space:  global
        .offset:         64
        .size:           8
        .value_kind:     global_buffer
      - .actual_access:  read_only
        .address_space:  global
        .offset:         72
        .size:           8
        .value_kind:     global_buffer
      - .offset:         80
        .size:           4
        .value_kind:     by_value
      - .offset:         84
        .size:           4
        .value_kind:     by_value
      - .offset:         88
        .size:           4
        .value_kind:     by_value
      - .offset:         92
        .size:           4
        .value_kind:     by_value
      - .offset:         96
        .size:           4
        .value_kind:     by_value
      - .offset:         100
        .size:           4
        .value_kind:     by_value
      - .offset:         104
        .size:           4
        .value_kind:     by_value
      - .offset:         108
        .size:           4
        .value_kind:     by_value
      - .offset:         112
        .size:           4
        .value_kind:     by_value
      - .offset:         116
        .size:           4
        .value_kind:     by_value
      - .offset:         120
        .size:           4
        .value_kind:     by_value
      - .offset:         124
        .size:           4
        .value_kind:     by_value
      - .offset:         128
        .size:           4
        .value_kind:     by_value
      - .offset:         132
        .size:           4
        .value_kind:     by_value
      - .offset:         136
        .size:           4
        .value_kind:     by_value
      - .offset:         144
        .size:           4
        .value_kind:     hidden_block_count_x
      - .offset:         148
        .size:           4
        .value_kind:     hidden_block_count_y
      - .offset:         152
        .size:           4
        .value_kind:     hidden_block_count_z
      - .offset:         156
        .size:           2
        .value_kind:     hidden_group_size_x
      - .offset:         158
        .size:           2
        .value_kind:     hidden_group_size_y
      - .offset:         160
        .size:           2
        .value_kind:     hidden_group_size_z
      - .offset:         162
        .size:           2
        .value_kind:     hidden_remainder_x
      - .offset:         164
        .size:           2
        .value_kind:     hidden_remainder_y
      - .offset:         166
        .size:           2
        .value_kind:     hidden_remainder_z
      - .offset:         184
        .size:           8
        .value_kind:     hidden_global_offset_x
      - .offset:         192
        .size:           8
        .value_kind:     hidden_global_offset_y
      - .offset:         200
        .size:           8
        .value_kind:     hidden_global_offset_z
      - .offset:         208
        .size:           2
        .value_kind:     hidden_grid_dims
    .group_segment_fixed_size: 64
    .kernarg_segment_align: 8
    .kernarg_segment_size: 400
    .language:       OpenCL C
    .language_version:
      - 2
      - 0
    .max_flat_workgroup_size: 1024
    .name:           _ZN5aiter35fused_qk_rmsnorm_group_quant_kernelItN4opus5fp4_tELi512ELi16ELi4ELb0ELb0ELb0ELb0ELb0ELb0EEEvPT0_PvPT_S7_S7_PKS6_S9_S9_S9_S9_ffiiiiiiiiiiiii
    .private_segment_fixed_size: 0
    .sgpr_count:     36
    .sgpr_spill_count: 0
    .symbol:         _ZN5aiter35fused_qk_rmsnorm_group_quant_kernelItN4opus5fp4_tELi512ELi16ELi4ELb0ELb0ELb0ELb0ELb0ELb0EEEvPT0_PvPT_S7_S7_PKS6_S9_S9_S9_S9_ffiiiiiiiiiiiii.kd
    .uniform_work_group_size: 1
    .uses_dynamic_stack: false
    .vgpr_count:     35
    .vgpr_spill_count: 0
    .wavefront_size: 64
  - .agpr_count:     0
    .args:
      - .actual_access:  read_only
        .address_space:  global
        .offset:         0
        .size:           8
        .value_kind:     global_buffer
      - .actual_access:  read_only
        .address_space:  global
        .offset:         8
        .size:           8
        .value_kind:     global_buffer
      - .actual_access:  write_only
        .address_space:  global
        .offset:         16
        .size:           8
        .value_kind:     global_buffer
      - .actual_access:  write_only
        .address_space:  global
        .offset:         24
        .size:           8
        .value_kind:     global_buffer
      - .actual_access:  write_only
        .address_space:  global
        .offset:         32
        .size:           8
        .value_kind:     global_buffer
      - .actual_access:  read_only
        .address_space:  global
        .offset:         40
        .size:           8
        .value_kind:     global_buffer
      - .actual_access:  read_only
        .address_space:  global
        .offset:         48
        .size:           8
        .value_kind:     global_buffer
      - .actual_access:  read_only
        .address_space:  global
        .offset:         56
        .size:           8
        .value_kind:     global_buffer
      - .actual_access:  read_only
        .address_space:  global
        .offset:         64
        .size:           8
        .value_kind:     global_buffer
      - .actual_access:  read_only
        .address_space:  global
        .offset:         72
        .size:           8
        .value_kind:     global_buffer
      - .offset:         80
        .size:           4
        .value_kind:     by_value
      - .offset:         84
        .size:           4
        .value_kind:     by_value
      - .offset:         88
        .size:           4
        .value_kind:     by_value
      - .offset:         92
        .size:           4
        .value_kind:     by_value
      - .offset:         96
        .size:           4
        .value_kind:     by_value
      - .offset:         100
        .size:           4
        .value_kind:     by_value
      - .offset:         104
        .size:           4
        .value_kind:     by_value
      - .offset:         108
        .size:           4
        .value_kind:     by_value
      - .offset:         112
        .size:           4
        .value_kind:     by_value
      - .offset:         116
        .size:           4
        .value_kind:     by_value
      - .offset:         120
        .size:           4
        .value_kind:     by_value
      - .offset:         124
        .size:           4
        .value_kind:     by_value
      - .offset:         128
        .size:           4
        .value_kind:     by_value
      - .offset:         132
        .size:           4
        .value_kind:     by_value
      - .offset:         136
        .size:           4
        .value_kind:     by_value
      - .offset:         144
        .size:           4
        .value_kind:     hidden_block_count_x
      - .offset:         148
        .size:           4
        .value_kind:     hidden_block_count_y
      - .offset:         152
        .size:           4
        .value_kind:     hidden_block_count_z
      - .offset:         156
        .size:           2
        .value_kind:     hidden_group_size_x
      - .offset:         158
        .size:           2
        .value_kind:     hidden_group_size_y
      - .offset:         160
        .size:           2
        .value_kind:     hidden_group_size_z
      - .offset:         162
        .size:           2
        .value_kind:     hidden_remainder_x
      - .offset:         164
        .size:           2
        .value_kind:     hidden_remainder_y
      - .offset:         166
        .size:           2
        .value_kind:     hidden_remainder_z
      - .offset:         184
        .size:           8
        .value_kind:     hidden_global_offset_x
      - .offset:         192
        .size:           8
        .value_kind:     hidden_global_offset_y
      - .offset:         200
        .size:           8
        .value_kind:     hidden_global_offset_z
      - .offset:         208
        .size:           2
        .value_kind:     hidden_grid_dims
    .group_segment_fixed_size: 64
    .kernarg_segment_align: 8
    .kernarg_segment_size: 400
    .language:       OpenCL C
    .language_version:
      - 2
      - 0
    .max_flat_workgroup_size: 1024
    .name:           _ZN5aiter35fused_qk_rmsnorm_group_quant_kernelIDF16_DB8_Li512ELi16ELi2ELb1ELb1ELb1ELb1ELb0ELb0EEEvPT0_PvPT_S6_S6_PKS5_S8_S8_S8_S8_ffiiiiiiiiiiiii
    .private_segment_fixed_size: 0
    .sgpr_count:     36
    .sgpr_spill_count: 0
    .symbol:         _ZN5aiter35fused_qk_rmsnorm_group_quant_kernelIDF16_DB8_Li512ELi16ELi2ELb1ELb1ELb1ELb1ELb0ELb0EEEvPT0_PvPT_S6_S6_PKS5_S8_S8_S8_S8_ffiiiiiiiiiiiii.kd
    .uniform_work_group_size: 1
    .uses_dynamic_stack: false
    .vgpr_count:     49
    .vgpr_spill_count: 0
    .wavefront_size: 64
  - .agpr_count:     0
    .args:
      - .actual_access:  read_only
        .address_space:  global
        .offset:         0
        .size:           8
        .value_kind:     global_buffer
      - .actual_access:  read_only
        .address_space:  global
        .offset:         8
        .size:           8
        .value_kind:     global_buffer
      - .actual_access:  write_only
        .address_space:  global
        .offset:         16
        .size:           8
        .value_kind:     global_buffer
      - .actual_access:  write_only
        .address_space:  global
        .offset:         24
        .size:           8
        .value_kind:     global_buffer
      - .actual_access:  write_only
        .address_space:  global
        .offset:         32
        .size:           8
        .value_kind:     global_buffer
      - .actual_access:  read_only
        .address_space:  global
        .offset:         40
        .size:           8
        .value_kind:     global_buffer
      - .actual_access:  read_only
        .address_space:  global
        .offset:         48
        .size:           8
        .value_kind:     global_buffer
      - .actual_access:  read_only
        .address_space:  global
        .offset:         56
        .size:           8
        .value_kind:     global_buffer
      - .actual_access:  read_only
        .address_space:  global
        .offset:         64
        .size:           8
        .value_kind:     global_buffer
      - .actual_access:  read_only
        .address_space:  global
        .offset:         72
        .size:           8
        .value_kind:     global_buffer
      - .offset:         80
        .size:           4
        .value_kind:     by_value
      - .offset:         84
        .size:           4
        .value_kind:     by_value
      - .offset:         88
        .size:           4
        .value_kind:     by_value
      - .offset:         92
        .size:           4
        .value_kind:     by_value
      - .offset:         96
        .size:           4
        .value_kind:     by_value
      - .offset:         100
        .size:           4
        .value_kind:     by_value
      - .offset:         104
        .size:           4
        .value_kind:     by_value
      - .offset:         108
        .size:           4
        .value_kind:     by_value
      - .offset:         112
        .size:           4
        .value_kind:     by_value
      - .offset:         116
        .size:           4
        .value_kind:     by_value
      - .offset:         120
        .size:           4
        .value_kind:     by_value
      - .offset:         124
        .size:           4
        .value_kind:     by_value
      - .offset:         128
        .size:           4
        .value_kind:     by_value
      - .offset:         132
        .size:           4
        .value_kind:     by_value
      - .offset:         136
        .size:           4
        .value_kind:     by_value
      - .offset:         144
        .size:           4
        .value_kind:     hidden_block_count_x
      - .offset:         148
        .size:           4
        .value_kind:     hidden_block_count_y
      - .offset:         152
        .size:           4
        .value_kind:     hidden_block_count_z
      - .offset:         156
        .size:           2
        .value_kind:     hidden_group_size_x
      - .offset:         158
        .size:           2
        .value_kind:     hidden_group_size_y
      - .offset:         160
        .size:           2
        .value_kind:     hidden_group_size_z
      - .offset:         162
        .size:           2
        .value_kind:     hidden_remainder_x
      - .offset:         164
        .size:           2
        .value_kind:     hidden_remainder_y
      - .offset:         166
        .size:           2
        .value_kind:     hidden_remainder_z
      - .offset:         184
        .size:           8
        .value_kind:     hidden_global_offset_x
      - .offset:         192
        .size:           8
        .value_kind:     hidden_global_offset_y
      - .offset:         200
        .size:           8
        .value_kind:     hidden_global_offset_z
      - .offset:         208
        .size:           2
        .value_kind:     hidden_grid_dims
    .group_segment_fixed_size: 64
    .kernarg_segment_align: 8
    .kernarg_segment_size: 400
    .language:       OpenCL C
    .language_version:
      - 2
      - 0
    .max_flat_workgroup_size: 1024
    .name:           _ZN5aiter35fused_qk_rmsnorm_group_quant_kernelItDB8_Li512ELi16ELi2ELb1ELb1ELb1ELb1ELb0ELb0EEEvPT0_PvPT_S6_S6_PKS5_S8_S8_S8_S8_ffiiiiiiiiiiiii
    .private_segment_fixed_size: 0
    .sgpr_count:     36
    .sgpr_spill_count: 0
    .symbol:         _ZN5aiter35fused_qk_rmsnorm_group_quant_kernelItDB8_Li512ELi16ELi2ELb1ELb1ELb1ELb1ELb0ELb0EEEvPT0_PvPT_S6_S6_PKS5_S8_S8_S8_S8_ffiiiiiiiiiiiii.kd
    .uniform_work_group_size: 1
    .uses_dynamic_stack: false
    .vgpr_count:     76
    .vgpr_spill_count: 0
    .wavefront_size: 64
  - .agpr_count:     0
    .args:
      - .actual_access:  read_only
        .address_space:  global
        .offset:         0
        .size:           8
        .value_kind:     global_buffer
      - .actual_access:  read_only
        .address_space:  global
        .offset:         8
        .size:           8
        .value_kind:     global_buffer
      - .actual_access:  write_only
        .address_space:  global
        .offset:         16
        .size:           8
        .value_kind:     global_buffer
      - .actual_access:  write_only
        .address_space:  global
        .offset:         24
        .size:           8
        .value_kind:     global_buffer
      - .actual_access:  write_only
        .address_space:  global
        .offset:         32
        .size:           8
        .value_kind:     global_buffer
      - .actual_access:  read_only
        .address_space:  global
        .offset:         40
        .size:           8
        .value_kind:     global_buffer
      - .actual_access:  read_only
        .address_space:  global
        .offset:         48
        .size:           8
        .value_kind:     global_buffer
      - .actual_access:  read_only
        .address_space:  global
        .offset:         56
        .size:           8
        .value_kind:     global_buffer
      - .actual_access:  read_only
        .address_space:  global
        .offset:         64
        .size:           8
        .value_kind:     global_buffer
      - .actual_access:  read_only
        .address_space:  global
        .offset:         72
        .size:           8
        .value_kind:     global_buffer
      - .offset:         80
        .size:           4
        .value_kind:     by_value
      - .offset:         84
        .size:           4
        .value_kind:     by_value
      - .offset:         88
        .size:           4
        .value_kind:     by_value
      - .offset:         92
        .size:           4
        .value_kind:     by_value
      - .offset:         96
        .size:           4
        .value_kind:     by_value
      - .offset:         100
        .size:           4
        .value_kind:     by_value
      - .offset:         104
        .size:           4
        .value_kind:     by_value
      - .offset:         108
        .size:           4
        .value_kind:     by_value
      - .offset:         112
        .size:           4
        .value_kind:     by_value
      - .offset:         116
        .size:           4
        .value_kind:     by_value
      - .offset:         120
        .size:           4
        .value_kind:     by_value
      - .offset:         124
        .size:           4
        .value_kind:     by_value
      - .offset:         128
        .size:           4
        .value_kind:     by_value
      - .offset:         132
        .size:           4
        .value_kind:     by_value
      - .offset:         136
        .size:           4
        .value_kind:     by_value
      - .offset:         144
        .size:           4
        .value_kind:     hidden_block_count_x
      - .offset:         148
        .size:           4
        .value_kind:     hidden_block_count_y
      - .offset:         152
        .size:           4
        .value_kind:     hidden_block_count_z
      - .offset:         156
        .size:           2
        .value_kind:     hidden_group_size_x
      - .offset:         158
        .size:           2
        .value_kind:     hidden_group_size_y
      - .offset:         160
        .size:           2
        .value_kind:     hidden_group_size_z
      - .offset:         162
        .size:           2
        .value_kind:     hidden_remainder_x
      - .offset:         164
        .size:           2
        .value_kind:     hidden_remainder_y
      - .offset:         166
        .size:           2
        .value_kind:     hidden_remainder_z
      - .offset:         184
        .size:           8
        .value_kind:     hidden_global_offset_x
      - .offset:         192
        .size:           8
        .value_kind:     hidden_global_offset_y
      - .offset:         200
        .size:           8
        .value_kind:     hidden_global_offset_z
      - .offset:         208
        .size:           2
        .value_kind:     hidden_grid_dims
    .group_segment_fixed_size: 64
    .kernarg_segment_align: 8
    .kernarg_segment_size: 400
    .language:       OpenCL C
    .language_version:
      - 2
      - 0
    .max_flat_workgroup_size: 1024
    .name:           _ZN5aiter35fused_qk_rmsnorm_group_quant_kernelIDF16_N4opus5fp4_tELi512ELi16ELi2ELb1ELb1ELb1ELb1ELb0ELb0EEEvPT0_PvPT_S7_S7_PKS6_S9_S9_S9_S9_ffiiiiiiiiiiiii
    .private_segment_fixed_size: 0
    .sgpr_count:     36
    .sgpr_spill_count: 0
    .symbol:         _ZN5aiter35fused_qk_rmsnorm_group_quant_kernelIDF16_N4opus5fp4_tELi512ELi16ELi2ELb1ELb1ELb1ELb1ELb0ELb0EEEvPT0_PvPT_S7_S7_PKS6_S9_S9_S9_S9_ffiiiiiiiiiiiii.kd
    .uniform_work_group_size: 1
    .uses_dynamic_stack: false
    .vgpr_count:     49
    .vgpr_spill_count: 0
    .wavefront_size: 64
  - .agpr_count:     0
    .args:
      - .actual_access:  read_only
        .address_space:  global
        .offset:         0
        .size:           8
        .value_kind:     global_buffer
      - .actual_access:  read_only
        .address_space:  global
        .offset:         8
        .size:           8
        .value_kind:     global_buffer
      - .actual_access:  write_only
        .address_space:  global
        .offset:         16
        .size:           8
        .value_kind:     global_buffer
      - .actual_access:  write_only
        .address_space:  global
        .offset:         24
        .size:           8
        .value_kind:     global_buffer
      - .actual_access:  write_only
        .address_space:  global
        .offset:         32
        .size:           8
        .value_kind:     global_buffer
      - .actual_access:  read_only
        .address_space:  global
        .offset:         40
        .size:           8
        .value_kind:     global_buffer
      - .actual_access:  read_only
        .address_space:  global
        .offset:         48
        .size:           8
        .value_kind:     global_buffer
      - .actual_access:  read_only
        .address_space:  global
        .offset:         56
        .size:           8
        .value_kind:     global_buffer
      - .actual_access:  read_only
        .address_space:  global
        .offset:         64
        .size:           8
        .value_kind:     global_buffer
      - .actual_access:  read_only
        .address_space:  global
        .offset:         72
        .size:           8
        .value_kind:     global_buffer
      - .offset:         80
        .size:           4
        .value_kind:     by_value
      - .offset:         84
        .size:           4
        .value_kind:     by_value
      - .offset:         88
        .size:           4
        .value_kind:     by_value
      - .offset:         92
        .size:           4
        .value_kind:     by_value
      - .offset:         96
        .size:           4
        .value_kind:     by_value
      - .offset:         100
        .size:           4
        .value_kind:     by_value
      - .offset:         104
        .size:           4
        .value_kind:     by_value
      - .offset:         108
        .size:           4
        .value_kind:     by_value
      - .offset:         112
        .size:           4
        .value_kind:     by_value
      - .offset:         116
        .size:           4
        .value_kind:     by_value
      - .offset:         120
        .size:           4
        .value_kind:     by_value
      - .offset:         124
        .size:           4
        .value_kind:     by_value
      - .offset:         128
        .size:           4
        .value_kind:     by_value
      - .offset:         132
        .size:           4
        .value_kind:     by_value
      - .offset:         136
        .size:           4
        .value_kind:     by_value
      - .offset:         144
        .size:           4
        .value_kind:     hidden_block_count_x
      - .offset:         148
        .size:           4
        .value_kind:     hidden_block_count_y
      - .offset:         152
        .size:           4
        .value_kind:     hidden_block_count_z
      - .offset:         156
        .size:           2
        .value_kind:     hidden_group_size_x
      - .offset:         158
        .size:           2
        .value_kind:     hidden_group_size_y
      - .offset:         160
        .size:           2
        .value_kind:     hidden_group_size_z
      - .offset:         162
        .size:           2
        .value_kind:     hidden_remainder_x
      - .offset:         164
        .size:           2
        .value_kind:     hidden_remainder_y
      - .offset:         166
        .size:           2
        .value_kind:     hidden_remainder_z
      - .offset:         184
        .size:           8
        .value_kind:     hidden_global_offset_x
      - .offset:         192
        .size:           8
        .value_kind:     hidden_global_offset_y
      - .offset:         200
        .size:           8
        .value_kind:     hidden_global_offset_z
      - .offset:         208
        .size:           2
        .value_kind:     hidden_grid_dims
    .group_segment_fixed_size: 64
    .kernarg_segment_align: 8
    .kernarg_segment_size: 400
    .language:       OpenCL C
    .language_version:
      - 2
      - 0
    .max_flat_workgroup_size: 1024
    .name:           _ZN5aiter35fused_qk_rmsnorm_group_quant_kernelItN4opus5fp4_tELi512ELi16ELi2ELb1ELb1ELb1ELb1ELb0ELb0EEEvPT0_PvPT_S7_S7_PKS6_S9_S9_S9_S9_ffiiiiiiiiiiiii
    .private_segment_fixed_size: 0
    .sgpr_count:     36
    .sgpr_spill_count: 0
    .symbol:         _ZN5aiter35fused_qk_rmsnorm_group_quant_kernelItN4opus5fp4_tELi512ELi16ELi2ELb1ELb1ELb1ELb1ELb0ELb0EEEvPT0_PvPT_S7_S7_PKS6_S9_S9_S9_S9_ffiiiiiiiiiiiii.kd
    .uniform_work_group_size: 1
    .uses_dynamic_stack: false
    .vgpr_count:     76
    .vgpr_spill_count: 0
    .wavefront_size: 64
  - .agpr_count:     0
    .args:
      - .actual_access:  read_only
        .address_space:  global
        .offset:         0
        .size:           8
        .value_kind:     global_buffer
      - .actual_access:  read_only
        .address_space:  global
        .offset:         8
        .size:           8
        .value_kind:     global_buffer
      - .actual_access:  write_only
        .address_space:  global
        .offset:         16
        .size:           8
        .value_kind:     global_buffer
      - .actual_access:  write_only
        .address_space:  global
        .offset:         24
        .size:           8
        .value_kind:     global_buffer
      - .actual_access:  write_only
        .address_space:  global
        .offset:         32
        .size:           8
        .value_kind:     global_buffer
      - .actual_access:  read_only
        .address_space:  global
        .offset:         40
        .size:           8
        .value_kind:     global_buffer
      - .actual_access:  read_only
        .address_space:  global
        .offset:         48
        .size:           8
        .value_kind:     global_buffer
      - .actual_access:  read_only
        .address_space:  global
        .offset:         56
        .size:           8
        .value_kind:     global_buffer
      - .actual_access:  read_only
        .address_space:  global
        .offset:         64
        .size:           8
        .value_kind:     global_buffer
      - .actual_access:  read_only
        .address_space:  global
        .offset:         72
        .size:           8
        .value_kind:     global_buffer
      - .offset:         80
        .size:           4
        .value_kind:     by_value
      - .offset:         84
        .size:           4
        .value_kind:     by_value
      - .offset:         88
        .size:           4
        .value_kind:     by_value
      - .offset:         92
        .size:           4
        .value_kind:     by_value
      - .offset:         96
        .size:           4
        .value_kind:     by_value
      - .offset:         100
        .size:           4
        .value_kind:     by_value
      - .offset:         104
        .size:           4
        .value_kind:     by_value
      - .offset:         108
        .size:           4
        .value_kind:     by_value
      - .offset:         112
        .size:           4
        .value_kind:     by_value
      - .offset:         116
        .size:           4
        .value_kind:     by_value
      - .offset:         120
        .size:           4
        .value_kind:     by_value
      - .offset:         124
        .size:           4
        .value_kind:     by_value
      - .offset:         128
        .size:           4
        .value_kind:     by_value
      - .offset:         132
        .size:           4
        .value_kind:     by_value
      - .offset:         136
        .size:           4
        .value_kind:     by_value
      - .offset:         144
        .size:           4
        .value_kind:     hidden_block_count_x
      - .offset:         148
        .size:           4
        .value_kind:     hidden_block_count_y
      - .offset:         152
        .size:           4
        .value_kind:     hidden_block_count_z
      - .offset:         156
        .size:           2
        .value_kind:     hidden_group_size_x
      - .offset:         158
        .size:           2
        .value_kind:     hidden_group_size_y
      - .offset:         160
        .size:           2
        .value_kind:     hidden_group_size_z
      - .offset:         162
        .size:           2
        .value_kind:     hidden_remainder_x
      - .offset:         164
        .size:           2
        .value_kind:     hidden_remainder_y
      - .offset:         166
        .size:           2
        .value_kind:     hidden_remainder_z
      - .offset:         184
        .size:           8
        .value_kind:     hidden_global_offset_x
      - .offset:         192
        .size:           8
        .value_kind:     hidden_global_offset_y
      - .offset:         200
        .size:           8
        .value_kind:     hidden_global_offset_z
      - .offset:         208
        .size:           2
        .value_kind:     hidden_grid_dims
    .group_segment_fixed_size: 64
    .kernarg_segment_align: 8
    .kernarg_segment_size: 400
    .language:       OpenCL C
    .language_version:
      - 2
      - 0
    .max_flat_workgroup_size: 1024
    .name:           _ZN5aiter35fused_qk_rmsnorm_group_quant_kernelIDF16_DB8_Li512ELi16ELi2ELb1ELb1ELb0ELb1ELb0ELb0EEEvPT0_PvPT_S6_S6_PKS5_S8_S8_S8_S8_ffiiiiiiiiiiiii
    .private_segment_fixed_size: 0
    .sgpr_count:     36
    .sgpr_spill_count: 0
    .symbol:         _ZN5aiter35fused_qk_rmsnorm_group_quant_kernelIDF16_DB8_Li512ELi16ELi2ELb1ELb1ELb0ELb1ELb0ELb0EEEvPT0_PvPT_S6_S6_PKS5_S8_S8_S8_S8_ffiiiiiiiiiiiii.kd
    .uniform_work_group_size: 1
    .uses_dynamic_stack: false
    .vgpr_count:     49
    .vgpr_spill_count: 0
    .wavefront_size: 64
  - .agpr_count:     0
    .args:
      - .actual_access:  read_only
        .address_space:  global
        .offset:         0
        .size:           8
        .value_kind:     global_buffer
      - .actual_access:  read_only
        .address_space:  global
        .offset:         8
        .size:           8
        .value_kind:     global_buffer
      - .actual_access:  write_only
        .address_space:  global
        .offset:         16
        .size:           8
        .value_kind:     global_buffer
      - .actual_access:  write_only
        .address_space:  global
        .offset:         24
        .size:           8
        .value_kind:     global_buffer
      - .actual_access:  write_only
        .address_space:  global
        .offset:         32
        .size:           8
        .value_kind:     global_buffer
      - .actual_access:  read_only
        .address_space:  global
        .offset:         40
        .size:           8
        .value_kind:     global_buffer
      - .actual_access:  read_only
        .address_space:  global
        .offset:         48
        .size:           8
        .value_kind:     global_buffer
      - .actual_access:  read_only
        .address_space:  global
        .offset:         56
        .size:           8
        .value_kind:     global_buffer
      - .actual_access:  read_only
        .address_space:  global
        .offset:         64
        .size:           8
        .value_kind:     global_buffer
      - .actual_access:  read_only
        .address_space:  global
        .offset:         72
        .size:           8
        .value_kind:     global_buffer
      - .offset:         80
        .size:           4
        .value_kind:     by_value
      - .offset:         84
        .size:           4
        .value_kind:     by_value
      - .offset:         88
        .size:           4
        .value_kind:     by_value
      - .offset:         92
        .size:           4
        .value_kind:     by_value
      - .offset:         96
        .size:           4
        .value_kind:     by_value
      - .offset:         100
        .size:           4
        .value_kind:     by_value
      - .offset:         104
        .size:           4
        .value_kind:     by_value
      - .offset:         108
        .size:           4
        .value_kind:     by_value
      - .offset:         112
        .size:           4
        .value_kind:     by_value
      - .offset:         116
        .size:           4
        .value_kind:     by_value
      - .offset:         120
        .size:           4
        .value_kind:     by_value
      - .offset:         124
        .size:           4
        .value_kind:     by_value
      - .offset:         128
        .size:           4
        .value_kind:     by_value
      - .offset:         132
        .size:           4
        .value_kind:     by_value
      - .offset:         136
        .size:           4
        .value_kind:     by_value
      - .offset:         144
        .size:           4
        .value_kind:     hidden_block_count_x
      - .offset:         148
        .size:           4
        .value_kind:     hidden_block_count_y
      - .offset:         152
        .size:           4
        .value_kind:     hidden_block_count_z
      - .offset:         156
        .size:           2
        .value_kind:     hidden_group_size_x
      - .offset:         158
        .size:           2
        .value_kind:     hidden_group_size_y
      - .offset:         160
        .size:           2
        .value_kind:     hidden_group_size_z
      - .offset:         162
        .size:           2
        .value_kind:     hidden_remainder_x
      - .offset:         164
        .size:           2
        .value_kind:     hidden_remainder_y
      - .offset:         166
        .size:           2
        .value_kind:     hidden_remainder_z
      - .offset:         184
        .size:           8
        .value_kind:     hidden_global_offset_x
      - .offset:         192
        .size:           8
        .value_kind:     hidden_global_offset_y
      - .offset:         200
        .size:           8
        .value_kind:     hidden_global_offset_z
      - .offset:         208
        .size:           2
        .value_kind:     hidden_grid_dims
    .group_segment_fixed_size: 64
    .kernarg_segment_align: 8
    .kernarg_segment_size: 400
    .language:       OpenCL C
    .language_version:
      - 2
      - 0
    .max_flat_workgroup_size: 1024
    .name:           _ZN5aiter35fused_qk_rmsnorm_group_quant_kernelItDB8_Li512ELi16ELi2ELb1ELb1ELb0ELb1ELb0ELb0EEEvPT0_PvPT_S6_S6_PKS5_S8_S8_S8_S8_ffiiiiiiiiiiiii
    .private_segment_fixed_size: 0
    .sgpr_count:     36
    .sgpr_spill_count: 0
    .symbol:         _ZN5aiter35fused_qk_rmsnorm_group_quant_kernelItDB8_Li512ELi16ELi2ELb1ELb1ELb0ELb1ELb0ELb0EEEvPT0_PvPT_S6_S6_PKS5_S8_S8_S8_S8_ffiiiiiiiiiiiii.kd
    .uniform_work_group_size: 1
    .uses_dynamic_stack: false
    .vgpr_count:     90
    .vgpr_spill_count: 0
    .wavefront_size: 64
  - .agpr_count:     0
    .args:
      - .actual_access:  read_only
        .address_space:  global
        .offset:         0
        .size:           8
        .value_kind:     global_buffer
      - .actual_access:  read_only
        .address_space:  global
        .offset:         8
        .size:           8
        .value_kind:     global_buffer
      - .actual_access:  write_only
        .address_space:  global
        .offset:         16
        .size:           8
        .value_kind:     global_buffer
      - .actual_access:  write_only
        .address_space:  global
        .offset:         24
        .size:           8
        .value_kind:     global_buffer
      - .actual_access:  write_only
        .address_space:  global
        .offset:         32
        .size:           8
        .value_kind:     global_buffer
      - .actual_access:  read_only
        .address_space:  global
        .offset:         40
        .size:           8
        .value_kind:     global_buffer
      - .actual_access:  read_only
        .address_space:  global
        .offset:         48
        .size:           8
        .value_kind:     global_buffer
      - .actual_access:  read_only
        .address_space:  global
        .offset:         56
        .size:           8
        .value_kind:     global_buffer
      - .actual_access:  read_only
        .address_space:  global
        .offset:         64
        .size:           8
        .value_kind:     global_buffer
      - .actual_access:  read_only
        .address_space:  global
        .offset:         72
        .size:           8
        .value_kind:     global_buffer
      - .offset:         80
        .size:           4
        .value_kind:     by_value
      - .offset:         84
        .size:           4
        .value_kind:     by_value
      - .offset:         88
        .size:           4
        .value_kind:     by_value
      - .offset:         92
        .size:           4
        .value_kind:     by_value
      - .offset:         96
        .size:           4
        .value_kind:     by_value
      - .offset:         100
        .size:           4
        .value_kind:     by_value
      - .offset:         104
        .size:           4
        .value_kind:     by_value
      - .offset:         108
        .size:           4
        .value_kind:     by_value
      - .offset:         112
        .size:           4
        .value_kind:     by_value
      - .offset:         116
        .size:           4
        .value_kind:     by_value
      - .offset:         120
        .size:           4
        .value_kind:     by_value
      - .offset:         124
        .size:           4
        .value_kind:     by_value
      - .offset:         128
        .size:           4
        .value_kind:     by_value
      - .offset:         132
        .size:           4
        .value_kind:     by_value
      - .offset:         136
        .size:           4
        .value_kind:     by_value
      - .offset:         144
        .size:           4
        .value_kind:     hidden_block_count_x
      - .offset:         148
        .size:           4
        .value_kind:     hidden_block_count_y
      - .offset:         152
        .size:           4
        .value_kind:     hidden_block_count_z
      - .offset:         156
        .size:           2
        .value_kind:     hidden_group_size_x
      - .offset:         158
        .size:           2
        .value_kind:     hidden_group_size_y
      - .offset:         160
        .size:           2
        .value_kind:     hidden_group_size_z
      - .offset:         162
        .size:           2
        .value_kind:     hidden_remainder_x
      - .offset:         164
        .size:           2
        .value_kind:     hidden_remainder_y
      - .offset:         166
        .size:           2
        .value_kind:     hidden_remainder_z
      - .offset:         184
        .size:           8
        .value_kind:     hidden_global_offset_x
      - .offset:         192
        .size:           8
        .value_kind:     hidden_global_offset_y
      - .offset:         200
        .size:           8
        .value_kind:     hidden_global_offset_z
      - .offset:         208
        .size:           2
        .value_kind:     hidden_grid_dims
    .group_segment_fixed_size: 64
    .kernarg_segment_align: 8
    .kernarg_segment_size: 400
    .language:       OpenCL C
    .language_version:
      - 2
      - 0
    .max_flat_workgroup_size: 1024
    .name:           _ZN5aiter35fused_qk_rmsnorm_group_quant_kernelIDF16_N4opus5fp4_tELi512ELi16ELi2ELb1ELb1ELb0ELb1ELb0ELb0EEEvPT0_PvPT_S7_S7_PKS6_S9_S9_S9_S9_ffiiiiiiiiiiiii
    .private_segment_fixed_size: 0
    .sgpr_count:     36
    .sgpr_spill_count: 0
    .symbol:         _ZN5aiter35fused_qk_rmsnorm_group_quant_kernelIDF16_N4opus5fp4_tELi512ELi16ELi2ELb1ELb1ELb0ELb1ELb0ELb0EEEvPT0_PvPT_S7_S7_PKS6_S9_S9_S9_S9_ffiiiiiiiiiiiii.kd
    .uniform_work_group_size: 1
    .uses_dynamic_stack: false
    .vgpr_count:     49
    .vgpr_spill_count: 0
    .wavefront_size: 64
  - .agpr_count:     0
    .args:
      - .actual_access:  read_only
        .address_space:  global
        .offset:         0
        .size:           8
        .value_kind:     global_buffer
      - .actual_access:  read_only
        .address_space:  global
        .offset:         8
        .size:           8
        .value_kind:     global_buffer
      - .actual_access:  write_only
        .address_space:  global
        .offset:         16
        .size:           8
        .value_kind:     global_buffer
      - .actual_access:  write_only
        .address_space:  global
        .offset:         24
        .size:           8
        .value_kind:     global_buffer
      - .actual_access:  write_only
        .address_space:  global
        .offset:         32
        .size:           8
        .value_kind:     global_buffer
      - .actual_access:  read_only
        .address_space:  global
        .offset:         40
        .size:           8
        .value_kind:     global_buffer
      - .actual_access:  read_only
        .address_space:  global
        .offset:         48
        .size:           8
        .value_kind:     global_buffer
      - .actual_access:  read_only
        .address_space:  global
        .offset:         56
        .size:           8
        .value_kind:     global_buffer
      - .actual_access:  read_only
        .address_space:  global
        .offset:         64
        .size:           8
        .value_kind:     global_buffer
      - .actual_access:  read_only
        .address_space:  global
        .offset:         72
        .size:           8
        .value_kind:     global_buffer
      - .offset:         80
        .size:           4
        .value_kind:     by_value
      - .offset:         84
        .size:           4
        .value_kind:     by_value
      - .offset:         88
        .size:           4
        .value_kind:     by_value
      - .offset:         92
        .size:           4
        .value_kind:     by_value
      - .offset:         96
        .size:           4
        .value_kind:     by_value
      - .offset:         100
        .size:           4
        .value_kind:     by_value
      - .offset:         104
        .size:           4
        .value_kind:     by_value
      - .offset:         108
        .size:           4
        .value_kind:     by_value
      - .offset:         112
        .size:           4
        .value_kind:     by_value
      - .offset:         116
        .size:           4
        .value_kind:     by_value
      - .offset:         120
        .size:           4
        .value_kind:     by_value
      - .offset:         124
        .size:           4
        .value_kind:     by_value
      - .offset:         128
        .size:           4
        .value_kind:     by_value
      - .offset:         132
        .size:           4
        .value_kind:     by_value
      - .offset:         136
        .size:           4
        .value_kind:     by_value
      - .offset:         144
        .size:           4
        .value_kind:     hidden_block_count_x
      - .offset:         148
        .size:           4
        .value_kind:     hidden_block_count_y
      - .offset:         152
        .size:           4
        .value_kind:     hidden_block_count_z
      - .offset:         156
        .size:           2
        .value_kind:     hidden_group_size_x
      - .offset:         158
        .size:           2
        .value_kind:     hidden_group_size_y
      - .offset:         160
        .size:           2
        .value_kind:     hidden_group_size_z
      - .offset:         162
        .size:           2
        .value_kind:     hidden_remainder_x
      - .offset:         164
        .size:           2
        .value_kind:     hidden_remainder_y
      - .offset:         166
        .size:           2
        .value_kind:     hidden_remainder_z
      - .offset:         184
        .size:           8
        .value_kind:     hidden_global_offset_x
      - .offset:         192
        .size:           8
        .value_kind:     hidden_global_offset_y
      - .offset:         200
        .size:           8
        .value_kind:     hidden_global_offset_z
      - .offset:         208
        .size:           2
        .value_kind:     hidden_grid_dims
    .group_segment_fixed_size: 64
    .kernarg_segment_align: 8
    .kernarg_segment_size: 400
    .language:       OpenCL C
    .language_version:
      - 2
      - 0
    .max_flat_workgroup_size: 1024
    .name:           _ZN5aiter35fused_qk_rmsnorm_group_quant_kernelItN4opus5fp4_tELi512ELi16ELi2ELb1ELb1ELb0ELb1ELb0ELb0EEEvPT0_PvPT_S7_S7_PKS6_S9_S9_S9_S9_ffiiiiiiiiiiiii
    .private_segment_fixed_size: 0
    .sgpr_count:     36
    .sgpr_spill_count: 0
    .symbol:         _ZN5aiter35fused_qk_rmsnorm_group_quant_kernelItN4opus5fp4_tELi512ELi16ELi2ELb1ELb1ELb0ELb1ELb0ELb0EEEvPT0_PvPT_S7_S7_PKS6_S9_S9_S9_S9_ffiiiiiiiiiiiii.kd
    .uniform_work_group_size: 1
    .uses_dynamic_stack: false
    .vgpr_count:     90
    .vgpr_spill_count: 0
    .wavefront_size: 64
  - .agpr_count:     0
    .args:
      - .actual_access:  read_only
        .address_space:  global
        .offset:         0
        .size:           8
        .value_kind:     global_buffer
      - .actual_access:  read_only
        .address_space:  global
        .offset:         8
        .size:           8
        .value_kind:     global_buffer
      - .actual_access:  write_only
        .address_space:  global
        .offset:         16
        .size:           8
        .value_kind:     global_buffer
      - .actual_access:  write_only
        .address_space:  global
        .offset:         24
        .size:           8
        .value_kind:     global_buffer
      - .actual_access:  read_only
        .address_space:  global
        .offset:         32
        .size:           8
        .value_kind:     global_buffer
      - .actual_access:  read_only
        .address_space:  global
        .offset:         40
        .size:           8
        .value_kind:     global_buffer
      - .actual_access:  read_only
        .address_space:  global
        .offset:         48
        .size:           8
        .value_kind:     global_buffer
      - .actual_access:  read_only
        .address_space:  global
        .offset:         56
        .size:           8
        .value_kind:     global_buffer
      - .actual_access:  read_only
        .address_space:  global
        .offset:         64
        .size:           8
        .value_kind:     global_buffer
      - .actual_access:  read_only
        .address_space:  global
        .offset:         72
        .size:           8
        .value_kind:     global_buffer
      - .offset:         80
        .size:           4
        .value_kind:     by_value
      - .offset:         84
        .size:           4
        .value_kind:     by_value
      - .offset:         88
        .size:           4
        .value_kind:     by_value
      - .offset:         92
        .size:           4
        .value_kind:     by_value
      - .offset:         96
        .size:           4
        .value_kind:     by_value
      - .offset:         100
        .size:           4
        .value_kind:     by_value
      - .offset:         104
        .size:           4
        .value_kind:     by_value
      - .offset:         108
        .size:           4
        .value_kind:     by_value
      - .offset:         112
        .size:           4
        .value_kind:     by_value
      - .offset:         116
        .size:           4
        .value_kind:     by_value
      - .offset:         120
        .size:           4
        .value_kind:     by_value
      - .offset:         124
        .size:           4
        .value_kind:     by_value
      - .offset:         128
        .size:           4
        .value_kind:     by_value
      - .offset:         132
        .size:           4
        .value_kind:     by_value
      - .offset:         136
        .size:           4
        .value_kind:     by_value
      - .offset:         144
        .size:           4
        .value_kind:     hidden_block_count_x
      - .offset:         148
        .size:           4
        .value_kind:     hidden_block_count_y
      - .offset:         152
        .size:           4
        .value_kind:     hidden_block_count_z
      - .offset:         156
        .size:           2
        .value_kind:     hidden_group_size_x
      - .offset:         158
        .size:           2
        .value_kind:     hidden_group_size_y
      - .offset:         160
        .size:           2
        .value_kind:     hidden_group_size_z
      - .offset:         162
        .size:           2
        .value_kind:     hidden_remainder_x
      - .offset:         164
        .size:           2
        .value_kind:     hidden_remainder_y
      - .offset:         166
        .size:           2
        .value_kind:     hidden_remainder_z
      - .offset:         184
        .size:           8
        .value_kind:     hidden_global_offset_x
      - .offset:         192
        .size:           8
        .value_kind:     hidden_global_offset_y
      - .offset:         200
        .size:           8
        .value_kind:     hidden_global_offset_z
      - .offset:         208
        .size:           2
        .value_kind:     hidden_grid_dims
    .group_segment_fixed_size: 64
    .kernarg_segment_align: 8
    .kernarg_segment_size: 400
    .language:       OpenCL C
    .language_version:
      - 2
      - 0
    .max_flat_workgroup_size: 1024
    .name:           _ZN5aiter35fused_qk_rmsnorm_group_quant_kernelIDF16_DB8_Li512ELi16ELi2ELb0ELb1ELb1ELb1ELb0ELb0EEEvPT0_PvPT_S6_S6_PKS5_S8_S8_S8_S8_ffiiiiiiiiiiiii
    .private_segment_fixed_size: 0
    .sgpr_count:     36
    .sgpr_spill_count: 0
    .symbol:         _ZN5aiter35fused_qk_rmsnorm_group_quant_kernelIDF16_DB8_Li512ELi16ELi2ELb0ELb1ELb1ELb1ELb0ELb0EEEvPT0_PvPT_S6_S6_PKS5_S8_S8_S8_S8_ffiiiiiiiiiiiii.kd
    .uniform_work_group_size: 1
    .uses_dynamic_stack: false
    .vgpr_count:     35
    .vgpr_spill_count: 0
    .wavefront_size: 64
  - .agpr_count:     0
    .args:
      - .actual_access:  read_only
        .address_space:  global
        .offset:         0
        .size:           8
        .value_kind:     global_buffer
      - .actual_access:  read_only
        .address_space:  global
        .offset:         8
        .size:           8
        .value_kind:     global_buffer
      - .actual_access:  write_only
        .address_space:  global
        .offset:         16
        .size:           8
        .value_kind:     global_buffer
      - .actual_access:  write_only
        .address_space:  global
        .offset:         24
        .size:           8
        .value_kind:     global_buffer
      - .actual_access:  read_only
        .address_space:  global
        .offset:         32
        .size:           8
        .value_kind:     global_buffer
      - .actual_access:  read_only
        .address_space:  global
        .offset:         40
        .size:           8
        .value_kind:     global_buffer
      - .actual_access:  read_only
        .address_space:  global
        .offset:         48
        .size:           8
        .value_kind:     global_buffer
      - .actual_access:  read_only
        .address_space:  global
        .offset:         56
        .size:           8
        .value_kind:     global_buffer
      - .actual_access:  read_only
        .address_space:  global
        .offset:         64
        .size:           8
        .value_kind:     global_buffer
      - .actual_access:  read_only
        .address_space:  global
        .offset:         72
        .size:           8
        .value_kind:     global_buffer
      - .offset:         80
        .size:           4
        .value_kind:     by_value
      - .offset:         84
        .size:           4
        .value_kind:     by_value
      - .offset:         88
        .size:           4
        .value_kind:     by_value
      - .offset:         92
        .size:           4
        .value_kind:     by_value
      - .offset:         96
        .size:           4
        .value_kind:     by_value
      - .offset:         100
        .size:           4
        .value_kind:     by_value
      - .offset:         104
        .size:           4
        .value_kind:     by_value
      - .offset:         108
        .size:           4
        .value_kind:     by_value
      - .offset:         112
        .size:           4
        .value_kind:     by_value
      - .offset:         116
        .size:           4
        .value_kind:     by_value
      - .offset:         120
        .size:           4
        .value_kind:     by_value
      - .offset:         124
        .size:           4
        .value_kind:     by_value
      - .offset:         128
        .size:           4
        .value_kind:     by_value
      - .offset:         132
        .size:           4
        .value_kind:     by_value
      - .offset:         136
        .size:           4
        .value_kind:     by_value
      - .offset:         144
        .size:           4
        .value_kind:     hidden_block_count_x
      - .offset:         148
        .size:           4
        .value_kind:     hidden_block_count_y
      - .offset:         152
        .size:           4
        .value_kind:     hidden_block_count_z
      - .offset:         156
        .size:           2
        .value_kind:     hidden_group_size_x
      - .offset:         158
        .size:           2
        .value_kind:     hidden_group_size_y
      - .offset:         160
        .size:           2
        .value_kind:     hidden_group_size_z
      - .offset:         162
        .size:           2
        .value_kind:     hidden_remainder_x
      - .offset:         164
        .size:           2
        .value_kind:     hidden_remainder_y
      - .offset:         166
        .size:           2
        .value_kind:     hidden_remainder_z
      - .offset:         184
        .size:           8
        .value_kind:     hidden_global_offset_x
      - .offset:         192
        .size:           8
        .value_kind:     hidden_global_offset_y
      - .offset:         200
        .size:           8
        .value_kind:     hidden_global_offset_z
      - .offset:         208
        .size:           2
        .value_kind:     hidden_grid_dims
    .group_segment_fixed_size: 64
    .kernarg_segment_align: 8
    .kernarg_segment_size: 400
    .language:       OpenCL C
    .language_version:
      - 2
      - 0
    .max_flat_workgroup_size: 1024
    .name:           _ZN5aiter35fused_qk_rmsnorm_group_quant_kernelItDB8_Li512ELi16ELi2ELb0ELb1ELb1ELb1ELb0ELb0EEEvPT0_PvPT_S6_S6_PKS5_S8_S8_S8_S8_ffiiiiiiiiiiiii
    .private_segment_fixed_size: 0
    .sgpr_count:     36
    .sgpr_spill_count: 0
    .symbol:         _ZN5aiter35fused_qk_rmsnorm_group_quant_kernelItDB8_Li512ELi16ELi2ELb0ELb1ELb1ELb1ELb0ELb0EEEvPT0_PvPT_S6_S6_PKS5_S8_S8_S8_S8_ffiiiiiiiiiiiii.kd
    .uniform_work_group_size: 1
    .uses_dynamic_stack: false
    .vgpr_count:     35
    .vgpr_spill_count: 0
    .wavefront_size: 64
  - .agpr_count:     0
    .args:
      - .actual_access:  read_only
        .address_space:  global
        .offset:         0
        .size:           8
        .value_kind:     global_buffer
      - .actual_access:  read_only
        .address_space:  global
        .offset:         8
        .size:           8
        .value_kind:     global_buffer
      - .actual_access:  write_only
        .address_space:  global
        .offset:         16
        .size:           8
        .value_kind:     global_buffer
      - .actual_access:  write_only
        .address_space:  global
        .offset:         24
        .size:           8
        .value_kind:     global_buffer
      - .actual_access:  read_only
        .address_space:  global
        .offset:         32
        .size:           8
        .value_kind:     global_buffer
      - .actual_access:  read_only
        .address_space:  global
        .offset:         40
        .size:           8
        .value_kind:     global_buffer
      - .actual_access:  read_only
        .address_space:  global
        .offset:         48
        .size:           8
        .value_kind:     global_buffer
      - .actual_access:  read_only
        .address_space:  global
        .offset:         56
        .size:           8
        .value_kind:     global_buffer
      - .actual_access:  read_only
        .address_space:  global
        .offset:         64
        .size:           8
        .value_kind:     global_buffer
      - .actual_access:  read_only
        .address_space:  global
        .offset:         72
        .size:           8
        .value_kind:     global_buffer
      - .offset:         80
        .size:           4
        .value_kind:     by_value
      - .offset:         84
        .size:           4
        .value_kind:     by_value
      - .offset:         88
        .size:           4
        .value_kind:     by_value
      - .offset:         92
        .size:           4
        .value_kind:     by_value
      - .offset:         96
        .size:           4
        .value_kind:     by_value
      - .offset:         100
        .size:           4
        .value_kind:     by_value
      - .offset:         104
        .size:           4
        .value_kind:     by_value
      - .offset:         108
        .size:           4
        .value_kind:     by_value
      - .offset:         112
        .size:           4
        .value_kind:     by_value
      - .offset:         116
        .size:           4
        .value_kind:     by_value
      - .offset:         120
        .size:           4
        .value_kind:     by_value
      - .offset:         124
        .size:           4
        .value_kind:     by_value
      - .offset:         128
        .size:           4
        .value_kind:     by_value
      - .offset:         132
        .size:           4
        .value_kind:     by_value
      - .offset:         136
        .size:           4
        .value_kind:     by_value
      - .offset:         144
        .size:           4
        .value_kind:     hidden_block_count_x
      - .offset:         148
        .size:           4
        .value_kind:     hidden_block_count_y
      - .offset:         152
        .size:           4
        .value_kind:     hidden_block_count_z
      - .offset:         156
        .size:           2
        .value_kind:     hidden_group_size_x
      - .offset:         158
        .size:           2
        .value_kind:     hidden_group_size_y
      - .offset:         160
        .size:           2
        .value_kind:     hidden_group_size_z
      - .offset:         162
        .size:           2
        .value_kind:     hidden_remainder_x
      - .offset:         164
        .size:           2
        .value_kind:     hidden_remainder_y
      - .offset:         166
        .size:           2
        .value_kind:     hidden_remainder_z
      - .offset:         184
        .size:           8
        .value_kind:     hidden_global_offset_x
      - .offset:         192
        .size:           8
        .value_kind:     hidden_global_offset_y
      - .offset:         200
        .size:           8
        .value_kind:     hidden_global_offset_z
      - .offset:         208
        .size:           2
        .value_kind:     hidden_grid_dims
    .group_segment_fixed_size: 64
    .kernarg_segment_align: 8
    .kernarg_segment_size: 400
    .language:       OpenCL C
    .language_version:
      - 2
      - 0
    .max_flat_workgroup_size: 1024
    .name:           _ZN5aiter35fused_qk_rmsnorm_group_quant_kernelIDF16_N4opus5fp4_tELi512ELi16ELi2ELb0ELb1ELb1ELb1ELb0ELb0EEEvPT0_PvPT_S7_S7_PKS6_S9_S9_S9_S9_ffiiiiiiiiiiiii
    .private_segment_fixed_size: 0
    .sgpr_count:     36
    .sgpr_spill_count: 0
    .symbol:         _ZN5aiter35fused_qk_rmsnorm_group_quant_kernelIDF16_N4opus5fp4_tELi512ELi16ELi2ELb0ELb1ELb1ELb1ELb0ELb0EEEvPT0_PvPT_S7_S7_PKS6_S9_S9_S9_S9_ffiiiiiiiiiiiii.kd
    .uniform_work_group_size: 1
    .uses_dynamic_stack: false
    .vgpr_count:     35
    .vgpr_spill_count: 0
    .wavefront_size: 64
  - .agpr_count:     0
    .args:
      - .actual_access:  read_only
        .address_space:  global
        .offset:         0
        .size:           8
        .value_kind:     global_buffer
      - .actual_access:  read_only
        .address_space:  global
        .offset:         8
        .size:           8
        .value_kind:     global_buffer
      - .actual_access:  write_only
        .address_space:  global
        .offset:         16
        .size:           8
        .value_kind:     global_buffer
      - .actual_access:  write_only
        .address_space:  global
        .offset:         24
        .size:           8
        .value_kind:     global_buffer
      - .actual_access:  read_only
        .address_space:  global
        .offset:         32
        .size:           8
        .value_kind:     global_buffer
      - .actual_access:  read_only
        .address_space:  global
        .offset:         40
        .size:           8
        .value_kind:     global_buffer
      - .actual_access:  read_only
        .address_space:  global
        .offset:         48
        .size:           8
        .value_kind:     global_buffer
      - .actual_access:  read_only
        .address_space:  global
        .offset:         56
        .size:           8
        .value_kind:     global_buffer
      - .actual_access:  read_only
        .address_space:  global
        .offset:         64
        .size:           8
        .value_kind:     global_buffer
      - .actual_access:  read_only
        .address_space:  global
        .offset:         72
        .size:           8
        .value_kind:     global_buffer
      - .offset:         80
        .size:           4
        .value_kind:     by_value
      - .offset:         84
        .size:           4
        .value_kind:     by_value
      - .offset:         88
        .size:           4
        .value_kind:     by_value
      - .offset:         92
        .size:           4
        .value_kind:     by_value
      - .offset:         96
        .size:           4
        .value_kind:     by_value
      - .offset:         100
        .size:           4
        .value_kind:     by_value
      - .offset:         104
        .size:           4
        .value_kind:     by_value
      - .offset:         108
        .size:           4
        .value_kind:     by_value
      - .offset:         112
        .size:           4
        .value_kind:     by_value
      - .offset:         116
        .size:           4
        .value_kind:     by_value
      - .offset:         120
        .size:           4
        .value_kind:     by_value
      - .offset:         124
        .size:           4
        .value_kind:     by_value
      - .offset:         128
        .size:           4
        .value_kind:     by_value
      - .offset:         132
        .size:           4
        .value_kind:     by_value
      - .offset:         136
        .size:           4
        .value_kind:     by_value
      - .offset:         144
        .size:           4
        .value_kind:     hidden_block_count_x
      - .offset:         148
        .size:           4
        .value_kind:     hidden_block_count_y
      - .offset:         152
        .size:           4
        .value_kind:     hidden_block_count_z
      - .offset:         156
        .size:           2
        .value_kind:     hidden_group_size_x
      - .offset:         158
        .size:           2
        .value_kind:     hidden_group_size_y
      - .offset:         160
        .size:           2
        .value_kind:     hidden_group_size_z
      - .offset:         162
        .size:           2
        .value_kind:     hidden_remainder_x
      - .offset:         164
        .size:           2
        .value_kind:     hidden_remainder_y
      - .offset:         166
        .size:           2
        .value_kind:     hidden_remainder_z
      - .offset:         184
        .size:           8
        .value_kind:     hidden_global_offset_x
      - .offset:         192
        .size:           8
        .value_kind:     hidden_global_offset_y
      - .offset:         200
        .size:           8
        .value_kind:     hidden_global_offset_z
      - .offset:         208
        .size:           2
        .value_kind:     hidden_grid_dims
    .group_segment_fixed_size: 64
    .kernarg_segment_align: 8
    .kernarg_segment_size: 400
    .language:       OpenCL C
    .language_version:
      - 2
      - 0
    .max_flat_workgroup_size: 1024
    .name:           _ZN5aiter35fused_qk_rmsnorm_group_quant_kernelItN4opus5fp4_tELi512ELi16ELi2ELb0ELb1ELb1ELb1ELb0ELb0EEEvPT0_PvPT_S7_S7_PKS6_S9_S9_S9_S9_ffiiiiiiiiiiiii
    .private_segment_fixed_size: 0
    .sgpr_count:     36
    .sgpr_spill_count: 0
    .symbol:         _ZN5aiter35fused_qk_rmsnorm_group_quant_kernelItN4opus5fp4_tELi512ELi16ELi2ELb0ELb1ELb1ELb1ELb0ELb0EEEvPT0_PvPT_S7_S7_PKS6_S9_S9_S9_S9_ffiiiiiiiiiiiii.kd
    .uniform_work_group_size: 1
    .uses_dynamic_stack: false
    .vgpr_count:     35
    .vgpr_spill_count: 0
    .wavefront_size: 64
  - .agpr_count:     0
    .args:
      - .actual_access:  read_only
        .address_space:  global
        .offset:         0
        .size:           8
        .value_kind:     global_buffer
      - .actual_access:  read_only
        .address_space:  global
        .offset:         8
        .size:           8
        .value_kind:     global_buffer
      - .actual_access:  write_only
        .address_space:  global
        .offset:         16
        .size:           8
        .value_kind:     global_buffer
      - .actual_access:  write_only
        .address_space:  global
        .offset:         24
        .size:           8
        .value_kind:     global_buffer
      - .actual_access:  read_only
        .address_space:  global
        .offset:         32
        .size:           8
        .value_kind:     global_buffer
      - .actual_access:  read_only
        .address_space:  global
        .offset:         40
        .size:           8
        .value_kind:     global_buffer
      - .actual_access:  read_only
        .address_space:  global
        .offset:         48
        .size:           8
        .value_kind:     global_buffer
      - .actual_access:  read_only
        .address_space:  global
        .offset:         56
        .size:           8
        .value_kind:     global_buffer
      - .actual_access:  read_only
        .address_space:  global
        .offset:         64
        .size:           8
        .value_kind:     global_buffer
      - .actual_access:  read_only
        .address_space:  global
        .offset:         72
        .size:           8
        .value_kind:     global_buffer
      - .offset:         80
        .size:           4
        .value_kind:     by_value
      - .offset:         84
        .size:           4
        .value_kind:     by_value
      - .offset:         88
        .size:           4
        .value_kind:     by_value
      - .offset:         92
        .size:           4
        .value_kind:     by_value
      - .offset:         96
        .size:           4
        .value_kind:     by_value
      - .offset:         100
        .size:           4
        .value_kind:     by_value
      - .offset:         104
        .size:           4
        .value_kind:     by_value
      - .offset:         108
        .size:           4
        .value_kind:     by_value
      - .offset:         112
        .size:           4
        .value_kind:     by_value
      - .offset:         116
        .size:           4
        .value_kind:     by_value
      - .offset:         120
        .size:           4
        .value_kind:     by_value
      - .offset:         124
        .size:           4
        .value_kind:     by_value
      - .offset:         128
        .size:           4
        .value_kind:     by_value
      - .offset:         132
        .size:           4
        .value_kind:     by_value
      - .offset:         136
        .size:           4
        .value_kind:     by_value
      - .offset:         144
        .size:           4
        .value_kind:     hidden_block_count_x
      - .offset:         148
        .size:           4
        .value_kind:     hidden_block_count_y
      - .offset:         152
        .size:           4
        .value_kind:     hidden_block_count_z
      - .offset:         156
        .size:           2
        .value_kind:     hidden_group_size_x
      - .offset:         158
        .size:           2
        .value_kind:     hidden_group_size_y
      - .offset:         160
        .size:           2
        .value_kind:     hidden_group_size_z
      - .offset:         162
        .size:           2
        .value_kind:     hidden_remainder_x
      - .offset:         164
        .size:           2
        .value_kind:     hidden_remainder_y
      - .offset:         166
        .size:           2
        .value_kind:     hidden_remainder_z
      - .offset:         184
        .size:           8
        .value_kind:     hidden_global_offset_x
      - .offset:         192
        .size:           8
        .value_kind:     hidden_global_offset_y
      - .offset:         200
        .size:           8
        .value_kind:     hidden_global_offset_z
      - .offset:         208
        .size:           2
        .value_kind:     hidden_grid_dims
    .group_segment_fixed_size: 64
    .kernarg_segment_align: 8
    .kernarg_segment_size: 400
    .language:       OpenCL C
    .language_version:
      - 2
      - 0
    .max_flat_workgroup_size: 1024
    .name:           _ZN5aiter35fused_qk_rmsnorm_group_quant_kernelIDF16_DB8_Li512ELi16ELi2ELb0ELb1ELb0ELb1ELb0ELb0EEEvPT0_PvPT_S6_S6_PKS5_S8_S8_S8_S8_ffiiiiiiiiiiiii
    .private_segment_fixed_size: 0
    .sgpr_count:     36
    .sgpr_spill_count: 0
    .symbol:         _ZN5aiter35fused_qk_rmsnorm_group_quant_kernelIDF16_DB8_Li512ELi16ELi2ELb0ELb1ELb0ELb1ELb0ELb0EEEvPT0_PvPT_S6_S6_PKS5_S8_S8_S8_S8_ffiiiiiiiiiiiii.kd
    .uniform_work_group_size: 1
    .uses_dynamic_stack: false
    .vgpr_count:     35
    .vgpr_spill_count: 0
    .wavefront_size: 64
  - .agpr_count:     0
    .args:
      - .actual_access:  read_only
        .address_space:  global
        .offset:         0
        .size:           8
        .value_kind:     global_buffer
      - .actual_access:  read_only
        .address_space:  global
        .offset:         8
        .size:           8
        .value_kind:     global_buffer
      - .actual_access:  write_only
        .address_space:  global
        .offset:         16
        .size:           8
        .value_kind:     global_buffer
      - .actual_access:  write_only
        .address_space:  global
        .offset:         24
        .size:           8
        .value_kind:     global_buffer
      - .actual_access:  read_only
        .address_space:  global
        .offset:         32
        .size:           8
        .value_kind:     global_buffer
      - .actual_access:  read_only
        .address_space:  global
        .offset:         40
        .size:           8
        .value_kind:     global_buffer
      - .actual_access:  read_only
        .address_space:  global
        .offset:         48
        .size:           8
        .value_kind:     global_buffer
      - .actual_access:  read_only
        .address_space:  global
        .offset:         56
        .size:           8
        .value_kind:     global_buffer
      - .actual_access:  read_only
        .address_space:  global
        .offset:         64
        .size:           8
        .value_kind:     global_buffer
      - .actual_access:  read_only
        .address_space:  global
        .offset:         72
        .size:           8
        .value_kind:     global_buffer
      - .offset:         80
        .size:           4
        .value_kind:     by_value
      - .offset:         84
        .size:           4
        .value_kind:     by_value
      - .offset:         88
        .size:           4
        .value_kind:     by_value
      - .offset:         92
        .size:           4
        .value_kind:     by_value
      - .offset:         96
        .size:           4
        .value_kind:     by_value
      - .offset:         100
        .size:           4
        .value_kind:     by_value
      - .offset:         104
        .size:           4
        .value_kind:     by_value
      - .offset:         108
        .size:           4
        .value_kind:     by_value
      - .offset:         112
        .size:           4
        .value_kind:     by_value
      - .offset:         116
        .size:           4
        .value_kind:     by_value
      - .offset:         120
        .size:           4
        .value_kind:     by_value
      - .offset:         124
        .size:           4
        .value_kind:     by_value
      - .offset:         128
        .size:           4
        .value_kind:     by_value
      - .offset:         132
        .size:           4
        .value_kind:     by_value
      - .offset:         136
        .size:           4
        .value_kind:     by_value
      - .offset:         144
        .size:           4
        .value_kind:     hidden_block_count_x
      - .offset:         148
        .size:           4
        .value_kind:     hidden_block_count_y
      - .offset:         152
        .size:           4
        .value_kind:     hidden_block_count_z
      - .offset:         156
        .size:           2
        .value_kind:     hidden_group_size_x
      - .offset:         158
        .size:           2
        .value_kind:     hidden_group_size_y
      - .offset:         160
        .size:           2
        .value_kind:     hidden_group_size_z
      - .offset:         162
        .size:           2
        .value_kind:     hidden_remainder_x
      - .offset:         164
        .size:           2
        .value_kind:     hidden_remainder_y
      - .offset:         166
        .size:           2
        .value_kind:     hidden_remainder_z
      - .offset:         184
        .size:           8
        .value_kind:     hidden_global_offset_x
      - .offset:         192
        .size:           8
        .value_kind:     hidden_global_offset_y
      - .offset:         200
        .size:           8
        .value_kind:     hidden_global_offset_z
      - .offset:         208
        .size:           2
        .value_kind:     hidden_grid_dims
    .group_segment_fixed_size: 64
    .kernarg_segment_align: 8
    .kernarg_segment_size: 400
    .language:       OpenCL C
    .language_version:
      - 2
      - 0
    .max_flat_workgroup_size: 1024
    .name:           _ZN5aiter35fused_qk_rmsnorm_group_quant_kernelItDB8_Li512ELi16ELi2ELb0ELb1ELb0ELb1ELb0ELb0EEEvPT0_PvPT_S6_S6_PKS5_S8_S8_S8_S8_ffiiiiiiiiiiiii
    .private_segment_fixed_size: 0
    .sgpr_count:     36
    .sgpr_spill_count: 0
    .symbol:         _ZN5aiter35fused_qk_rmsnorm_group_quant_kernelItDB8_Li512ELi16ELi2ELb0ELb1ELb0ELb1ELb0ELb0EEEvPT0_PvPT_S6_S6_PKS5_S8_S8_S8_S8_ffiiiiiiiiiiiii.kd
    .uniform_work_group_size: 1
    .uses_dynamic_stack: false
    .vgpr_count:     35
    .vgpr_spill_count: 0
    .wavefront_size: 64
  - .agpr_count:     0
    .args:
      - .actual_access:  read_only
        .address_space:  global
        .offset:         0
        .size:           8
        .value_kind:     global_buffer
      - .actual_access:  read_only
        .address_space:  global
        .offset:         8
        .size:           8
        .value_kind:     global_buffer
      - .actual_access:  write_only
        .address_space:  global
        .offset:         16
        .size:           8
        .value_kind:     global_buffer
      - .actual_access:  write_only
        .address_space:  global
        .offset:         24
        .size:           8
        .value_kind:     global_buffer
      - .actual_access:  read_only
        .address_space:  global
        .offset:         32
        .size:           8
        .value_kind:     global_buffer
      - .actual_access:  read_only
        .address_space:  global
        .offset:         40
        .size:           8
        .value_kind:     global_buffer
      - .actual_access:  read_only
        .address_space:  global
        .offset:         48
        .size:           8
        .value_kind:     global_buffer
      - .actual_access:  read_only
        .address_space:  global
        .offset:         56
        .size:           8
        .value_kind:     global_buffer
      - .actual_access:  read_only
        .address_space:  global
        .offset:         64
        .size:           8
        .value_kind:     global_buffer
      - .actual_access:  read_only
        .address_space:  global
        .offset:         72
        .size:           8
        .value_kind:     global_buffer
      - .offset:         80
        .size:           4
        .value_kind:     by_value
      - .offset:         84
        .size:           4
        .value_kind:     by_value
      - .offset:         88
        .size:           4
        .value_kind:     by_value
      - .offset:         92
        .size:           4
        .value_kind:     by_value
      - .offset:         96
        .size:           4
        .value_kind:     by_value
      - .offset:         100
        .size:           4
        .value_kind:     by_value
      - .offset:         104
        .size:           4
        .value_kind:     by_value
      - .offset:         108
        .size:           4
        .value_kind:     by_value
      - .offset:         112
        .size:           4
        .value_kind:     by_value
      - .offset:         116
        .size:           4
        .value_kind:     by_value
      - .offset:         120
        .size:           4
        .value_kind:     by_value
      - .offset:         124
        .size:           4
        .value_kind:     by_value
      - .offset:         128
        .size:           4
        .value_kind:     by_value
      - .offset:         132
        .size:           4
        .value_kind:     by_value
      - .offset:         136
        .size:           4
        .value_kind:     by_value
      - .offset:         144
        .size:           4
        .value_kind:     hidden_block_count_x
      - .offset:         148
        .size:           4
        .value_kind:     hidden_block_count_y
      - .offset:         152
        .size:           4
        .value_kind:     hidden_block_count_z
      - .offset:         156
        .size:           2
        .value_kind:     hidden_group_size_x
      - .offset:         158
        .size:           2
        .value_kind:     hidden_group_size_y
      - .offset:         160
        .size:           2
        .value_kind:     hidden_group_size_z
      - .offset:         162
        .size:           2
        .value_kind:     hidden_remainder_x
      - .offset:         164
        .size:           2
        .value_kind:     hidden_remainder_y
      - .offset:         166
        .size:           2
        .value_kind:     hidden_remainder_z
      - .offset:         184
        .size:           8
        .value_kind:     hidden_global_offset_x
      - .offset:         192
        .size:           8
        .value_kind:     hidden_global_offset_y
      - .offset:         200
        .size:           8
        .value_kind:     hidden_global_offset_z
      - .offset:         208
        .size:           2
        .value_kind:     hidden_grid_dims
    .group_segment_fixed_size: 64
    .kernarg_segment_align: 8
    .kernarg_segment_size: 400
    .language:       OpenCL C
    .language_version:
      - 2
      - 0
    .max_flat_workgroup_size: 1024
    .name:           _ZN5aiter35fused_qk_rmsnorm_group_quant_kernelIDF16_N4opus5fp4_tELi512ELi16ELi2ELb0ELb1ELb0ELb1ELb0ELb0EEEvPT0_PvPT_S7_S7_PKS6_S9_S9_S9_S9_ffiiiiiiiiiiiii
    .private_segment_fixed_size: 0
    .sgpr_count:     36
    .sgpr_spill_count: 0
    .symbol:         _ZN5aiter35fused_qk_rmsnorm_group_quant_kernelIDF16_N4opus5fp4_tELi512ELi16ELi2ELb0ELb1ELb0ELb1ELb0ELb0EEEvPT0_PvPT_S7_S7_PKS6_S9_S9_S9_S9_ffiiiiiiiiiiiii.kd
    .uniform_work_group_size: 1
    .uses_dynamic_stack: false
    .vgpr_count:     35
    .vgpr_spill_count: 0
    .wavefront_size: 64
  - .agpr_count:     0
    .args:
      - .actual_access:  read_only
        .address_space:  global
        .offset:         0
        .size:           8
        .value_kind:     global_buffer
      - .actual_access:  read_only
        .address_space:  global
        .offset:         8
        .size:           8
        .value_kind:     global_buffer
      - .actual_access:  write_only
        .address_space:  global
        .offset:         16
        .size:           8
        .value_kind:     global_buffer
      - .actual_access:  write_only
        .address_space:  global
        .offset:         24
        .size:           8
        .value_kind:     global_buffer
      - .actual_access:  read_only
        .address_space:  global
        .offset:         32
        .size:           8
        .value_kind:     global_buffer
      - .actual_access:  read_only
        .address_space:  global
        .offset:         40
        .size:           8
        .value_kind:     global_buffer
      - .actual_access:  read_only
        .address_space:  global
        .offset:         48
        .size:           8
        .value_kind:     global_buffer
      - .actual_access:  read_only
        .address_space:  global
        .offset:         56
        .size:           8
        .value_kind:     global_buffer
      - .actual_access:  read_only
        .address_space:  global
        .offset:         64
        .size:           8
        .value_kind:     global_buffer
      - .actual_access:  read_only
        .address_space:  global
        .offset:         72
        .size:           8
        .value_kind:     global_buffer
      - .offset:         80
        .size:           4
        .value_kind:     by_value
      - .offset:         84
        .size:           4
        .value_kind:     by_value
      - .offset:         88
        .size:           4
        .value_kind:     by_value
      - .offset:         92
        .size:           4
        .value_kind:     by_value
      - .offset:         96
        .size:           4
        .value_kind:     by_value
      - .offset:         100
        .size:           4
        .value_kind:     by_value
      - .offset:         104
        .size:           4
        .value_kind:     by_value
      - .offset:         108
        .size:           4
        .value_kind:     by_value
      - .offset:         112
        .size:           4
        .value_kind:     by_value
      - .offset:         116
        .size:           4
        .value_kind:     by_value
      - .offset:         120
        .size:           4
        .value_kind:     by_value
      - .offset:         124
        .size:           4
        .value_kind:     by_value
      - .offset:         128
        .size:           4
        .value_kind:     by_value
      - .offset:         132
        .size:           4
        .value_kind:     by_value
      - .offset:         136
        .size:           4
        .value_kind:     by_value
      - .offset:         144
        .size:           4
        .value_kind:     hidden_block_count_x
      - .offset:         148
        .size:           4
        .value_kind:     hidden_block_count_y
      - .offset:         152
        .size:           4
        .value_kind:     hidden_block_count_z
      - .offset:         156
        .size:           2
        .value_kind:     hidden_group_size_x
      - .offset:         158
        .size:           2
        .value_kind:     hidden_group_size_y
      - .offset:         160
        .size:           2
        .value_kind:     hidden_group_size_z
      - .offset:         162
        .size:           2
        .value_kind:     hidden_remainder_x
      - .offset:         164
        .size:           2
        .value_kind:     hidden_remainder_y
      - .offset:         166
        .size:           2
        .value_kind:     hidden_remainder_z
      - .offset:         184
        .size:           8
        .value_kind:     hidden_global_offset_x
      - .offset:         192
        .size:           8
        .value_kind:     hidden_global_offset_y
      - .offset:         200
        .size:           8
        .value_kind:     hidden_global_offset_z
      - .offset:         208
        .size:           2
        .value_kind:     hidden_grid_dims
    .group_segment_fixed_size: 64
    .kernarg_segment_align: 8
    .kernarg_segment_size: 400
    .language:       OpenCL C
    .language_version:
      - 2
      - 0
    .max_flat_workgroup_size: 1024
    .name:           _ZN5aiter35fused_qk_rmsnorm_group_quant_kernelItN4opus5fp4_tELi512ELi16ELi2ELb0ELb1ELb0ELb1ELb0ELb0EEEvPT0_PvPT_S7_S7_PKS6_S9_S9_S9_S9_ffiiiiiiiiiiiii
    .private_segment_fixed_size: 0
    .sgpr_count:     36
    .sgpr_spill_count: 0
    .symbol:         _ZN5aiter35fused_qk_rmsnorm_group_quant_kernelItN4opus5fp4_tELi512ELi16ELi2ELb0ELb1ELb0ELb1ELb0ELb0EEEvPT0_PvPT_S7_S7_PKS6_S9_S9_S9_S9_ffiiiiiiiiiiiii.kd
    .uniform_work_group_size: 1
    .uses_dynamic_stack: false
    .vgpr_count:     35
    .vgpr_spill_count: 0
    .wavefront_size: 64
  - .agpr_count:     0
    .args:
      - .actual_access:  write_only
        .address_space:  global
        .offset:         0
        .size:           8
        .value_kind:     global_buffer
      - .actual_access:  write_only
        .address_space:  global
        .offset:         8
        .size:           8
        .value_kind:     global_buffer
      - .actual_access:  write_only
        .address_space:  global
        .offset:         16
        .size:           8
        .value_kind:     global_buffer
      - .actual_access:  write_only
        .address_space:  global
        .offset:         24
        .size:           8
        .value_kind:     global_buffer
      - .actual_access:  write_only
        .address_space:  global
        .offset:         32
        .size:           8
        .value_kind:     global_buffer
      - .actual_access:  read_only
        .address_space:  global
        .offset:         40
        .size:           8
        .value_kind:     global_buffer
      - .actual_access:  read_only
        .address_space:  global
        .offset:         48
        .size:           8
        .value_kind:     global_buffer
      - .actual_access:  read_only
        .address_space:  global
        .offset:         56
        .size:           8
        .value_kind:     global_buffer
      - .actual_access:  read_only
        .address_space:  global
        .offset:         64
        .size:           8
        .value_kind:     global_buffer
      - .actual_access:  read_only
        .address_space:  global
        .offset:         72
        .size:           8
        .value_kind:     global_buffer
      - .offset:         80
        .size:           4
        .value_kind:     by_value
      - .offset:         84
        .size:           4
        .value_kind:     by_value
      - .offset:         88
        .size:           4
        .value_kind:     by_value
      - .offset:         92
        .size:           4
        .value_kind:     by_value
      - .offset:         96
        .size:           4
        .value_kind:     by_value
      - .offset:         100
        .size:           4
        .value_kind:     by_value
      - .offset:         104
        .size:           4
        .value_kind:     by_value
      - .offset:         108
        .size:           4
        .value_kind:     by_value
      - .offset:         112
        .size:           4
        .value_kind:     by_value
      - .offset:         116
        .size:           4
        .value_kind:     by_value
      - .offset:         120
        .size:           4
        .value_kind:     by_value
      - .offset:         124
        .size:           4
        .value_kind:     by_value
      - .offset:         128
        .size:           4
        .value_kind:     by_value
      - .offset:         132
        .size:           4
        .value_kind:     by_value
      - .offset:         136
        .size:           4
        .value_kind:     by_value
      - .offset:         144
        .size:           4
        .value_kind:     hidden_block_count_x
      - .offset:         148
        .size:           4
        .value_kind:     hidden_block_count_y
      - .offset:         152
        .size:           4
        .value_kind:     hidden_block_count_z
      - .offset:         156
        .size:           2
        .value_kind:     hidden_group_size_x
      - .offset:         158
        .size:           2
        .value_kind:     hidden_group_size_y
      - .offset:         160
        .size:           2
        .value_kind:     hidden_group_size_z
      - .offset:         162
        .size:           2
        .value_kind:     hidden_remainder_x
      - .offset:         164
        .size:           2
        .value_kind:     hidden_remainder_y
      - .offset:         166
        .size:           2
        .value_kind:     hidden_remainder_z
      - .offset:         184
        .size:           8
        .value_kind:     hidden_global_offset_x
      - .offset:         192
        .size:           8
        .value_kind:     hidden_global_offset_y
      - .offset:         200
        .size:           8
        .value_kind:     hidden_global_offset_z
      - .offset:         208
        .size:           2
        .value_kind:     hidden_grid_dims
    .group_segment_fixed_size: 64
    .kernarg_segment_align: 8
    .kernarg_segment_size: 400
    .language:       OpenCL C
    .language_version:
      - 2
      - 0
    .max_flat_workgroup_size: 1024
    .name:           _ZN5aiter35fused_qk_rmsnorm_group_quant_kernelIDF16_DB8_Li512ELi16ELi2ELb1ELb1ELb1ELb0ELb0ELb0EEEvPT0_PvPT_S6_S6_PKS5_S8_S8_S8_S8_ffiiiiiiiiiiiii
    .private_segment_fixed_size: 0
    .sgpr_count:     48
    .sgpr_spill_count: 0
    .symbol:         _ZN5aiter35fused_qk_rmsnorm_group_quant_kernelIDF16_DB8_Li512ELi16ELi2ELb1ELb1ELb1ELb0ELb0ELb0EEEvPT0_PvPT_S6_S6_PKS5_S8_S8_S8_S8_ffiiiiiiiiiiiii.kd
    .uniform_work_group_size: 1
    .uses_dynamic_stack: false
    .vgpr_count:     90
    .vgpr_spill_count: 0
    .wavefront_size: 64
  - .agpr_count:     0
    .args:
      - .actual_access:  write_only
        .address_space:  global
        .offset:         0
        .size:           8
        .value_kind:     global_buffer
      - .actual_access:  write_only
        .address_space:  global
        .offset:         8
        .size:           8
        .value_kind:     global_buffer
      - .actual_access:  write_only
        .address_space:  global
        .offset:         16
        .size:           8
        .value_kind:     global_buffer
      - .actual_access:  write_only
        .address_space:  global
        .offset:         24
        .size:           8
        .value_kind:     global_buffer
      - .actual_access:  write_only
        .address_space:  global
        .offset:         32
        .size:           8
        .value_kind:     global_buffer
      - .actual_access:  read_only
        .address_space:  global
        .offset:         40
        .size:           8
        .value_kind:     global_buffer
      - .actual_access:  read_only
        .address_space:  global
        .offset:         48
        .size:           8
        .value_kind:     global_buffer
      - .actual_access:  read_only
        .address_space:  global
        .offset:         56
        .size:           8
        .value_kind:     global_buffer
      - .actual_access:  read_only
        .address_space:  global
        .offset:         64
        .size:           8
        .value_kind:     global_buffer
      - .actual_access:  read_only
        .address_space:  global
        .offset:         72
        .size:           8
        .value_kind:     global_buffer
      - .offset:         80
        .size:           4
        .value_kind:     by_value
      - .offset:         84
        .size:           4
        .value_kind:     by_value
      - .offset:         88
        .size:           4
        .value_kind:     by_value
      - .offset:         92
        .size:           4
        .value_kind:     by_value
      - .offset:         96
        .size:           4
        .value_kind:     by_value
      - .offset:         100
        .size:           4
        .value_kind:     by_value
      - .offset:         104
        .size:           4
        .value_kind:     by_value
      - .offset:         108
        .size:           4
        .value_kind:     by_value
      - .offset:         112
        .size:           4
        .value_kind:     by_value
      - .offset:         116
        .size:           4
        .value_kind:     by_value
      - .offset:         120
        .size:           4
        .value_kind:     by_value
      - .offset:         124
        .size:           4
        .value_kind:     by_value
      - .offset:         128
        .size:           4
        .value_kind:     by_value
      - .offset:         132
        .size:           4
        .value_kind:     by_value
      - .offset:         136
        .size:           4
        .value_kind:     by_value
      - .offset:         144
        .size:           4
        .value_kind:     hidden_block_count_x
      - .offset:         148
        .size:           4
        .value_kind:     hidden_block_count_y
      - .offset:         152
        .size:           4
        .value_kind:     hidden_block_count_z
      - .offset:         156
        .size:           2
        .value_kind:     hidden_group_size_x
      - .offset:         158
        .size:           2
        .value_kind:     hidden_group_size_y
      - .offset:         160
        .size:           2
        .value_kind:     hidden_group_size_z
      - .offset:         162
        .size:           2
        .value_kind:     hidden_remainder_x
      - .offset:         164
        .size:           2
        .value_kind:     hidden_remainder_y
      - .offset:         166
        .size:           2
        .value_kind:     hidden_remainder_z
      - .offset:         184
        .size:           8
        .value_kind:     hidden_global_offset_x
      - .offset:         192
        .size:           8
        .value_kind:     hidden_global_offset_y
      - .offset:         200
        .size:           8
        .value_kind:     hidden_global_offset_z
      - .offset:         208
        .size:           2
        .value_kind:     hidden_grid_dims
    .group_segment_fixed_size: 64
    .kernarg_segment_align: 8
    .kernarg_segment_size: 400
    .language:       OpenCL C
    .language_version:
      - 2
      - 0
    .max_flat_workgroup_size: 1024
    .name:           _ZN5aiter35fused_qk_rmsnorm_group_quant_kernelItDB8_Li512ELi16ELi2ELb1ELb1ELb1ELb0ELb0ELb0EEEvPT0_PvPT_S6_S6_PKS5_S8_S8_S8_S8_ffiiiiiiiiiiiii
    .private_segment_fixed_size: 0
    .sgpr_count:     48
    .sgpr_spill_count: 0
    .symbol:         _ZN5aiter35fused_qk_rmsnorm_group_quant_kernelItDB8_Li512ELi16ELi2ELb1ELb1ELb1ELb0ELb0ELb0EEEvPT0_PvPT_S6_S6_PKS5_S8_S8_S8_S8_ffiiiiiiiiiiiii.kd
    .uniform_work_group_size: 1
    .uses_dynamic_stack: false
    .vgpr_count:     88
    .vgpr_spill_count: 0
    .wavefront_size: 64
  - .agpr_count:     0
    .args:
      - .actual_access:  write_only
        .address_space:  global
        .offset:         0
        .size:           8
        .value_kind:     global_buffer
      - .actual_access:  write_only
        .address_space:  global
        .offset:         8
        .size:           8
        .value_kind:     global_buffer
      - .actual_access:  write_only
        .address_space:  global
        .offset:         16
        .size:           8
        .value_kind:     global_buffer
      - .actual_access:  write_only
        .address_space:  global
        .offset:         24
        .size:           8
        .value_kind:     global_buffer
      - .actual_access:  write_only
        .address_space:  global
        .offset:         32
        .size:           8
        .value_kind:     global_buffer
      - .actual_access:  read_only
        .address_space:  global
        .offset:         40
        .size:           8
        .value_kind:     global_buffer
      - .actual_access:  read_only
        .address_space:  global
        .offset:         48
        .size:           8
        .value_kind:     global_buffer
      - .actual_access:  read_only
        .address_space:  global
        .offset:         56
        .size:           8
        .value_kind:     global_buffer
      - .actual_access:  read_only
        .address_space:  global
        .offset:         64
        .size:           8
        .value_kind:     global_buffer
      - .actual_access:  read_only
        .address_space:  global
        .offset:         72
        .size:           8
        .value_kind:     global_buffer
      - .offset:         80
        .size:           4
        .value_kind:     by_value
      - .offset:         84
        .size:           4
        .value_kind:     by_value
      - .offset:         88
        .size:           4
        .value_kind:     by_value
      - .offset:         92
        .size:           4
        .value_kind:     by_value
      - .offset:         96
        .size:           4
        .value_kind:     by_value
      - .offset:         100
        .size:           4
        .value_kind:     by_value
      - .offset:         104
        .size:           4
        .value_kind:     by_value
      - .offset:         108
        .size:           4
        .value_kind:     by_value
      - .offset:         112
        .size:           4
        .value_kind:     by_value
      - .offset:         116
        .size:           4
        .value_kind:     by_value
      - .offset:         120
        .size:           4
        .value_kind:     by_value
      - .offset:         124
        .size:           4
        .value_kind:     by_value
      - .offset:         128
        .size:           4
        .value_kind:     by_value
      - .offset:         132
        .size:           4
        .value_kind:     by_value
      - .offset:         136
        .size:           4
        .value_kind:     by_value
      - .offset:         144
        .size:           4
        .value_kind:     hidden_block_count_x
      - .offset:         148
        .size:           4
        .value_kind:     hidden_block_count_y
      - .offset:         152
        .size:           4
        .value_kind:     hidden_block_count_z
      - .offset:         156
        .size:           2
        .value_kind:     hidden_group_size_x
      - .offset:         158
        .size:           2
        .value_kind:     hidden_group_size_y
      - .offset:         160
        .size:           2
        .value_kind:     hidden_group_size_z
      - .offset:         162
        .size:           2
        .value_kind:     hidden_remainder_x
      - .offset:         164
        .size:           2
        .value_kind:     hidden_remainder_y
      - .offset:         166
        .size:           2
        .value_kind:     hidden_remainder_z
      - .offset:         184
        .size:           8
        .value_kind:     hidden_global_offset_x
      - .offset:         192
        .size:           8
        .value_kind:     hidden_global_offset_y
      - .offset:         200
        .size:           8
        .value_kind:     hidden_global_offset_z
      - .offset:         208
        .size:           2
        .value_kind:     hidden_grid_dims
    .group_segment_fixed_size: 64
    .kernarg_segment_align: 8
    .kernarg_segment_size: 400
    .language:       OpenCL C
    .language_version:
      - 2
      - 0
    .max_flat_workgroup_size: 1024
    .name:           _ZN5aiter35fused_qk_rmsnorm_group_quant_kernelIDF16_N4opus5fp4_tELi512ELi16ELi2ELb1ELb1ELb1ELb0ELb0ELb0EEEvPT0_PvPT_S7_S7_PKS6_S9_S9_S9_S9_ffiiiiiiiiiiiii
    .private_segment_fixed_size: 0
    .sgpr_count:     48
    .sgpr_spill_count: 0
    .symbol:         _ZN5aiter35fused_qk_rmsnorm_group_quant_kernelIDF16_N4opus5fp4_tELi512ELi16ELi2ELb1ELb1ELb1ELb0ELb0ELb0EEEvPT0_PvPT_S7_S7_PKS6_S9_S9_S9_S9_ffiiiiiiiiiiiii.kd
    .uniform_work_group_size: 1
    .uses_dynamic_stack: false
    .vgpr_count:     49
    .vgpr_spill_count: 0
    .wavefront_size: 64
  - .agpr_count:     0
    .args:
      - .actual_access:  write_only
        .address_space:  global
        .offset:         0
        .size:           8
        .value_kind:     global_buffer
      - .actual_access:  write_only
        .address_space:  global
        .offset:         8
        .size:           8
        .value_kind:     global_buffer
      - .actual_access:  write_only
        .address_space:  global
        .offset:         16
        .size:           8
        .value_kind:     global_buffer
      - .actual_access:  write_only
        .address_space:  global
        .offset:         24
        .size:           8
        .value_kind:     global_buffer
      - .actual_access:  write_only
        .address_space:  global
        .offset:         32
        .size:           8
        .value_kind:     global_buffer
      - .actual_access:  read_only
        .address_space:  global
        .offset:         40
        .size:           8
        .value_kind:     global_buffer
      - .actual_access:  read_only
        .address_space:  global
        .offset:         48
        .size:           8
        .value_kind:     global_buffer
      - .actual_access:  read_only
        .address_space:  global
        .offset:         56
        .size:           8
        .value_kind:     global_buffer
      - .actual_access:  read_only
        .address_space:  global
        .offset:         64
        .size:           8
        .value_kind:     global_buffer
      - .actual_access:  read_only
        .address_space:  global
        .offset:         72
        .size:           8
        .value_kind:     global_buffer
      - .offset:         80
        .size:           4
        .value_kind:     by_value
      - .offset:         84
        .size:           4
        .value_kind:     by_value
      - .offset:         88
        .size:           4
        .value_kind:     by_value
      - .offset:         92
        .size:           4
        .value_kind:     by_value
      - .offset:         96
        .size:           4
        .value_kind:     by_value
      - .offset:         100
        .size:           4
        .value_kind:     by_value
      - .offset:         104
        .size:           4
        .value_kind:     by_value
      - .offset:         108
        .size:           4
        .value_kind:     by_value
      - .offset:         112
        .size:           4
        .value_kind:     by_value
      - .offset:         116
        .size:           4
        .value_kind:     by_value
      - .offset:         120
        .size:           4
        .value_kind:     by_value
      - .offset:         124
        .size:           4
        .value_kind:     by_value
      - .offset:         128
        .size:           4
        .value_kind:     by_value
      - .offset:         132
        .size:           4
        .value_kind:     by_value
      - .offset:         136
        .size:           4
        .value_kind:     by_value
      - .offset:         144
        .size:           4
        .value_kind:     hidden_block_count_x
      - .offset:         148
        .size:           4
        .value_kind:     hidden_block_count_y
      - .offset:         152
        .size:           4
        .value_kind:     hidden_block_count_z
      - .offset:         156
        .size:           2
        .value_kind:     hidden_group_size_x
      - .offset:         158
        .size:           2
        .value_kind:     hidden_group_size_y
      - .offset:         160
        .size:           2
        .value_kind:     hidden_group_size_z
      - .offset:         162
        .size:           2
        .value_kind:     hidden_remainder_x
      - .offset:         164
        .size:           2
        .value_kind:     hidden_remainder_y
      - .offset:         166
        .size:           2
        .value_kind:     hidden_remainder_z
      - .offset:         184
        .size:           8
        .value_kind:     hidden_global_offset_x
      - .offset:         192
        .size:           8
        .value_kind:     hidden_global_offset_y
      - .offset:         200
        .size:           8
        .value_kind:     hidden_global_offset_z
      - .offset:         208
        .size:           2
        .value_kind:     hidden_grid_dims
    .group_segment_fixed_size: 64
    .kernarg_segment_align: 8
    .kernarg_segment_size: 400
    .language:       OpenCL C
    .language_version:
      - 2
      - 0
    .max_flat_workgroup_size: 1024
    .name:           _ZN5aiter35fused_qk_rmsnorm_group_quant_kernelItN4opus5fp4_tELi512ELi16ELi2ELb1ELb1ELb1ELb0ELb0ELb0EEEvPT0_PvPT_S7_S7_PKS6_S9_S9_S9_S9_ffiiiiiiiiiiiii
    .private_segment_fixed_size: 0
    .sgpr_count:     48
    .sgpr_spill_count: 0
    .symbol:         _ZN5aiter35fused_qk_rmsnorm_group_quant_kernelItN4opus5fp4_tELi512ELi16ELi2ELb1ELb1ELb1ELb0ELb0ELb0EEEvPT0_PvPT_S7_S7_PKS6_S9_S9_S9_S9_ffiiiiiiiiiiiii.kd
    .uniform_work_group_size: 1
    .uses_dynamic_stack: false
    .vgpr_count:     76
    .vgpr_spill_count: 0
    .wavefront_size: 64
  - .agpr_count:     0
    .args:
      - .actual_access:  write_only
        .address_space:  global
        .offset:         0
        .size:           8
        .value_kind:     global_buffer
      - .actual_access:  write_only
        .address_space:  global
        .offset:         8
        .size:           8
        .value_kind:     global_buffer
      - .actual_access:  write_only
        .address_space:  global
        .offset:         16
        .size:           8
        .value_kind:     global_buffer
      - .actual_access:  write_only
        .address_space:  global
        .offset:         24
        .size:           8
        .value_kind:     global_buffer
      - .actual_access:  write_only
        .address_space:  global
        .offset:         32
        .size:           8
        .value_kind:     global_buffer
      - .actual_access:  read_only
        .address_space:  global
        .offset:         40
        .size:           8
        .value_kind:     global_buffer
      - .actual_access:  read_only
        .address_space:  global
        .offset:         48
        .size:           8
        .value_kind:     global_buffer
      - .actual_access:  read_only
        .address_space:  global
        .offset:         56
        .size:           8
        .value_kind:     global_buffer
      - .actual_access:  read_only
        .address_space:  global
        .offset:         64
        .size:           8
        .value_kind:     global_buffer
      - .actual_access:  read_only
        .address_space:  global
        .offset:         72
        .size:           8
        .value_kind:     global_buffer
      - .offset:         80
        .size:           4
        .value_kind:     by_value
      - .offset:         84
        .size:           4
        .value_kind:     by_value
      - .offset:         88
        .size:           4
        .value_kind:     by_value
      - .offset:         92
        .size:           4
        .value_kind:     by_value
      - .offset:         96
        .size:           4
        .value_kind:     by_value
      - .offset:         100
        .size:           4
        .value_kind:     by_value
      - .offset:         104
        .size:           4
        .value_kind:     by_value
      - .offset:         108
        .size:           4
        .value_kind:     by_value
      - .offset:         112
        .size:           4
        .value_kind:     by_value
      - .offset:         116
        .size:           4
        .value_kind:     by_value
      - .offset:         120
        .size:           4
        .value_kind:     by_value
      - .offset:         124
        .size:           4
        .value_kind:     by_value
      - .offset:         128
        .size:           4
        .value_kind:     by_value
      - .offset:         132
        .size:           4
        .value_kind:     by_value
      - .offset:         136
        .size:           4
        .value_kind:     by_value
      - .offset:         144
        .size:           4
        .value_kind:     hidden_block_count_x
      - .offset:         148
        .size:           4
        .value_kind:     hidden_block_count_y
      - .offset:         152
        .size:           4
        .value_kind:     hidden_block_count_z
      - .offset:         156
        .size:           2
        .value_kind:     hidden_group_size_x
      - .offset:         158
        .size:           2
        .value_kind:     hidden_group_size_y
      - .offset:         160
        .size:           2
        .value_kind:     hidden_group_size_z
      - .offset:         162
        .size:           2
        .value_kind:     hidden_remainder_x
      - .offset:         164
        .size:           2
        .value_kind:     hidden_remainder_y
      - .offset:         166
        .size:           2
        .value_kind:     hidden_remainder_z
      - .offset:         184
        .size:           8
        .value_kind:     hidden_global_offset_x
      - .offset:         192
        .size:           8
        .value_kind:     hidden_global_offset_y
      - .offset:         200
        .size:           8
        .value_kind:     hidden_global_offset_z
      - .offset:         208
        .size:           2
        .value_kind:     hidden_grid_dims
    .group_segment_fixed_size: 64
    .kernarg_segment_align: 8
    .kernarg_segment_size: 400
    .language:       OpenCL C
    .language_version:
      - 2
      - 0
    .max_flat_workgroup_size: 1024
    .name:           _ZN5aiter35fused_qk_rmsnorm_group_quant_kernelIDF16_DB8_Li512ELi16ELi2ELb1ELb1ELb0ELb0ELb0ELb0EEEvPT0_PvPT_S6_S6_PKS5_S8_S8_S8_S8_ffiiiiiiiiiiiii
    .private_segment_fixed_size: 0
    .sgpr_count:     48
    .sgpr_spill_count: 0
    .symbol:         _ZN5aiter35fused_qk_rmsnorm_group_quant_kernelIDF16_DB8_Li512ELi16ELi2ELb1ELb1ELb0ELb0ELb0ELb0EEEvPT0_PvPT_S6_S6_PKS5_S8_S8_S8_S8_ffiiiiiiiiiiiii.kd
    .uniform_work_group_size: 1
    .uses_dynamic_stack: false
    .vgpr_count:     94
    .vgpr_spill_count: 0
    .wavefront_size: 64
  - .agpr_count:     0
    .args:
      - .actual_access:  write_only
        .address_space:  global
        .offset:         0
        .size:           8
        .value_kind:     global_buffer
      - .actual_access:  write_only
        .address_space:  global
        .offset:         8
        .size:           8
        .value_kind:     global_buffer
      - .actual_access:  write_only
        .address_space:  global
        .offset:         16
        .size:           8
        .value_kind:     global_buffer
      - .actual_access:  write_only
        .address_space:  global
        .offset:         24
        .size:           8
        .value_kind:     global_buffer
      - .actual_access:  write_only
        .address_space:  global
        .offset:         32
        .size:           8
        .value_kind:     global_buffer
      - .actual_access:  read_only
        .address_space:  global
        .offset:         40
        .size:           8
        .value_kind:     global_buffer
      - .actual_access:  read_only
        .address_space:  global
        .offset:         48
        .size:           8
        .value_kind:     global_buffer
      - .actual_access:  read_only
        .address_space:  global
        .offset:         56
        .size:           8
        .value_kind:     global_buffer
      - .actual_access:  read_only
        .address_space:  global
        .offset:         64
        .size:           8
        .value_kind:     global_buffer
      - .actual_access:  read_only
        .address_space:  global
        .offset:         72
        .size:           8
        .value_kind:     global_buffer
      - .offset:         80
        .size:           4
        .value_kind:     by_value
      - .offset:         84
        .size:           4
        .value_kind:     by_value
      - .offset:         88
        .size:           4
        .value_kind:     by_value
      - .offset:         92
        .size:           4
        .value_kind:     by_value
      - .offset:         96
        .size:           4
        .value_kind:     by_value
      - .offset:         100
        .size:           4
        .value_kind:     by_value
      - .offset:         104
        .size:           4
        .value_kind:     by_value
      - .offset:         108
        .size:           4
        .value_kind:     by_value
      - .offset:         112
        .size:           4
        .value_kind:     by_value
      - .offset:         116
        .size:           4
        .value_kind:     by_value
      - .offset:         120
        .size:           4
        .value_kind:     by_value
      - .offset:         124
        .size:           4
        .value_kind:     by_value
      - .offset:         128
        .size:           4
        .value_kind:     by_value
      - .offset:         132
        .size:           4
        .value_kind:     by_value
      - .offset:         136
        .size:           4
        .value_kind:     by_value
      - .offset:         144
        .size:           4
        .value_kind:     hidden_block_count_x
      - .offset:         148
        .size:           4
        .value_kind:     hidden_block_count_y
      - .offset:         152
        .size:           4
        .value_kind:     hidden_block_count_z
      - .offset:         156
        .size:           2
        .value_kind:     hidden_group_size_x
      - .offset:         158
        .size:           2
        .value_kind:     hidden_group_size_y
      - .offset:         160
        .size:           2
        .value_kind:     hidden_group_size_z
      - .offset:         162
        .size:           2
        .value_kind:     hidden_remainder_x
      - .offset:         164
        .size:           2
        .value_kind:     hidden_remainder_y
      - .offset:         166
        .size:           2
        .value_kind:     hidden_remainder_z
      - .offset:         184
        .size:           8
        .value_kind:     hidden_global_offset_x
      - .offset:         192
        .size:           8
        .value_kind:     hidden_global_offset_y
      - .offset:         200
        .size:           8
        .value_kind:     hidden_global_offset_z
      - .offset:         208
        .size:           2
        .value_kind:     hidden_grid_dims
    .group_segment_fixed_size: 64
    .kernarg_segment_align: 8
    .kernarg_segment_size: 400
    .language:       OpenCL C
    .language_version:
      - 2
      - 0
    .max_flat_workgroup_size: 1024
    .name:           _ZN5aiter35fused_qk_rmsnorm_group_quant_kernelItDB8_Li512ELi16ELi2ELb1ELb1ELb0ELb0ELb0ELb0EEEvPT0_PvPT_S6_S6_PKS5_S8_S8_S8_S8_ffiiiiiiiiiiiii
    .private_segment_fixed_size: 0
    .sgpr_count:     48
    .sgpr_spill_count: 0
    .symbol:         _ZN5aiter35fused_qk_rmsnorm_group_quant_kernelItDB8_Li512ELi16ELi2ELb1ELb1ELb0ELb0ELb0ELb0EEEvPT0_PvPT_S6_S6_PKS5_S8_S8_S8_S8_ffiiiiiiiiiiiii.kd
    .uniform_work_group_size: 1
    .uses_dynamic_stack: false
    .vgpr_count:     96
    .vgpr_spill_count: 0
    .wavefront_size: 64
  - .agpr_count:     0
    .args:
      - .actual_access:  write_only
        .address_space:  global
        .offset:         0
        .size:           8
        .value_kind:     global_buffer
      - .actual_access:  write_only
        .address_space:  global
        .offset:         8
        .size:           8
        .value_kind:     global_buffer
      - .actual_access:  write_only
        .address_space:  global
        .offset:         16
        .size:           8
        .value_kind:     global_buffer
      - .actual_access:  write_only
        .address_space:  global
        .offset:         24
        .size:           8
        .value_kind:     global_buffer
      - .actual_access:  write_only
        .address_space:  global
        .offset:         32
        .size:           8
        .value_kind:     global_buffer
      - .actual_access:  read_only
        .address_space:  global
        .offset:         40
        .size:           8
        .value_kind:     global_buffer
      - .actual_access:  read_only
        .address_space:  global
        .offset:         48
        .size:           8
        .value_kind:     global_buffer
      - .actual_access:  read_only
        .address_space:  global
        .offset:         56
        .size:           8
        .value_kind:     global_buffer
      - .actual_access:  read_only
        .address_space:  global
        .offset:         64
        .size:           8
        .value_kind:     global_buffer
      - .actual_access:  read_only
        .address_space:  global
        .offset:         72
        .size:           8
        .value_kind:     global_buffer
      - .offset:         80
        .size:           4
        .value_kind:     by_value
      - .offset:         84
        .size:           4
        .value_kind:     by_value
      - .offset:         88
        .size:           4
        .value_kind:     by_value
      - .offset:         92
        .size:           4
        .value_kind:     by_value
      - .offset:         96
        .size:           4
        .value_kind:     by_value
      - .offset:         100
        .size:           4
        .value_kind:     by_value
      - .offset:         104
        .size:           4
        .value_kind:     by_value
      - .offset:         108
        .size:           4
        .value_kind:     by_value
      - .offset:         112
        .size:           4
        .value_kind:     by_value
      - .offset:         116
        .size:           4
        .value_kind:     by_value
      - .offset:         120
        .size:           4
        .value_kind:     by_value
      - .offset:         124
        .size:           4
        .value_kind:     by_value
      - .offset:         128
        .size:           4
        .value_kind:     by_value
      - .offset:         132
        .size:           4
        .value_kind:     by_value
      - .offset:         136
        .size:           4
        .value_kind:     by_value
      - .offset:         144
        .size:           4
        .value_kind:     hidden_block_count_x
      - .offset:         148
        .size:           4
        .value_kind:     hidden_block_count_y
      - .offset:         152
        .size:           4
        .value_kind:     hidden_block_count_z
      - .offset:         156
        .size:           2
        .value_kind:     hidden_group_size_x
      - .offset:         158
        .size:           2
        .value_kind:     hidden_group_size_y
      - .offset:         160
        .size:           2
        .value_kind:     hidden_group_size_z
      - .offset:         162
        .size:           2
        .value_kind:     hidden_remainder_x
      - .offset:         164
        .size:           2
        .value_kind:     hidden_remainder_y
      - .offset:         166
        .size:           2
        .value_kind:     hidden_remainder_z
      - .offset:         184
        .size:           8
        .value_kind:     hidden_global_offset_x
      - .offset:         192
        .size:           8
        .value_kind:     hidden_global_offset_y
      - .offset:         200
        .size:           8
        .value_kind:     hidden_global_offset_z
      - .offset:         208
        .size:           2
        .value_kind:     hidden_grid_dims
    .group_segment_fixed_size: 64
    .kernarg_segment_align: 8
    .kernarg_segment_size: 400
    .language:       OpenCL C
    .language_version:
      - 2
      - 0
    .max_flat_workgroup_size: 1024
    .name:           _ZN5aiter35fused_qk_rmsnorm_group_quant_kernelIDF16_N4opus5fp4_tELi512ELi16ELi2ELb1ELb1ELb0ELb0ELb0ELb0EEEvPT0_PvPT_S7_S7_PKS6_S9_S9_S9_S9_ffiiiiiiiiiiiii
    .private_segment_fixed_size: 0
    .sgpr_count:     48
    .sgpr_spill_count: 0
    .symbol:         _ZN5aiter35fused_qk_rmsnorm_group_quant_kernelIDF16_N4opus5fp4_tELi512ELi16ELi2ELb1ELb1ELb0ELb0ELb0ELb0EEEvPT0_PvPT_S7_S7_PKS6_S9_S9_S9_S9_ffiiiiiiiiiiiii.kd
    .uniform_work_group_size: 1
    .uses_dynamic_stack: false
    .vgpr_count:     47
    .vgpr_spill_count: 0
    .wavefront_size: 64
  - .agpr_count:     0
    .args:
      - .actual_access:  write_only
        .address_space:  global
        .offset:         0
        .size:           8
        .value_kind:     global_buffer
      - .actual_access:  write_only
        .address_space:  global
        .offset:         8
        .size:           8
        .value_kind:     global_buffer
      - .actual_access:  write_only
        .address_space:  global
        .offset:         16
        .size:           8
        .value_kind:     global_buffer
      - .actual_access:  write_only
        .address_space:  global
        .offset:         24
        .size:           8
        .value_kind:     global_buffer
      - .actual_access:  write_only
        .address_space:  global
        .offset:         32
        .size:           8
        .value_kind:     global_buffer
      - .actual_access:  read_only
        .address_space:  global
        .offset:         40
        .size:           8
        .value_kind:     global_buffer
      - .actual_access:  read_only
        .address_space:  global
        .offset:         48
        .size:           8
        .value_kind:     global_buffer
      - .actual_access:  read_only
        .address_space:  global
        .offset:         56
        .size:           8
        .value_kind:     global_buffer
      - .actual_access:  read_only
        .address_space:  global
        .offset:         64
        .size:           8
        .value_kind:     global_buffer
      - .actual_access:  read_only
        .address_space:  global
        .offset:         72
        .size:           8
        .value_kind:     global_buffer
      - .offset:         80
        .size:           4
        .value_kind:     by_value
      - .offset:         84
        .size:           4
        .value_kind:     by_value
      - .offset:         88
        .size:           4
        .value_kind:     by_value
      - .offset:         92
        .size:           4
        .value_kind:     by_value
      - .offset:         96
        .size:           4
        .value_kind:     by_value
      - .offset:         100
        .size:           4
        .value_kind:     by_value
      - .offset:         104
        .size:           4
        .value_kind:     by_value
      - .offset:         108
        .size:           4
        .value_kind:     by_value
      - .offset:         112
        .size:           4
        .value_kind:     by_value
      - .offset:         116
        .size:           4
        .value_kind:     by_value
      - .offset:         120
        .size:           4
        .value_kind:     by_value
      - .offset:         124
        .size:           4
        .value_kind:     by_value
      - .offset:         128
        .size:           4
        .value_kind:     by_value
      - .offset:         132
        .size:           4
        .value_kind:     by_value
      - .offset:         136
        .size:           4
        .value_kind:     by_value
      - .offset:         144
        .size:           4
        .value_kind:     hidden_block_count_x
      - .offset:         148
        .size:           4
        .value_kind:     hidden_block_count_y
      - .offset:         152
        .size:           4
        .value_kind:     hidden_block_count_z
      - .offset:         156
        .size:           2
        .value_kind:     hidden_group_size_x
      - .offset:         158
        .size:           2
        .value_kind:     hidden_group_size_y
      - .offset:         160
        .size:           2
        .value_kind:     hidden_group_size_z
      - .offset:         162
        .size:           2
        .value_kind:     hidden_remainder_x
      - .offset:         164
        .size:           2
        .value_kind:     hidden_remainder_y
      - .offset:         166
        .size:           2
        .value_kind:     hidden_remainder_z
      - .offset:         184
        .size:           8
        .value_kind:     hidden_global_offset_x
      - .offset:         192
        .size:           8
        .value_kind:     hidden_global_offset_y
      - .offset:         200
        .size:           8
        .value_kind:     hidden_global_offset_z
      - .offset:         208
        .size:           2
        .value_kind:     hidden_grid_dims
    .group_segment_fixed_size: 64
    .kernarg_segment_align: 8
    .kernarg_segment_size: 400
    .language:       OpenCL C
    .language_version:
      - 2
      - 0
    .max_flat_workgroup_size: 1024
    .name:           _ZN5aiter35fused_qk_rmsnorm_group_quant_kernelItN4opus5fp4_tELi512ELi16ELi2ELb1ELb1ELb0ELb0ELb0ELb0EEEvPT0_PvPT_S7_S7_PKS6_S9_S9_S9_S9_ffiiiiiiiiiiiii
    .private_segment_fixed_size: 0
    .sgpr_count:     48
    .sgpr_spill_count: 0
    .symbol:         _ZN5aiter35fused_qk_rmsnorm_group_quant_kernelItN4opus5fp4_tELi512ELi16ELi2ELb1ELb1ELb0ELb0ELb0ELb0EEEvPT0_PvPT_S7_S7_PKS6_S9_S9_S9_S9_ffiiiiiiiiiiiii.kd
    .uniform_work_group_size: 1
    .uses_dynamic_stack: false
    .vgpr_count:     94
    .vgpr_spill_count: 0
    .wavefront_size: 64
  - .agpr_count:     0
    .args:
      - .actual_access:  write_only
        .address_space:  global
        .offset:         0
        .size:           8
        .value_kind:     global_buffer
      - .actual_access:  write_only
        .address_space:  global
        .offset:         8
        .size:           8
        .value_kind:     global_buffer
      - .actual_access:  read_only
        .address_space:  global
        .offset:         16
        .size:           8
        .value_kind:     global_buffer
      - .actual_access:  write_only
        .address_space:  global
        .offset:         24
        .size:           8
        .value_kind:     global_buffer
      - .actual_access:  write_only
        .address_space:  global
        .offset:         32
        .size:           8
        .value_kind:     global_buffer
      - .actual_access:  read_only
        .address_space:  global
        .offset:         40
        .size:           8
        .value_kind:     global_buffer
      - .actual_access:  read_only
        .address_space:  global
        .offset:         48
        .size:           8
        .value_kind:     global_buffer
      - .actual_access:  read_only
        .address_space:  global
        .offset:         56
        .size:           8
        .value_kind:     global_buffer
      - .actual_access:  read_only
        .address_space:  global
        .offset:         64
        .size:           8
        .value_kind:     global_buffer
      - .actual_access:  read_only
        .address_space:  global
        .offset:         72
        .size:           8
        .value_kind:     global_buffer
      - .offset:         80
        .size:           4
        .value_kind:     by_value
      - .offset:         84
        .size:           4
        .value_kind:     by_value
      - .offset:         88
        .size:           4
        .value_kind:     by_value
      - .offset:         92
        .size:           4
        .value_kind:     by_value
      - .offset:         96
        .size:           4
        .value_kind:     by_value
      - .offset:         100
        .size:           4
        .value_kind:     by_value
      - .offset:         104
        .size:           4
        .value_kind:     by_value
      - .offset:         108
        .size:           4
        .value_kind:     by_value
      - .offset:         112
        .size:           4
        .value_kind:     by_value
      - .offset:         116
        .size:           4
        .value_kind:     by_value
      - .offset:         120
        .size:           4
        .value_kind:     by_value
      - .offset:         124
        .size:           4
        .value_kind:     by_value
      - .offset:         128
        .size:           4
        .value_kind:     by_value
      - .offset:         132
        .size:           4
        .value_kind:     by_value
      - .offset:         136
        .size:           4
        .value_kind:     by_value
      - .offset:         144
        .size:           4
        .value_kind:     hidden_block_count_x
      - .offset:         148
        .size:           4
        .value_kind:     hidden_block_count_y
      - .offset:         152
        .size:           4
        .value_kind:     hidden_block_count_z
      - .offset:         156
        .size:           2
        .value_kind:     hidden_group_size_x
      - .offset:         158
        .size:           2
        .value_kind:     hidden_group_size_y
      - .offset:         160
        .size:           2
        .value_kind:     hidden_group_size_z
      - .offset:         162
        .size:           2
        .value_kind:     hidden_remainder_x
      - .offset:         164
        .size:           2
        .value_kind:     hidden_remainder_y
      - .offset:         166
        .size:           2
        .value_kind:     hidden_remainder_z
      - .offset:         184
        .size:           8
        .value_kind:     hidden_global_offset_x
      - .offset:         192
        .size:           8
        .value_kind:     hidden_global_offset_y
      - .offset:         200
        .size:           8
        .value_kind:     hidden_global_offset_z
      - .offset:         208
        .size:           2
        .value_kind:     hidden_grid_dims
    .group_segment_fixed_size: 64
    .kernarg_segment_align: 8
    .kernarg_segment_size: 400
    .language:       OpenCL C
    .language_version:
      - 2
      - 0
    .max_flat_workgroup_size: 1024
    .name:           _ZN5aiter35fused_qk_rmsnorm_group_quant_kernelIDF16_DB8_Li512ELi16ELi2ELb1ELb0ELb1ELb0ELb0ELb0EEEvPT0_PvPT_S6_S6_PKS5_S8_S8_S8_S8_ffiiiiiiiiiiiii
    .private_segment_fixed_size: 0
    .sgpr_count:     48
    .sgpr_spill_count: 0
    .symbol:         _ZN5aiter35fused_qk_rmsnorm_group_quant_kernelIDF16_DB8_Li512ELi16ELi2ELb1ELb0ELb1ELb0ELb0ELb0EEEvPT0_PvPT_S6_S6_PKS5_S8_S8_S8_S8_ffiiiiiiiiiiiii.kd
    .uniform_work_group_size: 1
    .uses_dynamic_stack: false
    .vgpr_count:     90
    .vgpr_spill_count: 0
    .wavefront_size: 64
  - .agpr_count:     0
    .args:
      - .actual_access:  write_only
        .address_space:  global
        .offset:         0
        .size:           8
        .value_kind:     global_buffer
      - .actual_access:  write_only
        .address_space:  global
        .offset:         8
        .size:           8
        .value_kind:     global_buffer
      - .actual_access:  read_only
        .address_space:  global
        .offset:         16
        .size:           8
        .value_kind:     global_buffer
      - .actual_access:  write_only
        .address_space:  global
        .offset:         24
        .size:           8
        .value_kind:     global_buffer
      - .actual_access:  write_only
        .address_space:  global
        .offset:         32
        .size:           8
        .value_kind:     global_buffer
      - .actual_access:  read_only
        .address_space:  global
        .offset:         40
        .size:           8
        .value_kind:     global_buffer
      - .actual_access:  read_only
        .address_space:  global
        .offset:         48
        .size:           8
        .value_kind:     global_buffer
      - .actual_access:  read_only
        .address_space:  global
        .offset:         56
        .size:           8
        .value_kind:     global_buffer
      - .actual_access:  read_only
        .address_space:  global
        .offset:         64
        .size:           8
        .value_kind:     global_buffer
      - .actual_access:  read_only
        .address_space:  global
        .offset:         72
        .size:           8
        .value_kind:     global_buffer
      - .offset:         80
        .size:           4
        .value_kind:     by_value
      - .offset:         84
        .size:           4
        .value_kind:     by_value
      - .offset:         88
        .size:           4
        .value_kind:     by_value
      - .offset:         92
        .size:           4
        .value_kind:     by_value
      - .offset:         96
        .size:           4
        .value_kind:     by_value
      - .offset:         100
        .size:           4
        .value_kind:     by_value
      - .offset:         104
        .size:           4
        .value_kind:     by_value
      - .offset:         108
        .size:           4
        .value_kind:     by_value
      - .offset:         112
        .size:           4
        .value_kind:     by_value
      - .offset:         116
        .size:           4
        .value_kind:     by_value
      - .offset:         120
        .size:           4
        .value_kind:     by_value
      - .offset:         124
        .size:           4
        .value_kind:     by_value
      - .offset:         128
        .size:           4
        .value_kind:     by_value
      - .offset:         132
        .size:           4
        .value_kind:     by_value
      - .offset:         136
        .size:           4
        .value_kind:     by_value
      - .offset:         144
        .size:           4
        .value_kind:     hidden_block_count_x
      - .offset:         148
        .size:           4
        .value_kind:     hidden_block_count_y
      - .offset:         152
        .size:           4
        .value_kind:     hidden_block_count_z
      - .offset:         156
        .size:           2
        .value_kind:     hidden_group_size_x
      - .offset:         158
        .size:           2
        .value_kind:     hidden_group_size_y
      - .offset:         160
        .size:           2
        .value_kind:     hidden_group_size_z
      - .offset:         162
        .size:           2
        .value_kind:     hidden_remainder_x
      - .offset:         164
        .size:           2
        .value_kind:     hidden_remainder_y
      - .offset:         166
        .size:           2
        .value_kind:     hidden_remainder_z
      - .offset:         184
        .size:           8
        .value_kind:     hidden_global_offset_x
      - .offset:         192
        .size:           8
        .value_kind:     hidden_global_offset_y
      - .offset:         200
        .size:           8
        .value_kind:     hidden_global_offset_z
      - .offset:         208
        .size:           2
        .value_kind:     hidden_grid_dims
    .group_segment_fixed_size: 64
    .kernarg_segment_align: 8
    .kernarg_segment_size: 400
    .language:       OpenCL C
    .language_version:
      - 2
      - 0
    .max_flat_workgroup_size: 1024
    .name:           _ZN5aiter35fused_qk_rmsnorm_group_quant_kernelItDB8_Li512ELi16ELi2ELb1ELb0ELb1ELb0ELb0ELb0EEEvPT0_PvPT_S6_S6_PKS5_S8_S8_S8_S8_ffiiiiiiiiiiiii
    .private_segment_fixed_size: 0
    .sgpr_count:     48
    .sgpr_spill_count: 0
    .symbol:         _ZN5aiter35fused_qk_rmsnorm_group_quant_kernelItDB8_Li512ELi16ELi2ELb1ELb0ELb1ELb0ELb0ELb0EEEvPT0_PvPT_S6_S6_PKS5_S8_S8_S8_S8_ffiiiiiiiiiiiii.kd
    .uniform_work_group_size: 1
    .uses_dynamic_stack: false
    .vgpr_count:     88
    .vgpr_spill_count: 0
    .wavefront_size: 64
  - .agpr_count:     0
    .args:
      - .actual_access:  write_only
        .address_space:  global
        .offset:         0
        .size:           8
        .value_kind:     global_buffer
      - .actual_access:  write_only
        .address_space:  global
        .offset:         8
        .size:           8
        .value_kind:     global_buffer
      - .actual_access:  read_only
        .address_space:  global
        .offset:         16
        .size:           8
        .value_kind:     global_buffer
      - .actual_access:  write_only
        .address_space:  global
        .offset:         24
        .size:           8
        .value_kind:     global_buffer
      - .actual_access:  write_only
        .address_space:  global
        .offset:         32
        .size:           8
        .value_kind:     global_buffer
      - .actual_access:  read_only
        .address_space:  global
        .offset:         40
        .size:           8
        .value_kind:     global_buffer
      - .actual_access:  read_only
        .address_space:  global
        .offset:         48
        .size:           8
        .value_kind:     global_buffer
      - .actual_access:  read_only
        .address_space:  global
        .offset:         56
        .size:           8
        .value_kind:     global_buffer
      - .actual_access:  read_only
        .address_space:  global
        .offset:         64
        .size:           8
        .value_kind:     global_buffer
      - .actual_access:  read_only
        .address_space:  global
        .offset:         72
        .size:           8
        .value_kind:     global_buffer
      - .offset:         80
        .size:           4
        .value_kind:     by_value
      - .offset:         84
        .size:           4
        .value_kind:     by_value
      - .offset:         88
        .size:           4
        .value_kind:     by_value
      - .offset:         92
        .size:           4
        .value_kind:     by_value
      - .offset:         96
        .size:           4
        .value_kind:     by_value
      - .offset:         100
        .size:           4
        .value_kind:     by_value
      - .offset:         104
        .size:           4
        .value_kind:     by_value
      - .offset:         108
        .size:           4
        .value_kind:     by_value
      - .offset:         112
        .size:           4
        .value_kind:     by_value
      - .offset:         116
        .size:           4
        .value_kind:     by_value
      - .offset:         120
        .size:           4
        .value_kind:     by_value
      - .offset:         124
        .size:           4
        .value_kind:     by_value
      - .offset:         128
        .size:           4
        .value_kind:     by_value
      - .offset:         132
        .size:           4
        .value_kind:     by_value
      - .offset:         136
        .size:           4
        .value_kind:     by_value
      - .offset:         144
        .size:           4
        .value_kind:     hidden_block_count_x
      - .offset:         148
        .size:           4
        .value_kind:     hidden_block_count_y
      - .offset:         152
        .size:           4
        .value_kind:     hidden_block_count_z
      - .offset:         156
        .size:           2
        .value_kind:     hidden_group_size_x
      - .offset:         158
        .size:           2
        .value_kind:     hidden_group_size_y
      - .offset:         160
        .size:           2
        .value_kind:     hidden_group_size_z
      - .offset:         162
        .size:           2
        .value_kind:     hidden_remainder_x
      - .offset:         164
        .size:           2
        .value_kind:     hidden_remainder_y
      - .offset:         166
        .size:           2
        .value_kind:     hidden_remainder_z
      - .offset:         184
        .size:           8
        .value_kind:     hidden_global_offset_x
      - .offset:         192
        .size:           8
        .value_kind:     hidden_global_offset_y
      - .offset:         200
        .size:           8
        .value_kind:     hidden_global_offset_z
      - .offset:         208
        .size:           2
        .value_kind:     hidden_grid_dims
    .group_segment_fixed_size: 64
    .kernarg_segment_align: 8
    .kernarg_segment_size: 400
    .language:       OpenCL C
    .language_version:
      - 2
      - 0
    .max_flat_workgroup_size: 1024
    .name:           _ZN5aiter35fused_qk_rmsnorm_group_quant_kernelIDF16_N4opus5fp4_tELi512ELi16ELi2ELb1ELb0ELb1ELb0ELb0ELb0EEEvPT0_PvPT_S7_S7_PKS6_S9_S9_S9_S9_ffiiiiiiiiiiiii
    .private_segment_fixed_size: 0
    .sgpr_count:     44
    .sgpr_spill_count: 0
    .symbol:         _ZN5aiter35fused_qk_rmsnorm_group_quant_kernelIDF16_N4opus5fp4_tELi512ELi16ELi2ELb1ELb0ELb1ELb0ELb0ELb0EEEvPT0_PvPT_S7_S7_PKS6_S9_S9_S9_S9_ffiiiiiiiiiiiii.kd
    .uniform_work_group_size: 1
    .uses_dynamic_stack: false
    .vgpr_count:     49
    .vgpr_spill_count: 0
    .wavefront_size: 64
  - .agpr_count:     0
    .args:
      - .actual_access:  write_only
        .address_space:  global
        .offset:         0
        .size:           8
        .value_kind:     global_buffer
      - .actual_access:  write_only
        .address_space:  global
        .offset:         8
        .size:           8
        .value_kind:     global_buffer
      - .actual_access:  read_only
        .address_space:  global
        .offset:         16
        .size:           8
        .value_kind:     global_buffer
      - .actual_access:  write_only
        .address_space:  global
        .offset:         24
        .size:           8
        .value_kind:     global_buffer
      - .actual_access:  write_only
        .address_space:  global
        .offset:         32
        .size:           8
        .value_kind:     global_buffer
      - .actual_access:  read_only
        .address_space:  global
        .offset:         40
        .size:           8
        .value_kind:     global_buffer
      - .actual_access:  read_only
        .address_space:  global
        .offset:         48
        .size:           8
        .value_kind:     global_buffer
      - .actual_access:  read_only
        .address_space:  global
        .offset:         56
        .size:           8
        .value_kind:     global_buffer
      - .actual_access:  read_only
        .address_space:  global
        .offset:         64
        .size:           8
        .value_kind:     global_buffer
      - .actual_access:  read_only
        .address_space:  global
        .offset:         72
        .size:           8
        .value_kind:     global_buffer
      - .offset:         80
        .size:           4
        .value_kind:     by_value
      - .offset:         84
        .size:           4
        .value_kind:     by_value
      - .offset:         88
        .size:           4
        .value_kind:     by_value
      - .offset:         92
        .size:           4
        .value_kind:     by_value
      - .offset:         96
        .size:           4
        .value_kind:     by_value
      - .offset:         100
        .size:           4
        .value_kind:     by_value
      - .offset:         104
        .size:           4
        .value_kind:     by_value
      - .offset:         108
        .size:           4
        .value_kind:     by_value
      - .offset:         112
        .size:           4
        .value_kind:     by_value
      - .offset:         116
        .size:           4
        .value_kind:     by_value
      - .offset:         120
        .size:           4
        .value_kind:     by_value
      - .offset:         124
        .size:           4
        .value_kind:     by_value
      - .offset:         128
        .size:           4
        .value_kind:     by_value
      - .offset:         132
        .size:           4
        .value_kind:     by_value
      - .offset:         136
        .size:           4
        .value_kind:     by_value
      - .offset:         144
        .size:           4
        .value_kind:     hidden_block_count_x
      - .offset:         148
        .size:           4
        .value_kind:     hidden_block_count_y
      - .offset:         152
        .size:           4
        .value_kind:     hidden_block_count_z
      - .offset:         156
        .size:           2
        .value_kind:     hidden_group_size_x
      - .offset:         158
        .size:           2
        .value_kind:     hidden_group_size_y
      - .offset:         160
        .size:           2
        .value_kind:     hidden_group_size_z
      - .offset:         162
        .size:           2
        .value_kind:     hidden_remainder_x
      - .offset:         164
        .size:           2
        .value_kind:     hidden_remainder_y
      - .offset:         166
        .size:           2
        .value_kind:     hidden_remainder_z
      - .offset:         184
        .size:           8
        .value_kind:     hidden_global_offset_x
      - .offset:         192
        .size:           8
        .value_kind:     hidden_global_offset_y
      - .offset:         200
        .size:           8
        .value_kind:     hidden_global_offset_z
      - .offset:         208
        .size:           2
        .value_kind:     hidden_grid_dims
    .group_segment_fixed_size: 64
    .kernarg_segment_align: 8
    .kernarg_segment_size: 400
    .language:       OpenCL C
    .language_version:
      - 2
      - 0
    .max_flat_workgroup_size: 1024
    .name:           _ZN5aiter35fused_qk_rmsnorm_group_quant_kernelItN4opus5fp4_tELi512ELi16ELi2ELb1ELb0ELb1ELb0ELb0ELb0EEEvPT0_PvPT_S7_S7_PKS6_S9_S9_S9_S9_ffiiiiiiiiiiiii
    .private_segment_fixed_size: 0
    .sgpr_count:     44
    .sgpr_spill_count: 0
    .symbol:         _ZN5aiter35fused_qk_rmsnorm_group_quant_kernelItN4opus5fp4_tELi512ELi16ELi2ELb1ELb0ELb1ELb0ELb0ELb0EEEvPT0_PvPT_S7_S7_PKS6_S9_S9_S9_S9_ffiiiiiiiiiiiii.kd
    .uniform_work_group_size: 1
    .uses_dynamic_stack: false
    .vgpr_count:     76
    .vgpr_spill_count: 0
    .wavefront_size: 64
  - .agpr_count:     0
    .args:
      - .actual_access:  write_only
        .address_space:  global
        .offset:         0
        .size:           8
        .value_kind:     global_buffer
      - .actual_access:  write_only
        .address_space:  global
        .offset:         8
        .size:           8
        .value_kind:     global_buffer
      - .actual_access:  read_only
        .address_space:  global
        .offset:         16
        .size:           8
        .value_kind:     global_buffer
      - .actual_access:  write_only
        .address_space:  global
        .offset:         24
        .size:           8
        .value_kind:     global_buffer
      - .actual_access:  write_only
        .address_space:  global
        .offset:         32
        .size:           8
        .value_kind:     global_buffer
      - .actual_access:  read_only
        .address_space:  global
        .offset:         40
        .size:           8
        .value_kind:     global_buffer
      - .actual_access:  read_only
        .address_space:  global
        .offset:         48
        .size:           8
        .value_kind:     global_buffer
      - .actual_access:  read_only
        .address_space:  global
        .offset:         56
        .size:           8
        .value_kind:     global_buffer
      - .actual_access:  read_only
        .address_space:  global
        .offset:         64
        .size:           8
        .value_kind:     global_buffer
      - .actual_access:  read_only
        .address_space:  global
        .offset:         72
        .size:           8
        .value_kind:     global_buffer
      - .offset:         80
        .size:           4
        .value_kind:     by_value
      - .offset:         84
        .size:           4
        .value_kind:     by_value
      - .offset:         88
        .size:           4
        .value_kind:     by_value
      - .offset:         92
        .size:           4
        .value_kind:     by_value
      - .offset:         96
        .size:           4
        .value_kind:     by_value
      - .offset:         100
        .size:           4
        .value_kind:     by_value
      - .offset:         104
        .size:           4
        .value_kind:     by_value
      - .offset:         108
        .size:           4
        .value_kind:     by_value
      - .offset:         112
        .size:           4
        .value_kind:     by_value
      - .offset:         116
        .size:           4
        .value_kind:     by_value
      - .offset:         120
        .size:           4
        .value_kind:     by_value
      - .offset:         124
        .size:           4
        .value_kind:     by_value
      - .offset:         128
        .size:           4
        .value_kind:     by_value
      - .offset:         132
        .size:           4
        .value_kind:     by_value
      - .offset:         136
        .size:           4
        .value_kind:     by_value
      - .offset:         144
        .size:           4
        .value_kind:     hidden_block_count_x
      - .offset:         148
        .size:           4
        .value_kind:     hidden_block_count_y
      - .offset:         152
        .size:           4
        .value_kind:     hidden_block_count_z
      - .offset:         156
        .size:           2
        .value_kind:     hidden_group_size_x
      - .offset:         158
        .size:           2
        .value_kind:     hidden_group_size_y
      - .offset:         160
        .size:           2
        .value_kind:     hidden_group_size_z
      - .offset:         162
        .size:           2
        .value_kind:     hidden_remainder_x
      - .offset:         164
        .size:           2
        .value_kind:     hidden_remainder_y
      - .offset:         166
        .size:           2
        .value_kind:     hidden_remainder_z
      - .offset:         184
        .size:           8
        .value_kind:     hidden_global_offset_x
      - .offset:         192
        .size:           8
        .value_kind:     hidden_global_offset_y
      - .offset:         200
        .size:           8
        .value_kind:     hidden_global_offset_z
      - .offset:         208
        .size:           2
        .value_kind:     hidden_grid_dims
    .group_segment_fixed_size: 64
    .kernarg_segment_align: 8
    .kernarg_segment_size: 400
    .language:       OpenCL C
    .language_version:
      - 2
      - 0
    .max_flat_workgroup_size: 1024
    .name:           _ZN5aiter35fused_qk_rmsnorm_group_quant_kernelIDF16_DB8_Li512ELi16ELi2ELb1ELb0ELb0ELb0ELb0ELb0EEEvPT0_PvPT_S6_S6_PKS5_S8_S8_S8_S8_ffiiiiiiiiiiiii
    .private_segment_fixed_size: 0
    .sgpr_count:     48
    .sgpr_spill_count: 0
    .symbol:         _ZN5aiter35fused_qk_rmsnorm_group_quant_kernelIDF16_DB8_Li512ELi16ELi2ELb1ELb0ELb0ELb0ELb0ELb0EEEvPT0_PvPT_S6_S6_PKS5_S8_S8_S8_S8_ffiiiiiiiiiiiii.kd
    .uniform_work_group_size: 1
    .uses_dynamic_stack: false
    .vgpr_count:     94
    .vgpr_spill_count: 0
    .wavefront_size: 64
  - .agpr_count:     0
    .args:
      - .actual_access:  write_only
        .address_space:  global
        .offset:         0
        .size:           8
        .value_kind:     global_buffer
      - .actual_access:  write_only
        .address_space:  global
        .offset:         8
        .size:           8
        .value_kind:     global_buffer
      - .actual_access:  read_only
        .address_space:  global
        .offset:         16
        .size:           8
        .value_kind:     global_buffer
      - .actual_access:  write_only
        .address_space:  global
        .offset:         24
        .size:           8
        .value_kind:     global_buffer
      - .actual_access:  write_only
        .address_space:  global
        .offset:         32
        .size:           8
        .value_kind:     global_buffer
      - .actual_access:  read_only
        .address_space:  global
        .offset:         40
        .size:           8
        .value_kind:     global_buffer
      - .actual_access:  read_only
        .address_space:  global
        .offset:         48
        .size:           8
        .value_kind:     global_buffer
      - .actual_access:  read_only
        .address_space:  global
        .offset:         56
        .size:           8
        .value_kind:     global_buffer
      - .actual_access:  read_only
        .address_space:  global
        .offset:         64
        .size:           8
        .value_kind:     global_buffer
      - .actual_access:  read_only
        .address_space:  global
        .offset:         72
        .size:           8
        .value_kind:     global_buffer
      - .offset:         80
        .size:           4
        .value_kind:     by_value
      - .offset:         84
        .size:           4
        .value_kind:     by_value
      - .offset:         88
        .size:           4
        .value_kind:     by_value
      - .offset:         92
        .size:           4
        .value_kind:     by_value
      - .offset:         96
        .size:           4
        .value_kind:     by_value
      - .offset:         100
        .size:           4
        .value_kind:     by_value
      - .offset:         104
        .size:           4
        .value_kind:     by_value
      - .offset:         108
        .size:           4
        .value_kind:     by_value
      - .offset:         112
        .size:           4
        .value_kind:     by_value
      - .offset:         116
        .size:           4
        .value_kind:     by_value
      - .offset:         120
        .size:           4
        .value_kind:     by_value
      - .offset:         124
        .size:           4
        .value_kind:     by_value
      - .offset:         128
        .size:           4
        .value_kind:     by_value
      - .offset:         132
        .size:           4
        .value_kind:     by_value
      - .offset:         136
        .size:           4
        .value_kind:     by_value
      - .offset:         144
        .size:           4
        .value_kind:     hidden_block_count_x
      - .offset:         148
        .size:           4
        .value_kind:     hidden_block_count_y
      - .offset:         152
        .size:           4
        .value_kind:     hidden_block_count_z
      - .offset:         156
        .size:           2
        .value_kind:     hidden_group_size_x
      - .offset:         158
        .size:           2
        .value_kind:     hidden_group_size_y
      - .offset:         160
        .size:           2
        .value_kind:     hidden_group_size_z
      - .offset:         162
        .size:           2
        .value_kind:     hidden_remainder_x
      - .offset:         164
        .size:           2
        .value_kind:     hidden_remainder_y
      - .offset:         166
        .size:           2
        .value_kind:     hidden_remainder_z
      - .offset:         184
        .size:           8
        .value_kind:     hidden_global_offset_x
      - .offset:         192
        .size:           8
        .value_kind:     hidden_global_offset_y
      - .offset:         200
        .size:           8
        .value_kind:     hidden_global_offset_z
      - .offset:         208
        .size:           2
        .value_kind:     hidden_grid_dims
    .group_segment_fixed_size: 64
    .kernarg_segment_align: 8
    .kernarg_segment_size: 400
    .language:       OpenCL C
    .language_version:
      - 2
      - 0
    .max_flat_workgroup_size: 1024
    .name:           _ZN5aiter35fused_qk_rmsnorm_group_quant_kernelItDB8_Li512ELi16ELi2ELb1ELb0ELb0ELb0ELb0ELb0EEEvPT0_PvPT_S6_S6_PKS5_S8_S8_S8_S8_ffiiiiiiiiiiiii
    .private_segment_fixed_size: 0
    .sgpr_count:     48
    .sgpr_spill_count: 0
    .symbol:         _ZN5aiter35fused_qk_rmsnorm_group_quant_kernelItDB8_Li512ELi16ELi2ELb1ELb0ELb0ELb0ELb0ELb0EEEvPT0_PvPT_S6_S6_PKS5_S8_S8_S8_S8_ffiiiiiiiiiiiii.kd
    .uniform_work_group_size: 1
    .uses_dynamic_stack: false
    .vgpr_count:     96
    .vgpr_spill_count: 0
    .wavefront_size: 64
  - .agpr_count:     0
    .args:
      - .actual_access:  write_only
        .address_space:  global
        .offset:         0
        .size:           8
        .value_kind:     global_buffer
      - .actual_access:  write_only
        .address_space:  global
        .offset:         8
        .size:           8
        .value_kind:     global_buffer
      - .actual_access:  read_only
        .address_space:  global
        .offset:         16
        .size:           8
        .value_kind:     global_buffer
      - .actual_access:  write_only
        .address_space:  global
        .offset:         24
        .size:           8
        .value_kind:     global_buffer
      - .actual_access:  write_only
        .address_space:  global
        .offset:         32
        .size:           8
        .value_kind:     global_buffer
      - .actual_access:  read_only
        .address_space:  global
        .offset:         40
        .size:           8
        .value_kind:     global_buffer
      - .actual_access:  read_only
        .address_space:  global
        .offset:         48
        .size:           8
        .value_kind:     global_buffer
      - .actual_access:  read_only
        .address_space:  global
        .offset:         56
        .size:           8
        .value_kind:     global_buffer
      - .actual_access:  read_only
        .address_space:  global
        .offset:         64
        .size:           8
        .value_kind:     global_buffer
      - .actual_access:  read_only
        .address_space:  global
        .offset:         72
        .size:           8
        .value_kind:     global_buffer
      - .offset:         80
        .size:           4
        .value_kind:     by_value
      - .offset:         84
        .size:           4
        .value_kind:     by_value
      - .offset:         88
        .size:           4
        .value_kind:     by_value
      - .offset:         92
        .size:           4
        .value_kind:     by_value
      - .offset:         96
        .size:           4
        .value_kind:     by_value
      - .offset:         100
        .size:           4
        .value_kind:     by_value
      - .offset:         104
        .size:           4
        .value_kind:     by_value
      - .offset:         108
        .size:           4
        .value_kind:     by_value
      - .offset:         112
        .size:           4
        .value_kind:     by_value
      - .offset:         116
        .size:           4
        .value_kind:     by_value
      - .offset:         120
        .size:           4
        .value_kind:     by_value
      - .offset:         124
        .size:           4
        .value_kind:     by_value
      - .offset:         128
        .size:           4
        .value_kind:     by_value
      - .offset:         132
        .size:           4
        .value_kind:     by_value
      - .offset:         136
        .size:           4
        .value_kind:     by_value
      - .offset:         144
        .size:           4
        .value_kind:     hidden_block_count_x
      - .offset:         148
        .size:           4
        .value_kind:     hidden_block_count_y
      - .offset:         152
        .size:           4
        .value_kind:     hidden_block_count_z
      - .offset:         156
        .size:           2
        .value_kind:     hidden_group_size_x
      - .offset:         158
        .size:           2
        .value_kind:     hidden_group_size_y
      - .offset:         160
        .size:           2
        .value_kind:     hidden_group_size_z
      - .offset:         162
        .size:           2
        .value_kind:     hidden_remainder_x
      - .offset:         164
        .size:           2
        .value_kind:     hidden_remainder_y
      - .offset:         166
        .size:           2
        .value_kind:     hidden_remainder_z
      - .offset:         184
        .size:           8
        .value_kind:     hidden_global_offset_x
      - .offset:         192
        .size:           8
        .value_kind:     hidden_global_offset_y
      - .offset:         200
        .size:           8
        .value_kind:     hidden_global_offset_z
      - .offset:         208
        .size:           2
        .value_kind:     hidden_grid_dims
    .group_segment_fixed_size: 64
    .kernarg_segment_align: 8
    .kernarg_segment_size: 400
    .language:       OpenCL C
    .language_version:
      - 2
      - 0
    .max_flat_workgroup_size: 1024
    .name:           _ZN5aiter35fused_qk_rmsnorm_group_quant_kernelIDF16_N4opus5fp4_tELi512ELi16ELi2ELb1ELb0ELb0ELb0ELb0ELb0EEEvPT0_PvPT_S7_S7_PKS6_S9_S9_S9_S9_ffiiiiiiiiiiiii
    .private_segment_fixed_size: 0
    .sgpr_count:     44
    .sgpr_spill_count: 0
    .symbol:         _ZN5aiter35fused_qk_rmsnorm_group_quant_kernelIDF16_N4opus5fp4_tELi512ELi16ELi2ELb1ELb0ELb0ELb0ELb0ELb0EEEvPT0_PvPT_S7_S7_PKS6_S9_S9_S9_S9_ffiiiiiiiiiiiii.kd
    .uniform_work_group_size: 1
    .uses_dynamic_stack: false
    .vgpr_count:     47
    .vgpr_spill_count: 0
    .wavefront_size: 64
  - .agpr_count:     0
    .args:
      - .actual_access:  write_only
        .address_space:  global
        .offset:         0
        .size:           8
        .value_kind:     global_buffer
      - .actual_access:  write_only
        .address_space:  global
        .offset:         8
        .size:           8
        .value_kind:     global_buffer
      - .actual_access:  read_only
        .address_space:  global
        .offset:         16
        .size:           8
        .value_kind:     global_buffer
      - .actual_access:  write_only
        .address_space:  global
        .offset:         24
        .size:           8
        .value_kind:     global_buffer
      - .actual_access:  write_only
        .address_space:  global
        .offset:         32
        .size:           8
        .value_kind:     global_buffer
      - .actual_access:  read_only
        .address_space:  global
        .offset:         40
        .size:           8
        .value_kind:     global_buffer
      - .actual_access:  read_only
        .address_space:  global
        .offset:         48
        .size:           8
        .value_kind:     global_buffer
      - .actual_access:  read_only
        .address_space:  global
        .offset:         56
        .size:           8
        .value_kind:     global_buffer
      - .actual_access:  read_only
        .address_space:  global
        .offset:         64
        .size:           8
        .value_kind:     global_buffer
      - .actual_access:  read_only
        .address_space:  global
        .offset:         72
        .size:           8
        .value_kind:     global_buffer
      - .offset:         80
        .size:           4
        .value_kind:     by_value
      - .offset:         84
        .size:           4
        .value_kind:     by_value
      - .offset:         88
        .size:           4
        .value_kind:     by_value
      - .offset:         92
        .size:           4
        .value_kind:     by_value
      - .offset:         96
        .size:           4
        .value_kind:     by_value
      - .offset:         100
        .size:           4
        .value_kind:     by_value
      - .offset:         104
        .size:           4
        .value_kind:     by_value
      - .offset:         108
        .size:           4
        .value_kind:     by_value
      - .offset:         112
        .size:           4
        .value_kind:     by_value
      - .offset:         116
        .size:           4
        .value_kind:     by_value
      - .offset:         120
        .size:           4
        .value_kind:     by_value
      - .offset:         124
        .size:           4
        .value_kind:     by_value
      - .offset:         128
        .size:           4
        .value_kind:     by_value
      - .offset:         132
        .size:           4
        .value_kind:     by_value
      - .offset:         136
        .size:           4
        .value_kind:     by_value
      - .offset:         144
        .size:           4
        .value_kind:     hidden_block_count_x
      - .offset:         148
        .size:           4
        .value_kind:     hidden_block_count_y
      - .offset:         152
        .size:           4
        .value_kind:     hidden_block_count_z
      - .offset:         156
        .size:           2
        .value_kind:     hidden_group_size_x
      - .offset:         158
        .size:           2
        .value_kind:     hidden_group_size_y
      - .offset:         160
        .size:           2
        .value_kind:     hidden_group_size_z
      - .offset:         162
        .size:           2
        .value_kind:     hidden_remainder_x
      - .offset:         164
        .size:           2
        .value_kind:     hidden_remainder_y
      - .offset:         166
        .size:           2
        .value_kind:     hidden_remainder_z
      - .offset:         184
        .size:           8
        .value_kind:     hidden_global_offset_x
      - .offset:         192
        .size:           8
        .value_kind:     hidden_global_offset_y
      - .offset:         200
        .size:           8
        .value_kind:     hidden_global_offset_z
      - .offset:         208
        .size:           2
        .value_kind:     hidden_grid_dims
    .group_segment_fixed_size: 64
    .kernarg_segment_align: 8
    .kernarg_segment_size: 400
    .language:       OpenCL C
    .language_version:
      - 2
      - 0
    .max_flat_workgroup_size: 1024
    .name:           _ZN5aiter35fused_qk_rmsnorm_group_quant_kernelItN4opus5fp4_tELi512ELi16ELi2ELb1ELb0ELb0ELb0ELb0ELb0EEEvPT0_PvPT_S7_S7_PKS6_S9_S9_S9_S9_ffiiiiiiiiiiiii
    .private_segment_fixed_size: 0
    .sgpr_count:     44
    .sgpr_spill_count: 0
    .symbol:         _ZN5aiter35fused_qk_rmsnorm_group_quant_kernelItN4opus5fp4_tELi512ELi16ELi2ELb1ELb0ELb0ELb0ELb0ELb0EEEvPT0_PvPT_S7_S7_PKS6_S9_S9_S9_S9_ffiiiiiiiiiiiii.kd
    .uniform_work_group_size: 1
    .uses_dynamic_stack: false
    .vgpr_count:     94
    .vgpr_spill_count: 0
    .wavefront_size: 64
  - .agpr_count:     0
    .args:
      - .actual_access:  write_only
        .address_space:  global
        .offset:         0
        .size:           8
        .value_kind:     global_buffer
      - .actual_access:  write_only
        .address_space:  global
        .offset:         8
        .size:           8
        .value_kind:     global_buffer
      - .actual_access:  write_only
        .address_space:  global
        .offset:         16
        .size:           8
        .value_kind:     global_buffer
      - .actual_access:  write_only
        .address_space:  global
        .offset:         24
        .size:           8
        .value_kind:     global_buffer
      - .actual_access:  read_only
        .address_space:  global
        .offset:         32
        .size:           8
        .value_kind:     global_buffer
      - .actual_access:  read_only
        .address_space:  global
        .offset:         40
        .size:           8
        .value_kind:     global_buffer
      - .actual_access:  read_only
        .address_space:  global
        .offset:         48
        .size:           8
        .value_kind:     global_buffer
      - .actual_access:  read_only
        .address_space:  global
        .offset:         56
        .size:           8
        .value_kind:     global_buffer
      - .actual_access:  read_only
        .address_space:  global
        .offset:         64
        .size:           8
        .value_kind:     global_buffer
      - .actual_access:  read_only
        .address_space:  global
        .offset:         72
        .size:           8
        .value_kind:     global_buffer
      - .offset:         80
        .size:           4
        .value_kind:     by_value
      - .offset:         84
        .size:           4
        .value_kind:     by_value
      - .offset:         88
        .size:           4
        .value_kind:     by_value
      - .offset:         92
        .size:           4
        .value_kind:     by_value
      - .offset:         96
        .size:           4
        .value_kind:     by_value
      - .offset:         100
        .size:           4
        .value_kind:     by_value
      - .offset:         104
        .size:           4
        .value_kind:     by_value
      - .offset:         108
        .size:           4
        .value_kind:     by_value
      - .offset:         112
        .size:           4
        .value_kind:     by_value
      - .offset:         116
        .size:           4
        .value_kind:     by_value
      - .offset:         120
        .size:           4
        .value_kind:     by_value
      - .offset:         124
        .size:           4
        .value_kind:     by_value
      - .offset:         128
        .size:           4
        .value_kind:     by_value
      - .offset:         132
        .size:           4
        .value_kind:     by_value
      - .offset:         136
        .size:           4
        .value_kind:     by_value
      - .offset:         144
        .size:           4
        .value_kind:     hidden_block_count_x
      - .offset:         148
        .size:           4
        .value_kind:     hidden_block_count_y
      - .offset:         152
        .size:           4
        .value_kind:     hidden_block_count_z
      - .offset:         156
        .size:           2
        .value_kind:     hidden_group_size_x
      - .offset:         158
        .size:           2
        .value_kind:     hidden_group_size_y
      - .offset:         160
        .size:           2
        .value_kind:     hidden_group_size_z
      - .offset:         162
        .size:           2
        .value_kind:     hidden_remainder_x
      - .offset:         164
        .size:           2
        .value_kind:     hidden_remainder_y
      - .offset:         166
        .size:           2
        .value_kind:     hidden_remainder_z
      - .offset:         184
        .size:           8
        .value_kind:     hidden_global_offset_x
      - .offset:         192
        .size:           8
        .value_kind:     hidden_global_offset_y
      - .offset:         200
        .size:           8
        .value_kind:     hidden_global_offset_z
      - .offset:         208
        .size:           2
        .value_kind:     hidden_grid_dims
    .group_segment_fixed_size: 64
    .kernarg_segment_align: 8
    .kernarg_segment_size: 400
    .language:       OpenCL C
    .language_version:
      - 2
      - 0
    .max_flat_workgroup_size: 1024
    .name:           _ZN5aiter35fused_qk_rmsnorm_group_quant_kernelIDF16_DB8_Li512ELi16ELi2ELb0ELb1ELb1ELb0ELb0ELb0EEEvPT0_PvPT_S6_S6_PKS5_S8_S8_S8_S8_ffiiiiiiiiiiiii
    .private_segment_fixed_size: 0
    .sgpr_count:     40
    .sgpr_spill_count: 0
    .symbol:         _ZN5aiter35fused_qk_rmsnorm_group_quant_kernelIDF16_DB8_Li512ELi16ELi2ELb0ELb1ELb1ELb0ELb0ELb0EEEvPT0_PvPT_S6_S6_PKS5_S8_S8_S8_S8_ffiiiiiiiiiiiii.kd
    .uniform_work_group_size: 1
    .uses_dynamic_stack: false
    .vgpr_count:     35
    .vgpr_spill_count: 0
    .wavefront_size: 64
  - .agpr_count:     0
    .args:
      - .actual_access:  write_only
        .address_space:  global
        .offset:         0
        .size:           8
        .value_kind:     global_buffer
      - .actual_access:  write_only
        .address_space:  global
        .offset:         8
        .size:           8
        .value_kind:     global_buffer
      - .actual_access:  write_only
        .address_space:  global
        .offset:         16
        .size:           8
        .value_kind:     global_buffer
      - .actual_access:  write_only
        .address_space:  global
        .offset:         24
        .size:           8
        .value_kind:     global_buffer
      - .actual_access:  read_only
        .address_space:  global
        .offset:         32
        .size:           8
        .value_kind:     global_buffer
      - .actual_access:  read_only
        .address_space:  global
        .offset:         40
        .size:           8
        .value_kind:     global_buffer
      - .actual_access:  read_only
        .address_space:  global
        .offset:         48
        .size:           8
        .value_kind:     global_buffer
      - .actual_access:  read_only
        .address_space:  global
        .offset:         56
        .size:           8
        .value_kind:     global_buffer
      - .actual_access:  read_only
        .address_space:  global
        .offset:         64
        .size:           8
        .value_kind:     global_buffer
      - .actual_access:  read_only
        .address_space:  global
        .offset:         72
        .size:           8
        .value_kind:     global_buffer
      - .offset:         80
        .size:           4
        .value_kind:     by_value
      - .offset:         84
        .size:           4
        .value_kind:     by_value
      - .offset:         88
        .size:           4
        .value_kind:     by_value
      - .offset:         92
        .size:           4
        .value_kind:     by_value
      - .offset:         96
        .size:           4
        .value_kind:     by_value
      - .offset:         100
        .size:           4
        .value_kind:     by_value
      - .offset:         104
        .size:           4
        .value_kind:     by_value
      - .offset:         108
        .size:           4
        .value_kind:     by_value
      - .offset:         112
        .size:           4
        .value_kind:     by_value
      - .offset:         116
        .size:           4
        .value_kind:     by_value
      - .offset:         120
        .size:           4
        .value_kind:     by_value
      - .offset:         124
        .size:           4
        .value_kind:     by_value
      - .offset:         128
        .size:           4
        .value_kind:     by_value
      - .offset:         132
        .size:           4
        .value_kind:     by_value
      - .offset:         136
        .size:           4
        .value_kind:     by_value
      - .offset:         144
        .size:           4
        .value_kind:     hidden_block_count_x
      - .offset:         148
        .size:           4
        .value_kind:     hidden_block_count_y
      - .offset:         152
        .size:           4
        .value_kind:     hidden_block_count_z
      - .offset:         156
        .size:           2
        .value_kind:     hidden_group_size_x
      - .offset:         158
        .size:           2
        .value_kind:     hidden_group_size_y
      - .offset:         160
        .size:           2
        .value_kind:     hidden_group_size_z
      - .offset:         162
        .size:           2
        .value_kind:     hidden_remainder_x
      - .offset:         164
        .size:           2
        .value_kind:     hidden_remainder_y
      - .offset:         166
        .size:           2
        .value_kind:     hidden_remainder_z
      - .offset:         184
        .size:           8
        .value_kind:     hidden_global_offset_x
      - .offset:         192
        .size:           8
        .value_kind:     hidden_global_offset_y
      - .offset:         200
        .size:           8
        .value_kind:     hidden_global_offset_z
      - .offset:         208
        .size:           2
        .value_kind:     hidden_grid_dims
    .group_segment_fixed_size: 64
    .kernarg_segment_align: 8
    .kernarg_segment_size: 400
    .language:       OpenCL C
    .language_version:
      - 2
      - 0
    .max_flat_workgroup_size: 1024
    .name:           _ZN5aiter35fused_qk_rmsnorm_group_quant_kernelItDB8_Li512ELi16ELi2ELb0ELb1ELb1ELb0ELb0ELb0EEEvPT0_PvPT_S6_S6_PKS5_S8_S8_S8_S8_ffiiiiiiiiiiiii
    .private_segment_fixed_size: 0
    .sgpr_count:     40
    .sgpr_spill_count: 0
    .symbol:         _ZN5aiter35fused_qk_rmsnorm_group_quant_kernelItDB8_Li512ELi16ELi2ELb0ELb1ELb1ELb0ELb0ELb0EEEvPT0_PvPT_S6_S6_PKS5_S8_S8_S8_S8_ffiiiiiiiiiiiii.kd
    .uniform_work_group_size: 1
    .uses_dynamic_stack: false
    .vgpr_count:     35
    .vgpr_spill_count: 0
    .wavefront_size: 64
  - .agpr_count:     0
    .args:
      - .actual_access:  write_only
        .address_space:  global
        .offset:         0
        .size:           8
        .value_kind:     global_buffer
      - .actual_access:  write_only
        .address_space:  global
        .offset:         8
        .size:           8
        .value_kind:     global_buffer
      - .actual_access:  write_only
        .address_space:  global
        .offset:         16
        .size:           8
        .value_kind:     global_buffer
      - .actual_access:  write_only
        .address_space:  global
        .offset:         24
        .size:           8
        .value_kind:     global_buffer
      - .actual_access:  read_only
        .address_space:  global
        .offset:         32
        .size:           8
        .value_kind:     global_buffer
      - .actual_access:  read_only
        .address_space:  global
        .offset:         40
        .size:           8
        .value_kind:     global_buffer
      - .actual_access:  read_only
        .address_space:  global
        .offset:         48
        .size:           8
        .value_kind:     global_buffer
      - .actual_access:  read_only
        .address_space:  global
        .offset:         56
        .size:           8
        .value_kind:     global_buffer
      - .actual_access:  read_only
        .address_space:  global
        .offset:         64
        .size:           8
        .value_kind:     global_buffer
      - .actual_access:  read_only
        .address_space:  global
        .offset:         72
        .size:           8
        .value_kind:     global_buffer
      - .offset:         80
        .size:           4
        .value_kind:     by_value
      - .offset:         84
        .size:           4
        .value_kind:     by_value
      - .offset:         88
        .size:           4
        .value_kind:     by_value
      - .offset:         92
        .size:           4
        .value_kind:     by_value
      - .offset:         96
        .size:           4
        .value_kind:     by_value
      - .offset:         100
        .size:           4
        .value_kind:     by_value
      - .offset:         104
        .size:           4
        .value_kind:     by_value
      - .offset:         108
        .size:           4
        .value_kind:     by_value
      - .offset:         112
        .size:           4
        .value_kind:     by_value
      - .offset:         116
        .size:           4
        .value_kind:     by_value
      - .offset:         120
        .size:           4
        .value_kind:     by_value
      - .offset:         124
        .size:           4
        .value_kind:     by_value
      - .offset:         128
        .size:           4
        .value_kind:     by_value
      - .offset:         132
        .size:           4
        .value_kind:     by_value
      - .offset:         136
        .size:           4
        .value_kind:     by_value
      - .offset:         144
        .size:           4
        .value_kind:     hidden_block_count_x
      - .offset:         148
        .size:           4
        .value_kind:     hidden_block_count_y
      - .offset:         152
        .size:           4
        .value_kind:     hidden_block_count_z
      - .offset:         156
        .size:           2
        .value_kind:     hidden_group_size_x
      - .offset:         158
        .size:           2
        .value_kind:     hidden_group_size_y
      - .offset:         160
        .size:           2
        .value_kind:     hidden_group_size_z
      - .offset:         162
        .size:           2
        .value_kind:     hidden_remainder_x
      - .offset:         164
        .size:           2
        .value_kind:     hidden_remainder_y
      - .offset:         166
        .size:           2
        .value_kind:     hidden_remainder_z
      - .offset:         184
        .size:           8
        .value_kind:     hidden_global_offset_x
      - .offset:         192
        .size:           8
        .value_kind:     hidden_global_offset_y
      - .offset:         200
        .size:           8
        .value_kind:     hidden_global_offset_z
      - .offset:         208
        .size:           2
        .value_kind:     hidden_grid_dims
    .group_segment_fixed_size: 64
    .kernarg_segment_align: 8
    .kernarg_segment_size: 400
    .language:       OpenCL C
    .language_version:
      - 2
      - 0
    .max_flat_workgroup_size: 1024
    .name:           _ZN5aiter35fused_qk_rmsnorm_group_quant_kernelIDF16_N4opus5fp4_tELi512ELi16ELi2ELb0ELb1ELb1ELb0ELb0ELb0EEEvPT0_PvPT_S7_S7_PKS6_S9_S9_S9_S9_ffiiiiiiiiiiiii
    .private_segment_fixed_size: 0
    .sgpr_count:     40
    .sgpr_spill_count: 0
    .symbol:         _ZN5aiter35fused_qk_rmsnorm_group_quant_kernelIDF16_N4opus5fp4_tELi512ELi16ELi2ELb0ELb1ELb1ELb0ELb0ELb0EEEvPT0_PvPT_S7_S7_PKS6_S9_S9_S9_S9_ffiiiiiiiiiiiii.kd
    .uniform_work_group_size: 1
    .uses_dynamic_stack: false
    .vgpr_count:     35
    .vgpr_spill_count: 0
    .wavefront_size: 64
  - .agpr_count:     0
    .args:
      - .actual_access:  write_only
        .address_space:  global
        .offset:         0
        .size:           8
        .value_kind:     global_buffer
      - .actual_access:  write_only
        .address_space:  global
        .offset:         8
        .size:           8
        .value_kind:     global_buffer
      - .actual_access:  write_only
        .address_space:  global
        .offset:         16
        .size:           8
        .value_kind:     global_buffer
      - .actual_access:  write_only
        .address_space:  global
        .offset:         24
        .size:           8
        .value_kind:     global_buffer
      - .actual_access:  read_only
        .address_space:  global
        .offset:         32
        .size:           8
        .value_kind:     global_buffer
      - .actual_access:  read_only
        .address_space:  global
        .offset:         40
        .size:           8
        .value_kind:     global_buffer
      - .actual_access:  read_only
        .address_space:  global
        .offset:         48
        .size:           8
        .value_kind:     global_buffer
      - .actual_access:  read_only
        .address_space:  global
        .offset:         56
        .size:           8
        .value_kind:     global_buffer
      - .actual_access:  read_only
        .address_space:  global
        .offset:         64
        .size:           8
        .value_kind:     global_buffer
      - .actual_access:  read_only
        .address_space:  global
        .offset:         72
        .size:           8
        .value_kind:     global_buffer
      - .offset:         80
        .size:           4
        .value_kind:     by_value
      - .offset:         84
        .size:           4
        .value_kind:     by_value
      - .offset:         88
        .size:           4
        .value_kind:     by_value
      - .offset:         92
        .size:           4
        .value_kind:     by_value
      - .offset:         96
        .size:           4
        .value_kind:     by_value
      - .offset:         100
        .size:           4
        .value_kind:     by_value
      - .offset:         104
        .size:           4
        .value_kind:     by_value
      - .offset:         108
        .size:           4
        .value_kind:     by_value
      - .offset:         112
        .size:           4
        .value_kind:     by_value
      - .offset:         116
        .size:           4
        .value_kind:     by_value
      - .offset:         120
        .size:           4
        .value_kind:     by_value
      - .offset:         124
        .size:           4
        .value_kind:     by_value
      - .offset:         128
        .size:           4
        .value_kind:     by_value
      - .offset:         132
        .size:           4
        .value_kind:     by_value
      - .offset:         136
        .size:           4
        .value_kind:     by_value
      - .offset:         144
        .size:           4
        .value_kind:     hidden_block_count_x
      - .offset:         148
        .size:           4
        .value_kind:     hidden_block_count_y
      - .offset:         152
        .size:           4
        .value_kind:     hidden_block_count_z
      - .offset:         156
        .size:           2
        .value_kind:     hidden_group_size_x
      - .offset:         158
        .size:           2
        .value_kind:     hidden_group_size_y
      - .offset:         160
        .size:           2
        .value_kind:     hidden_group_size_z
      - .offset:         162
        .size:           2
        .value_kind:     hidden_remainder_x
      - .offset:         164
        .size:           2
        .value_kind:     hidden_remainder_y
      - .offset:         166
        .size:           2
        .value_kind:     hidden_remainder_z
      - .offset:         184
        .size:           8
        .value_kind:     hidden_global_offset_x
      - .offset:         192
        .size:           8
        .value_kind:     hidden_global_offset_y
      - .offset:         200
        .size:           8
        .value_kind:     hidden_global_offset_z
      - .offset:         208
        .size:           2
        .value_kind:     hidden_grid_dims
    .group_segment_fixed_size: 64
    .kernarg_segment_align: 8
    .kernarg_segment_size: 400
    .language:       OpenCL C
    .language_version:
      - 2
      - 0
    .max_flat_workgroup_size: 1024
    .name:           _ZN5aiter35fused_qk_rmsnorm_group_quant_kernelItN4opus5fp4_tELi512ELi16ELi2ELb0ELb1ELb1ELb0ELb0ELb0EEEvPT0_PvPT_S7_S7_PKS6_S9_S9_S9_S9_ffiiiiiiiiiiiii
    .private_segment_fixed_size: 0
    .sgpr_count:     40
    .sgpr_spill_count: 0
    .symbol:         _ZN5aiter35fused_qk_rmsnorm_group_quant_kernelItN4opus5fp4_tELi512ELi16ELi2ELb0ELb1ELb1ELb0ELb0ELb0EEEvPT0_PvPT_S7_S7_PKS6_S9_S9_S9_S9_ffiiiiiiiiiiiii.kd
    .uniform_work_group_size: 1
    .uses_dynamic_stack: false
    .vgpr_count:     35
    .vgpr_spill_count: 0
    .wavefront_size: 64
  - .agpr_count:     0
    .args:
      - .actual_access:  write_only
        .address_space:  global
        .offset:         0
        .size:           8
        .value_kind:     global_buffer
      - .actual_access:  write_only
        .address_space:  global
        .offset:         8
        .size:           8
        .value_kind:     global_buffer
      - .actual_access:  write_only
        .address_space:  global
        .offset:         16
        .size:           8
        .value_kind:     global_buffer
      - .actual_access:  write_only
        .address_space:  global
        .offset:         24
        .size:           8
        .value_kind:     global_buffer
      - .actual_access:  read_only
        .address_space:  global
        .offset:         32
        .size:           8
        .value_kind:     global_buffer
      - .actual_access:  read_only
        .address_space:  global
        .offset:         40
        .size:           8
        .value_kind:     global_buffer
      - .actual_access:  read_only
        .address_space:  global
        .offset:         48
        .size:           8
        .value_kind:     global_buffer
      - .actual_access:  read_only
        .address_space:  global
        .offset:         56
        .size:           8
        .value_kind:     global_buffer
      - .actual_access:  read_only
        .address_space:  global
        .offset:         64
        .size:           8
        .value_kind:     global_buffer
      - .actual_access:  read_only
        .address_space:  global
        .offset:         72
        .size:           8
        .value_kind:     global_buffer
      - .offset:         80
        .size:           4
        .value_kind:     by_value
      - .offset:         84
        .size:           4
        .value_kind:     by_value
      - .offset:         88
        .size:           4
        .value_kind:     by_value
      - .offset:         92
        .size:           4
        .value_kind:     by_value
      - .offset:         96
        .size:           4
        .value_kind:     by_value
      - .offset:         100
        .size:           4
        .value_kind:     by_value
      - .offset:         104
        .size:           4
        .value_kind:     by_value
      - .offset:         108
        .size:           4
        .value_kind:     by_value
      - .offset:         112
        .size:           4
        .value_kind:     by_value
      - .offset:         116
        .size:           4
        .value_kind:     by_value
      - .offset:         120
        .size:           4
        .value_kind:     by_value
      - .offset:         124
        .size:           4
        .value_kind:     by_value
      - .offset:         128
        .size:           4
        .value_kind:     by_value
      - .offset:         132
        .size:           4
        .value_kind:     by_value
      - .offset:         136
        .size:           4
        .value_kind:     by_value
      - .offset:         144
        .size:           4
        .value_kind:     hidden_block_count_x
      - .offset:         148
        .size:           4
        .value_kind:     hidden_block_count_y
      - .offset:         152
        .size:           4
        .value_kind:     hidden_block_count_z
      - .offset:         156
        .size:           2
        .value_kind:     hidden_group_size_x
      - .offset:         158
        .size:           2
        .value_kind:     hidden_group_size_y
      - .offset:         160
        .size:           2
        .value_kind:     hidden_group_size_z
      - .offset:         162
        .size:           2
        .value_kind:     hidden_remainder_x
      - .offset:         164
        .size:           2
        .value_kind:     hidden_remainder_y
      - .offset:         166
        .size:           2
        .value_kind:     hidden_remainder_z
      - .offset:         184
        .size:           8
        .value_kind:     hidden_global_offset_x
      - .offset:         192
        .size:           8
        .value_kind:     hidden_global_offset_y
      - .offset:         200
        .size:           8
        .value_kind:     hidden_global_offset_z
      - .offset:         208
        .size:           2
        .value_kind:     hidden_grid_dims
    .group_segment_fixed_size: 64
    .kernarg_segment_align: 8
    .kernarg_segment_size: 400
    .language:       OpenCL C
    .language_version:
      - 2
      - 0
    .max_flat_workgroup_size: 1024
    .name:           _ZN5aiter35fused_qk_rmsnorm_group_quant_kernelIDF16_DB8_Li512ELi16ELi2ELb0ELb1ELb0ELb0ELb0ELb0EEEvPT0_PvPT_S6_S6_PKS5_S8_S8_S8_S8_ffiiiiiiiiiiiii
    .private_segment_fixed_size: 0
    .sgpr_count:     40
    .sgpr_spill_count: 0
    .symbol:         _ZN5aiter35fused_qk_rmsnorm_group_quant_kernelIDF16_DB8_Li512ELi16ELi2ELb0ELb1ELb0ELb0ELb0ELb0EEEvPT0_PvPT_S6_S6_PKS5_S8_S8_S8_S8_ffiiiiiiiiiiiii.kd
    .uniform_work_group_size: 1
    .uses_dynamic_stack: false
    .vgpr_count:     38
    .vgpr_spill_count: 0
    .wavefront_size: 64
  - .agpr_count:     0
    .args:
      - .actual_access:  write_only
        .address_space:  global
        .offset:         0
        .size:           8
        .value_kind:     global_buffer
      - .actual_access:  write_only
        .address_space:  global
        .offset:         8
        .size:           8
        .value_kind:     global_buffer
      - .actual_access:  write_only
        .address_space:  global
        .offset:         16
        .size:           8
        .value_kind:     global_buffer
      - .actual_access:  write_only
        .address_space:  global
        .offset:         24
        .size:           8
        .value_kind:     global_buffer
      - .actual_access:  read_only
        .address_space:  global
        .offset:         32
        .size:           8
        .value_kind:     global_buffer
      - .actual_access:  read_only
        .address_space:  global
        .offset:         40
        .size:           8
        .value_kind:     global_buffer
      - .actual_access:  read_only
        .address_space:  global
        .offset:         48
        .size:           8
        .value_kind:     global_buffer
      - .actual_access:  read_only
        .address_space:  global
        .offset:         56
        .size:           8
        .value_kind:     global_buffer
      - .actual_access:  read_only
        .address_space:  global
        .offset:         64
        .size:           8
        .value_kind:     global_buffer
      - .actual_access:  read_only
        .address_space:  global
        .offset:         72
        .size:           8
        .value_kind:     global_buffer
      - .offset:         80
        .size:           4
        .value_kind:     by_value
      - .offset:         84
        .size:           4
        .value_kind:     by_value
      - .offset:         88
        .size:           4
        .value_kind:     by_value
      - .offset:         92
        .size:           4
        .value_kind:     by_value
      - .offset:         96
        .size:           4
        .value_kind:     by_value
      - .offset:         100
        .size:           4
        .value_kind:     by_value
      - .offset:         104
        .size:           4
        .value_kind:     by_value
      - .offset:         108
        .size:           4
        .value_kind:     by_value
      - .offset:         112
        .size:           4
        .value_kind:     by_value
      - .offset:         116
        .size:           4
        .value_kind:     by_value
      - .offset:         120
        .size:           4
        .value_kind:     by_value
      - .offset:         124
        .size:           4
        .value_kind:     by_value
      - .offset:         128
        .size:           4
        .value_kind:     by_value
      - .offset:         132
        .size:           4
        .value_kind:     by_value
      - .offset:         136
        .size:           4
        .value_kind:     by_value
      - .offset:         144
        .size:           4
        .value_kind:     hidden_block_count_x
      - .offset:         148
        .size:           4
        .value_kind:     hidden_block_count_y
      - .offset:         152
        .size:           4
        .value_kind:     hidden_block_count_z
      - .offset:         156
        .size:           2
        .value_kind:     hidden_group_size_x
      - .offset:         158
        .size:           2
        .value_kind:     hidden_group_size_y
      - .offset:         160
        .size:           2
        .value_kind:     hidden_group_size_z
      - .offset:         162
        .size:           2
        .value_kind:     hidden_remainder_x
      - .offset:         164
        .size:           2
        .value_kind:     hidden_remainder_y
      - .offset:         166
        .size:           2
        .value_kind:     hidden_remainder_z
      - .offset:         184
        .size:           8
        .value_kind:     hidden_global_offset_x
      - .offset:         192
        .size:           8
        .value_kind:     hidden_global_offset_y
      - .offset:         200
        .size:           8
        .value_kind:     hidden_global_offset_z
      - .offset:         208
        .size:           2
        .value_kind:     hidden_grid_dims
    .group_segment_fixed_size: 64
    .kernarg_segment_align: 8
    .kernarg_segment_size: 400
    .language:       OpenCL C
    .language_version:
      - 2
      - 0
    .max_flat_workgroup_size: 1024
    .name:           _ZN5aiter35fused_qk_rmsnorm_group_quant_kernelItDB8_Li512ELi16ELi2ELb0ELb1ELb0ELb0ELb0ELb0EEEvPT0_PvPT_S6_S6_PKS5_S8_S8_S8_S8_ffiiiiiiiiiiiii
    .private_segment_fixed_size: 0
    .sgpr_count:     40
    .sgpr_spill_count: 0
    .symbol:         _ZN5aiter35fused_qk_rmsnorm_group_quant_kernelItDB8_Li512ELi16ELi2ELb0ELb1ELb0ELb0ELb0ELb0EEEvPT0_PvPT_S6_S6_PKS5_S8_S8_S8_S8_ffiiiiiiiiiiiii.kd
    .uniform_work_group_size: 1
    .uses_dynamic_stack: false
    .vgpr_count:     38
    .vgpr_spill_count: 0
    .wavefront_size: 64
  - .agpr_count:     0
    .args:
      - .actual_access:  write_only
        .address_space:  global
        .offset:         0
        .size:           8
        .value_kind:     global_buffer
      - .actual_access:  write_only
        .address_space:  global
        .offset:         8
        .size:           8
        .value_kind:     global_buffer
      - .actual_access:  write_only
        .address_space:  global
        .offset:         16
        .size:           8
        .value_kind:     global_buffer
      - .actual_access:  write_only
        .address_space:  global
        .offset:         24
        .size:           8
        .value_kind:     global_buffer
      - .actual_access:  read_only
        .address_space:  global
        .offset:         32
        .size:           8
        .value_kind:     global_buffer
      - .actual_access:  read_only
        .address_space:  global
        .offset:         40
        .size:           8
        .value_kind:     global_buffer
      - .actual_access:  read_only
        .address_space:  global
        .offset:         48
        .size:           8
        .value_kind:     global_buffer
      - .actual_access:  read_only
        .address_space:  global
        .offset:         56
        .size:           8
        .value_kind:     global_buffer
      - .actual_access:  read_only
        .address_space:  global
        .offset:         64
        .size:           8
        .value_kind:     global_buffer
      - .actual_access:  read_only
        .address_space:  global
        .offset:         72
        .size:           8
        .value_kind:     global_buffer
      - .offset:         80
        .size:           4
        .value_kind:     by_value
      - .offset:         84
        .size:           4
        .value_kind:     by_value
      - .offset:         88
        .size:           4
        .value_kind:     by_value
      - .offset:         92
        .size:           4
        .value_kind:     by_value
      - .offset:         96
        .size:           4
        .value_kind:     by_value
      - .offset:         100
        .size:           4
        .value_kind:     by_value
      - .offset:         104
        .size:           4
        .value_kind:     by_value
      - .offset:         108
        .size:           4
        .value_kind:     by_value
      - .offset:         112
        .size:           4
        .value_kind:     by_value
      - .offset:         116
        .size:           4
        .value_kind:     by_value
      - .offset:         120
        .size:           4
        .value_kind:     by_value
      - .offset:         124
        .size:           4
        .value_kind:     by_value
      - .offset:         128
        .size:           4
        .value_kind:     by_value
      - .offset:         132
        .size:           4
        .value_kind:     by_value
      - .offset:         136
        .size:           4
        .value_kind:     by_value
      - .offset:         144
        .size:           4
        .value_kind:     hidden_block_count_x
      - .offset:         148
        .size:           4
        .value_kind:     hidden_block_count_y
      - .offset:         152
        .size:           4
        .value_kind:     hidden_block_count_z
      - .offset:         156
        .size:           2
        .value_kind:     hidden_group_size_x
      - .offset:         158
        .size:           2
        .value_kind:     hidden_group_size_y
      - .offset:         160
        .size:           2
        .value_kind:     hidden_group_size_z
      - .offset:         162
        .size:           2
        .value_kind:     hidden_remainder_x
      - .offset:         164
        .size:           2
        .value_kind:     hidden_remainder_y
      - .offset:         166
        .size:           2
        .value_kind:     hidden_remainder_z
      - .offset:         184
        .size:           8
        .value_kind:     hidden_global_offset_x
      - .offset:         192
        .size:           8
        .value_kind:     hidden_global_offset_y
      - .offset:         200
        .size:           8
        .value_kind:     hidden_global_offset_z
      - .offset:         208
        .size:           2
        .value_kind:     hidden_grid_dims
    .group_segment_fixed_size: 64
    .kernarg_segment_align: 8
    .kernarg_segment_size: 400
    .language:       OpenCL C
    .language_version:
      - 2
      - 0
    .max_flat_workgroup_size: 1024
    .name:           _ZN5aiter35fused_qk_rmsnorm_group_quant_kernelIDF16_N4opus5fp4_tELi512ELi16ELi2ELb0ELb1ELb0ELb0ELb0ELb0EEEvPT0_PvPT_S7_S7_PKS6_S9_S9_S9_S9_ffiiiiiiiiiiiii
    .private_segment_fixed_size: 0
    .sgpr_count:     40
    .sgpr_spill_count: 0
    .symbol:         _ZN5aiter35fused_qk_rmsnorm_group_quant_kernelIDF16_N4opus5fp4_tELi512ELi16ELi2ELb0ELb1ELb0ELb0ELb0ELb0EEEvPT0_PvPT_S7_S7_PKS6_S9_S9_S9_S9_ffiiiiiiiiiiiii.kd
    .uniform_work_group_size: 1
    .uses_dynamic_stack: false
    .vgpr_count:     35
    .vgpr_spill_count: 0
    .wavefront_size: 64
  - .agpr_count:     0
    .args:
      - .actual_access:  write_only
        .address_space:  global
        .offset:         0
        .size:           8
        .value_kind:     global_buffer
      - .actual_access:  write_only
        .address_space:  global
        .offset:         8
        .size:           8
        .value_kind:     global_buffer
      - .actual_access:  write_only
        .address_space:  global
        .offset:         16
        .size:           8
        .value_kind:     global_buffer
      - .actual_access:  write_only
        .address_space:  global
        .offset:         24
        .size:           8
        .value_kind:     global_buffer
      - .actual_access:  read_only
        .address_space:  global
        .offset:         32
        .size:           8
        .value_kind:     global_buffer
      - .actual_access:  read_only
        .address_space:  global
        .offset:         40
        .size:           8
        .value_kind:     global_buffer
      - .actual_access:  read_only
        .address_space:  global
        .offset:         48
        .size:           8
        .value_kind:     global_buffer
      - .actual_access:  read_only
        .address_space:  global
        .offset:         56
        .size:           8
        .value_kind:     global_buffer
      - .actual_access:  read_only
        .address_space:  global
        .offset:         64
        .size:           8
        .value_kind:     global_buffer
      - .actual_access:  read_only
        .address_space:  global
        .offset:         72
        .size:           8
        .value_kind:     global_buffer
      - .offset:         80
        .size:           4
        .value_kind:     by_value
      - .offset:         84
        .size:           4
        .value_kind:     by_value
      - .offset:         88
        .size:           4
        .value_kind:     by_value
      - .offset:         92
        .size:           4
        .value_kind:     by_value
      - .offset:         96
        .size:           4
        .value_kind:     by_value
      - .offset:         100
        .size:           4
        .value_kind:     by_value
      - .offset:         104
        .size:           4
        .value_kind:     by_value
      - .offset:         108
        .size:           4
        .value_kind:     by_value
      - .offset:         112
        .size:           4
        .value_kind:     by_value
      - .offset:         116
        .size:           4
        .value_kind:     by_value
      - .offset:         120
        .size:           4
        .value_kind:     by_value
      - .offset:         124
        .size:           4
        .value_kind:     by_value
      - .offset:         128
        .size:           4
        .value_kind:     by_value
      - .offset:         132
        .size:           4
        .value_kind:     by_value
      - .offset:         136
        .size:           4
        .value_kind:     by_value
      - .offset:         144
        .size:           4
        .value_kind:     hidden_block_count_x
      - .offset:         148
        .size:           4
        .value_kind:     hidden_block_count_y
      - .offset:         152
        .size:           4
        .value_kind:     hidden_block_count_z
      - .offset:         156
        .size:           2
        .value_kind:     hidden_group_size_x
      - .offset:         158
        .size:           2
        .value_kind:     hidden_group_size_y
      - .offset:         160
        .size:           2
        .value_kind:     hidden_group_size_z
      - .offset:         162
        .size:           2
        .value_kind:     hidden_remainder_x
      - .offset:         164
        .size:           2
        .value_kind:     hidden_remainder_y
      - .offset:         166
        .size:           2
        .value_kind:     hidden_remainder_z
      - .offset:         184
        .size:           8
        .value_kind:     hidden_global_offset_x
      - .offset:         192
        .size:           8
        .value_kind:     hidden_global_offset_y
      - .offset:         200
        .size:           8
        .value_kind:     hidden_global_offset_z
      - .offset:         208
        .size:           2
        .value_kind:     hidden_grid_dims
    .group_segment_fixed_size: 64
    .kernarg_segment_align: 8
    .kernarg_segment_size: 400
    .language:       OpenCL C
    .language_version:
      - 2
      - 0
    .max_flat_workgroup_size: 1024
    .name:           _ZN5aiter35fused_qk_rmsnorm_group_quant_kernelItN4opus5fp4_tELi512ELi16ELi2ELb0ELb1ELb0ELb0ELb0ELb0EEEvPT0_PvPT_S7_S7_PKS6_S9_S9_S9_S9_ffiiiiiiiiiiiii
    .private_segment_fixed_size: 0
    .sgpr_count:     40
    .sgpr_spill_count: 0
    .symbol:         _ZN5aiter35fused_qk_rmsnorm_group_quant_kernelItN4opus5fp4_tELi512ELi16ELi2ELb0ELb1ELb0ELb0ELb0ELb0EEEvPT0_PvPT_S7_S7_PKS6_S9_S9_S9_S9_ffiiiiiiiiiiiii.kd
    .uniform_work_group_size: 1
    .uses_dynamic_stack: false
    .vgpr_count:     35
    .vgpr_spill_count: 0
    .wavefront_size: 64
  - .agpr_count:     0
    .args:
      - .actual_access:  write_only
        .address_space:  global
        .offset:         0
        .size:           8
        .value_kind:     global_buffer
      - .actual_access:  write_only
        .address_space:  global
        .offset:         8
        .size:           8
        .value_kind:     global_buffer
      - .actual_access:  read_only
        .address_space:  global
        .offset:         16
        .size:           8
        .value_kind:     global_buffer
      - .actual_access:  write_only
        .address_space:  global
        .offset:         24
        .size:           8
        .value_kind:     global_buffer
      - .actual_access:  read_only
        .address_space:  global
        .offset:         32
        .size:           8
        .value_kind:     global_buffer
      - .actual_access:  read_only
        .address_space:  global
        .offset:         40
        .size:           8
        .value_kind:     global_buffer
      - .actual_access:  read_only
        .address_space:  global
        .offset:         48
        .size:           8
        .value_kind:     global_buffer
      - .actual_access:  read_only
        .address_space:  global
        .offset:         56
        .size:           8
        .value_kind:     global_buffer
      - .actual_access:  read_only
        .address_space:  global
        .offset:         64
        .size:           8
        .value_kind:     global_buffer
      - .actual_access:  read_only
        .address_space:  global
        .offset:         72
        .size:           8
        .value_kind:     global_buffer
      - .offset:         80
        .size:           4
        .value_kind:     by_value
      - .offset:         84
        .size:           4
        .value_kind:     by_value
      - .offset:         88
        .size:           4
        .value_kind:     by_value
      - .offset:         92
        .size:           4
        .value_kind:     by_value
      - .offset:         96
        .size:           4
        .value_kind:     by_value
      - .offset:         100
        .size:           4
        .value_kind:     by_value
      - .offset:         104
        .size:           4
        .value_kind:     by_value
      - .offset:         108
        .size:           4
        .value_kind:     by_value
      - .offset:         112
        .size:           4
        .value_kind:     by_value
      - .offset:         116
        .size:           4
        .value_kind:     by_value
      - .offset:         120
        .size:           4
        .value_kind:     by_value
      - .offset:         124
        .size:           4
        .value_kind:     by_value
      - .offset:         128
        .size:           4
        .value_kind:     by_value
      - .offset:         132
        .size:           4
        .value_kind:     by_value
      - .offset:         136
        .size:           4
        .value_kind:     by_value
      - .offset:         144
        .size:           4
        .value_kind:     hidden_block_count_x
      - .offset:         148
        .size:           4
        .value_kind:     hidden_block_count_y
      - .offset:         152
        .size:           4
        .value_kind:     hidden_block_count_z
      - .offset:         156
        .size:           2
        .value_kind:     hidden_group_size_x
      - .offset:         158
        .size:           2
        .value_kind:     hidden_group_size_y
      - .offset:         160
        .size:           2
        .value_kind:     hidden_group_size_z
      - .offset:         162
        .size:           2
        .value_kind:     hidden_remainder_x
      - .offset:         164
        .size:           2
        .value_kind:     hidden_remainder_y
      - .offset:         166
        .size:           2
        .value_kind:     hidden_remainder_z
      - .offset:         184
        .size:           8
        .value_kind:     hidden_global_offset_x
      - .offset:         192
        .size:           8
        .value_kind:     hidden_global_offset_y
      - .offset:         200
        .size:           8
        .value_kind:     hidden_global_offset_z
      - .offset:         208
        .size:           2
        .value_kind:     hidden_grid_dims
    .group_segment_fixed_size: 64
    .kernarg_segment_align: 8
    .kernarg_segment_size: 400
    .language:       OpenCL C
    .language_version:
      - 2
      - 0
    .max_flat_workgroup_size: 1024
    .name:           _ZN5aiter35fused_qk_rmsnorm_group_quant_kernelIDF16_DB8_Li512ELi16ELi2ELb0ELb0ELb1ELb0ELb0ELb0EEEvPT0_PvPT_S6_S6_PKS5_S8_S8_S8_S8_ffiiiiiiiiiiiii
    .private_segment_fixed_size: 0
    .sgpr_count:     36
    .sgpr_spill_count: 0
    .symbol:         _ZN5aiter35fused_qk_rmsnorm_group_quant_kernelIDF16_DB8_Li512ELi16ELi2ELb0ELb0ELb1ELb0ELb0ELb0EEEvPT0_PvPT_S6_S6_PKS5_S8_S8_S8_S8_ffiiiiiiiiiiiii.kd
    .uniform_work_group_size: 1
    .uses_dynamic_stack: false
    .vgpr_count:     35
    .vgpr_spill_count: 0
    .wavefront_size: 64
  - .agpr_count:     0
    .args:
      - .actual_access:  write_only
        .address_space:  global
        .offset:         0
        .size:           8
        .value_kind:     global_buffer
      - .actual_access:  write_only
        .address_space:  global
        .offset:         8
        .size:           8
        .value_kind:     global_buffer
      - .actual_access:  read_only
        .address_space:  global
        .offset:         16
        .size:           8
        .value_kind:     global_buffer
      - .actual_access:  write_only
        .address_space:  global
        .offset:         24
        .size:           8
        .value_kind:     global_buffer
      - .actual_access:  read_only
        .address_space:  global
        .offset:         32
        .size:           8
        .value_kind:     global_buffer
      - .actual_access:  read_only
        .address_space:  global
        .offset:         40
        .size:           8
        .value_kind:     global_buffer
      - .actual_access:  read_only
        .address_space:  global
        .offset:         48
        .size:           8
        .value_kind:     global_buffer
      - .actual_access:  read_only
        .address_space:  global
        .offset:         56
        .size:           8
        .value_kind:     global_buffer
      - .actual_access:  read_only
        .address_space:  global
        .offset:         64
        .size:           8
        .value_kind:     global_buffer
      - .actual_access:  read_only
        .address_space:  global
        .offset:         72
        .size:           8
        .value_kind:     global_buffer
      - .offset:         80
        .size:           4
        .value_kind:     by_value
      - .offset:         84
        .size:           4
        .value_kind:     by_value
      - .offset:         88
        .size:           4
        .value_kind:     by_value
      - .offset:         92
        .size:           4
        .value_kind:     by_value
      - .offset:         96
        .size:           4
        .value_kind:     by_value
      - .offset:         100
        .size:           4
        .value_kind:     by_value
      - .offset:         104
        .size:           4
        .value_kind:     by_value
      - .offset:         108
        .size:           4
        .value_kind:     by_value
      - .offset:         112
        .size:           4
        .value_kind:     by_value
      - .offset:         116
        .size:           4
        .value_kind:     by_value
      - .offset:         120
        .size:           4
        .value_kind:     by_value
      - .offset:         124
        .size:           4
        .value_kind:     by_value
      - .offset:         128
        .size:           4
        .value_kind:     by_value
      - .offset:         132
        .size:           4
        .value_kind:     by_value
      - .offset:         136
        .size:           4
        .value_kind:     by_value
      - .offset:         144
        .size:           4
        .value_kind:     hidden_block_count_x
      - .offset:         148
        .size:           4
        .value_kind:     hidden_block_count_y
      - .offset:         152
        .size:           4
        .value_kind:     hidden_block_count_z
      - .offset:         156
        .size:           2
        .value_kind:     hidden_group_size_x
      - .offset:         158
        .size:           2
        .value_kind:     hidden_group_size_y
      - .offset:         160
        .size:           2
        .value_kind:     hidden_group_size_z
      - .offset:         162
        .size:           2
        .value_kind:     hidden_remainder_x
      - .offset:         164
        .size:           2
        .value_kind:     hidden_remainder_y
      - .offset:         166
        .size:           2
        .value_kind:     hidden_remainder_z
      - .offset:         184
        .size:           8
        .value_kind:     hidden_global_offset_x
      - .offset:         192
        .size:           8
        .value_kind:     hidden_global_offset_y
      - .offset:         200
        .size:           8
        .value_kind:     hidden_global_offset_z
      - .offset:         208
        .size:           2
        .value_kind:     hidden_grid_dims
    .group_segment_fixed_size: 64
    .kernarg_segment_align: 8
    .kernarg_segment_size: 400
    .language:       OpenCL C
    .language_version:
      - 2
      - 0
    .max_flat_workgroup_size: 1024
    .name:           _ZN5aiter35fused_qk_rmsnorm_group_quant_kernelItDB8_Li512ELi16ELi2ELb0ELb0ELb1ELb0ELb0ELb0EEEvPT0_PvPT_S6_S6_PKS5_S8_S8_S8_S8_ffiiiiiiiiiiiii
    .private_segment_fixed_size: 0
    .sgpr_count:     36
    .sgpr_spill_count: 0
    .symbol:         _ZN5aiter35fused_qk_rmsnorm_group_quant_kernelItDB8_Li512ELi16ELi2ELb0ELb0ELb1ELb0ELb0ELb0EEEvPT0_PvPT_S6_S6_PKS5_S8_S8_S8_S8_ffiiiiiiiiiiiii.kd
    .uniform_work_group_size: 1
    .uses_dynamic_stack: false
    .vgpr_count:     35
    .vgpr_spill_count: 0
    .wavefront_size: 64
  - .agpr_count:     0
    .args:
      - .actual_access:  write_only
        .address_space:  global
        .offset:         0
        .size:           8
        .value_kind:     global_buffer
      - .actual_access:  write_only
        .address_space:  global
        .offset:         8
        .size:           8
        .value_kind:     global_buffer
      - .actual_access:  read_only
        .address_space:  global
        .offset:         16
        .size:           8
        .value_kind:     global_buffer
      - .actual_access:  write_only
        .address_space:  global
        .offset:         24
        .size:           8
        .value_kind:     global_buffer
      - .actual_access:  read_only
        .address_space:  global
        .offset:         32
        .size:           8
        .value_kind:     global_buffer
      - .actual_access:  read_only
        .address_space:  global
        .offset:         40
        .size:           8
        .value_kind:     global_buffer
      - .actual_access:  read_only
        .address_space:  global
        .offset:         48
        .size:           8
        .value_kind:     global_buffer
      - .actual_access:  read_only
        .address_space:  global
        .offset:         56
        .size:           8
        .value_kind:     global_buffer
      - .actual_access:  read_only
        .address_space:  global
        .offset:         64
        .size:           8
        .value_kind:     global_buffer
      - .actual_access:  read_only
        .address_space:  global
        .offset:         72
        .size:           8
        .value_kind:     global_buffer
      - .offset:         80
        .size:           4
        .value_kind:     by_value
      - .offset:         84
        .size:           4
        .value_kind:     by_value
      - .offset:         88
        .size:           4
        .value_kind:     by_value
      - .offset:         92
        .size:           4
        .value_kind:     by_value
      - .offset:         96
        .size:           4
        .value_kind:     by_value
      - .offset:         100
        .size:           4
        .value_kind:     by_value
      - .offset:         104
        .size:           4
        .value_kind:     by_value
      - .offset:         108
        .size:           4
        .value_kind:     by_value
      - .offset:         112
        .size:           4
        .value_kind:     by_value
      - .offset:         116
        .size:           4
        .value_kind:     by_value
      - .offset:         120
        .size:           4
        .value_kind:     by_value
      - .offset:         124
        .size:           4
        .value_kind:     by_value
      - .offset:         128
        .size:           4
        .value_kind:     by_value
      - .offset:         132
        .size:           4
        .value_kind:     by_value
      - .offset:         136
        .size:           4
        .value_kind:     by_value
      - .offset:         144
        .size:           4
        .value_kind:     hidden_block_count_x
      - .offset:         148
        .size:           4
        .value_kind:     hidden_block_count_y
      - .offset:         152
        .size:           4
        .value_kind:     hidden_block_count_z
      - .offset:         156
        .size:           2
        .value_kind:     hidden_group_size_x
      - .offset:         158
        .size:           2
        .value_kind:     hidden_group_size_y
      - .offset:         160
        .size:           2
        .value_kind:     hidden_group_size_z
      - .offset:         162
        .size:           2
        .value_kind:     hidden_remainder_x
      - .offset:         164
        .size:           2
        .value_kind:     hidden_remainder_y
      - .offset:         166
        .size:           2
        .value_kind:     hidden_remainder_z
      - .offset:         184
        .size:           8
        .value_kind:     hidden_global_offset_x
      - .offset:         192
        .size:           8
        .value_kind:     hidden_global_offset_y
      - .offset:         200
        .size:           8
        .value_kind:     hidden_global_offset_z
      - .offset:         208
        .size:           2
        .value_kind:     hidden_grid_dims
    .group_segment_fixed_size: 64
    .kernarg_segment_align: 8
    .kernarg_segment_size: 400
    .language:       OpenCL C
    .language_version:
      - 2
      - 0
    .max_flat_workgroup_size: 1024
    .name:           _ZN5aiter35fused_qk_rmsnorm_group_quant_kernelIDF16_N4opus5fp4_tELi512ELi16ELi2ELb0ELb0ELb1ELb0ELb0ELb0EEEvPT0_PvPT_S7_S7_PKS6_S9_S9_S9_S9_ffiiiiiiiiiiiii
    .private_segment_fixed_size: 0
    .sgpr_count:     36
    .sgpr_spill_count: 0
    .symbol:         _ZN5aiter35fused_qk_rmsnorm_group_quant_kernelIDF16_N4opus5fp4_tELi512ELi16ELi2ELb0ELb0ELb1ELb0ELb0ELb0EEEvPT0_PvPT_S7_S7_PKS6_S9_S9_S9_S9_ffiiiiiiiiiiiii.kd
    .uniform_work_group_size: 1
    .uses_dynamic_stack: false
    .vgpr_count:     35
    .vgpr_spill_count: 0
    .wavefront_size: 64
  - .agpr_count:     0
    .args:
      - .actual_access:  write_only
        .address_space:  global
        .offset:         0
        .size:           8
        .value_kind:     global_buffer
      - .actual_access:  write_only
        .address_space:  global
        .offset:         8
        .size:           8
        .value_kind:     global_buffer
      - .actual_access:  read_only
        .address_space:  global
        .offset:         16
        .size:           8
        .value_kind:     global_buffer
      - .actual_access:  write_only
        .address_space:  global
        .offset:         24
        .size:           8
        .value_kind:     global_buffer
      - .actual_access:  read_only
        .address_space:  global
        .offset:         32
        .size:           8
        .value_kind:     global_buffer
      - .actual_access:  read_only
        .address_space:  global
        .offset:         40
        .size:           8
        .value_kind:     global_buffer
      - .actual_access:  read_only
        .address_space:  global
        .offset:         48
        .size:           8
        .value_kind:     global_buffer
      - .actual_access:  read_only
        .address_space:  global
        .offset:         56
        .size:           8
        .value_kind:     global_buffer
      - .actual_access:  read_only
        .address_space:  global
        .offset:         64
        .size:           8
        .value_kind:     global_buffer
      - .actual_access:  read_only
        .address_space:  global
        .offset:         72
        .size:           8
        .value_kind:     global_buffer
      - .offset:         80
        .size:           4
        .value_kind:     by_value
      - .offset:         84
        .size:           4
        .value_kind:     by_value
      - .offset:         88
        .size:           4
        .value_kind:     by_value
      - .offset:         92
        .size:           4
        .value_kind:     by_value
      - .offset:         96
        .size:           4
        .value_kind:     by_value
      - .offset:         100
        .size:           4
        .value_kind:     by_value
      - .offset:         104
        .size:           4
        .value_kind:     by_value
      - .offset:         108
        .size:           4
        .value_kind:     by_value
      - .offset:         112
        .size:           4
        .value_kind:     by_value
      - .offset:         116
        .size:           4
        .value_kind:     by_value
      - .offset:         120
        .size:           4
        .value_kind:     by_value
      - .offset:         124
        .size:           4
        .value_kind:     by_value
      - .offset:         128
        .size:           4
        .value_kind:     by_value
      - .offset:         132
        .size:           4
        .value_kind:     by_value
      - .offset:         136
        .size:           4
        .value_kind:     by_value
      - .offset:         144
        .size:           4
        .value_kind:     hidden_block_count_x
      - .offset:         148
        .size:           4
        .value_kind:     hidden_block_count_y
      - .offset:         152
        .size:           4
        .value_kind:     hidden_block_count_z
      - .offset:         156
        .size:           2
        .value_kind:     hidden_group_size_x
      - .offset:         158
        .size:           2
        .value_kind:     hidden_group_size_y
      - .offset:         160
        .size:           2
        .value_kind:     hidden_group_size_z
      - .offset:         162
        .size:           2
        .value_kind:     hidden_remainder_x
      - .offset:         164
        .size:           2
        .value_kind:     hidden_remainder_y
      - .offset:         166
        .size:           2
        .value_kind:     hidden_remainder_z
      - .offset:         184
        .size:           8
        .value_kind:     hidden_global_offset_x
      - .offset:         192
        .size:           8
        .value_kind:     hidden_global_offset_y
      - .offset:         200
        .size:           8
        .value_kind:     hidden_global_offset_z
      - .offset:         208
        .size:           2
        .value_kind:     hidden_grid_dims
    .group_segment_fixed_size: 64
    .kernarg_segment_align: 8
    .kernarg_segment_size: 400
    .language:       OpenCL C
    .language_version:
      - 2
      - 0
    .max_flat_workgroup_size: 1024
    .name:           _ZN5aiter35fused_qk_rmsnorm_group_quant_kernelItN4opus5fp4_tELi512ELi16ELi2ELb0ELb0ELb1ELb0ELb0ELb0EEEvPT0_PvPT_S7_S7_PKS6_S9_S9_S9_S9_ffiiiiiiiiiiiii
    .private_segment_fixed_size: 0
    .sgpr_count:     36
    .sgpr_spill_count: 0
    .symbol:         _ZN5aiter35fused_qk_rmsnorm_group_quant_kernelItN4opus5fp4_tELi512ELi16ELi2ELb0ELb0ELb1ELb0ELb0ELb0EEEvPT0_PvPT_S7_S7_PKS6_S9_S9_S9_S9_ffiiiiiiiiiiiii.kd
    .uniform_work_group_size: 1
    .uses_dynamic_stack: false
    .vgpr_count:     35
    .vgpr_spill_count: 0
    .wavefront_size: 64
  - .agpr_count:     0
    .args:
      - .actual_access:  write_only
        .address_space:  global
        .offset:         0
        .size:           8
        .value_kind:     global_buffer
      - .actual_access:  write_only
        .address_space:  global
        .offset:         8
        .size:           8
        .value_kind:     global_buffer
      - .actual_access:  read_only
        .address_space:  global
        .offset:         16
        .size:           8
        .value_kind:     global_buffer
      - .actual_access:  write_only
        .address_space:  global
        .offset:         24
        .size:           8
        .value_kind:     global_buffer
      - .actual_access:  read_only
        .address_space:  global
        .offset:         32
        .size:           8
        .value_kind:     global_buffer
      - .actual_access:  read_only
        .address_space:  global
        .offset:         40
        .size:           8
        .value_kind:     global_buffer
      - .actual_access:  read_only
        .address_space:  global
        .offset:         48
        .size:           8
        .value_kind:     global_buffer
      - .actual_access:  read_only
        .address_space:  global
        .offset:         56
        .size:           8
        .value_kind:     global_buffer
      - .actual_access:  read_only
        .address_space:  global
        .offset:         64
        .size:           8
        .value_kind:     global_buffer
      - .actual_access:  read_only
        .address_space:  global
        .offset:         72
        .size:           8
        .value_kind:     global_buffer
      - .offset:         80
        .size:           4
        .value_kind:     by_value
      - .offset:         84
        .size:           4
        .value_kind:     by_value
      - .offset:         88
        .size:           4
        .value_kind:     by_value
      - .offset:         92
        .size:           4
        .value_kind:     by_value
      - .offset:         96
        .size:           4
        .value_kind:     by_value
      - .offset:         100
        .size:           4
        .value_kind:     by_value
      - .offset:         104
        .size:           4
        .value_kind:     by_value
      - .offset:         108
        .size:           4
        .value_kind:     by_value
      - .offset:         112
        .size:           4
        .value_kind:     by_value
      - .offset:         116
        .size:           4
        .value_kind:     by_value
      - .offset:         120
        .size:           4
        .value_kind:     by_value
      - .offset:         124
        .size:           4
        .value_kind:     by_value
      - .offset:         128
        .size:           4
        .value_kind:     by_value
      - .offset:         132
        .size:           4
        .value_kind:     by_value
      - .offset:         136
        .size:           4
        .value_kind:     by_value
      - .offset:         144
        .size:           4
        .value_kind:     hidden_block_count_x
      - .offset:         148
        .size:           4
        .value_kind:     hidden_block_count_y
      - .offset:         152
        .size:           4
        .value_kind:     hidden_block_count_z
      - .offset:         156
        .size:           2
        .value_kind:     hidden_group_size_x
      - .offset:         158
        .size:           2
        .value_kind:     hidden_group_size_y
      - .offset:         160
        .size:           2
        .value_kind:     hidden_group_size_z
      - .offset:         162
        .size:           2
        .value_kind:     hidden_remainder_x
      - .offset:         164
        .size:           2
        .value_kind:     hidden_remainder_y
      - .offset:         166
        .size:           2
        .value_kind:     hidden_remainder_z
      - .offset:         184
        .size:           8
        .value_kind:     hidden_global_offset_x
      - .offset:         192
        .size:           8
        .value_kind:     hidden_global_offset_y
      - .offset:         200
        .size:           8
        .value_kind:     hidden_global_offset_z
      - .offset:         208
        .size:           2
        .value_kind:     hidden_grid_dims
    .group_segment_fixed_size: 64
    .kernarg_segment_align: 8
    .kernarg_segment_size: 400
    .language:       OpenCL C
    .language_version:
      - 2
      - 0
    .max_flat_workgroup_size: 1024
    .name:           _ZN5aiter35fused_qk_rmsnorm_group_quant_kernelIDF16_DB8_Li512ELi16ELi2ELb0ELb0ELb0ELb0ELb0ELb0EEEvPT0_PvPT_S6_S6_PKS5_S8_S8_S8_S8_ffiiiiiiiiiiiii
    .private_segment_fixed_size: 0
    .sgpr_count:     36
    .sgpr_spill_count: 0
    .symbol:         _ZN5aiter35fused_qk_rmsnorm_group_quant_kernelIDF16_DB8_Li512ELi16ELi2ELb0ELb0ELb0ELb0ELb0ELb0EEEvPT0_PvPT_S6_S6_PKS5_S8_S8_S8_S8_ffiiiiiiiiiiiii.kd
    .uniform_work_group_size: 1
    .uses_dynamic_stack: false
    .vgpr_count:     38
    .vgpr_spill_count: 0
    .wavefront_size: 64
  - .agpr_count:     0
    .args:
      - .actual_access:  write_only
        .address_space:  global
        .offset:         0
        .size:           8
        .value_kind:     global_buffer
      - .actual_access:  write_only
        .address_space:  global
        .offset:         8
        .size:           8
        .value_kind:     global_buffer
      - .actual_access:  read_only
        .address_space:  global
        .offset:         16
        .size:           8
        .value_kind:     global_buffer
      - .actual_access:  write_only
        .address_space:  global
        .offset:         24
        .size:           8
        .value_kind:     global_buffer
      - .actual_access:  read_only
        .address_space:  global
        .offset:         32
        .size:           8
        .value_kind:     global_buffer
      - .actual_access:  read_only
        .address_space:  global
        .offset:         40
        .size:           8
        .value_kind:     global_buffer
      - .actual_access:  read_only
        .address_space:  global
        .offset:         48
        .size:           8
        .value_kind:     global_buffer
      - .actual_access:  read_only
        .address_space:  global
        .offset:         56
        .size:           8
        .value_kind:     global_buffer
      - .actual_access:  read_only
        .address_space:  global
        .offset:         64
        .size:           8
        .value_kind:     global_buffer
      - .actual_access:  read_only
        .address_space:  global
        .offset:         72
        .size:           8
        .value_kind:     global_buffer
      - .offset:         80
        .size:           4
        .value_kind:     by_value
      - .offset:         84
        .size:           4
        .value_kind:     by_value
      - .offset:         88
        .size:           4
        .value_kind:     by_value
      - .offset:         92
        .size:           4
        .value_kind:     by_value
      - .offset:         96
        .size:           4
        .value_kind:     by_value
      - .offset:         100
        .size:           4
        .value_kind:     by_value
      - .offset:         104
        .size:           4
        .value_kind:     by_value
      - .offset:         108
        .size:           4
        .value_kind:     by_value
      - .offset:         112
        .size:           4
        .value_kind:     by_value
      - .offset:         116
        .size:           4
        .value_kind:     by_value
      - .offset:         120
        .size:           4
        .value_kind:     by_value
      - .offset:         124
        .size:           4
        .value_kind:     by_value
      - .offset:         128
        .size:           4
        .value_kind:     by_value
      - .offset:         132
        .size:           4
        .value_kind:     by_value
      - .offset:         136
        .size:           4
        .value_kind:     by_value
      - .offset:         144
        .size:           4
        .value_kind:     hidden_block_count_x
      - .offset:         148
        .size:           4
        .value_kind:     hidden_block_count_y
      - .offset:         152
        .size:           4
        .value_kind:     hidden_block_count_z
      - .offset:         156
        .size:           2
        .value_kind:     hidden_group_size_x
      - .offset:         158
        .size:           2
        .value_kind:     hidden_group_size_y
      - .offset:         160
        .size:           2
        .value_kind:     hidden_group_size_z
      - .offset:         162
        .size:           2
        .value_kind:     hidden_remainder_x
      - .offset:         164
        .size:           2
        .value_kind:     hidden_remainder_y
      - .offset:         166
        .size:           2
        .value_kind:     hidden_remainder_z
      - .offset:         184
        .size:           8
        .value_kind:     hidden_global_offset_x
      - .offset:         192
        .size:           8
        .value_kind:     hidden_global_offset_y
      - .offset:         200
        .size:           8
        .value_kind:     hidden_global_offset_z
      - .offset:         208
        .size:           2
        .value_kind:     hidden_grid_dims
    .group_segment_fixed_size: 64
    .kernarg_segment_align: 8
    .kernarg_segment_size: 400
    .language:       OpenCL C
    .language_version:
      - 2
      - 0
    .max_flat_workgroup_size: 1024
    .name:           _ZN5aiter35fused_qk_rmsnorm_group_quant_kernelItDB8_Li512ELi16ELi2ELb0ELb0ELb0ELb0ELb0ELb0EEEvPT0_PvPT_S6_S6_PKS5_S8_S8_S8_S8_ffiiiiiiiiiiiii
    .private_segment_fixed_size: 0
    .sgpr_count:     36
    .sgpr_spill_count: 0
    .symbol:         _ZN5aiter35fused_qk_rmsnorm_group_quant_kernelItDB8_Li512ELi16ELi2ELb0ELb0ELb0ELb0ELb0ELb0EEEvPT0_PvPT_S6_S6_PKS5_S8_S8_S8_S8_ffiiiiiiiiiiiii.kd
    .uniform_work_group_size: 1
    .uses_dynamic_stack: false
    .vgpr_count:     38
    .vgpr_spill_count: 0
    .wavefront_size: 64
  - .agpr_count:     0
    .args:
      - .actual_access:  write_only
        .address_space:  global
        .offset:         0
        .size:           8
        .value_kind:     global_buffer
      - .actual_access:  write_only
        .address_space:  global
        .offset:         8
        .size:           8
        .value_kind:     global_buffer
      - .actual_access:  read_only
        .address_space:  global
        .offset:         16
        .size:           8
        .value_kind:     global_buffer
      - .actual_access:  write_only
        .address_space:  global
        .offset:         24
        .size:           8
        .value_kind:     global_buffer
      - .actual_access:  read_only
        .address_space:  global
        .offset:         32
        .size:           8
        .value_kind:     global_buffer
      - .actual_access:  read_only
        .address_space:  global
        .offset:         40
        .size:           8
        .value_kind:     global_buffer
      - .actual_access:  read_only
        .address_space:  global
        .offset:         48
        .size:           8
        .value_kind:     global_buffer
      - .actual_access:  read_only
        .address_space:  global
        .offset:         56
        .size:           8
        .value_kind:     global_buffer
      - .actual_access:  read_only
        .address_space:  global
        .offset:         64
        .size:           8
        .value_kind:     global_buffer
      - .actual_access:  read_only
        .address_space:  global
        .offset:         72
        .size:           8
        .value_kind:     global_buffer
      - .offset:         80
        .size:           4
        .value_kind:     by_value
      - .offset:         84
        .size:           4
        .value_kind:     by_value
      - .offset:         88
        .size:           4
        .value_kind:     by_value
      - .offset:         92
        .size:           4
        .value_kind:     by_value
      - .offset:         96
        .size:           4
        .value_kind:     by_value
      - .offset:         100
        .size:           4
        .value_kind:     by_value
      - .offset:         104
        .size:           4
        .value_kind:     by_value
      - .offset:         108
        .size:           4
        .value_kind:     by_value
      - .offset:         112
        .size:           4
        .value_kind:     by_value
      - .offset:         116
        .size:           4
        .value_kind:     by_value
      - .offset:         120
        .size:           4
        .value_kind:     by_value
      - .offset:         124
        .size:           4
        .value_kind:     by_value
      - .offset:         128
        .size:           4
        .value_kind:     by_value
      - .offset:         132
        .size:           4
        .value_kind:     by_value
      - .offset:         136
        .size:           4
        .value_kind:     by_value
      - .offset:         144
        .size:           4
        .value_kind:     hidden_block_count_x
      - .offset:         148
        .size:           4
        .value_kind:     hidden_block_count_y
      - .offset:         152
        .size:           4
        .value_kind:     hidden_block_count_z
      - .offset:         156
        .size:           2
        .value_kind:     hidden_group_size_x
      - .offset:         158
        .size:           2
        .value_kind:     hidden_group_size_y
      - .offset:         160
        .size:           2
        .value_kind:     hidden_group_size_z
      - .offset:         162
        .size:           2
        .value_kind:     hidden_remainder_x
      - .offset:         164
        .size:           2
        .value_kind:     hidden_remainder_y
      - .offset:         166
        .size:           2
        .value_kind:     hidden_remainder_z
      - .offset:         184
        .size:           8
        .value_kind:     hidden_global_offset_x
      - .offset:         192
        .size:           8
        .value_kind:     hidden_global_offset_y
      - .offset:         200
        .size:           8
        .value_kind:     hidden_global_offset_z
      - .offset:         208
        .size:           2
        .value_kind:     hidden_grid_dims
    .group_segment_fixed_size: 64
    .kernarg_segment_align: 8
    .kernarg_segment_size: 400
    .language:       OpenCL C
    .language_version:
      - 2
      - 0
    .max_flat_workgroup_size: 1024
    .name:           _ZN5aiter35fused_qk_rmsnorm_group_quant_kernelIDF16_N4opus5fp4_tELi512ELi16ELi2ELb0ELb0ELb0ELb0ELb0ELb0EEEvPT0_PvPT_S7_S7_PKS6_S9_S9_S9_S9_ffiiiiiiiiiiiii
    .private_segment_fixed_size: 0
    .sgpr_count:     36
    .sgpr_spill_count: 0
    .symbol:         _ZN5aiter35fused_qk_rmsnorm_group_quant_kernelIDF16_N4opus5fp4_tELi512ELi16ELi2ELb0ELb0ELb0ELb0ELb0ELb0EEEvPT0_PvPT_S7_S7_PKS6_S9_S9_S9_S9_ffiiiiiiiiiiiii.kd
    .uniform_work_group_size: 1
    .uses_dynamic_stack: false
    .vgpr_count:     35
    .vgpr_spill_count: 0
    .wavefront_size: 64
  - .agpr_count:     0
    .args:
      - .actual_access:  write_only
        .address_space:  global
        .offset:         0
        .size:           8
        .value_kind:     global_buffer
      - .actual_access:  write_only
        .address_space:  global
        .offset:         8
        .size:           8
        .value_kind:     global_buffer
      - .actual_access:  read_only
        .address_space:  global
        .offset:         16
        .size:           8
        .value_kind:     global_buffer
      - .actual_access:  write_only
        .address_space:  global
        .offset:         24
        .size:           8
        .value_kind:     global_buffer
      - .actual_access:  read_only
        .address_space:  global
        .offset:         32
        .size:           8
        .value_kind:     global_buffer
      - .actual_access:  read_only
        .address_space:  global
        .offset:         40
        .size:           8
        .value_kind:     global_buffer
      - .actual_access:  read_only
        .address_space:  global
        .offset:         48
        .size:           8
        .value_kind:     global_buffer
      - .actual_access:  read_only
        .address_space:  global
        .offset:         56
        .size:           8
        .value_kind:     global_buffer
      - .actual_access:  read_only
        .address_space:  global
        .offset:         64
        .size:           8
        .value_kind:     global_buffer
      - .actual_access:  read_only
        .address_space:  global
        .offset:         72
        .size:           8
        .value_kind:     global_buffer
      - .offset:         80
        .size:           4
        .value_kind:     by_value
      - .offset:         84
        .size:           4
        .value_kind:     by_value
      - .offset:         88
        .size:           4
        .value_kind:     by_value
      - .offset:         92
        .size:           4
        .value_kind:     by_value
      - .offset:         96
        .size:           4
        .value_kind:     by_value
      - .offset:         100
        .size:           4
        .value_kind:     by_value
      - .offset:         104
        .size:           4
        .value_kind:     by_value
      - .offset:         108
        .size:           4
        .value_kind:     by_value
      - .offset:         112
        .size:           4
        .value_kind:     by_value
      - .offset:         116
        .size:           4
        .value_kind:     by_value
      - .offset:         120
        .size:           4
        .value_kind:     by_value
      - .offset:         124
        .size:           4
        .value_kind:     by_value
      - .offset:         128
        .size:           4
        .value_kind:     by_value
      - .offset:         132
        .size:           4
        .value_kind:     by_value
      - .offset:         136
        .size:           4
        .value_kind:     by_value
      - .offset:         144
        .size:           4
        .value_kind:     hidden_block_count_x
      - .offset:         148
        .size:           4
        .value_kind:     hidden_block_count_y
      - .offset:         152
        .size:           4
        .value_kind:     hidden_block_count_z
      - .offset:         156
        .size:           2
        .value_kind:     hidden_group_size_x
      - .offset:         158
        .size:           2
        .value_kind:     hidden_group_size_y
      - .offset:         160
        .size:           2
        .value_kind:     hidden_group_size_z
      - .offset:         162
        .size:           2
        .value_kind:     hidden_remainder_x
      - .offset:         164
        .size:           2
        .value_kind:     hidden_remainder_y
      - .offset:         166
        .size:           2
        .value_kind:     hidden_remainder_z
      - .offset:         184
        .size:           8
        .value_kind:     hidden_global_offset_x
      - .offset:         192
        .size:           8
        .value_kind:     hidden_global_offset_y
      - .offset:         200
        .size:           8
        .value_kind:     hidden_global_offset_z
      - .offset:         208
        .size:           2
        .value_kind:     hidden_grid_dims
    .group_segment_fixed_size: 64
    .kernarg_segment_align: 8
    .kernarg_segment_size: 400
    .language:       OpenCL C
    .language_version:
      - 2
      - 0
    .max_flat_workgroup_size: 1024
    .name:           _ZN5aiter35fused_qk_rmsnorm_group_quant_kernelItN4opus5fp4_tELi512ELi16ELi2ELb0ELb0ELb0ELb0ELb0ELb0EEEvPT0_PvPT_S7_S7_PKS6_S9_S9_S9_S9_ffiiiiiiiiiiiii
    .private_segment_fixed_size: 0
    .sgpr_count:     36
    .sgpr_spill_count: 0
    .symbol:         _ZN5aiter35fused_qk_rmsnorm_group_quant_kernelItN4opus5fp4_tELi512ELi16ELi2ELb0ELb0ELb0ELb0ELb0ELb0EEEvPT0_PvPT_S7_S7_PKS6_S9_S9_S9_S9_ffiiiiiiiiiiiii.kd
    .uniform_work_group_size: 1
    .uses_dynamic_stack: false
    .vgpr_count:     35
    .vgpr_spill_count: 0
    .wavefront_size: 64
amdhsa.target:   amdgcn-amd-amdhsa--gfx90a
amdhsa.version:
  - 1
  - 2
...

	.end_amdgpu_metadata
